;; amdgpu-corpus repo=ROCm/rocSOLVER kind=compiled arch=gfx1030 opt=O3
	.amdgcn_target "amdgcn-amd-amdhsa--gfx1030"
	.amdhsa_code_object_version 6
	.section	.text._ZN9rocsolver6v33100L18getri_kernel_smallILi1E19rocblas_complex_numIfEPS3_EEvT1_iilPiilS6_bb,"axG",@progbits,_ZN9rocsolver6v33100L18getri_kernel_smallILi1E19rocblas_complex_numIfEPS3_EEvT1_iilPiilS6_bb,comdat
	.globl	_ZN9rocsolver6v33100L18getri_kernel_smallILi1E19rocblas_complex_numIfEPS3_EEvT1_iilPiilS6_bb ; -- Begin function _ZN9rocsolver6v33100L18getri_kernel_smallILi1E19rocblas_complex_numIfEPS3_EEvT1_iilPiilS6_bb
	.p2align	8
	.type	_ZN9rocsolver6v33100L18getri_kernel_smallILi1E19rocblas_complex_numIfEPS3_EEvT1_iilPiilS6_bb,@function
_ZN9rocsolver6v33100L18getri_kernel_smallILi1E19rocblas_complex_numIfEPS3_EEvT1_iilPiilS6_bb: ; @_ZN9rocsolver6v33100L18getri_kernel_smallILi1E19rocblas_complex_numIfEPS3_EEvT1_iilPiilS6_bb
; %bb.0:
	s_mov_b32 s1, 0
	s_mov_b32 s0, exec_lo
	v_cmpx_eq_u32_e32 0, v0
	s_cbranch_execz .LBB0_13
; %bb.1:
	s_clause 0x4
	s_load_dword s2, s[4:5], 0x8
	s_load_dword s0, s[4:5], 0x38
	s_load_dwordx2 s[10:11], s[4:5], 0x10
	s_load_dwordx2 s[12:13], s[4:5], 0x0
	s_load_dwordx2 s[8:9], s[4:5], 0x30
	s_waitcnt lgkmcnt(0)
	s_ashr_i32 s3, s2, 31
	s_bitcmp1_b32 s0, 0
	s_mul_hi_u32 s4, s10, s6
	s_cselect_b32 s0, -1, 0
	s_ashr_i32 s7, s6, 31
	s_mul_i32 s11, s11, s6
	s_mul_i32 s5, s10, s7
	s_add_i32 s5, s4, s5
	s_mul_i32 s4, s10, s6
	s_add_i32 s5, s5, s11
	s_lshl_b64 s[4:5], s[4:5], 3
	s_add_u32 s4, s12, s4
	s_addc_u32 s5, s13, s5
	s_lshl_b64 s[2:3], s[2:3], 3
	s_add_u32 s2, s4, s2
	s_addc_u32 s3, s5, s3
	s_and_b32 vcc_lo, exec_lo, s0
	s_load_dwordx2 s[4:5], s[2:3], 0x0
	s_mov_b32 s0, -1
	s_cbranch_vccnz .LBB0_3
; %bb.2:
	s_lshl_b64 s[0:1], s[6:7], 2
	s_add_u32 s0, s8, s0
	s_addc_u32 s1, s9, s1
	s_load_dword s0, s[0:1], 0x0
	s_waitcnt lgkmcnt(0)
	s_cmp_eq_u32 s0, 0
	s_mov_b32 s0, 0
	s_cselect_b32 s1, -1, 0
.LBB0_3:
	s_andn2_b32 vcc_lo, exec_lo, s0
	s_cbranch_vccnz .LBB0_11
; %bb.4:
	s_waitcnt lgkmcnt(0)
	v_cmp_eq_f32_e64 s0, s4, 0
	v_cmp_eq_f32_e64 s10, s5, 0
	v_mov_b32_e32 v0, 0
	s_and_b32 s0, s0, s10
	ds_write_b32 v0, v0
	s_andn2_b32 vcc_lo, exec_lo, s0
	s_waitcnt lgkmcnt(0)
	s_barrier
	buffer_gl0_inv
	s_cbranch_vccnz .LBB0_9
; %bb.5:
	ds_read_b32 v1, v0
	s_waitcnt lgkmcnt(0)
	v_cmp_ne_u32_e32 vcc_lo, 0, v1
	v_cmp_gt_i32_e64 s0, 2, v1
	s_and_b32 s0, vcc_lo, s0
	s_and_b32 vcc_lo, exec_lo, s0
	s_cbranch_vccnz .LBB0_9
; %bb.6:
	v_mov_b32_e32 v2, 1
	v_mov_b32_e32 v3, 0
	s_mov_b32 s10, 0
.LBB0_7:                                ; =>This Inner Loop Header: Depth=1
	ds_cmpst_rtn_b32 v1, v3, v1, v2
	s_waitcnt lgkmcnt(0)
	v_cmp_ne_u32_e32 vcc_lo, 0, v1
	v_cmp_gt_i32_e64 s0, 2, v1
	s_and_b32 s0, vcc_lo, s0
	s_and_b32 s0, exec_lo, s0
	s_or_b32 s10, s0, s10
	s_andn2_b32 exec_lo, exec_lo, s10
	s_cbranch_execnz .LBB0_7
; %bb.8:
	s_or_b32 exec_lo, exec_lo, s10
.LBB0_9:
	s_barrier
	buffer_gl0_inv
	ds_read_b32 v1, v0
	s_lshl_b64 s[6:7], s[6:7], 2
	s_add_u32 s6, s8, s6
	s_addc_u32 s7, s9, s7
	s_waitcnt lgkmcnt(0)
	v_cmp_ne_u32_e32 vcc_lo, 0, v1
	global_store_dword v0, v1, s[6:7]
	s_cbranch_vccz .LBB0_14
; %bb.10:
                                        ; implicit-def: $vgpr0
	s_and_b32 vcc_lo, exec_lo, s1
	s_cbranch_vccnz .LBB0_12
	s_branch .LBB0_13
.LBB0_11:
	s_waitcnt lgkmcnt(0)
	v_mov_b32_e32 v1, s5
	v_mov_b32_e32 v0, s4
	s_and_b32 vcc_lo, exec_lo, s1
	s_cbranch_vccz .LBB0_13
.LBB0_12:
	v_mov_b32_e32 v2, 0
	global_store_dwordx2 v2, v[0:1], s[2:3]
.LBB0_13:
	s_endpgm
.LBB0_14:
	v_cmp_ngt_f32_e64 s0, |s4|, |s5|
	s_and_b32 vcc_lo, exec_lo, s0
	s_cbranch_vccz .LBB0_16
; %bb.15:
	v_div_scale_f32 v0, null, s5, s5, s4
	v_div_scale_f32 v3, vcc_lo, s4, s5, s4
	v_rcp_f32_e32 v1, v0
	v_fma_f32 v2, -v0, v1, 1.0
	v_fmac_f32_e32 v1, v2, v1
	v_mul_f32_e32 v2, v3, v1
	v_fma_f32 v4, -v0, v2, v3
	v_fmac_f32_e32 v2, v4, v1
	v_fma_f32 v0, -v0, v2, v3
	v_div_fmas_f32 v0, v0, v1, v2
	v_div_fixup_f32 v0, v0, s5, s4
	v_fma_f32 v1, s4, v0, s5
	v_div_scale_f32 v2, null, v1, v1, 1.0
	v_div_scale_f32 v5, vcc_lo, 1.0, v1, 1.0
	v_rcp_f32_e32 v3, v2
	v_fma_f32 v4, -v2, v3, 1.0
	v_fmac_f32_e32 v3, v4, v3
	v_mul_f32_e32 v4, v5, v3
	v_fma_f32 v6, -v2, v4, v5
	v_fmac_f32_e32 v4, v6, v3
	v_fma_f32 v2, -v2, v4, v5
	v_div_fmas_f32 v2, v2, v3, v4
	v_div_fixup_f32 v1, v2, v1, 1.0
	v_mul_f32_e32 v0, v0, v1
	v_xor_b32_e32 v1, 0x80000000, v1
	s_cbranch_execz .LBB0_17
	s_branch .LBB0_18
.LBB0_16:
                                        ; implicit-def: $vgpr0
.LBB0_17:
	v_div_scale_f32 v0, null, s4, s4, s5
	v_div_scale_f32 v3, vcc_lo, s5, s4, s5
	v_rcp_f32_e32 v1, v0
	v_fma_f32 v2, -v0, v1, 1.0
	v_fmac_f32_e32 v1, v2, v1
	v_mul_f32_e32 v2, v3, v1
	v_fma_f32 v4, -v0, v2, v3
	v_fmac_f32_e32 v2, v4, v1
	v_fma_f32 v0, -v0, v2, v3
	v_div_fmas_f32 v0, v0, v1, v2
	v_div_fixup_f32 v1, v0, s4, s5
	v_fma_f32 v0, s5, v1, s4
	v_div_scale_f32 v2, null, v0, v0, 1.0
	v_rcp_f32_e32 v3, v2
	v_fma_f32 v4, -v2, v3, 1.0
	v_fmac_f32_e32 v3, v4, v3
	v_div_scale_f32 v4, vcc_lo, 1.0, v0, 1.0
	v_mul_f32_e32 v5, v4, v3
	v_fma_f32 v6, -v2, v5, v4
	v_fmac_f32_e32 v5, v6, v3
	v_fma_f32 v2, -v2, v5, v4
	v_div_fmas_f32 v2, v2, v3, v5
	v_div_fixup_f32 v0, v2, v0, 1.0
	v_mul_f32_e64 v1, v1, -v0
.LBB0_18:
	s_cbranch_execnz .LBB0_12
	s_branch .LBB0_13
	.section	.rodata,"a",@progbits
	.p2align	6, 0x0
	.amdhsa_kernel _ZN9rocsolver6v33100L18getri_kernel_smallILi1E19rocblas_complex_numIfEPS3_EEvT1_iilPiilS6_bb
		.amdhsa_group_segment_fixed_size 4
		.amdhsa_private_segment_fixed_size 0
		.amdhsa_kernarg_size 60
		.amdhsa_user_sgpr_count 6
		.amdhsa_user_sgpr_private_segment_buffer 1
		.amdhsa_user_sgpr_dispatch_ptr 0
		.amdhsa_user_sgpr_queue_ptr 0
		.amdhsa_user_sgpr_kernarg_segment_ptr 1
		.amdhsa_user_sgpr_dispatch_id 0
		.amdhsa_user_sgpr_flat_scratch_init 0
		.amdhsa_user_sgpr_private_segment_size 0
		.amdhsa_wavefront_size32 1
		.amdhsa_uses_dynamic_stack 0
		.amdhsa_system_sgpr_private_segment_wavefront_offset 0
		.amdhsa_system_sgpr_workgroup_id_x 1
		.amdhsa_system_sgpr_workgroup_id_y 0
		.amdhsa_system_sgpr_workgroup_id_z 0
		.amdhsa_system_sgpr_workgroup_info 0
		.amdhsa_system_vgpr_workitem_id 0
		.amdhsa_next_free_vgpr 7
		.amdhsa_next_free_sgpr 14
		.amdhsa_reserve_vcc 1
		.amdhsa_reserve_flat_scratch 0
		.amdhsa_float_round_mode_32 0
		.amdhsa_float_round_mode_16_64 0
		.amdhsa_float_denorm_mode_32 3
		.amdhsa_float_denorm_mode_16_64 3
		.amdhsa_dx10_clamp 1
		.amdhsa_ieee_mode 1
		.amdhsa_fp16_overflow 0
		.amdhsa_workgroup_processor_mode 1
		.amdhsa_memory_ordered 1
		.amdhsa_forward_progress 1
		.amdhsa_shared_vgpr_count 0
		.amdhsa_exception_fp_ieee_invalid_op 0
		.amdhsa_exception_fp_denorm_src 0
		.amdhsa_exception_fp_ieee_div_zero 0
		.amdhsa_exception_fp_ieee_overflow 0
		.amdhsa_exception_fp_ieee_underflow 0
		.amdhsa_exception_fp_ieee_inexact 0
		.amdhsa_exception_int_div_zero 0
	.end_amdhsa_kernel
	.section	.text._ZN9rocsolver6v33100L18getri_kernel_smallILi1E19rocblas_complex_numIfEPS3_EEvT1_iilPiilS6_bb,"axG",@progbits,_ZN9rocsolver6v33100L18getri_kernel_smallILi1E19rocblas_complex_numIfEPS3_EEvT1_iilPiilS6_bb,comdat
.Lfunc_end0:
	.size	_ZN9rocsolver6v33100L18getri_kernel_smallILi1E19rocblas_complex_numIfEPS3_EEvT1_iilPiilS6_bb, .Lfunc_end0-_ZN9rocsolver6v33100L18getri_kernel_smallILi1E19rocblas_complex_numIfEPS3_EEvT1_iilPiilS6_bb
                                        ; -- End function
	.set _ZN9rocsolver6v33100L18getri_kernel_smallILi1E19rocblas_complex_numIfEPS3_EEvT1_iilPiilS6_bb.num_vgpr, 7
	.set _ZN9rocsolver6v33100L18getri_kernel_smallILi1E19rocblas_complex_numIfEPS3_EEvT1_iilPiilS6_bb.num_agpr, 0
	.set _ZN9rocsolver6v33100L18getri_kernel_smallILi1E19rocblas_complex_numIfEPS3_EEvT1_iilPiilS6_bb.numbered_sgpr, 14
	.set _ZN9rocsolver6v33100L18getri_kernel_smallILi1E19rocblas_complex_numIfEPS3_EEvT1_iilPiilS6_bb.num_named_barrier, 0
	.set _ZN9rocsolver6v33100L18getri_kernel_smallILi1E19rocblas_complex_numIfEPS3_EEvT1_iilPiilS6_bb.private_seg_size, 0
	.set _ZN9rocsolver6v33100L18getri_kernel_smallILi1E19rocblas_complex_numIfEPS3_EEvT1_iilPiilS6_bb.uses_vcc, 1
	.set _ZN9rocsolver6v33100L18getri_kernel_smallILi1E19rocblas_complex_numIfEPS3_EEvT1_iilPiilS6_bb.uses_flat_scratch, 0
	.set _ZN9rocsolver6v33100L18getri_kernel_smallILi1E19rocblas_complex_numIfEPS3_EEvT1_iilPiilS6_bb.has_dyn_sized_stack, 0
	.set _ZN9rocsolver6v33100L18getri_kernel_smallILi1E19rocblas_complex_numIfEPS3_EEvT1_iilPiilS6_bb.has_recursion, 0
	.set _ZN9rocsolver6v33100L18getri_kernel_smallILi1E19rocblas_complex_numIfEPS3_EEvT1_iilPiilS6_bb.has_indirect_call, 0
	.section	.AMDGPU.csdata,"",@progbits
; Kernel info:
; codeLenInByte = 804
; TotalNumSgprs: 16
; NumVgprs: 7
; ScratchSize: 0
; MemoryBound: 0
; FloatMode: 240
; IeeeMode: 1
; LDSByteSize: 4 bytes/workgroup (compile time only)
; SGPRBlocks: 0
; VGPRBlocks: 0
; NumSGPRsForWavesPerEU: 16
; NumVGPRsForWavesPerEU: 7
; Occupancy: 16
; WaveLimiterHint : 0
; COMPUTE_PGM_RSRC2:SCRATCH_EN: 0
; COMPUTE_PGM_RSRC2:USER_SGPR: 6
; COMPUTE_PGM_RSRC2:TRAP_HANDLER: 0
; COMPUTE_PGM_RSRC2:TGID_X_EN: 1
; COMPUTE_PGM_RSRC2:TGID_Y_EN: 0
; COMPUTE_PGM_RSRC2:TGID_Z_EN: 0
; COMPUTE_PGM_RSRC2:TIDIG_COMP_CNT: 0
	.section	.text._ZN9rocsolver6v33100L18getri_kernel_smallILi2E19rocblas_complex_numIfEPS3_EEvT1_iilPiilS6_bb,"axG",@progbits,_ZN9rocsolver6v33100L18getri_kernel_smallILi2E19rocblas_complex_numIfEPS3_EEvT1_iilPiilS6_bb,comdat
	.globl	_ZN9rocsolver6v33100L18getri_kernel_smallILi2E19rocblas_complex_numIfEPS3_EEvT1_iilPiilS6_bb ; -- Begin function _ZN9rocsolver6v33100L18getri_kernel_smallILi2E19rocblas_complex_numIfEPS3_EEvT1_iilPiilS6_bb
	.p2align	8
	.type	_ZN9rocsolver6v33100L18getri_kernel_smallILi2E19rocblas_complex_numIfEPS3_EEvT1_iilPiilS6_bb,@function
_ZN9rocsolver6v33100L18getri_kernel_smallILi2E19rocblas_complex_numIfEPS3_EEvT1_iilPiilS6_bb: ; @_ZN9rocsolver6v33100L18getri_kernel_smallILi2E19rocblas_complex_numIfEPS3_EEvT1_iilPiilS6_bb
; %bb.0:
	s_add_u32 s0, s0, s7
	s_addc_u32 s1, s1, 0
	s_mov_b32 s7, exec_lo
	v_cmpx_gt_u32_e32 2, v0
	s_cbranch_execz .LBB1_22
; %bb.1:
	s_clause 0x2
	s_load_dword s7, s[4:5], 0x38
	s_load_dwordx4 s[12:15], s[4:5], 0x10
	s_load_dwordx4 s[8:11], s[4:5], 0x28
	s_waitcnt lgkmcnt(0)
	s_bitcmp1_b32 s7, 8
	s_cselect_b32 s18, -1, 0
	s_bfe_u32 s16, s7, 0x10008
	s_ashr_i32 s7, s6, 31
	s_cmp_eq_u32 s16, 0
                                        ; implicit-def: $sgpr16_sgpr17
	s_cbranch_scc1 .LBB1_3
; %bb.2:
	s_load_dword s16, s[4:5], 0x20
	s_mul_i32 s17, s8, s7
	s_mul_hi_u32 s19, s8, s6
	s_mul_i32 s9, s9, s6
	s_add_i32 s17, s19, s17
	s_mul_i32 s8, s8, s6
	s_add_i32 s9, s17, s9
	s_lshl_b64 s[8:9], s[8:9], 2
	s_waitcnt lgkmcnt(0)
	s_ashr_i32 s17, s16, 31
	s_add_u32 s14, s14, s8
	s_addc_u32 s15, s15, s9
	s_lshl_b64 s[8:9], s[16:17], 2
	s_add_u32 s16, s14, s8
	s_addc_u32 s17, s15, s9
.LBB1_3:
	s_clause 0x1
	s_load_dwordx4 s[20:23], s[4:5], 0x0
	s_load_dword s14, s[4:5], 0x38
	s_mul_i32 s4, s12, s7
	s_mul_hi_u32 s5, s12, s6
	s_mul_i32 s8, s13, s6
	s_add_i32 s5, s5, s4
	s_mul_i32 s4, s12, s6
	s_add_i32 s5, s5, s8
	v_lshlrev_b32_e32 v7, 3, v0
	s_lshl_b64 s[4:5], s[4:5], 3
	s_waitcnt lgkmcnt(0)
	s_ashr_i32 s9, s22, 31
	s_mov_b32 s8, s22
	s_add_u32 s12, s20, s4
	s_addc_u32 s13, s21, s5
	s_lshl_b64 s[4:5], s[8:9], 3
	s_mov_b32 s8, s23
	s_add_u32 s4, s12, s4
	s_addc_u32 s5, s13, s5
	v_add_co_u32 v1, s12, s4, v7
	s_ashr_i32 s9, s23, 31
	v_add_co_ci_u32_e64 v2, null, s5, 0, s12
	s_lshl_b64 s[8:9], s[8:9], 3
	s_bitcmp0_b32 s14, 0
	v_add_co_u32 v3, vcc_lo, v1, s8
	v_add_co_ci_u32_e64 v4, null, s9, v2, vcc_lo
	s_clause 0x1
	global_load_dwordx2 v[5:6], v7, s[4:5]
	global_load_dwordx2 v[8:9], v[3:4], off
	s_mov_b32 s5, -1
	s_waitcnt vmcnt(1)
	buffer_store_dword v6, off, s[0:3], 0 offset:4
	buffer_store_dword v5, off, s[0:3], 0
	s_waitcnt vmcnt(0)
	buffer_store_dword v9, off, s[0:3], 0 offset:12
	buffer_store_dword v8, off, s[0:3], 0 offset:8
	s_cbranch_scc1 .LBB1_20
; %bb.4:
	v_cmp_eq_u32_e64 s4, 0, v0
	s_and_saveexec_b32 s5, s4
; %bb.5:
	v_mov_b32_e32 v5, 0
	ds_write_b32 v5, v5 offset:32
; %bb.6:
	s_or_b32 exec_lo, exec_lo, s5
	v_lshl_add_u32 v6, v0, 3, 0
	s_waitcnt lgkmcnt(0)
	s_waitcnt_vscnt null, 0x0
	s_barrier
	buffer_gl0_inv
	s_clause 0x1
	buffer_load_dword v5, v6, s[0:3], 0 offen
	buffer_load_dword v8, v6, s[0:3], 0 offen offset:4
	s_waitcnt vmcnt(1)
	v_cmp_eq_f32_e32 vcc_lo, 0, v5
	s_waitcnt vmcnt(0)
	v_cmp_eq_f32_e64 s5, 0, v8
	s_and_b32 s5, vcc_lo, s5
	s_and_saveexec_b32 s8, s5
	s_cbranch_execz .LBB1_10
; %bb.7:
	v_mov_b32_e32 v5, 0
	s_mov_b32 s9, 0
	ds_read_b32 v8, v5 offset:32
	s_waitcnt lgkmcnt(0)
	v_readfirstlane_b32 s5, v8
	v_add_nc_u32_e32 v8, 1, v0
	s_cmp_eq_u32 s5, 0
	v_cmp_gt_i32_e32 vcc_lo, s5, v8
	s_cselect_b32 s12, -1, 0
	s_or_b32 s12, s12, vcc_lo
	s_and_b32 exec_lo, exec_lo, s12
	s_cbranch_execz .LBB1_10
; %bb.8:
	v_mov_b32_e32 v9, s5
.LBB1_9:                                ; =>This Inner Loop Header: Depth=1
	ds_cmpst_rtn_b32 v9, v5, v9, v8 offset:32
	s_waitcnt lgkmcnt(0)
	v_cmp_ne_u32_e32 vcc_lo, 0, v9
	v_cmp_le_i32_e64 s5, v9, v8
	s_and_b32 s5, vcc_lo, s5
	s_and_b32 s5, exec_lo, s5
	s_or_b32 s9, s5, s9
	s_andn2_b32 exec_lo, exec_lo, s9
	s_cbranch_execnz .LBB1_9
.LBB1_10:
	s_or_b32 exec_lo, exec_lo, s8
	v_mov_b32_e32 v5, 0
	s_barrier
	buffer_gl0_inv
	ds_read_b32 v8, v5 offset:32
	s_and_saveexec_b32 s5, s4
	s_cbranch_execz .LBB1_12
; %bb.11:
	s_lshl_b64 s[8:9], s[6:7], 2
	s_add_u32 s8, s10, s8
	s_addc_u32 s9, s11, s9
	s_waitcnt lgkmcnt(0)
	global_store_dword v5, v8, s[8:9]
.LBB1_12:
	s_or_b32 exec_lo, exec_lo, s5
	s_waitcnt lgkmcnt(0)
	v_cmp_ne_u32_e32 vcc_lo, 0, v8
	s_mov_b32 s5, 0
	s_cbranch_vccnz .LBB1_20
; %bb.13:
	s_clause 0x1
	buffer_load_dword v8, v6, s[0:3], 0 offen
	buffer_load_dword v9, v6, s[0:3], 0 offen offset:4
                                        ; implicit-def: $vgpr11
                                        ; implicit-def: $vgpr10
                                        ; implicit-def: $vgpr5
	s_waitcnt vmcnt(0)
	v_cmp_ngt_f32_e64 s5, |v8|, |v9|
	s_and_saveexec_b32 s8, s5
	s_xor_b32 s5, exec_lo, s8
	s_cbranch_execz .LBB1_15
; %bb.14:
	v_div_scale_f32 v5, null, v9, v9, v8
	v_div_scale_f32 v12, vcc_lo, v8, v9, v8
	v_rcp_f32_e32 v10, v5
	v_fma_f32 v11, -v5, v10, 1.0
	v_fmac_f32_e32 v10, v11, v10
	v_mul_f32_e32 v11, v12, v10
	v_fma_f32 v13, -v5, v11, v12
	v_fmac_f32_e32 v11, v13, v10
	v_fma_f32 v5, -v5, v11, v12
	v_div_fmas_f32 v5, v5, v10, v11
	v_div_fixup_f32 v5, v5, v9, v8
	v_fmac_f32_e32 v9, v8, v5
	v_div_scale_f32 v8, null, v9, v9, 1.0
	v_rcp_f32_e32 v10, v8
	v_fma_f32 v11, -v8, v10, 1.0
	v_fmac_f32_e32 v10, v11, v10
	v_div_scale_f32 v11, vcc_lo, 1.0, v9, 1.0
	v_mul_f32_e32 v12, v11, v10
	v_fma_f32 v13, -v8, v12, v11
	v_fmac_f32_e32 v12, v13, v10
	v_fma_f32 v8, -v8, v12, v11
	v_div_fmas_f32 v8, v8, v10, v12
	v_div_fixup_f32 v8, v8, v9, 1.0
                                        ; implicit-def: $vgpr9
	v_mul_f32_e32 v11, v5, v8
	v_xor_b32_e32 v10, 0x80000000, v8
                                        ; implicit-def: $vgpr8
	v_xor_b32_e32 v5, 0x80000000, v11
.LBB1_15:
	s_andn2_saveexec_b32 s5, s5
	s_cbranch_execz .LBB1_17
; %bb.16:
	v_div_scale_f32 v5, null, v8, v8, v9
	v_div_scale_f32 v12, vcc_lo, v9, v8, v9
	v_rcp_f32_e32 v10, v5
	v_fma_f32 v11, -v5, v10, 1.0
	v_fmac_f32_e32 v10, v11, v10
	v_mul_f32_e32 v11, v12, v10
	v_fma_f32 v13, -v5, v11, v12
	v_fmac_f32_e32 v11, v13, v10
	v_fma_f32 v5, -v5, v11, v12
	v_div_fmas_f32 v5, v5, v10, v11
	v_div_fixup_f32 v10, v5, v8, v9
	v_fmac_f32_e32 v8, v9, v10
	v_div_scale_f32 v5, null, v8, v8, 1.0
	v_div_scale_f32 v12, vcc_lo, 1.0, v8, 1.0
	v_rcp_f32_e32 v9, v5
	v_fma_f32 v11, -v5, v9, 1.0
	v_fmac_f32_e32 v9, v11, v9
	v_mul_f32_e32 v11, v12, v9
	v_fma_f32 v13, -v5, v11, v12
	v_fmac_f32_e32 v11, v13, v9
	v_fma_f32 v5, -v5, v11, v12
	v_div_fmas_f32 v5, v5, v9, v11
	v_div_fixup_f32 v11, v5, v8, 1.0
	v_xor_b32_e32 v5, 0x80000000, v11
	v_mul_f32_e64 v10, v10, -v11
.LBB1_17:
	s_or_b32 exec_lo, exec_lo, s5
	buffer_store_dword v11, v6, s[0:3], 0 offen
	buffer_store_dword v10, v6, s[0:3], 0 offen offset:4
	s_clause 0x1
	buffer_load_dword v9, off, s[0:3], 0 offset:12
	buffer_load_dword v8, off, s[0:3], 0 offset:8
	v_xor_b32_e32 v6, 0x80000000, v10
	s_waitcnt vmcnt(0)
	ds_write2_b64 v7, v[5:6], v[8:9] offset1:2
	s_waitcnt lgkmcnt(0)
	s_waitcnt_vscnt null, 0x0
	s_barrier
	buffer_gl0_inv
	s_and_saveexec_b32 s5, s4
	s_cbranch_execz .LBB1_19
; %bb.18:
	s_clause 0x1
	buffer_load_dword v9, off, s[0:3], 0 offset:4
	buffer_load_dword v10, off, s[0:3], 0
	v_mov_b32_e32 v5, 0
	ds_read2_b64 v[5:8], v5 offset0:1 offset1:2
	s_waitcnt vmcnt(1) lgkmcnt(0)
	v_mul_f32_e32 v11, v7, v9
	v_mul_f32_e32 v9, v8, v9
	s_waitcnt vmcnt(0)
	v_fmac_f32_e32 v11, v8, v10
	v_fma_f32 v7, v7, v10, -v9
	v_add_f32_e32 v8, 0, v11
	v_add_f32_e32 v7, 0, v7
	v_mul_f32_e32 v9, v8, v6
	v_mul_f32_e32 v6, v7, v6
	v_fma_f32 v7, v7, v5, -v9
	v_fmac_f32_e32 v6, v8, v5
	buffer_store_dword v7, off, s[0:3], 0 offset:8
	buffer_store_dword v6, off, s[0:3], 0 offset:12
.LBB1_19:
	s_or_b32 exec_lo, exec_lo, s5
	s_mov_b32 s5, -1
	s_waitcnt_vscnt null, 0x0
	s_barrier
	buffer_gl0_inv
.LBB1_20:
	s_and_b32 vcc_lo, exec_lo, s5
	s_cbranch_vccz .LBB1_22
; %bb.21:
	s_lshl_b64 s[4:5], s[6:7], 2
	v_mov_b32_e32 v5, 0
	s_add_u32 s4, s10, s4
	s_addc_u32 s5, s11, s5
	global_load_dword v5, v5, s[4:5]
	s_waitcnt vmcnt(0)
	v_cmp_ne_u32_e32 vcc_lo, 0, v5
	s_cbranch_vccz .LBB1_23
.LBB1_22:
	s_endpgm
.LBB1_23:
	s_mov_b32 s4, exec_lo
	v_cmpx_eq_u32_e32 1, v0
	s_cbranch_execz .LBB1_25
; %bb.24:
	s_clause 0x1
	buffer_load_dword v5, off, s[0:3], 0
	buffer_load_dword v6, off, s[0:3], 0 offset:4
	v_mov_b32_e32 v0, 0
	buffer_store_dword v0, off, s[0:3], 0
	buffer_store_dword v0, off, s[0:3], 0 offset:4
	s_waitcnt vmcnt(0)
	ds_write_b64 v0, v[5:6] offset:24
.LBB1_25:
	s_or_b32 exec_lo, exec_lo, s4
	s_waitcnt lgkmcnt(0)
	s_waitcnt_vscnt null, 0x0
	s_barrier
	buffer_gl0_inv
	s_clause 0x3
	buffer_load_dword v6, off, s[0:3], 0 offset:12
	buffer_load_dword v5, off, s[0:3], 0 offset:8
	buffer_load_dword v9, off, s[0:3], 0
	buffer_load_dword v10, off, s[0:3], 0 offset:4
	v_mov_b32_e32 v0, 0
	s_and_b32 vcc_lo, exec_lo, s18
	ds_read_b64 v[7:8], v0 offset:24
	s_waitcnt vmcnt(3) lgkmcnt(0)
	v_mul_f32_e32 v11, v8, v6
	v_mul_f32_e32 v12, v7, v6
	s_waitcnt vmcnt(2)
	v_fma_f32 v7, v7, v5, -v11
	v_fmac_f32_e32 v12, v8, v5
	v_add_f32_e32 v7, 0, v7
	v_add_f32_e32 v8, 0, v12
	s_waitcnt vmcnt(1)
	v_sub_f32_e32 v7, v9, v7
	s_waitcnt vmcnt(0)
	v_sub_f32_e32 v8, v10, v8
	buffer_store_dword v7, off, s[0:3], 0
	buffer_store_dword v8, off, s[0:3], 0 offset:4
	s_cbranch_vccz .LBB1_28
; %bb.26:
	global_load_dword v0, v0, s[16:17]
	s_waitcnt vmcnt(0)
	v_add_nc_u32_e32 v0, -1, v0
	v_cmp_ne_u32_e32 vcc_lo, 0, v0
	s_cbranch_vccz .LBB1_28
; %bb.27:
	v_lshlrev_b32_e32 v0, 3, v0
	s_clause 0x3
	buffer_load_dword v5, v0, s[0:3], 0 offen
	buffer_load_dword v6, v0, s[0:3], 0 offen offset:4
	buffer_load_dword v7, off, s[0:3], 0 offset:4
	buffer_load_dword v8, off, s[0:3], 0
	s_waitcnt vmcnt(3)
	buffer_store_dword v5, off, s[0:3], 0
	s_waitcnt vmcnt(2)
	buffer_store_dword v6, off, s[0:3], 0 offset:4
	s_waitcnt vmcnt(1)
	buffer_store_dword v7, v0, s[0:3], 0 offen offset:4
	s_waitcnt vmcnt(0)
	buffer_store_dword v8, v0, s[0:3], 0 offen
	s_clause 0x1
	buffer_load_dword v6, off, s[0:3], 0 offset:12
	buffer_load_dword v5, off, s[0:3], 0 offset:8
.LBB1_28:
	s_clause 0x1
	buffer_load_dword v7, off, s[0:3], 0
	buffer_load_dword v8, off, s[0:3], 0 offset:4
	s_waitcnt vmcnt(0)
	global_store_dwordx2 v[1:2], v[7:8], off
	global_store_dwordx2 v[3:4], v[5:6], off
	s_endpgm
	.section	.rodata,"a",@progbits
	.p2align	6, 0x0
	.amdhsa_kernel _ZN9rocsolver6v33100L18getri_kernel_smallILi2E19rocblas_complex_numIfEPS3_EEvT1_iilPiilS6_bb
		.amdhsa_group_segment_fixed_size 36
		.amdhsa_private_segment_fixed_size 32
		.amdhsa_kernarg_size 60
		.amdhsa_user_sgpr_count 6
		.amdhsa_user_sgpr_private_segment_buffer 1
		.amdhsa_user_sgpr_dispatch_ptr 0
		.amdhsa_user_sgpr_queue_ptr 0
		.amdhsa_user_sgpr_kernarg_segment_ptr 1
		.amdhsa_user_sgpr_dispatch_id 0
		.amdhsa_user_sgpr_flat_scratch_init 0
		.amdhsa_user_sgpr_private_segment_size 0
		.amdhsa_wavefront_size32 1
		.amdhsa_uses_dynamic_stack 0
		.amdhsa_system_sgpr_private_segment_wavefront_offset 1
		.amdhsa_system_sgpr_workgroup_id_x 1
		.amdhsa_system_sgpr_workgroup_id_y 0
		.amdhsa_system_sgpr_workgroup_id_z 0
		.amdhsa_system_sgpr_workgroup_info 0
		.amdhsa_system_vgpr_workitem_id 0
		.amdhsa_next_free_vgpr 14
		.amdhsa_next_free_sgpr 24
		.amdhsa_reserve_vcc 1
		.amdhsa_reserve_flat_scratch 0
		.amdhsa_float_round_mode_32 0
		.amdhsa_float_round_mode_16_64 0
		.amdhsa_float_denorm_mode_32 3
		.amdhsa_float_denorm_mode_16_64 3
		.amdhsa_dx10_clamp 1
		.amdhsa_ieee_mode 1
		.amdhsa_fp16_overflow 0
		.amdhsa_workgroup_processor_mode 1
		.amdhsa_memory_ordered 1
		.amdhsa_forward_progress 1
		.amdhsa_shared_vgpr_count 0
		.amdhsa_exception_fp_ieee_invalid_op 0
		.amdhsa_exception_fp_denorm_src 0
		.amdhsa_exception_fp_ieee_div_zero 0
		.amdhsa_exception_fp_ieee_overflow 0
		.amdhsa_exception_fp_ieee_underflow 0
		.amdhsa_exception_fp_ieee_inexact 0
		.amdhsa_exception_int_div_zero 0
	.end_amdhsa_kernel
	.section	.text._ZN9rocsolver6v33100L18getri_kernel_smallILi2E19rocblas_complex_numIfEPS3_EEvT1_iilPiilS6_bb,"axG",@progbits,_ZN9rocsolver6v33100L18getri_kernel_smallILi2E19rocblas_complex_numIfEPS3_EEvT1_iilPiilS6_bb,comdat
.Lfunc_end1:
	.size	_ZN9rocsolver6v33100L18getri_kernel_smallILi2E19rocblas_complex_numIfEPS3_EEvT1_iilPiilS6_bb, .Lfunc_end1-_ZN9rocsolver6v33100L18getri_kernel_smallILi2E19rocblas_complex_numIfEPS3_EEvT1_iilPiilS6_bb
                                        ; -- End function
	.set _ZN9rocsolver6v33100L18getri_kernel_smallILi2E19rocblas_complex_numIfEPS3_EEvT1_iilPiilS6_bb.num_vgpr, 14
	.set _ZN9rocsolver6v33100L18getri_kernel_smallILi2E19rocblas_complex_numIfEPS3_EEvT1_iilPiilS6_bb.num_agpr, 0
	.set _ZN9rocsolver6v33100L18getri_kernel_smallILi2E19rocblas_complex_numIfEPS3_EEvT1_iilPiilS6_bb.numbered_sgpr, 24
	.set _ZN9rocsolver6v33100L18getri_kernel_smallILi2E19rocblas_complex_numIfEPS3_EEvT1_iilPiilS6_bb.num_named_barrier, 0
	.set _ZN9rocsolver6v33100L18getri_kernel_smallILi2E19rocblas_complex_numIfEPS3_EEvT1_iilPiilS6_bb.private_seg_size, 32
	.set _ZN9rocsolver6v33100L18getri_kernel_smallILi2E19rocblas_complex_numIfEPS3_EEvT1_iilPiilS6_bb.uses_vcc, 1
	.set _ZN9rocsolver6v33100L18getri_kernel_smallILi2E19rocblas_complex_numIfEPS3_EEvT1_iilPiilS6_bb.uses_flat_scratch, 0
	.set _ZN9rocsolver6v33100L18getri_kernel_smallILi2E19rocblas_complex_numIfEPS3_EEvT1_iilPiilS6_bb.has_dyn_sized_stack, 0
	.set _ZN9rocsolver6v33100L18getri_kernel_smallILi2E19rocblas_complex_numIfEPS3_EEvT1_iilPiilS6_bb.has_recursion, 0
	.set _ZN9rocsolver6v33100L18getri_kernel_smallILi2E19rocblas_complex_numIfEPS3_EEvT1_iilPiilS6_bb.has_indirect_call, 0
	.section	.AMDGPU.csdata,"",@progbits
; Kernel info:
; codeLenInByte = 1668
; TotalNumSgprs: 26
; NumVgprs: 14
; ScratchSize: 32
; MemoryBound: 0
; FloatMode: 240
; IeeeMode: 1
; LDSByteSize: 36 bytes/workgroup (compile time only)
; SGPRBlocks: 0
; VGPRBlocks: 1
; NumSGPRsForWavesPerEU: 26
; NumVGPRsForWavesPerEU: 14
; Occupancy: 16
; WaveLimiterHint : 0
; COMPUTE_PGM_RSRC2:SCRATCH_EN: 1
; COMPUTE_PGM_RSRC2:USER_SGPR: 6
; COMPUTE_PGM_RSRC2:TRAP_HANDLER: 0
; COMPUTE_PGM_RSRC2:TGID_X_EN: 1
; COMPUTE_PGM_RSRC2:TGID_Y_EN: 0
; COMPUTE_PGM_RSRC2:TGID_Z_EN: 0
; COMPUTE_PGM_RSRC2:TIDIG_COMP_CNT: 0
	.section	.text._ZN9rocsolver6v33100L18getri_kernel_smallILi3E19rocblas_complex_numIfEPS3_EEvT1_iilPiilS6_bb,"axG",@progbits,_ZN9rocsolver6v33100L18getri_kernel_smallILi3E19rocblas_complex_numIfEPS3_EEvT1_iilPiilS6_bb,comdat
	.globl	_ZN9rocsolver6v33100L18getri_kernel_smallILi3E19rocblas_complex_numIfEPS3_EEvT1_iilPiilS6_bb ; -- Begin function _ZN9rocsolver6v33100L18getri_kernel_smallILi3E19rocblas_complex_numIfEPS3_EEvT1_iilPiilS6_bb
	.p2align	8
	.type	_ZN9rocsolver6v33100L18getri_kernel_smallILi3E19rocblas_complex_numIfEPS3_EEvT1_iilPiilS6_bb,@function
_ZN9rocsolver6v33100L18getri_kernel_smallILi3E19rocblas_complex_numIfEPS3_EEvT1_iilPiilS6_bb: ; @_ZN9rocsolver6v33100L18getri_kernel_smallILi3E19rocblas_complex_numIfEPS3_EEvT1_iilPiilS6_bb
; %bb.0:
	s_add_u32 s0, s0, s7
	s_addc_u32 s1, s1, 0
	s_mov_b32 s7, exec_lo
	v_cmpx_gt_u32_e32 3, v0
	s_cbranch_execz .LBB2_26
; %bb.1:
	s_clause 0x2
	s_load_dword s7, s[4:5], 0x38
	s_load_dwordx4 s[16:19], s[4:5], 0x10
	s_load_dwordx4 s[8:11], s[4:5], 0x28
                                        ; implicit-def: $sgpr20_sgpr21
	s_waitcnt lgkmcnt(0)
	s_bitcmp1_b32 s7, 8
	s_cselect_b32 s22, -1, 0
	s_bfe_u32 s12, s7, 0x10008
	s_ashr_i32 s7, s6, 31
	s_cmp_eq_u32 s12, 0
	s_cbranch_scc1 .LBB2_3
; %bb.2:
	s_load_dword s12, s[4:5], 0x20
	s_mul_i32 s13, s8, s7
	s_mul_hi_u32 s14, s8, s6
	s_mul_i32 s9, s9, s6
	s_add_i32 s13, s14, s13
	s_mul_i32 s8, s8, s6
	s_add_i32 s9, s13, s9
	s_lshl_b64 s[8:9], s[8:9], 2
	s_waitcnt lgkmcnt(0)
	s_ashr_i32 s13, s12, 31
	s_add_u32 s14, s18, s8
	s_addc_u32 s15, s19, s9
	s_lshl_b64 s[8:9], s[12:13], 2
	s_add_u32 s20, s14, s8
	s_addc_u32 s21, s15, s9
.LBB2_3:
	s_clause 0x1
	s_load_dwordx4 s[12:15], s[4:5], 0x0
	s_load_dword s18, s[4:5], 0x38
	s_mul_i32 s4, s16, s7
	s_mul_hi_u32 s5, s16, s6
	s_mul_i32 s8, s17, s6
	s_add_i32 s5, s5, s4
	s_mul_i32 s4, s16, s6
	s_add_i32 s5, s5, s8
	v_lshlrev_b32_e32 v9, 3, v0
	s_lshl_b64 s[4:5], s[4:5], 3
	s_waitcnt lgkmcnt(0)
	v_add3_u32 v3, s15, s15, v0
	s_ashr_i32 s9, s14, 31
	s_mov_b32 s8, s14
	s_add_u32 s12, s12, s4
	s_addc_u32 s13, s13, s5
	s_lshl_b64 s[4:5], s[8:9], 3
	v_ashrrev_i32_e32 v4, 31, v3
	s_add_u32 s4, s12, s4
	s_addc_u32 s5, s13, s5
	v_add_co_u32 v1, s12, s4, v9
	s_mov_b32 s8, s15
	s_ashr_i32 s9, s15, 31
	v_lshlrev_b64 v[3:4], 3, v[3:4]
	v_add_co_ci_u32_e64 v2, null, s5, 0, s12
	s_lshl_b64 s[8:9], s[8:9], 3
	s_bitcmp0_b32 s18, 0
	v_add_co_u32 v5, vcc_lo, v1, s8
	v_add_co_ci_u32_e64 v6, null, s9, v2, vcc_lo
	v_add_co_u32 v3, vcc_lo, s4, v3
	v_add_co_ci_u32_e64 v4, null, s5, v4, vcc_lo
	s_clause 0x2
	global_load_dwordx2 v[7:8], v9, s[4:5]
	global_load_dwordx2 v[10:11], v[5:6], off
	global_load_dwordx2 v[12:13], v[3:4], off
	s_mov_b32 s5, -1
	s_waitcnt vmcnt(2)
	buffer_store_dword v8, off, s[0:3], 0 offset:4
	buffer_store_dword v7, off, s[0:3], 0
	s_waitcnt vmcnt(1)
	buffer_store_dword v11, off, s[0:3], 0 offset:12
	buffer_store_dword v10, off, s[0:3], 0 offset:8
	s_waitcnt vmcnt(0)
	buffer_store_dword v13, off, s[0:3], 0 offset:20
	buffer_store_dword v12, off, s[0:3], 0 offset:16
	s_cbranch_scc1 .LBB2_24
; %bb.4:
	v_cmp_eq_u32_e64 s4, 0, v0
	s_and_saveexec_b32 s5, s4
; %bb.5:
	v_mov_b32_e32 v7, 0
	ds_write_b32 v7, v7 offset:24
; %bb.6:
	s_or_b32 exec_lo, exec_lo, s5
	v_lshl_add_u32 v10, v0, 3, 0
	s_waitcnt lgkmcnt(0)
	s_waitcnt_vscnt null, 0x0
	s_barrier
	buffer_gl0_inv
	s_clause 0x1
	buffer_load_dword v7, v10, s[0:3], 0 offen
	buffer_load_dword v8, v10, s[0:3], 0 offen offset:4
	s_waitcnt vmcnt(1)
	v_cmp_eq_f32_e32 vcc_lo, 0, v7
	s_waitcnt vmcnt(0)
	v_cmp_eq_f32_e64 s5, 0, v8
	s_and_b32 s5, vcc_lo, s5
	s_and_saveexec_b32 s8, s5
	s_cbranch_execz .LBB2_10
; %bb.7:
	v_mov_b32_e32 v7, 0
	s_mov_b32 s9, 0
	ds_read_b32 v8, v7 offset:24
	s_waitcnt lgkmcnt(0)
	v_readfirstlane_b32 s5, v8
	v_add_nc_u32_e32 v8, 1, v0
	s_cmp_eq_u32 s5, 0
	v_cmp_gt_i32_e32 vcc_lo, s5, v8
	s_cselect_b32 s12, -1, 0
	s_or_b32 s12, s12, vcc_lo
	s_and_b32 exec_lo, exec_lo, s12
	s_cbranch_execz .LBB2_10
; %bb.8:
	v_mov_b32_e32 v11, s5
.LBB2_9:                                ; =>This Inner Loop Header: Depth=1
	ds_cmpst_rtn_b32 v11, v7, v11, v8 offset:24
	s_waitcnt lgkmcnt(0)
	v_cmp_ne_u32_e32 vcc_lo, 0, v11
	v_cmp_le_i32_e64 s5, v11, v8
	s_and_b32 s5, vcc_lo, s5
	s_and_b32 s5, exec_lo, s5
	s_or_b32 s9, s5, s9
	s_andn2_b32 exec_lo, exec_lo, s9
	s_cbranch_execnz .LBB2_9
.LBB2_10:
	s_or_b32 exec_lo, exec_lo, s8
	v_mov_b32_e32 v7, 0
	s_barrier
	buffer_gl0_inv
	ds_read_b32 v8, v7 offset:24
	s_and_saveexec_b32 s5, s4
	s_cbranch_execz .LBB2_12
; %bb.11:
	s_lshl_b64 s[8:9], s[6:7], 2
	s_add_u32 s8, s10, s8
	s_addc_u32 s9, s11, s9
	s_waitcnt lgkmcnt(0)
	global_store_dword v7, v8, s[8:9]
.LBB2_12:
	s_or_b32 exec_lo, exec_lo, s5
	s_waitcnt lgkmcnt(0)
	v_cmp_ne_u32_e32 vcc_lo, 0, v8
	s_mov_b32 s5, 0
	s_cbranch_vccnz .LBB2_24
; %bb.13:
	s_clause 0x1
	buffer_load_dword v8, v10, s[0:3], 0 offen
	buffer_load_dword v11, v10, s[0:3], 0 offen offset:4
                                        ; implicit-def: $vgpr13
                                        ; implicit-def: $vgpr12
                                        ; implicit-def: $vgpr7
	s_waitcnt vmcnt(0)
	v_cmp_ngt_f32_e64 s5, |v8|, |v11|
	s_and_saveexec_b32 s8, s5
	s_xor_b32 s5, exec_lo, s8
	s_cbranch_execz .LBB2_15
; %bb.14:
	v_div_scale_f32 v7, null, v11, v11, v8
	v_div_scale_f32 v14, vcc_lo, v8, v11, v8
	v_rcp_f32_e32 v12, v7
	v_fma_f32 v13, -v7, v12, 1.0
	v_fmac_f32_e32 v12, v13, v12
	v_mul_f32_e32 v13, v14, v12
	v_fma_f32 v15, -v7, v13, v14
	v_fmac_f32_e32 v13, v15, v12
	v_fma_f32 v7, -v7, v13, v14
	v_div_fmas_f32 v7, v7, v12, v13
	v_div_fixup_f32 v7, v7, v11, v8
	v_fmac_f32_e32 v11, v8, v7
	v_div_scale_f32 v8, null, v11, v11, 1.0
	v_rcp_f32_e32 v12, v8
	v_fma_f32 v13, -v8, v12, 1.0
	v_fmac_f32_e32 v12, v13, v12
	v_div_scale_f32 v13, vcc_lo, 1.0, v11, 1.0
	v_mul_f32_e32 v14, v13, v12
	v_fma_f32 v15, -v8, v14, v13
	v_fmac_f32_e32 v14, v15, v12
	v_fma_f32 v8, -v8, v14, v13
	v_div_fmas_f32 v8, v8, v12, v14
	v_div_fixup_f32 v8, v8, v11, 1.0
                                        ; implicit-def: $vgpr11
	v_mul_f32_e32 v13, v7, v8
	v_xor_b32_e32 v12, 0x80000000, v8
                                        ; implicit-def: $vgpr8
	v_xor_b32_e32 v7, 0x80000000, v13
.LBB2_15:
	s_andn2_saveexec_b32 s5, s5
	s_cbranch_execz .LBB2_17
; %bb.16:
	v_div_scale_f32 v7, null, v8, v8, v11
	v_div_scale_f32 v14, vcc_lo, v11, v8, v11
	v_rcp_f32_e32 v12, v7
	v_fma_f32 v13, -v7, v12, 1.0
	v_fmac_f32_e32 v12, v13, v12
	v_mul_f32_e32 v13, v14, v12
	v_fma_f32 v15, -v7, v13, v14
	v_fmac_f32_e32 v13, v15, v12
	v_fma_f32 v7, -v7, v13, v14
	v_div_fmas_f32 v7, v7, v12, v13
	v_div_fixup_f32 v12, v7, v8, v11
	v_fmac_f32_e32 v8, v11, v12
	v_div_scale_f32 v7, null, v8, v8, 1.0
	v_div_scale_f32 v14, vcc_lo, 1.0, v8, 1.0
	v_rcp_f32_e32 v11, v7
	v_fma_f32 v13, -v7, v11, 1.0
	v_fmac_f32_e32 v11, v13, v11
	v_mul_f32_e32 v13, v14, v11
	v_fma_f32 v15, -v7, v13, v14
	v_fmac_f32_e32 v13, v15, v11
	v_fma_f32 v7, -v7, v13, v14
	v_div_fmas_f32 v7, v7, v11, v13
	v_div_fixup_f32 v13, v7, v8, 1.0
	v_xor_b32_e32 v7, 0x80000000, v13
	v_mul_f32_e64 v12, v12, -v13
.LBB2_17:
	s_or_b32 exec_lo, exec_lo, s5
	buffer_store_dword v13, v10, s[0:3], 0 offen
	buffer_store_dword v12, v10, s[0:3], 0 offen offset:4
	s_clause 0x1
	buffer_load_dword v14, off, s[0:3], 0 offset:12
	buffer_load_dword v13, off, s[0:3], 0 offset:8
	v_xor_b32_e32 v8, 0x80000000, v12
	v_add_nc_u32_e32 v11, 32, v9
	s_waitcnt vmcnt(0)
	ds_write2_b64 v9, v[7:8], v[13:14] offset1:4
	s_waitcnt lgkmcnt(0)
	s_waitcnt_vscnt null, 0x0
	s_barrier
	buffer_gl0_inv
	s_and_saveexec_b32 s5, s4
	s_cbranch_execz .LBB2_19
; %bb.18:
	s_clause 0x1
	buffer_load_dword v9, v10, s[0:3], 0 offen offset:4
	buffer_load_dword v14, v10, s[0:3], 0 offen
	ds_read_b64 v[7:8], v11
	v_mov_b32_e32 v12, 0
	ds_read_b64 v[12:13], v12 offset:8
	s_waitcnt vmcnt(1) lgkmcnt(1)
	v_mul_f32_e32 v15, v7, v9
	v_mul_f32_e32 v9, v8, v9
	s_waitcnt vmcnt(0)
	v_fmac_f32_e32 v15, v8, v14
	v_fma_f32 v7, v7, v14, -v9
	v_add_f32_e32 v8, 0, v15
	v_add_f32_e32 v7, 0, v7
	s_waitcnt lgkmcnt(0)
	v_mul_f32_e32 v9, v8, v13
	v_mul_f32_e32 v13, v7, v13
	v_fma_f32 v7, v7, v12, -v9
	v_fmac_f32_e32 v13, v8, v12
	buffer_store_dword v7, off, s[0:3], 0 offset:8
	buffer_store_dword v13, off, s[0:3], 0 offset:12
.LBB2_19:
	s_or_b32 exec_lo, exec_lo, s5
	s_waitcnt_vscnt null, 0x0
	s_barrier
	buffer_gl0_inv
	s_clause 0x1
	buffer_load_dword v7, off, s[0:3], 0 offset:16
	buffer_load_dword v8, off, s[0:3], 0 offset:20
	s_mov_b32 s5, exec_lo
	s_waitcnt vmcnt(0)
	ds_write_b64 v11, v[7:8]
	s_waitcnt lgkmcnt(0)
	s_barrier
	buffer_gl0_inv
	v_cmpx_ne_u32_e32 2, v0
	s_cbranch_execz .LBB2_23
; %bb.20:
	s_clause 0x1
	buffer_load_dword v9, v10, s[0:3], 0 offen offset:4
	buffer_load_dword v10, v10, s[0:3], 0 offen
	ds_read_b64 v[7:8], v11
	s_waitcnt vmcnt(1) lgkmcnt(0)
	v_mul_f32_e32 v11, v8, v9
	v_mul_f32_e32 v9, v7, v9
	s_waitcnt vmcnt(0)
	v_fma_f32 v7, v7, v10, -v11
	v_fmac_f32_e32 v9, v8, v10
	v_add_f32_e32 v8, 0, v7
	v_add_f32_e32 v7, 0, v9
	s_and_saveexec_b32 s8, s4
	s_cbranch_execz .LBB2_22
; %bb.21:
	s_clause 0x1
	buffer_load_dword v11, off, s[0:3], 0 offset:12
	buffer_load_dword v12, off, s[0:3], 0 offset:8
	v_mov_b32_e32 v9, 0
	ds_read_b64 v[9:10], v9 offset:40
	s_waitcnt vmcnt(1) lgkmcnt(0)
	v_mul_f32_e32 v13, v9, v11
	v_mul_f32_e32 v11, v10, v11
	s_waitcnt vmcnt(0)
	v_fmac_f32_e32 v13, v10, v12
	v_fma_f32 v9, v9, v12, -v11
	v_add_f32_e32 v7, v7, v13
	v_add_f32_e32 v8, v8, v9
.LBB2_22:
	s_or_b32 exec_lo, exec_lo, s8
	v_mov_b32_e32 v9, 0
	ds_read_b64 v[9:10], v9 offset:16
	s_waitcnt lgkmcnt(0)
	v_mul_f32_e32 v11, v7, v10
	v_mul_f32_e32 v10, v8, v10
	v_fma_f32 v8, v8, v9, -v11
	v_fmac_f32_e32 v10, v7, v9
	buffer_store_dword v8, off, s[0:3], 0 offset:16
	buffer_store_dword v10, off, s[0:3], 0 offset:20
.LBB2_23:
	s_or_b32 exec_lo, exec_lo, s5
	s_mov_b32 s5, -1
	s_waitcnt_vscnt null, 0x0
	s_barrier
	buffer_gl0_inv
.LBB2_24:
	s_and_b32 vcc_lo, exec_lo, s5
	s_cbranch_vccz .LBB2_26
; %bb.25:
	s_lshl_b64 s[4:5], s[6:7], 2
	v_mov_b32_e32 v7, 0
	s_add_u32 s4, s10, s4
	s_addc_u32 s5, s11, s5
	global_load_dword v7, v7, s[4:5]
	s_waitcnt vmcnt(0)
	v_cmp_ne_u32_e32 vcc_lo, 0, v7
	s_cbranch_vccz .LBB2_27
.LBB2_26:
	s_endpgm
.LBB2_27:
	v_lshl_add_u32 v7, v0, 3, 32
	s_mov_b32 s4, exec_lo
	v_cmpx_eq_u32_e32 2, v0
	s_cbranch_execz .LBB2_29
; %bb.28:
	s_clause 0x1
	buffer_load_dword v8, off, s[0:3], 0 offset:8
	buffer_load_dword v9, off, s[0:3], 0 offset:12
	v_mov_b32_e32 v10, 0
	buffer_store_dword v10, off, s[0:3], 0 offset:8
	buffer_store_dword v10, off, s[0:3], 0 offset:12
	s_waitcnt vmcnt(0)
	ds_write_b64 v7, v[8:9]
.LBB2_29:
	s_or_b32 exec_lo, exec_lo, s4
	s_waitcnt lgkmcnt(0)
	s_waitcnt_vscnt null, 0x0
	s_barrier
	buffer_gl0_inv
	s_clause 0x3
	buffer_load_dword v11, off, s[0:3], 0 offset:20
	buffer_load_dword v12, off, s[0:3], 0 offset:16
	;; [unrolled: 1-line block ×4, first 2 shown]
	v_mov_b32_e32 v8, 0
	s_mov_b32 s4, exec_lo
	ds_read_b64 v[9:10], v8 offset:48
	s_waitcnt vmcnt(3) lgkmcnt(0)
	v_mul_f32_e32 v15, v10, v11
	v_mul_f32_e32 v11, v9, v11
	s_waitcnt vmcnt(2)
	v_fma_f32 v9, v9, v12, -v15
	v_fmac_f32_e32 v11, v10, v12
	v_add_f32_e32 v9, 0, v9
	v_add_f32_e32 v10, 0, v11
	s_waitcnt vmcnt(1)
	v_sub_f32_e32 v9, v13, v9
	s_waitcnt vmcnt(0)
	v_sub_f32_e32 v10, v14, v10
	buffer_store_dword v9, off, s[0:3], 0 offset:8
	buffer_store_dword v10, off, s[0:3], 0 offset:12
	v_cmpx_ne_u32_e32 0, v0
	s_cbranch_execz .LBB2_31
; %bb.30:
	s_clause 0x1
	buffer_load_dword v9, off, s[0:3], 0
	buffer_load_dword v10, off, s[0:3], 0 offset:4
	buffer_store_dword v8, off, s[0:3], 0
	buffer_store_dword v8, off, s[0:3], 0 offset:4
	s_waitcnt vmcnt(0)
	ds_write_b64 v7, v[9:10]
.LBB2_31:
	s_or_b32 exec_lo, exec_lo, s4
	s_waitcnt lgkmcnt(0)
	s_waitcnt_vscnt null, 0x0
	s_barrier
	buffer_gl0_inv
	s_clause 0x5
	buffer_load_dword v0, off, s[0:3], 0 offset:12
	buffer_load_dword v12, off, s[0:3], 0 offset:20
	;; [unrolled: 1-line block ×4, first 2 shown]
	buffer_load_dword v14, off, s[0:3], 0
	buffer_load_dword v15, off, s[0:3], 0 offset:4
	ds_read2_b64 v[8:11], v8 offset0:5 offset1:6
	s_and_b32 vcc_lo, exec_lo, s22
	s_waitcnt vmcnt(5) lgkmcnt(0)
	v_mul_f32_e32 v16, v9, v0
	v_mul_f32_e32 v17, v8, v0
	s_waitcnt vmcnt(4)
	v_mul_f32_e32 v18, v10, v12
	v_mul_f32_e32 v12, v11, v12
	s_waitcnt vmcnt(3)
	v_fma_f32 v8, v8, v7, -v16
	v_fmac_f32_e32 v17, v9, v7
	s_waitcnt vmcnt(2)
	v_fmac_f32_e32 v18, v11, v13
	v_fma_f32 v9, v10, v13, -v12
	v_add_f32_e32 v8, 0, v8
	v_add_f32_e32 v10, 0, v17
	;; [unrolled: 1-line block ×4, first 2 shown]
	s_waitcnt vmcnt(1)
	v_sub_f32_e32 v8, v14, v8
	s_waitcnt vmcnt(0)
	v_sub_f32_e32 v9, v15, v9
	buffer_store_dword v8, off, s[0:3], 0
	buffer_store_dword v9, off, s[0:3], 0 offset:4
	s_cbranch_vccz .LBB2_36
; %bb.32:
	v_mov_b32_e32 v8, 0
	global_load_dword v9, v8, s[20:21] offset:4
	s_waitcnt vmcnt(0)
	v_add_nc_u32_e32 v9, -1, v9
	v_cmp_ne_u32_e32 vcc_lo, 1, v9
	s_cbranch_vccz .LBB2_34
; %bb.33:
	v_lshlrev_b32_e32 v9, 3, v9
	s_clause 0x1
	buffer_load_dword v10, v9, s[0:3], 0 offen
	buffer_load_dword v11, v9, s[0:3], 0 offen offset:4
	s_waitcnt vmcnt(1)
	buffer_store_dword v10, off, s[0:3], 0 offset:8
	s_waitcnt vmcnt(0)
	buffer_store_dword v11, off, s[0:3], 0 offset:12
	buffer_store_dword v7, v9, s[0:3], 0 offen
	buffer_store_dword v0, v9, s[0:3], 0 offen offset:4
.LBB2_34:
	global_load_dword v0, v8, s[20:21]
	s_waitcnt vmcnt(0)
	v_add_nc_u32_e32 v0, -1, v0
	v_cmp_eq_u32_e32 vcc_lo, 0, v0
	s_cbranch_vccnz .LBB2_36
; %bb.35:
	v_lshlrev_b32_e32 v0, 3, v0
	s_clause 0x3
	buffer_load_dword v7, v0, s[0:3], 0 offen
	buffer_load_dword v8, v0, s[0:3], 0 offen offset:4
	buffer_load_dword v9, off, s[0:3], 0 offset:4
	buffer_load_dword v10, off, s[0:3], 0
	s_waitcnt vmcnt(3)
	buffer_store_dword v7, off, s[0:3], 0
	s_waitcnt vmcnt(2)
	buffer_store_dword v8, off, s[0:3], 0 offset:4
	s_waitcnt vmcnt(1)
	buffer_store_dword v9, v0, s[0:3], 0 offen offset:4
	s_waitcnt vmcnt(0)
	buffer_store_dword v10, v0, s[0:3], 0 offen
.LBB2_36:
	s_clause 0x5
	buffer_load_dword v7, off, s[0:3], 0
	buffer_load_dword v8, off, s[0:3], 0 offset:4
	buffer_load_dword v9, off, s[0:3], 0 offset:8
	;; [unrolled: 1-line block ×5, first 2 shown]
	s_waitcnt vmcnt(4)
	global_store_dwordx2 v[1:2], v[7:8], off
	s_waitcnt vmcnt(2)
	global_store_dwordx2 v[5:6], v[9:10], off
	;; [unrolled: 2-line block ×3, first 2 shown]
	s_endpgm
	.section	.rodata,"a",@progbits
	.p2align	6, 0x0
	.amdhsa_kernel _ZN9rocsolver6v33100L18getri_kernel_smallILi3E19rocblas_complex_numIfEPS3_EEvT1_iilPiilS6_bb
		.amdhsa_group_segment_fixed_size 56
		.amdhsa_private_segment_fixed_size 32
		.amdhsa_kernarg_size 60
		.amdhsa_user_sgpr_count 6
		.amdhsa_user_sgpr_private_segment_buffer 1
		.amdhsa_user_sgpr_dispatch_ptr 0
		.amdhsa_user_sgpr_queue_ptr 0
		.amdhsa_user_sgpr_kernarg_segment_ptr 1
		.amdhsa_user_sgpr_dispatch_id 0
		.amdhsa_user_sgpr_flat_scratch_init 0
		.amdhsa_user_sgpr_private_segment_size 0
		.amdhsa_wavefront_size32 1
		.amdhsa_uses_dynamic_stack 0
		.amdhsa_system_sgpr_private_segment_wavefront_offset 1
		.amdhsa_system_sgpr_workgroup_id_x 1
		.amdhsa_system_sgpr_workgroup_id_y 0
		.amdhsa_system_sgpr_workgroup_id_z 0
		.amdhsa_system_sgpr_workgroup_info 0
		.amdhsa_system_vgpr_workitem_id 0
		.amdhsa_next_free_vgpr 19
		.amdhsa_next_free_sgpr 23
		.amdhsa_reserve_vcc 1
		.amdhsa_reserve_flat_scratch 0
		.amdhsa_float_round_mode_32 0
		.amdhsa_float_round_mode_16_64 0
		.amdhsa_float_denorm_mode_32 3
		.amdhsa_float_denorm_mode_16_64 3
		.amdhsa_dx10_clamp 1
		.amdhsa_ieee_mode 1
		.amdhsa_fp16_overflow 0
		.amdhsa_workgroup_processor_mode 1
		.amdhsa_memory_ordered 1
		.amdhsa_forward_progress 1
		.amdhsa_shared_vgpr_count 0
		.amdhsa_exception_fp_ieee_invalid_op 0
		.amdhsa_exception_fp_denorm_src 0
		.amdhsa_exception_fp_ieee_div_zero 0
		.amdhsa_exception_fp_ieee_overflow 0
		.amdhsa_exception_fp_ieee_underflow 0
		.amdhsa_exception_fp_ieee_inexact 0
		.amdhsa_exception_int_div_zero 0
	.end_amdhsa_kernel
	.section	.text._ZN9rocsolver6v33100L18getri_kernel_smallILi3E19rocblas_complex_numIfEPS3_EEvT1_iilPiilS6_bb,"axG",@progbits,_ZN9rocsolver6v33100L18getri_kernel_smallILi3E19rocblas_complex_numIfEPS3_EEvT1_iilPiilS6_bb,comdat
.Lfunc_end2:
	.size	_ZN9rocsolver6v33100L18getri_kernel_smallILi3E19rocblas_complex_numIfEPS3_EEvT1_iilPiilS6_bb, .Lfunc_end2-_ZN9rocsolver6v33100L18getri_kernel_smallILi3E19rocblas_complex_numIfEPS3_EEvT1_iilPiilS6_bb
                                        ; -- End function
	.set _ZN9rocsolver6v33100L18getri_kernel_smallILi3E19rocblas_complex_numIfEPS3_EEvT1_iilPiilS6_bb.num_vgpr, 19
	.set _ZN9rocsolver6v33100L18getri_kernel_smallILi3E19rocblas_complex_numIfEPS3_EEvT1_iilPiilS6_bb.num_agpr, 0
	.set _ZN9rocsolver6v33100L18getri_kernel_smallILi3E19rocblas_complex_numIfEPS3_EEvT1_iilPiilS6_bb.numbered_sgpr, 23
	.set _ZN9rocsolver6v33100L18getri_kernel_smallILi3E19rocblas_complex_numIfEPS3_EEvT1_iilPiilS6_bb.num_named_barrier, 0
	.set _ZN9rocsolver6v33100L18getri_kernel_smallILi3E19rocblas_complex_numIfEPS3_EEvT1_iilPiilS6_bb.private_seg_size, 32
	.set _ZN9rocsolver6v33100L18getri_kernel_smallILi3E19rocblas_complex_numIfEPS3_EEvT1_iilPiilS6_bb.uses_vcc, 1
	.set _ZN9rocsolver6v33100L18getri_kernel_smallILi3E19rocblas_complex_numIfEPS3_EEvT1_iilPiilS6_bb.uses_flat_scratch, 0
	.set _ZN9rocsolver6v33100L18getri_kernel_smallILi3E19rocblas_complex_numIfEPS3_EEvT1_iilPiilS6_bb.has_dyn_sized_stack, 0
	.set _ZN9rocsolver6v33100L18getri_kernel_smallILi3E19rocblas_complex_numIfEPS3_EEvT1_iilPiilS6_bb.has_recursion, 0
	.set _ZN9rocsolver6v33100L18getri_kernel_smallILi3E19rocblas_complex_numIfEPS3_EEvT1_iilPiilS6_bb.has_indirect_call, 0
	.section	.AMDGPU.csdata,"",@progbits
; Kernel info:
; codeLenInByte = 2400
; TotalNumSgprs: 25
; NumVgprs: 19
; ScratchSize: 32
; MemoryBound: 0
; FloatMode: 240
; IeeeMode: 1
; LDSByteSize: 56 bytes/workgroup (compile time only)
; SGPRBlocks: 0
; VGPRBlocks: 2
; NumSGPRsForWavesPerEU: 25
; NumVGPRsForWavesPerEU: 19
; Occupancy: 16
; WaveLimiterHint : 0
; COMPUTE_PGM_RSRC2:SCRATCH_EN: 1
; COMPUTE_PGM_RSRC2:USER_SGPR: 6
; COMPUTE_PGM_RSRC2:TRAP_HANDLER: 0
; COMPUTE_PGM_RSRC2:TGID_X_EN: 1
; COMPUTE_PGM_RSRC2:TGID_Y_EN: 0
; COMPUTE_PGM_RSRC2:TGID_Z_EN: 0
; COMPUTE_PGM_RSRC2:TIDIG_COMP_CNT: 0
	.section	.text._ZN9rocsolver6v33100L18getri_kernel_smallILi4E19rocblas_complex_numIfEPS3_EEvT1_iilPiilS6_bb,"axG",@progbits,_ZN9rocsolver6v33100L18getri_kernel_smallILi4E19rocblas_complex_numIfEPS3_EEvT1_iilPiilS6_bb,comdat
	.globl	_ZN9rocsolver6v33100L18getri_kernel_smallILi4E19rocblas_complex_numIfEPS3_EEvT1_iilPiilS6_bb ; -- Begin function _ZN9rocsolver6v33100L18getri_kernel_smallILi4E19rocblas_complex_numIfEPS3_EEvT1_iilPiilS6_bb
	.p2align	8
	.type	_ZN9rocsolver6v33100L18getri_kernel_smallILi4E19rocblas_complex_numIfEPS3_EEvT1_iilPiilS6_bb,@function
_ZN9rocsolver6v33100L18getri_kernel_smallILi4E19rocblas_complex_numIfEPS3_EEvT1_iilPiilS6_bb: ; @_ZN9rocsolver6v33100L18getri_kernel_smallILi4E19rocblas_complex_numIfEPS3_EEvT1_iilPiilS6_bb
; %bb.0:
	s_add_u32 s0, s0, s7
	s_addc_u32 s1, s1, 0
	s_mov_b32 s7, exec_lo
	v_cmpx_gt_u32_e32 4, v0
	s_cbranch_execz .LBB3_30
; %bb.1:
	s_clause 0x2
	s_load_dword s7, s[4:5], 0x38
	s_load_dwordx4 s[16:19], s[4:5], 0x10
	s_load_dwordx4 s[8:11], s[4:5], 0x28
                                        ; implicit-def: $sgpr20_sgpr21
	s_waitcnt lgkmcnt(0)
	s_bitcmp1_b32 s7, 8
	s_cselect_b32 s22, -1, 0
	s_bfe_u32 s12, s7, 0x10008
	s_ashr_i32 s7, s6, 31
	s_cmp_eq_u32 s12, 0
	s_cbranch_scc1 .LBB3_3
; %bb.2:
	s_load_dword s12, s[4:5], 0x20
	s_mul_i32 s13, s8, s7
	s_mul_hi_u32 s14, s8, s6
	s_mul_i32 s9, s9, s6
	s_add_i32 s13, s14, s13
	s_mul_i32 s8, s8, s6
	s_add_i32 s9, s13, s9
	s_lshl_b64 s[8:9], s[8:9], 2
	s_waitcnt lgkmcnt(0)
	s_ashr_i32 s13, s12, 31
	s_add_u32 s14, s18, s8
	s_addc_u32 s15, s19, s9
	s_lshl_b64 s[8:9], s[12:13], 2
	s_add_u32 s20, s14, s8
	s_addc_u32 s21, s15, s9
.LBB3_3:
	s_clause 0x1
	s_load_dwordx4 s[12:15], s[4:5], 0x0
	s_load_dword s18, s[4:5], 0x38
	s_mul_i32 s4, s16, s7
	s_mul_hi_u32 s5, s16, s6
	s_mul_i32 s8, s17, s6
	s_add_i32 s5, s5, s4
	s_mul_i32 s4, s16, s6
	s_add_i32 s5, s5, s8
	v_lshlrev_b32_e32 v11, 3, v0
	s_lshl_b64 s[4:5], s[4:5], 3
	s_waitcnt lgkmcnt(0)
	v_add3_u32 v3, s15, s15, v0
	s_ashr_i32 s9, s14, 31
	s_mov_b32 s8, s14
	s_add_u32 s12, s12, s4
	s_addc_u32 s13, s13, s5
	v_add_nc_u32_e32 v5, s15, v3
	s_lshl_b64 s[4:5], s[8:9], 3
	v_ashrrev_i32_e32 v4, 31, v3
	s_add_u32 s4, s12, s4
	s_addc_u32 s5, s13, s5
	v_ashrrev_i32_e32 v6, 31, v5
	v_add_co_u32 v1, s12, s4, v11
	s_mov_b32 s8, s15
	s_ashr_i32 s9, s15, 31
	v_lshlrev_b64 v[7:8], 3, v[3:4]
	v_add_co_ci_u32_e64 v2, null, s5, 0, s12
	s_lshl_b64 s[8:9], s[8:9], 3
	v_lshlrev_b64 v[5:6], 3, v[5:6]
	v_add_co_u32 v3, vcc_lo, v1, s8
	v_add_co_ci_u32_e64 v4, null, s9, v2, vcc_lo
	v_add_co_u32 v7, vcc_lo, s4, v7
	v_add_co_ci_u32_e64 v8, null, s5, v8, vcc_lo
	;; [unrolled: 2-line block ×3, first 2 shown]
	s_clause 0x3
	global_load_dwordx2 v[9:10], v11, s[4:5]
	global_load_dwordx2 v[12:13], v[3:4], off
	global_load_dwordx2 v[14:15], v[7:8], off
	;; [unrolled: 1-line block ×3, first 2 shown]
	s_mov_b32 s5, -1
	s_bitcmp0_b32 s18, 0
	s_waitcnt vmcnt(3)
	buffer_store_dword v10, off, s[0:3], 0 offset:4
	buffer_store_dword v9, off, s[0:3], 0
	s_waitcnt vmcnt(2)
	buffer_store_dword v13, off, s[0:3], 0 offset:12
	buffer_store_dword v12, off, s[0:3], 0 offset:8
	s_waitcnt vmcnt(1)
	buffer_store_dword v15, off, s[0:3], 0 offset:20
	buffer_store_dword v14, off, s[0:3], 0 offset:16
	;; [unrolled: 3-line block ×3, first 2 shown]
	s_cbranch_scc1 .LBB3_28
; %bb.4:
	v_cmp_eq_u32_e64 s4, 0, v0
	s_and_saveexec_b32 s5, s4
; %bb.5:
	v_mov_b32_e32 v9, 0
	ds_write_b32 v9, v9 offset:64
; %bb.6:
	s_or_b32 exec_lo, exec_lo, s5
	v_lshl_add_u32 v12, v0, 3, 0
	s_waitcnt lgkmcnt(0)
	s_waitcnt_vscnt null, 0x0
	s_barrier
	buffer_gl0_inv
	s_clause 0x1
	buffer_load_dword v9, v12, s[0:3], 0 offen
	buffer_load_dword v10, v12, s[0:3], 0 offen offset:4
	s_waitcnt vmcnt(1)
	v_cmp_eq_f32_e32 vcc_lo, 0, v9
	s_waitcnt vmcnt(0)
	v_cmp_eq_f32_e64 s5, 0, v10
	s_and_b32 s5, vcc_lo, s5
	s_and_saveexec_b32 s8, s5
	s_cbranch_execz .LBB3_10
; %bb.7:
	v_mov_b32_e32 v9, 0
	s_mov_b32 s9, 0
	ds_read_b32 v10, v9 offset:64
	s_waitcnt lgkmcnt(0)
	v_readfirstlane_b32 s5, v10
	v_add_nc_u32_e32 v10, 1, v0
	s_cmp_eq_u32 s5, 0
	v_cmp_gt_i32_e32 vcc_lo, s5, v10
	s_cselect_b32 s12, -1, 0
	s_or_b32 s12, s12, vcc_lo
	s_and_b32 exec_lo, exec_lo, s12
	s_cbranch_execz .LBB3_10
; %bb.8:
	v_mov_b32_e32 v13, s5
.LBB3_9:                                ; =>This Inner Loop Header: Depth=1
	ds_cmpst_rtn_b32 v13, v9, v13, v10 offset:64
	s_waitcnt lgkmcnt(0)
	v_cmp_ne_u32_e32 vcc_lo, 0, v13
	v_cmp_le_i32_e64 s5, v13, v10
	s_and_b32 s5, vcc_lo, s5
	s_and_b32 s5, exec_lo, s5
	s_or_b32 s9, s5, s9
	s_andn2_b32 exec_lo, exec_lo, s9
	s_cbranch_execnz .LBB3_9
.LBB3_10:
	s_or_b32 exec_lo, exec_lo, s8
	v_mov_b32_e32 v9, 0
	s_barrier
	buffer_gl0_inv
	ds_read_b32 v10, v9 offset:64
	s_and_saveexec_b32 s5, s4
	s_cbranch_execz .LBB3_12
; %bb.11:
	s_lshl_b64 s[8:9], s[6:7], 2
	s_add_u32 s8, s10, s8
	s_addc_u32 s9, s11, s9
	s_waitcnt lgkmcnt(0)
	global_store_dword v9, v10, s[8:9]
.LBB3_12:
	s_or_b32 exec_lo, exec_lo, s5
	s_waitcnt lgkmcnt(0)
	v_cmp_ne_u32_e32 vcc_lo, 0, v10
	s_mov_b32 s5, 0
	s_cbranch_vccnz .LBB3_28
; %bb.13:
	s_clause 0x1
	buffer_load_dword v10, v12, s[0:3], 0 offen
	buffer_load_dword v13, v12, s[0:3], 0 offen offset:4
                                        ; implicit-def: $vgpr15
                                        ; implicit-def: $vgpr14
                                        ; implicit-def: $vgpr9
	s_waitcnt vmcnt(0)
	v_cmp_ngt_f32_e64 s5, |v10|, |v13|
	s_and_saveexec_b32 s8, s5
	s_xor_b32 s5, exec_lo, s8
	s_cbranch_execz .LBB3_15
; %bb.14:
	v_div_scale_f32 v9, null, v13, v13, v10
	v_div_scale_f32 v16, vcc_lo, v10, v13, v10
	v_rcp_f32_e32 v14, v9
	v_fma_f32 v15, -v9, v14, 1.0
	v_fmac_f32_e32 v14, v15, v14
	v_mul_f32_e32 v15, v16, v14
	v_fma_f32 v17, -v9, v15, v16
	v_fmac_f32_e32 v15, v17, v14
	v_fma_f32 v9, -v9, v15, v16
	v_div_fmas_f32 v9, v9, v14, v15
	v_div_fixup_f32 v9, v9, v13, v10
	v_fmac_f32_e32 v13, v10, v9
	v_div_scale_f32 v10, null, v13, v13, 1.0
	v_rcp_f32_e32 v14, v10
	v_fma_f32 v15, -v10, v14, 1.0
	v_fmac_f32_e32 v14, v15, v14
	v_div_scale_f32 v15, vcc_lo, 1.0, v13, 1.0
	v_mul_f32_e32 v16, v15, v14
	v_fma_f32 v17, -v10, v16, v15
	v_fmac_f32_e32 v16, v17, v14
	v_fma_f32 v10, -v10, v16, v15
	v_div_fmas_f32 v10, v10, v14, v16
	v_div_fixup_f32 v10, v10, v13, 1.0
                                        ; implicit-def: $vgpr13
	v_mul_f32_e32 v15, v9, v10
	v_xor_b32_e32 v14, 0x80000000, v10
                                        ; implicit-def: $vgpr10
	v_xor_b32_e32 v9, 0x80000000, v15
.LBB3_15:
	s_andn2_saveexec_b32 s5, s5
	s_cbranch_execz .LBB3_17
; %bb.16:
	v_div_scale_f32 v9, null, v10, v10, v13
	v_div_scale_f32 v16, vcc_lo, v13, v10, v13
	v_rcp_f32_e32 v14, v9
	v_fma_f32 v15, -v9, v14, 1.0
	v_fmac_f32_e32 v14, v15, v14
	v_mul_f32_e32 v15, v16, v14
	v_fma_f32 v17, -v9, v15, v16
	v_fmac_f32_e32 v15, v17, v14
	v_fma_f32 v9, -v9, v15, v16
	v_div_fmas_f32 v9, v9, v14, v15
	v_div_fixup_f32 v14, v9, v10, v13
	v_fmac_f32_e32 v10, v13, v14
	v_div_scale_f32 v9, null, v10, v10, 1.0
	v_div_scale_f32 v16, vcc_lo, 1.0, v10, 1.0
	v_rcp_f32_e32 v13, v9
	v_fma_f32 v15, -v9, v13, 1.0
	v_fmac_f32_e32 v13, v15, v13
	v_mul_f32_e32 v15, v16, v13
	v_fma_f32 v17, -v9, v15, v16
	v_fmac_f32_e32 v15, v17, v13
	v_fma_f32 v9, -v9, v15, v16
	v_div_fmas_f32 v9, v9, v13, v15
	v_div_fixup_f32 v15, v9, v10, 1.0
	v_xor_b32_e32 v9, 0x80000000, v15
	v_mul_f32_e64 v14, v14, -v15
.LBB3_17:
	s_or_b32 exec_lo, exec_lo, s5
	buffer_store_dword v15, v12, s[0:3], 0 offen
	buffer_store_dword v14, v12, s[0:3], 0 offen offset:4
	s_clause 0x1
	buffer_load_dword v16, off, s[0:3], 0 offset:12
	buffer_load_dword v15, off, s[0:3], 0 offset:8
	v_xor_b32_e32 v10, 0x80000000, v14
	v_add_nc_u32_e32 v13, 32, v11
	s_waitcnt vmcnt(0)
	ds_write2_b64 v11, v[9:10], v[15:16] offset1:4
	s_waitcnt lgkmcnt(0)
	s_waitcnt_vscnt null, 0x0
	s_barrier
	buffer_gl0_inv
	s_and_saveexec_b32 s5, s4
	s_cbranch_execz .LBB3_19
; %bb.18:
	s_clause 0x1
	buffer_load_dword v16, v12, s[0:3], 0 offen offset:4
	buffer_load_dword v17, v12, s[0:3], 0 offen
	ds_read_b64 v[9:10], v13
	v_mov_b32_e32 v14, 0
	ds_read_b64 v[14:15], v14 offset:8
	s_waitcnt vmcnt(1) lgkmcnt(1)
	v_mul_f32_e32 v18, v9, v16
	v_mul_f32_e32 v16, v10, v16
	s_waitcnt vmcnt(0)
	v_fmac_f32_e32 v18, v10, v17
	v_fma_f32 v9, v9, v17, -v16
	v_add_f32_e32 v10, 0, v18
	v_add_f32_e32 v9, 0, v9
	s_waitcnt lgkmcnt(0)
	v_mul_f32_e32 v16, v10, v15
	v_mul_f32_e32 v15, v9, v15
	v_fma_f32 v9, v9, v14, -v16
	v_fmac_f32_e32 v15, v10, v14
	buffer_store_dword v9, off, s[0:3], 0 offset:8
	buffer_store_dword v15, off, s[0:3], 0 offset:12
.LBB3_19:
	s_or_b32 exec_lo, exec_lo, s5
	s_waitcnt_vscnt null, 0x0
	s_barrier
	buffer_gl0_inv
	s_clause 0x1
	buffer_load_dword v9, off, s[0:3], 0 offset:16
	buffer_load_dword v10, off, s[0:3], 0 offset:20
	s_mov_b32 s5, exec_lo
	s_waitcnt vmcnt(0)
	ds_write_b64 v13, v[9:10]
	s_waitcnt lgkmcnt(0)
	s_barrier
	buffer_gl0_inv
	v_cmpx_gt_u32_e32 2, v0
	s_cbranch_execz .LBB3_23
; %bb.20:
	s_clause 0x1
	buffer_load_dword v14, v12, s[0:3], 0 offen offset:4
	buffer_load_dword v12, v12, s[0:3], 0 offen
	ds_read_b64 v[9:10], v13
	s_waitcnt vmcnt(1) lgkmcnt(0)
	v_mul_f32_e32 v15, v10, v14
	v_mul_f32_e32 v14, v9, v14
	s_waitcnt vmcnt(0)
	v_fma_f32 v9, v9, v12, -v15
	v_fmac_f32_e32 v14, v10, v12
	v_add_f32_e32 v10, 0, v9
	v_add_f32_e32 v9, 0, v14
	s_and_saveexec_b32 s8, s4
	s_cbranch_execz .LBB3_22
; %bb.21:
	s_clause 0x1
	buffer_load_dword v12, off, s[0:3], 0 offset:12
	buffer_load_dword v16, off, s[0:3], 0 offset:8
	v_mov_b32_e32 v14, 0
	ds_read_b64 v[14:15], v14 offset:40
	s_waitcnt vmcnt(1) lgkmcnt(0)
	v_mul_f32_e32 v17, v14, v12
	v_mul_f32_e32 v12, v15, v12
	s_waitcnt vmcnt(0)
	v_fmac_f32_e32 v17, v15, v16
	v_fma_f32 v12, v14, v16, -v12
	v_add_f32_e32 v9, v9, v17
	v_add_f32_e32 v10, v10, v12
.LBB3_22:
	s_or_b32 exec_lo, exec_lo, s8
	v_mov_b32_e32 v12, 0
	ds_read_b64 v[14:15], v12 offset:16
	s_waitcnt lgkmcnt(0)
	v_mul_f32_e32 v12, v9, v15
	v_mul_f32_e32 v15, v10, v15
	v_fma_f32 v10, v10, v14, -v12
	v_fmac_f32_e32 v15, v9, v14
	buffer_store_dword v10, off, s[0:3], 0 offset:16
	buffer_store_dword v15, off, s[0:3], 0 offset:20
.LBB3_23:
	s_or_b32 exec_lo, exec_lo, s5
	s_waitcnt_vscnt null, 0x0
	s_barrier
	buffer_gl0_inv
	s_clause 0x1
	buffer_load_dword v9, off, s[0:3], 0 offset:24
	buffer_load_dword v10, off, s[0:3], 0 offset:28
	s_mov_b32 s4, exec_lo
	s_waitcnt vmcnt(0)
	ds_write_b64 v13, v[9:10]
	s_waitcnt lgkmcnt(0)
	s_barrier
	buffer_gl0_inv
	v_cmpx_ne_u32_e32 3, v0
	s_cbranch_execz .LBB3_27
; %bb.24:
	v_add_nc_u32_e32 v10, -1, v0
	v_mov_b32_e32 v9, 0
	v_mov_b32_e32 v12, 0
	s_mov_b32 s5, 0
	.p2align	6
.LBB3_25:                               ; =>This Inner Loop Header: Depth=1
	s_clause 0x1
	buffer_load_dword v16, v11, s[0:3], 0 offen offset:4
	buffer_load_dword v17, v11, s[0:3], 0 offen
	ds_read_b64 v[14:15], v13
	v_add_nc_u32_e32 v10, 1, v10
	v_add_nc_u32_e32 v13, 8, v13
	;; [unrolled: 1-line block ×3, first 2 shown]
	v_cmp_lt_u32_e32 vcc_lo, 1, v10
	s_or_b32 s5, vcc_lo, s5
	s_waitcnt vmcnt(1) lgkmcnt(0)
	v_mul_f32_e32 v18, v15, v16
	v_mul_f32_e32 v16, v14, v16
	s_waitcnt vmcnt(0)
	v_fma_f32 v14, v14, v17, -v18
	v_fmac_f32_e32 v16, v15, v17
	v_add_f32_e32 v12, v12, v14
	v_add_f32_e32 v9, v9, v16
	s_andn2_b32 exec_lo, exec_lo, s5
	s_cbranch_execnz .LBB3_25
; %bb.26:
	s_or_b32 exec_lo, exec_lo, s5
	v_mov_b32_e32 v10, 0
	ds_read_b64 v[10:11], v10 offset:24
	s_waitcnt lgkmcnt(0)
	v_mul_f32_e32 v13, v9, v11
	v_mul_f32_e32 v11, v12, v11
	v_fma_f32 v12, v12, v10, -v13
	v_fmac_f32_e32 v11, v9, v10
	buffer_store_dword v12, off, s[0:3], 0 offset:24
	buffer_store_dword v11, off, s[0:3], 0 offset:28
.LBB3_27:
	s_or_b32 exec_lo, exec_lo, s4
	s_mov_b32 s5, -1
	s_waitcnt_vscnt null, 0x0
	s_barrier
	buffer_gl0_inv
.LBB3_28:
	s_and_b32 vcc_lo, exec_lo, s5
	s_cbranch_vccz .LBB3_30
; %bb.29:
	s_lshl_b64 s[4:5], s[6:7], 2
	v_mov_b32_e32 v9, 0
	s_add_u32 s4, s10, s4
	s_addc_u32 s5, s11, s5
	global_load_dword v9, v9, s[4:5]
	s_waitcnt vmcnt(0)
	v_cmp_ne_u32_e32 vcc_lo, 0, v9
	s_cbranch_vccz .LBB3_31
.LBB3_30:
	s_endpgm
.LBB3_31:
	v_lshl_add_u32 v9, v0, 3, 32
	s_mov_b32 s4, exec_lo
	v_cmpx_eq_u32_e32 3, v0
	s_cbranch_execz .LBB3_33
; %bb.32:
	s_clause 0x1
	buffer_load_dword v10, off, s[0:3], 0 offset:16
	buffer_load_dword v11, off, s[0:3], 0 offset:20
	v_mov_b32_e32 v12, 0
	buffer_store_dword v12, off, s[0:3], 0 offset:16
	buffer_store_dword v12, off, s[0:3], 0 offset:20
	s_waitcnt vmcnt(0)
	ds_write_b64 v9, v[10:11]
.LBB3_33:
	s_or_b32 exec_lo, exec_lo, s4
	s_waitcnt lgkmcnt(0)
	s_waitcnt_vscnt null, 0x0
	s_barrier
	buffer_gl0_inv
	s_clause 0x3
	buffer_load_dword v13, off, s[0:3], 0 offset:28
	buffer_load_dword v14, off, s[0:3], 0 offset:24
	;; [unrolled: 1-line block ×4, first 2 shown]
	v_mov_b32_e32 v10, 0
	s_mov_b32 s4, exec_lo
	ds_read_b64 v[11:12], v10 offset:56
	s_waitcnt vmcnt(3) lgkmcnt(0)
	v_mul_f32_e32 v17, v12, v13
	v_mul_f32_e32 v13, v11, v13
	s_waitcnt vmcnt(2)
	v_fma_f32 v11, v11, v14, -v17
	v_fmac_f32_e32 v13, v12, v14
	v_add_f32_e32 v11, 0, v11
	v_add_f32_e32 v12, 0, v13
	s_waitcnt vmcnt(1)
	v_sub_f32_e32 v11, v15, v11
	s_waitcnt vmcnt(0)
	v_sub_f32_e32 v12, v16, v12
	buffer_store_dword v11, off, s[0:3], 0 offset:16
	buffer_store_dword v12, off, s[0:3], 0 offset:20
	v_cmpx_lt_u32_e32 1, v0
	s_cbranch_execz .LBB3_35
; %bb.34:
	s_clause 0x1
	buffer_load_dword v11, off, s[0:3], 0 offset:8
	buffer_load_dword v12, off, s[0:3], 0 offset:12
	buffer_store_dword v10, off, s[0:3], 0 offset:8
	buffer_store_dword v10, off, s[0:3], 0 offset:12
	s_waitcnt vmcnt(0)
	ds_write_b64 v9, v[11:12]
.LBB3_35:
	s_or_b32 exec_lo, exec_lo, s4
	s_waitcnt lgkmcnt(0)
	s_waitcnt_vscnt null, 0x0
	s_barrier
	buffer_gl0_inv
	s_clause 0x5
	buffer_load_dword v14, off, s[0:3], 0 offset:20
	buffer_load_dword v15, off, s[0:3], 0 offset:28
	;; [unrolled: 1-line block ×6, first 2 shown]
	ds_read_b128 v[10:13], v10 offset:48
	s_mov_b32 s4, exec_lo
	s_waitcnt vmcnt(5) lgkmcnt(0)
	v_mul_f32_e32 v20, v11, v14
	v_mul_f32_e32 v14, v10, v14
	s_waitcnt vmcnt(4)
	v_mul_f32_e32 v21, v12, v15
	v_mul_f32_e32 v15, v13, v15
	s_waitcnt vmcnt(3)
	v_fma_f32 v10, v10, v16, -v20
	v_fmac_f32_e32 v14, v11, v16
	s_waitcnt vmcnt(2)
	v_fmac_f32_e32 v21, v13, v17
	v_fma_f32 v11, v12, v17, -v15
	v_add_f32_e32 v10, 0, v10
	v_add_f32_e32 v12, 0, v14
	;; [unrolled: 1-line block ×4, first 2 shown]
	s_waitcnt vmcnt(1)
	v_sub_f32_e32 v10, v18, v10
	s_waitcnt vmcnt(0)
	v_sub_f32_e32 v11, v19, v11
	buffer_store_dword v10, off, s[0:3], 0 offset:8
	buffer_store_dword v11, off, s[0:3], 0 offset:12
	v_cmpx_ne_u32_e32 0, v0
	s_cbranch_execz .LBB3_37
; %bb.36:
	s_clause 0x1
	buffer_load_dword v10, off, s[0:3], 0
	buffer_load_dword v11, off, s[0:3], 0 offset:4
	v_mov_b32_e32 v0, 0
	buffer_store_dword v0, off, s[0:3], 0
	buffer_store_dword v0, off, s[0:3], 0 offset:4
	s_waitcnt vmcnt(0)
	ds_write_b64 v9, v[10:11]
.LBB3_37:
	s_or_b32 exec_lo, exec_lo, s4
	s_waitcnt lgkmcnt(0)
	s_waitcnt_vscnt null, 0x0
	s_barrier
	buffer_gl0_inv
	s_clause 0x7
	buffer_load_dword v17, off, s[0:3], 0 offset:12
	buffer_load_dword v0, off, s[0:3], 0 offset:20
	;; [unrolled: 1-line block ×6, first 2 shown]
	buffer_load_dword v21, off, s[0:3], 0
	buffer_load_dword v22, off, s[0:3], 0 offset:4
	v_mov_b32_e32 v10, 0
	ds_read2_b64 v[11:14], v10 offset0:5 offset1:6
	ds_read_b64 v[15:16], v10 offset:56
	s_and_b32 vcc_lo, exec_lo, s22
	s_waitcnt vmcnt(7) lgkmcnt(1)
	v_mul_f32_e32 v23, v12, v17
	v_mul_f32_e32 v17, v11, v17
	s_waitcnt vmcnt(6)
	v_mul_f32_e32 v26, v14, v0
	v_mul_f32_e32 v24, v13, v0
	s_waitcnt vmcnt(5) lgkmcnt(0)
	v_mul_f32_e32 v25, v15, v18
	s_waitcnt vmcnt(4)
	v_fma_f32 v11, v11, v19, -v23
	v_fmac_f32_e32 v17, v12, v19
	v_mul_f32_e32 v12, v16, v18
	s_waitcnt vmcnt(3)
	v_fma_f32 v13, v13, v9, -v26
	v_fmac_f32_e32 v24, v14, v9
	v_add_f32_e32 v11, 0, v11
	v_add_f32_e32 v14, 0, v17
	s_waitcnt vmcnt(2)
	v_fma_f32 v12, v15, v20, -v12
	v_fmac_f32_e32 v25, v16, v20
	v_add_f32_e32 v11, v11, v13
	v_add_f32_e32 v13, v14, v24
	;; [unrolled: 1-line block ×4, first 2 shown]
	s_waitcnt vmcnt(1)
	v_sub_f32_e32 v11, v21, v11
	s_waitcnt vmcnt(0)
	v_sub_f32_e32 v12, v22, v12
	buffer_store_dword v11, off, s[0:3], 0
	buffer_store_dword v12, off, s[0:3], 0 offset:4
	s_cbranch_vccz .LBB3_44
; %bb.38:
	global_load_dword v10, v10, s[20:21] offset:8
	s_waitcnt vmcnt(0)
	v_add_nc_u32_e32 v10, -1, v10
	v_cmp_ne_u32_e32 vcc_lo, 2, v10
	s_cbranch_vccz .LBB3_40
; %bb.39:
	v_lshlrev_b32_e32 v10, 3, v10
	s_clause 0x1
	buffer_load_dword v11, v10, s[0:3], 0 offen offset:4
	buffer_load_dword v12, v10, s[0:3], 0 offen
	s_waitcnt vmcnt(1)
	buffer_store_dword v11, off, s[0:3], 0 offset:20
	s_waitcnt vmcnt(0)
	buffer_store_dword v12, off, s[0:3], 0 offset:16
	buffer_store_dword v0, v10, s[0:3], 0 offen offset:4
	buffer_store_dword v9, v10, s[0:3], 0 offen
.LBB3_40:
	v_mov_b32_e32 v0, 0
	global_load_dword v9, v0, s[20:21] offset:4
	s_waitcnt vmcnt(0)
	v_add_nc_u32_e32 v9, -1, v9
	v_cmp_eq_u32_e32 vcc_lo, 1, v9
	s_cbranch_vccnz .LBB3_42
; %bb.41:
	v_lshlrev_b32_e32 v9, 3, v9
	s_clause 0x3
	buffer_load_dword v10, v9, s[0:3], 0 offen
	buffer_load_dword v11, v9, s[0:3], 0 offen offset:4
	buffer_load_dword v12, off, s[0:3], 0 offset:8
	buffer_load_dword v13, off, s[0:3], 0 offset:12
	s_waitcnt vmcnt(3)
	buffer_store_dword v10, off, s[0:3], 0 offset:8
	s_waitcnt vmcnt(2)
	buffer_store_dword v11, off, s[0:3], 0 offset:12
	s_waitcnt vmcnt(1)
	buffer_store_dword v12, v9, s[0:3], 0 offen
	s_waitcnt vmcnt(0)
	buffer_store_dword v13, v9, s[0:3], 0 offen offset:4
.LBB3_42:
	global_load_dword v0, v0, s[20:21]
	s_waitcnt vmcnt(0)
	v_add_nc_u32_e32 v0, -1, v0
	v_cmp_eq_u32_e32 vcc_lo, 0, v0
	s_cbranch_vccnz .LBB3_44
; %bb.43:
	v_lshlrev_b32_e32 v0, 3, v0
	s_clause 0x3
	buffer_load_dword v9, v0, s[0:3], 0 offen
	buffer_load_dword v10, v0, s[0:3], 0 offen offset:4
	buffer_load_dword v11, off, s[0:3], 0 offset:4
	buffer_load_dword v12, off, s[0:3], 0
	s_waitcnt vmcnt(3)
	buffer_store_dword v9, off, s[0:3], 0
	s_waitcnt vmcnt(2)
	buffer_store_dword v10, off, s[0:3], 0 offset:4
	s_waitcnt vmcnt(1)
	buffer_store_dword v11, v0, s[0:3], 0 offen offset:4
	s_waitcnt vmcnt(0)
	buffer_store_dword v12, v0, s[0:3], 0 offen
.LBB3_44:
	s_clause 0x7
	buffer_load_dword v9, off, s[0:3], 0
	buffer_load_dword v10, off, s[0:3], 0 offset:4
	buffer_load_dword v11, off, s[0:3], 0 offset:8
	;; [unrolled: 1-line block ×7, first 2 shown]
	s_waitcnt vmcnt(6)
	global_store_dwordx2 v[1:2], v[9:10], off
	s_waitcnt vmcnt(4)
	global_store_dwordx2 v[3:4], v[11:12], off
	;; [unrolled: 2-line block ×4, first 2 shown]
	s_endpgm
	.section	.rodata,"a",@progbits
	.p2align	6, 0x0
	.amdhsa_kernel _ZN9rocsolver6v33100L18getri_kernel_smallILi4E19rocblas_complex_numIfEPS3_EEvT1_iilPiilS6_bb
		.amdhsa_group_segment_fixed_size 68
		.amdhsa_private_segment_fixed_size 48
		.amdhsa_kernarg_size 60
		.amdhsa_user_sgpr_count 6
		.amdhsa_user_sgpr_private_segment_buffer 1
		.amdhsa_user_sgpr_dispatch_ptr 0
		.amdhsa_user_sgpr_queue_ptr 0
		.amdhsa_user_sgpr_kernarg_segment_ptr 1
		.amdhsa_user_sgpr_dispatch_id 0
		.amdhsa_user_sgpr_flat_scratch_init 0
		.amdhsa_user_sgpr_private_segment_size 0
		.amdhsa_wavefront_size32 1
		.amdhsa_uses_dynamic_stack 0
		.amdhsa_system_sgpr_private_segment_wavefront_offset 1
		.amdhsa_system_sgpr_workgroup_id_x 1
		.amdhsa_system_sgpr_workgroup_id_y 0
		.amdhsa_system_sgpr_workgroup_id_z 0
		.amdhsa_system_sgpr_workgroup_info 0
		.amdhsa_system_vgpr_workitem_id 0
		.amdhsa_next_free_vgpr 27
		.amdhsa_next_free_sgpr 23
		.amdhsa_reserve_vcc 1
		.amdhsa_reserve_flat_scratch 0
		.amdhsa_float_round_mode_32 0
		.amdhsa_float_round_mode_16_64 0
		.amdhsa_float_denorm_mode_32 3
		.amdhsa_float_denorm_mode_16_64 3
		.amdhsa_dx10_clamp 1
		.amdhsa_ieee_mode 1
		.amdhsa_fp16_overflow 0
		.amdhsa_workgroup_processor_mode 1
		.amdhsa_memory_ordered 1
		.amdhsa_forward_progress 1
		.amdhsa_shared_vgpr_count 0
		.amdhsa_exception_fp_ieee_invalid_op 0
		.amdhsa_exception_fp_denorm_src 0
		.amdhsa_exception_fp_ieee_div_zero 0
		.amdhsa_exception_fp_ieee_overflow 0
		.amdhsa_exception_fp_ieee_underflow 0
		.amdhsa_exception_fp_ieee_inexact 0
		.amdhsa_exception_int_div_zero 0
	.end_amdhsa_kernel
	.section	.text._ZN9rocsolver6v33100L18getri_kernel_smallILi4E19rocblas_complex_numIfEPS3_EEvT1_iilPiilS6_bb,"axG",@progbits,_ZN9rocsolver6v33100L18getri_kernel_smallILi4E19rocblas_complex_numIfEPS3_EEvT1_iilPiilS6_bb,comdat
.Lfunc_end3:
	.size	_ZN9rocsolver6v33100L18getri_kernel_smallILi4E19rocblas_complex_numIfEPS3_EEvT1_iilPiilS6_bb, .Lfunc_end3-_ZN9rocsolver6v33100L18getri_kernel_smallILi4E19rocblas_complex_numIfEPS3_EEvT1_iilPiilS6_bb
                                        ; -- End function
	.set _ZN9rocsolver6v33100L18getri_kernel_smallILi4E19rocblas_complex_numIfEPS3_EEvT1_iilPiilS6_bb.num_vgpr, 27
	.set _ZN9rocsolver6v33100L18getri_kernel_smallILi4E19rocblas_complex_numIfEPS3_EEvT1_iilPiilS6_bb.num_agpr, 0
	.set _ZN9rocsolver6v33100L18getri_kernel_smallILi4E19rocblas_complex_numIfEPS3_EEvT1_iilPiilS6_bb.numbered_sgpr, 23
	.set _ZN9rocsolver6v33100L18getri_kernel_smallILi4E19rocblas_complex_numIfEPS3_EEvT1_iilPiilS6_bb.num_named_barrier, 0
	.set _ZN9rocsolver6v33100L18getri_kernel_smallILi4E19rocblas_complex_numIfEPS3_EEvT1_iilPiilS6_bb.private_seg_size, 48
	.set _ZN9rocsolver6v33100L18getri_kernel_smallILi4E19rocblas_complex_numIfEPS3_EEvT1_iilPiilS6_bb.uses_vcc, 1
	.set _ZN9rocsolver6v33100L18getri_kernel_smallILi4E19rocblas_complex_numIfEPS3_EEvT1_iilPiilS6_bb.uses_flat_scratch, 0
	.set _ZN9rocsolver6v33100L18getri_kernel_smallILi4E19rocblas_complex_numIfEPS3_EEvT1_iilPiilS6_bb.has_dyn_sized_stack, 0
	.set _ZN9rocsolver6v33100L18getri_kernel_smallILi4E19rocblas_complex_numIfEPS3_EEvT1_iilPiilS6_bb.has_recursion, 0
	.set _ZN9rocsolver6v33100L18getri_kernel_smallILi4E19rocblas_complex_numIfEPS3_EEvT1_iilPiilS6_bb.has_indirect_call, 0
	.section	.AMDGPU.csdata,"",@progbits
; Kernel info:
; codeLenInByte = 3168
; TotalNumSgprs: 25
; NumVgprs: 27
; ScratchSize: 48
; MemoryBound: 0
; FloatMode: 240
; IeeeMode: 1
; LDSByteSize: 68 bytes/workgroup (compile time only)
; SGPRBlocks: 0
; VGPRBlocks: 3
; NumSGPRsForWavesPerEU: 25
; NumVGPRsForWavesPerEU: 27
; Occupancy: 16
; WaveLimiterHint : 0
; COMPUTE_PGM_RSRC2:SCRATCH_EN: 1
; COMPUTE_PGM_RSRC2:USER_SGPR: 6
; COMPUTE_PGM_RSRC2:TRAP_HANDLER: 0
; COMPUTE_PGM_RSRC2:TGID_X_EN: 1
; COMPUTE_PGM_RSRC2:TGID_Y_EN: 0
; COMPUTE_PGM_RSRC2:TGID_Z_EN: 0
; COMPUTE_PGM_RSRC2:TIDIG_COMP_CNT: 0
	.section	.text._ZN9rocsolver6v33100L18getri_kernel_smallILi5E19rocblas_complex_numIfEPS3_EEvT1_iilPiilS6_bb,"axG",@progbits,_ZN9rocsolver6v33100L18getri_kernel_smallILi5E19rocblas_complex_numIfEPS3_EEvT1_iilPiilS6_bb,comdat
	.globl	_ZN9rocsolver6v33100L18getri_kernel_smallILi5E19rocblas_complex_numIfEPS3_EEvT1_iilPiilS6_bb ; -- Begin function _ZN9rocsolver6v33100L18getri_kernel_smallILi5E19rocblas_complex_numIfEPS3_EEvT1_iilPiilS6_bb
	.p2align	8
	.type	_ZN9rocsolver6v33100L18getri_kernel_smallILi5E19rocblas_complex_numIfEPS3_EEvT1_iilPiilS6_bb,@function
_ZN9rocsolver6v33100L18getri_kernel_smallILi5E19rocblas_complex_numIfEPS3_EEvT1_iilPiilS6_bb: ; @_ZN9rocsolver6v33100L18getri_kernel_smallILi5E19rocblas_complex_numIfEPS3_EEvT1_iilPiilS6_bb
; %bb.0:
	s_add_u32 s0, s0, s7
	s_addc_u32 s1, s1, 0
	s_mov_b32 s7, exec_lo
	v_cmpx_gt_u32_e32 5, v0
	s_cbranch_execz .LBB4_34
; %bb.1:
	s_clause 0x2
	s_load_dword s7, s[4:5], 0x38
	s_load_dwordx4 s[16:19], s[4:5], 0x10
	s_load_dwordx4 s[8:11], s[4:5], 0x28
                                        ; implicit-def: $sgpr20_sgpr21
	s_waitcnt lgkmcnt(0)
	s_bitcmp1_b32 s7, 8
	s_cselect_b32 s22, -1, 0
	s_bfe_u32 s12, s7, 0x10008
	s_ashr_i32 s7, s6, 31
	s_cmp_eq_u32 s12, 0
	s_cbranch_scc1 .LBB4_3
; %bb.2:
	s_load_dword s12, s[4:5], 0x20
	s_mul_i32 s13, s8, s7
	s_mul_hi_u32 s14, s8, s6
	s_mul_i32 s9, s9, s6
	s_add_i32 s13, s14, s13
	s_mul_i32 s8, s8, s6
	s_add_i32 s9, s13, s9
	s_lshl_b64 s[8:9], s[8:9], 2
	s_waitcnt lgkmcnt(0)
	s_ashr_i32 s13, s12, 31
	s_add_u32 s14, s18, s8
	s_addc_u32 s15, s19, s9
	s_lshl_b64 s[8:9], s[12:13], 2
	s_add_u32 s20, s14, s8
	s_addc_u32 s21, s15, s9
.LBB4_3:
	s_clause 0x1
	s_load_dwordx4 s[12:15], s[4:5], 0x0
	s_load_dword s18, s[4:5], 0x38
	s_mul_i32 s4, s16, s7
	s_mul_hi_u32 s5, s16, s6
	s_mul_i32 s8, s17, s6
	s_add_i32 s5, s5, s4
	s_mul_i32 s4, s16, s6
	s_add_i32 s5, s5, s8
	v_lshlrev_b32_e32 v13, 3, v0
	s_lshl_b64 s[4:5], s[4:5], 3
	s_waitcnt lgkmcnt(0)
	v_add3_u32 v5, s15, s15, v0
	s_ashr_i32 s9, s14, 31
	s_mov_b32 s8, s14
	s_add_u32 s12, s12, s4
	s_addc_u32 s13, s13, s5
	v_add_nc_u32_e32 v7, s15, v5
	s_lshl_b64 s[4:5], s[8:9], 3
	v_ashrrev_i32_e32 v6, 31, v5
	s_add_u32 s4, s12, s4
	s_addc_u32 s5, s13, s5
	v_add_nc_u32_e32 v9, s15, v7
	v_ashrrev_i32_e32 v8, 31, v7
	v_add_co_u32 v1, s12, s4, v13
	s_mov_b32 s8, s15
	v_ashrrev_i32_e32 v10, 31, v9
	s_ashr_i32 s9, s15, 31
	v_lshlrev_b64 v[5:6], 3, v[5:6]
	v_add_co_ci_u32_e64 v2, null, s5, 0, s12
	s_lshl_b64 s[8:9], s[8:9], 3
	v_lshlrev_b64 v[7:8], 3, v[7:8]
	v_add_co_u32 v3, vcc_lo, v1, s8
	v_lshlrev_b64 v[16:17], 3, v[9:10]
	v_add_co_ci_u32_e64 v4, null, s9, v2, vcc_lo
	v_add_co_u32 v5, vcc_lo, s4, v5
	v_add_co_ci_u32_e64 v6, null, s5, v6, vcc_lo
	v_add_co_u32 v9, vcc_lo, s4, v7
	;; [unrolled: 2-line block ×3, first 2 shown]
	v_add_co_ci_u32_e64 v8, null, s5, v17, vcc_lo
	s_clause 0x4
	global_load_dwordx2 v[11:12], v13, s[4:5]
	global_load_dwordx2 v[14:15], v[3:4], off
	global_load_dwordx2 v[16:17], v[5:6], off
	;; [unrolled: 1-line block ×4, first 2 shown]
	s_mov_b32 s5, -1
	s_bitcmp0_b32 s18, 0
	s_waitcnt vmcnt(4)
	buffer_store_dword v12, off, s[0:3], 0 offset:4
	buffer_store_dword v11, off, s[0:3], 0
	s_waitcnt vmcnt(3)
	buffer_store_dword v15, off, s[0:3], 0 offset:12
	buffer_store_dword v14, off, s[0:3], 0 offset:8
	s_waitcnt vmcnt(2)
	buffer_store_dword v17, off, s[0:3], 0 offset:20
	buffer_store_dword v16, off, s[0:3], 0 offset:16
	;; [unrolled: 3-line block ×4, first 2 shown]
	s_cbranch_scc1 .LBB4_32
; %bb.4:
	v_cmp_eq_u32_e64 s4, 0, v0
	s_and_saveexec_b32 s5, s4
; %bb.5:
	v_mov_b32_e32 v11, 0
	ds_write_b32 v11, v11 offset:40
; %bb.6:
	s_or_b32 exec_lo, exec_lo, s5
	v_lshl_add_u32 v15, v0, 3, 0
	s_waitcnt lgkmcnt(0)
	s_waitcnt_vscnt null, 0x0
	s_barrier
	buffer_gl0_inv
	s_clause 0x1
	buffer_load_dword v11, v15, s[0:3], 0 offen
	buffer_load_dword v12, v15, s[0:3], 0 offen offset:4
	s_waitcnt vmcnt(1)
	v_cmp_eq_f32_e32 vcc_lo, 0, v11
	s_waitcnt vmcnt(0)
	v_cmp_eq_f32_e64 s5, 0, v12
	s_and_b32 s5, vcc_lo, s5
	s_and_saveexec_b32 s8, s5
	s_cbranch_execz .LBB4_10
; %bb.7:
	v_mov_b32_e32 v11, 0
	s_mov_b32 s9, 0
	ds_read_b32 v12, v11 offset:40
	s_waitcnt lgkmcnt(0)
	v_readfirstlane_b32 s5, v12
	v_add_nc_u32_e32 v12, 1, v0
	s_cmp_eq_u32 s5, 0
	v_cmp_gt_i32_e32 vcc_lo, s5, v12
	s_cselect_b32 s12, -1, 0
	s_or_b32 s12, s12, vcc_lo
	s_and_b32 exec_lo, exec_lo, s12
	s_cbranch_execz .LBB4_10
; %bb.8:
	v_mov_b32_e32 v14, s5
.LBB4_9:                                ; =>This Inner Loop Header: Depth=1
	ds_cmpst_rtn_b32 v14, v11, v14, v12 offset:40
	s_waitcnt lgkmcnt(0)
	v_cmp_ne_u32_e32 vcc_lo, 0, v14
	v_cmp_le_i32_e64 s5, v14, v12
	s_and_b32 s5, vcc_lo, s5
	s_and_b32 s5, exec_lo, s5
	s_or_b32 s9, s5, s9
	s_andn2_b32 exec_lo, exec_lo, s9
	s_cbranch_execnz .LBB4_9
.LBB4_10:
	s_or_b32 exec_lo, exec_lo, s8
	v_mov_b32_e32 v11, 0
	s_barrier
	buffer_gl0_inv
	ds_read_b32 v12, v11 offset:40
	s_and_saveexec_b32 s5, s4
	s_cbranch_execz .LBB4_12
; %bb.11:
	s_lshl_b64 s[8:9], s[6:7], 2
	s_add_u32 s8, s10, s8
	s_addc_u32 s9, s11, s9
	s_waitcnt lgkmcnt(0)
	global_store_dword v11, v12, s[8:9]
.LBB4_12:
	s_or_b32 exec_lo, exec_lo, s5
	s_waitcnt lgkmcnt(0)
	v_cmp_ne_u32_e32 vcc_lo, 0, v12
	s_mov_b32 s5, 0
	s_cbranch_vccnz .LBB4_32
; %bb.13:
	s_clause 0x1
	buffer_load_dword v12, v15, s[0:3], 0 offen
	buffer_load_dword v14, v15, s[0:3], 0 offen offset:4
                                        ; implicit-def: $vgpr17
                                        ; implicit-def: $vgpr16
                                        ; implicit-def: $vgpr11
	s_waitcnt vmcnt(0)
	v_cmp_ngt_f32_e64 s5, |v12|, |v14|
	s_and_saveexec_b32 s8, s5
	s_xor_b32 s5, exec_lo, s8
	s_cbranch_execz .LBB4_15
; %bb.14:
	v_div_scale_f32 v11, null, v14, v14, v12
	v_div_scale_f32 v18, vcc_lo, v12, v14, v12
	v_rcp_f32_e32 v16, v11
	v_fma_f32 v17, -v11, v16, 1.0
	v_fmac_f32_e32 v16, v17, v16
	v_mul_f32_e32 v17, v18, v16
	v_fma_f32 v19, -v11, v17, v18
	v_fmac_f32_e32 v17, v19, v16
	v_fma_f32 v11, -v11, v17, v18
	v_div_fmas_f32 v11, v11, v16, v17
	v_div_fixup_f32 v11, v11, v14, v12
	v_fmac_f32_e32 v14, v12, v11
	v_div_scale_f32 v12, null, v14, v14, 1.0
	v_rcp_f32_e32 v16, v12
	v_fma_f32 v17, -v12, v16, 1.0
	v_fmac_f32_e32 v16, v17, v16
	v_div_scale_f32 v17, vcc_lo, 1.0, v14, 1.0
	v_mul_f32_e32 v18, v17, v16
	v_fma_f32 v19, -v12, v18, v17
	v_fmac_f32_e32 v18, v19, v16
	v_fma_f32 v12, -v12, v18, v17
	v_div_fmas_f32 v12, v12, v16, v18
	v_div_fixup_f32 v12, v12, v14, 1.0
                                        ; implicit-def: $vgpr14
	v_mul_f32_e32 v17, v11, v12
	v_xor_b32_e32 v16, 0x80000000, v12
                                        ; implicit-def: $vgpr12
	v_xor_b32_e32 v11, 0x80000000, v17
.LBB4_15:
	s_andn2_saveexec_b32 s5, s5
	s_cbranch_execz .LBB4_17
; %bb.16:
	v_div_scale_f32 v11, null, v12, v12, v14
	v_div_scale_f32 v18, vcc_lo, v14, v12, v14
	v_rcp_f32_e32 v16, v11
	v_fma_f32 v17, -v11, v16, 1.0
	v_fmac_f32_e32 v16, v17, v16
	v_mul_f32_e32 v17, v18, v16
	v_fma_f32 v19, -v11, v17, v18
	v_fmac_f32_e32 v17, v19, v16
	v_fma_f32 v11, -v11, v17, v18
	v_div_fmas_f32 v11, v11, v16, v17
	v_div_fixup_f32 v16, v11, v12, v14
	v_fmac_f32_e32 v12, v14, v16
	v_div_scale_f32 v11, null, v12, v12, 1.0
	v_div_scale_f32 v18, vcc_lo, 1.0, v12, 1.0
	v_rcp_f32_e32 v14, v11
	v_fma_f32 v17, -v11, v14, 1.0
	v_fmac_f32_e32 v14, v17, v14
	v_mul_f32_e32 v17, v18, v14
	v_fma_f32 v19, -v11, v17, v18
	v_fmac_f32_e32 v17, v19, v14
	v_fma_f32 v11, -v11, v17, v18
	v_div_fmas_f32 v11, v11, v14, v17
	v_div_fixup_f32 v17, v11, v12, 1.0
	v_xor_b32_e32 v11, 0x80000000, v17
	v_mul_f32_e64 v16, v16, -v17
.LBB4_17:
	s_or_b32 exec_lo, exec_lo, s5
	buffer_store_dword v17, v15, s[0:3], 0 offen
	buffer_store_dword v16, v15, s[0:3], 0 offen offset:4
	s_clause 0x1
	buffer_load_dword v18, off, s[0:3], 0 offset:12
	buffer_load_dword v17, off, s[0:3], 0 offset:8
	v_xor_b32_e32 v12, 0x80000000, v16
	v_add_nc_u32_e32 v14, 48, v13
	s_waitcnt vmcnt(0)
	ds_write2_b64 v13, v[11:12], v[17:18] offset1:6
	s_waitcnt lgkmcnt(0)
	s_waitcnt_vscnt null, 0x0
	s_barrier
	buffer_gl0_inv
	s_and_saveexec_b32 s5, s4
	s_cbranch_execz .LBB4_19
; %bb.18:
	s_clause 0x1
	buffer_load_dword v18, v15, s[0:3], 0 offen offset:4
	buffer_load_dword v19, v15, s[0:3], 0 offen
	ds_read_b64 v[11:12], v14
	v_mov_b32_e32 v16, 0
	ds_read_b64 v[16:17], v16 offset:8
	s_waitcnt vmcnt(1) lgkmcnt(1)
	v_mul_f32_e32 v20, v11, v18
	v_mul_f32_e32 v18, v12, v18
	s_waitcnt vmcnt(0)
	v_fmac_f32_e32 v20, v12, v19
	v_fma_f32 v11, v11, v19, -v18
	v_add_f32_e32 v12, 0, v20
	v_add_f32_e32 v11, 0, v11
	s_waitcnt lgkmcnt(0)
	v_mul_f32_e32 v18, v12, v17
	v_mul_f32_e32 v17, v11, v17
	v_fma_f32 v11, v11, v16, -v18
	v_fmac_f32_e32 v17, v12, v16
	buffer_store_dword v11, off, s[0:3], 0 offset:8
	buffer_store_dword v17, off, s[0:3], 0 offset:12
.LBB4_19:
	s_or_b32 exec_lo, exec_lo, s5
	s_waitcnt_vscnt null, 0x0
	s_barrier
	buffer_gl0_inv
	s_clause 0x1
	buffer_load_dword v11, off, s[0:3], 0 offset:16
	buffer_load_dword v12, off, s[0:3], 0 offset:20
	s_mov_b32 s5, exec_lo
	s_waitcnt vmcnt(0)
	ds_write_b64 v14, v[11:12]
	s_waitcnt lgkmcnt(0)
	s_barrier
	buffer_gl0_inv
	v_cmpx_gt_u32_e32 2, v0
	s_cbranch_execz .LBB4_23
; %bb.20:
	s_clause 0x1
	buffer_load_dword v16, v15, s[0:3], 0 offen offset:4
	buffer_load_dword v15, v15, s[0:3], 0 offen
	ds_read_b64 v[11:12], v14
	s_waitcnt vmcnt(1) lgkmcnt(0)
	v_mul_f32_e32 v17, v12, v16
	v_mul_f32_e32 v16, v11, v16
	s_waitcnt vmcnt(0)
	v_fma_f32 v11, v11, v15, -v17
	v_fmac_f32_e32 v16, v12, v15
	v_add_f32_e32 v12, 0, v11
	v_add_f32_e32 v11, 0, v16
	s_and_saveexec_b32 s8, s4
	s_cbranch_execz .LBB4_22
; %bb.21:
	s_clause 0x1
	buffer_load_dword v17, off, s[0:3], 0 offset:12
	buffer_load_dword v18, off, s[0:3], 0 offset:8
	v_mov_b32_e32 v15, 0
	ds_read_b64 v[15:16], v15 offset:56
	s_waitcnt vmcnt(1) lgkmcnt(0)
	v_mul_f32_e32 v19, v15, v17
	v_mul_f32_e32 v17, v16, v17
	s_waitcnt vmcnt(0)
	v_fmac_f32_e32 v19, v16, v18
	v_fma_f32 v15, v15, v18, -v17
	v_add_f32_e32 v11, v11, v19
	v_add_f32_e32 v12, v12, v15
.LBB4_22:
	s_or_b32 exec_lo, exec_lo, s8
	v_mov_b32_e32 v15, 0
	ds_read_b64 v[15:16], v15 offset:16
	s_waitcnt lgkmcnt(0)
	v_mul_f32_e32 v17, v11, v16
	v_mul_f32_e32 v16, v12, v16
	v_fma_f32 v12, v12, v15, -v17
	v_fmac_f32_e32 v16, v11, v15
	buffer_store_dword v12, off, s[0:3], 0 offset:16
	buffer_store_dword v16, off, s[0:3], 0 offset:20
.LBB4_23:
	s_or_b32 exec_lo, exec_lo, s5
	s_waitcnt_vscnt null, 0x0
	s_barrier
	buffer_gl0_inv
	s_clause 0x1
	buffer_load_dword v15, off, s[0:3], 0 offset:24
	buffer_load_dword v16, off, s[0:3], 0 offset:28
	v_add_nc_u32_e32 v11, -1, v0
	s_mov_b32 s4, exec_lo
	s_waitcnt vmcnt(0)
	ds_write_b64 v14, v[15:16]
	s_waitcnt lgkmcnt(0)
	s_barrier
	buffer_gl0_inv
	v_cmpx_gt_u32_e32 3, v0
	s_cbranch_execz .LBB4_27
; %bb.24:
	v_add_nc_u32_e32 v15, -1, v0
	v_add_nc_u32_e32 v16, 48, v13
	v_mov_b32_e32 v17, v13
	v_mov_b32_e32 v12, 0
	;; [unrolled: 1-line block ×3, first 2 shown]
	s_mov_b32 s5, 0
	.p2align	6
.LBB4_25:                               ; =>This Inner Loop Header: Depth=1
	s_clause 0x1
	buffer_load_dword v21, v17, s[0:3], 0 offen offset:4
	buffer_load_dword v22, v17, s[0:3], 0 offen
	ds_read_b64 v[19:20], v16
	v_add_nc_u32_e32 v15, 1, v15
	v_add_nc_u32_e32 v16, 8, v16
	;; [unrolled: 1-line block ×3, first 2 shown]
	v_cmp_lt_u32_e32 vcc_lo, 1, v15
	s_or_b32 s5, vcc_lo, s5
	s_waitcnt vmcnt(1) lgkmcnt(0)
	v_mul_f32_e32 v23, v20, v21
	v_mul_f32_e32 v21, v19, v21
	s_waitcnt vmcnt(0)
	v_fma_f32 v19, v19, v22, -v23
	v_fmac_f32_e32 v21, v20, v22
	v_add_f32_e32 v18, v18, v19
	v_add_f32_e32 v12, v12, v21
	s_andn2_b32 exec_lo, exec_lo, s5
	s_cbranch_execnz .LBB4_25
; %bb.26:
	s_or_b32 exec_lo, exec_lo, s5
	v_mov_b32_e32 v15, 0
	ds_read_b64 v[15:16], v15 offset:24
	s_waitcnt lgkmcnt(0)
	v_mul_f32_e32 v17, v12, v16
	v_mul_f32_e32 v16, v18, v16
	v_fma_f32 v17, v18, v15, -v17
	v_fmac_f32_e32 v16, v12, v15
	buffer_store_dword v17, off, s[0:3], 0 offset:24
	buffer_store_dword v16, off, s[0:3], 0 offset:28
.LBB4_27:
	s_or_b32 exec_lo, exec_lo, s4
	s_waitcnt_vscnt null, 0x0
	s_barrier
	buffer_gl0_inv
	s_clause 0x1
	buffer_load_dword v15, off, s[0:3], 0 offset:32
	buffer_load_dword v16, off, s[0:3], 0 offset:36
	s_mov_b32 s4, exec_lo
	s_waitcnt vmcnt(0)
	ds_write_b64 v14, v[15:16]
	s_waitcnt lgkmcnt(0)
	s_barrier
	buffer_gl0_inv
	v_cmpx_ne_u32_e32 4, v0
	s_cbranch_execz .LBB4_31
; %bb.28:
	v_mov_b32_e32 v12, 0
	v_mov_b32_e32 v15, 0
	s_mov_b32 s5, 0
	.p2align	6
.LBB4_29:                               ; =>This Inner Loop Header: Depth=1
	s_clause 0x1
	buffer_load_dword v18, v13, s[0:3], 0 offen offset:4
	buffer_load_dword v19, v13, s[0:3], 0 offen
	ds_read_b64 v[16:17], v14
	v_add_nc_u32_e32 v11, 1, v11
	v_add_nc_u32_e32 v14, 8, v14
	v_add_nc_u32_e32 v13, 8, v13
	v_cmp_lt_u32_e32 vcc_lo, 2, v11
	s_or_b32 s5, vcc_lo, s5
	s_waitcnt vmcnt(1) lgkmcnt(0)
	v_mul_f32_e32 v20, v17, v18
	v_mul_f32_e32 v18, v16, v18
	s_waitcnt vmcnt(0)
	v_fma_f32 v16, v16, v19, -v20
	v_fmac_f32_e32 v18, v17, v19
	v_add_f32_e32 v15, v15, v16
	v_add_f32_e32 v12, v12, v18
	s_andn2_b32 exec_lo, exec_lo, s5
	s_cbranch_execnz .LBB4_29
; %bb.30:
	s_or_b32 exec_lo, exec_lo, s5
	v_mov_b32_e32 v11, 0
	ds_read_b64 v[13:14], v11 offset:32
	s_waitcnt lgkmcnt(0)
	v_mul_f32_e32 v11, v12, v14
	v_mul_f32_e32 v14, v15, v14
	v_fma_f32 v11, v15, v13, -v11
	v_fmac_f32_e32 v14, v12, v13
	buffer_store_dword v11, off, s[0:3], 0 offset:32
	buffer_store_dword v14, off, s[0:3], 0 offset:36
.LBB4_31:
	s_or_b32 exec_lo, exec_lo, s4
	s_mov_b32 s5, -1
	s_waitcnt_vscnt null, 0x0
	s_barrier
	buffer_gl0_inv
.LBB4_32:
	s_and_b32 vcc_lo, exec_lo, s5
	s_cbranch_vccz .LBB4_34
; %bb.33:
	s_lshl_b64 s[4:5], s[6:7], 2
	v_mov_b32_e32 v11, 0
	s_add_u32 s4, s10, s4
	s_addc_u32 s5, s11, s5
	global_load_dword v11, v11, s[4:5]
	s_waitcnt vmcnt(0)
	v_cmp_ne_u32_e32 vcc_lo, 0, v11
	s_cbranch_vccz .LBB4_35
.LBB4_34:
	s_endpgm
.LBB4_35:
	v_lshl_add_u32 v11, v0, 3, 48
	s_mov_b32 s4, exec_lo
	v_cmpx_eq_u32_e32 4, v0
	s_cbranch_execz .LBB4_37
; %bb.36:
	s_clause 0x1
	buffer_load_dword v12, off, s[0:3], 0 offset:24
	buffer_load_dword v13, off, s[0:3], 0 offset:28
	v_mov_b32_e32 v14, 0
	buffer_store_dword v14, off, s[0:3], 0 offset:24
	buffer_store_dword v14, off, s[0:3], 0 offset:28
	s_waitcnt vmcnt(0)
	ds_write_b64 v11, v[12:13]
.LBB4_37:
	s_or_b32 exec_lo, exec_lo, s4
	s_waitcnt lgkmcnt(0)
	s_waitcnt_vscnt null, 0x0
	s_barrier
	buffer_gl0_inv
	s_clause 0x3
	buffer_load_dword v15, off, s[0:3], 0 offset:36
	buffer_load_dword v16, off, s[0:3], 0 offset:32
	;; [unrolled: 1-line block ×4, first 2 shown]
	v_mov_b32_e32 v12, 0
	s_mov_b32 s4, exec_lo
	ds_read_b64 v[13:14], v12 offset:80
	s_waitcnt vmcnt(3) lgkmcnt(0)
	v_mul_f32_e32 v19, v14, v15
	v_mul_f32_e32 v15, v13, v15
	s_waitcnt vmcnt(2)
	v_fma_f32 v13, v13, v16, -v19
	v_fmac_f32_e32 v15, v14, v16
	v_add_f32_e32 v13, 0, v13
	v_add_f32_e32 v14, 0, v15
	s_waitcnt vmcnt(1)
	v_sub_f32_e32 v13, v17, v13
	s_waitcnt vmcnt(0)
	v_sub_f32_e32 v14, v18, v14
	buffer_store_dword v13, off, s[0:3], 0 offset:24
	buffer_store_dword v14, off, s[0:3], 0 offset:28
	v_cmpx_lt_u32_e32 2, v0
	s_cbranch_execz .LBB4_39
; %bb.38:
	s_clause 0x1
	buffer_load_dword v13, off, s[0:3], 0 offset:16
	buffer_load_dword v14, off, s[0:3], 0 offset:20
	buffer_store_dword v12, off, s[0:3], 0 offset:16
	buffer_store_dword v12, off, s[0:3], 0 offset:20
	s_waitcnt vmcnt(0)
	ds_write_b64 v11, v[13:14]
.LBB4_39:
	s_or_b32 exec_lo, exec_lo, s4
	s_waitcnt lgkmcnt(0)
	s_waitcnt_vscnt null, 0x0
	s_barrier
	buffer_gl0_inv
	s_clause 0x5
	buffer_load_dword v16, off, s[0:3], 0 offset:28
	buffer_load_dword v17, off, s[0:3], 0 offset:36
	;; [unrolled: 1-line block ×6, first 2 shown]
	ds_read2_b64 v[12:15], v12 offset0:9 offset1:10
	s_mov_b32 s4, exec_lo
	s_waitcnt vmcnt(5) lgkmcnt(0)
	v_mul_f32_e32 v22, v13, v16
	v_mul_f32_e32 v16, v12, v16
	s_waitcnt vmcnt(4)
	v_mul_f32_e32 v23, v14, v17
	v_mul_f32_e32 v17, v15, v17
	s_waitcnt vmcnt(3)
	v_fma_f32 v12, v12, v18, -v22
	v_fmac_f32_e32 v16, v13, v18
	s_waitcnt vmcnt(2)
	v_fmac_f32_e32 v23, v15, v19
	v_fma_f32 v13, v14, v19, -v17
	v_add_f32_e32 v12, 0, v12
	v_add_f32_e32 v14, 0, v16
	;; [unrolled: 1-line block ×4, first 2 shown]
	s_waitcnt vmcnt(1)
	v_sub_f32_e32 v12, v20, v12
	s_waitcnt vmcnt(0)
	v_sub_f32_e32 v13, v21, v13
	buffer_store_dword v12, off, s[0:3], 0 offset:16
	buffer_store_dword v13, off, s[0:3], 0 offset:20
	v_cmpx_lt_u32_e32 1, v0
	s_cbranch_execz .LBB4_41
; %bb.40:
	s_clause 0x1
	buffer_load_dword v12, off, s[0:3], 0 offset:8
	buffer_load_dword v13, off, s[0:3], 0 offset:12
	v_mov_b32_e32 v14, 0
	buffer_store_dword v14, off, s[0:3], 0 offset:8
	buffer_store_dword v14, off, s[0:3], 0 offset:12
	s_waitcnt vmcnt(0)
	ds_write_b64 v11, v[12:13]
.LBB4_41:
	s_or_b32 exec_lo, exec_lo, s4
	s_waitcnt lgkmcnt(0)
	s_waitcnt_vscnt null, 0x0
	s_barrier
	buffer_gl0_inv
	s_clause 0x7
	buffer_load_dword v19, off, s[0:3], 0 offset:20
	buffer_load_dword v20, off, s[0:3], 0 offset:28
	;; [unrolled: 1-line block ×8, first 2 shown]
	v_mov_b32_e32 v12, 0
	ds_read_b128 v[13:16], v12 offset:64
	ds_read_b64 v[17:18], v12 offset:80
	s_mov_b32 s4, exec_lo
	s_waitcnt vmcnt(7) lgkmcnt(1)
	v_mul_f32_e32 v27, v14, v19
	v_mul_f32_e32 v19, v13, v19
	s_waitcnt vmcnt(6)
	v_mul_f32_e32 v28, v15, v20
	v_mul_f32_e32 v20, v16, v20
	s_waitcnt vmcnt(5) lgkmcnt(0)
	v_mul_f32_e32 v29, v17, v21
	s_waitcnt vmcnt(4)
	v_fma_f32 v13, v13, v22, -v27
	v_fmac_f32_e32 v19, v14, v22
	v_mul_f32_e32 v14, v18, v21
	s_waitcnt vmcnt(3)
	v_fma_f32 v15, v15, v23, -v20
	v_fmac_f32_e32 v28, v16, v23
	v_add_f32_e32 v13, 0, v13
	v_add_f32_e32 v16, 0, v19
	s_waitcnt vmcnt(2)
	v_fma_f32 v14, v17, v24, -v14
	v_fmac_f32_e32 v29, v18, v24
	v_add_f32_e32 v13, v13, v15
	v_add_f32_e32 v15, v16, v28
	;; [unrolled: 1-line block ×4, first 2 shown]
	s_waitcnt vmcnt(1)
	v_sub_f32_e32 v13, v25, v13
	s_waitcnt vmcnt(0)
	v_sub_f32_e32 v14, v26, v14
	buffer_store_dword v13, off, s[0:3], 0 offset:8
	buffer_store_dword v14, off, s[0:3], 0 offset:12
	v_cmpx_ne_u32_e32 0, v0
	s_cbranch_execz .LBB4_43
; %bb.42:
	s_clause 0x1
	buffer_load_dword v13, off, s[0:3], 0
	buffer_load_dword v14, off, s[0:3], 0 offset:4
	buffer_store_dword v12, off, s[0:3], 0
	buffer_store_dword v12, off, s[0:3], 0 offset:4
	s_waitcnt vmcnt(0)
	ds_write_b64 v11, v[13:14]
.LBB4_43:
	s_or_b32 exec_lo, exec_lo, s4
	s_waitcnt lgkmcnt(0)
	s_waitcnt_vscnt null, 0x0
	s_barrier
	buffer_gl0_inv
	s_clause 0x9
	buffer_load_dword v21, off, s[0:3], 0 offset:12
	buffer_load_dword v22, off, s[0:3], 0 offset:20
	;; [unrolled: 1-line block ×8, first 2 shown]
	buffer_load_dword v27, off, s[0:3], 0
	buffer_load_dword v28, off, s[0:3], 0 offset:4
	ds_read2_b64 v[13:16], v12 offset0:7 offset1:8
	ds_read2_b64 v[17:20], v12 offset0:9 offset1:10
	s_and_b32 vcc_lo, exec_lo, s22
	s_waitcnt vmcnt(9) lgkmcnt(1)
	v_mul_f32_e32 v12, v13, v21
	v_mul_f32_e32 v21, v14, v21
	s_waitcnt vmcnt(8)
	v_mul_f32_e32 v29, v15, v22
	v_mul_f32_e32 v22, v16, v22
	s_waitcnt vmcnt(7) lgkmcnt(0)
	v_mul_f32_e32 v30, v17, v0
	s_waitcnt vmcnt(5)
	v_fmac_f32_e32 v12, v14, v24
	v_fma_f32 v13, v13, v24, -v21
	v_mul_f32_e32 v14, v18, v0
	s_waitcnt vmcnt(4)
	v_fma_f32 v15, v15, v25, -v22
	v_fmac_f32_e32 v29, v16, v25
	v_add_f32_e32 v12, 0, v12
	v_add_f32_e32 v13, 0, v13
	v_mul_f32_e32 v16, v20, v23
	s_waitcnt vmcnt(3)
	v_fma_f32 v14, v17, v11, -v14
	v_mul_f32_e32 v31, v19, v23
	v_fmac_f32_e32 v30, v18, v11
	v_add_f32_e32 v13, v13, v15
	v_add_f32_e32 v12, v12, v29
	s_waitcnt vmcnt(2)
	v_fma_f32 v15, v19, v26, -v16
	v_fmac_f32_e32 v31, v20, v26
	v_add_f32_e32 v13, v13, v14
	v_add_f32_e32 v12, v12, v30
	;; [unrolled: 1-line block ×4, first 2 shown]
	s_waitcnt vmcnt(1)
	v_sub_f32_e32 v13, v27, v13
	s_waitcnt vmcnt(0)
	v_sub_f32_e32 v12, v28, v12
	buffer_store_dword v13, off, s[0:3], 0
	buffer_store_dword v12, off, s[0:3], 0 offset:4
	s_cbranch_vccz .LBB4_52
; %bb.44:
	v_mov_b32_e32 v12, 0
	global_load_dword v13, v12, s[20:21] offset:12
	s_waitcnt vmcnt(0)
	v_add_nc_u32_e32 v13, -1, v13
	v_cmp_ne_u32_e32 vcc_lo, 3, v13
	s_cbranch_vccz .LBB4_46
; %bb.45:
	v_lshlrev_b32_e32 v13, 3, v13
	s_clause 0x1
	buffer_load_dword v14, v13, s[0:3], 0 offen
	buffer_load_dword v15, v13, s[0:3], 0 offen offset:4
	s_waitcnt vmcnt(1)
	buffer_store_dword v14, off, s[0:3], 0 offset:24
	s_waitcnt vmcnt(0)
	buffer_store_dword v15, off, s[0:3], 0 offset:28
	buffer_store_dword v11, v13, s[0:3], 0 offen
	buffer_store_dword v0, v13, s[0:3], 0 offen offset:4
.LBB4_46:
	global_load_dword v0, v12, s[20:21] offset:8
	s_waitcnt vmcnt(0)
	v_add_nc_u32_e32 v0, -1, v0
	v_cmp_eq_u32_e32 vcc_lo, 2, v0
	s_cbranch_vccnz .LBB4_48
; %bb.47:
	v_lshlrev_b32_e32 v0, 3, v0
	s_clause 0x3
	buffer_load_dword v11, v0, s[0:3], 0 offen
	buffer_load_dword v12, v0, s[0:3], 0 offen offset:4
	buffer_load_dword v13, off, s[0:3], 0 offset:20
	buffer_load_dword v14, off, s[0:3], 0 offset:16
	s_waitcnt vmcnt(3)
	buffer_store_dword v11, off, s[0:3], 0 offset:16
	s_waitcnt vmcnt(2)
	buffer_store_dword v12, off, s[0:3], 0 offset:20
	s_waitcnt vmcnt(1)
	buffer_store_dword v13, v0, s[0:3], 0 offen offset:4
	s_waitcnt vmcnt(0)
	buffer_store_dword v14, v0, s[0:3], 0 offen
.LBB4_48:
	v_mov_b32_e32 v0, 0
	global_load_dword v11, v0, s[20:21] offset:4
	s_waitcnt vmcnt(0)
	v_add_nc_u32_e32 v11, -1, v11
	v_cmp_eq_u32_e32 vcc_lo, 1, v11
	s_cbranch_vccnz .LBB4_50
; %bb.49:
	v_lshlrev_b32_e32 v11, 3, v11
	s_clause 0x3
	buffer_load_dword v12, v11, s[0:3], 0 offen
	buffer_load_dword v13, v11, s[0:3], 0 offen offset:4
	buffer_load_dword v14, off, s[0:3], 0 offset:8
	buffer_load_dword v15, off, s[0:3], 0 offset:12
	s_waitcnt vmcnt(3)
	buffer_store_dword v12, off, s[0:3], 0 offset:8
	s_waitcnt vmcnt(2)
	buffer_store_dword v13, off, s[0:3], 0 offset:12
	s_waitcnt vmcnt(1)
	buffer_store_dword v14, v11, s[0:3], 0 offen
	s_waitcnt vmcnt(0)
	buffer_store_dword v15, v11, s[0:3], 0 offen offset:4
.LBB4_50:
	global_load_dword v0, v0, s[20:21]
	s_waitcnt vmcnt(0)
	v_add_nc_u32_e32 v0, -1, v0
	v_cmp_eq_u32_e32 vcc_lo, 0, v0
	s_cbranch_vccnz .LBB4_52
; %bb.51:
	v_lshlrev_b32_e32 v0, 3, v0
	s_clause 0x3
	buffer_load_dword v11, v0, s[0:3], 0 offen
	buffer_load_dword v12, v0, s[0:3], 0 offen offset:4
	buffer_load_dword v13, off, s[0:3], 0 offset:4
	buffer_load_dword v14, off, s[0:3], 0
	s_waitcnt vmcnt(3)
	buffer_store_dword v11, off, s[0:3], 0
	s_waitcnt vmcnt(2)
	buffer_store_dword v12, off, s[0:3], 0 offset:4
	s_waitcnt vmcnt(1)
	buffer_store_dword v13, v0, s[0:3], 0 offen offset:4
	s_waitcnt vmcnt(0)
	buffer_store_dword v14, v0, s[0:3], 0 offen
.LBB4_52:
	s_clause 0x9
	buffer_load_dword v11, off, s[0:3], 0
	buffer_load_dword v12, off, s[0:3], 0 offset:4
	buffer_load_dword v13, off, s[0:3], 0 offset:8
	;; [unrolled: 1-line block ×9, first 2 shown]
	s_waitcnt vmcnt(8)
	global_store_dwordx2 v[1:2], v[11:12], off
	s_waitcnt vmcnt(6)
	global_store_dwordx2 v[3:4], v[13:14], off
	;; [unrolled: 2-line block ×5, first 2 shown]
	s_endpgm
	.section	.rodata,"a",@progbits
	.p2align	6, 0x0
	.amdhsa_kernel _ZN9rocsolver6v33100L18getri_kernel_smallILi5E19rocblas_complex_numIfEPS3_EEvT1_iilPiilS6_bb
		.amdhsa_group_segment_fixed_size 88
		.amdhsa_private_segment_fixed_size 48
		.amdhsa_kernarg_size 60
		.amdhsa_user_sgpr_count 6
		.amdhsa_user_sgpr_private_segment_buffer 1
		.amdhsa_user_sgpr_dispatch_ptr 0
		.amdhsa_user_sgpr_queue_ptr 0
		.amdhsa_user_sgpr_kernarg_segment_ptr 1
		.amdhsa_user_sgpr_dispatch_id 0
		.amdhsa_user_sgpr_flat_scratch_init 0
		.amdhsa_user_sgpr_private_segment_size 0
		.amdhsa_wavefront_size32 1
		.amdhsa_uses_dynamic_stack 0
		.amdhsa_system_sgpr_private_segment_wavefront_offset 1
		.amdhsa_system_sgpr_workgroup_id_x 1
		.amdhsa_system_sgpr_workgroup_id_y 0
		.amdhsa_system_sgpr_workgroup_id_z 0
		.amdhsa_system_sgpr_workgroup_info 0
		.amdhsa_system_vgpr_workitem_id 0
		.amdhsa_next_free_vgpr 32
		.amdhsa_next_free_sgpr 23
		.amdhsa_reserve_vcc 1
		.amdhsa_reserve_flat_scratch 0
		.amdhsa_float_round_mode_32 0
		.amdhsa_float_round_mode_16_64 0
		.amdhsa_float_denorm_mode_32 3
		.amdhsa_float_denorm_mode_16_64 3
		.amdhsa_dx10_clamp 1
		.amdhsa_ieee_mode 1
		.amdhsa_fp16_overflow 0
		.amdhsa_workgroup_processor_mode 1
		.amdhsa_memory_ordered 1
		.amdhsa_forward_progress 1
		.amdhsa_shared_vgpr_count 0
		.amdhsa_exception_fp_ieee_invalid_op 0
		.amdhsa_exception_fp_denorm_src 0
		.amdhsa_exception_fp_ieee_div_zero 0
		.amdhsa_exception_fp_ieee_overflow 0
		.amdhsa_exception_fp_ieee_underflow 0
		.amdhsa_exception_fp_ieee_inexact 0
		.amdhsa_exception_int_div_zero 0
	.end_amdhsa_kernel
	.section	.text._ZN9rocsolver6v33100L18getri_kernel_smallILi5E19rocblas_complex_numIfEPS3_EEvT1_iilPiilS6_bb,"axG",@progbits,_ZN9rocsolver6v33100L18getri_kernel_smallILi5E19rocblas_complex_numIfEPS3_EEvT1_iilPiilS6_bb,comdat
.Lfunc_end4:
	.size	_ZN9rocsolver6v33100L18getri_kernel_smallILi5E19rocblas_complex_numIfEPS3_EEvT1_iilPiilS6_bb, .Lfunc_end4-_ZN9rocsolver6v33100L18getri_kernel_smallILi5E19rocblas_complex_numIfEPS3_EEvT1_iilPiilS6_bb
                                        ; -- End function
	.set _ZN9rocsolver6v33100L18getri_kernel_smallILi5E19rocblas_complex_numIfEPS3_EEvT1_iilPiilS6_bb.num_vgpr, 32
	.set _ZN9rocsolver6v33100L18getri_kernel_smallILi5E19rocblas_complex_numIfEPS3_EEvT1_iilPiilS6_bb.num_agpr, 0
	.set _ZN9rocsolver6v33100L18getri_kernel_smallILi5E19rocblas_complex_numIfEPS3_EEvT1_iilPiilS6_bb.numbered_sgpr, 23
	.set _ZN9rocsolver6v33100L18getri_kernel_smallILi5E19rocblas_complex_numIfEPS3_EEvT1_iilPiilS6_bb.num_named_barrier, 0
	.set _ZN9rocsolver6v33100L18getri_kernel_smallILi5E19rocblas_complex_numIfEPS3_EEvT1_iilPiilS6_bb.private_seg_size, 48
	.set _ZN9rocsolver6v33100L18getri_kernel_smallILi5E19rocblas_complex_numIfEPS3_EEvT1_iilPiilS6_bb.uses_vcc, 1
	.set _ZN9rocsolver6v33100L18getri_kernel_smallILi5E19rocblas_complex_numIfEPS3_EEvT1_iilPiilS6_bb.uses_flat_scratch, 0
	.set _ZN9rocsolver6v33100L18getri_kernel_smallILi5E19rocblas_complex_numIfEPS3_EEvT1_iilPiilS6_bb.has_dyn_sized_stack, 0
	.set _ZN9rocsolver6v33100L18getri_kernel_smallILi5E19rocblas_complex_numIfEPS3_EEvT1_iilPiilS6_bb.has_recursion, 0
	.set _ZN9rocsolver6v33100L18getri_kernel_smallILi5E19rocblas_complex_numIfEPS3_EEvT1_iilPiilS6_bb.has_indirect_call, 0
	.section	.AMDGPU.csdata,"",@progbits
; Kernel info:
; codeLenInByte = 3988
; TotalNumSgprs: 25
; NumVgprs: 32
; ScratchSize: 48
; MemoryBound: 0
; FloatMode: 240
; IeeeMode: 1
; LDSByteSize: 88 bytes/workgroup (compile time only)
; SGPRBlocks: 0
; VGPRBlocks: 3
; NumSGPRsForWavesPerEU: 25
; NumVGPRsForWavesPerEU: 32
; Occupancy: 16
; WaveLimiterHint : 0
; COMPUTE_PGM_RSRC2:SCRATCH_EN: 1
; COMPUTE_PGM_RSRC2:USER_SGPR: 6
; COMPUTE_PGM_RSRC2:TRAP_HANDLER: 0
; COMPUTE_PGM_RSRC2:TGID_X_EN: 1
; COMPUTE_PGM_RSRC2:TGID_Y_EN: 0
; COMPUTE_PGM_RSRC2:TGID_Z_EN: 0
; COMPUTE_PGM_RSRC2:TIDIG_COMP_CNT: 0
	.section	.text._ZN9rocsolver6v33100L18getri_kernel_smallILi6E19rocblas_complex_numIfEPS3_EEvT1_iilPiilS6_bb,"axG",@progbits,_ZN9rocsolver6v33100L18getri_kernel_smallILi6E19rocblas_complex_numIfEPS3_EEvT1_iilPiilS6_bb,comdat
	.globl	_ZN9rocsolver6v33100L18getri_kernel_smallILi6E19rocblas_complex_numIfEPS3_EEvT1_iilPiilS6_bb ; -- Begin function _ZN9rocsolver6v33100L18getri_kernel_smallILi6E19rocblas_complex_numIfEPS3_EEvT1_iilPiilS6_bb
	.p2align	8
	.type	_ZN9rocsolver6v33100L18getri_kernel_smallILi6E19rocblas_complex_numIfEPS3_EEvT1_iilPiilS6_bb,@function
_ZN9rocsolver6v33100L18getri_kernel_smallILi6E19rocblas_complex_numIfEPS3_EEvT1_iilPiilS6_bb: ; @_ZN9rocsolver6v33100L18getri_kernel_smallILi6E19rocblas_complex_numIfEPS3_EEvT1_iilPiilS6_bb
; %bb.0:
	s_add_u32 s0, s0, s7
	s_addc_u32 s1, s1, 0
	s_mov_b32 s7, exec_lo
	v_cmpx_gt_u32_e32 6, v0
	s_cbranch_execz .LBB5_38
; %bb.1:
	s_clause 0x2
	s_load_dword s7, s[4:5], 0x38
	s_load_dwordx4 s[16:19], s[4:5], 0x10
	s_load_dwordx4 s[8:11], s[4:5], 0x28
                                        ; implicit-def: $sgpr20_sgpr21
	s_waitcnt lgkmcnt(0)
	s_bitcmp1_b32 s7, 8
	s_cselect_b32 s22, -1, 0
	s_bfe_u32 s12, s7, 0x10008
	s_ashr_i32 s7, s6, 31
	s_cmp_eq_u32 s12, 0
	s_cbranch_scc1 .LBB5_3
; %bb.2:
	s_load_dword s12, s[4:5], 0x20
	s_mul_i32 s13, s8, s7
	s_mul_hi_u32 s14, s8, s6
	s_mul_i32 s9, s9, s6
	s_add_i32 s13, s14, s13
	s_mul_i32 s8, s8, s6
	s_add_i32 s9, s13, s9
	s_lshl_b64 s[8:9], s[8:9], 2
	s_waitcnt lgkmcnt(0)
	s_ashr_i32 s13, s12, 31
	s_add_u32 s14, s18, s8
	s_addc_u32 s15, s19, s9
	s_lshl_b64 s[8:9], s[12:13], 2
	s_add_u32 s20, s14, s8
	s_addc_u32 s21, s15, s9
.LBB5_3:
	s_clause 0x1
	s_load_dwordx4 s[12:15], s[4:5], 0x0
	s_load_dword s18, s[4:5], 0x38
	s_mul_i32 s4, s16, s7
	s_mul_hi_u32 s5, s16, s6
	s_mul_i32 s8, s17, s6
	s_add_i32 s5, s5, s4
	s_mul_i32 s4, s16, s6
	s_add_i32 s5, s5, s8
	v_lshlrev_b32_e32 v15, 3, v0
	s_lshl_b64 s[4:5], s[4:5], 3
	s_waitcnt lgkmcnt(0)
	v_add3_u32 v3, s15, s15, v0
	s_ashr_i32 s9, s14, 31
	s_mov_b32 s8, s14
	s_add_u32 s12, s12, s4
	s_addc_u32 s13, s13, s5
	v_add_nc_u32_e32 v7, s15, v3
	s_lshl_b64 s[4:5], s[8:9], 3
	v_ashrrev_i32_e32 v4, 31, v3
	s_add_u32 s4, s12, s4
	s_addc_u32 s5, s13, s5
	v_add_nc_u32_e32 v9, s15, v7
	v_ashrrev_i32_e32 v8, 31, v7
	v_add_co_u32 v1, s12, s4, v15
	s_mov_b32 s8, s15
	v_add_nc_u32_e32 v11, s15, v9
	v_ashrrev_i32_e32 v10, 31, v9
	s_ashr_i32 s9, s15, 31
	v_lshlrev_b64 v[3:4], 3, v[3:4]
	v_add_co_ci_u32_e64 v2, null, s5, 0, s12
	v_ashrrev_i32_e32 v12, 31, v11
	s_lshl_b64 s[8:9], s[8:9], 3
	v_lshlrev_b64 v[7:8], 3, v[7:8]
	v_add_co_u32 v5, vcc_lo, v1, s8
	v_lshlrev_b64 v[9:10], 3, v[9:10]
	v_add_co_ci_u32_e64 v6, null, s9, v2, vcc_lo
	v_add_co_u32 v3, vcc_lo, s4, v3
	v_lshlrev_b64 v[20:21], 3, v[11:12]
	v_add_co_ci_u32_e64 v4, null, s5, v4, vcc_lo
	v_add_co_u32 v7, vcc_lo, s4, v7
	v_add_co_ci_u32_e64 v8, null, s5, v8, vcc_lo
	v_add_co_u32 v11, vcc_lo, s4, v9
	;; [unrolled: 2-line block ×3, first 2 shown]
	v_add_co_ci_u32_e64 v10, null, s5, v21, vcc_lo
	s_clause 0x5
	global_load_dwordx2 v[13:14], v15, s[4:5]
	global_load_dwordx2 v[16:17], v[5:6], off
	global_load_dwordx2 v[18:19], v[3:4], off
	;; [unrolled: 1-line block ×5, first 2 shown]
	s_mov_b32 s5, -1
	s_bitcmp0_b32 s18, 0
	s_waitcnt vmcnt(5)
	buffer_store_dword v14, off, s[0:3], 0 offset:4
	buffer_store_dword v13, off, s[0:3], 0
	s_waitcnt vmcnt(4)
	buffer_store_dword v17, off, s[0:3], 0 offset:12
	buffer_store_dword v16, off, s[0:3], 0 offset:8
	s_waitcnt vmcnt(3)
	buffer_store_dword v19, off, s[0:3], 0 offset:20
	buffer_store_dword v18, off, s[0:3], 0 offset:16
	;; [unrolled: 3-line block ×5, first 2 shown]
	s_cbranch_scc1 .LBB5_36
; %bb.4:
	v_cmp_eq_u32_e64 s4, 0, v0
	s_and_saveexec_b32 s5, s4
; %bb.5:
	v_mov_b32_e32 v13, 0
	ds_write_b32 v13, v13 offset:96
; %bb.6:
	s_or_b32 exec_lo, exec_lo, s5
	v_lshl_add_u32 v17, v0, 3, 0
	s_waitcnt lgkmcnt(0)
	s_waitcnt_vscnt null, 0x0
	s_barrier
	buffer_gl0_inv
	s_clause 0x1
	buffer_load_dword v13, v17, s[0:3], 0 offen
	buffer_load_dword v14, v17, s[0:3], 0 offen offset:4
	s_waitcnt vmcnt(1)
	v_cmp_eq_f32_e32 vcc_lo, 0, v13
	s_waitcnt vmcnt(0)
	v_cmp_eq_f32_e64 s5, 0, v14
	s_and_b32 s5, vcc_lo, s5
	s_and_saveexec_b32 s8, s5
	s_cbranch_execz .LBB5_10
; %bb.7:
	v_mov_b32_e32 v13, 0
	s_mov_b32 s9, 0
	ds_read_b32 v14, v13 offset:96
	s_waitcnt lgkmcnt(0)
	v_readfirstlane_b32 s5, v14
	v_add_nc_u32_e32 v14, 1, v0
	s_cmp_eq_u32 s5, 0
	v_cmp_gt_i32_e32 vcc_lo, s5, v14
	s_cselect_b32 s12, -1, 0
	s_or_b32 s12, s12, vcc_lo
	s_and_b32 exec_lo, exec_lo, s12
	s_cbranch_execz .LBB5_10
; %bb.8:
	v_mov_b32_e32 v16, s5
.LBB5_9:                                ; =>This Inner Loop Header: Depth=1
	ds_cmpst_rtn_b32 v16, v13, v16, v14 offset:96
	s_waitcnt lgkmcnt(0)
	v_cmp_ne_u32_e32 vcc_lo, 0, v16
	v_cmp_le_i32_e64 s5, v16, v14
	s_and_b32 s5, vcc_lo, s5
	s_and_b32 s5, exec_lo, s5
	s_or_b32 s9, s5, s9
	s_andn2_b32 exec_lo, exec_lo, s9
	s_cbranch_execnz .LBB5_9
.LBB5_10:
	s_or_b32 exec_lo, exec_lo, s8
	v_mov_b32_e32 v13, 0
	s_barrier
	buffer_gl0_inv
	ds_read_b32 v14, v13 offset:96
	s_and_saveexec_b32 s5, s4
	s_cbranch_execz .LBB5_12
; %bb.11:
	s_lshl_b64 s[8:9], s[6:7], 2
	s_add_u32 s8, s10, s8
	s_addc_u32 s9, s11, s9
	s_waitcnt lgkmcnt(0)
	global_store_dword v13, v14, s[8:9]
.LBB5_12:
	s_or_b32 exec_lo, exec_lo, s5
	s_waitcnt lgkmcnt(0)
	v_cmp_ne_u32_e32 vcc_lo, 0, v14
	s_mov_b32 s5, 0
	s_cbranch_vccnz .LBB5_36
; %bb.13:
	s_clause 0x1
	buffer_load_dword v14, v17, s[0:3], 0 offen
	buffer_load_dword v16, v17, s[0:3], 0 offen offset:4
                                        ; implicit-def: $vgpr19
                                        ; implicit-def: $vgpr18
                                        ; implicit-def: $vgpr13
	s_waitcnt vmcnt(0)
	v_cmp_ngt_f32_e64 s5, |v14|, |v16|
	s_and_saveexec_b32 s8, s5
	s_xor_b32 s5, exec_lo, s8
	s_cbranch_execz .LBB5_15
; %bb.14:
	v_div_scale_f32 v13, null, v16, v16, v14
	v_div_scale_f32 v20, vcc_lo, v14, v16, v14
	v_rcp_f32_e32 v18, v13
	v_fma_f32 v19, -v13, v18, 1.0
	v_fmac_f32_e32 v18, v19, v18
	v_mul_f32_e32 v19, v20, v18
	v_fma_f32 v21, -v13, v19, v20
	v_fmac_f32_e32 v19, v21, v18
	v_fma_f32 v13, -v13, v19, v20
	v_div_fmas_f32 v13, v13, v18, v19
	v_div_fixup_f32 v13, v13, v16, v14
	v_fmac_f32_e32 v16, v14, v13
	v_div_scale_f32 v14, null, v16, v16, 1.0
	v_rcp_f32_e32 v18, v14
	v_fma_f32 v19, -v14, v18, 1.0
	v_fmac_f32_e32 v18, v19, v18
	v_div_scale_f32 v19, vcc_lo, 1.0, v16, 1.0
	v_mul_f32_e32 v20, v19, v18
	v_fma_f32 v21, -v14, v20, v19
	v_fmac_f32_e32 v20, v21, v18
	v_fma_f32 v14, -v14, v20, v19
	v_div_fmas_f32 v14, v14, v18, v20
	v_div_fixup_f32 v14, v14, v16, 1.0
                                        ; implicit-def: $vgpr16
	v_mul_f32_e32 v19, v13, v14
	v_xor_b32_e32 v18, 0x80000000, v14
                                        ; implicit-def: $vgpr14
	v_xor_b32_e32 v13, 0x80000000, v19
.LBB5_15:
	s_andn2_saveexec_b32 s5, s5
	s_cbranch_execz .LBB5_17
; %bb.16:
	v_div_scale_f32 v13, null, v14, v14, v16
	v_div_scale_f32 v20, vcc_lo, v16, v14, v16
	v_rcp_f32_e32 v18, v13
	v_fma_f32 v19, -v13, v18, 1.0
	v_fmac_f32_e32 v18, v19, v18
	v_mul_f32_e32 v19, v20, v18
	v_fma_f32 v21, -v13, v19, v20
	v_fmac_f32_e32 v19, v21, v18
	v_fma_f32 v13, -v13, v19, v20
	v_div_fmas_f32 v13, v13, v18, v19
	v_div_fixup_f32 v18, v13, v14, v16
	v_fmac_f32_e32 v14, v16, v18
	v_div_scale_f32 v13, null, v14, v14, 1.0
	v_div_scale_f32 v20, vcc_lo, 1.0, v14, 1.0
	v_rcp_f32_e32 v16, v13
	v_fma_f32 v19, -v13, v16, 1.0
	v_fmac_f32_e32 v16, v19, v16
	v_mul_f32_e32 v19, v20, v16
	v_fma_f32 v21, -v13, v19, v20
	v_fmac_f32_e32 v19, v21, v16
	v_fma_f32 v13, -v13, v19, v20
	v_div_fmas_f32 v13, v13, v16, v19
	v_div_fixup_f32 v19, v13, v14, 1.0
	v_xor_b32_e32 v13, 0x80000000, v19
	v_mul_f32_e64 v18, v18, -v19
.LBB5_17:
	s_or_b32 exec_lo, exec_lo, s5
	buffer_store_dword v19, v17, s[0:3], 0 offen
	buffer_store_dword v18, v17, s[0:3], 0 offen offset:4
	s_clause 0x1
	buffer_load_dword v20, off, s[0:3], 0 offset:12
	buffer_load_dword v19, off, s[0:3], 0 offset:8
	v_xor_b32_e32 v14, 0x80000000, v18
	v_add_nc_u32_e32 v16, 48, v15
	s_waitcnt vmcnt(0)
	ds_write2_b64 v15, v[13:14], v[19:20] offset1:6
	s_waitcnt lgkmcnt(0)
	s_waitcnt_vscnt null, 0x0
	s_barrier
	buffer_gl0_inv
	s_and_saveexec_b32 s5, s4
	s_cbranch_execz .LBB5_19
; %bb.18:
	s_clause 0x1
	buffer_load_dword v20, v17, s[0:3], 0 offen offset:4
	buffer_load_dword v21, v17, s[0:3], 0 offen
	ds_read_b64 v[13:14], v16
	v_mov_b32_e32 v18, 0
	ds_read_b64 v[18:19], v18 offset:8
	s_waitcnt vmcnt(1) lgkmcnt(1)
	v_mul_f32_e32 v22, v13, v20
	v_mul_f32_e32 v20, v14, v20
	s_waitcnt vmcnt(0)
	v_fmac_f32_e32 v22, v14, v21
	v_fma_f32 v13, v13, v21, -v20
	v_add_f32_e32 v14, 0, v22
	v_add_f32_e32 v13, 0, v13
	s_waitcnt lgkmcnt(0)
	v_mul_f32_e32 v20, v14, v19
	v_mul_f32_e32 v19, v13, v19
	v_fma_f32 v13, v13, v18, -v20
	v_fmac_f32_e32 v19, v14, v18
	buffer_store_dword v13, off, s[0:3], 0 offset:8
	buffer_store_dword v19, off, s[0:3], 0 offset:12
.LBB5_19:
	s_or_b32 exec_lo, exec_lo, s5
	s_waitcnt_vscnt null, 0x0
	s_barrier
	buffer_gl0_inv
	s_clause 0x1
	buffer_load_dword v13, off, s[0:3], 0 offset:16
	buffer_load_dword v14, off, s[0:3], 0 offset:20
	s_mov_b32 s5, exec_lo
	s_waitcnt vmcnt(0)
	ds_write_b64 v16, v[13:14]
	s_waitcnt lgkmcnt(0)
	s_barrier
	buffer_gl0_inv
	v_cmpx_gt_u32_e32 2, v0
	s_cbranch_execz .LBB5_23
; %bb.20:
	s_clause 0x1
	buffer_load_dword v18, v17, s[0:3], 0 offen offset:4
	buffer_load_dword v17, v17, s[0:3], 0 offen
	ds_read_b64 v[13:14], v16
	s_waitcnt vmcnt(1) lgkmcnt(0)
	v_mul_f32_e32 v19, v14, v18
	v_mul_f32_e32 v18, v13, v18
	s_waitcnt vmcnt(0)
	v_fma_f32 v13, v13, v17, -v19
	v_fmac_f32_e32 v18, v14, v17
	v_add_f32_e32 v14, 0, v13
	v_add_f32_e32 v13, 0, v18
	s_and_saveexec_b32 s8, s4
	s_cbranch_execz .LBB5_22
; %bb.21:
	s_clause 0x1
	buffer_load_dword v19, off, s[0:3], 0 offset:12
	buffer_load_dword v20, off, s[0:3], 0 offset:8
	v_mov_b32_e32 v17, 0
	ds_read_b64 v[17:18], v17 offset:56
	s_waitcnt vmcnt(1) lgkmcnt(0)
	v_mul_f32_e32 v21, v17, v19
	v_mul_f32_e32 v19, v18, v19
	s_waitcnt vmcnt(0)
	v_fmac_f32_e32 v21, v18, v20
	v_fma_f32 v17, v17, v20, -v19
	v_add_f32_e32 v13, v13, v21
	v_add_f32_e32 v14, v14, v17
.LBB5_22:
	s_or_b32 exec_lo, exec_lo, s8
	v_mov_b32_e32 v17, 0
	ds_read_b64 v[17:18], v17 offset:16
	s_waitcnt lgkmcnt(0)
	v_mul_f32_e32 v19, v13, v18
	v_mul_f32_e32 v18, v14, v18
	v_fma_f32 v14, v14, v17, -v19
	v_fmac_f32_e32 v18, v13, v17
	buffer_store_dword v14, off, s[0:3], 0 offset:16
	buffer_store_dword v18, off, s[0:3], 0 offset:20
.LBB5_23:
	s_or_b32 exec_lo, exec_lo, s5
	s_waitcnt_vscnt null, 0x0
	s_barrier
	buffer_gl0_inv
	s_clause 0x1
	buffer_load_dword v17, off, s[0:3], 0 offset:24
	buffer_load_dword v18, off, s[0:3], 0 offset:28
	v_add_nc_u32_e32 v13, -1, v0
	s_mov_b32 s4, exec_lo
	s_waitcnt vmcnt(0)
	ds_write_b64 v16, v[17:18]
	s_waitcnt lgkmcnt(0)
	s_barrier
	buffer_gl0_inv
	v_cmpx_gt_u32_e32 3, v0
	s_cbranch_execz .LBB5_27
; %bb.24:
	v_add_nc_u32_e32 v17, -1, v0
	v_add_nc_u32_e32 v18, 48, v15
	v_mov_b32_e32 v19, v15
	v_mov_b32_e32 v14, 0
	v_mov_b32_e32 v20, 0
	s_mov_b32 s5, 0
	.p2align	6
.LBB5_25:                               ; =>This Inner Loop Header: Depth=1
	s_clause 0x1
	buffer_load_dword v23, v19, s[0:3], 0 offen offset:4
	buffer_load_dword v24, v19, s[0:3], 0 offen
	ds_read_b64 v[21:22], v18
	v_add_nc_u32_e32 v17, 1, v17
	v_add_nc_u32_e32 v18, 8, v18
	;; [unrolled: 1-line block ×3, first 2 shown]
	v_cmp_lt_u32_e32 vcc_lo, 1, v17
	s_or_b32 s5, vcc_lo, s5
	s_waitcnt vmcnt(1) lgkmcnt(0)
	v_mul_f32_e32 v25, v22, v23
	v_mul_f32_e32 v23, v21, v23
	s_waitcnt vmcnt(0)
	v_fma_f32 v21, v21, v24, -v25
	v_fmac_f32_e32 v23, v22, v24
	v_add_f32_e32 v20, v20, v21
	v_add_f32_e32 v14, v14, v23
	s_andn2_b32 exec_lo, exec_lo, s5
	s_cbranch_execnz .LBB5_25
; %bb.26:
	s_or_b32 exec_lo, exec_lo, s5
	v_mov_b32_e32 v17, 0
	ds_read_b64 v[17:18], v17 offset:24
	s_waitcnt lgkmcnt(0)
	v_mul_f32_e32 v19, v14, v18
	v_mul_f32_e32 v18, v20, v18
	v_fma_f32 v19, v20, v17, -v19
	v_fmac_f32_e32 v18, v14, v17
	buffer_store_dword v19, off, s[0:3], 0 offset:24
	buffer_store_dword v18, off, s[0:3], 0 offset:28
.LBB5_27:
	s_or_b32 exec_lo, exec_lo, s4
	s_waitcnt_vscnt null, 0x0
	s_barrier
	buffer_gl0_inv
	s_clause 0x1
	buffer_load_dword v17, off, s[0:3], 0 offset:32
	buffer_load_dword v18, off, s[0:3], 0 offset:36
	s_mov_b32 s4, exec_lo
	s_waitcnt vmcnt(0)
	ds_write_b64 v16, v[17:18]
	s_waitcnt lgkmcnt(0)
	s_barrier
	buffer_gl0_inv
	v_cmpx_gt_u32_e32 4, v0
	s_cbranch_execz .LBB5_31
; %bb.28:
	v_add_nc_u32_e32 v17, -1, v0
	v_add_nc_u32_e32 v18, 48, v15
	v_mov_b32_e32 v19, v15
	v_mov_b32_e32 v14, 0
	;; [unrolled: 1-line block ×3, first 2 shown]
	s_mov_b32 s5, 0
	.p2align	6
.LBB5_29:                               ; =>This Inner Loop Header: Depth=1
	s_clause 0x1
	buffer_load_dword v23, v19, s[0:3], 0 offen offset:4
	buffer_load_dword v24, v19, s[0:3], 0 offen
	ds_read_b64 v[21:22], v18
	v_add_nc_u32_e32 v17, 1, v17
	v_add_nc_u32_e32 v18, 8, v18
	;; [unrolled: 1-line block ×3, first 2 shown]
	v_cmp_lt_u32_e32 vcc_lo, 2, v17
	s_or_b32 s5, vcc_lo, s5
	s_waitcnt vmcnt(1) lgkmcnt(0)
	v_mul_f32_e32 v25, v22, v23
	v_mul_f32_e32 v23, v21, v23
	s_waitcnt vmcnt(0)
	v_fma_f32 v21, v21, v24, -v25
	v_fmac_f32_e32 v23, v22, v24
	v_add_f32_e32 v20, v20, v21
	v_add_f32_e32 v14, v14, v23
	s_andn2_b32 exec_lo, exec_lo, s5
	s_cbranch_execnz .LBB5_29
; %bb.30:
	s_or_b32 exec_lo, exec_lo, s5
	v_mov_b32_e32 v17, 0
	ds_read_b64 v[17:18], v17 offset:32
	s_waitcnt lgkmcnt(0)
	v_mul_f32_e32 v19, v14, v18
	v_mul_f32_e32 v18, v20, v18
	v_fma_f32 v19, v20, v17, -v19
	v_fmac_f32_e32 v18, v14, v17
	buffer_store_dword v19, off, s[0:3], 0 offset:32
	buffer_store_dword v18, off, s[0:3], 0 offset:36
.LBB5_31:
	s_or_b32 exec_lo, exec_lo, s4
	s_waitcnt_vscnt null, 0x0
	s_barrier
	buffer_gl0_inv
	s_clause 0x1
	buffer_load_dword v17, off, s[0:3], 0 offset:40
	buffer_load_dword v18, off, s[0:3], 0 offset:44
	s_mov_b32 s4, exec_lo
	s_waitcnt vmcnt(0)
	ds_write_b64 v16, v[17:18]
	s_waitcnt lgkmcnt(0)
	s_barrier
	buffer_gl0_inv
	v_cmpx_ne_u32_e32 5, v0
	s_cbranch_execz .LBB5_35
; %bb.32:
	v_mov_b32_e32 v14, 0
	v_mov_b32_e32 v17, 0
	s_mov_b32 s5, 0
	.p2align	6
.LBB5_33:                               ; =>This Inner Loop Header: Depth=1
	s_clause 0x1
	buffer_load_dword v20, v15, s[0:3], 0 offen offset:4
	buffer_load_dword v21, v15, s[0:3], 0 offen
	ds_read_b64 v[18:19], v16
	v_add_nc_u32_e32 v13, 1, v13
	v_add_nc_u32_e32 v16, 8, v16
	;; [unrolled: 1-line block ×3, first 2 shown]
	v_cmp_lt_u32_e32 vcc_lo, 3, v13
	s_or_b32 s5, vcc_lo, s5
	s_waitcnt vmcnt(1) lgkmcnt(0)
	v_mul_f32_e32 v22, v19, v20
	v_mul_f32_e32 v20, v18, v20
	s_waitcnt vmcnt(0)
	v_fma_f32 v18, v18, v21, -v22
	v_fmac_f32_e32 v20, v19, v21
	v_add_f32_e32 v17, v17, v18
	v_add_f32_e32 v14, v14, v20
	s_andn2_b32 exec_lo, exec_lo, s5
	s_cbranch_execnz .LBB5_33
; %bb.34:
	s_or_b32 exec_lo, exec_lo, s5
	v_mov_b32_e32 v13, 0
	ds_read_b64 v[15:16], v13 offset:40
	s_waitcnt lgkmcnt(0)
	v_mul_f32_e32 v13, v14, v16
	v_mul_f32_e32 v16, v17, v16
	v_fma_f32 v13, v17, v15, -v13
	v_fmac_f32_e32 v16, v14, v15
	buffer_store_dword v13, off, s[0:3], 0 offset:40
	buffer_store_dword v16, off, s[0:3], 0 offset:44
.LBB5_35:
	s_or_b32 exec_lo, exec_lo, s4
	s_mov_b32 s5, -1
	s_waitcnt_vscnt null, 0x0
	s_barrier
	buffer_gl0_inv
.LBB5_36:
	s_and_b32 vcc_lo, exec_lo, s5
	s_cbranch_vccz .LBB5_38
; %bb.37:
	s_lshl_b64 s[4:5], s[6:7], 2
	v_mov_b32_e32 v13, 0
	s_add_u32 s4, s10, s4
	s_addc_u32 s5, s11, s5
	global_load_dword v13, v13, s[4:5]
	s_waitcnt vmcnt(0)
	v_cmp_ne_u32_e32 vcc_lo, 0, v13
	s_cbranch_vccz .LBB5_39
.LBB5_38:
	s_endpgm
.LBB5_39:
	v_lshl_add_u32 v13, v0, 3, 48
	s_mov_b32 s4, exec_lo
	v_cmpx_eq_u32_e32 5, v0
	s_cbranch_execz .LBB5_41
; %bb.40:
	s_clause 0x1
	buffer_load_dword v14, off, s[0:3], 0 offset:32
	buffer_load_dword v15, off, s[0:3], 0 offset:36
	v_mov_b32_e32 v16, 0
	buffer_store_dword v16, off, s[0:3], 0 offset:32
	buffer_store_dword v16, off, s[0:3], 0 offset:36
	s_waitcnt vmcnt(0)
	ds_write_b64 v13, v[14:15]
.LBB5_41:
	s_or_b32 exec_lo, exec_lo, s4
	s_waitcnt lgkmcnt(0)
	s_waitcnt_vscnt null, 0x0
	s_barrier
	buffer_gl0_inv
	s_clause 0x3
	buffer_load_dword v17, off, s[0:3], 0 offset:44
	buffer_load_dword v18, off, s[0:3], 0 offset:40
	;; [unrolled: 1-line block ×4, first 2 shown]
	v_mov_b32_e32 v14, 0
	s_mov_b32 s4, exec_lo
	ds_read_b64 v[15:16], v14 offset:88
	s_waitcnt vmcnt(3) lgkmcnt(0)
	v_mul_f32_e32 v21, v16, v17
	v_mul_f32_e32 v17, v15, v17
	s_waitcnt vmcnt(2)
	v_fma_f32 v15, v15, v18, -v21
	v_fmac_f32_e32 v17, v16, v18
	v_add_f32_e32 v15, 0, v15
	v_add_f32_e32 v16, 0, v17
	s_waitcnt vmcnt(1)
	v_sub_f32_e32 v15, v19, v15
	s_waitcnt vmcnt(0)
	v_sub_f32_e32 v16, v20, v16
	buffer_store_dword v15, off, s[0:3], 0 offset:32
	buffer_store_dword v16, off, s[0:3], 0 offset:36
	v_cmpx_lt_u32_e32 3, v0
	s_cbranch_execz .LBB5_43
; %bb.42:
	s_clause 0x1
	buffer_load_dword v15, off, s[0:3], 0 offset:24
	buffer_load_dword v16, off, s[0:3], 0 offset:28
	buffer_store_dword v14, off, s[0:3], 0 offset:24
	buffer_store_dword v14, off, s[0:3], 0 offset:28
	s_waitcnt vmcnt(0)
	ds_write_b64 v13, v[15:16]
.LBB5_43:
	s_or_b32 exec_lo, exec_lo, s4
	s_waitcnt lgkmcnt(0)
	s_waitcnt_vscnt null, 0x0
	s_barrier
	buffer_gl0_inv
	s_clause 0x5
	buffer_load_dword v18, off, s[0:3], 0 offset:36
	buffer_load_dword v19, off, s[0:3], 0 offset:44
	;; [unrolled: 1-line block ×6, first 2 shown]
	ds_read_b128 v[14:17], v14 offset:80
	s_mov_b32 s4, exec_lo
	s_waitcnt vmcnt(5) lgkmcnt(0)
	v_mul_f32_e32 v24, v15, v18
	v_mul_f32_e32 v18, v14, v18
	s_waitcnt vmcnt(4)
	v_mul_f32_e32 v25, v16, v19
	v_mul_f32_e32 v19, v17, v19
	s_waitcnt vmcnt(3)
	v_fma_f32 v14, v14, v20, -v24
	v_fmac_f32_e32 v18, v15, v20
	s_waitcnt vmcnt(2)
	v_fmac_f32_e32 v25, v17, v21
	v_fma_f32 v15, v16, v21, -v19
	v_add_f32_e32 v14, 0, v14
	v_add_f32_e32 v16, 0, v18
	v_add_f32_e32 v14, v14, v15
	v_add_f32_e32 v15, v16, v25
	s_waitcnt vmcnt(1)
	v_sub_f32_e32 v14, v22, v14
	s_waitcnt vmcnt(0)
	v_sub_f32_e32 v15, v23, v15
	buffer_store_dword v14, off, s[0:3], 0 offset:24
	buffer_store_dword v15, off, s[0:3], 0 offset:28
	v_cmpx_lt_u32_e32 2, v0
	s_cbranch_execz .LBB5_45
; %bb.44:
	s_clause 0x1
	buffer_load_dword v14, off, s[0:3], 0 offset:16
	buffer_load_dword v15, off, s[0:3], 0 offset:20
	v_mov_b32_e32 v16, 0
	buffer_store_dword v16, off, s[0:3], 0 offset:16
	buffer_store_dword v16, off, s[0:3], 0 offset:20
	s_waitcnt vmcnt(0)
	ds_write_b64 v13, v[14:15]
.LBB5_45:
	s_or_b32 exec_lo, exec_lo, s4
	s_waitcnt lgkmcnt(0)
	s_waitcnt_vscnt null, 0x0
	s_barrier
	buffer_gl0_inv
	s_clause 0x7
	buffer_load_dword v21, off, s[0:3], 0 offset:28
	buffer_load_dword v22, off, s[0:3], 0 offset:36
	;; [unrolled: 1-line block ×8, first 2 shown]
	v_mov_b32_e32 v14, 0
	ds_read2_b64 v[15:18], v14 offset0:9 offset1:10
	ds_read_b64 v[19:20], v14 offset:88
	s_mov_b32 s4, exec_lo
	s_waitcnt vmcnt(7) lgkmcnt(1)
	v_mul_f32_e32 v29, v16, v21
	v_mul_f32_e32 v21, v15, v21
	s_waitcnt vmcnt(6)
	v_mul_f32_e32 v30, v17, v22
	v_mul_f32_e32 v22, v18, v22
	s_waitcnt vmcnt(5) lgkmcnt(0)
	v_mul_f32_e32 v31, v19, v23
	s_waitcnt vmcnt(4)
	v_fma_f32 v15, v15, v24, -v29
	v_fmac_f32_e32 v21, v16, v24
	v_mul_f32_e32 v16, v20, v23
	s_waitcnt vmcnt(3)
	v_fma_f32 v17, v17, v25, -v22
	v_fmac_f32_e32 v30, v18, v25
	v_add_f32_e32 v15, 0, v15
	v_add_f32_e32 v18, 0, v21
	s_waitcnt vmcnt(2)
	v_fma_f32 v16, v19, v26, -v16
	v_fmac_f32_e32 v31, v20, v26
	v_add_f32_e32 v15, v15, v17
	v_add_f32_e32 v17, v18, v30
	;; [unrolled: 1-line block ×4, first 2 shown]
	s_waitcnt vmcnt(1)
	v_sub_f32_e32 v15, v27, v15
	s_waitcnt vmcnt(0)
	v_sub_f32_e32 v16, v28, v16
	buffer_store_dword v15, off, s[0:3], 0 offset:16
	buffer_store_dword v16, off, s[0:3], 0 offset:20
	v_cmpx_lt_u32_e32 1, v0
	s_cbranch_execz .LBB5_47
; %bb.46:
	s_clause 0x1
	buffer_load_dword v15, off, s[0:3], 0 offset:8
	buffer_load_dword v16, off, s[0:3], 0 offset:12
	buffer_store_dword v14, off, s[0:3], 0 offset:8
	buffer_store_dword v14, off, s[0:3], 0 offset:12
	s_waitcnt vmcnt(0)
	ds_write_b64 v13, v[15:16]
.LBB5_47:
	s_or_b32 exec_lo, exec_lo, s4
	s_waitcnt lgkmcnt(0)
	s_waitcnt_vscnt null, 0x0
	s_barrier
	buffer_gl0_inv
	s_clause 0x9
	buffer_load_dword v23, off, s[0:3], 0 offset:20
	buffer_load_dword v24, off, s[0:3], 0 offset:28
	;; [unrolled: 1-line block ×10, first 2 shown]
	ds_read_b128 v[15:18], v14 offset:64
	ds_read_b128 v[19:22], v14 offset:80
	s_mov_b32 s4, exec_lo
	s_waitcnt vmcnt(9) lgkmcnt(1)
	v_mul_f32_e32 v14, v15, v23
	v_mul_f32_e32 v23, v16, v23
	s_waitcnt vmcnt(8)
	v_mul_f32_e32 v33, v17, v24
	v_mul_f32_e32 v24, v18, v24
	s_waitcnt vmcnt(7) lgkmcnt(0)
	v_mul_f32_e32 v34, v19, v25
	s_waitcnt vmcnt(5)
	v_fmac_f32_e32 v14, v16, v27
	v_fma_f32 v15, v15, v27, -v23
	v_mul_f32_e32 v16, v20, v25
	s_waitcnt vmcnt(4)
	v_fma_f32 v17, v17, v28, -v24
	v_fmac_f32_e32 v33, v18, v28
	v_add_f32_e32 v14, 0, v14
	v_add_f32_e32 v15, 0, v15
	v_mul_f32_e32 v18, v22, v26
	s_waitcnt vmcnt(3)
	v_fma_f32 v16, v19, v29, -v16
	v_mul_f32_e32 v35, v21, v26
	v_fmac_f32_e32 v34, v20, v29
	v_add_f32_e32 v15, v15, v17
	v_add_f32_e32 v14, v14, v33
	s_waitcnt vmcnt(2)
	v_fma_f32 v17, v21, v30, -v18
	v_fmac_f32_e32 v35, v22, v30
	v_add_f32_e32 v15, v15, v16
	v_add_f32_e32 v14, v14, v34
	v_add_f32_e32 v15, v15, v17
	v_add_f32_e32 v14, v14, v35
	s_waitcnt vmcnt(1)
	v_sub_f32_e32 v15, v31, v15
	s_waitcnt vmcnt(0)
	v_sub_f32_e32 v14, v32, v14
	buffer_store_dword v15, off, s[0:3], 0 offset:8
	buffer_store_dword v14, off, s[0:3], 0 offset:12
	v_cmpx_ne_u32_e32 0, v0
	s_cbranch_execz .LBB5_49
; %bb.48:
	s_clause 0x1
	buffer_load_dword v14, off, s[0:3], 0
	buffer_load_dword v15, off, s[0:3], 0 offset:4
	v_mov_b32_e32 v0, 0
	buffer_store_dword v0, off, s[0:3], 0
	buffer_store_dword v0, off, s[0:3], 0 offset:4
	s_waitcnt vmcnt(0)
	ds_write_b64 v13, v[14:15]
.LBB5_49:
	s_or_b32 exec_lo, exec_lo, s4
	s_waitcnt lgkmcnt(0)
	s_waitcnt_vscnt null, 0x0
	s_barrier
	buffer_gl0_inv
	s_clause 0xb
	buffer_load_dword v25, off, s[0:3], 0 offset:12
	buffer_load_dword v26, off, s[0:3], 0 offset:20
	;; [unrolled: 1-line block ×10, first 2 shown]
	buffer_load_dword v33, off, s[0:3], 0
	buffer_load_dword v34, off, s[0:3], 0 offset:4
	v_mov_b32_e32 v14, 0
	ds_read2_b64 v[15:18], v14 offset0:7 offset1:8
	ds_read2_b64 v[19:22], v14 offset0:9 offset1:10
	ds_read_b64 v[23:24], v14 offset:88
	s_and_b32 vcc_lo, exec_lo, s22
	s_waitcnt vmcnt(11) lgkmcnt(2)
	v_mul_f32_e32 v35, v15, v25
	v_mul_f32_e32 v25, v16, v25
	s_waitcnt vmcnt(10)
	v_mul_f32_e32 v36, v17, v26
	v_mul_f32_e32 v26, v18, v26
	s_waitcnt vmcnt(9) lgkmcnt(1)
	v_mul_f32_e32 v37, v19, v27
	s_waitcnt vmcnt(6)
	v_fmac_f32_e32 v35, v16, v29
	v_fma_f32 v15, v15, v29, -v25
	v_mul_f32_e32 v16, v20, v27
	s_waitcnt vmcnt(5)
	v_fma_f32 v17, v17, v30, -v26
	v_fmac_f32_e32 v36, v18, v30
	v_add_f32_e32 v18, 0, v35
	v_add_f32_e32 v15, 0, v15
	v_mul_f32_e32 v25, v22, v0
	s_waitcnt vmcnt(4)
	v_fma_f32 v16, v19, v31, -v16
	v_mul_f32_e32 v38, v21, v0
	v_fmac_f32_e32 v37, v20, v31
	v_add_f32_e32 v15, v15, v17
	v_add_f32_e32 v17, v18, v36
	s_waitcnt lgkmcnt(0)
	v_mul_f32_e32 v18, v24, v28
	s_waitcnt vmcnt(3)
	v_fma_f32 v19, v21, v13, -v25
	v_mul_f32_e32 v39, v23, v28
	v_add_f32_e32 v15, v15, v16
	v_fmac_f32_e32 v38, v22, v13
	v_add_f32_e32 v16, v17, v37
	s_waitcnt vmcnt(2)
	v_fma_f32 v17, v23, v32, -v18
	v_fmac_f32_e32 v39, v24, v32
	v_add_f32_e32 v15, v15, v19
	v_add_f32_e32 v16, v16, v38
	;; [unrolled: 1-line block ×4, first 2 shown]
	s_waitcnt vmcnt(1)
	v_sub_f32_e32 v15, v33, v15
	s_waitcnt vmcnt(0)
	v_sub_f32_e32 v16, v34, v16
	buffer_store_dword v15, off, s[0:3], 0
	buffer_store_dword v16, off, s[0:3], 0 offset:4
	s_cbranch_vccz .LBB5_60
; %bb.50:
	global_load_dword v14, v14, s[20:21] offset:16
	s_waitcnt vmcnt(0)
	v_add_nc_u32_e32 v14, -1, v14
	v_cmp_ne_u32_e32 vcc_lo, 4, v14
	s_cbranch_vccz .LBB5_52
; %bb.51:
	v_lshlrev_b32_e32 v14, 3, v14
	s_clause 0x1
	buffer_load_dword v15, v14, s[0:3], 0 offen offset:4
	buffer_load_dword v16, v14, s[0:3], 0 offen
	s_waitcnt vmcnt(1)
	buffer_store_dword v15, off, s[0:3], 0 offset:36
	s_waitcnt vmcnt(0)
	buffer_store_dword v16, off, s[0:3], 0 offset:32
	buffer_store_dword v0, v14, s[0:3], 0 offen offset:4
	buffer_store_dword v13, v14, s[0:3], 0 offen
.LBB5_52:
	v_mov_b32_e32 v0, 0
	global_load_dword v13, v0, s[20:21] offset:12
	s_waitcnt vmcnt(0)
	v_add_nc_u32_e32 v13, -1, v13
	v_cmp_eq_u32_e32 vcc_lo, 3, v13
	s_cbranch_vccnz .LBB5_54
; %bb.53:
	v_lshlrev_b32_e32 v13, 3, v13
	s_clause 0x3
	buffer_load_dword v14, v13, s[0:3], 0 offen
	buffer_load_dword v15, v13, s[0:3], 0 offen offset:4
	buffer_load_dword v16, off, s[0:3], 0 offset:24
	buffer_load_dword v17, off, s[0:3], 0 offset:28
	s_waitcnt vmcnt(3)
	buffer_store_dword v14, off, s[0:3], 0 offset:24
	s_waitcnt vmcnt(2)
	buffer_store_dword v15, off, s[0:3], 0 offset:28
	s_waitcnt vmcnt(1)
	buffer_store_dword v16, v13, s[0:3], 0 offen
	s_waitcnt vmcnt(0)
	buffer_store_dword v17, v13, s[0:3], 0 offen offset:4
.LBB5_54:
	global_load_dword v0, v0, s[20:21] offset:8
	s_waitcnt vmcnt(0)
	v_add_nc_u32_e32 v0, -1, v0
	v_cmp_eq_u32_e32 vcc_lo, 2, v0
	s_cbranch_vccnz .LBB5_56
; %bb.55:
	v_lshlrev_b32_e32 v0, 3, v0
	s_clause 0x3
	buffer_load_dword v13, v0, s[0:3], 0 offen
	buffer_load_dword v14, v0, s[0:3], 0 offen offset:4
	buffer_load_dword v15, off, s[0:3], 0 offset:20
	buffer_load_dword v16, off, s[0:3], 0 offset:16
	s_waitcnt vmcnt(3)
	buffer_store_dword v13, off, s[0:3], 0 offset:16
	s_waitcnt vmcnt(2)
	buffer_store_dword v14, off, s[0:3], 0 offset:20
	s_waitcnt vmcnt(1)
	buffer_store_dword v15, v0, s[0:3], 0 offen offset:4
	s_waitcnt vmcnt(0)
	buffer_store_dword v16, v0, s[0:3], 0 offen
.LBB5_56:
	v_mov_b32_e32 v0, 0
	global_load_dword v13, v0, s[20:21] offset:4
	s_waitcnt vmcnt(0)
	v_add_nc_u32_e32 v13, -1, v13
	v_cmp_eq_u32_e32 vcc_lo, 1, v13
	s_cbranch_vccnz .LBB5_58
; %bb.57:
	v_lshlrev_b32_e32 v13, 3, v13
	s_clause 0x3
	buffer_load_dword v14, v13, s[0:3], 0 offen
	buffer_load_dword v15, v13, s[0:3], 0 offen offset:4
	buffer_load_dword v16, off, s[0:3], 0 offset:8
	buffer_load_dword v17, off, s[0:3], 0 offset:12
	s_waitcnt vmcnt(3)
	buffer_store_dword v14, off, s[0:3], 0 offset:8
	s_waitcnt vmcnt(2)
	buffer_store_dword v15, off, s[0:3], 0 offset:12
	s_waitcnt vmcnt(1)
	buffer_store_dword v16, v13, s[0:3], 0 offen
	s_waitcnt vmcnt(0)
	buffer_store_dword v17, v13, s[0:3], 0 offen offset:4
.LBB5_58:
	global_load_dword v0, v0, s[20:21]
	s_waitcnt vmcnt(0)
	v_add_nc_u32_e32 v0, -1, v0
	v_cmp_eq_u32_e32 vcc_lo, 0, v0
	s_cbranch_vccnz .LBB5_60
; %bb.59:
	v_lshlrev_b32_e32 v0, 3, v0
	s_clause 0x3
	buffer_load_dword v13, v0, s[0:3], 0 offen
	buffer_load_dword v14, v0, s[0:3], 0 offen offset:4
	buffer_load_dword v15, off, s[0:3], 0 offset:4
	buffer_load_dword v16, off, s[0:3], 0
	s_waitcnt vmcnt(3)
	buffer_store_dword v13, off, s[0:3], 0
	s_waitcnt vmcnt(2)
	buffer_store_dword v14, off, s[0:3], 0 offset:4
	s_waitcnt vmcnt(1)
	buffer_store_dword v15, v0, s[0:3], 0 offen offset:4
	s_waitcnt vmcnt(0)
	buffer_store_dword v16, v0, s[0:3], 0 offen
.LBB5_60:
	s_clause 0xb
	buffer_load_dword v13, off, s[0:3], 0
	buffer_load_dword v14, off, s[0:3], 0 offset:4
	buffer_load_dword v15, off, s[0:3], 0 offset:8
	;; [unrolled: 1-line block ×11, first 2 shown]
	s_waitcnt vmcnt(10)
	global_store_dwordx2 v[1:2], v[13:14], off
	s_waitcnt vmcnt(8)
	global_store_dwordx2 v[5:6], v[15:16], off
	s_waitcnt vmcnt(6)
	global_store_dwordx2 v[3:4], v[17:18], off
	s_waitcnt vmcnt(4)
	global_store_dwordx2 v[7:8], v[19:20], off
	s_waitcnt vmcnt(2)
	global_store_dwordx2 v[11:12], v[21:22], off
	s_waitcnt vmcnt(0)
	global_store_dwordx2 v[9:10], v[23:24], off
	s_endpgm
	.section	.rodata,"a",@progbits
	.p2align	6, 0x0
	.amdhsa_kernel _ZN9rocsolver6v33100L18getri_kernel_smallILi6E19rocblas_complex_numIfEPS3_EEvT1_iilPiilS6_bb
		.amdhsa_group_segment_fixed_size 100
		.amdhsa_private_segment_fixed_size 64
		.amdhsa_kernarg_size 60
		.amdhsa_user_sgpr_count 6
		.amdhsa_user_sgpr_private_segment_buffer 1
		.amdhsa_user_sgpr_dispatch_ptr 0
		.amdhsa_user_sgpr_queue_ptr 0
		.amdhsa_user_sgpr_kernarg_segment_ptr 1
		.amdhsa_user_sgpr_dispatch_id 0
		.amdhsa_user_sgpr_flat_scratch_init 0
		.amdhsa_user_sgpr_private_segment_size 0
		.amdhsa_wavefront_size32 1
		.amdhsa_uses_dynamic_stack 0
		.amdhsa_system_sgpr_private_segment_wavefront_offset 1
		.amdhsa_system_sgpr_workgroup_id_x 1
		.amdhsa_system_sgpr_workgroup_id_y 0
		.amdhsa_system_sgpr_workgroup_id_z 0
		.amdhsa_system_sgpr_workgroup_info 0
		.amdhsa_system_vgpr_workitem_id 0
		.amdhsa_next_free_vgpr 40
		.amdhsa_next_free_sgpr 23
		.amdhsa_reserve_vcc 1
		.amdhsa_reserve_flat_scratch 0
		.amdhsa_float_round_mode_32 0
		.amdhsa_float_round_mode_16_64 0
		.amdhsa_float_denorm_mode_32 3
		.amdhsa_float_denorm_mode_16_64 3
		.amdhsa_dx10_clamp 1
		.amdhsa_ieee_mode 1
		.amdhsa_fp16_overflow 0
		.amdhsa_workgroup_processor_mode 1
		.amdhsa_memory_ordered 1
		.amdhsa_forward_progress 1
		.amdhsa_shared_vgpr_count 0
		.amdhsa_exception_fp_ieee_invalid_op 0
		.amdhsa_exception_fp_denorm_src 0
		.amdhsa_exception_fp_ieee_div_zero 0
		.amdhsa_exception_fp_ieee_overflow 0
		.amdhsa_exception_fp_ieee_underflow 0
		.amdhsa_exception_fp_ieee_inexact 0
		.amdhsa_exception_int_div_zero 0
	.end_amdhsa_kernel
	.section	.text._ZN9rocsolver6v33100L18getri_kernel_smallILi6E19rocblas_complex_numIfEPS3_EEvT1_iilPiilS6_bb,"axG",@progbits,_ZN9rocsolver6v33100L18getri_kernel_smallILi6E19rocblas_complex_numIfEPS3_EEvT1_iilPiilS6_bb,comdat
.Lfunc_end5:
	.size	_ZN9rocsolver6v33100L18getri_kernel_smallILi6E19rocblas_complex_numIfEPS3_EEvT1_iilPiilS6_bb, .Lfunc_end5-_ZN9rocsolver6v33100L18getri_kernel_smallILi6E19rocblas_complex_numIfEPS3_EEvT1_iilPiilS6_bb
                                        ; -- End function
	.set _ZN9rocsolver6v33100L18getri_kernel_smallILi6E19rocblas_complex_numIfEPS3_EEvT1_iilPiilS6_bb.num_vgpr, 40
	.set _ZN9rocsolver6v33100L18getri_kernel_smallILi6E19rocblas_complex_numIfEPS3_EEvT1_iilPiilS6_bb.num_agpr, 0
	.set _ZN9rocsolver6v33100L18getri_kernel_smallILi6E19rocblas_complex_numIfEPS3_EEvT1_iilPiilS6_bb.numbered_sgpr, 23
	.set _ZN9rocsolver6v33100L18getri_kernel_smallILi6E19rocblas_complex_numIfEPS3_EEvT1_iilPiilS6_bb.num_named_barrier, 0
	.set _ZN9rocsolver6v33100L18getri_kernel_smallILi6E19rocblas_complex_numIfEPS3_EEvT1_iilPiilS6_bb.private_seg_size, 64
	.set _ZN9rocsolver6v33100L18getri_kernel_smallILi6E19rocblas_complex_numIfEPS3_EEvT1_iilPiilS6_bb.uses_vcc, 1
	.set _ZN9rocsolver6v33100L18getri_kernel_smallILi6E19rocblas_complex_numIfEPS3_EEvT1_iilPiilS6_bb.uses_flat_scratch, 0
	.set _ZN9rocsolver6v33100L18getri_kernel_smallILi6E19rocblas_complex_numIfEPS3_EEvT1_iilPiilS6_bb.has_dyn_sized_stack, 0
	.set _ZN9rocsolver6v33100L18getri_kernel_smallILi6E19rocblas_complex_numIfEPS3_EEvT1_iilPiilS6_bb.has_recursion, 0
	.set _ZN9rocsolver6v33100L18getri_kernel_smallILi6E19rocblas_complex_numIfEPS3_EEvT1_iilPiilS6_bb.has_indirect_call, 0
	.section	.AMDGPU.csdata,"",@progbits
; Kernel info:
; codeLenInByte = 4872
; TotalNumSgprs: 25
; NumVgprs: 40
; ScratchSize: 64
; MemoryBound: 0
; FloatMode: 240
; IeeeMode: 1
; LDSByteSize: 100 bytes/workgroup (compile time only)
; SGPRBlocks: 0
; VGPRBlocks: 4
; NumSGPRsForWavesPerEU: 25
; NumVGPRsForWavesPerEU: 40
; Occupancy: 16
; WaveLimiterHint : 0
; COMPUTE_PGM_RSRC2:SCRATCH_EN: 1
; COMPUTE_PGM_RSRC2:USER_SGPR: 6
; COMPUTE_PGM_RSRC2:TRAP_HANDLER: 0
; COMPUTE_PGM_RSRC2:TGID_X_EN: 1
; COMPUTE_PGM_RSRC2:TGID_Y_EN: 0
; COMPUTE_PGM_RSRC2:TGID_Z_EN: 0
; COMPUTE_PGM_RSRC2:TIDIG_COMP_CNT: 0
	.section	.text._ZN9rocsolver6v33100L18getri_kernel_smallILi7E19rocblas_complex_numIfEPS3_EEvT1_iilPiilS6_bb,"axG",@progbits,_ZN9rocsolver6v33100L18getri_kernel_smallILi7E19rocblas_complex_numIfEPS3_EEvT1_iilPiilS6_bb,comdat
	.globl	_ZN9rocsolver6v33100L18getri_kernel_smallILi7E19rocblas_complex_numIfEPS3_EEvT1_iilPiilS6_bb ; -- Begin function _ZN9rocsolver6v33100L18getri_kernel_smallILi7E19rocblas_complex_numIfEPS3_EEvT1_iilPiilS6_bb
	.p2align	8
	.type	_ZN9rocsolver6v33100L18getri_kernel_smallILi7E19rocblas_complex_numIfEPS3_EEvT1_iilPiilS6_bb,@function
_ZN9rocsolver6v33100L18getri_kernel_smallILi7E19rocblas_complex_numIfEPS3_EEvT1_iilPiilS6_bb: ; @_ZN9rocsolver6v33100L18getri_kernel_smallILi7E19rocblas_complex_numIfEPS3_EEvT1_iilPiilS6_bb
; %bb.0:
	s_add_u32 s0, s0, s7
	s_addc_u32 s1, s1, 0
	s_mov_b32 s7, exec_lo
	v_cmpx_gt_u32_e32 7, v0
	s_cbranch_execz .LBB6_42
; %bb.1:
	s_clause 0x2
	s_load_dword s7, s[4:5], 0x38
	s_load_dwordx4 s[16:19], s[4:5], 0x10
	s_load_dwordx4 s[8:11], s[4:5], 0x28
                                        ; implicit-def: $sgpr20_sgpr21
	s_waitcnt lgkmcnt(0)
	s_bitcmp1_b32 s7, 8
	s_cselect_b32 s22, -1, 0
	s_bfe_u32 s12, s7, 0x10008
	s_ashr_i32 s7, s6, 31
	s_cmp_eq_u32 s12, 0
	s_cbranch_scc1 .LBB6_3
; %bb.2:
	s_load_dword s12, s[4:5], 0x20
	s_mul_i32 s13, s8, s7
	s_mul_hi_u32 s14, s8, s6
	s_mul_i32 s9, s9, s6
	s_add_i32 s13, s14, s13
	s_mul_i32 s8, s8, s6
	s_add_i32 s9, s13, s9
	s_lshl_b64 s[8:9], s[8:9], 2
	s_waitcnt lgkmcnt(0)
	s_ashr_i32 s13, s12, 31
	s_add_u32 s14, s18, s8
	s_addc_u32 s15, s19, s9
	s_lshl_b64 s[8:9], s[12:13], 2
	s_add_u32 s20, s14, s8
	s_addc_u32 s21, s15, s9
.LBB6_3:
	s_clause 0x1
	s_load_dwordx4 s[12:15], s[4:5], 0x0
	s_load_dword s18, s[4:5], 0x38
	s_mul_i32 s4, s16, s7
	s_mul_hi_u32 s5, s16, s6
	s_mul_i32 s8, s17, s6
	s_add_i32 s5, s5, s4
	s_mul_i32 s4, s16, s6
	s_add_i32 s5, s5, s8
	v_lshlrev_b32_e32 v17, 3, v0
	s_lshl_b64 s[4:5], s[4:5], 3
	s_waitcnt lgkmcnt(0)
	v_add3_u32 v3, s15, s15, v0
	s_ashr_i32 s9, s14, 31
	s_mov_b32 s8, s14
	s_add_u32 s12, s12, s4
	s_addc_u32 s13, s13, s5
	v_add_nc_u32_e32 v5, s15, v3
	s_lshl_b64 s[4:5], s[8:9], 3
	v_ashrrev_i32_e32 v4, 31, v3
	s_add_u32 s4, s12, s4
	s_addc_u32 s5, s13, s5
	v_ashrrev_i32_e32 v6, 31, v5
	v_add_nc_u32_e32 v9, s15, v5
	v_add_co_u32 v1, s12, s4, v17
	s_mov_b32 s8, s15
	s_ashr_i32 s9, s15, 31
	v_lshlrev_b64 v[7:8], 3, v[3:4]
	v_add_co_ci_u32_e64 v2, null, s5, 0, s12
	s_lshl_b64 s[8:9], s[8:9], 3
	v_lshlrev_b64 v[11:12], 3, v[5:6]
	v_add_nc_u32_e32 v13, s15, v9
	v_add_co_u32 v3, vcc_lo, v1, s8
	v_add_co_ci_u32_e64 v4, null, s9, v2, vcc_lo
	v_add_co_u32 v5, vcc_lo, s4, v7
	v_add_co_ci_u32_e64 v6, null, s5, v8, vcc_lo
	v_add_co_u32 v7, vcc_lo, s4, v11
	v_add_nc_u32_e32 v11, s15, v13
	v_ashrrev_i32_e32 v10, 31, v9
	v_ashrrev_i32_e32 v14, 31, v13
	v_add_co_ci_u32_e64 v8, null, s5, v12, vcc_lo
	v_ashrrev_i32_e32 v12, 31, v11
	v_lshlrev_b64 v[9:10], 3, v[9:10]
	v_lshlrev_b64 v[13:14], 3, v[13:14]
	s_clause 0x3
	global_load_dwordx2 v[15:16], v17, s[4:5]
	global_load_dwordx2 v[18:19], v[3:4], off
	global_load_dwordx2 v[20:21], v[5:6], off
	global_load_dwordx2 v[22:23], v[7:8], off
	v_lshlrev_b64 v[11:12], 3, v[11:12]
	s_bitcmp0_b32 s18, 0
	v_add_co_u32 v9, vcc_lo, s4, v9
	v_add_co_ci_u32_e64 v10, null, s5, v10, vcc_lo
	v_add_co_u32 v13, vcc_lo, s4, v13
	v_add_co_ci_u32_e64 v14, null, s5, v14, vcc_lo
	;; [unrolled: 2-line block ×3, first 2 shown]
	s_clause 0x2
	global_load_dwordx2 v[24:25], v[9:10], off
	global_load_dwordx2 v[26:27], v[13:14], off
	;; [unrolled: 1-line block ×3, first 2 shown]
	s_mov_b32 s5, -1
	s_waitcnt vmcnt(6)
	buffer_store_dword v16, off, s[0:3], 0 offset:4
	buffer_store_dword v15, off, s[0:3], 0
	s_waitcnt vmcnt(5)
	buffer_store_dword v19, off, s[0:3], 0 offset:12
	buffer_store_dword v18, off, s[0:3], 0 offset:8
	s_waitcnt vmcnt(4)
	buffer_store_dword v21, off, s[0:3], 0 offset:20
	buffer_store_dword v20, off, s[0:3], 0 offset:16
	;; [unrolled: 3-line block ×6, first 2 shown]
	s_cbranch_scc1 .LBB6_40
; %bb.4:
	v_cmp_eq_u32_e64 s4, 0, v0
	s_and_saveexec_b32 s5, s4
; %bb.5:
	v_mov_b32_e32 v15, 0
	ds_write_b32 v15, v15 offset:56
; %bb.6:
	s_or_b32 exec_lo, exec_lo, s5
	v_lshl_add_u32 v19, v0, 3, 0
	s_waitcnt lgkmcnt(0)
	s_waitcnt_vscnt null, 0x0
	s_barrier
	buffer_gl0_inv
	s_clause 0x1
	buffer_load_dword v15, v19, s[0:3], 0 offen
	buffer_load_dword v16, v19, s[0:3], 0 offen offset:4
	s_waitcnt vmcnt(1)
	v_cmp_eq_f32_e32 vcc_lo, 0, v15
	s_waitcnt vmcnt(0)
	v_cmp_eq_f32_e64 s5, 0, v16
	s_and_b32 s5, vcc_lo, s5
	s_and_saveexec_b32 s8, s5
	s_cbranch_execz .LBB6_10
; %bb.7:
	v_mov_b32_e32 v15, 0
	s_mov_b32 s9, 0
	ds_read_b32 v16, v15 offset:56
	s_waitcnt lgkmcnt(0)
	v_readfirstlane_b32 s5, v16
	v_add_nc_u32_e32 v16, 1, v0
	s_cmp_eq_u32 s5, 0
	v_cmp_gt_i32_e32 vcc_lo, s5, v16
	s_cselect_b32 s12, -1, 0
	s_or_b32 s12, s12, vcc_lo
	s_and_b32 exec_lo, exec_lo, s12
	s_cbranch_execz .LBB6_10
; %bb.8:
	v_mov_b32_e32 v18, s5
.LBB6_9:                                ; =>This Inner Loop Header: Depth=1
	ds_cmpst_rtn_b32 v18, v15, v18, v16 offset:56
	s_waitcnt lgkmcnt(0)
	v_cmp_ne_u32_e32 vcc_lo, 0, v18
	v_cmp_le_i32_e64 s5, v18, v16
	s_and_b32 s5, vcc_lo, s5
	s_and_b32 s5, exec_lo, s5
	s_or_b32 s9, s5, s9
	s_andn2_b32 exec_lo, exec_lo, s9
	s_cbranch_execnz .LBB6_9
.LBB6_10:
	s_or_b32 exec_lo, exec_lo, s8
	v_mov_b32_e32 v15, 0
	s_barrier
	buffer_gl0_inv
	ds_read_b32 v16, v15 offset:56
	s_and_saveexec_b32 s5, s4
	s_cbranch_execz .LBB6_12
; %bb.11:
	s_lshl_b64 s[8:9], s[6:7], 2
	s_add_u32 s8, s10, s8
	s_addc_u32 s9, s11, s9
	s_waitcnt lgkmcnt(0)
	global_store_dword v15, v16, s[8:9]
.LBB6_12:
	s_or_b32 exec_lo, exec_lo, s5
	s_waitcnt lgkmcnt(0)
	v_cmp_ne_u32_e32 vcc_lo, 0, v16
	s_mov_b32 s5, 0
	s_cbranch_vccnz .LBB6_40
; %bb.13:
	s_clause 0x1
	buffer_load_dword v16, v19, s[0:3], 0 offen
	buffer_load_dword v18, v19, s[0:3], 0 offen offset:4
                                        ; implicit-def: $vgpr21
                                        ; implicit-def: $vgpr20
                                        ; implicit-def: $vgpr15
	s_waitcnt vmcnt(0)
	v_cmp_ngt_f32_e64 s5, |v16|, |v18|
	s_and_saveexec_b32 s8, s5
	s_xor_b32 s5, exec_lo, s8
	s_cbranch_execz .LBB6_15
; %bb.14:
	v_div_scale_f32 v15, null, v18, v18, v16
	v_div_scale_f32 v22, vcc_lo, v16, v18, v16
	v_rcp_f32_e32 v20, v15
	v_fma_f32 v21, -v15, v20, 1.0
	v_fmac_f32_e32 v20, v21, v20
	v_mul_f32_e32 v21, v22, v20
	v_fma_f32 v23, -v15, v21, v22
	v_fmac_f32_e32 v21, v23, v20
	v_fma_f32 v15, -v15, v21, v22
	v_div_fmas_f32 v15, v15, v20, v21
	v_div_fixup_f32 v15, v15, v18, v16
	v_fmac_f32_e32 v18, v16, v15
	v_div_scale_f32 v16, null, v18, v18, 1.0
	v_rcp_f32_e32 v20, v16
	v_fma_f32 v21, -v16, v20, 1.0
	v_fmac_f32_e32 v20, v21, v20
	v_div_scale_f32 v21, vcc_lo, 1.0, v18, 1.0
	v_mul_f32_e32 v22, v21, v20
	v_fma_f32 v23, -v16, v22, v21
	v_fmac_f32_e32 v22, v23, v20
	v_fma_f32 v16, -v16, v22, v21
	v_div_fmas_f32 v16, v16, v20, v22
	v_div_fixup_f32 v16, v16, v18, 1.0
                                        ; implicit-def: $vgpr18
	v_mul_f32_e32 v21, v15, v16
	v_xor_b32_e32 v20, 0x80000000, v16
                                        ; implicit-def: $vgpr16
	v_xor_b32_e32 v15, 0x80000000, v21
.LBB6_15:
	s_andn2_saveexec_b32 s5, s5
	s_cbranch_execz .LBB6_17
; %bb.16:
	v_div_scale_f32 v15, null, v16, v16, v18
	v_div_scale_f32 v22, vcc_lo, v18, v16, v18
	v_rcp_f32_e32 v20, v15
	v_fma_f32 v21, -v15, v20, 1.0
	v_fmac_f32_e32 v20, v21, v20
	v_mul_f32_e32 v21, v22, v20
	v_fma_f32 v23, -v15, v21, v22
	v_fmac_f32_e32 v21, v23, v20
	v_fma_f32 v15, -v15, v21, v22
	v_div_fmas_f32 v15, v15, v20, v21
	v_div_fixup_f32 v20, v15, v16, v18
	v_fmac_f32_e32 v16, v18, v20
	v_div_scale_f32 v15, null, v16, v16, 1.0
	v_div_scale_f32 v22, vcc_lo, 1.0, v16, 1.0
	v_rcp_f32_e32 v18, v15
	v_fma_f32 v21, -v15, v18, 1.0
	v_fmac_f32_e32 v18, v21, v18
	v_mul_f32_e32 v21, v22, v18
	v_fma_f32 v23, -v15, v21, v22
	v_fmac_f32_e32 v21, v23, v18
	v_fma_f32 v15, -v15, v21, v22
	v_div_fmas_f32 v15, v15, v18, v21
	v_div_fixup_f32 v21, v15, v16, 1.0
	v_xor_b32_e32 v15, 0x80000000, v21
	v_mul_f32_e64 v20, v20, -v21
.LBB6_17:
	s_or_b32 exec_lo, exec_lo, s5
	buffer_store_dword v21, v19, s[0:3], 0 offen
	buffer_store_dword v20, v19, s[0:3], 0 offen offset:4
	s_clause 0x1
	buffer_load_dword v22, off, s[0:3], 0 offset:12
	buffer_load_dword v21, off, s[0:3], 0 offset:8
	v_xor_b32_e32 v16, 0x80000000, v20
	v_add_nc_u32_e32 v18, 64, v17
	s_waitcnt vmcnt(0)
	ds_write2_b64 v17, v[15:16], v[21:22] offset1:8
	s_waitcnt lgkmcnt(0)
	s_waitcnt_vscnt null, 0x0
	s_barrier
	buffer_gl0_inv
	s_and_saveexec_b32 s5, s4
	s_cbranch_execz .LBB6_19
; %bb.18:
	s_clause 0x1
	buffer_load_dword v22, v19, s[0:3], 0 offen offset:4
	buffer_load_dword v23, v19, s[0:3], 0 offen
	ds_read_b64 v[15:16], v18
	v_mov_b32_e32 v20, 0
	ds_read_b64 v[20:21], v20 offset:8
	s_waitcnt vmcnt(1) lgkmcnt(1)
	v_mul_f32_e32 v24, v15, v22
	v_mul_f32_e32 v22, v16, v22
	s_waitcnt vmcnt(0)
	v_fmac_f32_e32 v24, v16, v23
	v_fma_f32 v15, v15, v23, -v22
	v_add_f32_e32 v16, 0, v24
	v_add_f32_e32 v15, 0, v15
	s_waitcnt lgkmcnt(0)
	v_mul_f32_e32 v22, v16, v21
	v_mul_f32_e32 v21, v15, v21
	v_fma_f32 v15, v15, v20, -v22
	v_fmac_f32_e32 v21, v16, v20
	buffer_store_dword v15, off, s[0:3], 0 offset:8
	buffer_store_dword v21, off, s[0:3], 0 offset:12
.LBB6_19:
	s_or_b32 exec_lo, exec_lo, s5
	s_waitcnt_vscnt null, 0x0
	s_barrier
	buffer_gl0_inv
	s_clause 0x1
	buffer_load_dword v15, off, s[0:3], 0 offset:16
	buffer_load_dword v16, off, s[0:3], 0 offset:20
	s_mov_b32 s5, exec_lo
	s_waitcnt vmcnt(0)
	ds_write_b64 v18, v[15:16]
	s_waitcnt lgkmcnt(0)
	s_barrier
	buffer_gl0_inv
	v_cmpx_gt_u32_e32 2, v0
	s_cbranch_execz .LBB6_23
; %bb.20:
	s_clause 0x1
	buffer_load_dword v20, v19, s[0:3], 0 offen offset:4
	buffer_load_dword v19, v19, s[0:3], 0 offen
	ds_read_b64 v[15:16], v18
	s_waitcnt vmcnt(1) lgkmcnt(0)
	v_mul_f32_e32 v21, v16, v20
	v_mul_f32_e32 v20, v15, v20
	s_waitcnt vmcnt(0)
	v_fma_f32 v15, v15, v19, -v21
	v_fmac_f32_e32 v20, v16, v19
	v_add_f32_e32 v16, 0, v15
	v_add_f32_e32 v15, 0, v20
	s_and_saveexec_b32 s8, s4
	s_cbranch_execz .LBB6_22
; %bb.21:
	s_clause 0x1
	buffer_load_dword v21, off, s[0:3], 0 offset:12
	buffer_load_dword v22, off, s[0:3], 0 offset:8
	v_mov_b32_e32 v19, 0
	ds_read_b64 v[19:20], v19 offset:72
	s_waitcnt vmcnt(1) lgkmcnt(0)
	v_mul_f32_e32 v23, v19, v21
	v_mul_f32_e32 v21, v20, v21
	s_waitcnt vmcnt(0)
	v_fmac_f32_e32 v23, v20, v22
	v_fma_f32 v19, v19, v22, -v21
	v_add_f32_e32 v15, v15, v23
	v_add_f32_e32 v16, v16, v19
.LBB6_22:
	s_or_b32 exec_lo, exec_lo, s8
	v_mov_b32_e32 v19, 0
	ds_read_b64 v[19:20], v19 offset:16
	s_waitcnt lgkmcnt(0)
	v_mul_f32_e32 v21, v15, v20
	v_mul_f32_e32 v20, v16, v20
	v_fma_f32 v16, v16, v19, -v21
	v_fmac_f32_e32 v20, v15, v19
	buffer_store_dword v16, off, s[0:3], 0 offset:16
	buffer_store_dword v20, off, s[0:3], 0 offset:20
.LBB6_23:
	s_or_b32 exec_lo, exec_lo, s5
	s_waitcnt_vscnt null, 0x0
	s_barrier
	buffer_gl0_inv
	s_clause 0x1
	buffer_load_dword v19, off, s[0:3], 0 offset:24
	buffer_load_dword v20, off, s[0:3], 0 offset:28
	v_add_nc_u32_e32 v15, -1, v0
	s_mov_b32 s4, exec_lo
	s_waitcnt vmcnt(0)
	ds_write_b64 v18, v[19:20]
	s_waitcnt lgkmcnt(0)
	s_barrier
	buffer_gl0_inv
	v_cmpx_gt_u32_e32 3, v0
	s_cbranch_execz .LBB6_27
; %bb.24:
	v_add_nc_u32_e32 v19, -1, v0
	v_add_nc_u32_e32 v20, 64, v17
	v_mov_b32_e32 v21, v17
	v_mov_b32_e32 v16, 0
	;; [unrolled: 1-line block ×3, first 2 shown]
	s_mov_b32 s5, 0
	.p2align	6
.LBB6_25:                               ; =>This Inner Loop Header: Depth=1
	s_clause 0x1
	buffer_load_dword v25, v21, s[0:3], 0 offen offset:4
	buffer_load_dword v26, v21, s[0:3], 0 offen
	ds_read_b64 v[23:24], v20
	v_add_nc_u32_e32 v19, 1, v19
	v_add_nc_u32_e32 v20, 8, v20
	;; [unrolled: 1-line block ×3, first 2 shown]
	v_cmp_lt_u32_e32 vcc_lo, 1, v19
	s_or_b32 s5, vcc_lo, s5
	s_waitcnt vmcnt(1) lgkmcnt(0)
	v_mul_f32_e32 v27, v24, v25
	v_mul_f32_e32 v25, v23, v25
	s_waitcnt vmcnt(0)
	v_fma_f32 v23, v23, v26, -v27
	v_fmac_f32_e32 v25, v24, v26
	v_add_f32_e32 v22, v22, v23
	v_add_f32_e32 v16, v16, v25
	s_andn2_b32 exec_lo, exec_lo, s5
	s_cbranch_execnz .LBB6_25
; %bb.26:
	s_or_b32 exec_lo, exec_lo, s5
	v_mov_b32_e32 v19, 0
	ds_read_b64 v[19:20], v19 offset:24
	s_waitcnt lgkmcnt(0)
	v_mul_f32_e32 v21, v16, v20
	v_mul_f32_e32 v20, v22, v20
	v_fma_f32 v21, v22, v19, -v21
	v_fmac_f32_e32 v20, v16, v19
	buffer_store_dword v21, off, s[0:3], 0 offset:24
	buffer_store_dword v20, off, s[0:3], 0 offset:28
.LBB6_27:
	s_or_b32 exec_lo, exec_lo, s4
	s_waitcnt_vscnt null, 0x0
	s_barrier
	buffer_gl0_inv
	s_clause 0x1
	buffer_load_dword v19, off, s[0:3], 0 offset:32
	buffer_load_dword v20, off, s[0:3], 0 offset:36
	s_mov_b32 s4, exec_lo
	s_waitcnt vmcnt(0)
	ds_write_b64 v18, v[19:20]
	s_waitcnt lgkmcnt(0)
	s_barrier
	buffer_gl0_inv
	v_cmpx_gt_u32_e32 4, v0
	s_cbranch_execz .LBB6_31
; %bb.28:
	v_add_nc_u32_e32 v19, -1, v0
	v_add_nc_u32_e32 v20, 64, v17
	v_mov_b32_e32 v21, v17
	v_mov_b32_e32 v16, 0
	;; [unrolled: 1-line block ×3, first 2 shown]
	s_mov_b32 s5, 0
	.p2align	6
.LBB6_29:                               ; =>This Inner Loop Header: Depth=1
	s_clause 0x1
	buffer_load_dword v25, v21, s[0:3], 0 offen offset:4
	buffer_load_dword v26, v21, s[0:3], 0 offen
	ds_read_b64 v[23:24], v20
	v_add_nc_u32_e32 v19, 1, v19
	v_add_nc_u32_e32 v20, 8, v20
	;; [unrolled: 1-line block ×3, first 2 shown]
	v_cmp_lt_u32_e32 vcc_lo, 2, v19
	s_or_b32 s5, vcc_lo, s5
	s_waitcnt vmcnt(1) lgkmcnt(0)
	v_mul_f32_e32 v27, v24, v25
	v_mul_f32_e32 v25, v23, v25
	s_waitcnt vmcnt(0)
	v_fma_f32 v23, v23, v26, -v27
	v_fmac_f32_e32 v25, v24, v26
	v_add_f32_e32 v22, v22, v23
	v_add_f32_e32 v16, v16, v25
	s_andn2_b32 exec_lo, exec_lo, s5
	s_cbranch_execnz .LBB6_29
; %bb.30:
	s_or_b32 exec_lo, exec_lo, s5
	v_mov_b32_e32 v19, 0
	ds_read_b64 v[19:20], v19 offset:32
	s_waitcnt lgkmcnt(0)
	v_mul_f32_e32 v21, v16, v20
	v_mul_f32_e32 v20, v22, v20
	v_fma_f32 v21, v22, v19, -v21
	v_fmac_f32_e32 v20, v16, v19
	buffer_store_dword v21, off, s[0:3], 0 offset:32
	buffer_store_dword v20, off, s[0:3], 0 offset:36
.LBB6_31:
	s_or_b32 exec_lo, exec_lo, s4
	s_waitcnt_vscnt null, 0x0
	s_barrier
	buffer_gl0_inv
	s_clause 0x1
	buffer_load_dword v19, off, s[0:3], 0 offset:40
	buffer_load_dword v20, off, s[0:3], 0 offset:44
	s_mov_b32 s4, exec_lo
	s_waitcnt vmcnt(0)
	ds_write_b64 v18, v[19:20]
	s_waitcnt lgkmcnt(0)
	s_barrier
	buffer_gl0_inv
	v_cmpx_gt_u32_e32 5, v0
	s_cbranch_execz .LBB6_35
; %bb.32:
	v_add_nc_u32_e32 v19, -1, v0
	v_add_nc_u32_e32 v20, 64, v17
	v_mov_b32_e32 v21, v17
	v_mov_b32_e32 v16, 0
	;; [unrolled: 1-line block ×3, first 2 shown]
	s_mov_b32 s5, 0
	.p2align	6
.LBB6_33:                               ; =>This Inner Loop Header: Depth=1
	s_clause 0x1
	buffer_load_dword v25, v21, s[0:3], 0 offen offset:4
	buffer_load_dword v26, v21, s[0:3], 0 offen
	ds_read_b64 v[23:24], v20
	v_add_nc_u32_e32 v19, 1, v19
	v_add_nc_u32_e32 v20, 8, v20
	;; [unrolled: 1-line block ×3, first 2 shown]
	v_cmp_lt_u32_e32 vcc_lo, 3, v19
	s_or_b32 s5, vcc_lo, s5
	s_waitcnt vmcnt(1) lgkmcnt(0)
	v_mul_f32_e32 v27, v24, v25
	v_mul_f32_e32 v25, v23, v25
	s_waitcnt vmcnt(0)
	v_fma_f32 v23, v23, v26, -v27
	v_fmac_f32_e32 v25, v24, v26
	v_add_f32_e32 v22, v22, v23
	v_add_f32_e32 v16, v16, v25
	s_andn2_b32 exec_lo, exec_lo, s5
	s_cbranch_execnz .LBB6_33
; %bb.34:
	s_or_b32 exec_lo, exec_lo, s5
	v_mov_b32_e32 v19, 0
	ds_read_b64 v[19:20], v19 offset:40
	s_waitcnt lgkmcnt(0)
	v_mul_f32_e32 v21, v16, v20
	v_mul_f32_e32 v20, v22, v20
	v_fma_f32 v21, v22, v19, -v21
	v_fmac_f32_e32 v20, v16, v19
	buffer_store_dword v21, off, s[0:3], 0 offset:40
	buffer_store_dword v20, off, s[0:3], 0 offset:44
.LBB6_35:
	s_or_b32 exec_lo, exec_lo, s4
	s_waitcnt_vscnt null, 0x0
	s_barrier
	buffer_gl0_inv
	s_clause 0x1
	buffer_load_dword v19, off, s[0:3], 0 offset:48
	buffer_load_dword v20, off, s[0:3], 0 offset:52
	s_mov_b32 s4, exec_lo
	s_waitcnt vmcnt(0)
	ds_write_b64 v18, v[19:20]
	s_waitcnt lgkmcnt(0)
	s_barrier
	buffer_gl0_inv
	v_cmpx_ne_u32_e32 6, v0
	s_cbranch_execz .LBB6_39
; %bb.36:
	v_mov_b32_e32 v16, 0
	v_mov_b32_e32 v19, 0
	s_mov_b32 s5, 0
	.p2align	6
.LBB6_37:                               ; =>This Inner Loop Header: Depth=1
	s_clause 0x1
	buffer_load_dword v22, v17, s[0:3], 0 offen offset:4
	buffer_load_dword v23, v17, s[0:3], 0 offen
	ds_read_b64 v[20:21], v18
	v_add_nc_u32_e32 v15, 1, v15
	v_add_nc_u32_e32 v18, 8, v18
	;; [unrolled: 1-line block ×3, first 2 shown]
	v_cmp_lt_u32_e32 vcc_lo, 4, v15
	s_or_b32 s5, vcc_lo, s5
	s_waitcnt vmcnt(1) lgkmcnt(0)
	v_mul_f32_e32 v24, v21, v22
	v_mul_f32_e32 v22, v20, v22
	s_waitcnt vmcnt(0)
	v_fma_f32 v20, v20, v23, -v24
	v_fmac_f32_e32 v22, v21, v23
	v_add_f32_e32 v19, v19, v20
	v_add_f32_e32 v16, v16, v22
	s_andn2_b32 exec_lo, exec_lo, s5
	s_cbranch_execnz .LBB6_37
; %bb.38:
	s_or_b32 exec_lo, exec_lo, s5
	v_mov_b32_e32 v15, 0
	ds_read_b64 v[17:18], v15 offset:48
	s_waitcnt lgkmcnt(0)
	v_mul_f32_e32 v15, v16, v18
	v_mul_f32_e32 v18, v19, v18
	v_fma_f32 v15, v19, v17, -v15
	v_fmac_f32_e32 v18, v16, v17
	buffer_store_dword v15, off, s[0:3], 0 offset:48
	buffer_store_dword v18, off, s[0:3], 0 offset:52
.LBB6_39:
	s_or_b32 exec_lo, exec_lo, s4
	s_mov_b32 s5, -1
	s_waitcnt_vscnt null, 0x0
	s_barrier
	buffer_gl0_inv
.LBB6_40:
	s_and_b32 vcc_lo, exec_lo, s5
	s_cbranch_vccz .LBB6_42
; %bb.41:
	s_lshl_b64 s[4:5], s[6:7], 2
	v_mov_b32_e32 v15, 0
	s_add_u32 s4, s10, s4
	s_addc_u32 s5, s11, s5
	global_load_dword v15, v15, s[4:5]
	s_waitcnt vmcnt(0)
	v_cmp_ne_u32_e32 vcc_lo, 0, v15
	s_cbranch_vccz .LBB6_43
.LBB6_42:
	s_endpgm
.LBB6_43:
	v_lshl_add_u32 v15, v0, 3, 64
	s_mov_b32 s4, exec_lo
	v_cmpx_eq_u32_e32 6, v0
	s_cbranch_execz .LBB6_45
; %bb.44:
	s_clause 0x1
	buffer_load_dword v16, off, s[0:3], 0 offset:40
	buffer_load_dword v17, off, s[0:3], 0 offset:44
	v_mov_b32_e32 v18, 0
	buffer_store_dword v18, off, s[0:3], 0 offset:40
	buffer_store_dword v18, off, s[0:3], 0 offset:44
	s_waitcnt vmcnt(0)
	ds_write_b64 v15, v[16:17]
.LBB6_45:
	s_or_b32 exec_lo, exec_lo, s4
	s_waitcnt lgkmcnt(0)
	s_waitcnt_vscnt null, 0x0
	s_barrier
	buffer_gl0_inv
	s_clause 0x3
	buffer_load_dword v19, off, s[0:3], 0 offset:52
	buffer_load_dword v20, off, s[0:3], 0 offset:48
	;; [unrolled: 1-line block ×4, first 2 shown]
	v_mov_b32_e32 v16, 0
	s_mov_b32 s4, exec_lo
	ds_read_b64 v[17:18], v16 offset:112
	s_waitcnt vmcnt(3) lgkmcnt(0)
	v_mul_f32_e32 v23, v18, v19
	v_mul_f32_e32 v19, v17, v19
	s_waitcnt vmcnt(2)
	v_fma_f32 v17, v17, v20, -v23
	v_fmac_f32_e32 v19, v18, v20
	v_add_f32_e32 v17, 0, v17
	v_add_f32_e32 v18, 0, v19
	s_waitcnt vmcnt(1)
	v_sub_f32_e32 v17, v21, v17
	s_waitcnt vmcnt(0)
	v_sub_f32_e32 v18, v22, v18
	buffer_store_dword v17, off, s[0:3], 0 offset:40
	buffer_store_dword v18, off, s[0:3], 0 offset:44
	v_cmpx_lt_u32_e32 4, v0
	s_cbranch_execz .LBB6_47
; %bb.46:
	s_clause 0x1
	buffer_load_dword v17, off, s[0:3], 0 offset:32
	buffer_load_dword v18, off, s[0:3], 0 offset:36
	buffer_store_dword v16, off, s[0:3], 0 offset:32
	buffer_store_dword v16, off, s[0:3], 0 offset:36
	s_waitcnt vmcnt(0)
	ds_write_b64 v15, v[17:18]
.LBB6_47:
	s_or_b32 exec_lo, exec_lo, s4
	s_waitcnt lgkmcnt(0)
	s_waitcnt_vscnt null, 0x0
	s_barrier
	buffer_gl0_inv
	s_clause 0x5
	buffer_load_dword v20, off, s[0:3], 0 offset:44
	buffer_load_dword v21, off, s[0:3], 0 offset:52
	;; [unrolled: 1-line block ×6, first 2 shown]
	ds_read2_b64 v[16:19], v16 offset0:13 offset1:14
	s_mov_b32 s4, exec_lo
	s_waitcnt vmcnt(5) lgkmcnt(0)
	v_mul_f32_e32 v26, v17, v20
	v_mul_f32_e32 v20, v16, v20
	s_waitcnt vmcnt(4)
	v_mul_f32_e32 v27, v18, v21
	v_mul_f32_e32 v21, v19, v21
	s_waitcnt vmcnt(3)
	v_fma_f32 v16, v16, v22, -v26
	v_fmac_f32_e32 v20, v17, v22
	s_waitcnt vmcnt(2)
	v_fmac_f32_e32 v27, v19, v23
	v_fma_f32 v17, v18, v23, -v21
	v_add_f32_e32 v16, 0, v16
	v_add_f32_e32 v18, 0, v20
	;; [unrolled: 1-line block ×4, first 2 shown]
	s_waitcnt vmcnt(1)
	v_sub_f32_e32 v16, v24, v16
	s_waitcnt vmcnt(0)
	v_sub_f32_e32 v17, v25, v17
	buffer_store_dword v16, off, s[0:3], 0 offset:32
	buffer_store_dword v17, off, s[0:3], 0 offset:36
	v_cmpx_lt_u32_e32 3, v0
	s_cbranch_execz .LBB6_49
; %bb.48:
	s_clause 0x1
	buffer_load_dword v16, off, s[0:3], 0 offset:24
	buffer_load_dword v17, off, s[0:3], 0 offset:28
	v_mov_b32_e32 v18, 0
	buffer_store_dword v18, off, s[0:3], 0 offset:24
	buffer_store_dword v18, off, s[0:3], 0 offset:28
	s_waitcnt vmcnt(0)
	ds_write_b64 v15, v[16:17]
.LBB6_49:
	s_or_b32 exec_lo, exec_lo, s4
	s_waitcnt lgkmcnt(0)
	s_waitcnt_vscnt null, 0x0
	s_barrier
	buffer_gl0_inv
	s_clause 0x7
	buffer_load_dword v23, off, s[0:3], 0 offset:36
	buffer_load_dword v24, off, s[0:3], 0 offset:44
	;; [unrolled: 1-line block ×8, first 2 shown]
	v_mov_b32_e32 v16, 0
	ds_read_b128 v[17:20], v16 offset:96
	ds_read_b64 v[21:22], v16 offset:112
	s_mov_b32 s4, exec_lo
	s_waitcnt vmcnt(7) lgkmcnt(1)
	v_mul_f32_e32 v31, v18, v23
	v_mul_f32_e32 v23, v17, v23
	s_waitcnt vmcnt(6)
	v_mul_f32_e32 v32, v19, v24
	v_mul_f32_e32 v24, v20, v24
	s_waitcnt vmcnt(5) lgkmcnt(0)
	v_mul_f32_e32 v33, v21, v25
	s_waitcnt vmcnt(4)
	v_fma_f32 v17, v17, v26, -v31
	v_fmac_f32_e32 v23, v18, v26
	v_mul_f32_e32 v18, v22, v25
	s_waitcnt vmcnt(3)
	v_fma_f32 v19, v19, v27, -v24
	v_fmac_f32_e32 v32, v20, v27
	v_add_f32_e32 v17, 0, v17
	v_add_f32_e32 v20, 0, v23
	s_waitcnt vmcnt(2)
	v_fma_f32 v18, v21, v28, -v18
	v_fmac_f32_e32 v33, v22, v28
	v_add_f32_e32 v17, v17, v19
	v_add_f32_e32 v19, v20, v32
	;; [unrolled: 1-line block ×4, first 2 shown]
	s_waitcnt vmcnt(1)
	v_sub_f32_e32 v17, v29, v17
	s_waitcnt vmcnt(0)
	v_sub_f32_e32 v18, v30, v18
	buffer_store_dword v17, off, s[0:3], 0 offset:24
	buffer_store_dword v18, off, s[0:3], 0 offset:28
	v_cmpx_lt_u32_e32 2, v0
	s_cbranch_execz .LBB6_51
; %bb.50:
	s_clause 0x1
	buffer_load_dword v17, off, s[0:3], 0 offset:16
	buffer_load_dword v18, off, s[0:3], 0 offset:20
	buffer_store_dword v16, off, s[0:3], 0 offset:16
	buffer_store_dword v16, off, s[0:3], 0 offset:20
	s_waitcnt vmcnt(0)
	ds_write_b64 v15, v[17:18]
.LBB6_51:
	s_or_b32 exec_lo, exec_lo, s4
	s_waitcnt lgkmcnt(0)
	s_waitcnt_vscnt null, 0x0
	s_barrier
	buffer_gl0_inv
	s_clause 0x9
	buffer_load_dword v25, off, s[0:3], 0 offset:28
	buffer_load_dword v26, off, s[0:3], 0 offset:36
	buffer_load_dword v27, off, s[0:3], 0 offset:44
	buffer_load_dword v28, off, s[0:3], 0 offset:52
	buffer_load_dword v29, off, s[0:3], 0 offset:24
	buffer_load_dword v30, off, s[0:3], 0 offset:32
	buffer_load_dword v31, off, s[0:3], 0 offset:40
	buffer_load_dword v32, off, s[0:3], 0 offset:48
	buffer_load_dword v33, off, s[0:3], 0 offset:16
	buffer_load_dword v34, off, s[0:3], 0 offset:20
	ds_read2_b64 v[17:20], v16 offset0:11 offset1:12
	ds_read2_b64 v[21:24], v16 offset0:13 offset1:14
	s_mov_b32 s4, exec_lo
	s_waitcnt vmcnt(9) lgkmcnt(1)
	v_mul_f32_e32 v16, v17, v25
	v_mul_f32_e32 v25, v18, v25
	s_waitcnt vmcnt(8)
	v_mul_f32_e32 v35, v19, v26
	v_mul_f32_e32 v26, v20, v26
	s_waitcnt vmcnt(7) lgkmcnt(0)
	v_mul_f32_e32 v36, v21, v27
	s_waitcnt vmcnt(5)
	v_fmac_f32_e32 v16, v18, v29
	v_fma_f32 v17, v17, v29, -v25
	v_mul_f32_e32 v18, v22, v27
	s_waitcnt vmcnt(4)
	v_fma_f32 v19, v19, v30, -v26
	v_fmac_f32_e32 v35, v20, v30
	v_add_f32_e32 v16, 0, v16
	v_add_f32_e32 v17, 0, v17
	v_mul_f32_e32 v20, v24, v28
	s_waitcnt vmcnt(3)
	v_fma_f32 v18, v21, v31, -v18
	v_mul_f32_e32 v37, v23, v28
	v_fmac_f32_e32 v36, v22, v31
	v_add_f32_e32 v17, v17, v19
	v_add_f32_e32 v16, v16, v35
	s_waitcnt vmcnt(2)
	v_fma_f32 v19, v23, v32, -v20
	v_fmac_f32_e32 v37, v24, v32
	v_add_f32_e32 v17, v17, v18
	v_add_f32_e32 v16, v16, v36
	;; [unrolled: 1-line block ×4, first 2 shown]
	s_waitcnt vmcnt(1)
	v_sub_f32_e32 v17, v33, v17
	s_waitcnt vmcnt(0)
	v_sub_f32_e32 v16, v34, v16
	buffer_store_dword v17, off, s[0:3], 0 offset:16
	buffer_store_dword v16, off, s[0:3], 0 offset:20
	v_cmpx_lt_u32_e32 1, v0
	s_cbranch_execz .LBB6_53
; %bb.52:
	s_clause 0x1
	buffer_load_dword v16, off, s[0:3], 0 offset:8
	buffer_load_dword v17, off, s[0:3], 0 offset:12
	v_mov_b32_e32 v18, 0
	buffer_store_dword v18, off, s[0:3], 0 offset:8
	buffer_store_dword v18, off, s[0:3], 0 offset:12
	s_waitcnt vmcnt(0)
	ds_write_b64 v15, v[16:17]
.LBB6_53:
	s_or_b32 exec_lo, exec_lo, s4
	s_waitcnt lgkmcnt(0)
	s_waitcnt_vscnt null, 0x0
	s_barrier
	buffer_gl0_inv
	s_clause 0xb
	buffer_load_dword v27, off, s[0:3], 0 offset:20
	buffer_load_dword v28, off, s[0:3], 0 offset:28
	;; [unrolled: 1-line block ×12, first 2 shown]
	v_mov_b32_e32 v16, 0
	ds_read_b128 v[17:20], v16 offset:80
	ds_read_b128 v[21:24], v16 offset:96
	ds_read_b64 v[25:26], v16 offset:112
	s_mov_b32 s4, exec_lo
	s_waitcnt vmcnt(11) lgkmcnt(2)
	v_mul_f32_e32 v39, v17, v27
	v_mul_f32_e32 v27, v18, v27
	s_waitcnt vmcnt(10)
	v_mul_f32_e32 v40, v19, v28
	v_mul_f32_e32 v28, v20, v28
	s_waitcnt vmcnt(9) lgkmcnt(1)
	v_mul_f32_e32 v41, v21, v29
	s_waitcnt vmcnt(6)
	v_fmac_f32_e32 v39, v18, v32
	v_fma_f32 v17, v17, v32, -v27
	v_mul_f32_e32 v18, v22, v29
	s_waitcnt vmcnt(5)
	v_fma_f32 v19, v19, v33, -v28
	v_fmac_f32_e32 v40, v20, v33
	v_add_f32_e32 v20, 0, v39
	v_add_f32_e32 v17, 0, v17
	v_mul_f32_e32 v27, v24, v30
	s_waitcnt vmcnt(4)
	v_fma_f32 v18, v21, v34, -v18
	v_mul_f32_e32 v42, v23, v30
	v_fmac_f32_e32 v41, v22, v34
	v_add_f32_e32 v17, v17, v19
	v_add_f32_e32 v19, v20, v40
	s_waitcnt lgkmcnt(0)
	v_mul_f32_e32 v20, v26, v31
	s_waitcnt vmcnt(3)
	v_fma_f32 v21, v23, v35, -v27
	v_mul_f32_e32 v43, v25, v31
	v_add_f32_e32 v17, v17, v18
	v_fmac_f32_e32 v42, v24, v35
	v_add_f32_e32 v18, v19, v41
	s_waitcnt vmcnt(2)
	v_fma_f32 v19, v25, v36, -v20
	v_fmac_f32_e32 v43, v26, v36
	v_add_f32_e32 v17, v17, v21
	v_add_f32_e32 v18, v18, v42
	;; [unrolled: 1-line block ×4, first 2 shown]
	s_waitcnt vmcnt(1)
	v_sub_f32_e32 v17, v37, v17
	s_waitcnt vmcnt(0)
	v_sub_f32_e32 v18, v38, v18
	buffer_store_dword v17, off, s[0:3], 0 offset:8
	buffer_store_dword v18, off, s[0:3], 0 offset:12
	v_cmpx_ne_u32_e32 0, v0
	s_cbranch_execz .LBB6_55
; %bb.54:
	s_clause 0x1
	buffer_load_dword v17, off, s[0:3], 0
	buffer_load_dword v18, off, s[0:3], 0 offset:4
	buffer_store_dword v16, off, s[0:3], 0
	buffer_store_dword v16, off, s[0:3], 0 offset:4
	s_waitcnt vmcnt(0)
	ds_write_b64 v15, v[17:18]
.LBB6_55:
	s_or_b32 exec_lo, exec_lo, s4
	s_waitcnt lgkmcnt(0)
	s_waitcnt_vscnt null, 0x0
	s_barrier
	buffer_gl0_inv
	s_clause 0xd
	buffer_load_dword v29, off, s[0:3], 0 offset:12
	buffer_load_dword v30, off, s[0:3], 0 offset:20
	;; [unrolled: 1-line block ×12, first 2 shown]
	buffer_load_dword v39, off, s[0:3], 0
	buffer_load_dword v40, off, s[0:3], 0 offset:4
	ds_read2_b64 v[17:20], v16 offset0:9 offset1:10
	ds_read2_b64 v[21:24], v16 offset0:11 offset1:12
	;; [unrolled: 1-line block ×3, first 2 shown]
	s_and_b32 vcc_lo, exec_lo, s22
	s_waitcnt vmcnt(13) lgkmcnt(2)
	v_mul_f32_e32 v16, v17, v29
	v_mul_f32_e32 v29, v18, v29
	s_waitcnt vmcnt(12)
	v_mul_f32_e32 v41, v19, v30
	v_mul_f32_e32 v30, v20, v30
	s_waitcnt vmcnt(11) lgkmcnt(1)
	v_mul_f32_e32 v42, v21, v31
	s_waitcnt vmcnt(10)
	v_mul_f32_e32 v43, v23, v32
	s_waitcnt vmcnt(7)
	v_fma_f32 v17, v17, v34, -v29
	v_fmac_f32_e32 v16, v18, v34
	v_mul_f32_e32 v18, v22, v31
	s_waitcnt vmcnt(6)
	v_fma_f32 v19, v19, v35, -v30
	v_fmac_f32_e32 v41, v20, v35
	v_add_f32_e32 v17, 0, v17
	v_add_f32_e32 v16, 0, v16
	v_mul_f32_e32 v20, v24, v32
	s_waitcnt vmcnt(5)
	v_fma_f32 v18, v21, v36, -v18
	v_fmac_f32_e32 v42, v22, v36
	v_add_f32_e32 v17, v17, v19
	v_add_f32_e32 v16, v16, v41
	s_waitcnt lgkmcnt(0)
	v_mul_f32_e32 v19, v26, v0
	s_waitcnt vmcnt(4)
	v_fma_f32 v20, v23, v37, -v20
	v_mul_f32_e32 v44, v25, v0
	v_add_f32_e32 v17, v17, v18
	v_fmac_f32_e32 v43, v24, v37
	v_add_f32_e32 v16, v16, v42
	v_mul_f32_e32 v18, v28, v33
	s_waitcnt vmcnt(3)
	v_fma_f32 v19, v25, v15, -v19
	v_add_f32_e32 v17, v17, v20
	v_mul_f32_e32 v45, v27, v33
	v_fmac_f32_e32 v44, v26, v15
	v_add_f32_e32 v16, v16, v43
	s_waitcnt vmcnt(2)
	v_fma_f32 v18, v27, v38, -v18
	v_add_f32_e32 v17, v17, v19
	v_fmac_f32_e32 v45, v28, v38
	v_add_f32_e32 v16, v16, v44
	v_add_f32_e32 v17, v17, v18
	;; [unrolled: 1-line block ×3, first 2 shown]
	s_waitcnt vmcnt(1)
	v_sub_f32_e32 v17, v39, v17
	s_waitcnt vmcnt(0)
	v_sub_f32_e32 v16, v40, v16
	buffer_store_dword v17, off, s[0:3], 0
	buffer_store_dword v16, off, s[0:3], 0 offset:4
	s_cbranch_vccz .LBB6_68
; %bb.56:
	v_mov_b32_e32 v16, 0
	global_load_dword v17, v16, s[20:21] offset:20
	s_waitcnt vmcnt(0)
	v_add_nc_u32_e32 v17, -1, v17
	v_cmp_ne_u32_e32 vcc_lo, 5, v17
	s_cbranch_vccz .LBB6_58
; %bb.57:
	v_lshlrev_b32_e32 v17, 3, v17
	s_clause 0x1
	buffer_load_dword v18, v17, s[0:3], 0 offen
	buffer_load_dword v19, v17, s[0:3], 0 offen offset:4
	s_waitcnt vmcnt(1)
	buffer_store_dword v18, off, s[0:3], 0 offset:40
	s_waitcnt vmcnt(0)
	buffer_store_dword v19, off, s[0:3], 0 offset:44
	buffer_store_dword v15, v17, s[0:3], 0 offen
	buffer_store_dword v0, v17, s[0:3], 0 offen offset:4
.LBB6_58:
	global_load_dword v0, v16, s[20:21] offset:16
	s_waitcnt vmcnt(0)
	v_add_nc_u32_e32 v0, -1, v0
	v_cmp_eq_u32_e32 vcc_lo, 4, v0
	s_cbranch_vccnz .LBB6_60
; %bb.59:
	v_lshlrev_b32_e32 v0, 3, v0
	s_clause 0x3
	buffer_load_dword v15, v0, s[0:3], 0 offen
	buffer_load_dword v16, v0, s[0:3], 0 offen offset:4
	buffer_load_dword v17, off, s[0:3], 0 offset:36
	buffer_load_dword v18, off, s[0:3], 0 offset:32
	s_waitcnt vmcnt(3)
	buffer_store_dword v15, off, s[0:3], 0 offset:32
	s_waitcnt vmcnt(2)
	buffer_store_dword v16, off, s[0:3], 0 offset:36
	s_waitcnt vmcnt(1)
	buffer_store_dword v17, v0, s[0:3], 0 offen offset:4
	s_waitcnt vmcnt(0)
	buffer_store_dword v18, v0, s[0:3], 0 offen
.LBB6_60:
	v_mov_b32_e32 v0, 0
	global_load_dword v15, v0, s[20:21] offset:12
	s_waitcnt vmcnt(0)
	v_add_nc_u32_e32 v15, -1, v15
	v_cmp_eq_u32_e32 vcc_lo, 3, v15
	s_cbranch_vccnz .LBB6_62
; %bb.61:
	v_lshlrev_b32_e32 v15, 3, v15
	s_clause 0x3
	buffer_load_dword v16, v15, s[0:3], 0 offen
	buffer_load_dword v17, v15, s[0:3], 0 offen offset:4
	buffer_load_dword v18, off, s[0:3], 0 offset:24
	buffer_load_dword v19, off, s[0:3], 0 offset:28
	s_waitcnt vmcnt(3)
	buffer_store_dword v16, off, s[0:3], 0 offset:24
	s_waitcnt vmcnt(2)
	buffer_store_dword v17, off, s[0:3], 0 offset:28
	s_waitcnt vmcnt(1)
	buffer_store_dword v18, v15, s[0:3], 0 offen
	s_waitcnt vmcnt(0)
	buffer_store_dword v19, v15, s[0:3], 0 offen offset:4
.LBB6_62:
	global_load_dword v0, v0, s[20:21] offset:8
	s_waitcnt vmcnt(0)
	v_add_nc_u32_e32 v0, -1, v0
	v_cmp_eq_u32_e32 vcc_lo, 2, v0
	s_cbranch_vccnz .LBB6_64
; %bb.63:
	v_lshlrev_b32_e32 v0, 3, v0
	s_clause 0x3
	buffer_load_dword v15, v0, s[0:3], 0 offen
	buffer_load_dword v16, v0, s[0:3], 0 offen offset:4
	buffer_load_dword v17, off, s[0:3], 0 offset:20
	buffer_load_dword v18, off, s[0:3], 0 offset:16
	s_waitcnt vmcnt(3)
	buffer_store_dword v15, off, s[0:3], 0 offset:16
	s_waitcnt vmcnt(2)
	buffer_store_dword v16, off, s[0:3], 0 offset:20
	s_waitcnt vmcnt(1)
	buffer_store_dword v17, v0, s[0:3], 0 offen offset:4
	s_waitcnt vmcnt(0)
	buffer_store_dword v18, v0, s[0:3], 0 offen
.LBB6_64:
	v_mov_b32_e32 v0, 0
	global_load_dword v15, v0, s[20:21] offset:4
	s_waitcnt vmcnt(0)
	v_add_nc_u32_e32 v15, -1, v15
	v_cmp_eq_u32_e32 vcc_lo, 1, v15
	s_cbranch_vccnz .LBB6_66
; %bb.65:
	v_lshlrev_b32_e32 v15, 3, v15
	s_clause 0x3
	buffer_load_dword v16, v15, s[0:3], 0 offen
	buffer_load_dword v17, v15, s[0:3], 0 offen offset:4
	buffer_load_dword v18, off, s[0:3], 0 offset:8
	buffer_load_dword v19, off, s[0:3], 0 offset:12
	s_waitcnt vmcnt(3)
	buffer_store_dword v16, off, s[0:3], 0 offset:8
	s_waitcnt vmcnt(2)
	buffer_store_dword v17, off, s[0:3], 0 offset:12
	s_waitcnt vmcnt(1)
	buffer_store_dword v18, v15, s[0:3], 0 offen
	s_waitcnt vmcnt(0)
	buffer_store_dword v19, v15, s[0:3], 0 offen offset:4
.LBB6_66:
	global_load_dword v0, v0, s[20:21]
	s_waitcnt vmcnt(0)
	v_add_nc_u32_e32 v0, -1, v0
	v_cmp_eq_u32_e32 vcc_lo, 0, v0
	s_cbranch_vccnz .LBB6_68
; %bb.67:
	v_lshlrev_b32_e32 v0, 3, v0
	s_clause 0x3
	buffer_load_dword v15, v0, s[0:3], 0 offen
	buffer_load_dword v16, v0, s[0:3], 0 offen offset:4
	buffer_load_dword v17, off, s[0:3], 0 offset:4
	buffer_load_dword v18, off, s[0:3], 0
	s_waitcnt vmcnt(3)
	buffer_store_dword v15, off, s[0:3], 0
	s_waitcnt vmcnt(2)
	buffer_store_dword v16, off, s[0:3], 0 offset:4
	s_waitcnt vmcnt(1)
	buffer_store_dword v17, v0, s[0:3], 0 offen offset:4
	s_waitcnt vmcnt(0)
	buffer_store_dword v18, v0, s[0:3], 0 offen
.LBB6_68:
	s_clause 0xd
	buffer_load_dword v15, off, s[0:3], 0
	buffer_load_dword v16, off, s[0:3], 0 offset:4
	buffer_load_dword v17, off, s[0:3], 0 offset:8
	;; [unrolled: 1-line block ×13, first 2 shown]
	s_waitcnt vmcnt(12)
	global_store_dwordx2 v[1:2], v[15:16], off
	s_waitcnt vmcnt(10)
	global_store_dwordx2 v[3:4], v[17:18], off
	;; [unrolled: 2-line block ×7, first 2 shown]
	s_endpgm
	.section	.rodata,"a",@progbits
	.p2align	6, 0x0
	.amdhsa_kernel _ZN9rocsolver6v33100L18getri_kernel_smallILi7E19rocblas_complex_numIfEPS3_EEvT1_iilPiilS6_bb
		.amdhsa_group_segment_fixed_size 120
		.amdhsa_private_segment_fixed_size 64
		.amdhsa_kernarg_size 60
		.amdhsa_user_sgpr_count 6
		.amdhsa_user_sgpr_private_segment_buffer 1
		.amdhsa_user_sgpr_dispatch_ptr 0
		.amdhsa_user_sgpr_queue_ptr 0
		.amdhsa_user_sgpr_kernarg_segment_ptr 1
		.amdhsa_user_sgpr_dispatch_id 0
		.amdhsa_user_sgpr_flat_scratch_init 0
		.amdhsa_user_sgpr_private_segment_size 0
		.amdhsa_wavefront_size32 1
		.amdhsa_uses_dynamic_stack 0
		.amdhsa_system_sgpr_private_segment_wavefront_offset 1
		.amdhsa_system_sgpr_workgroup_id_x 1
		.amdhsa_system_sgpr_workgroup_id_y 0
		.amdhsa_system_sgpr_workgroup_id_z 0
		.amdhsa_system_sgpr_workgroup_info 0
		.amdhsa_system_vgpr_workitem_id 0
		.amdhsa_next_free_vgpr 46
		.amdhsa_next_free_sgpr 23
		.amdhsa_reserve_vcc 1
		.amdhsa_reserve_flat_scratch 0
		.amdhsa_float_round_mode_32 0
		.amdhsa_float_round_mode_16_64 0
		.amdhsa_float_denorm_mode_32 3
		.amdhsa_float_denorm_mode_16_64 3
		.amdhsa_dx10_clamp 1
		.amdhsa_ieee_mode 1
		.amdhsa_fp16_overflow 0
		.amdhsa_workgroup_processor_mode 1
		.amdhsa_memory_ordered 1
		.amdhsa_forward_progress 1
		.amdhsa_shared_vgpr_count 0
		.amdhsa_exception_fp_ieee_invalid_op 0
		.amdhsa_exception_fp_denorm_src 0
		.amdhsa_exception_fp_ieee_div_zero 0
		.amdhsa_exception_fp_ieee_overflow 0
		.amdhsa_exception_fp_ieee_underflow 0
		.amdhsa_exception_fp_ieee_inexact 0
		.amdhsa_exception_int_div_zero 0
	.end_amdhsa_kernel
	.section	.text._ZN9rocsolver6v33100L18getri_kernel_smallILi7E19rocblas_complex_numIfEPS3_EEvT1_iilPiilS6_bb,"axG",@progbits,_ZN9rocsolver6v33100L18getri_kernel_smallILi7E19rocblas_complex_numIfEPS3_EEvT1_iilPiilS6_bb,comdat
.Lfunc_end6:
	.size	_ZN9rocsolver6v33100L18getri_kernel_smallILi7E19rocblas_complex_numIfEPS3_EEvT1_iilPiilS6_bb, .Lfunc_end6-_ZN9rocsolver6v33100L18getri_kernel_smallILi7E19rocblas_complex_numIfEPS3_EEvT1_iilPiilS6_bb
                                        ; -- End function
	.set _ZN9rocsolver6v33100L18getri_kernel_smallILi7E19rocblas_complex_numIfEPS3_EEvT1_iilPiilS6_bb.num_vgpr, 46
	.set _ZN9rocsolver6v33100L18getri_kernel_smallILi7E19rocblas_complex_numIfEPS3_EEvT1_iilPiilS6_bb.num_agpr, 0
	.set _ZN9rocsolver6v33100L18getri_kernel_smallILi7E19rocblas_complex_numIfEPS3_EEvT1_iilPiilS6_bb.numbered_sgpr, 23
	.set _ZN9rocsolver6v33100L18getri_kernel_smallILi7E19rocblas_complex_numIfEPS3_EEvT1_iilPiilS6_bb.num_named_barrier, 0
	.set _ZN9rocsolver6v33100L18getri_kernel_smallILi7E19rocblas_complex_numIfEPS3_EEvT1_iilPiilS6_bb.private_seg_size, 64
	.set _ZN9rocsolver6v33100L18getri_kernel_smallILi7E19rocblas_complex_numIfEPS3_EEvT1_iilPiilS6_bb.uses_vcc, 1
	.set _ZN9rocsolver6v33100L18getri_kernel_smallILi7E19rocblas_complex_numIfEPS3_EEvT1_iilPiilS6_bb.uses_flat_scratch, 0
	.set _ZN9rocsolver6v33100L18getri_kernel_smallILi7E19rocblas_complex_numIfEPS3_EEvT1_iilPiilS6_bb.has_dyn_sized_stack, 0
	.set _ZN9rocsolver6v33100L18getri_kernel_smallILi7E19rocblas_complex_numIfEPS3_EEvT1_iilPiilS6_bb.has_recursion, 0
	.set _ZN9rocsolver6v33100L18getri_kernel_smallILi7E19rocblas_complex_numIfEPS3_EEvT1_iilPiilS6_bb.has_indirect_call, 0
	.section	.AMDGPU.csdata,"",@progbits
; Kernel info:
; codeLenInByte = 5804
; TotalNumSgprs: 25
; NumVgprs: 46
; ScratchSize: 64
; MemoryBound: 0
; FloatMode: 240
; IeeeMode: 1
; LDSByteSize: 120 bytes/workgroup (compile time only)
; SGPRBlocks: 0
; VGPRBlocks: 5
; NumSGPRsForWavesPerEU: 25
; NumVGPRsForWavesPerEU: 46
; Occupancy: 16
; WaveLimiterHint : 0
; COMPUTE_PGM_RSRC2:SCRATCH_EN: 1
; COMPUTE_PGM_RSRC2:USER_SGPR: 6
; COMPUTE_PGM_RSRC2:TRAP_HANDLER: 0
; COMPUTE_PGM_RSRC2:TGID_X_EN: 1
; COMPUTE_PGM_RSRC2:TGID_Y_EN: 0
; COMPUTE_PGM_RSRC2:TGID_Z_EN: 0
; COMPUTE_PGM_RSRC2:TIDIG_COMP_CNT: 0
	.section	.text._ZN9rocsolver6v33100L18getri_kernel_smallILi8E19rocblas_complex_numIfEPS3_EEvT1_iilPiilS6_bb,"axG",@progbits,_ZN9rocsolver6v33100L18getri_kernel_smallILi8E19rocblas_complex_numIfEPS3_EEvT1_iilPiilS6_bb,comdat
	.globl	_ZN9rocsolver6v33100L18getri_kernel_smallILi8E19rocblas_complex_numIfEPS3_EEvT1_iilPiilS6_bb ; -- Begin function _ZN9rocsolver6v33100L18getri_kernel_smallILi8E19rocblas_complex_numIfEPS3_EEvT1_iilPiilS6_bb
	.p2align	8
	.type	_ZN9rocsolver6v33100L18getri_kernel_smallILi8E19rocblas_complex_numIfEPS3_EEvT1_iilPiilS6_bb,@function
_ZN9rocsolver6v33100L18getri_kernel_smallILi8E19rocblas_complex_numIfEPS3_EEvT1_iilPiilS6_bb: ; @_ZN9rocsolver6v33100L18getri_kernel_smallILi8E19rocblas_complex_numIfEPS3_EEvT1_iilPiilS6_bb
; %bb.0:
	s_add_u32 s0, s0, s7
	s_addc_u32 s1, s1, 0
	s_mov_b32 s7, exec_lo
	v_cmpx_gt_u32_e32 8, v0
	s_cbranch_execz .LBB7_46
; %bb.1:
	s_clause 0x2
	s_load_dword s7, s[4:5], 0x38
	s_load_dwordx4 s[16:19], s[4:5], 0x10
	s_load_dwordx4 s[8:11], s[4:5], 0x28
                                        ; implicit-def: $sgpr20_sgpr21
	s_waitcnt lgkmcnt(0)
	s_bitcmp1_b32 s7, 8
	s_cselect_b32 s22, -1, 0
	s_bfe_u32 s12, s7, 0x10008
	s_ashr_i32 s7, s6, 31
	s_cmp_eq_u32 s12, 0
	s_cbranch_scc1 .LBB7_3
; %bb.2:
	s_load_dword s12, s[4:5], 0x20
	s_mul_i32 s13, s8, s7
	s_mul_hi_u32 s14, s8, s6
	s_mul_i32 s9, s9, s6
	s_add_i32 s13, s14, s13
	s_mul_i32 s8, s8, s6
	s_add_i32 s9, s13, s9
	s_lshl_b64 s[8:9], s[8:9], 2
	s_waitcnt lgkmcnt(0)
	s_ashr_i32 s13, s12, 31
	s_add_u32 s14, s18, s8
	s_addc_u32 s15, s19, s9
	s_lshl_b64 s[8:9], s[12:13], 2
	s_add_u32 s20, s14, s8
	s_addc_u32 s21, s15, s9
.LBB7_3:
	s_clause 0x1
	s_load_dwordx4 s[12:15], s[4:5], 0x0
	s_load_dword s18, s[4:5], 0x38
	s_mul_i32 s4, s16, s7
	s_mul_hi_u32 s5, s16, s6
	s_mul_i32 s8, s17, s6
	s_add_i32 s5, s5, s4
	s_mul_i32 s4, s16, s6
	s_add_i32 s5, s5, s8
	v_lshlrev_b32_e32 v19, 3, v0
	s_lshl_b64 s[4:5], s[4:5], 3
	s_waitcnt lgkmcnt(0)
	v_add3_u32 v3, s15, s15, v0
	s_ashr_i32 s9, s14, 31
	s_mov_b32 s8, s14
	s_add_u32 s12, s12, s4
	s_addc_u32 s13, s13, s5
	v_add_nc_u32_e32 v5, s15, v3
	s_lshl_b64 s[4:5], s[8:9], 3
	v_ashrrev_i32_e32 v4, 31, v3
	s_add_u32 s4, s12, s4
	s_addc_u32 s5, s13, s5
	v_add_nc_u32_e32 v9, s15, v5
	v_ashrrev_i32_e32 v6, 31, v5
	v_add_co_u32 v1, s12, s4, v19
	s_mov_b32 s8, s15
	s_ashr_i32 s9, s15, 31
	v_lshlrev_b64 v[7:8], 3, v[3:4]
	v_ashrrev_i32_e32 v10, 31, v9
	v_add_co_ci_u32_e64 v2, null, s5, 0, s12
	s_lshl_b64 s[8:9], s[8:9], 3
	v_lshlrev_b64 v[11:12], 3, v[5:6]
	v_add_nc_u32_e32 v15, s15, v9
	v_add_co_u32 v3, vcc_lo, v1, s8
	v_lshlrev_b64 v[13:14], 3, v[9:10]
	v_add_co_ci_u32_e64 v4, null, s9, v2, vcc_lo
	v_add_co_u32 v5, vcc_lo, s4, v7
	v_add_co_ci_u32_e64 v6, null, s5, v8, vcc_lo
	v_add_co_u32 v7, vcc_lo, s4, v11
	v_ashrrev_i32_e32 v16, 31, v15
	v_add_nc_u32_e32 v11, s15, v15
	v_add_co_ci_u32_e64 v8, null, s5, v12, vcc_lo
	v_add_co_u32 v9, vcc_lo, s4, v13
	v_add_co_ci_u32_e64 v10, null, s5, v14, vcc_lo
	v_lshlrev_b64 v[13:14], 3, v[15:16]
	v_add_nc_u32_e32 v15, s15, v11
	v_ashrrev_i32_e32 v12, 31, v11
	s_clause 0x4
	global_load_dwordx2 v[17:18], v19, s[4:5]
	global_load_dwordx2 v[20:21], v[3:4], off
	global_load_dwordx2 v[22:23], v[5:6], off
	;; [unrolled: 1-line block ×4, first 2 shown]
	s_bitcmp0_b32 s18, 0
	v_ashrrev_i32_e32 v16, 31, v15
	v_lshlrev_b64 v[28:29], 3, v[11:12]
	v_add_co_u32 v11, vcc_lo, s4, v13
	v_add_co_ci_u32_e64 v12, null, s5, v14, vcc_lo
	v_lshlrev_b64 v[13:14], 3, v[15:16]
	v_add_co_u32 v15, vcc_lo, s4, v28
	v_add_co_ci_u32_e64 v16, null, s5, v29, vcc_lo
	v_add_co_u32 v13, vcc_lo, s4, v13
	v_add_co_ci_u32_e64 v14, null, s5, v14, vcc_lo
	s_clause 0x2
	global_load_dwordx2 v[28:29], v[11:12], off
	global_load_dwordx2 v[30:31], v[15:16], off
	global_load_dwordx2 v[32:33], v[13:14], off
	s_mov_b32 s5, -1
	s_waitcnt vmcnt(7)
	buffer_store_dword v18, off, s[0:3], 0 offset:4
	buffer_store_dword v17, off, s[0:3], 0
	s_waitcnt vmcnt(6)
	buffer_store_dword v21, off, s[0:3], 0 offset:12
	buffer_store_dword v20, off, s[0:3], 0 offset:8
	s_waitcnt vmcnt(5)
	buffer_store_dword v23, off, s[0:3], 0 offset:20
	buffer_store_dword v22, off, s[0:3], 0 offset:16
	;; [unrolled: 3-line block ×7, first 2 shown]
	s_cbranch_scc1 .LBB7_44
; %bb.4:
	v_cmp_eq_u32_e64 s4, 0, v0
	s_and_saveexec_b32 s5, s4
; %bb.5:
	v_mov_b32_e32 v17, 0
	ds_write_b32 v17, v17 offset:128
; %bb.6:
	s_or_b32 exec_lo, exec_lo, s5
	v_lshl_add_u32 v21, v0, 3, 0
	s_waitcnt lgkmcnt(0)
	s_waitcnt_vscnt null, 0x0
	s_barrier
	buffer_gl0_inv
	s_clause 0x1
	buffer_load_dword v17, v21, s[0:3], 0 offen
	buffer_load_dword v18, v21, s[0:3], 0 offen offset:4
	s_waitcnt vmcnt(1)
	v_cmp_eq_f32_e32 vcc_lo, 0, v17
	s_waitcnt vmcnt(0)
	v_cmp_eq_f32_e64 s5, 0, v18
	s_and_b32 s5, vcc_lo, s5
	s_and_saveexec_b32 s8, s5
	s_cbranch_execz .LBB7_10
; %bb.7:
	v_mov_b32_e32 v17, 0
	s_mov_b32 s9, 0
	ds_read_b32 v18, v17 offset:128
	s_waitcnt lgkmcnt(0)
	v_readfirstlane_b32 s5, v18
	v_add_nc_u32_e32 v18, 1, v0
	s_cmp_eq_u32 s5, 0
	v_cmp_gt_i32_e32 vcc_lo, s5, v18
	s_cselect_b32 s12, -1, 0
	s_or_b32 s12, s12, vcc_lo
	s_and_b32 exec_lo, exec_lo, s12
	s_cbranch_execz .LBB7_10
; %bb.8:
	v_mov_b32_e32 v20, s5
.LBB7_9:                                ; =>This Inner Loop Header: Depth=1
	ds_cmpst_rtn_b32 v20, v17, v20, v18 offset:128
	s_waitcnt lgkmcnt(0)
	v_cmp_ne_u32_e32 vcc_lo, 0, v20
	v_cmp_le_i32_e64 s5, v20, v18
	s_and_b32 s5, vcc_lo, s5
	s_and_b32 s5, exec_lo, s5
	s_or_b32 s9, s5, s9
	s_andn2_b32 exec_lo, exec_lo, s9
	s_cbranch_execnz .LBB7_9
.LBB7_10:
	s_or_b32 exec_lo, exec_lo, s8
	v_mov_b32_e32 v17, 0
	s_barrier
	buffer_gl0_inv
	ds_read_b32 v18, v17 offset:128
	s_and_saveexec_b32 s5, s4
	s_cbranch_execz .LBB7_12
; %bb.11:
	s_lshl_b64 s[8:9], s[6:7], 2
	s_add_u32 s8, s10, s8
	s_addc_u32 s9, s11, s9
	s_waitcnt lgkmcnt(0)
	global_store_dword v17, v18, s[8:9]
.LBB7_12:
	s_or_b32 exec_lo, exec_lo, s5
	s_waitcnt lgkmcnt(0)
	v_cmp_ne_u32_e32 vcc_lo, 0, v18
	s_mov_b32 s5, 0
	s_cbranch_vccnz .LBB7_44
; %bb.13:
	s_clause 0x1
	buffer_load_dword v18, v21, s[0:3], 0 offen
	buffer_load_dword v20, v21, s[0:3], 0 offen offset:4
                                        ; implicit-def: $vgpr23
                                        ; implicit-def: $vgpr22
                                        ; implicit-def: $vgpr17
	s_waitcnt vmcnt(0)
	v_cmp_ngt_f32_e64 s5, |v18|, |v20|
	s_and_saveexec_b32 s8, s5
	s_xor_b32 s5, exec_lo, s8
	s_cbranch_execz .LBB7_15
; %bb.14:
	v_div_scale_f32 v17, null, v20, v20, v18
	v_div_scale_f32 v24, vcc_lo, v18, v20, v18
	v_rcp_f32_e32 v22, v17
	v_fma_f32 v23, -v17, v22, 1.0
	v_fmac_f32_e32 v22, v23, v22
	v_mul_f32_e32 v23, v24, v22
	v_fma_f32 v25, -v17, v23, v24
	v_fmac_f32_e32 v23, v25, v22
	v_fma_f32 v17, -v17, v23, v24
	v_div_fmas_f32 v17, v17, v22, v23
	v_div_fixup_f32 v17, v17, v20, v18
	v_fmac_f32_e32 v20, v18, v17
	v_div_scale_f32 v18, null, v20, v20, 1.0
	v_rcp_f32_e32 v22, v18
	v_fma_f32 v23, -v18, v22, 1.0
	v_fmac_f32_e32 v22, v23, v22
	v_div_scale_f32 v23, vcc_lo, 1.0, v20, 1.0
	v_mul_f32_e32 v24, v23, v22
	v_fma_f32 v25, -v18, v24, v23
	v_fmac_f32_e32 v24, v25, v22
	v_fma_f32 v18, -v18, v24, v23
	v_div_fmas_f32 v18, v18, v22, v24
	v_div_fixup_f32 v18, v18, v20, 1.0
                                        ; implicit-def: $vgpr20
	v_mul_f32_e32 v23, v17, v18
	v_xor_b32_e32 v22, 0x80000000, v18
                                        ; implicit-def: $vgpr18
	v_xor_b32_e32 v17, 0x80000000, v23
.LBB7_15:
	s_andn2_saveexec_b32 s5, s5
	s_cbranch_execz .LBB7_17
; %bb.16:
	v_div_scale_f32 v17, null, v18, v18, v20
	v_div_scale_f32 v24, vcc_lo, v20, v18, v20
	v_rcp_f32_e32 v22, v17
	v_fma_f32 v23, -v17, v22, 1.0
	v_fmac_f32_e32 v22, v23, v22
	v_mul_f32_e32 v23, v24, v22
	v_fma_f32 v25, -v17, v23, v24
	v_fmac_f32_e32 v23, v25, v22
	v_fma_f32 v17, -v17, v23, v24
	v_div_fmas_f32 v17, v17, v22, v23
	v_div_fixup_f32 v22, v17, v18, v20
	v_fmac_f32_e32 v18, v20, v22
	v_div_scale_f32 v17, null, v18, v18, 1.0
	v_div_scale_f32 v24, vcc_lo, 1.0, v18, 1.0
	v_rcp_f32_e32 v20, v17
	v_fma_f32 v23, -v17, v20, 1.0
	v_fmac_f32_e32 v20, v23, v20
	v_mul_f32_e32 v23, v24, v20
	v_fma_f32 v25, -v17, v23, v24
	v_fmac_f32_e32 v23, v25, v20
	v_fma_f32 v17, -v17, v23, v24
	v_div_fmas_f32 v17, v17, v20, v23
	v_div_fixup_f32 v23, v17, v18, 1.0
	v_xor_b32_e32 v17, 0x80000000, v23
	v_mul_f32_e64 v22, v22, -v23
.LBB7_17:
	s_or_b32 exec_lo, exec_lo, s5
	buffer_store_dword v23, v21, s[0:3], 0 offen
	buffer_store_dword v22, v21, s[0:3], 0 offen offset:4
	s_clause 0x1
	buffer_load_dword v24, off, s[0:3], 0 offset:12
	buffer_load_dword v23, off, s[0:3], 0 offset:8
	v_xor_b32_e32 v18, 0x80000000, v22
	v_add_nc_u32_e32 v20, 64, v19
	s_waitcnt vmcnt(0)
	ds_write2_b64 v19, v[17:18], v[23:24] offset1:8
	s_waitcnt lgkmcnt(0)
	s_waitcnt_vscnt null, 0x0
	s_barrier
	buffer_gl0_inv
	s_and_saveexec_b32 s5, s4
	s_cbranch_execz .LBB7_19
; %bb.18:
	s_clause 0x1
	buffer_load_dword v24, v21, s[0:3], 0 offen offset:4
	buffer_load_dword v25, v21, s[0:3], 0 offen
	ds_read_b64 v[17:18], v20
	v_mov_b32_e32 v22, 0
	ds_read_b64 v[22:23], v22 offset:8
	s_waitcnt vmcnt(1) lgkmcnt(1)
	v_mul_f32_e32 v26, v17, v24
	v_mul_f32_e32 v24, v18, v24
	s_waitcnt vmcnt(0)
	v_fmac_f32_e32 v26, v18, v25
	v_fma_f32 v17, v17, v25, -v24
	v_add_f32_e32 v18, 0, v26
	v_add_f32_e32 v17, 0, v17
	s_waitcnt lgkmcnt(0)
	v_mul_f32_e32 v24, v18, v23
	v_mul_f32_e32 v23, v17, v23
	v_fma_f32 v17, v17, v22, -v24
	v_fmac_f32_e32 v23, v18, v22
	buffer_store_dword v17, off, s[0:3], 0 offset:8
	buffer_store_dword v23, off, s[0:3], 0 offset:12
.LBB7_19:
	s_or_b32 exec_lo, exec_lo, s5
	s_waitcnt_vscnt null, 0x0
	s_barrier
	buffer_gl0_inv
	s_clause 0x1
	buffer_load_dword v17, off, s[0:3], 0 offset:16
	buffer_load_dword v18, off, s[0:3], 0 offset:20
	s_mov_b32 s5, exec_lo
	s_waitcnt vmcnt(0)
	ds_write_b64 v20, v[17:18]
	s_waitcnt lgkmcnt(0)
	s_barrier
	buffer_gl0_inv
	v_cmpx_gt_u32_e32 2, v0
	s_cbranch_execz .LBB7_23
; %bb.20:
	s_clause 0x1
	buffer_load_dword v22, v21, s[0:3], 0 offen offset:4
	buffer_load_dword v21, v21, s[0:3], 0 offen
	ds_read_b64 v[17:18], v20
	s_waitcnt vmcnt(1) lgkmcnt(0)
	v_mul_f32_e32 v23, v18, v22
	v_mul_f32_e32 v22, v17, v22
	s_waitcnt vmcnt(0)
	v_fma_f32 v17, v17, v21, -v23
	v_fmac_f32_e32 v22, v18, v21
	v_add_f32_e32 v18, 0, v17
	v_add_f32_e32 v17, 0, v22
	s_and_saveexec_b32 s8, s4
	s_cbranch_execz .LBB7_22
; %bb.21:
	s_clause 0x1
	buffer_load_dword v23, off, s[0:3], 0 offset:12
	buffer_load_dword v24, off, s[0:3], 0 offset:8
	v_mov_b32_e32 v21, 0
	ds_read_b64 v[21:22], v21 offset:72
	s_waitcnt vmcnt(1) lgkmcnt(0)
	v_mul_f32_e32 v25, v21, v23
	v_mul_f32_e32 v23, v22, v23
	s_waitcnt vmcnt(0)
	v_fmac_f32_e32 v25, v22, v24
	v_fma_f32 v21, v21, v24, -v23
	v_add_f32_e32 v17, v17, v25
	v_add_f32_e32 v18, v18, v21
.LBB7_22:
	s_or_b32 exec_lo, exec_lo, s8
	v_mov_b32_e32 v21, 0
	ds_read_b64 v[21:22], v21 offset:16
	s_waitcnt lgkmcnt(0)
	v_mul_f32_e32 v23, v17, v22
	v_mul_f32_e32 v22, v18, v22
	v_fma_f32 v18, v18, v21, -v23
	v_fmac_f32_e32 v22, v17, v21
	buffer_store_dword v18, off, s[0:3], 0 offset:16
	buffer_store_dword v22, off, s[0:3], 0 offset:20
.LBB7_23:
	s_or_b32 exec_lo, exec_lo, s5
	s_waitcnt_vscnt null, 0x0
	s_barrier
	buffer_gl0_inv
	s_clause 0x1
	buffer_load_dword v21, off, s[0:3], 0 offset:24
	buffer_load_dword v22, off, s[0:3], 0 offset:28
	v_add_nc_u32_e32 v17, -1, v0
	s_mov_b32 s4, exec_lo
	s_waitcnt vmcnt(0)
	ds_write_b64 v20, v[21:22]
	s_waitcnt lgkmcnt(0)
	s_barrier
	buffer_gl0_inv
	v_cmpx_gt_u32_e32 3, v0
	s_cbranch_execz .LBB7_27
; %bb.24:
	v_add_nc_u32_e32 v21, -1, v0
	v_add_nc_u32_e32 v22, 64, v19
	v_mov_b32_e32 v23, v19
	v_mov_b32_e32 v18, 0
	;; [unrolled: 1-line block ×3, first 2 shown]
	s_mov_b32 s5, 0
	.p2align	6
.LBB7_25:                               ; =>This Inner Loop Header: Depth=1
	s_clause 0x1
	buffer_load_dword v27, v23, s[0:3], 0 offen offset:4
	buffer_load_dword v28, v23, s[0:3], 0 offen
	ds_read_b64 v[25:26], v22
	v_add_nc_u32_e32 v21, 1, v21
	v_add_nc_u32_e32 v22, 8, v22
	;; [unrolled: 1-line block ×3, first 2 shown]
	v_cmp_lt_u32_e32 vcc_lo, 1, v21
	s_or_b32 s5, vcc_lo, s5
	s_waitcnt vmcnt(1) lgkmcnt(0)
	v_mul_f32_e32 v29, v26, v27
	v_mul_f32_e32 v27, v25, v27
	s_waitcnt vmcnt(0)
	v_fma_f32 v25, v25, v28, -v29
	v_fmac_f32_e32 v27, v26, v28
	v_add_f32_e32 v24, v24, v25
	v_add_f32_e32 v18, v18, v27
	s_andn2_b32 exec_lo, exec_lo, s5
	s_cbranch_execnz .LBB7_25
; %bb.26:
	s_or_b32 exec_lo, exec_lo, s5
	v_mov_b32_e32 v21, 0
	ds_read_b64 v[21:22], v21 offset:24
	s_waitcnt lgkmcnt(0)
	v_mul_f32_e32 v23, v18, v22
	v_mul_f32_e32 v22, v24, v22
	v_fma_f32 v23, v24, v21, -v23
	v_fmac_f32_e32 v22, v18, v21
	buffer_store_dword v23, off, s[0:3], 0 offset:24
	buffer_store_dword v22, off, s[0:3], 0 offset:28
.LBB7_27:
	s_or_b32 exec_lo, exec_lo, s4
	s_waitcnt_vscnt null, 0x0
	s_barrier
	buffer_gl0_inv
	s_clause 0x1
	buffer_load_dword v21, off, s[0:3], 0 offset:32
	buffer_load_dword v22, off, s[0:3], 0 offset:36
	s_mov_b32 s4, exec_lo
	s_waitcnt vmcnt(0)
	ds_write_b64 v20, v[21:22]
	s_waitcnt lgkmcnt(0)
	s_barrier
	buffer_gl0_inv
	v_cmpx_gt_u32_e32 4, v0
	s_cbranch_execz .LBB7_31
; %bb.28:
	v_add_nc_u32_e32 v21, -1, v0
	v_add_nc_u32_e32 v22, 64, v19
	v_mov_b32_e32 v23, v19
	v_mov_b32_e32 v18, 0
	;; [unrolled: 1-line block ×3, first 2 shown]
	s_mov_b32 s5, 0
	.p2align	6
.LBB7_29:                               ; =>This Inner Loop Header: Depth=1
	s_clause 0x1
	buffer_load_dword v27, v23, s[0:3], 0 offen offset:4
	buffer_load_dword v28, v23, s[0:3], 0 offen
	ds_read_b64 v[25:26], v22
	v_add_nc_u32_e32 v21, 1, v21
	v_add_nc_u32_e32 v22, 8, v22
	;; [unrolled: 1-line block ×3, first 2 shown]
	v_cmp_lt_u32_e32 vcc_lo, 2, v21
	s_or_b32 s5, vcc_lo, s5
	s_waitcnt vmcnt(1) lgkmcnt(0)
	v_mul_f32_e32 v29, v26, v27
	v_mul_f32_e32 v27, v25, v27
	s_waitcnt vmcnt(0)
	v_fma_f32 v25, v25, v28, -v29
	v_fmac_f32_e32 v27, v26, v28
	v_add_f32_e32 v24, v24, v25
	v_add_f32_e32 v18, v18, v27
	s_andn2_b32 exec_lo, exec_lo, s5
	s_cbranch_execnz .LBB7_29
; %bb.30:
	s_or_b32 exec_lo, exec_lo, s5
	v_mov_b32_e32 v21, 0
	ds_read_b64 v[21:22], v21 offset:32
	s_waitcnt lgkmcnt(0)
	v_mul_f32_e32 v23, v18, v22
	v_mul_f32_e32 v22, v24, v22
	v_fma_f32 v23, v24, v21, -v23
	v_fmac_f32_e32 v22, v18, v21
	buffer_store_dword v23, off, s[0:3], 0 offset:32
	buffer_store_dword v22, off, s[0:3], 0 offset:36
.LBB7_31:
	s_or_b32 exec_lo, exec_lo, s4
	s_waitcnt_vscnt null, 0x0
	s_barrier
	buffer_gl0_inv
	s_clause 0x1
	buffer_load_dword v21, off, s[0:3], 0 offset:40
	buffer_load_dword v22, off, s[0:3], 0 offset:44
	s_mov_b32 s4, exec_lo
	s_waitcnt vmcnt(0)
	ds_write_b64 v20, v[21:22]
	s_waitcnt lgkmcnt(0)
	s_barrier
	buffer_gl0_inv
	v_cmpx_gt_u32_e32 5, v0
	s_cbranch_execz .LBB7_35
; %bb.32:
	v_add_nc_u32_e32 v21, -1, v0
	v_add_nc_u32_e32 v22, 64, v19
	v_mov_b32_e32 v23, v19
	v_mov_b32_e32 v18, 0
	v_mov_b32_e32 v24, 0
	s_mov_b32 s5, 0
	.p2align	6
.LBB7_33:                               ; =>This Inner Loop Header: Depth=1
	s_clause 0x1
	buffer_load_dword v27, v23, s[0:3], 0 offen offset:4
	buffer_load_dword v28, v23, s[0:3], 0 offen
	ds_read_b64 v[25:26], v22
	v_add_nc_u32_e32 v21, 1, v21
	v_add_nc_u32_e32 v22, 8, v22
	;; [unrolled: 1-line block ×3, first 2 shown]
	v_cmp_lt_u32_e32 vcc_lo, 3, v21
	s_or_b32 s5, vcc_lo, s5
	s_waitcnt vmcnt(1) lgkmcnt(0)
	v_mul_f32_e32 v29, v26, v27
	v_mul_f32_e32 v27, v25, v27
	s_waitcnt vmcnt(0)
	v_fma_f32 v25, v25, v28, -v29
	v_fmac_f32_e32 v27, v26, v28
	v_add_f32_e32 v24, v24, v25
	v_add_f32_e32 v18, v18, v27
	s_andn2_b32 exec_lo, exec_lo, s5
	s_cbranch_execnz .LBB7_33
; %bb.34:
	s_or_b32 exec_lo, exec_lo, s5
	v_mov_b32_e32 v21, 0
	ds_read_b64 v[21:22], v21 offset:40
	s_waitcnt lgkmcnt(0)
	v_mul_f32_e32 v23, v18, v22
	v_mul_f32_e32 v22, v24, v22
	v_fma_f32 v23, v24, v21, -v23
	v_fmac_f32_e32 v22, v18, v21
	buffer_store_dword v23, off, s[0:3], 0 offset:40
	buffer_store_dword v22, off, s[0:3], 0 offset:44
.LBB7_35:
	s_or_b32 exec_lo, exec_lo, s4
	s_waitcnt_vscnt null, 0x0
	s_barrier
	buffer_gl0_inv
	s_clause 0x1
	buffer_load_dword v21, off, s[0:3], 0 offset:48
	buffer_load_dword v22, off, s[0:3], 0 offset:52
	s_mov_b32 s4, exec_lo
	s_waitcnt vmcnt(0)
	ds_write_b64 v20, v[21:22]
	s_waitcnt lgkmcnt(0)
	s_barrier
	buffer_gl0_inv
	v_cmpx_gt_u32_e32 6, v0
	s_cbranch_execz .LBB7_39
; %bb.36:
	v_add_nc_u32_e32 v21, -1, v0
	v_add_nc_u32_e32 v22, 64, v19
	v_mov_b32_e32 v23, v19
	v_mov_b32_e32 v18, 0
	;; [unrolled: 1-line block ×3, first 2 shown]
	s_mov_b32 s5, 0
	.p2align	6
.LBB7_37:                               ; =>This Inner Loop Header: Depth=1
	s_clause 0x1
	buffer_load_dword v27, v23, s[0:3], 0 offen offset:4
	buffer_load_dword v28, v23, s[0:3], 0 offen
	ds_read_b64 v[25:26], v22
	v_add_nc_u32_e32 v21, 1, v21
	v_add_nc_u32_e32 v22, 8, v22
	v_add_nc_u32_e32 v23, 8, v23
	v_cmp_lt_u32_e32 vcc_lo, 4, v21
	s_or_b32 s5, vcc_lo, s5
	s_waitcnt vmcnt(1) lgkmcnt(0)
	v_mul_f32_e32 v29, v26, v27
	v_mul_f32_e32 v27, v25, v27
	s_waitcnt vmcnt(0)
	v_fma_f32 v25, v25, v28, -v29
	v_fmac_f32_e32 v27, v26, v28
	v_add_f32_e32 v24, v24, v25
	v_add_f32_e32 v18, v18, v27
	s_andn2_b32 exec_lo, exec_lo, s5
	s_cbranch_execnz .LBB7_37
; %bb.38:
	s_or_b32 exec_lo, exec_lo, s5
	v_mov_b32_e32 v21, 0
	ds_read_b64 v[21:22], v21 offset:48
	s_waitcnt lgkmcnt(0)
	v_mul_f32_e32 v23, v18, v22
	v_mul_f32_e32 v22, v24, v22
	v_fma_f32 v23, v24, v21, -v23
	v_fmac_f32_e32 v22, v18, v21
	buffer_store_dword v23, off, s[0:3], 0 offset:48
	buffer_store_dword v22, off, s[0:3], 0 offset:52
.LBB7_39:
	s_or_b32 exec_lo, exec_lo, s4
	s_waitcnt_vscnt null, 0x0
	s_barrier
	buffer_gl0_inv
	s_clause 0x1
	buffer_load_dword v21, off, s[0:3], 0 offset:56
	buffer_load_dword v22, off, s[0:3], 0 offset:60
	s_mov_b32 s4, exec_lo
	s_waitcnt vmcnt(0)
	ds_write_b64 v20, v[21:22]
	s_waitcnt lgkmcnt(0)
	s_barrier
	buffer_gl0_inv
	v_cmpx_ne_u32_e32 7, v0
	s_cbranch_execz .LBB7_43
; %bb.40:
	v_mov_b32_e32 v18, 0
	v_mov_b32_e32 v21, 0
	s_mov_b32 s5, 0
	.p2align	6
.LBB7_41:                               ; =>This Inner Loop Header: Depth=1
	s_clause 0x1
	buffer_load_dword v24, v19, s[0:3], 0 offen offset:4
	buffer_load_dword v25, v19, s[0:3], 0 offen
	ds_read_b64 v[22:23], v20
	v_add_nc_u32_e32 v17, 1, v17
	v_add_nc_u32_e32 v20, 8, v20
	;; [unrolled: 1-line block ×3, first 2 shown]
	v_cmp_lt_u32_e32 vcc_lo, 5, v17
	s_or_b32 s5, vcc_lo, s5
	s_waitcnt vmcnt(1) lgkmcnt(0)
	v_mul_f32_e32 v26, v23, v24
	v_mul_f32_e32 v24, v22, v24
	s_waitcnt vmcnt(0)
	v_fma_f32 v22, v22, v25, -v26
	v_fmac_f32_e32 v24, v23, v25
	v_add_f32_e32 v21, v21, v22
	v_add_f32_e32 v18, v18, v24
	s_andn2_b32 exec_lo, exec_lo, s5
	s_cbranch_execnz .LBB7_41
; %bb.42:
	s_or_b32 exec_lo, exec_lo, s5
	v_mov_b32_e32 v17, 0
	ds_read_b64 v[19:20], v17 offset:56
	s_waitcnt lgkmcnt(0)
	v_mul_f32_e32 v17, v18, v20
	v_mul_f32_e32 v20, v21, v20
	v_fma_f32 v17, v21, v19, -v17
	v_fmac_f32_e32 v20, v18, v19
	buffer_store_dword v17, off, s[0:3], 0 offset:56
	buffer_store_dword v20, off, s[0:3], 0 offset:60
.LBB7_43:
	s_or_b32 exec_lo, exec_lo, s4
	s_mov_b32 s5, -1
	s_waitcnt_vscnt null, 0x0
	s_barrier
	buffer_gl0_inv
.LBB7_44:
	s_and_b32 vcc_lo, exec_lo, s5
	s_cbranch_vccz .LBB7_46
; %bb.45:
	s_lshl_b64 s[4:5], s[6:7], 2
	v_mov_b32_e32 v17, 0
	s_add_u32 s4, s10, s4
	s_addc_u32 s5, s11, s5
	global_load_dword v17, v17, s[4:5]
	s_waitcnt vmcnt(0)
	v_cmp_ne_u32_e32 vcc_lo, 0, v17
	s_cbranch_vccz .LBB7_47
.LBB7_46:
	s_endpgm
.LBB7_47:
	v_lshl_add_u32 v17, v0, 3, 64
	s_mov_b32 s4, exec_lo
	v_cmpx_eq_u32_e32 7, v0
	s_cbranch_execz .LBB7_49
; %bb.48:
	s_clause 0x1
	buffer_load_dword v18, off, s[0:3], 0 offset:48
	buffer_load_dword v19, off, s[0:3], 0 offset:52
	v_mov_b32_e32 v20, 0
	buffer_store_dword v20, off, s[0:3], 0 offset:48
	buffer_store_dword v20, off, s[0:3], 0 offset:52
	s_waitcnt vmcnt(0)
	ds_write_b64 v17, v[18:19]
.LBB7_49:
	s_or_b32 exec_lo, exec_lo, s4
	s_waitcnt lgkmcnt(0)
	s_waitcnt_vscnt null, 0x0
	s_barrier
	buffer_gl0_inv
	s_clause 0x3
	buffer_load_dword v21, off, s[0:3], 0 offset:60
	buffer_load_dword v22, off, s[0:3], 0 offset:56
	;; [unrolled: 1-line block ×4, first 2 shown]
	v_mov_b32_e32 v18, 0
	s_mov_b32 s4, exec_lo
	ds_read_b64 v[19:20], v18 offset:120
	s_waitcnt vmcnt(3) lgkmcnt(0)
	v_mul_f32_e32 v25, v20, v21
	v_mul_f32_e32 v21, v19, v21
	s_waitcnt vmcnt(2)
	v_fma_f32 v19, v19, v22, -v25
	v_fmac_f32_e32 v21, v20, v22
	v_add_f32_e32 v19, 0, v19
	v_add_f32_e32 v20, 0, v21
	s_waitcnt vmcnt(1)
	v_sub_f32_e32 v19, v23, v19
	s_waitcnt vmcnt(0)
	v_sub_f32_e32 v20, v24, v20
	buffer_store_dword v19, off, s[0:3], 0 offset:48
	buffer_store_dword v20, off, s[0:3], 0 offset:52
	v_cmpx_lt_u32_e32 5, v0
	s_cbranch_execz .LBB7_51
; %bb.50:
	s_clause 0x1
	buffer_load_dword v19, off, s[0:3], 0 offset:40
	buffer_load_dword v20, off, s[0:3], 0 offset:44
	buffer_store_dword v18, off, s[0:3], 0 offset:40
	buffer_store_dword v18, off, s[0:3], 0 offset:44
	s_waitcnt vmcnt(0)
	ds_write_b64 v17, v[19:20]
.LBB7_51:
	s_or_b32 exec_lo, exec_lo, s4
	s_waitcnt lgkmcnt(0)
	s_waitcnt_vscnt null, 0x0
	s_barrier
	buffer_gl0_inv
	s_clause 0x5
	buffer_load_dword v22, off, s[0:3], 0 offset:52
	buffer_load_dword v23, off, s[0:3], 0 offset:60
	;; [unrolled: 1-line block ×6, first 2 shown]
	ds_read_b128 v[18:21], v18 offset:112
	s_mov_b32 s4, exec_lo
	s_waitcnt vmcnt(5) lgkmcnt(0)
	v_mul_f32_e32 v28, v19, v22
	v_mul_f32_e32 v22, v18, v22
	s_waitcnt vmcnt(4)
	v_mul_f32_e32 v29, v20, v23
	v_mul_f32_e32 v23, v21, v23
	s_waitcnt vmcnt(3)
	v_fma_f32 v18, v18, v24, -v28
	v_fmac_f32_e32 v22, v19, v24
	s_waitcnt vmcnt(2)
	v_fmac_f32_e32 v29, v21, v25
	v_fma_f32 v19, v20, v25, -v23
	v_add_f32_e32 v18, 0, v18
	v_add_f32_e32 v20, 0, v22
	;; [unrolled: 1-line block ×4, first 2 shown]
	s_waitcnt vmcnt(1)
	v_sub_f32_e32 v18, v26, v18
	s_waitcnt vmcnt(0)
	v_sub_f32_e32 v19, v27, v19
	buffer_store_dword v18, off, s[0:3], 0 offset:40
	buffer_store_dword v19, off, s[0:3], 0 offset:44
	v_cmpx_lt_u32_e32 4, v0
	s_cbranch_execz .LBB7_53
; %bb.52:
	s_clause 0x1
	buffer_load_dword v18, off, s[0:3], 0 offset:32
	buffer_load_dword v19, off, s[0:3], 0 offset:36
	v_mov_b32_e32 v20, 0
	buffer_store_dword v20, off, s[0:3], 0 offset:32
	buffer_store_dword v20, off, s[0:3], 0 offset:36
	s_waitcnt vmcnt(0)
	ds_write_b64 v17, v[18:19]
.LBB7_53:
	s_or_b32 exec_lo, exec_lo, s4
	s_waitcnt lgkmcnt(0)
	s_waitcnt_vscnt null, 0x0
	s_barrier
	buffer_gl0_inv
	s_clause 0x7
	buffer_load_dword v25, off, s[0:3], 0 offset:44
	buffer_load_dword v26, off, s[0:3], 0 offset:52
	;; [unrolled: 1-line block ×8, first 2 shown]
	v_mov_b32_e32 v18, 0
	ds_read2_b64 v[19:22], v18 offset0:13 offset1:14
	ds_read_b64 v[23:24], v18 offset:120
	s_mov_b32 s4, exec_lo
	s_waitcnt vmcnt(7) lgkmcnt(1)
	v_mul_f32_e32 v33, v20, v25
	v_mul_f32_e32 v25, v19, v25
	s_waitcnt vmcnt(6)
	v_mul_f32_e32 v34, v21, v26
	v_mul_f32_e32 v26, v22, v26
	s_waitcnt vmcnt(5) lgkmcnt(0)
	v_mul_f32_e32 v35, v23, v27
	s_waitcnt vmcnt(4)
	v_fma_f32 v19, v19, v28, -v33
	v_fmac_f32_e32 v25, v20, v28
	v_mul_f32_e32 v20, v24, v27
	s_waitcnt vmcnt(3)
	v_fma_f32 v21, v21, v29, -v26
	v_fmac_f32_e32 v34, v22, v29
	v_add_f32_e32 v19, 0, v19
	v_add_f32_e32 v22, 0, v25
	s_waitcnt vmcnt(2)
	v_fma_f32 v20, v23, v30, -v20
	v_fmac_f32_e32 v35, v24, v30
	v_add_f32_e32 v19, v19, v21
	v_add_f32_e32 v21, v22, v34
	;; [unrolled: 1-line block ×4, first 2 shown]
	s_waitcnt vmcnt(1)
	v_sub_f32_e32 v19, v31, v19
	s_waitcnt vmcnt(0)
	v_sub_f32_e32 v20, v32, v20
	buffer_store_dword v19, off, s[0:3], 0 offset:32
	buffer_store_dword v20, off, s[0:3], 0 offset:36
	v_cmpx_lt_u32_e32 3, v0
	s_cbranch_execz .LBB7_55
; %bb.54:
	s_clause 0x1
	buffer_load_dword v19, off, s[0:3], 0 offset:24
	buffer_load_dword v20, off, s[0:3], 0 offset:28
	buffer_store_dword v18, off, s[0:3], 0 offset:24
	buffer_store_dword v18, off, s[0:3], 0 offset:28
	s_waitcnt vmcnt(0)
	ds_write_b64 v17, v[19:20]
.LBB7_55:
	s_or_b32 exec_lo, exec_lo, s4
	s_waitcnt lgkmcnt(0)
	s_waitcnt_vscnt null, 0x0
	s_barrier
	buffer_gl0_inv
	s_clause 0x9
	buffer_load_dword v27, off, s[0:3], 0 offset:36
	buffer_load_dword v28, off, s[0:3], 0 offset:44
	;; [unrolled: 1-line block ×10, first 2 shown]
	ds_read_b128 v[19:22], v18 offset:96
	ds_read_b128 v[23:26], v18 offset:112
	s_mov_b32 s4, exec_lo
	s_waitcnt vmcnt(9) lgkmcnt(1)
	v_mul_f32_e32 v18, v19, v27
	v_mul_f32_e32 v27, v20, v27
	s_waitcnt vmcnt(8)
	v_mul_f32_e32 v37, v21, v28
	v_mul_f32_e32 v28, v22, v28
	s_waitcnt vmcnt(7) lgkmcnt(0)
	v_mul_f32_e32 v38, v23, v29
	s_waitcnt vmcnt(5)
	v_fmac_f32_e32 v18, v20, v31
	v_fma_f32 v19, v19, v31, -v27
	v_mul_f32_e32 v20, v24, v29
	s_waitcnt vmcnt(4)
	v_fma_f32 v21, v21, v32, -v28
	v_fmac_f32_e32 v37, v22, v32
	v_add_f32_e32 v18, 0, v18
	v_add_f32_e32 v19, 0, v19
	v_mul_f32_e32 v22, v26, v30
	s_waitcnt vmcnt(3)
	v_fma_f32 v20, v23, v33, -v20
	v_mul_f32_e32 v39, v25, v30
	v_fmac_f32_e32 v38, v24, v33
	v_add_f32_e32 v19, v19, v21
	v_add_f32_e32 v18, v18, v37
	s_waitcnt vmcnt(2)
	v_fma_f32 v21, v25, v34, -v22
	v_fmac_f32_e32 v39, v26, v34
	v_add_f32_e32 v19, v19, v20
	v_add_f32_e32 v18, v18, v38
	;; [unrolled: 1-line block ×4, first 2 shown]
	s_waitcnt vmcnt(1)
	v_sub_f32_e32 v19, v35, v19
	s_waitcnt vmcnt(0)
	v_sub_f32_e32 v18, v36, v18
	buffer_store_dword v19, off, s[0:3], 0 offset:24
	buffer_store_dword v18, off, s[0:3], 0 offset:28
	v_cmpx_lt_u32_e32 2, v0
	s_cbranch_execz .LBB7_57
; %bb.56:
	s_clause 0x1
	buffer_load_dword v18, off, s[0:3], 0 offset:16
	buffer_load_dword v19, off, s[0:3], 0 offset:20
	v_mov_b32_e32 v20, 0
	buffer_store_dword v20, off, s[0:3], 0 offset:16
	buffer_store_dword v20, off, s[0:3], 0 offset:20
	s_waitcnt vmcnt(0)
	ds_write_b64 v17, v[18:19]
.LBB7_57:
	s_or_b32 exec_lo, exec_lo, s4
	s_waitcnt lgkmcnt(0)
	s_waitcnt_vscnt null, 0x0
	s_barrier
	buffer_gl0_inv
	s_clause 0xb
	buffer_load_dword v29, off, s[0:3], 0 offset:28
	buffer_load_dword v30, off, s[0:3], 0 offset:36
	;; [unrolled: 1-line block ×12, first 2 shown]
	v_mov_b32_e32 v18, 0
	ds_read2_b64 v[19:22], v18 offset0:11 offset1:12
	ds_read2_b64 v[23:26], v18 offset0:13 offset1:14
	ds_read_b64 v[27:28], v18 offset:120
	s_mov_b32 s4, exec_lo
	s_waitcnt vmcnt(11) lgkmcnt(2)
	v_mul_f32_e32 v41, v19, v29
	v_mul_f32_e32 v29, v20, v29
	s_waitcnt vmcnt(10)
	v_mul_f32_e32 v42, v21, v30
	v_mul_f32_e32 v30, v22, v30
	s_waitcnt vmcnt(9) lgkmcnt(1)
	v_mul_f32_e32 v43, v23, v31
	s_waitcnt vmcnt(6)
	v_fmac_f32_e32 v41, v20, v34
	v_fma_f32 v19, v19, v34, -v29
	v_mul_f32_e32 v20, v24, v31
	s_waitcnt vmcnt(5)
	v_fma_f32 v21, v21, v35, -v30
	v_fmac_f32_e32 v42, v22, v35
	v_add_f32_e32 v22, 0, v41
	v_add_f32_e32 v19, 0, v19
	v_mul_f32_e32 v29, v26, v32
	s_waitcnt vmcnt(4)
	v_fma_f32 v20, v23, v36, -v20
	v_mul_f32_e32 v44, v25, v32
	v_fmac_f32_e32 v43, v24, v36
	v_add_f32_e32 v19, v19, v21
	v_add_f32_e32 v21, v22, v42
	s_waitcnt lgkmcnt(0)
	v_mul_f32_e32 v22, v28, v33
	s_waitcnt vmcnt(3)
	v_fma_f32 v23, v25, v37, -v29
	v_mul_f32_e32 v45, v27, v33
	v_add_f32_e32 v19, v19, v20
	v_fmac_f32_e32 v44, v26, v37
	v_add_f32_e32 v20, v21, v43
	s_waitcnt vmcnt(2)
	v_fma_f32 v21, v27, v38, -v22
	v_fmac_f32_e32 v45, v28, v38
	v_add_f32_e32 v19, v19, v23
	v_add_f32_e32 v20, v20, v44
	;; [unrolled: 1-line block ×4, first 2 shown]
	s_waitcnt vmcnt(1)
	v_sub_f32_e32 v19, v39, v19
	s_waitcnt vmcnt(0)
	v_sub_f32_e32 v20, v40, v20
	buffer_store_dword v19, off, s[0:3], 0 offset:16
	buffer_store_dword v20, off, s[0:3], 0 offset:20
	v_cmpx_lt_u32_e32 1, v0
	s_cbranch_execz .LBB7_59
; %bb.58:
	s_clause 0x1
	buffer_load_dword v19, off, s[0:3], 0 offset:8
	buffer_load_dword v20, off, s[0:3], 0 offset:12
	buffer_store_dword v18, off, s[0:3], 0 offset:8
	buffer_store_dword v18, off, s[0:3], 0 offset:12
	s_waitcnt vmcnt(0)
	ds_write_b64 v17, v[19:20]
.LBB7_59:
	s_or_b32 exec_lo, exec_lo, s4
	s_waitcnt lgkmcnt(0)
	s_waitcnt_vscnt null, 0x0
	s_barrier
	buffer_gl0_inv
	s_clause 0xd
	buffer_load_dword v31, off, s[0:3], 0 offset:20
	buffer_load_dword v32, off, s[0:3], 0 offset:28
	;; [unrolled: 1-line block ×14, first 2 shown]
	ds_read_b128 v[19:22], v18 offset:80
	ds_read_b128 v[23:26], v18 offset:96
	;; [unrolled: 1-line block ×3, first 2 shown]
	s_mov_b32 s4, exec_lo
	s_waitcnt vmcnt(13) lgkmcnt(2)
	v_mul_f32_e32 v18, v19, v31
	v_mul_f32_e32 v31, v20, v31
	s_waitcnt vmcnt(12)
	v_mul_f32_e32 v45, v21, v32
	v_mul_f32_e32 v32, v22, v32
	s_waitcnt vmcnt(11) lgkmcnt(1)
	v_mul_f32_e32 v46, v23, v33
	s_waitcnt vmcnt(10)
	v_mul_f32_e32 v47, v25, v34
	s_waitcnt vmcnt(7)
	v_fma_f32 v19, v19, v37, -v31
	v_fmac_f32_e32 v18, v20, v37
	v_mul_f32_e32 v20, v24, v33
	s_waitcnt vmcnt(6)
	v_fma_f32 v21, v21, v38, -v32
	v_fmac_f32_e32 v45, v22, v38
	v_add_f32_e32 v19, 0, v19
	v_add_f32_e32 v18, 0, v18
	v_mul_f32_e32 v22, v26, v34
	s_waitcnt vmcnt(5)
	v_fma_f32 v20, v23, v39, -v20
	v_fmac_f32_e32 v46, v24, v39
	v_add_f32_e32 v19, v19, v21
	v_add_f32_e32 v18, v18, v45
	s_waitcnt lgkmcnt(0)
	v_mul_f32_e32 v21, v28, v35
	s_waitcnt vmcnt(4)
	v_fma_f32 v22, v25, v40, -v22
	v_mul_f32_e32 v48, v27, v35
	v_add_f32_e32 v19, v19, v20
	v_fmac_f32_e32 v47, v26, v40
	v_add_f32_e32 v18, v18, v46
	v_mul_f32_e32 v20, v30, v36
	s_waitcnt vmcnt(3)
	v_fma_f32 v21, v27, v41, -v21
	v_add_f32_e32 v19, v19, v22
	v_mul_f32_e32 v49, v29, v36
	v_fmac_f32_e32 v48, v28, v41
	v_add_f32_e32 v18, v18, v47
	s_waitcnt vmcnt(2)
	v_fma_f32 v20, v29, v42, -v20
	v_add_f32_e32 v19, v19, v21
	v_fmac_f32_e32 v49, v30, v42
	v_add_f32_e32 v18, v18, v48
	v_add_f32_e32 v19, v19, v20
	;; [unrolled: 1-line block ×3, first 2 shown]
	s_waitcnt vmcnt(1)
	v_sub_f32_e32 v19, v43, v19
	s_waitcnt vmcnt(0)
	v_sub_f32_e32 v18, v44, v18
	buffer_store_dword v19, off, s[0:3], 0 offset:8
	buffer_store_dword v18, off, s[0:3], 0 offset:12
	v_cmpx_ne_u32_e32 0, v0
	s_cbranch_execz .LBB7_61
; %bb.60:
	s_clause 0x1
	buffer_load_dword v18, off, s[0:3], 0
	buffer_load_dword v19, off, s[0:3], 0 offset:4
	v_mov_b32_e32 v0, 0
	buffer_store_dword v0, off, s[0:3], 0
	buffer_store_dword v0, off, s[0:3], 0 offset:4
	s_waitcnt vmcnt(0)
	ds_write_b64 v17, v[18:19]
.LBB7_61:
	s_or_b32 exec_lo, exec_lo, s4
	s_waitcnt lgkmcnt(0)
	s_waitcnt_vscnt null, 0x0
	s_barrier
	buffer_gl0_inv
	s_clause 0xf
	buffer_load_dword v33, off, s[0:3], 0 offset:12
	buffer_load_dword v34, off, s[0:3], 0 offset:20
	;; [unrolled: 1-line block ×14, first 2 shown]
	buffer_load_dword v45, off, s[0:3], 0
	buffer_load_dword v46, off, s[0:3], 0 offset:4
	v_mov_b32_e32 v18, 0
	ds_read2_b64 v[19:22], v18 offset0:9 offset1:10
	ds_read2_b64 v[23:26], v18 offset0:11 offset1:12
	;; [unrolled: 1-line block ×3, first 2 shown]
	ds_read_b64 v[31:32], v18 offset:120
	s_and_b32 vcc_lo, exec_lo, s22
	s_waitcnt vmcnt(15) lgkmcnt(3)
	v_mul_f32_e32 v47, v19, v33
	v_mul_f32_e32 v33, v20, v33
	s_waitcnt vmcnt(14)
	v_mul_f32_e32 v48, v21, v34
	v_mul_f32_e32 v34, v22, v34
	s_waitcnt vmcnt(13) lgkmcnt(2)
	v_mul_f32_e32 v49, v23, v35
	s_waitcnt vmcnt(12)
	v_mul_f32_e32 v50, v25, v36
	s_waitcnt vmcnt(11) lgkmcnt(1)
	v_mul_f32_e32 v51, v27, v37
	s_waitcnt vmcnt(8)
	v_fma_f32 v19, v19, v39, -v33
	v_fmac_f32_e32 v47, v20, v39
	v_mul_f32_e32 v20, v24, v35
	s_waitcnt vmcnt(7)
	v_fma_f32 v21, v21, v40, -v34
	v_fmac_f32_e32 v48, v22, v40
	v_add_f32_e32 v19, 0, v19
	v_add_f32_e32 v22, 0, v47
	v_mul_f32_e32 v33, v26, v36
	s_waitcnt vmcnt(6)
	v_fma_f32 v20, v23, v41, -v20
	v_fmac_f32_e32 v49, v24, v41
	v_add_f32_e32 v19, v19, v21
	v_add_f32_e32 v21, v22, v48
	;; [unrolled: 6-line block ×3, first 2 shown]
	v_mul_f32_e32 v21, v30, v0
	s_waitcnt vmcnt(4)
	v_fma_f32 v22, v27, v43, -v22
	v_mul_f32_e32 v52, v29, v0
	v_add_f32_e32 v19, v19, v23
	v_fmac_f32_e32 v51, v28, v43
	v_add_f32_e32 v20, v20, v50
	s_waitcnt lgkmcnt(0)
	v_mul_f32_e32 v23, v32, v38
	s_waitcnt vmcnt(3)
	v_fma_f32 v21, v29, v17, -v21
	v_add_f32_e32 v19, v19, v22
	v_mul_f32_e32 v53, v31, v38
	v_fmac_f32_e32 v52, v30, v17
	v_add_f32_e32 v20, v20, v51
	s_waitcnt vmcnt(2)
	v_fma_f32 v22, v31, v44, -v23
	v_add_f32_e32 v19, v19, v21
	v_fmac_f32_e32 v53, v32, v44
	v_add_f32_e32 v20, v20, v52
	v_add_f32_e32 v19, v19, v22
	;; [unrolled: 1-line block ×3, first 2 shown]
	s_waitcnt vmcnt(1)
	v_sub_f32_e32 v19, v45, v19
	s_waitcnt vmcnt(0)
	v_sub_f32_e32 v20, v46, v20
	buffer_store_dword v19, off, s[0:3], 0
	buffer_store_dword v20, off, s[0:3], 0 offset:4
	s_cbranch_vccz .LBB7_76
; %bb.62:
	global_load_dword v18, v18, s[20:21] offset:24
	s_waitcnt vmcnt(0)
	v_add_nc_u32_e32 v18, -1, v18
	v_cmp_ne_u32_e32 vcc_lo, 6, v18
	s_cbranch_vccz .LBB7_64
; %bb.63:
	v_lshlrev_b32_e32 v18, 3, v18
	s_clause 0x1
	buffer_load_dword v19, v18, s[0:3], 0 offen offset:4
	buffer_load_dword v20, v18, s[0:3], 0 offen
	s_waitcnt vmcnt(1)
	buffer_store_dword v19, off, s[0:3], 0 offset:52
	s_waitcnt vmcnt(0)
	buffer_store_dword v20, off, s[0:3], 0 offset:48
	buffer_store_dword v0, v18, s[0:3], 0 offen offset:4
	buffer_store_dword v17, v18, s[0:3], 0 offen
.LBB7_64:
	v_mov_b32_e32 v0, 0
	global_load_dword v17, v0, s[20:21] offset:20
	s_waitcnt vmcnt(0)
	v_add_nc_u32_e32 v17, -1, v17
	v_cmp_eq_u32_e32 vcc_lo, 5, v17
	s_cbranch_vccnz .LBB7_66
; %bb.65:
	v_lshlrev_b32_e32 v17, 3, v17
	s_clause 0x3
	buffer_load_dword v18, v17, s[0:3], 0 offen
	buffer_load_dword v19, v17, s[0:3], 0 offen offset:4
	buffer_load_dword v20, off, s[0:3], 0 offset:40
	buffer_load_dword v21, off, s[0:3], 0 offset:44
	s_waitcnt vmcnt(3)
	buffer_store_dword v18, off, s[0:3], 0 offset:40
	s_waitcnt vmcnt(2)
	buffer_store_dword v19, off, s[0:3], 0 offset:44
	s_waitcnt vmcnt(1)
	buffer_store_dword v20, v17, s[0:3], 0 offen
	s_waitcnt vmcnt(0)
	buffer_store_dword v21, v17, s[0:3], 0 offen offset:4
.LBB7_66:
	global_load_dword v0, v0, s[20:21] offset:16
	s_waitcnt vmcnt(0)
	v_add_nc_u32_e32 v0, -1, v0
	v_cmp_eq_u32_e32 vcc_lo, 4, v0
	s_cbranch_vccnz .LBB7_68
; %bb.67:
	v_lshlrev_b32_e32 v0, 3, v0
	s_clause 0x3
	buffer_load_dword v17, v0, s[0:3], 0 offen
	buffer_load_dword v18, v0, s[0:3], 0 offen offset:4
	buffer_load_dword v19, off, s[0:3], 0 offset:36
	buffer_load_dword v20, off, s[0:3], 0 offset:32
	s_waitcnt vmcnt(3)
	buffer_store_dword v17, off, s[0:3], 0 offset:32
	s_waitcnt vmcnt(2)
	buffer_store_dword v18, off, s[0:3], 0 offset:36
	s_waitcnt vmcnt(1)
	buffer_store_dword v19, v0, s[0:3], 0 offen offset:4
	s_waitcnt vmcnt(0)
	buffer_store_dword v20, v0, s[0:3], 0 offen
.LBB7_68:
	v_mov_b32_e32 v0, 0
	global_load_dword v17, v0, s[20:21] offset:12
	s_waitcnt vmcnt(0)
	v_add_nc_u32_e32 v17, -1, v17
	v_cmp_eq_u32_e32 vcc_lo, 3, v17
	s_cbranch_vccnz .LBB7_70
; %bb.69:
	v_lshlrev_b32_e32 v17, 3, v17
	s_clause 0x3
	buffer_load_dword v18, v17, s[0:3], 0 offen
	buffer_load_dword v19, v17, s[0:3], 0 offen offset:4
	buffer_load_dword v20, off, s[0:3], 0 offset:24
	buffer_load_dword v21, off, s[0:3], 0 offset:28
	s_waitcnt vmcnt(3)
	buffer_store_dword v18, off, s[0:3], 0 offset:24
	s_waitcnt vmcnt(2)
	buffer_store_dword v19, off, s[0:3], 0 offset:28
	s_waitcnt vmcnt(1)
	buffer_store_dword v20, v17, s[0:3], 0 offen
	s_waitcnt vmcnt(0)
	buffer_store_dword v21, v17, s[0:3], 0 offen offset:4
.LBB7_70:
	global_load_dword v0, v0, s[20:21] offset:8
	s_waitcnt vmcnt(0)
	v_add_nc_u32_e32 v0, -1, v0
	v_cmp_eq_u32_e32 vcc_lo, 2, v0
	s_cbranch_vccnz .LBB7_72
; %bb.71:
	v_lshlrev_b32_e32 v0, 3, v0
	s_clause 0x3
	buffer_load_dword v17, v0, s[0:3], 0 offen
	buffer_load_dword v18, v0, s[0:3], 0 offen offset:4
	buffer_load_dword v19, off, s[0:3], 0 offset:20
	buffer_load_dword v20, off, s[0:3], 0 offset:16
	s_waitcnt vmcnt(3)
	buffer_store_dword v17, off, s[0:3], 0 offset:16
	s_waitcnt vmcnt(2)
	buffer_store_dword v18, off, s[0:3], 0 offset:20
	s_waitcnt vmcnt(1)
	buffer_store_dword v19, v0, s[0:3], 0 offen offset:4
	s_waitcnt vmcnt(0)
	buffer_store_dword v20, v0, s[0:3], 0 offen
.LBB7_72:
	v_mov_b32_e32 v0, 0
	global_load_dword v17, v0, s[20:21] offset:4
	s_waitcnt vmcnt(0)
	v_add_nc_u32_e32 v17, -1, v17
	v_cmp_eq_u32_e32 vcc_lo, 1, v17
	s_cbranch_vccnz .LBB7_74
; %bb.73:
	v_lshlrev_b32_e32 v17, 3, v17
	s_clause 0x3
	buffer_load_dword v18, v17, s[0:3], 0 offen
	buffer_load_dword v19, v17, s[0:3], 0 offen offset:4
	buffer_load_dword v20, off, s[0:3], 0 offset:8
	buffer_load_dword v21, off, s[0:3], 0 offset:12
	s_waitcnt vmcnt(3)
	buffer_store_dword v18, off, s[0:3], 0 offset:8
	s_waitcnt vmcnt(2)
	buffer_store_dword v19, off, s[0:3], 0 offset:12
	s_waitcnt vmcnt(1)
	buffer_store_dword v20, v17, s[0:3], 0 offen
	s_waitcnt vmcnt(0)
	buffer_store_dword v21, v17, s[0:3], 0 offen offset:4
.LBB7_74:
	global_load_dword v0, v0, s[20:21]
	s_waitcnt vmcnt(0)
	v_add_nc_u32_e32 v0, -1, v0
	v_cmp_eq_u32_e32 vcc_lo, 0, v0
	s_cbranch_vccnz .LBB7_76
; %bb.75:
	v_lshlrev_b32_e32 v0, 3, v0
	s_clause 0x3
	buffer_load_dword v17, v0, s[0:3], 0 offen
	buffer_load_dword v18, v0, s[0:3], 0 offen offset:4
	buffer_load_dword v19, off, s[0:3], 0 offset:4
	buffer_load_dword v20, off, s[0:3], 0
	s_waitcnt vmcnt(3)
	buffer_store_dword v17, off, s[0:3], 0
	s_waitcnt vmcnt(2)
	buffer_store_dword v18, off, s[0:3], 0 offset:4
	s_waitcnt vmcnt(1)
	buffer_store_dword v19, v0, s[0:3], 0 offen offset:4
	s_waitcnt vmcnt(0)
	buffer_store_dword v20, v0, s[0:3], 0 offen
.LBB7_76:
	s_clause 0xf
	buffer_load_dword v17, off, s[0:3], 0
	buffer_load_dword v18, off, s[0:3], 0 offset:4
	buffer_load_dword v19, off, s[0:3], 0 offset:8
	buffer_load_dword v20, off, s[0:3], 0 offset:12
	buffer_load_dword v21, off, s[0:3], 0 offset:16
	buffer_load_dword v22, off, s[0:3], 0 offset:20
	buffer_load_dword v23, off, s[0:3], 0 offset:24
	buffer_load_dword v24, off, s[0:3], 0 offset:28
	buffer_load_dword v25, off, s[0:3], 0 offset:32
	buffer_load_dword v26, off, s[0:3], 0 offset:36
	buffer_load_dword v27, off, s[0:3], 0 offset:40
	buffer_load_dword v28, off, s[0:3], 0 offset:44
	buffer_load_dword v29, off, s[0:3], 0 offset:48
	buffer_load_dword v30, off, s[0:3], 0 offset:52
	buffer_load_dword v31, off, s[0:3], 0 offset:56
	buffer_load_dword v32, off, s[0:3], 0 offset:60
	s_waitcnt vmcnt(14)
	global_store_dwordx2 v[1:2], v[17:18], off
	s_waitcnt vmcnt(12)
	global_store_dwordx2 v[3:4], v[19:20], off
	;; [unrolled: 2-line block ×8, first 2 shown]
	s_endpgm
	.section	.rodata,"a",@progbits
	.p2align	6, 0x0
	.amdhsa_kernel _ZN9rocsolver6v33100L18getri_kernel_smallILi8E19rocblas_complex_numIfEPS3_EEvT1_iilPiilS6_bb
		.amdhsa_group_segment_fixed_size 132
		.amdhsa_private_segment_fixed_size 80
		.amdhsa_kernarg_size 60
		.amdhsa_user_sgpr_count 6
		.amdhsa_user_sgpr_private_segment_buffer 1
		.amdhsa_user_sgpr_dispatch_ptr 0
		.amdhsa_user_sgpr_queue_ptr 0
		.amdhsa_user_sgpr_kernarg_segment_ptr 1
		.amdhsa_user_sgpr_dispatch_id 0
		.amdhsa_user_sgpr_flat_scratch_init 0
		.amdhsa_user_sgpr_private_segment_size 0
		.amdhsa_wavefront_size32 1
		.amdhsa_uses_dynamic_stack 0
		.amdhsa_system_sgpr_private_segment_wavefront_offset 1
		.amdhsa_system_sgpr_workgroup_id_x 1
		.amdhsa_system_sgpr_workgroup_id_y 0
		.amdhsa_system_sgpr_workgroup_id_z 0
		.amdhsa_system_sgpr_workgroup_info 0
		.amdhsa_system_vgpr_workitem_id 0
		.amdhsa_next_free_vgpr 54
		.amdhsa_next_free_sgpr 23
		.amdhsa_reserve_vcc 1
		.amdhsa_reserve_flat_scratch 0
		.amdhsa_float_round_mode_32 0
		.amdhsa_float_round_mode_16_64 0
		.amdhsa_float_denorm_mode_32 3
		.amdhsa_float_denorm_mode_16_64 3
		.amdhsa_dx10_clamp 1
		.amdhsa_ieee_mode 1
		.amdhsa_fp16_overflow 0
		.amdhsa_workgroup_processor_mode 1
		.amdhsa_memory_ordered 1
		.amdhsa_forward_progress 1
		.amdhsa_shared_vgpr_count 0
		.amdhsa_exception_fp_ieee_invalid_op 0
		.amdhsa_exception_fp_denorm_src 0
		.amdhsa_exception_fp_ieee_div_zero 0
		.amdhsa_exception_fp_ieee_overflow 0
		.amdhsa_exception_fp_ieee_underflow 0
		.amdhsa_exception_fp_ieee_inexact 0
		.amdhsa_exception_int_div_zero 0
	.end_amdhsa_kernel
	.section	.text._ZN9rocsolver6v33100L18getri_kernel_smallILi8E19rocblas_complex_numIfEPS3_EEvT1_iilPiilS6_bb,"axG",@progbits,_ZN9rocsolver6v33100L18getri_kernel_smallILi8E19rocblas_complex_numIfEPS3_EEvT1_iilPiilS6_bb,comdat
.Lfunc_end7:
	.size	_ZN9rocsolver6v33100L18getri_kernel_smallILi8E19rocblas_complex_numIfEPS3_EEvT1_iilPiilS6_bb, .Lfunc_end7-_ZN9rocsolver6v33100L18getri_kernel_smallILi8E19rocblas_complex_numIfEPS3_EEvT1_iilPiilS6_bb
                                        ; -- End function
	.set _ZN9rocsolver6v33100L18getri_kernel_smallILi8E19rocblas_complex_numIfEPS3_EEvT1_iilPiilS6_bb.num_vgpr, 54
	.set _ZN9rocsolver6v33100L18getri_kernel_smallILi8E19rocblas_complex_numIfEPS3_EEvT1_iilPiilS6_bb.num_agpr, 0
	.set _ZN9rocsolver6v33100L18getri_kernel_smallILi8E19rocblas_complex_numIfEPS3_EEvT1_iilPiilS6_bb.numbered_sgpr, 23
	.set _ZN9rocsolver6v33100L18getri_kernel_smallILi8E19rocblas_complex_numIfEPS3_EEvT1_iilPiilS6_bb.num_named_barrier, 0
	.set _ZN9rocsolver6v33100L18getri_kernel_smallILi8E19rocblas_complex_numIfEPS3_EEvT1_iilPiilS6_bb.private_seg_size, 80
	.set _ZN9rocsolver6v33100L18getri_kernel_smallILi8E19rocblas_complex_numIfEPS3_EEvT1_iilPiilS6_bb.uses_vcc, 1
	.set _ZN9rocsolver6v33100L18getri_kernel_smallILi8E19rocblas_complex_numIfEPS3_EEvT1_iilPiilS6_bb.uses_flat_scratch, 0
	.set _ZN9rocsolver6v33100L18getri_kernel_smallILi8E19rocblas_complex_numIfEPS3_EEvT1_iilPiilS6_bb.has_dyn_sized_stack, 0
	.set _ZN9rocsolver6v33100L18getri_kernel_smallILi8E19rocblas_complex_numIfEPS3_EEvT1_iilPiilS6_bb.has_recursion, 0
	.set _ZN9rocsolver6v33100L18getri_kernel_smallILi8E19rocblas_complex_numIfEPS3_EEvT1_iilPiilS6_bb.has_indirect_call, 0
	.section	.AMDGPU.csdata,"",@progbits
; Kernel info:
; codeLenInByte = 6800
; TotalNumSgprs: 25
; NumVgprs: 54
; ScratchSize: 80
; MemoryBound: 0
; FloatMode: 240
; IeeeMode: 1
; LDSByteSize: 132 bytes/workgroup (compile time only)
; SGPRBlocks: 0
; VGPRBlocks: 6
; NumSGPRsForWavesPerEU: 25
; NumVGPRsForWavesPerEU: 54
; Occupancy: 16
; WaveLimiterHint : 0
; COMPUTE_PGM_RSRC2:SCRATCH_EN: 1
; COMPUTE_PGM_RSRC2:USER_SGPR: 6
; COMPUTE_PGM_RSRC2:TRAP_HANDLER: 0
; COMPUTE_PGM_RSRC2:TGID_X_EN: 1
; COMPUTE_PGM_RSRC2:TGID_Y_EN: 0
; COMPUTE_PGM_RSRC2:TGID_Z_EN: 0
; COMPUTE_PGM_RSRC2:TIDIG_COMP_CNT: 0
	.section	.text._ZN9rocsolver6v33100L18getri_kernel_smallILi9E19rocblas_complex_numIfEPS3_EEvT1_iilPiilS6_bb,"axG",@progbits,_ZN9rocsolver6v33100L18getri_kernel_smallILi9E19rocblas_complex_numIfEPS3_EEvT1_iilPiilS6_bb,comdat
	.globl	_ZN9rocsolver6v33100L18getri_kernel_smallILi9E19rocblas_complex_numIfEPS3_EEvT1_iilPiilS6_bb ; -- Begin function _ZN9rocsolver6v33100L18getri_kernel_smallILi9E19rocblas_complex_numIfEPS3_EEvT1_iilPiilS6_bb
	.p2align	8
	.type	_ZN9rocsolver6v33100L18getri_kernel_smallILi9E19rocblas_complex_numIfEPS3_EEvT1_iilPiilS6_bb,@function
_ZN9rocsolver6v33100L18getri_kernel_smallILi9E19rocblas_complex_numIfEPS3_EEvT1_iilPiilS6_bb: ; @_ZN9rocsolver6v33100L18getri_kernel_smallILi9E19rocblas_complex_numIfEPS3_EEvT1_iilPiilS6_bb
; %bb.0:
	s_add_u32 s0, s0, s7
	s_addc_u32 s1, s1, 0
	s_mov_b32 s7, exec_lo
	v_cmpx_gt_u32_e32 9, v0
	s_cbranch_execz .LBB8_50
; %bb.1:
	s_clause 0x2
	s_load_dword s7, s[4:5], 0x38
	s_load_dwordx4 s[16:19], s[4:5], 0x10
	s_load_dwordx4 s[8:11], s[4:5], 0x28
                                        ; implicit-def: $sgpr20_sgpr21
	s_waitcnt lgkmcnt(0)
	s_bitcmp1_b32 s7, 8
	s_cselect_b32 s22, -1, 0
	s_bfe_u32 s12, s7, 0x10008
	s_ashr_i32 s7, s6, 31
	s_cmp_eq_u32 s12, 0
	s_cbranch_scc1 .LBB8_3
; %bb.2:
	s_load_dword s12, s[4:5], 0x20
	s_mul_i32 s13, s8, s7
	s_mul_hi_u32 s14, s8, s6
	s_mul_i32 s9, s9, s6
	s_add_i32 s13, s14, s13
	s_mul_i32 s8, s8, s6
	s_add_i32 s9, s13, s9
	s_lshl_b64 s[8:9], s[8:9], 2
	s_waitcnt lgkmcnt(0)
	s_ashr_i32 s13, s12, 31
	s_add_u32 s14, s18, s8
	s_addc_u32 s15, s19, s9
	s_lshl_b64 s[8:9], s[12:13], 2
	s_add_u32 s20, s14, s8
	s_addc_u32 s21, s15, s9
.LBB8_3:
	s_clause 0x1
	s_load_dwordx4 s[12:15], s[4:5], 0x0
	s_load_dword s18, s[4:5], 0x38
	s_mul_i32 s4, s16, s7
	s_mul_hi_u32 s5, s16, s6
	s_mul_i32 s8, s17, s6
	s_add_i32 s5, s5, s4
	s_mul_i32 s4, s16, s6
	s_add_i32 s5, s5, s8
	v_lshlrev_b32_e32 v21, 3, v0
	s_lshl_b64 s[4:5], s[4:5], 3
	s_waitcnt lgkmcnt(0)
	v_add3_u32 v3, s15, s15, v0
	s_ashr_i32 s9, s14, 31
	s_mov_b32 s8, s14
	s_add_u32 s12, s12, s4
	s_addc_u32 s13, s13, s5
	v_add_nc_u32_e32 v5, s15, v3
	s_lshl_b64 s[4:5], s[8:9], 3
	v_ashrrev_i32_e32 v4, 31, v3
	s_add_u32 s4, s12, s4
	s_addc_u32 s5, s13, s5
	v_add_nc_u32_e32 v9, s15, v5
	v_ashrrev_i32_e32 v6, 31, v5
	v_add_co_u32 v1, s12, s4, v21
	s_mov_b32 s8, s15
	s_ashr_i32 s9, s15, 31
	v_lshlrev_b64 v[7:8], 3, v[3:4]
	v_add_nc_u32_e32 v13, s15, v9
	v_add_co_ci_u32_e64 v2, null, s5, 0, s12
	s_lshl_b64 s[8:9], s[8:9], 3
	v_lshlrev_b64 v[11:12], 3, v[5:6]
	v_add_co_u32 v3, vcc_lo, v1, s8
	v_ashrrev_i32_e32 v14, 31, v13
	v_add_co_ci_u32_e64 v4, null, s9, v2, vcc_lo
	v_add_co_u32 v5, vcc_lo, s4, v7
	v_add_co_ci_u32_e64 v6, null, s5, v8, vcc_lo
	v_add_co_u32 v7, vcc_lo, s4, v11
	v_add_co_ci_u32_e64 v8, null, s5, v12, vcc_lo
	v_lshlrev_b64 v[11:12], 3, v[13:14]
	v_add_nc_u32_e32 v13, s15, v13
	v_ashrrev_i32_e32 v10, 31, v9
	global_load_dwordx2 v[19:20], v21, s[4:5]
	s_bitcmp0_b32 s18, 0
	v_add_nc_u32_e32 v15, s15, v13
	v_ashrrev_i32_e32 v14, 31, v13
	v_lshlrev_b64 v[9:10], 3, v[9:10]
	v_add_nc_u32_e32 v17, s15, v15
	v_ashrrev_i32_e32 v16, 31, v15
	v_lshlrev_b64 v[13:14], 3, v[13:14]
	v_add_co_u32 v9, vcc_lo, s4, v9
	v_ashrrev_i32_e32 v18, 31, v17
	v_lshlrev_b64 v[15:16], 3, v[15:16]
	v_add_co_ci_u32_e64 v10, null, s5, v10, vcc_lo
	v_add_co_u32 v11, vcc_lo, s4, v11
	v_lshlrev_b64 v[32:33], 3, v[17:18]
	v_add_co_ci_u32_e64 v12, null, s5, v12, vcc_lo
	v_add_co_u32 v13, vcc_lo, s4, v13
	v_add_co_ci_u32_e64 v14, null, s5, v14, vcc_lo
	v_add_co_u32 v17, vcc_lo, s4, v15
	;; [unrolled: 2-line block ×3, first 2 shown]
	v_add_co_ci_u32_e64 v16, null, s5, v33, vcc_lo
	s_clause 0x7
	global_load_dwordx2 v[22:23], v[3:4], off
	global_load_dwordx2 v[24:25], v[5:6], off
	;; [unrolled: 1-line block ×8, first 2 shown]
	s_mov_b32 s5, -1
	s_waitcnt vmcnt(8)
	buffer_store_dword v20, off, s[0:3], 0 offset:4
	buffer_store_dword v19, off, s[0:3], 0
	s_waitcnt vmcnt(7)
	buffer_store_dword v23, off, s[0:3], 0 offset:12
	buffer_store_dword v22, off, s[0:3], 0 offset:8
	s_waitcnt vmcnt(6)
	buffer_store_dword v25, off, s[0:3], 0 offset:20
	buffer_store_dword v24, off, s[0:3], 0 offset:16
	;; [unrolled: 3-line block ×8, first 2 shown]
	s_cbranch_scc1 .LBB8_48
; %bb.4:
	v_cmp_eq_u32_e64 s4, 0, v0
	s_and_saveexec_b32 s5, s4
; %bb.5:
	v_mov_b32_e32 v19, 0
	ds_write_b32 v19, v19 offset:72
; %bb.6:
	s_or_b32 exec_lo, exec_lo, s5
	v_lshl_add_u32 v23, v0, 3, 0
	s_waitcnt lgkmcnt(0)
	s_waitcnt_vscnt null, 0x0
	s_barrier
	buffer_gl0_inv
	s_clause 0x1
	buffer_load_dword v19, v23, s[0:3], 0 offen
	buffer_load_dword v20, v23, s[0:3], 0 offen offset:4
	s_waitcnt vmcnt(1)
	v_cmp_eq_f32_e32 vcc_lo, 0, v19
	s_waitcnt vmcnt(0)
	v_cmp_eq_f32_e64 s5, 0, v20
	s_and_b32 s5, vcc_lo, s5
	s_and_saveexec_b32 s8, s5
	s_cbranch_execz .LBB8_10
; %bb.7:
	v_mov_b32_e32 v19, 0
	s_mov_b32 s9, 0
	ds_read_b32 v20, v19 offset:72
	s_waitcnt lgkmcnt(0)
	v_readfirstlane_b32 s5, v20
	v_add_nc_u32_e32 v20, 1, v0
	s_cmp_eq_u32 s5, 0
	v_cmp_gt_i32_e32 vcc_lo, s5, v20
	s_cselect_b32 s12, -1, 0
	s_or_b32 s12, s12, vcc_lo
	s_and_b32 exec_lo, exec_lo, s12
	s_cbranch_execz .LBB8_10
; %bb.8:
	v_mov_b32_e32 v22, s5
.LBB8_9:                                ; =>This Inner Loop Header: Depth=1
	ds_cmpst_rtn_b32 v22, v19, v22, v20 offset:72
	s_waitcnt lgkmcnt(0)
	v_cmp_ne_u32_e32 vcc_lo, 0, v22
	v_cmp_le_i32_e64 s5, v22, v20
	s_and_b32 s5, vcc_lo, s5
	s_and_b32 s5, exec_lo, s5
	s_or_b32 s9, s5, s9
	s_andn2_b32 exec_lo, exec_lo, s9
	s_cbranch_execnz .LBB8_9
.LBB8_10:
	s_or_b32 exec_lo, exec_lo, s8
	v_mov_b32_e32 v19, 0
	s_barrier
	buffer_gl0_inv
	ds_read_b32 v20, v19 offset:72
	s_and_saveexec_b32 s5, s4
	s_cbranch_execz .LBB8_12
; %bb.11:
	s_lshl_b64 s[8:9], s[6:7], 2
	s_add_u32 s8, s10, s8
	s_addc_u32 s9, s11, s9
	s_waitcnt lgkmcnt(0)
	global_store_dword v19, v20, s[8:9]
.LBB8_12:
	s_or_b32 exec_lo, exec_lo, s5
	s_waitcnt lgkmcnt(0)
	v_cmp_ne_u32_e32 vcc_lo, 0, v20
	s_mov_b32 s5, 0
	s_cbranch_vccnz .LBB8_48
; %bb.13:
	s_clause 0x1
	buffer_load_dword v20, v23, s[0:3], 0 offen
	buffer_load_dword v22, v23, s[0:3], 0 offen offset:4
                                        ; implicit-def: $vgpr25
                                        ; implicit-def: $vgpr24
                                        ; implicit-def: $vgpr19
	s_waitcnt vmcnt(0)
	v_cmp_ngt_f32_e64 s5, |v20|, |v22|
	s_and_saveexec_b32 s8, s5
	s_xor_b32 s5, exec_lo, s8
	s_cbranch_execz .LBB8_15
; %bb.14:
	v_div_scale_f32 v19, null, v22, v22, v20
	v_div_scale_f32 v26, vcc_lo, v20, v22, v20
	v_rcp_f32_e32 v24, v19
	v_fma_f32 v25, -v19, v24, 1.0
	v_fmac_f32_e32 v24, v25, v24
	v_mul_f32_e32 v25, v26, v24
	v_fma_f32 v27, -v19, v25, v26
	v_fmac_f32_e32 v25, v27, v24
	v_fma_f32 v19, -v19, v25, v26
	v_div_fmas_f32 v19, v19, v24, v25
	v_div_fixup_f32 v19, v19, v22, v20
	v_fmac_f32_e32 v22, v20, v19
	v_div_scale_f32 v20, null, v22, v22, 1.0
	v_rcp_f32_e32 v24, v20
	v_fma_f32 v25, -v20, v24, 1.0
	v_fmac_f32_e32 v24, v25, v24
	v_div_scale_f32 v25, vcc_lo, 1.0, v22, 1.0
	v_mul_f32_e32 v26, v25, v24
	v_fma_f32 v27, -v20, v26, v25
	v_fmac_f32_e32 v26, v27, v24
	v_fma_f32 v20, -v20, v26, v25
	v_div_fmas_f32 v20, v20, v24, v26
	v_div_fixup_f32 v20, v20, v22, 1.0
                                        ; implicit-def: $vgpr22
	v_mul_f32_e32 v25, v19, v20
	v_xor_b32_e32 v24, 0x80000000, v20
                                        ; implicit-def: $vgpr20
	v_xor_b32_e32 v19, 0x80000000, v25
.LBB8_15:
	s_andn2_saveexec_b32 s5, s5
	s_cbranch_execz .LBB8_17
; %bb.16:
	v_div_scale_f32 v19, null, v20, v20, v22
	v_div_scale_f32 v26, vcc_lo, v22, v20, v22
	v_rcp_f32_e32 v24, v19
	v_fma_f32 v25, -v19, v24, 1.0
	v_fmac_f32_e32 v24, v25, v24
	v_mul_f32_e32 v25, v26, v24
	v_fma_f32 v27, -v19, v25, v26
	v_fmac_f32_e32 v25, v27, v24
	v_fma_f32 v19, -v19, v25, v26
	v_div_fmas_f32 v19, v19, v24, v25
	v_div_fixup_f32 v24, v19, v20, v22
	v_fmac_f32_e32 v20, v22, v24
	v_div_scale_f32 v19, null, v20, v20, 1.0
	v_div_scale_f32 v26, vcc_lo, 1.0, v20, 1.0
	v_rcp_f32_e32 v22, v19
	v_fma_f32 v25, -v19, v22, 1.0
	v_fmac_f32_e32 v22, v25, v22
	v_mul_f32_e32 v25, v26, v22
	v_fma_f32 v27, -v19, v25, v26
	v_fmac_f32_e32 v25, v27, v22
	v_fma_f32 v19, -v19, v25, v26
	v_div_fmas_f32 v19, v19, v22, v25
	v_div_fixup_f32 v25, v19, v20, 1.0
	v_xor_b32_e32 v19, 0x80000000, v25
	v_mul_f32_e64 v24, v24, -v25
.LBB8_17:
	s_or_b32 exec_lo, exec_lo, s5
	buffer_store_dword v25, v23, s[0:3], 0 offen
	buffer_store_dword v24, v23, s[0:3], 0 offen offset:4
	s_clause 0x1
	buffer_load_dword v26, off, s[0:3], 0 offset:12
	buffer_load_dword v25, off, s[0:3], 0 offset:8
	v_xor_b32_e32 v20, 0x80000000, v24
	v_add_nc_u32_e32 v22, 0x50, v21
	s_waitcnt vmcnt(0)
	ds_write2_b64 v21, v[19:20], v[25:26] offset1:10
	s_waitcnt lgkmcnt(0)
	s_waitcnt_vscnt null, 0x0
	s_barrier
	buffer_gl0_inv
	s_and_saveexec_b32 s5, s4
	s_cbranch_execz .LBB8_19
; %bb.18:
	s_clause 0x1
	buffer_load_dword v26, v23, s[0:3], 0 offen offset:4
	buffer_load_dword v27, v23, s[0:3], 0 offen
	ds_read_b64 v[19:20], v22
	v_mov_b32_e32 v24, 0
	ds_read_b64 v[24:25], v24 offset:8
	s_waitcnt vmcnt(1) lgkmcnt(1)
	v_mul_f32_e32 v28, v19, v26
	v_mul_f32_e32 v26, v20, v26
	s_waitcnt vmcnt(0)
	v_fmac_f32_e32 v28, v20, v27
	v_fma_f32 v19, v19, v27, -v26
	v_add_f32_e32 v20, 0, v28
	v_add_f32_e32 v19, 0, v19
	s_waitcnt lgkmcnt(0)
	v_mul_f32_e32 v26, v20, v25
	v_mul_f32_e32 v25, v19, v25
	v_fma_f32 v19, v19, v24, -v26
	v_fmac_f32_e32 v25, v20, v24
	buffer_store_dword v19, off, s[0:3], 0 offset:8
	buffer_store_dword v25, off, s[0:3], 0 offset:12
.LBB8_19:
	s_or_b32 exec_lo, exec_lo, s5
	s_waitcnt_vscnt null, 0x0
	s_barrier
	buffer_gl0_inv
	s_clause 0x1
	buffer_load_dword v19, off, s[0:3], 0 offset:16
	buffer_load_dword v20, off, s[0:3], 0 offset:20
	s_mov_b32 s5, exec_lo
	s_waitcnt vmcnt(0)
	ds_write_b64 v22, v[19:20]
	s_waitcnt lgkmcnt(0)
	s_barrier
	buffer_gl0_inv
	v_cmpx_gt_u32_e32 2, v0
	s_cbranch_execz .LBB8_23
; %bb.20:
	s_clause 0x1
	buffer_load_dword v24, v23, s[0:3], 0 offen offset:4
	buffer_load_dword v23, v23, s[0:3], 0 offen
	ds_read_b64 v[19:20], v22
	s_waitcnt vmcnt(1) lgkmcnt(0)
	v_mul_f32_e32 v25, v20, v24
	v_mul_f32_e32 v24, v19, v24
	s_waitcnt vmcnt(0)
	v_fma_f32 v19, v19, v23, -v25
	v_fmac_f32_e32 v24, v20, v23
	v_add_f32_e32 v20, 0, v19
	v_add_f32_e32 v19, 0, v24
	s_and_saveexec_b32 s8, s4
	s_cbranch_execz .LBB8_22
; %bb.21:
	s_clause 0x1
	buffer_load_dword v25, off, s[0:3], 0 offset:12
	buffer_load_dword v26, off, s[0:3], 0 offset:8
	v_mov_b32_e32 v23, 0
	ds_read_b64 v[23:24], v23 offset:88
	s_waitcnt vmcnt(1) lgkmcnt(0)
	v_mul_f32_e32 v27, v23, v25
	v_mul_f32_e32 v25, v24, v25
	s_waitcnt vmcnt(0)
	v_fmac_f32_e32 v27, v24, v26
	v_fma_f32 v23, v23, v26, -v25
	v_add_f32_e32 v19, v19, v27
	v_add_f32_e32 v20, v20, v23
.LBB8_22:
	s_or_b32 exec_lo, exec_lo, s8
	v_mov_b32_e32 v23, 0
	ds_read_b64 v[23:24], v23 offset:16
	s_waitcnt lgkmcnt(0)
	v_mul_f32_e32 v25, v19, v24
	v_mul_f32_e32 v24, v20, v24
	v_fma_f32 v20, v20, v23, -v25
	v_fmac_f32_e32 v24, v19, v23
	buffer_store_dword v20, off, s[0:3], 0 offset:16
	buffer_store_dword v24, off, s[0:3], 0 offset:20
.LBB8_23:
	s_or_b32 exec_lo, exec_lo, s5
	s_waitcnt_vscnt null, 0x0
	s_barrier
	buffer_gl0_inv
	s_clause 0x1
	buffer_load_dword v23, off, s[0:3], 0 offset:24
	buffer_load_dword v24, off, s[0:3], 0 offset:28
	v_add_nc_u32_e32 v19, -1, v0
	s_mov_b32 s4, exec_lo
	s_waitcnt vmcnt(0)
	ds_write_b64 v22, v[23:24]
	s_waitcnt lgkmcnt(0)
	s_barrier
	buffer_gl0_inv
	v_cmpx_gt_u32_e32 3, v0
	s_cbranch_execz .LBB8_27
; %bb.24:
	v_add_nc_u32_e32 v23, -1, v0
	v_add_nc_u32_e32 v24, 0x50, v21
	v_mov_b32_e32 v25, v21
	v_mov_b32_e32 v20, 0
	;; [unrolled: 1-line block ×3, first 2 shown]
	s_mov_b32 s5, 0
	.p2align	6
.LBB8_25:                               ; =>This Inner Loop Header: Depth=1
	s_clause 0x1
	buffer_load_dword v29, v25, s[0:3], 0 offen offset:4
	buffer_load_dword v30, v25, s[0:3], 0 offen
	ds_read_b64 v[27:28], v24
	v_add_nc_u32_e32 v23, 1, v23
	v_add_nc_u32_e32 v24, 8, v24
	;; [unrolled: 1-line block ×3, first 2 shown]
	v_cmp_lt_u32_e32 vcc_lo, 1, v23
	s_or_b32 s5, vcc_lo, s5
	s_waitcnt vmcnt(1) lgkmcnt(0)
	v_mul_f32_e32 v31, v28, v29
	v_mul_f32_e32 v29, v27, v29
	s_waitcnt vmcnt(0)
	v_fma_f32 v27, v27, v30, -v31
	v_fmac_f32_e32 v29, v28, v30
	v_add_f32_e32 v26, v26, v27
	v_add_f32_e32 v20, v20, v29
	s_andn2_b32 exec_lo, exec_lo, s5
	s_cbranch_execnz .LBB8_25
; %bb.26:
	s_or_b32 exec_lo, exec_lo, s5
	v_mov_b32_e32 v23, 0
	ds_read_b64 v[23:24], v23 offset:24
	s_waitcnt lgkmcnt(0)
	v_mul_f32_e32 v25, v20, v24
	v_mul_f32_e32 v24, v26, v24
	v_fma_f32 v25, v26, v23, -v25
	v_fmac_f32_e32 v24, v20, v23
	buffer_store_dword v25, off, s[0:3], 0 offset:24
	buffer_store_dword v24, off, s[0:3], 0 offset:28
.LBB8_27:
	s_or_b32 exec_lo, exec_lo, s4
	s_waitcnt_vscnt null, 0x0
	s_barrier
	buffer_gl0_inv
	s_clause 0x1
	buffer_load_dword v23, off, s[0:3], 0 offset:32
	buffer_load_dword v24, off, s[0:3], 0 offset:36
	s_mov_b32 s4, exec_lo
	s_waitcnt vmcnt(0)
	ds_write_b64 v22, v[23:24]
	s_waitcnt lgkmcnt(0)
	s_barrier
	buffer_gl0_inv
	v_cmpx_gt_u32_e32 4, v0
	s_cbranch_execz .LBB8_31
; %bb.28:
	v_add_nc_u32_e32 v23, -1, v0
	v_add_nc_u32_e32 v24, 0x50, v21
	v_mov_b32_e32 v25, v21
	v_mov_b32_e32 v20, 0
	;; [unrolled: 1-line block ×3, first 2 shown]
	s_mov_b32 s5, 0
	.p2align	6
.LBB8_29:                               ; =>This Inner Loop Header: Depth=1
	s_clause 0x1
	buffer_load_dword v29, v25, s[0:3], 0 offen offset:4
	buffer_load_dword v30, v25, s[0:3], 0 offen
	ds_read_b64 v[27:28], v24
	v_add_nc_u32_e32 v23, 1, v23
	v_add_nc_u32_e32 v24, 8, v24
	;; [unrolled: 1-line block ×3, first 2 shown]
	v_cmp_lt_u32_e32 vcc_lo, 2, v23
	s_or_b32 s5, vcc_lo, s5
	s_waitcnt vmcnt(1) lgkmcnt(0)
	v_mul_f32_e32 v31, v28, v29
	v_mul_f32_e32 v29, v27, v29
	s_waitcnt vmcnt(0)
	v_fma_f32 v27, v27, v30, -v31
	v_fmac_f32_e32 v29, v28, v30
	v_add_f32_e32 v26, v26, v27
	v_add_f32_e32 v20, v20, v29
	s_andn2_b32 exec_lo, exec_lo, s5
	s_cbranch_execnz .LBB8_29
; %bb.30:
	s_or_b32 exec_lo, exec_lo, s5
	v_mov_b32_e32 v23, 0
	ds_read_b64 v[23:24], v23 offset:32
	s_waitcnt lgkmcnt(0)
	v_mul_f32_e32 v25, v20, v24
	v_mul_f32_e32 v24, v26, v24
	v_fma_f32 v25, v26, v23, -v25
	v_fmac_f32_e32 v24, v20, v23
	buffer_store_dword v25, off, s[0:3], 0 offset:32
	buffer_store_dword v24, off, s[0:3], 0 offset:36
.LBB8_31:
	s_or_b32 exec_lo, exec_lo, s4
	s_waitcnt_vscnt null, 0x0
	s_barrier
	buffer_gl0_inv
	s_clause 0x1
	buffer_load_dword v23, off, s[0:3], 0 offset:40
	buffer_load_dword v24, off, s[0:3], 0 offset:44
	s_mov_b32 s4, exec_lo
	s_waitcnt vmcnt(0)
	ds_write_b64 v22, v[23:24]
	s_waitcnt lgkmcnt(0)
	s_barrier
	buffer_gl0_inv
	v_cmpx_gt_u32_e32 5, v0
	s_cbranch_execz .LBB8_35
; %bb.32:
	v_add_nc_u32_e32 v23, -1, v0
	v_add_nc_u32_e32 v24, 0x50, v21
	v_mov_b32_e32 v25, v21
	v_mov_b32_e32 v20, 0
	v_mov_b32_e32 v26, 0
	s_mov_b32 s5, 0
	.p2align	6
.LBB8_33:                               ; =>This Inner Loop Header: Depth=1
	s_clause 0x1
	buffer_load_dword v29, v25, s[0:3], 0 offen offset:4
	buffer_load_dword v30, v25, s[0:3], 0 offen
	ds_read_b64 v[27:28], v24
	v_add_nc_u32_e32 v23, 1, v23
	v_add_nc_u32_e32 v24, 8, v24
	;; [unrolled: 1-line block ×3, first 2 shown]
	v_cmp_lt_u32_e32 vcc_lo, 3, v23
	s_or_b32 s5, vcc_lo, s5
	s_waitcnt vmcnt(1) lgkmcnt(0)
	v_mul_f32_e32 v31, v28, v29
	v_mul_f32_e32 v29, v27, v29
	s_waitcnt vmcnt(0)
	v_fma_f32 v27, v27, v30, -v31
	v_fmac_f32_e32 v29, v28, v30
	v_add_f32_e32 v26, v26, v27
	v_add_f32_e32 v20, v20, v29
	s_andn2_b32 exec_lo, exec_lo, s5
	s_cbranch_execnz .LBB8_33
; %bb.34:
	s_or_b32 exec_lo, exec_lo, s5
	v_mov_b32_e32 v23, 0
	ds_read_b64 v[23:24], v23 offset:40
	s_waitcnt lgkmcnt(0)
	v_mul_f32_e32 v25, v20, v24
	v_mul_f32_e32 v24, v26, v24
	v_fma_f32 v25, v26, v23, -v25
	v_fmac_f32_e32 v24, v20, v23
	buffer_store_dword v25, off, s[0:3], 0 offset:40
	buffer_store_dword v24, off, s[0:3], 0 offset:44
.LBB8_35:
	s_or_b32 exec_lo, exec_lo, s4
	s_waitcnt_vscnt null, 0x0
	s_barrier
	buffer_gl0_inv
	s_clause 0x1
	buffer_load_dword v23, off, s[0:3], 0 offset:48
	buffer_load_dword v24, off, s[0:3], 0 offset:52
	s_mov_b32 s4, exec_lo
	s_waitcnt vmcnt(0)
	ds_write_b64 v22, v[23:24]
	s_waitcnt lgkmcnt(0)
	s_barrier
	buffer_gl0_inv
	v_cmpx_gt_u32_e32 6, v0
	s_cbranch_execz .LBB8_39
; %bb.36:
	v_add_nc_u32_e32 v23, -1, v0
	v_add_nc_u32_e32 v24, 0x50, v21
	v_mov_b32_e32 v25, v21
	v_mov_b32_e32 v20, 0
	;; [unrolled: 1-line block ×3, first 2 shown]
	s_mov_b32 s5, 0
	.p2align	6
.LBB8_37:                               ; =>This Inner Loop Header: Depth=1
	s_clause 0x1
	buffer_load_dword v29, v25, s[0:3], 0 offen offset:4
	buffer_load_dword v30, v25, s[0:3], 0 offen
	ds_read_b64 v[27:28], v24
	v_add_nc_u32_e32 v23, 1, v23
	v_add_nc_u32_e32 v24, 8, v24
	;; [unrolled: 1-line block ×3, first 2 shown]
	v_cmp_lt_u32_e32 vcc_lo, 4, v23
	s_or_b32 s5, vcc_lo, s5
	s_waitcnt vmcnt(1) lgkmcnt(0)
	v_mul_f32_e32 v31, v28, v29
	v_mul_f32_e32 v29, v27, v29
	s_waitcnt vmcnt(0)
	v_fma_f32 v27, v27, v30, -v31
	v_fmac_f32_e32 v29, v28, v30
	v_add_f32_e32 v26, v26, v27
	v_add_f32_e32 v20, v20, v29
	s_andn2_b32 exec_lo, exec_lo, s5
	s_cbranch_execnz .LBB8_37
; %bb.38:
	s_or_b32 exec_lo, exec_lo, s5
	v_mov_b32_e32 v23, 0
	ds_read_b64 v[23:24], v23 offset:48
	s_waitcnt lgkmcnt(0)
	v_mul_f32_e32 v25, v20, v24
	v_mul_f32_e32 v24, v26, v24
	v_fma_f32 v25, v26, v23, -v25
	v_fmac_f32_e32 v24, v20, v23
	buffer_store_dword v25, off, s[0:3], 0 offset:48
	buffer_store_dword v24, off, s[0:3], 0 offset:52
.LBB8_39:
	s_or_b32 exec_lo, exec_lo, s4
	s_waitcnt_vscnt null, 0x0
	s_barrier
	buffer_gl0_inv
	s_clause 0x1
	buffer_load_dword v23, off, s[0:3], 0 offset:56
	buffer_load_dword v24, off, s[0:3], 0 offset:60
	s_mov_b32 s4, exec_lo
	s_waitcnt vmcnt(0)
	ds_write_b64 v22, v[23:24]
	s_waitcnt lgkmcnt(0)
	s_barrier
	buffer_gl0_inv
	v_cmpx_gt_u32_e32 7, v0
	s_cbranch_execz .LBB8_43
; %bb.40:
	v_add_nc_u32_e32 v23, -1, v0
	v_add_nc_u32_e32 v24, 0x50, v21
	v_mov_b32_e32 v25, v21
	v_mov_b32_e32 v20, 0
	;; [unrolled: 1-line block ×3, first 2 shown]
	s_mov_b32 s5, 0
	.p2align	6
.LBB8_41:                               ; =>This Inner Loop Header: Depth=1
	s_clause 0x1
	buffer_load_dword v29, v25, s[0:3], 0 offen offset:4
	buffer_load_dword v30, v25, s[0:3], 0 offen
	ds_read_b64 v[27:28], v24
	v_add_nc_u32_e32 v23, 1, v23
	v_add_nc_u32_e32 v24, 8, v24
	;; [unrolled: 1-line block ×3, first 2 shown]
	v_cmp_lt_u32_e32 vcc_lo, 5, v23
	s_or_b32 s5, vcc_lo, s5
	s_waitcnt vmcnt(1) lgkmcnt(0)
	v_mul_f32_e32 v31, v28, v29
	v_mul_f32_e32 v29, v27, v29
	s_waitcnt vmcnt(0)
	v_fma_f32 v27, v27, v30, -v31
	v_fmac_f32_e32 v29, v28, v30
	v_add_f32_e32 v26, v26, v27
	v_add_f32_e32 v20, v20, v29
	s_andn2_b32 exec_lo, exec_lo, s5
	s_cbranch_execnz .LBB8_41
; %bb.42:
	s_or_b32 exec_lo, exec_lo, s5
	v_mov_b32_e32 v23, 0
	ds_read_b64 v[23:24], v23 offset:56
	s_waitcnt lgkmcnt(0)
	v_mul_f32_e32 v25, v20, v24
	v_mul_f32_e32 v24, v26, v24
	v_fma_f32 v25, v26, v23, -v25
	v_fmac_f32_e32 v24, v20, v23
	buffer_store_dword v25, off, s[0:3], 0 offset:56
	buffer_store_dword v24, off, s[0:3], 0 offset:60
.LBB8_43:
	s_or_b32 exec_lo, exec_lo, s4
	s_waitcnt_vscnt null, 0x0
	s_barrier
	buffer_gl0_inv
	s_clause 0x1
	buffer_load_dword v23, off, s[0:3], 0 offset:64
	buffer_load_dword v24, off, s[0:3], 0 offset:68
	s_mov_b32 s4, exec_lo
	s_waitcnt vmcnt(0)
	ds_write_b64 v22, v[23:24]
	s_waitcnt lgkmcnt(0)
	s_barrier
	buffer_gl0_inv
	v_cmpx_ne_u32_e32 8, v0
	s_cbranch_execz .LBB8_47
; %bb.44:
	v_mov_b32_e32 v20, 0
	v_mov_b32_e32 v23, 0
	s_mov_b32 s5, 0
	.p2align	6
.LBB8_45:                               ; =>This Inner Loop Header: Depth=1
	s_clause 0x1
	buffer_load_dword v26, v21, s[0:3], 0 offen offset:4
	buffer_load_dword v27, v21, s[0:3], 0 offen
	ds_read_b64 v[24:25], v22
	v_add_nc_u32_e32 v19, 1, v19
	v_add_nc_u32_e32 v22, 8, v22
	;; [unrolled: 1-line block ×3, first 2 shown]
	v_cmp_lt_u32_e32 vcc_lo, 6, v19
	s_or_b32 s5, vcc_lo, s5
	s_waitcnt vmcnt(1) lgkmcnt(0)
	v_mul_f32_e32 v28, v25, v26
	v_mul_f32_e32 v26, v24, v26
	s_waitcnt vmcnt(0)
	v_fma_f32 v24, v24, v27, -v28
	v_fmac_f32_e32 v26, v25, v27
	v_add_f32_e32 v23, v23, v24
	v_add_f32_e32 v20, v20, v26
	s_andn2_b32 exec_lo, exec_lo, s5
	s_cbranch_execnz .LBB8_45
; %bb.46:
	s_or_b32 exec_lo, exec_lo, s5
	v_mov_b32_e32 v19, 0
	ds_read_b64 v[21:22], v19 offset:64
	s_waitcnt lgkmcnt(0)
	v_mul_f32_e32 v19, v20, v22
	v_mul_f32_e32 v22, v23, v22
	v_fma_f32 v19, v23, v21, -v19
	v_fmac_f32_e32 v22, v20, v21
	buffer_store_dword v19, off, s[0:3], 0 offset:64
	buffer_store_dword v22, off, s[0:3], 0 offset:68
.LBB8_47:
	s_or_b32 exec_lo, exec_lo, s4
	s_mov_b32 s5, -1
	s_waitcnt_vscnt null, 0x0
	s_barrier
	buffer_gl0_inv
.LBB8_48:
	s_and_b32 vcc_lo, exec_lo, s5
	s_cbranch_vccz .LBB8_50
; %bb.49:
	s_lshl_b64 s[4:5], s[6:7], 2
	v_mov_b32_e32 v19, 0
	s_add_u32 s4, s10, s4
	s_addc_u32 s5, s11, s5
	global_load_dword v19, v19, s[4:5]
	s_waitcnt vmcnt(0)
	v_cmp_ne_u32_e32 vcc_lo, 0, v19
	s_cbranch_vccz .LBB8_51
.LBB8_50:
	s_endpgm
.LBB8_51:
	v_lshl_add_u32 v19, v0, 3, 0x50
	s_mov_b32 s4, exec_lo
	v_cmpx_eq_u32_e32 8, v0
	s_cbranch_execz .LBB8_53
; %bb.52:
	s_clause 0x1
	buffer_load_dword v20, off, s[0:3], 0 offset:56
	buffer_load_dword v21, off, s[0:3], 0 offset:60
	v_mov_b32_e32 v22, 0
	buffer_store_dword v22, off, s[0:3], 0 offset:56
	buffer_store_dword v22, off, s[0:3], 0 offset:60
	s_waitcnt vmcnt(0)
	ds_write_b64 v19, v[20:21]
.LBB8_53:
	s_or_b32 exec_lo, exec_lo, s4
	s_waitcnt lgkmcnt(0)
	s_waitcnt_vscnt null, 0x0
	s_barrier
	buffer_gl0_inv
	s_clause 0x3
	buffer_load_dword v23, off, s[0:3], 0 offset:68
	buffer_load_dword v24, off, s[0:3], 0 offset:64
	;; [unrolled: 1-line block ×4, first 2 shown]
	v_mov_b32_e32 v20, 0
	s_mov_b32 s4, exec_lo
	ds_read_b64 v[21:22], v20 offset:144
	s_waitcnt vmcnt(3) lgkmcnt(0)
	v_mul_f32_e32 v27, v22, v23
	v_mul_f32_e32 v23, v21, v23
	s_waitcnt vmcnt(2)
	v_fma_f32 v21, v21, v24, -v27
	v_fmac_f32_e32 v23, v22, v24
	v_add_f32_e32 v21, 0, v21
	v_add_f32_e32 v22, 0, v23
	s_waitcnt vmcnt(1)
	v_sub_f32_e32 v21, v25, v21
	s_waitcnt vmcnt(0)
	v_sub_f32_e32 v22, v26, v22
	buffer_store_dword v21, off, s[0:3], 0 offset:56
	buffer_store_dword v22, off, s[0:3], 0 offset:60
	v_cmpx_lt_u32_e32 6, v0
	s_cbranch_execz .LBB8_55
; %bb.54:
	s_clause 0x1
	buffer_load_dword v21, off, s[0:3], 0 offset:48
	buffer_load_dword v22, off, s[0:3], 0 offset:52
	buffer_store_dword v20, off, s[0:3], 0 offset:48
	buffer_store_dword v20, off, s[0:3], 0 offset:52
	s_waitcnt vmcnt(0)
	ds_write_b64 v19, v[21:22]
.LBB8_55:
	s_or_b32 exec_lo, exec_lo, s4
	s_waitcnt lgkmcnt(0)
	s_waitcnt_vscnt null, 0x0
	s_barrier
	buffer_gl0_inv
	s_clause 0x5
	buffer_load_dword v24, off, s[0:3], 0 offset:60
	buffer_load_dword v25, off, s[0:3], 0 offset:68
	;; [unrolled: 1-line block ×6, first 2 shown]
	ds_read2_b64 v[20:23], v20 offset0:17 offset1:18
	s_mov_b32 s4, exec_lo
	s_waitcnt vmcnt(5) lgkmcnt(0)
	v_mul_f32_e32 v30, v21, v24
	v_mul_f32_e32 v24, v20, v24
	s_waitcnt vmcnt(4)
	v_mul_f32_e32 v31, v22, v25
	v_mul_f32_e32 v25, v23, v25
	s_waitcnt vmcnt(3)
	v_fma_f32 v20, v20, v26, -v30
	v_fmac_f32_e32 v24, v21, v26
	s_waitcnt vmcnt(2)
	v_fmac_f32_e32 v31, v23, v27
	v_fma_f32 v21, v22, v27, -v25
	v_add_f32_e32 v20, 0, v20
	v_add_f32_e32 v22, 0, v24
	;; [unrolled: 1-line block ×4, first 2 shown]
	s_waitcnt vmcnt(1)
	v_sub_f32_e32 v20, v28, v20
	s_waitcnt vmcnt(0)
	v_sub_f32_e32 v21, v29, v21
	buffer_store_dword v20, off, s[0:3], 0 offset:48
	buffer_store_dword v21, off, s[0:3], 0 offset:52
	v_cmpx_lt_u32_e32 5, v0
	s_cbranch_execz .LBB8_57
; %bb.56:
	s_clause 0x1
	buffer_load_dword v20, off, s[0:3], 0 offset:40
	buffer_load_dword v21, off, s[0:3], 0 offset:44
	v_mov_b32_e32 v22, 0
	buffer_store_dword v22, off, s[0:3], 0 offset:40
	buffer_store_dword v22, off, s[0:3], 0 offset:44
	s_waitcnt vmcnt(0)
	ds_write_b64 v19, v[20:21]
.LBB8_57:
	s_or_b32 exec_lo, exec_lo, s4
	s_waitcnt lgkmcnt(0)
	s_waitcnt_vscnt null, 0x0
	s_barrier
	buffer_gl0_inv
	s_clause 0x7
	buffer_load_dword v27, off, s[0:3], 0 offset:52
	buffer_load_dword v28, off, s[0:3], 0 offset:60
	;; [unrolled: 1-line block ×8, first 2 shown]
	v_mov_b32_e32 v20, 0
	ds_read_b128 v[21:24], v20 offset:128
	ds_read_b64 v[25:26], v20 offset:144
	s_mov_b32 s4, exec_lo
	s_waitcnt vmcnt(7) lgkmcnt(1)
	v_mul_f32_e32 v35, v22, v27
	v_mul_f32_e32 v27, v21, v27
	s_waitcnt vmcnt(6)
	v_mul_f32_e32 v36, v23, v28
	v_mul_f32_e32 v28, v24, v28
	s_waitcnt vmcnt(5) lgkmcnt(0)
	v_mul_f32_e32 v37, v25, v29
	s_waitcnt vmcnt(4)
	v_fma_f32 v21, v21, v30, -v35
	v_fmac_f32_e32 v27, v22, v30
	v_mul_f32_e32 v22, v26, v29
	s_waitcnt vmcnt(3)
	v_fma_f32 v23, v23, v31, -v28
	v_fmac_f32_e32 v36, v24, v31
	v_add_f32_e32 v21, 0, v21
	v_add_f32_e32 v24, 0, v27
	s_waitcnt vmcnt(2)
	v_fma_f32 v22, v25, v32, -v22
	v_fmac_f32_e32 v37, v26, v32
	v_add_f32_e32 v21, v21, v23
	v_add_f32_e32 v23, v24, v36
	;; [unrolled: 1-line block ×4, first 2 shown]
	s_waitcnt vmcnt(1)
	v_sub_f32_e32 v21, v33, v21
	s_waitcnt vmcnt(0)
	v_sub_f32_e32 v22, v34, v22
	buffer_store_dword v21, off, s[0:3], 0 offset:40
	buffer_store_dword v22, off, s[0:3], 0 offset:44
	v_cmpx_lt_u32_e32 4, v0
	s_cbranch_execz .LBB8_59
; %bb.58:
	s_clause 0x1
	buffer_load_dword v21, off, s[0:3], 0 offset:32
	buffer_load_dword v22, off, s[0:3], 0 offset:36
	buffer_store_dword v20, off, s[0:3], 0 offset:32
	buffer_store_dword v20, off, s[0:3], 0 offset:36
	s_waitcnt vmcnt(0)
	ds_write_b64 v19, v[21:22]
.LBB8_59:
	s_or_b32 exec_lo, exec_lo, s4
	s_waitcnt lgkmcnt(0)
	s_waitcnt_vscnt null, 0x0
	s_barrier
	buffer_gl0_inv
	s_clause 0x9
	buffer_load_dword v29, off, s[0:3], 0 offset:44
	buffer_load_dword v30, off, s[0:3], 0 offset:52
	;; [unrolled: 1-line block ×10, first 2 shown]
	ds_read2_b64 v[21:24], v20 offset0:15 offset1:16
	ds_read2_b64 v[25:28], v20 offset0:17 offset1:18
	s_mov_b32 s4, exec_lo
	s_waitcnt vmcnt(9) lgkmcnt(1)
	v_mul_f32_e32 v20, v21, v29
	v_mul_f32_e32 v29, v22, v29
	s_waitcnt vmcnt(8)
	v_mul_f32_e32 v39, v23, v30
	v_mul_f32_e32 v30, v24, v30
	s_waitcnt vmcnt(7) lgkmcnt(0)
	v_mul_f32_e32 v40, v25, v31
	s_waitcnt vmcnt(5)
	v_fmac_f32_e32 v20, v22, v33
	v_fma_f32 v21, v21, v33, -v29
	v_mul_f32_e32 v22, v26, v31
	s_waitcnt vmcnt(4)
	v_fma_f32 v23, v23, v34, -v30
	v_fmac_f32_e32 v39, v24, v34
	v_add_f32_e32 v20, 0, v20
	v_add_f32_e32 v21, 0, v21
	v_mul_f32_e32 v24, v28, v32
	s_waitcnt vmcnt(3)
	v_fma_f32 v22, v25, v35, -v22
	v_mul_f32_e32 v41, v27, v32
	v_fmac_f32_e32 v40, v26, v35
	v_add_f32_e32 v21, v21, v23
	v_add_f32_e32 v20, v20, v39
	s_waitcnt vmcnt(2)
	v_fma_f32 v23, v27, v36, -v24
	v_fmac_f32_e32 v41, v28, v36
	v_add_f32_e32 v21, v21, v22
	v_add_f32_e32 v20, v20, v40
	;; [unrolled: 1-line block ×4, first 2 shown]
	s_waitcnt vmcnt(1)
	v_sub_f32_e32 v21, v37, v21
	s_waitcnt vmcnt(0)
	v_sub_f32_e32 v20, v38, v20
	buffer_store_dword v21, off, s[0:3], 0 offset:32
	buffer_store_dword v20, off, s[0:3], 0 offset:36
	v_cmpx_lt_u32_e32 3, v0
	s_cbranch_execz .LBB8_61
; %bb.60:
	s_clause 0x1
	buffer_load_dword v20, off, s[0:3], 0 offset:24
	buffer_load_dword v21, off, s[0:3], 0 offset:28
	v_mov_b32_e32 v22, 0
	buffer_store_dword v22, off, s[0:3], 0 offset:24
	buffer_store_dword v22, off, s[0:3], 0 offset:28
	s_waitcnt vmcnt(0)
	ds_write_b64 v19, v[20:21]
.LBB8_61:
	s_or_b32 exec_lo, exec_lo, s4
	s_waitcnt lgkmcnt(0)
	s_waitcnt_vscnt null, 0x0
	s_barrier
	buffer_gl0_inv
	s_clause 0xb
	buffer_load_dword v31, off, s[0:3], 0 offset:36
	buffer_load_dword v32, off, s[0:3], 0 offset:44
	;; [unrolled: 1-line block ×12, first 2 shown]
	v_mov_b32_e32 v20, 0
	ds_read_b128 v[21:24], v20 offset:112
	ds_read_b128 v[25:28], v20 offset:128
	ds_read_b64 v[29:30], v20 offset:144
	s_mov_b32 s4, exec_lo
	s_waitcnt vmcnt(11) lgkmcnt(2)
	v_mul_f32_e32 v43, v21, v31
	v_mul_f32_e32 v31, v22, v31
	s_waitcnt vmcnt(10)
	v_mul_f32_e32 v44, v23, v32
	v_mul_f32_e32 v32, v24, v32
	s_waitcnt vmcnt(9) lgkmcnt(1)
	v_mul_f32_e32 v45, v25, v33
	s_waitcnt vmcnt(6)
	v_fmac_f32_e32 v43, v22, v36
	v_fma_f32 v21, v21, v36, -v31
	v_mul_f32_e32 v22, v26, v33
	s_waitcnt vmcnt(5)
	v_fma_f32 v23, v23, v37, -v32
	v_fmac_f32_e32 v44, v24, v37
	v_add_f32_e32 v24, 0, v43
	v_add_f32_e32 v21, 0, v21
	v_mul_f32_e32 v31, v28, v34
	s_waitcnt vmcnt(4)
	v_fma_f32 v22, v25, v38, -v22
	v_mul_f32_e32 v46, v27, v34
	v_fmac_f32_e32 v45, v26, v38
	v_add_f32_e32 v21, v21, v23
	v_add_f32_e32 v23, v24, v44
	s_waitcnt lgkmcnt(0)
	v_mul_f32_e32 v24, v30, v35
	s_waitcnt vmcnt(3)
	v_fma_f32 v25, v27, v39, -v31
	v_mul_f32_e32 v47, v29, v35
	v_add_f32_e32 v21, v21, v22
	v_fmac_f32_e32 v46, v28, v39
	v_add_f32_e32 v22, v23, v45
	s_waitcnt vmcnt(2)
	v_fma_f32 v23, v29, v40, -v24
	v_fmac_f32_e32 v47, v30, v40
	v_add_f32_e32 v21, v21, v25
	v_add_f32_e32 v22, v22, v46
	;; [unrolled: 1-line block ×4, first 2 shown]
	s_waitcnt vmcnt(1)
	v_sub_f32_e32 v21, v41, v21
	s_waitcnt vmcnt(0)
	v_sub_f32_e32 v22, v42, v22
	buffer_store_dword v21, off, s[0:3], 0 offset:24
	buffer_store_dword v22, off, s[0:3], 0 offset:28
	v_cmpx_lt_u32_e32 2, v0
	s_cbranch_execz .LBB8_63
; %bb.62:
	s_clause 0x1
	buffer_load_dword v21, off, s[0:3], 0 offset:16
	buffer_load_dword v22, off, s[0:3], 0 offset:20
	buffer_store_dword v20, off, s[0:3], 0 offset:16
	buffer_store_dword v20, off, s[0:3], 0 offset:20
	s_waitcnt vmcnt(0)
	ds_write_b64 v19, v[21:22]
.LBB8_63:
	s_or_b32 exec_lo, exec_lo, s4
	s_waitcnt lgkmcnt(0)
	s_waitcnt_vscnt null, 0x0
	s_barrier
	buffer_gl0_inv
	s_clause 0xd
	buffer_load_dword v33, off, s[0:3], 0 offset:28
	buffer_load_dword v34, off, s[0:3], 0 offset:36
	;; [unrolled: 1-line block ×14, first 2 shown]
	ds_read2_b64 v[21:24], v20 offset0:13 offset1:14
	ds_read2_b64 v[25:28], v20 offset0:15 offset1:16
	;; [unrolled: 1-line block ×3, first 2 shown]
	s_mov_b32 s4, exec_lo
	s_waitcnt vmcnt(13) lgkmcnt(2)
	v_mul_f32_e32 v20, v21, v33
	v_mul_f32_e32 v33, v22, v33
	s_waitcnt vmcnt(12)
	v_mul_f32_e32 v47, v23, v34
	v_mul_f32_e32 v34, v24, v34
	s_waitcnt vmcnt(11) lgkmcnt(1)
	v_mul_f32_e32 v48, v25, v35
	s_waitcnt vmcnt(10)
	v_mul_f32_e32 v49, v27, v36
	s_waitcnt vmcnt(7)
	v_fma_f32 v21, v21, v39, -v33
	v_fmac_f32_e32 v20, v22, v39
	v_mul_f32_e32 v22, v26, v35
	s_waitcnt vmcnt(6)
	v_fma_f32 v23, v23, v40, -v34
	v_fmac_f32_e32 v47, v24, v40
	v_add_f32_e32 v21, 0, v21
	v_add_f32_e32 v20, 0, v20
	v_mul_f32_e32 v24, v28, v36
	s_waitcnt vmcnt(5)
	v_fma_f32 v22, v25, v41, -v22
	v_fmac_f32_e32 v48, v26, v41
	v_add_f32_e32 v21, v21, v23
	v_add_f32_e32 v20, v20, v47
	s_waitcnt lgkmcnt(0)
	v_mul_f32_e32 v23, v30, v37
	s_waitcnt vmcnt(4)
	v_fma_f32 v24, v27, v42, -v24
	v_mul_f32_e32 v50, v29, v37
	v_add_f32_e32 v21, v21, v22
	v_fmac_f32_e32 v49, v28, v42
	v_add_f32_e32 v20, v20, v48
	v_mul_f32_e32 v22, v32, v38
	s_waitcnt vmcnt(3)
	v_fma_f32 v23, v29, v43, -v23
	v_add_f32_e32 v21, v21, v24
	v_mul_f32_e32 v51, v31, v38
	v_fmac_f32_e32 v50, v30, v43
	v_add_f32_e32 v20, v20, v49
	s_waitcnt vmcnt(2)
	v_fma_f32 v22, v31, v44, -v22
	v_add_f32_e32 v21, v21, v23
	v_fmac_f32_e32 v51, v32, v44
	v_add_f32_e32 v20, v20, v50
	v_add_f32_e32 v21, v21, v22
	;; [unrolled: 1-line block ×3, first 2 shown]
	s_waitcnt vmcnt(1)
	v_sub_f32_e32 v21, v45, v21
	s_waitcnt vmcnt(0)
	v_sub_f32_e32 v20, v46, v20
	buffer_store_dword v21, off, s[0:3], 0 offset:16
	buffer_store_dword v20, off, s[0:3], 0 offset:20
	v_cmpx_lt_u32_e32 1, v0
	s_cbranch_execz .LBB8_65
; %bb.64:
	s_clause 0x1
	buffer_load_dword v20, off, s[0:3], 0 offset:8
	buffer_load_dword v21, off, s[0:3], 0 offset:12
	v_mov_b32_e32 v22, 0
	buffer_store_dword v22, off, s[0:3], 0 offset:8
	buffer_store_dword v22, off, s[0:3], 0 offset:12
	s_waitcnt vmcnt(0)
	ds_write_b64 v19, v[20:21]
.LBB8_65:
	s_or_b32 exec_lo, exec_lo, s4
	s_waitcnt lgkmcnt(0)
	s_waitcnt_vscnt null, 0x0
	s_barrier
	buffer_gl0_inv
	s_clause 0xf
	buffer_load_dword v35, off, s[0:3], 0 offset:20
	buffer_load_dword v36, off, s[0:3], 0 offset:28
	;; [unrolled: 1-line block ×16, first 2 shown]
	v_mov_b32_e32 v20, 0
	ds_read_b128 v[21:24], v20 offset:96
	ds_read_b128 v[25:28], v20 offset:112
	ds_read_b128 v[29:32], v20 offset:128
	ds_read_b64 v[33:34], v20 offset:144
	s_mov_b32 s4, exec_lo
	s_waitcnt vmcnt(15) lgkmcnt(3)
	v_mul_f32_e32 v51, v21, v35
	v_mul_f32_e32 v35, v22, v35
	s_waitcnt vmcnt(14)
	v_mul_f32_e32 v52, v23, v36
	v_mul_f32_e32 v36, v24, v36
	s_waitcnt vmcnt(13) lgkmcnt(2)
	v_mul_f32_e32 v53, v25, v37
	s_waitcnt vmcnt(12)
	v_mul_f32_e32 v54, v27, v38
	s_waitcnt vmcnt(11) lgkmcnt(1)
	v_mul_f32_e32 v55, v29, v39
	s_waitcnt vmcnt(8)
	v_fma_f32 v21, v21, v42, -v35
	v_fmac_f32_e32 v51, v22, v42
	v_mul_f32_e32 v22, v26, v37
	s_waitcnt vmcnt(7)
	v_fma_f32 v23, v23, v43, -v36
	v_fmac_f32_e32 v52, v24, v43
	v_add_f32_e32 v21, 0, v21
	v_add_f32_e32 v24, 0, v51
	v_mul_f32_e32 v35, v28, v38
	s_waitcnt vmcnt(6)
	v_fma_f32 v22, v25, v44, -v22
	v_fmac_f32_e32 v53, v26, v44
	v_add_f32_e32 v21, v21, v23
	v_add_f32_e32 v23, v24, v52
	;; [unrolled: 6-line block ×3, first 2 shown]
	v_mul_f32_e32 v23, v32, v40
	s_waitcnt vmcnt(4)
	v_fma_f32 v24, v29, v46, -v24
	v_mul_f32_e32 v56, v31, v40
	v_add_f32_e32 v21, v21, v25
	v_fmac_f32_e32 v55, v30, v46
	v_add_f32_e32 v22, v22, v54
	s_waitcnt lgkmcnt(0)
	v_mul_f32_e32 v25, v34, v41
	s_waitcnt vmcnt(3)
	v_fma_f32 v23, v31, v47, -v23
	v_add_f32_e32 v21, v21, v24
	v_mul_f32_e32 v57, v33, v41
	v_fmac_f32_e32 v56, v32, v47
	v_add_f32_e32 v22, v22, v55
	s_waitcnt vmcnt(2)
	v_fma_f32 v24, v33, v48, -v25
	v_add_f32_e32 v21, v21, v23
	v_fmac_f32_e32 v57, v34, v48
	v_add_f32_e32 v22, v22, v56
	v_add_f32_e32 v21, v21, v24
	;; [unrolled: 1-line block ×3, first 2 shown]
	s_waitcnt vmcnt(1)
	v_sub_f32_e32 v21, v49, v21
	s_waitcnt vmcnt(0)
	v_sub_f32_e32 v22, v50, v22
	buffer_store_dword v21, off, s[0:3], 0 offset:8
	buffer_store_dword v22, off, s[0:3], 0 offset:12
	v_cmpx_ne_u32_e32 0, v0
	s_cbranch_execz .LBB8_67
; %bb.66:
	s_clause 0x1
	buffer_load_dword v21, off, s[0:3], 0
	buffer_load_dword v22, off, s[0:3], 0 offset:4
	buffer_store_dword v20, off, s[0:3], 0
	buffer_store_dword v20, off, s[0:3], 0 offset:4
	s_waitcnt vmcnt(0)
	ds_write_b64 v19, v[21:22]
.LBB8_67:
	s_or_b32 exec_lo, exec_lo, s4
	s_waitcnt lgkmcnt(0)
	s_waitcnt_vscnt null, 0x0
	s_barrier
	buffer_gl0_inv
	s_clause 0x11
	buffer_load_dword v37, off, s[0:3], 0 offset:12
	buffer_load_dword v38, off, s[0:3], 0 offset:20
	;; [unrolled: 1-line block ×16, first 2 shown]
	buffer_load_dword v51, off, s[0:3], 0
	buffer_load_dword v52, off, s[0:3], 0 offset:4
	ds_read2_b64 v[21:24], v20 offset0:11 offset1:12
	ds_read2_b64 v[25:28], v20 offset0:13 offset1:14
	;; [unrolled: 1-line block ×4, first 2 shown]
	s_and_b32 vcc_lo, exec_lo, s22
	s_waitcnt vmcnt(17) lgkmcnt(3)
	v_mul_f32_e32 v20, v21, v37
	v_mul_f32_e32 v37, v22, v37
	s_waitcnt vmcnt(16)
	v_mul_f32_e32 v53, v23, v38
	v_mul_f32_e32 v38, v24, v38
	s_waitcnt vmcnt(15) lgkmcnt(2)
	v_mul_f32_e32 v54, v25, v39
	s_waitcnt vmcnt(14)
	v_mul_f32_e32 v55, v27, v40
	s_waitcnt vmcnt(13) lgkmcnt(1)
	v_mul_f32_e32 v56, v29, v41
	s_waitcnt vmcnt(12)
	v_mul_f32_e32 v57, v31, v42
	s_waitcnt vmcnt(9)
	v_fma_f32 v21, v21, v44, -v37
	v_fmac_f32_e32 v20, v22, v44
	v_mul_f32_e32 v22, v26, v39
	s_waitcnt vmcnt(8)
	v_fma_f32 v23, v23, v45, -v38
	v_fmac_f32_e32 v53, v24, v45
	v_add_f32_e32 v21, 0, v21
	v_add_f32_e32 v20, 0, v20
	v_mul_f32_e32 v24, v28, v40
	s_waitcnt vmcnt(7)
	v_fma_f32 v22, v25, v46, -v22
	v_fmac_f32_e32 v54, v26, v46
	v_add_f32_e32 v21, v21, v23
	v_add_f32_e32 v20, v20, v53
	;; [unrolled: 6-line block ×4, first 2 shown]
	s_waitcnt lgkmcnt(0)
	v_mul_f32_e32 v24, v34, v0
	s_waitcnt vmcnt(4)
	v_fma_f32 v22, v31, v49, -v22
	v_mul_f32_e32 v58, v33, v0
	v_add_f32_e32 v21, v21, v23
	v_fmac_f32_e32 v57, v32, v49
	v_add_f32_e32 v20, v20, v56
	v_mul_f32_e32 v23, v36, v43
	s_waitcnt vmcnt(3)
	v_fma_f32 v24, v33, v19, -v24
	v_add_f32_e32 v21, v21, v22
	v_mul_f32_e32 v59, v35, v43
	v_fmac_f32_e32 v58, v34, v19
	v_add_f32_e32 v20, v20, v57
	s_waitcnt vmcnt(2)
	v_fma_f32 v22, v35, v50, -v23
	v_add_f32_e32 v21, v21, v24
	v_fmac_f32_e32 v59, v36, v50
	v_add_f32_e32 v20, v20, v58
	v_add_f32_e32 v21, v21, v22
	;; [unrolled: 1-line block ×3, first 2 shown]
	s_waitcnt vmcnt(1)
	v_sub_f32_e32 v21, v51, v21
	s_waitcnt vmcnt(0)
	v_sub_f32_e32 v20, v52, v20
	buffer_store_dword v21, off, s[0:3], 0
	buffer_store_dword v20, off, s[0:3], 0 offset:4
	s_cbranch_vccz .LBB8_84
; %bb.68:
	v_mov_b32_e32 v20, 0
	global_load_dword v21, v20, s[20:21] offset:28
	s_waitcnt vmcnt(0)
	v_add_nc_u32_e32 v21, -1, v21
	v_cmp_ne_u32_e32 vcc_lo, 7, v21
	s_cbranch_vccz .LBB8_70
; %bb.69:
	v_lshlrev_b32_e32 v21, 3, v21
	s_clause 0x1
	buffer_load_dword v22, v21, s[0:3], 0 offen
	buffer_load_dword v23, v21, s[0:3], 0 offen offset:4
	s_waitcnt vmcnt(1)
	buffer_store_dword v22, off, s[0:3], 0 offset:56
	s_waitcnt vmcnt(0)
	buffer_store_dword v23, off, s[0:3], 0 offset:60
	buffer_store_dword v19, v21, s[0:3], 0 offen
	buffer_store_dword v0, v21, s[0:3], 0 offen offset:4
.LBB8_70:
	global_load_dword v0, v20, s[20:21] offset:24
	s_waitcnt vmcnt(0)
	v_add_nc_u32_e32 v0, -1, v0
	v_cmp_eq_u32_e32 vcc_lo, 6, v0
	s_cbranch_vccnz .LBB8_72
; %bb.71:
	v_lshlrev_b32_e32 v0, 3, v0
	s_clause 0x3
	buffer_load_dword v19, v0, s[0:3], 0 offen
	buffer_load_dword v20, v0, s[0:3], 0 offen offset:4
	buffer_load_dword v21, off, s[0:3], 0 offset:52
	buffer_load_dword v22, off, s[0:3], 0 offset:48
	s_waitcnt vmcnt(3)
	buffer_store_dword v19, off, s[0:3], 0 offset:48
	s_waitcnt vmcnt(2)
	buffer_store_dword v20, off, s[0:3], 0 offset:52
	s_waitcnt vmcnt(1)
	buffer_store_dword v21, v0, s[0:3], 0 offen offset:4
	s_waitcnt vmcnt(0)
	buffer_store_dword v22, v0, s[0:3], 0 offen
.LBB8_72:
	v_mov_b32_e32 v0, 0
	global_load_dword v19, v0, s[20:21] offset:20
	s_waitcnt vmcnt(0)
	v_add_nc_u32_e32 v19, -1, v19
	v_cmp_eq_u32_e32 vcc_lo, 5, v19
	s_cbranch_vccnz .LBB8_74
; %bb.73:
	v_lshlrev_b32_e32 v19, 3, v19
	s_clause 0x3
	buffer_load_dword v20, v19, s[0:3], 0 offen
	buffer_load_dword v21, v19, s[0:3], 0 offen offset:4
	buffer_load_dword v22, off, s[0:3], 0 offset:40
	buffer_load_dword v23, off, s[0:3], 0 offset:44
	s_waitcnt vmcnt(3)
	buffer_store_dword v20, off, s[0:3], 0 offset:40
	s_waitcnt vmcnt(2)
	buffer_store_dword v21, off, s[0:3], 0 offset:44
	s_waitcnt vmcnt(1)
	buffer_store_dword v22, v19, s[0:3], 0 offen
	s_waitcnt vmcnt(0)
	buffer_store_dword v23, v19, s[0:3], 0 offen offset:4
.LBB8_74:
	global_load_dword v0, v0, s[20:21] offset:16
	s_waitcnt vmcnt(0)
	v_add_nc_u32_e32 v0, -1, v0
	v_cmp_eq_u32_e32 vcc_lo, 4, v0
	s_cbranch_vccnz .LBB8_76
; %bb.75:
	v_lshlrev_b32_e32 v0, 3, v0
	s_clause 0x3
	buffer_load_dword v19, v0, s[0:3], 0 offen
	buffer_load_dword v20, v0, s[0:3], 0 offen offset:4
	buffer_load_dword v21, off, s[0:3], 0 offset:36
	buffer_load_dword v22, off, s[0:3], 0 offset:32
	s_waitcnt vmcnt(3)
	buffer_store_dword v19, off, s[0:3], 0 offset:32
	s_waitcnt vmcnt(2)
	buffer_store_dword v20, off, s[0:3], 0 offset:36
	s_waitcnt vmcnt(1)
	buffer_store_dword v21, v0, s[0:3], 0 offen offset:4
	s_waitcnt vmcnt(0)
	buffer_store_dword v22, v0, s[0:3], 0 offen
.LBB8_76:
	v_mov_b32_e32 v0, 0
	global_load_dword v19, v0, s[20:21] offset:12
	s_waitcnt vmcnt(0)
	v_add_nc_u32_e32 v19, -1, v19
	v_cmp_eq_u32_e32 vcc_lo, 3, v19
	s_cbranch_vccnz .LBB8_78
; %bb.77:
	v_lshlrev_b32_e32 v19, 3, v19
	s_clause 0x3
	buffer_load_dword v20, v19, s[0:3], 0 offen
	buffer_load_dword v21, v19, s[0:3], 0 offen offset:4
	buffer_load_dword v22, off, s[0:3], 0 offset:24
	buffer_load_dword v23, off, s[0:3], 0 offset:28
	s_waitcnt vmcnt(3)
	buffer_store_dword v20, off, s[0:3], 0 offset:24
	s_waitcnt vmcnt(2)
	buffer_store_dword v21, off, s[0:3], 0 offset:28
	s_waitcnt vmcnt(1)
	buffer_store_dword v22, v19, s[0:3], 0 offen
	s_waitcnt vmcnt(0)
	buffer_store_dword v23, v19, s[0:3], 0 offen offset:4
.LBB8_78:
	;; [unrolled: 43-line block ×3, first 2 shown]
	global_load_dword v0, v0, s[20:21]
	s_waitcnt vmcnt(0)
	v_add_nc_u32_e32 v0, -1, v0
	v_cmp_eq_u32_e32 vcc_lo, 0, v0
	s_cbranch_vccnz .LBB8_84
; %bb.83:
	v_lshlrev_b32_e32 v0, 3, v0
	s_clause 0x3
	buffer_load_dword v19, v0, s[0:3], 0 offen
	buffer_load_dword v20, v0, s[0:3], 0 offen offset:4
	buffer_load_dword v21, off, s[0:3], 0 offset:4
	buffer_load_dword v22, off, s[0:3], 0
	s_waitcnt vmcnt(3)
	buffer_store_dword v19, off, s[0:3], 0
	s_waitcnt vmcnt(2)
	buffer_store_dword v20, off, s[0:3], 0 offset:4
	s_waitcnt vmcnt(1)
	buffer_store_dword v21, v0, s[0:3], 0 offen offset:4
	s_waitcnt vmcnt(0)
	buffer_store_dword v22, v0, s[0:3], 0 offen
.LBB8_84:
	s_clause 0x11
	buffer_load_dword v19, off, s[0:3], 0
	buffer_load_dword v20, off, s[0:3], 0 offset:4
	buffer_load_dword v21, off, s[0:3], 0 offset:8
	;; [unrolled: 1-line block ×17, first 2 shown]
	s_waitcnt vmcnt(16)
	global_store_dwordx2 v[1:2], v[19:20], off
	s_waitcnt vmcnt(14)
	global_store_dwordx2 v[3:4], v[21:22], off
	;; [unrolled: 2-line block ×9, first 2 shown]
	s_endpgm
	.section	.rodata,"a",@progbits
	.p2align	6, 0x0
	.amdhsa_kernel _ZN9rocsolver6v33100L18getri_kernel_smallILi9E19rocblas_complex_numIfEPS3_EEvT1_iilPiilS6_bb
		.amdhsa_group_segment_fixed_size 152
		.amdhsa_private_segment_fixed_size 80
		.amdhsa_kernarg_size 60
		.amdhsa_user_sgpr_count 6
		.amdhsa_user_sgpr_private_segment_buffer 1
		.amdhsa_user_sgpr_dispatch_ptr 0
		.amdhsa_user_sgpr_queue_ptr 0
		.amdhsa_user_sgpr_kernarg_segment_ptr 1
		.amdhsa_user_sgpr_dispatch_id 0
		.amdhsa_user_sgpr_flat_scratch_init 0
		.amdhsa_user_sgpr_private_segment_size 0
		.amdhsa_wavefront_size32 1
		.amdhsa_uses_dynamic_stack 0
		.amdhsa_system_sgpr_private_segment_wavefront_offset 1
		.amdhsa_system_sgpr_workgroup_id_x 1
		.amdhsa_system_sgpr_workgroup_id_y 0
		.amdhsa_system_sgpr_workgroup_id_z 0
		.amdhsa_system_sgpr_workgroup_info 0
		.amdhsa_system_vgpr_workitem_id 0
		.amdhsa_next_free_vgpr 60
		.amdhsa_next_free_sgpr 23
		.amdhsa_reserve_vcc 1
		.amdhsa_reserve_flat_scratch 0
		.amdhsa_float_round_mode_32 0
		.amdhsa_float_round_mode_16_64 0
		.amdhsa_float_denorm_mode_32 3
		.amdhsa_float_denorm_mode_16_64 3
		.amdhsa_dx10_clamp 1
		.amdhsa_ieee_mode 1
		.amdhsa_fp16_overflow 0
		.amdhsa_workgroup_processor_mode 1
		.amdhsa_memory_ordered 1
		.amdhsa_forward_progress 1
		.amdhsa_shared_vgpr_count 0
		.amdhsa_exception_fp_ieee_invalid_op 0
		.amdhsa_exception_fp_denorm_src 0
		.amdhsa_exception_fp_ieee_div_zero 0
		.amdhsa_exception_fp_ieee_overflow 0
		.amdhsa_exception_fp_ieee_underflow 0
		.amdhsa_exception_fp_ieee_inexact 0
		.amdhsa_exception_int_div_zero 0
	.end_amdhsa_kernel
	.section	.text._ZN9rocsolver6v33100L18getri_kernel_smallILi9E19rocblas_complex_numIfEPS3_EEvT1_iilPiilS6_bb,"axG",@progbits,_ZN9rocsolver6v33100L18getri_kernel_smallILi9E19rocblas_complex_numIfEPS3_EEvT1_iilPiilS6_bb,comdat
.Lfunc_end8:
	.size	_ZN9rocsolver6v33100L18getri_kernel_smallILi9E19rocblas_complex_numIfEPS3_EEvT1_iilPiilS6_bb, .Lfunc_end8-_ZN9rocsolver6v33100L18getri_kernel_smallILi9E19rocblas_complex_numIfEPS3_EEvT1_iilPiilS6_bb
                                        ; -- End function
	.set _ZN9rocsolver6v33100L18getri_kernel_smallILi9E19rocblas_complex_numIfEPS3_EEvT1_iilPiilS6_bb.num_vgpr, 60
	.set _ZN9rocsolver6v33100L18getri_kernel_smallILi9E19rocblas_complex_numIfEPS3_EEvT1_iilPiilS6_bb.num_agpr, 0
	.set _ZN9rocsolver6v33100L18getri_kernel_smallILi9E19rocblas_complex_numIfEPS3_EEvT1_iilPiilS6_bb.numbered_sgpr, 23
	.set _ZN9rocsolver6v33100L18getri_kernel_smallILi9E19rocblas_complex_numIfEPS3_EEvT1_iilPiilS6_bb.num_named_barrier, 0
	.set _ZN9rocsolver6v33100L18getri_kernel_smallILi9E19rocblas_complex_numIfEPS3_EEvT1_iilPiilS6_bb.private_seg_size, 80
	.set _ZN9rocsolver6v33100L18getri_kernel_smallILi9E19rocblas_complex_numIfEPS3_EEvT1_iilPiilS6_bb.uses_vcc, 1
	.set _ZN9rocsolver6v33100L18getri_kernel_smallILi9E19rocblas_complex_numIfEPS3_EEvT1_iilPiilS6_bb.uses_flat_scratch, 0
	.set _ZN9rocsolver6v33100L18getri_kernel_smallILi9E19rocblas_complex_numIfEPS3_EEvT1_iilPiilS6_bb.has_dyn_sized_stack, 0
	.set _ZN9rocsolver6v33100L18getri_kernel_smallILi9E19rocblas_complex_numIfEPS3_EEvT1_iilPiilS6_bb.has_recursion, 0
	.set _ZN9rocsolver6v33100L18getri_kernel_smallILi9E19rocblas_complex_numIfEPS3_EEvT1_iilPiilS6_bb.has_indirect_call, 0
	.section	.AMDGPU.csdata,"",@progbits
; Kernel info:
; codeLenInByte = 7848
; TotalNumSgprs: 25
; NumVgprs: 60
; ScratchSize: 80
; MemoryBound: 0
; FloatMode: 240
; IeeeMode: 1
; LDSByteSize: 152 bytes/workgroup (compile time only)
; SGPRBlocks: 0
; VGPRBlocks: 7
; NumSGPRsForWavesPerEU: 25
; NumVGPRsForWavesPerEU: 60
; Occupancy: 16
; WaveLimiterHint : 0
; COMPUTE_PGM_RSRC2:SCRATCH_EN: 1
; COMPUTE_PGM_RSRC2:USER_SGPR: 6
; COMPUTE_PGM_RSRC2:TRAP_HANDLER: 0
; COMPUTE_PGM_RSRC2:TGID_X_EN: 1
; COMPUTE_PGM_RSRC2:TGID_Y_EN: 0
; COMPUTE_PGM_RSRC2:TGID_Z_EN: 0
; COMPUTE_PGM_RSRC2:TIDIG_COMP_CNT: 0
	.section	.text._ZN9rocsolver6v33100L18getri_kernel_smallILi10E19rocblas_complex_numIfEPS3_EEvT1_iilPiilS6_bb,"axG",@progbits,_ZN9rocsolver6v33100L18getri_kernel_smallILi10E19rocblas_complex_numIfEPS3_EEvT1_iilPiilS6_bb,comdat
	.globl	_ZN9rocsolver6v33100L18getri_kernel_smallILi10E19rocblas_complex_numIfEPS3_EEvT1_iilPiilS6_bb ; -- Begin function _ZN9rocsolver6v33100L18getri_kernel_smallILi10E19rocblas_complex_numIfEPS3_EEvT1_iilPiilS6_bb
	.p2align	8
	.type	_ZN9rocsolver6v33100L18getri_kernel_smallILi10E19rocblas_complex_numIfEPS3_EEvT1_iilPiilS6_bb,@function
_ZN9rocsolver6v33100L18getri_kernel_smallILi10E19rocblas_complex_numIfEPS3_EEvT1_iilPiilS6_bb: ; @_ZN9rocsolver6v33100L18getri_kernel_smallILi10E19rocblas_complex_numIfEPS3_EEvT1_iilPiilS6_bb
; %bb.0:
	s_add_u32 s0, s0, s7
	s_addc_u32 s1, s1, 0
	s_mov_b32 s7, exec_lo
	v_cmpx_gt_u32_e32 10, v0
	s_cbranch_execz .LBB9_54
; %bb.1:
	s_clause 0x2
	s_load_dword s7, s[4:5], 0x38
	s_load_dwordx4 s[16:19], s[4:5], 0x10
	s_load_dwordx4 s[8:11], s[4:5], 0x28
                                        ; implicit-def: $sgpr20_sgpr21
	s_waitcnt lgkmcnt(0)
	s_bitcmp1_b32 s7, 8
	s_cselect_b32 s22, -1, 0
	s_bfe_u32 s12, s7, 0x10008
	s_ashr_i32 s7, s6, 31
	s_cmp_eq_u32 s12, 0
	s_cbranch_scc1 .LBB9_3
; %bb.2:
	s_load_dword s12, s[4:5], 0x20
	s_mul_i32 s13, s8, s7
	s_mul_hi_u32 s14, s8, s6
	s_mul_i32 s9, s9, s6
	s_add_i32 s13, s14, s13
	s_mul_i32 s8, s8, s6
	s_add_i32 s9, s13, s9
	s_lshl_b64 s[8:9], s[8:9], 2
	s_waitcnt lgkmcnt(0)
	s_ashr_i32 s13, s12, 31
	s_add_u32 s14, s18, s8
	s_addc_u32 s15, s19, s9
	s_lshl_b64 s[8:9], s[12:13], 2
	s_add_u32 s20, s14, s8
	s_addc_u32 s21, s15, s9
.LBB9_3:
	s_clause 0x1
	s_load_dwordx4 s[12:15], s[4:5], 0x0
	s_load_dword s18, s[4:5], 0x38
	s_mul_i32 s4, s16, s7
	s_mul_hi_u32 s5, s16, s6
	s_mul_i32 s8, s17, s6
	s_add_i32 s5, s5, s4
	s_mul_i32 s4, s16, s6
	s_add_i32 s5, s5, s8
	v_lshlrev_b32_e32 v23, 3, v0
	s_lshl_b64 s[4:5], s[4:5], 3
	s_waitcnt lgkmcnt(0)
	v_add3_u32 v3, s15, s15, v0
	s_ashr_i32 s9, s14, 31
	s_mov_b32 s8, s14
	s_add_u32 s12, s12, s4
	s_addc_u32 s13, s13, s5
	v_add_nc_u32_e32 v5, s15, v3
	s_lshl_b64 s[4:5], s[8:9], 3
	v_ashrrev_i32_e32 v4, 31, v3
	s_add_u32 s4, s12, s4
	s_addc_u32 s5, s13, s5
	v_ashrrev_i32_e32 v6, 31, v5
	v_add_nc_u32_e32 v9, s15, v5
	v_add_co_u32 v1, s12, s4, v23
	s_mov_b32 s8, s15
	s_ashr_i32 s9, s15, 31
	v_lshlrev_b64 v[7:8], 3, v[3:4]
	v_add_co_ci_u32_e64 v2, null, s5, 0, s12
	s_lshl_b64 s[8:9], s[8:9], 3
	v_lshlrev_b64 v[11:12], 3, v[5:6]
	v_add_nc_u32_e32 v15, s15, v9
	v_add_co_u32 v3, vcc_lo, v1, s8
	v_add_co_ci_u32_e64 v4, null, s9, v2, vcc_lo
	v_ashrrev_i32_e32 v10, 31, v9
	v_add_co_u32 v5, vcc_lo, s4, v7
	v_add_co_ci_u32_e64 v6, null, s5, v8, vcc_lo
	v_add_co_u32 v7, vcc_lo, s4, v11
	v_add_nc_u32_e32 v11, s15, v15
	v_lshlrev_b64 v[13:14], 3, v[9:10]
	v_ashrrev_i32_e32 v16, 31, v15
	v_add_co_ci_u32_e64 v8, null, s5, v12, vcc_lo
	v_add_nc_u32_e32 v17, s15, v11
	v_ashrrev_i32_e32 v12, 31, v11
	v_add_co_u32 v9, vcc_lo, s4, v13
	v_add_co_ci_u32_e64 v10, null, s5, v14, vcc_lo
	v_add_nc_u32_e32 v19, s15, v17
	v_lshlrev_b64 v[13:14], 3, v[15:16]
	v_lshlrev_b64 v[15:16], 3, v[11:12]
	v_ashrrev_i32_e32 v18, 31, v17
	global_load_dwordx2 v[21:22], v23, s[4:5]
	v_add_nc_u32_e32 v32, s15, v19
	v_ashrrev_i32_e32 v20, 31, v19
	v_add_co_u32 v11, vcc_lo, s4, v13
	v_add_co_ci_u32_e64 v12, null, s5, v14, vcc_lo
	v_add_co_u32 v13, vcc_lo, s4, v15
	v_ashrrev_i32_e32 v33, 31, v32
	v_add_co_ci_u32_e64 v14, null, s5, v16, vcc_lo
	v_lshlrev_b64 v[15:16], 3, v[17:18]
	v_lshlrev_b64 v[17:18], 3, v[19:20]
	;; [unrolled: 1-line block ×3, first 2 shown]
	s_clause 0x5
	global_load_dwordx2 v[24:25], v[3:4], off
	global_load_dwordx2 v[26:27], v[5:6], off
	;; [unrolled: 1-line block ×6, first 2 shown]
	s_bitcmp0_b32 s18, 0
	v_add_co_u32 v15, vcc_lo, s4, v15
	v_add_co_ci_u32_e64 v16, null, s5, v16, vcc_lo
	v_add_co_u32 v19, vcc_lo, s4, v17
	v_add_co_ci_u32_e64 v20, null, s5, v18, vcc_lo
	;; [unrolled: 2-line block ×3, first 2 shown]
	s_clause 0x2
	global_load_dwordx2 v[32:33], v[15:16], off
	global_load_dwordx2 v[38:39], v[19:20], off
	;; [unrolled: 1-line block ×3, first 2 shown]
	s_mov_b32 s5, -1
	s_waitcnt vmcnt(9)
	buffer_store_dword v22, off, s[0:3], 0 offset:4
	buffer_store_dword v21, off, s[0:3], 0
	s_waitcnt vmcnt(8)
	buffer_store_dword v25, off, s[0:3], 0 offset:12
	buffer_store_dword v24, off, s[0:3], 0 offset:8
	s_waitcnt vmcnt(7)
	buffer_store_dword v27, off, s[0:3], 0 offset:20
	buffer_store_dword v26, off, s[0:3], 0 offset:16
	;; [unrolled: 3-line block ×9, first 2 shown]
	s_cbranch_scc1 .LBB9_52
; %bb.4:
	v_cmp_eq_u32_e64 s4, 0, v0
	s_and_saveexec_b32 s5, s4
; %bb.5:
	v_mov_b32_e32 v21, 0
	ds_write_b32 v21, v21 offset:160
; %bb.6:
	s_or_b32 exec_lo, exec_lo, s5
	v_lshl_add_u32 v25, v0, 3, 0
	s_waitcnt lgkmcnt(0)
	s_waitcnt_vscnt null, 0x0
	s_barrier
	buffer_gl0_inv
	s_clause 0x1
	buffer_load_dword v21, v25, s[0:3], 0 offen
	buffer_load_dword v22, v25, s[0:3], 0 offen offset:4
	s_waitcnt vmcnt(1)
	v_cmp_eq_f32_e32 vcc_lo, 0, v21
	s_waitcnt vmcnt(0)
	v_cmp_eq_f32_e64 s5, 0, v22
	s_and_b32 s5, vcc_lo, s5
	s_and_saveexec_b32 s8, s5
	s_cbranch_execz .LBB9_10
; %bb.7:
	v_mov_b32_e32 v21, 0
	s_mov_b32 s9, 0
	ds_read_b32 v22, v21 offset:160
	s_waitcnt lgkmcnt(0)
	v_readfirstlane_b32 s5, v22
	v_add_nc_u32_e32 v22, 1, v0
	s_cmp_eq_u32 s5, 0
	v_cmp_gt_i32_e32 vcc_lo, s5, v22
	s_cselect_b32 s12, -1, 0
	s_or_b32 s12, s12, vcc_lo
	s_and_b32 exec_lo, exec_lo, s12
	s_cbranch_execz .LBB9_10
; %bb.8:
	v_mov_b32_e32 v24, s5
.LBB9_9:                                ; =>This Inner Loop Header: Depth=1
	ds_cmpst_rtn_b32 v24, v21, v24, v22 offset:160
	s_waitcnt lgkmcnt(0)
	v_cmp_ne_u32_e32 vcc_lo, 0, v24
	v_cmp_le_i32_e64 s5, v24, v22
	s_and_b32 s5, vcc_lo, s5
	s_and_b32 s5, exec_lo, s5
	s_or_b32 s9, s5, s9
	s_andn2_b32 exec_lo, exec_lo, s9
	s_cbranch_execnz .LBB9_9
.LBB9_10:
	s_or_b32 exec_lo, exec_lo, s8
	v_mov_b32_e32 v21, 0
	s_barrier
	buffer_gl0_inv
	ds_read_b32 v22, v21 offset:160
	s_and_saveexec_b32 s5, s4
	s_cbranch_execz .LBB9_12
; %bb.11:
	s_lshl_b64 s[8:9], s[6:7], 2
	s_add_u32 s8, s10, s8
	s_addc_u32 s9, s11, s9
	s_waitcnt lgkmcnt(0)
	global_store_dword v21, v22, s[8:9]
.LBB9_12:
	s_or_b32 exec_lo, exec_lo, s5
	s_waitcnt lgkmcnt(0)
	v_cmp_ne_u32_e32 vcc_lo, 0, v22
	s_mov_b32 s5, 0
	s_cbranch_vccnz .LBB9_52
; %bb.13:
	s_clause 0x1
	buffer_load_dword v22, v25, s[0:3], 0 offen
	buffer_load_dword v24, v25, s[0:3], 0 offen offset:4
                                        ; implicit-def: $vgpr27
                                        ; implicit-def: $vgpr26
                                        ; implicit-def: $vgpr21
	s_waitcnt vmcnt(0)
	v_cmp_ngt_f32_e64 s5, |v22|, |v24|
	s_and_saveexec_b32 s8, s5
	s_xor_b32 s5, exec_lo, s8
	s_cbranch_execz .LBB9_15
; %bb.14:
	v_div_scale_f32 v21, null, v24, v24, v22
	v_div_scale_f32 v28, vcc_lo, v22, v24, v22
	v_rcp_f32_e32 v26, v21
	v_fma_f32 v27, -v21, v26, 1.0
	v_fmac_f32_e32 v26, v27, v26
	v_mul_f32_e32 v27, v28, v26
	v_fma_f32 v29, -v21, v27, v28
	v_fmac_f32_e32 v27, v29, v26
	v_fma_f32 v21, -v21, v27, v28
	v_div_fmas_f32 v21, v21, v26, v27
	v_div_fixup_f32 v21, v21, v24, v22
	v_fmac_f32_e32 v24, v22, v21
	v_div_scale_f32 v22, null, v24, v24, 1.0
	v_rcp_f32_e32 v26, v22
	v_fma_f32 v27, -v22, v26, 1.0
	v_fmac_f32_e32 v26, v27, v26
	v_div_scale_f32 v27, vcc_lo, 1.0, v24, 1.0
	v_mul_f32_e32 v28, v27, v26
	v_fma_f32 v29, -v22, v28, v27
	v_fmac_f32_e32 v28, v29, v26
	v_fma_f32 v22, -v22, v28, v27
	v_div_fmas_f32 v22, v22, v26, v28
	v_div_fixup_f32 v22, v22, v24, 1.0
                                        ; implicit-def: $vgpr24
	v_mul_f32_e32 v27, v21, v22
	v_xor_b32_e32 v26, 0x80000000, v22
                                        ; implicit-def: $vgpr22
	v_xor_b32_e32 v21, 0x80000000, v27
.LBB9_15:
	s_andn2_saveexec_b32 s5, s5
	s_cbranch_execz .LBB9_17
; %bb.16:
	v_div_scale_f32 v21, null, v22, v22, v24
	v_div_scale_f32 v28, vcc_lo, v24, v22, v24
	v_rcp_f32_e32 v26, v21
	v_fma_f32 v27, -v21, v26, 1.0
	v_fmac_f32_e32 v26, v27, v26
	v_mul_f32_e32 v27, v28, v26
	v_fma_f32 v29, -v21, v27, v28
	v_fmac_f32_e32 v27, v29, v26
	v_fma_f32 v21, -v21, v27, v28
	v_div_fmas_f32 v21, v21, v26, v27
	v_div_fixup_f32 v26, v21, v22, v24
	v_fmac_f32_e32 v22, v24, v26
	v_div_scale_f32 v21, null, v22, v22, 1.0
	v_div_scale_f32 v28, vcc_lo, 1.0, v22, 1.0
	v_rcp_f32_e32 v24, v21
	v_fma_f32 v27, -v21, v24, 1.0
	v_fmac_f32_e32 v24, v27, v24
	v_mul_f32_e32 v27, v28, v24
	v_fma_f32 v29, -v21, v27, v28
	v_fmac_f32_e32 v27, v29, v24
	v_fma_f32 v21, -v21, v27, v28
	v_div_fmas_f32 v21, v21, v24, v27
	v_div_fixup_f32 v27, v21, v22, 1.0
	v_xor_b32_e32 v21, 0x80000000, v27
	v_mul_f32_e64 v26, v26, -v27
.LBB9_17:
	s_or_b32 exec_lo, exec_lo, s5
	buffer_store_dword v27, v25, s[0:3], 0 offen
	buffer_store_dword v26, v25, s[0:3], 0 offen offset:4
	s_clause 0x1
	buffer_load_dword v28, off, s[0:3], 0 offset:12
	buffer_load_dword v27, off, s[0:3], 0 offset:8
	v_xor_b32_e32 v22, 0x80000000, v26
	v_add_nc_u32_e32 v24, 0x50, v23
	s_waitcnt vmcnt(0)
	ds_write2_b64 v23, v[21:22], v[27:28] offset1:10
	s_waitcnt lgkmcnt(0)
	s_waitcnt_vscnt null, 0x0
	s_barrier
	buffer_gl0_inv
	s_and_saveexec_b32 s5, s4
	s_cbranch_execz .LBB9_19
; %bb.18:
	s_clause 0x1
	buffer_load_dword v28, v25, s[0:3], 0 offen offset:4
	buffer_load_dword v29, v25, s[0:3], 0 offen
	ds_read_b64 v[21:22], v24
	v_mov_b32_e32 v26, 0
	ds_read_b64 v[26:27], v26 offset:8
	s_waitcnt vmcnt(1) lgkmcnt(1)
	v_mul_f32_e32 v30, v21, v28
	v_mul_f32_e32 v28, v22, v28
	s_waitcnt vmcnt(0)
	v_fmac_f32_e32 v30, v22, v29
	v_fma_f32 v21, v21, v29, -v28
	v_add_f32_e32 v22, 0, v30
	v_add_f32_e32 v21, 0, v21
	s_waitcnt lgkmcnt(0)
	v_mul_f32_e32 v28, v22, v27
	v_mul_f32_e32 v27, v21, v27
	v_fma_f32 v21, v21, v26, -v28
	v_fmac_f32_e32 v27, v22, v26
	buffer_store_dword v21, off, s[0:3], 0 offset:8
	buffer_store_dword v27, off, s[0:3], 0 offset:12
.LBB9_19:
	s_or_b32 exec_lo, exec_lo, s5
	s_waitcnt_vscnt null, 0x0
	s_barrier
	buffer_gl0_inv
	s_clause 0x1
	buffer_load_dword v21, off, s[0:3], 0 offset:16
	buffer_load_dword v22, off, s[0:3], 0 offset:20
	s_mov_b32 s5, exec_lo
	s_waitcnt vmcnt(0)
	ds_write_b64 v24, v[21:22]
	s_waitcnt lgkmcnt(0)
	s_barrier
	buffer_gl0_inv
	v_cmpx_gt_u32_e32 2, v0
	s_cbranch_execz .LBB9_23
; %bb.20:
	s_clause 0x1
	buffer_load_dword v26, v25, s[0:3], 0 offen offset:4
	buffer_load_dword v25, v25, s[0:3], 0 offen
	ds_read_b64 v[21:22], v24
	s_waitcnt vmcnt(1) lgkmcnt(0)
	v_mul_f32_e32 v27, v22, v26
	v_mul_f32_e32 v26, v21, v26
	s_waitcnt vmcnt(0)
	v_fma_f32 v21, v21, v25, -v27
	v_fmac_f32_e32 v26, v22, v25
	v_add_f32_e32 v22, 0, v21
	v_add_f32_e32 v21, 0, v26
	s_and_saveexec_b32 s8, s4
	s_cbranch_execz .LBB9_22
; %bb.21:
	s_clause 0x1
	buffer_load_dword v27, off, s[0:3], 0 offset:12
	buffer_load_dword v28, off, s[0:3], 0 offset:8
	v_mov_b32_e32 v25, 0
	ds_read_b64 v[25:26], v25 offset:88
	s_waitcnt vmcnt(1) lgkmcnt(0)
	v_mul_f32_e32 v29, v25, v27
	v_mul_f32_e32 v27, v26, v27
	s_waitcnt vmcnt(0)
	v_fmac_f32_e32 v29, v26, v28
	v_fma_f32 v25, v25, v28, -v27
	v_add_f32_e32 v21, v21, v29
	v_add_f32_e32 v22, v22, v25
.LBB9_22:
	s_or_b32 exec_lo, exec_lo, s8
	v_mov_b32_e32 v25, 0
	ds_read_b64 v[25:26], v25 offset:16
	s_waitcnt lgkmcnt(0)
	v_mul_f32_e32 v27, v21, v26
	v_mul_f32_e32 v26, v22, v26
	v_fma_f32 v22, v22, v25, -v27
	v_fmac_f32_e32 v26, v21, v25
	buffer_store_dword v22, off, s[0:3], 0 offset:16
	buffer_store_dword v26, off, s[0:3], 0 offset:20
.LBB9_23:
	s_or_b32 exec_lo, exec_lo, s5
	s_waitcnt_vscnt null, 0x0
	s_barrier
	buffer_gl0_inv
	s_clause 0x1
	buffer_load_dword v25, off, s[0:3], 0 offset:24
	buffer_load_dword v26, off, s[0:3], 0 offset:28
	v_add_nc_u32_e32 v21, -1, v0
	s_mov_b32 s4, exec_lo
	s_waitcnt vmcnt(0)
	ds_write_b64 v24, v[25:26]
	s_waitcnt lgkmcnt(0)
	s_barrier
	buffer_gl0_inv
	v_cmpx_gt_u32_e32 3, v0
	s_cbranch_execz .LBB9_27
; %bb.24:
	v_add_nc_u32_e32 v25, -1, v0
	v_add_nc_u32_e32 v26, 0x50, v23
	v_mov_b32_e32 v27, v23
	v_mov_b32_e32 v22, 0
	;; [unrolled: 1-line block ×3, first 2 shown]
	s_mov_b32 s5, 0
	.p2align	6
.LBB9_25:                               ; =>This Inner Loop Header: Depth=1
	s_clause 0x1
	buffer_load_dword v31, v27, s[0:3], 0 offen offset:4
	buffer_load_dword v32, v27, s[0:3], 0 offen
	ds_read_b64 v[29:30], v26
	v_add_nc_u32_e32 v25, 1, v25
	v_add_nc_u32_e32 v26, 8, v26
	;; [unrolled: 1-line block ×3, first 2 shown]
	v_cmp_lt_u32_e32 vcc_lo, 1, v25
	s_or_b32 s5, vcc_lo, s5
	s_waitcnt vmcnt(1) lgkmcnt(0)
	v_mul_f32_e32 v33, v30, v31
	v_mul_f32_e32 v31, v29, v31
	s_waitcnt vmcnt(0)
	v_fma_f32 v29, v29, v32, -v33
	v_fmac_f32_e32 v31, v30, v32
	v_add_f32_e32 v28, v28, v29
	v_add_f32_e32 v22, v22, v31
	s_andn2_b32 exec_lo, exec_lo, s5
	s_cbranch_execnz .LBB9_25
; %bb.26:
	s_or_b32 exec_lo, exec_lo, s5
	v_mov_b32_e32 v25, 0
	ds_read_b64 v[25:26], v25 offset:24
	s_waitcnt lgkmcnt(0)
	v_mul_f32_e32 v27, v22, v26
	v_mul_f32_e32 v26, v28, v26
	v_fma_f32 v27, v28, v25, -v27
	v_fmac_f32_e32 v26, v22, v25
	buffer_store_dword v27, off, s[0:3], 0 offset:24
	buffer_store_dword v26, off, s[0:3], 0 offset:28
.LBB9_27:
	s_or_b32 exec_lo, exec_lo, s4
	s_waitcnt_vscnt null, 0x0
	s_barrier
	buffer_gl0_inv
	s_clause 0x1
	buffer_load_dword v25, off, s[0:3], 0 offset:32
	buffer_load_dword v26, off, s[0:3], 0 offset:36
	s_mov_b32 s4, exec_lo
	s_waitcnt vmcnt(0)
	ds_write_b64 v24, v[25:26]
	s_waitcnt lgkmcnt(0)
	s_barrier
	buffer_gl0_inv
	v_cmpx_gt_u32_e32 4, v0
	s_cbranch_execz .LBB9_31
; %bb.28:
	v_add_nc_u32_e32 v25, -1, v0
	v_add_nc_u32_e32 v26, 0x50, v23
	v_mov_b32_e32 v27, v23
	v_mov_b32_e32 v22, 0
	;; [unrolled: 1-line block ×3, first 2 shown]
	s_mov_b32 s5, 0
	.p2align	6
.LBB9_29:                               ; =>This Inner Loop Header: Depth=1
	s_clause 0x1
	buffer_load_dword v31, v27, s[0:3], 0 offen offset:4
	buffer_load_dword v32, v27, s[0:3], 0 offen
	ds_read_b64 v[29:30], v26
	v_add_nc_u32_e32 v25, 1, v25
	v_add_nc_u32_e32 v26, 8, v26
	;; [unrolled: 1-line block ×3, first 2 shown]
	v_cmp_lt_u32_e32 vcc_lo, 2, v25
	s_or_b32 s5, vcc_lo, s5
	s_waitcnt vmcnt(1) lgkmcnt(0)
	v_mul_f32_e32 v33, v30, v31
	v_mul_f32_e32 v31, v29, v31
	s_waitcnt vmcnt(0)
	v_fma_f32 v29, v29, v32, -v33
	v_fmac_f32_e32 v31, v30, v32
	v_add_f32_e32 v28, v28, v29
	v_add_f32_e32 v22, v22, v31
	s_andn2_b32 exec_lo, exec_lo, s5
	s_cbranch_execnz .LBB9_29
; %bb.30:
	s_or_b32 exec_lo, exec_lo, s5
	v_mov_b32_e32 v25, 0
	ds_read_b64 v[25:26], v25 offset:32
	s_waitcnt lgkmcnt(0)
	v_mul_f32_e32 v27, v22, v26
	v_mul_f32_e32 v26, v28, v26
	v_fma_f32 v27, v28, v25, -v27
	v_fmac_f32_e32 v26, v22, v25
	buffer_store_dword v27, off, s[0:3], 0 offset:32
	buffer_store_dword v26, off, s[0:3], 0 offset:36
.LBB9_31:
	s_or_b32 exec_lo, exec_lo, s4
	s_waitcnt_vscnt null, 0x0
	s_barrier
	buffer_gl0_inv
	s_clause 0x1
	buffer_load_dword v25, off, s[0:3], 0 offset:40
	buffer_load_dword v26, off, s[0:3], 0 offset:44
	s_mov_b32 s4, exec_lo
	s_waitcnt vmcnt(0)
	ds_write_b64 v24, v[25:26]
	s_waitcnt lgkmcnt(0)
	s_barrier
	buffer_gl0_inv
	v_cmpx_gt_u32_e32 5, v0
	s_cbranch_execz .LBB9_35
; %bb.32:
	v_add_nc_u32_e32 v25, -1, v0
	v_add_nc_u32_e32 v26, 0x50, v23
	v_mov_b32_e32 v27, v23
	v_mov_b32_e32 v22, 0
	;; [unrolled: 1-line block ×3, first 2 shown]
	s_mov_b32 s5, 0
	.p2align	6
.LBB9_33:                               ; =>This Inner Loop Header: Depth=1
	s_clause 0x1
	buffer_load_dword v31, v27, s[0:3], 0 offen offset:4
	buffer_load_dword v32, v27, s[0:3], 0 offen
	ds_read_b64 v[29:30], v26
	v_add_nc_u32_e32 v25, 1, v25
	v_add_nc_u32_e32 v26, 8, v26
	;; [unrolled: 1-line block ×3, first 2 shown]
	v_cmp_lt_u32_e32 vcc_lo, 3, v25
	s_or_b32 s5, vcc_lo, s5
	s_waitcnt vmcnt(1) lgkmcnt(0)
	v_mul_f32_e32 v33, v30, v31
	v_mul_f32_e32 v31, v29, v31
	s_waitcnt vmcnt(0)
	v_fma_f32 v29, v29, v32, -v33
	v_fmac_f32_e32 v31, v30, v32
	v_add_f32_e32 v28, v28, v29
	v_add_f32_e32 v22, v22, v31
	s_andn2_b32 exec_lo, exec_lo, s5
	s_cbranch_execnz .LBB9_33
; %bb.34:
	s_or_b32 exec_lo, exec_lo, s5
	v_mov_b32_e32 v25, 0
	ds_read_b64 v[25:26], v25 offset:40
	s_waitcnt lgkmcnt(0)
	v_mul_f32_e32 v27, v22, v26
	v_mul_f32_e32 v26, v28, v26
	v_fma_f32 v27, v28, v25, -v27
	v_fmac_f32_e32 v26, v22, v25
	buffer_store_dword v27, off, s[0:3], 0 offset:40
	buffer_store_dword v26, off, s[0:3], 0 offset:44
.LBB9_35:
	s_or_b32 exec_lo, exec_lo, s4
	s_waitcnt_vscnt null, 0x0
	s_barrier
	buffer_gl0_inv
	s_clause 0x1
	buffer_load_dword v25, off, s[0:3], 0 offset:48
	buffer_load_dword v26, off, s[0:3], 0 offset:52
	s_mov_b32 s4, exec_lo
	s_waitcnt vmcnt(0)
	ds_write_b64 v24, v[25:26]
	s_waitcnt lgkmcnt(0)
	s_barrier
	buffer_gl0_inv
	v_cmpx_gt_u32_e32 6, v0
	s_cbranch_execz .LBB9_39
; %bb.36:
	v_add_nc_u32_e32 v25, -1, v0
	v_add_nc_u32_e32 v26, 0x50, v23
	v_mov_b32_e32 v27, v23
	v_mov_b32_e32 v22, 0
	;; [unrolled: 1-line block ×3, first 2 shown]
	s_mov_b32 s5, 0
	.p2align	6
.LBB9_37:                               ; =>This Inner Loop Header: Depth=1
	s_clause 0x1
	buffer_load_dword v31, v27, s[0:3], 0 offen offset:4
	buffer_load_dword v32, v27, s[0:3], 0 offen
	ds_read_b64 v[29:30], v26
	v_add_nc_u32_e32 v25, 1, v25
	v_add_nc_u32_e32 v26, 8, v26
	;; [unrolled: 1-line block ×3, first 2 shown]
	v_cmp_lt_u32_e32 vcc_lo, 4, v25
	s_or_b32 s5, vcc_lo, s5
	s_waitcnt vmcnt(1) lgkmcnt(0)
	v_mul_f32_e32 v33, v30, v31
	v_mul_f32_e32 v31, v29, v31
	s_waitcnt vmcnt(0)
	v_fma_f32 v29, v29, v32, -v33
	v_fmac_f32_e32 v31, v30, v32
	v_add_f32_e32 v28, v28, v29
	v_add_f32_e32 v22, v22, v31
	s_andn2_b32 exec_lo, exec_lo, s5
	s_cbranch_execnz .LBB9_37
; %bb.38:
	s_or_b32 exec_lo, exec_lo, s5
	v_mov_b32_e32 v25, 0
	ds_read_b64 v[25:26], v25 offset:48
	s_waitcnt lgkmcnt(0)
	v_mul_f32_e32 v27, v22, v26
	v_mul_f32_e32 v26, v28, v26
	v_fma_f32 v27, v28, v25, -v27
	v_fmac_f32_e32 v26, v22, v25
	buffer_store_dword v27, off, s[0:3], 0 offset:48
	buffer_store_dword v26, off, s[0:3], 0 offset:52
.LBB9_39:
	s_or_b32 exec_lo, exec_lo, s4
	s_waitcnt_vscnt null, 0x0
	s_barrier
	buffer_gl0_inv
	s_clause 0x1
	buffer_load_dword v25, off, s[0:3], 0 offset:56
	buffer_load_dword v26, off, s[0:3], 0 offset:60
	s_mov_b32 s4, exec_lo
	s_waitcnt vmcnt(0)
	ds_write_b64 v24, v[25:26]
	s_waitcnt lgkmcnt(0)
	s_barrier
	buffer_gl0_inv
	v_cmpx_gt_u32_e32 7, v0
	s_cbranch_execz .LBB9_43
; %bb.40:
	v_add_nc_u32_e32 v25, -1, v0
	v_add_nc_u32_e32 v26, 0x50, v23
	v_mov_b32_e32 v27, v23
	v_mov_b32_e32 v22, 0
	;; [unrolled: 1-line block ×3, first 2 shown]
	s_mov_b32 s5, 0
	.p2align	6
.LBB9_41:                               ; =>This Inner Loop Header: Depth=1
	s_clause 0x1
	buffer_load_dword v31, v27, s[0:3], 0 offen offset:4
	buffer_load_dword v32, v27, s[0:3], 0 offen
	ds_read_b64 v[29:30], v26
	v_add_nc_u32_e32 v25, 1, v25
	v_add_nc_u32_e32 v26, 8, v26
	;; [unrolled: 1-line block ×3, first 2 shown]
	v_cmp_lt_u32_e32 vcc_lo, 5, v25
	s_or_b32 s5, vcc_lo, s5
	s_waitcnt vmcnt(1) lgkmcnt(0)
	v_mul_f32_e32 v33, v30, v31
	v_mul_f32_e32 v31, v29, v31
	s_waitcnt vmcnt(0)
	v_fma_f32 v29, v29, v32, -v33
	v_fmac_f32_e32 v31, v30, v32
	v_add_f32_e32 v28, v28, v29
	v_add_f32_e32 v22, v22, v31
	s_andn2_b32 exec_lo, exec_lo, s5
	s_cbranch_execnz .LBB9_41
; %bb.42:
	s_or_b32 exec_lo, exec_lo, s5
	v_mov_b32_e32 v25, 0
	ds_read_b64 v[25:26], v25 offset:56
	s_waitcnt lgkmcnt(0)
	v_mul_f32_e32 v27, v22, v26
	v_mul_f32_e32 v26, v28, v26
	v_fma_f32 v27, v28, v25, -v27
	v_fmac_f32_e32 v26, v22, v25
	buffer_store_dword v27, off, s[0:3], 0 offset:56
	buffer_store_dword v26, off, s[0:3], 0 offset:60
.LBB9_43:
	s_or_b32 exec_lo, exec_lo, s4
	s_waitcnt_vscnt null, 0x0
	s_barrier
	buffer_gl0_inv
	s_clause 0x1
	buffer_load_dword v25, off, s[0:3], 0 offset:64
	buffer_load_dword v26, off, s[0:3], 0 offset:68
	s_mov_b32 s4, exec_lo
	s_waitcnt vmcnt(0)
	ds_write_b64 v24, v[25:26]
	s_waitcnt lgkmcnt(0)
	s_barrier
	buffer_gl0_inv
	v_cmpx_gt_u32_e32 8, v0
	s_cbranch_execz .LBB9_47
; %bb.44:
	v_add_nc_u32_e32 v25, -1, v0
	v_add_nc_u32_e32 v26, 0x50, v23
	v_mov_b32_e32 v27, v23
	v_mov_b32_e32 v22, 0
	;; [unrolled: 1-line block ×3, first 2 shown]
	s_mov_b32 s5, 0
	.p2align	6
.LBB9_45:                               ; =>This Inner Loop Header: Depth=1
	s_clause 0x1
	buffer_load_dword v31, v27, s[0:3], 0 offen offset:4
	buffer_load_dword v32, v27, s[0:3], 0 offen
	ds_read_b64 v[29:30], v26
	v_add_nc_u32_e32 v25, 1, v25
	v_add_nc_u32_e32 v26, 8, v26
	;; [unrolled: 1-line block ×3, first 2 shown]
	v_cmp_lt_u32_e32 vcc_lo, 6, v25
	s_or_b32 s5, vcc_lo, s5
	s_waitcnt vmcnt(1) lgkmcnt(0)
	v_mul_f32_e32 v33, v30, v31
	v_mul_f32_e32 v31, v29, v31
	s_waitcnt vmcnt(0)
	v_fma_f32 v29, v29, v32, -v33
	v_fmac_f32_e32 v31, v30, v32
	v_add_f32_e32 v28, v28, v29
	v_add_f32_e32 v22, v22, v31
	s_andn2_b32 exec_lo, exec_lo, s5
	s_cbranch_execnz .LBB9_45
; %bb.46:
	s_or_b32 exec_lo, exec_lo, s5
	v_mov_b32_e32 v25, 0
	ds_read_b64 v[25:26], v25 offset:64
	s_waitcnt lgkmcnt(0)
	v_mul_f32_e32 v27, v22, v26
	v_mul_f32_e32 v26, v28, v26
	v_fma_f32 v27, v28, v25, -v27
	v_fmac_f32_e32 v26, v22, v25
	buffer_store_dword v27, off, s[0:3], 0 offset:64
	buffer_store_dword v26, off, s[0:3], 0 offset:68
.LBB9_47:
	s_or_b32 exec_lo, exec_lo, s4
	s_waitcnt_vscnt null, 0x0
	s_barrier
	buffer_gl0_inv
	s_clause 0x1
	buffer_load_dword v25, off, s[0:3], 0 offset:72
	buffer_load_dword v26, off, s[0:3], 0 offset:76
	s_mov_b32 s4, exec_lo
	s_waitcnt vmcnt(0)
	ds_write_b64 v24, v[25:26]
	s_waitcnt lgkmcnt(0)
	s_barrier
	buffer_gl0_inv
	v_cmpx_ne_u32_e32 9, v0
	s_cbranch_execz .LBB9_51
; %bb.48:
	v_mov_b32_e32 v22, 0
	v_mov_b32_e32 v25, 0
	s_mov_b32 s5, 0
	.p2align	6
.LBB9_49:                               ; =>This Inner Loop Header: Depth=1
	s_clause 0x1
	buffer_load_dword v28, v23, s[0:3], 0 offen offset:4
	buffer_load_dword v29, v23, s[0:3], 0 offen
	ds_read_b64 v[26:27], v24
	v_add_nc_u32_e32 v21, 1, v21
	v_add_nc_u32_e32 v24, 8, v24
	;; [unrolled: 1-line block ×3, first 2 shown]
	v_cmp_lt_u32_e32 vcc_lo, 7, v21
	s_or_b32 s5, vcc_lo, s5
	s_waitcnt vmcnt(1) lgkmcnt(0)
	v_mul_f32_e32 v30, v27, v28
	v_mul_f32_e32 v28, v26, v28
	s_waitcnt vmcnt(0)
	v_fma_f32 v26, v26, v29, -v30
	v_fmac_f32_e32 v28, v27, v29
	v_add_f32_e32 v25, v25, v26
	v_add_f32_e32 v22, v22, v28
	s_andn2_b32 exec_lo, exec_lo, s5
	s_cbranch_execnz .LBB9_49
; %bb.50:
	s_or_b32 exec_lo, exec_lo, s5
	v_mov_b32_e32 v21, 0
	ds_read_b64 v[23:24], v21 offset:72
	s_waitcnt lgkmcnt(0)
	v_mul_f32_e32 v21, v22, v24
	v_mul_f32_e32 v24, v25, v24
	v_fma_f32 v21, v25, v23, -v21
	v_fmac_f32_e32 v24, v22, v23
	buffer_store_dword v21, off, s[0:3], 0 offset:72
	buffer_store_dword v24, off, s[0:3], 0 offset:76
.LBB9_51:
	s_or_b32 exec_lo, exec_lo, s4
	s_mov_b32 s5, -1
	s_waitcnt_vscnt null, 0x0
	s_barrier
	buffer_gl0_inv
.LBB9_52:
	s_and_b32 vcc_lo, exec_lo, s5
	s_cbranch_vccz .LBB9_54
; %bb.53:
	s_lshl_b64 s[4:5], s[6:7], 2
	v_mov_b32_e32 v21, 0
	s_add_u32 s4, s10, s4
	s_addc_u32 s5, s11, s5
	global_load_dword v21, v21, s[4:5]
	s_waitcnt vmcnt(0)
	v_cmp_ne_u32_e32 vcc_lo, 0, v21
	s_cbranch_vccz .LBB9_55
.LBB9_54:
	s_endpgm
.LBB9_55:
	v_lshl_add_u32 v21, v0, 3, 0x50
	s_mov_b32 s4, exec_lo
	v_cmpx_eq_u32_e32 9, v0
	s_cbranch_execz .LBB9_57
; %bb.56:
	s_clause 0x1
	buffer_load_dword v22, off, s[0:3], 0 offset:64
	buffer_load_dword v23, off, s[0:3], 0 offset:68
	v_mov_b32_e32 v24, 0
	buffer_store_dword v24, off, s[0:3], 0 offset:64
	buffer_store_dword v24, off, s[0:3], 0 offset:68
	s_waitcnt vmcnt(0)
	ds_write_b64 v21, v[22:23]
.LBB9_57:
	s_or_b32 exec_lo, exec_lo, s4
	s_waitcnt lgkmcnt(0)
	s_waitcnt_vscnt null, 0x0
	s_barrier
	buffer_gl0_inv
	s_clause 0x3
	buffer_load_dword v25, off, s[0:3], 0 offset:76
	buffer_load_dword v26, off, s[0:3], 0 offset:72
	;; [unrolled: 1-line block ×4, first 2 shown]
	v_mov_b32_e32 v22, 0
	s_mov_b32 s4, exec_lo
	ds_read_b64 v[23:24], v22 offset:152
	s_waitcnt vmcnt(3) lgkmcnt(0)
	v_mul_f32_e32 v29, v24, v25
	v_mul_f32_e32 v25, v23, v25
	s_waitcnt vmcnt(2)
	v_fma_f32 v23, v23, v26, -v29
	v_fmac_f32_e32 v25, v24, v26
	v_add_f32_e32 v23, 0, v23
	v_add_f32_e32 v24, 0, v25
	s_waitcnt vmcnt(1)
	v_sub_f32_e32 v23, v27, v23
	s_waitcnt vmcnt(0)
	v_sub_f32_e32 v24, v28, v24
	buffer_store_dword v23, off, s[0:3], 0 offset:64
	buffer_store_dword v24, off, s[0:3], 0 offset:68
	v_cmpx_lt_u32_e32 7, v0
	s_cbranch_execz .LBB9_59
; %bb.58:
	s_clause 0x1
	buffer_load_dword v23, off, s[0:3], 0 offset:56
	buffer_load_dword v24, off, s[0:3], 0 offset:60
	buffer_store_dword v22, off, s[0:3], 0 offset:56
	buffer_store_dword v22, off, s[0:3], 0 offset:60
	s_waitcnt vmcnt(0)
	ds_write_b64 v21, v[23:24]
.LBB9_59:
	s_or_b32 exec_lo, exec_lo, s4
	s_waitcnt lgkmcnt(0)
	s_waitcnt_vscnt null, 0x0
	s_barrier
	buffer_gl0_inv
	s_clause 0x5
	buffer_load_dword v26, off, s[0:3], 0 offset:68
	buffer_load_dword v27, off, s[0:3], 0 offset:76
	buffer_load_dword v28, off, s[0:3], 0 offset:64
	buffer_load_dword v29, off, s[0:3], 0 offset:72
	buffer_load_dword v30, off, s[0:3], 0 offset:56
	buffer_load_dword v31, off, s[0:3], 0 offset:60
	ds_read_b128 v[22:25], v22 offset:144
	s_mov_b32 s4, exec_lo
	s_waitcnt vmcnt(5) lgkmcnt(0)
	v_mul_f32_e32 v32, v23, v26
	v_mul_f32_e32 v26, v22, v26
	s_waitcnt vmcnt(4)
	v_mul_f32_e32 v33, v24, v27
	v_mul_f32_e32 v27, v25, v27
	s_waitcnt vmcnt(3)
	v_fma_f32 v22, v22, v28, -v32
	v_fmac_f32_e32 v26, v23, v28
	s_waitcnt vmcnt(2)
	v_fmac_f32_e32 v33, v25, v29
	v_fma_f32 v23, v24, v29, -v27
	v_add_f32_e32 v22, 0, v22
	v_add_f32_e32 v24, 0, v26
	;; [unrolled: 1-line block ×4, first 2 shown]
	s_waitcnt vmcnt(1)
	v_sub_f32_e32 v22, v30, v22
	s_waitcnt vmcnt(0)
	v_sub_f32_e32 v23, v31, v23
	buffer_store_dword v22, off, s[0:3], 0 offset:56
	buffer_store_dword v23, off, s[0:3], 0 offset:60
	v_cmpx_lt_u32_e32 6, v0
	s_cbranch_execz .LBB9_61
; %bb.60:
	s_clause 0x1
	buffer_load_dword v22, off, s[0:3], 0 offset:48
	buffer_load_dword v23, off, s[0:3], 0 offset:52
	v_mov_b32_e32 v24, 0
	buffer_store_dword v24, off, s[0:3], 0 offset:48
	buffer_store_dword v24, off, s[0:3], 0 offset:52
	s_waitcnt vmcnt(0)
	ds_write_b64 v21, v[22:23]
.LBB9_61:
	s_or_b32 exec_lo, exec_lo, s4
	s_waitcnt lgkmcnt(0)
	s_waitcnt_vscnt null, 0x0
	s_barrier
	buffer_gl0_inv
	s_clause 0x7
	buffer_load_dword v29, off, s[0:3], 0 offset:60
	buffer_load_dword v30, off, s[0:3], 0 offset:68
	;; [unrolled: 1-line block ×8, first 2 shown]
	v_mov_b32_e32 v22, 0
	ds_read2_b64 v[23:26], v22 offset0:17 offset1:18
	ds_read_b64 v[27:28], v22 offset:152
	s_mov_b32 s4, exec_lo
	s_waitcnt vmcnt(7) lgkmcnt(1)
	v_mul_f32_e32 v37, v24, v29
	v_mul_f32_e32 v29, v23, v29
	s_waitcnt vmcnt(6)
	v_mul_f32_e32 v38, v25, v30
	v_mul_f32_e32 v30, v26, v30
	s_waitcnt vmcnt(5) lgkmcnt(0)
	v_mul_f32_e32 v39, v27, v31
	s_waitcnt vmcnt(4)
	v_fma_f32 v23, v23, v32, -v37
	v_fmac_f32_e32 v29, v24, v32
	v_mul_f32_e32 v24, v28, v31
	s_waitcnt vmcnt(3)
	v_fma_f32 v25, v25, v33, -v30
	v_fmac_f32_e32 v38, v26, v33
	v_add_f32_e32 v23, 0, v23
	v_add_f32_e32 v26, 0, v29
	s_waitcnt vmcnt(2)
	v_fma_f32 v24, v27, v34, -v24
	v_fmac_f32_e32 v39, v28, v34
	v_add_f32_e32 v23, v23, v25
	v_add_f32_e32 v25, v26, v38
	;; [unrolled: 1-line block ×4, first 2 shown]
	s_waitcnt vmcnt(1)
	v_sub_f32_e32 v23, v35, v23
	s_waitcnt vmcnt(0)
	v_sub_f32_e32 v24, v36, v24
	buffer_store_dword v23, off, s[0:3], 0 offset:48
	buffer_store_dword v24, off, s[0:3], 0 offset:52
	v_cmpx_lt_u32_e32 5, v0
	s_cbranch_execz .LBB9_63
; %bb.62:
	s_clause 0x1
	buffer_load_dword v23, off, s[0:3], 0 offset:40
	buffer_load_dword v24, off, s[0:3], 0 offset:44
	buffer_store_dword v22, off, s[0:3], 0 offset:40
	buffer_store_dword v22, off, s[0:3], 0 offset:44
	s_waitcnt vmcnt(0)
	ds_write_b64 v21, v[23:24]
.LBB9_63:
	s_or_b32 exec_lo, exec_lo, s4
	s_waitcnt lgkmcnt(0)
	s_waitcnt_vscnt null, 0x0
	s_barrier
	buffer_gl0_inv
	s_clause 0x9
	buffer_load_dword v31, off, s[0:3], 0 offset:52
	buffer_load_dword v32, off, s[0:3], 0 offset:60
	;; [unrolled: 1-line block ×10, first 2 shown]
	ds_read_b128 v[23:26], v22 offset:128
	ds_read_b128 v[27:30], v22 offset:144
	s_mov_b32 s4, exec_lo
	s_waitcnt vmcnt(9) lgkmcnt(1)
	v_mul_f32_e32 v22, v23, v31
	v_mul_f32_e32 v31, v24, v31
	s_waitcnt vmcnt(8)
	v_mul_f32_e32 v41, v25, v32
	v_mul_f32_e32 v32, v26, v32
	s_waitcnt vmcnt(7) lgkmcnt(0)
	v_mul_f32_e32 v42, v27, v33
	s_waitcnt vmcnt(5)
	v_fmac_f32_e32 v22, v24, v35
	v_fma_f32 v23, v23, v35, -v31
	v_mul_f32_e32 v24, v28, v33
	s_waitcnt vmcnt(4)
	v_fma_f32 v25, v25, v36, -v32
	v_fmac_f32_e32 v41, v26, v36
	v_add_f32_e32 v22, 0, v22
	v_add_f32_e32 v23, 0, v23
	v_mul_f32_e32 v26, v30, v34
	s_waitcnt vmcnt(3)
	v_fma_f32 v24, v27, v37, -v24
	v_mul_f32_e32 v43, v29, v34
	v_fmac_f32_e32 v42, v28, v37
	v_add_f32_e32 v23, v23, v25
	v_add_f32_e32 v22, v22, v41
	s_waitcnt vmcnt(2)
	v_fma_f32 v25, v29, v38, -v26
	v_fmac_f32_e32 v43, v30, v38
	v_add_f32_e32 v23, v23, v24
	v_add_f32_e32 v22, v22, v42
	;; [unrolled: 1-line block ×4, first 2 shown]
	s_waitcnt vmcnt(1)
	v_sub_f32_e32 v23, v39, v23
	s_waitcnt vmcnt(0)
	v_sub_f32_e32 v22, v40, v22
	buffer_store_dword v23, off, s[0:3], 0 offset:40
	buffer_store_dword v22, off, s[0:3], 0 offset:44
	v_cmpx_lt_u32_e32 4, v0
	s_cbranch_execz .LBB9_65
; %bb.64:
	s_clause 0x1
	buffer_load_dword v22, off, s[0:3], 0 offset:32
	buffer_load_dword v23, off, s[0:3], 0 offset:36
	v_mov_b32_e32 v24, 0
	buffer_store_dword v24, off, s[0:3], 0 offset:32
	buffer_store_dword v24, off, s[0:3], 0 offset:36
	s_waitcnt vmcnt(0)
	ds_write_b64 v21, v[22:23]
.LBB9_65:
	s_or_b32 exec_lo, exec_lo, s4
	s_waitcnt lgkmcnt(0)
	s_waitcnt_vscnt null, 0x0
	s_barrier
	buffer_gl0_inv
	s_clause 0xb
	buffer_load_dword v33, off, s[0:3], 0 offset:44
	buffer_load_dword v34, off, s[0:3], 0 offset:52
	;; [unrolled: 1-line block ×12, first 2 shown]
	v_mov_b32_e32 v22, 0
	ds_read2_b64 v[23:26], v22 offset0:15 offset1:16
	ds_read2_b64 v[27:30], v22 offset0:17 offset1:18
	ds_read_b64 v[31:32], v22 offset:152
	s_mov_b32 s4, exec_lo
	s_waitcnt vmcnt(11) lgkmcnt(2)
	v_mul_f32_e32 v45, v23, v33
	v_mul_f32_e32 v33, v24, v33
	s_waitcnt vmcnt(10)
	v_mul_f32_e32 v46, v25, v34
	v_mul_f32_e32 v34, v26, v34
	s_waitcnt vmcnt(9) lgkmcnt(1)
	v_mul_f32_e32 v47, v27, v35
	s_waitcnt vmcnt(6)
	v_fmac_f32_e32 v45, v24, v38
	v_fma_f32 v23, v23, v38, -v33
	v_mul_f32_e32 v24, v28, v35
	s_waitcnt vmcnt(5)
	v_fma_f32 v25, v25, v39, -v34
	v_fmac_f32_e32 v46, v26, v39
	v_add_f32_e32 v26, 0, v45
	v_add_f32_e32 v23, 0, v23
	v_mul_f32_e32 v33, v30, v36
	s_waitcnt vmcnt(4)
	v_fma_f32 v24, v27, v40, -v24
	v_mul_f32_e32 v48, v29, v36
	v_fmac_f32_e32 v47, v28, v40
	v_add_f32_e32 v23, v23, v25
	v_add_f32_e32 v25, v26, v46
	s_waitcnt lgkmcnt(0)
	v_mul_f32_e32 v26, v32, v37
	s_waitcnt vmcnt(3)
	v_fma_f32 v27, v29, v41, -v33
	v_mul_f32_e32 v49, v31, v37
	v_add_f32_e32 v23, v23, v24
	v_fmac_f32_e32 v48, v30, v41
	v_add_f32_e32 v24, v25, v47
	s_waitcnt vmcnt(2)
	v_fma_f32 v25, v31, v42, -v26
	v_fmac_f32_e32 v49, v32, v42
	v_add_f32_e32 v23, v23, v27
	v_add_f32_e32 v24, v24, v48
	;; [unrolled: 1-line block ×4, first 2 shown]
	s_waitcnt vmcnt(1)
	v_sub_f32_e32 v23, v43, v23
	s_waitcnt vmcnt(0)
	v_sub_f32_e32 v24, v44, v24
	buffer_store_dword v23, off, s[0:3], 0 offset:32
	buffer_store_dword v24, off, s[0:3], 0 offset:36
	v_cmpx_lt_u32_e32 3, v0
	s_cbranch_execz .LBB9_67
; %bb.66:
	s_clause 0x1
	buffer_load_dword v23, off, s[0:3], 0 offset:24
	buffer_load_dword v24, off, s[0:3], 0 offset:28
	buffer_store_dword v22, off, s[0:3], 0 offset:24
	buffer_store_dword v22, off, s[0:3], 0 offset:28
	s_waitcnt vmcnt(0)
	ds_write_b64 v21, v[23:24]
.LBB9_67:
	s_or_b32 exec_lo, exec_lo, s4
	s_waitcnt lgkmcnt(0)
	s_waitcnt_vscnt null, 0x0
	s_barrier
	buffer_gl0_inv
	s_clause 0xd
	buffer_load_dword v35, off, s[0:3], 0 offset:36
	buffer_load_dword v36, off, s[0:3], 0 offset:44
	;; [unrolled: 1-line block ×14, first 2 shown]
	ds_read_b128 v[23:26], v22 offset:112
	ds_read_b128 v[27:30], v22 offset:128
	;; [unrolled: 1-line block ×3, first 2 shown]
	s_mov_b32 s4, exec_lo
	s_waitcnt vmcnt(13) lgkmcnt(2)
	v_mul_f32_e32 v22, v23, v35
	v_mul_f32_e32 v35, v24, v35
	s_waitcnt vmcnt(12)
	v_mul_f32_e32 v49, v25, v36
	v_mul_f32_e32 v36, v26, v36
	s_waitcnt vmcnt(11) lgkmcnt(1)
	v_mul_f32_e32 v50, v27, v37
	s_waitcnt vmcnt(10)
	v_mul_f32_e32 v51, v29, v38
	s_waitcnt vmcnt(7)
	v_fma_f32 v23, v23, v41, -v35
	v_fmac_f32_e32 v22, v24, v41
	v_mul_f32_e32 v24, v28, v37
	s_waitcnt vmcnt(6)
	v_fma_f32 v25, v25, v42, -v36
	v_fmac_f32_e32 v49, v26, v42
	v_add_f32_e32 v23, 0, v23
	v_add_f32_e32 v22, 0, v22
	v_mul_f32_e32 v26, v30, v38
	s_waitcnt vmcnt(5)
	v_fma_f32 v24, v27, v43, -v24
	v_fmac_f32_e32 v50, v28, v43
	v_add_f32_e32 v23, v23, v25
	v_add_f32_e32 v22, v22, v49
	s_waitcnt lgkmcnt(0)
	v_mul_f32_e32 v25, v32, v39
	s_waitcnt vmcnt(4)
	v_fma_f32 v26, v29, v44, -v26
	v_mul_f32_e32 v52, v31, v39
	v_add_f32_e32 v23, v23, v24
	v_fmac_f32_e32 v51, v30, v44
	v_add_f32_e32 v22, v22, v50
	v_mul_f32_e32 v24, v34, v40
	s_waitcnt vmcnt(3)
	v_fma_f32 v25, v31, v45, -v25
	v_add_f32_e32 v23, v23, v26
	v_mul_f32_e32 v53, v33, v40
	v_fmac_f32_e32 v52, v32, v45
	v_add_f32_e32 v22, v22, v51
	s_waitcnt vmcnt(2)
	v_fma_f32 v24, v33, v46, -v24
	v_add_f32_e32 v23, v23, v25
	v_fmac_f32_e32 v53, v34, v46
	v_add_f32_e32 v22, v22, v52
	v_add_f32_e32 v23, v23, v24
	;; [unrolled: 1-line block ×3, first 2 shown]
	s_waitcnt vmcnt(1)
	v_sub_f32_e32 v23, v47, v23
	s_waitcnt vmcnt(0)
	v_sub_f32_e32 v22, v48, v22
	buffer_store_dword v23, off, s[0:3], 0 offset:24
	buffer_store_dword v22, off, s[0:3], 0 offset:28
	v_cmpx_lt_u32_e32 2, v0
	s_cbranch_execz .LBB9_69
; %bb.68:
	s_clause 0x1
	buffer_load_dword v22, off, s[0:3], 0 offset:16
	buffer_load_dword v23, off, s[0:3], 0 offset:20
	v_mov_b32_e32 v24, 0
	buffer_store_dword v24, off, s[0:3], 0 offset:16
	buffer_store_dword v24, off, s[0:3], 0 offset:20
	s_waitcnt vmcnt(0)
	ds_write_b64 v21, v[22:23]
.LBB9_69:
	s_or_b32 exec_lo, exec_lo, s4
	s_waitcnt lgkmcnt(0)
	s_waitcnt_vscnt null, 0x0
	s_barrier
	buffer_gl0_inv
	s_clause 0xf
	buffer_load_dword v37, off, s[0:3], 0 offset:28
	buffer_load_dword v38, off, s[0:3], 0 offset:36
	;; [unrolled: 1-line block ×16, first 2 shown]
	v_mov_b32_e32 v22, 0
	ds_read2_b64 v[23:26], v22 offset0:13 offset1:14
	ds_read2_b64 v[27:30], v22 offset0:15 offset1:16
	;; [unrolled: 1-line block ×3, first 2 shown]
	ds_read_b64 v[35:36], v22 offset:152
	s_mov_b32 s4, exec_lo
	s_waitcnt vmcnt(15) lgkmcnt(3)
	v_mul_f32_e32 v53, v23, v37
	v_mul_f32_e32 v37, v24, v37
	s_waitcnt vmcnt(14)
	v_mul_f32_e32 v54, v25, v38
	v_mul_f32_e32 v38, v26, v38
	s_waitcnt vmcnt(13) lgkmcnt(2)
	v_mul_f32_e32 v55, v27, v39
	s_waitcnt vmcnt(12)
	v_mul_f32_e32 v56, v29, v40
	s_waitcnt vmcnt(11) lgkmcnt(1)
	v_mul_f32_e32 v57, v31, v41
	s_waitcnt vmcnt(8)
	v_fma_f32 v23, v23, v44, -v37
	v_fmac_f32_e32 v53, v24, v44
	v_mul_f32_e32 v24, v28, v39
	s_waitcnt vmcnt(7)
	v_fma_f32 v25, v25, v45, -v38
	v_fmac_f32_e32 v54, v26, v45
	v_add_f32_e32 v23, 0, v23
	v_add_f32_e32 v26, 0, v53
	v_mul_f32_e32 v37, v30, v40
	s_waitcnt vmcnt(6)
	v_fma_f32 v24, v27, v46, -v24
	v_fmac_f32_e32 v55, v28, v46
	v_add_f32_e32 v23, v23, v25
	v_add_f32_e32 v25, v26, v54
	v_mul_f32_e32 v26, v32, v41
	s_waitcnt vmcnt(5)
	v_fma_f32 v27, v29, v47, -v37
	v_fmac_f32_e32 v56, v30, v47
	v_add_f32_e32 v23, v23, v24
	v_add_f32_e32 v24, v25, v55
	v_mul_f32_e32 v25, v34, v42
	s_waitcnt vmcnt(4)
	v_fma_f32 v26, v31, v48, -v26
	v_mul_f32_e32 v58, v33, v42
	v_add_f32_e32 v23, v23, v27
	v_fmac_f32_e32 v57, v32, v48
	v_add_f32_e32 v24, v24, v56
	s_waitcnt lgkmcnt(0)
	v_mul_f32_e32 v27, v36, v43
	s_waitcnt vmcnt(3)
	v_fma_f32 v25, v33, v49, -v25
	v_add_f32_e32 v23, v23, v26
	v_mul_f32_e32 v59, v35, v43
	v_fmac_f32_e32 v58, v34, v49
	v_add_f32_e32 v24, v24, v57
	s_waitcnt vmcnt(2)
	v_fma_f32 v26, v35, v50, -v27
	v_add_f32_e32 v23, v23, v25
	v_fmac_f32_e32 v59, v36, v50
	v_add_f32_e32 v24, v24, v58
	v_add_f32_e32 v23, v23, v26
	;; [unrolled: 1-line block ×3, first 2 shown]
	s_waitcnt vmcnt(1)
	v_sub_f32_e32 v23, v51, v23
	s_waitcnt vmcnt(0)
	v_sub_f32_e32 v24, v52, v24
	buffer_store_dword v23, off, s[0:3], 0 offset:16
	buffer_store_dword v24, off, s[0:3], 0 offset:20
	v_cmpx_lt_u32_e32 1, v0
	s_cbranch_execz .LBB9_71
; %bb.70:
	s_clause 0x1
	buffer_load_dword v23, off, s[0:3], 0 offset:8
	buffer_load_dword v24, off, s[0:3], 0 offset:12
	buffer_store_dword v22, off, s[0:3], 0 offset:8
	buffer_store_dword v22, off, s[0:3], 0 offset:12
	s_waitcnt vmcnt(0)
	ds_write_b64 v21, v[23:24]
.LBB9_71:
	s_or_b32 exec_lo, exec_lo, s4
	s_waitcnt lgkmcnt(0)
	s_waitcnt_vscnt null, 0x0
	s_barrier
	buffer_gl0_inv
	s_clause 0x11
	buffer_load_dword v39, off, s[0:3], 0 offset:20
	buffer_load_dword v40, off, s[0:3], 0 offset:28
	;; [unrolled: 1-line block ×18, first 2 shown]
	ds_read_b128 v[23:26], v22 offset:96
	ds_read_b128 v[27:30], v22 offset:112
	;; [unrolled: 1-line block ×4, first 2 shown]
	s_mov_b32 s4, exec_lo
	s_waitcnt vmcnt(17) lgkmcnt(3)
	v_mul_f32_e32 v22, v23, v39
	v_mul_f32_e32 v39, v24, v39
	s_waitcnt vmcnt(16)
	v_mul_f32_e32 v57, v25, v40
	v_mul_f32_e32 v40, v26, v40
	s_waitcnt vmcnt(15) lgkmcnt(2)
	v_mul_f32_e32 v58, v27, v41
	s_waitcnt vmcnt(14)
	v_mul_f32_e32 v59, v29, v42
	s_waitcnt vmcnt(13) lgkmcnt(1)
	v_mul_f32_e32 v60, v31, v43
	s_waitcnt vmcnt(12)
	v_mul_f32_e32 v61, v33, v44
	s_waitcnt vmcnt(9)
	v_fma_f32 v23, v23, v47, -v39
	v_fmac_f32_e32 v22, v24, v47
	v_mul_f32_e32 v24, v28, v41
	s_waitcnt vmcnt(8)
	v_fma_f32 v25, v25, v48, -v40
	v_fmac_f32_e32 v57, v26, v48
	v_add_f32_e32 v23, 0, v23
	v_add_f32_e32 v22, 0, v22
	v_mul_f32_e32 v26, v30, v42
	s_waitcnt vmcnt(7)
	v_fma_f32 v24, v27, v49, -v24
	v_fmac_f32_e32 v58, v28, v49
	v_add_f32_e32 v23, v23, v25
	v_add_f32_e32 v22, v22, v57
	;; [unrolled: 6-line block ×4, first 2 shown]
	s_waitcnt lgkmcnt(0)
	v_mul_f32_e32 v26, v36, v45
	s_waitcnt vmcnt(4)
	v_fma_f32 v24, v33, v52, -v24
	v_mul_f32_e32 v62, v35, v45
	v_add_f32_e32 v23, v23, v25
	v_fmac_f32_e32 v61, v34, v52
	v_add_f32_e32 v22, v22, v60
	v_mul_f32_e32 v25, v38, v46
	s_waitcnt vmcnt(3)
	v_fma_f32 v26, v35, v53, -v26
	v_add_f32_e32 v23, v23, v24
	v_mul_f32_e32 v63, v37, v46
	v_fmac_f32_e32 v62, v36, v53
	v_add_f32_e32 v22, v22, v61
	s_waitcnt vmcnt(2)
	v_fma_f32 v24, v37, v54, -v25
	v_add_f32_e32 v23, v23, v26
	v_fmac_f32_e32 v63, v38, v54
	v_add_f32_e32 v22, v22, v62
	v_add_f32_e32 v23, v23, v24
	v_add_f32_e32 v22, v22, v63
	s_waitcnt vmcnt(1)
	v_sub_f32_e32 v23, v55, v23
	s_waitcnt vmcnt(0)
	v_sub_f32_e32 v22, v56, v22
	buffer_store_dword v23, off, s[0:3], 0 offset:8
	buffer_store_dword v22, off, s[0:3], 0 offset:12
	v_cmpx_ne_u32_e32 0, v0
	s_cbranch_execz .LBB9_73
; %bb.72:
	s_clause 0x1
	buffer_load_dword v22, off, s[0:3], 0
	buffer_load_dword v23, off, s[0:3], 0 offset:4
	v_mov_b32_e32 v0, 0
	buffer_store_dword v0, off, s[0:3], 0
	buffer_store_dword v0, off, s[0:3], 0 offset:4
	s_waitcnt vmcnt(0)
	ds_write_b64 v21, v[22:23]
.LBB9_73:
	s_or_b32 exec_lo, exec_lo, s4
	s_waitcnt lgkmcnt(0)
	s_waitcnt_vscnt null, 0x0
	s_barrier
	buffer_gl0_inv
	s_clause 0x13
	buffer_load_dword v41, off, s[0:3], 0 offset:12
	buffer_load_dword v42, off, s[0:3], 0 offset:20
	;; [unrolled: 1-line block ×18, first 2 shown]
	buffer_load_dword v57, off, s[0:3], 0
	buffer_load_dword v58, off, s[0:3], 0 offset:4
	v_mov_b32_e32 v22, 0
	ds_read2_b64 v[23:26], v22 offset0:11 offset1:12
	ds_read2_b64 v[27:30], v22 offset0:13 offset1:14
	;; [unrolled: 1-line block ×4, first 2 shown]
	ds_read_b64 v[39:40], v22 offset:152
	s_and_b32 vcc_lo, exec_lo, s22
	s_waitcnt vmcnt(19) lgkmcnt(4)
	v_mul_f32_e32 v59, v23, v41
	v_mul_f32_e32 v41, v24, v41
	s_waitcnt vmcnt(18)
	v_mul_f32_e32 v60, v25, v42
	v_mul_f32_e32 v42, v26, v42
	s_waitcnt vmcnt(17) lgkmcnt(3)
	v_mul_f32_e32 v61, v27, v43
	s_waitcnt vmcnt(16)
	v_mul_f32_e32 v62, v29, v44
	s_waitcnt vmcnt(15) lgkmcnt(2)
	v_mul_f32_e32 v63, v31, v45
	s_waitcnt vmcnt(14)
	;; [unrolled: 4-line block ×3, first 2 shown]
	v_fma_f32 v23, v23, v49, -v41
	v_fmac_f32_e32 v59, v24, v49
	v_mul_f32_e32 v24, v28, v43
	s_waitcnt vmcnt(9)
	v_fma_f32 v25, v25, v50, -v42
	v_fmac_f32_e32 v60, v26, v50
	v_add_f32_e32 v23, 0, v23
	v_add_f32_e32 v26, 0, v59
	v_mul_f32_e32 v41, v30, v44
	s_waitcnt vmcnt(8)
	v_fma_f32 v24, v27, v51, -v24
	v_fmac_f32_e32 v61, v28, v51
	v_add_f32_e32 v23, v23, v25
	v_add_f32_e32 v25, v26, v60
	;; [unrolled: 6-line block ×5, first 2 shown]
	v_mul_f32_e32 v26, v38, v0
	s_waitcnt vmcnt(4)
	v_fma_f32 v27, v35, v55, -v27
	v_mul_f32_e32 v66, v37, v0
	v_add_f32_e32 v23, v23, v25
	v_fmac_f32_e32 v65, v36, v55
	v_add_f32_e32 v24, v24, v64
	s_waitcnt lgkmcnt(0)
	v_mul_f32_e32 v25, v40, v48
	s_waitcnt vmcnt(2)
	v_fma_f32 v26, v37, v21, -v26
	v_add_f32_e32 v23, v23, v27
	v_mul_f32_e32 v67, v39, v48
	v_fmac_f32_e32 v66, v38, v21
	v_add_f32_e32 v24, v24, v65
	v_fma_f32 v25, v39, v56, -v25
	v_add_f32_e32 v23, v23, v26
	v_fmac_f32_e32 v67, v40, v56
	v_add_f32_e32 v24, v24, v66
	v_add_f32_e32 v23, v23, v25
	;; [unrolled: 1-line block ×3, first 2 shown]
	s_waitcnt vmcnt(1)
	v_sub_f32_e32 v23, v57, v23
	s_waitcnt vmcnt(0)
	v_sub_f32_e32 v24, v58, v24
	buffer_store_dword v23, off, s[0:3], 0
	buffer_store_dword v24, off, s[0:3], 0 offset:4
	s_cbranch_vccz .LBB9_92
; %bb.74:
	global_load_dword v22, v22, s[20:21] offset:32
	s_waitcnt vmcnt(0)
	v_add_nc_u32_e32 v22, -1, v22
	v_cmp_ne_u32_e32 vcc_lo, 8, v22
	s_cbranch_vccz .LBB9_76
; %bb.75:
	v_lshlrev_b32_e32 v22, 3, v22
	s_clause 0x1
	buffer_load_dword v23, v22, s[0:3], 0 offen offset:4
	buffer_load_dword v24, v22, s[0:3], 0 offen
	s_waitcnt vmcnt(1)
	buffer_store_dword v23, off, s[0:3], 0 offset:68
	s_waitcnt vmcnt(0)
	buffer_store_dword v24, off, s[0:3], 0 offset:64
	buffer_store_dword v0, v22, s[0:3], 0 offen offset:4
	buffer_store_dword v21, v22, s[0:3], 0 offen
.LBB9_76:
	v_mov_b32_e32 v0, 0
	global_load_dword v21, v0, s[20:21] offset:28
	s_waitcnt vmcnt(0)
	v_add_nc_u32_e32 v21, -1, v21
	v_cmp_eq_u32_e32 vcc_lo, 7, v21
	s_cbranch_vccnz .LBB9_78
; %bb.77:
	v_lshlrev_b32_e32 v21, 3, v21
	s_clause 0x3
	buffer_load_dword v22, v21, s[0:3], 0 offen
	buffer_load_dword v23, v21, s[0:3], 0 offen offset:4
	buffer_load_dword v24, off, s[0:3], 0 offset:56
	buffer_load_dword v25, off, s[0:3], 0 offset:60
	s_waitcnt vmcnt(3)
	buffer_store_dword v22, off, s[0:3], 0 offset:56
	s_waitcnt vmcnt(2)
	buffer_store_dword v23, off, s[0:3], 0 offset:60
	s_waitcnt vmcnt(1)
	buffer_store_dword v24, v21, s[0:3], 0 offen
	s_waitcnt vmcnt(0)
	buffer_store_dword v25, v21, s[0:3], 0 offen offset:4
.LBB9_78:
	global_load_dword v0, v0, s[20:21] offset:24
	s_waitcnt vmcnt(0)
	v_add_nc_u32_e32 v0, -1, v0
	v_cmp_eq_u32_e32 vcc_lo, 6, v0
	s_cbranch_vccnz .LBB9_80
; %bb.79:
	v_lshlrev_b32_e32 v0, 3, v0
	s_clause 0x3
	buffer_load_dword v21, v0, s[0:3], 0 offen
	buffer_load_dword v22, v0, s[0:3], 0 offen offset:4
	buffer_load_dword v23, off, s[0:3], 0 offset:52
	buffer_load_dword v24, off, s[0:3], 0 offset:48
	s_waitcnt vmcnt(3)
	buffer_store_dword v21, off, s[0:3], 0 offset:48
	s_waitcnt vmcnt(2)
	buffer_store_dword v22, off, s[0:3], 0 offset:52
	s_waitcnt vmcnt(1)
	buffer_store_dword v23, v0, s[0:3], 0 offen offset:4
	s_waitcnt vmcnt(0)
	buffer_store_dword v24, v0, s[0:3], 0 offen
.LBB9_80:
	v_mov_b32_e32 v0, 0
	global_load_dword v21, v0, s[20:21] offset:20
	s_waitcnt vmcnt(0)
	v_add_nc_u32_e32 v21, -1, v21
	v_cmp_eq_u32_e32 vcc_lo, 5, v21
	s_cbranch_vccnz .LBB9_82
; %bb.81:
	v_lshlrev_b32_e32 v21, 3, v21
	s_clause 0x3
	buffer_load_dword v22, v21, s[0:3], 0 offen
	buffer_load_dword v23, v21, s[0:3], 0 offen offset:4
	buffer_load_dword v24, off, s[0:3], 0 offset:40
	buffer_load_dword v25, off, s[0:3], 0 offset:44
	s_waitcnt vmcnt(3)
	buffer_store_dword v22, off, s[0:3], 0 offset:40
	s_waitcnt vmcnt(2)
	buffer_store_dword v23, off, s[0:3], 0 offset:44
	s_waitcnt vmcnt(1)
	buffer_store_dword v24, v21, s[0:3], 0 offen
	s_waitcnt vmcnt(0)
	buffer_store_dword v25, v21, s[0:3], 0 offen offset:4
.LBB9_82:
	global_load_dword v0, v0, s[20:21] offset:16
	s_waitcnt vmcnt(0)
	v_add_nc_u32_e32 v0, -1, v0
	v_cmp_eq_u32_e32 vcc_lo, 4, v0
	s_cbranch_vccnz .LBB9_84
; %bb.83:
	v_lshlrev_b32_e32 v0, 3, v0
	s_clause 0x3
	buffer_load_dword v21, v0, s[0:3], 0 offen
	buffer_load_dword v22, v0, s[0:3], 0 offen offset:4
	buffer_load_dword v23, off, s[0:3], 0 offset:36
	buffer_load_dword v24, off, s[0:3], 0 offset:32
	s_waitcnt vmcnt(3)
	buffer_store_dword v21, off, s[0:3], 0 offset:32
	s_waitcnt vmcnt(2)
	buffer_store_dword v22, off, s[0:3], 0 offset:36
	s_waitcnt vmcnt(1)
	buffer_store_dword v23, v0, s[0:3], 0 offen offset:4
	s_waitcnt vmcnt(0)
	buffer_store_dword v24, v0, s[0:3], 0 offen
.LBB9_84:
	v_mov_b32_e32 v0, 0
	global_load_dword v21, v0, s[20:21] offset:12
	s_waitcnt vmcnt(0)
	v_add_nc_u32_e32 v21, -1, v21
	v_cmp_eq_u32_e32 vcc_lo, 3, v21
	s_cbranch_vccnz .LBB9_86
; %bb.85:
	v_lshlrev_b32_e32 v21, 3, v21
	s_clause 0x3
	buffer_load_dword v22, v21, s[0:3], 0 offen
	buffer_load_dword v23, v21, s[0:3], 0 offen offset:4
	buffer_load_dword v24, off, s[0:3], 0 offset:24
	buffer_load_dword v25, off, s[0:3], 0 offset:28
	s_waitcnt vmcnt(3)
	buffer_store_dword v22, off, s[0:3], 0 offset:24
	s_waitcnt vmcnt(2)
	buffer_store_dword v23, off, s[0:3], 0 offset:28
	s_waitcnt vmcnt(1)
	buffer_store_dword v24, v21, s[0:3], 0 offen
	s_waitcnt vmcnt(0)
	buffer_store_dword v25, v21, s[0:3], 0 offen offset:4
.LBB9_86:
	global_load_dword v0, v0, s[20:21] offset:8
	s_waitcnt vmcnt(0)
	v_add_nc_u32_e32 v0, -1, v0
	v_cmp_eq_u32_e32 vcc_lo, 2, v0
	s_cbranch_vccnz .LBB9_88
; %bb.87:
	v_lshlrev_b32_e32 v0, 3, v0
	s_clause 0x3
	buffer_load_dword v21, v0, s[0:3], 0 offen
	buffer_load_dword v22, v0, s[0:3], 0 offen offset:4
	buffer_load_dword v23, off, s[0:3], 0 offset:20
	buffer_load_dword v24, off, s[0:3], 0 offset:16
	s_waitcnt vmcnt(3)
	buffer_store_dword v21, off, s[0:3], 0 offset:16
	s_waitcnt vmcnt(2)
	buffer_store_dword v22, off, s[0:3], 0 offset:20
	s_waitcnt vmcnt(1)
	buffer_store_dword v23, v0, s[0:3], 0 offen offset:4
	s_waitcnt vmcnt(0)
	buffer_store_dword v24, v0, s[0:3], 0 offen
.LBB9_88:
	v_mov_b32_e32 v0, 0
	global_load_dword v21, v0, s[20:21] offset:4
	s_waitcnt vmcnt(0)
	v_add_nc_u32_e32 v21, -1, v21
	v_cmp_eq_u32_e32 vcc_lo, 1, v21
	s_cbranch_vccnz .LBB9_90
; %bb.89:
	v_lshlrev_b32_e32 v21, 3, v21
	s_clause 0x3
	buffer_load_dword v22, v21, s[0:3], 0 offen
	buffer_load_dword v23, v21, s[0:3], 0 offen offset:4
	buffer_load_dword v24, off, s[0:3], 0 offset:8
	buffer_load_dword v25, off, s[0:3], 0 offset:12
	s_waitcnt vmcnt(3)
	buffer_store_dword v22, off, s[0:3], 0 offset:8
	s_waitcnt vmcnt(2)
	buffer_store_dword v23, off, s[0:3], 0 offset:12
	s_waitcnt vmcnt(1)
	buffer_store_dword v24, v21, s[0:3], 0 offen
	s_waitcnt vmcnt(0)
	buffer_store_dword v25, v21, s[0:3], 0 offen offset:4
.LBB9_90:
	global_load_dword v0, v0, s[20:21]
	s_waitcnt vmcnt(0)
	v_add_nc_u32_e32 v0, -1, v0
	v_cmp_eq_u32_e32 vcc_lo, 0, v0
	s_cbranch_vccnz .LBB9_92
; %bb.91:
	v_lshlrev_b32_e32 v0, 3, v0
	s_clause 0x3
	buffer_load_dword v21, v0, s[0:3], 0 offen
	buffer_load_dword v22, v0, s[0:3], 0 offen offset:4
	buffer_load_dword v23, off, s[0:3], 0 offset:4
	buffer_load_dword v24, off, s[0:3], 0
	s_waitcnt vmcnt(3)
	buffer_store_dword v21, off, s[0:3], 0
	s_waitcnt vmcnt(2)
	buffer_store_dword v22, off, s[0:3], 0 offset:4
	s_waitcnt vmcnt(1)
	buffer_store_dword v23, v0, s[0:3], 0 offen offset:4
	s_waitcnt vmcnt(0)
	buffer_store_dword v24, v0, s[0:3], 0 offen
.LBB9_92:
	s_clause 0x13
	buffer_load_dword v21, off, s[0:3], 0
	buffer_load_dword v22, off, s[0:3], 0 offset:4
	buffer_load_dword v23, off, s[0:3], 0 offset:8
	;; [unrolled: 1-line block ×19, first 2 shown]
	s_waitcnt vmcnt(18)
	global_store_dwordx2 v[1:2], v[21:22], off
	s_waitcnt vmcnt(16)
	global_store_dwordx2 v[3:4], v[23:24], off
	;; [unrolled: 2-line block ×9, first 2 shown]
	global_store_dwordx2 v[17:18], v[39:40], off
	s_endpgm
	.section	.rodata,"a",@progbits
	.p2align	6, 0x0
	.amdhsa_kernel _ZN9rocsolver6v33100L18getri_kernel_smallILi10E19rocblas_complex_numIfEPS3_EEvT1_iilPiilS6_bb
		.amdhsa_group_segment_fixed_size 164
		.amdhsa_private_segment_fixed_size 96
		.amdhsa_kernarg_size 60
		.amdhsa_user_sgpr_count 6
		.amdhsa_user_sgpr_private_segment_buffer 1
		.amdhsa_user_sgpr_dispatch_ptr 0
		.amdhsa_user_sgpr_queue_ptr 0
		.amdhsa_user_sgpr_kernarg_segment_ptr 1
		.amdhsa_user_sgpr_dispatch_id 0
		.amdhsa_user_sgpr_flat_scratch_init 0
		.amdhsa_user_sgpr_private_segment_size 0
		.amdhsa_wavefront_size32 1
		.amdhsa_uses_dynamic_stack 0
		.amdhsa_system_sgpr_private_segment_wavefront_offset 1
		.amdhsa_system_sgpr_workgroup_id_x 1
		.amdhsa_system_sgpr_workgroup_id_y 0
		.amdhsa_system_sgpr_workgroup_id_z 0
		.amdhsa_system_sgpr_workgroup_info 0
		.amdhsa_system_vgpr_workitem_id 0
		.amdhsa_next_free_vgpr 68
		.amdhsa_next_free_sgpr 23
		.amdhsa_reserve_vcc 1
		.amdhsa_reserve_flat_scratch 0
		.amdhsa_float_round_mode_32 0
		.amdhsa_float_round_mode_16_64 0
		.amdhsa_float_denorm_mode_32 3
		.amdhsa_float_denorm_mode_16_64 3
		.amdhsa_dx10_clamp 1
		.amdhsa_ieee_mode 1
		.amdhsa_fp16_overflow 0
		.amdhsa_workgroup_processor_mode 1
		.amdhsa_memory_ordered 1
		.amdhsa_forward_progress 1
		.amdhsa_shared_vgpr_count 0
		.amdhsa_exception_fp_ieee_invalid_op 0
		.amdhsa_exception_fp_denorm_src 0
		.amdhsa_exception_fp_ieee_div_zero 0
		.amdhsa_exception_fp_ieee_overflow 0
		.amdhsa_exception_fp_ieee_underflow 0
		.amdhsa_exception_fp_ieee_inexact 0
		.amdhsa_exception_int_div_zero 0
	.end_amdhsa_kernel
	.section	.text._ZN9rocsolver6v33100L18getri_kernel_smallILi10E19rocblas_complex_numIfEPS3_EEvT1_iilPiilS6_bb,"axG",@progbits,_ZN9rocsolver6v33100L18getri_kernel_smallILi10E19rocblas_complex_numIfEPS3_EEvT1_iilPiilS6_bb,comdat
.Lfunc_end9:
	.size	_ZN9rocsolver6v33100L18getri_kernel_smallILi10E19rocblas_complex_numIfEPS3_EEvT1_iilPiilS6_bb, .Lfunc_end9-_ZN9rocsolver6v33100L18getri_kernel_smallILi10E19rocblas_complex_numIfEPS3_EEvT1_iilPiilS6_bb
                                        ; -- End function
	.set _ZN9rocsolver6v33100L18getri_kernel_smallILi10E19rocblas_complex_numIfEPS3_EEvT1_iilPiilS6_bb.num_vgpr, 68
	.set _ZN9rocsolver6v33100L18getri_kernel_smallILi10E19rocblas_complex_numIfEPS3_EEvT1_iilPiilS6_bb.num_agpr, 0
	.set _ZN9rocsolver6v33100L18getri_kernel_smallILi10E19rocblas_complex_numIfEPS3_EEvT1_iilPiilS6_bb.numbered_sgpr, 23
	.set _ZN9rocsolver6v33100L18getri_kernel_smallILi10E19rocblas_complex_numIfEPS3_EEvT1_iilPiilS6_bb.num_named_barrier, 0
	.set _ZN9rocsolver6v33100L18getri_kernel_smallILi10E19rocblas_complex_numIfEPS3_EEvT1_iilPiilS6_bb.private_seg_size, 96
	.set _ZN9rocsolver6v33100L18getri_kernel_smallILi10E19rocblas_complex_numIfEPS3_EEvT1_iilPiilS6_bb.uses_vcc, 1
	.set _ZN9rocsolver6v33100L18getri_kernel_smallILi10E19rocblas_complex_numIfEPS3_EEvT1_iilPiilS6_bb.uses_flat_scratch, 0
	.set _ZN9rocsolver6v33100L18getri_kernel_smallILi10E19rocblas_complex_numIfEPS3_EEvT1_iilPiilS6_bb.has_dyn_sized_stack, 0
	.set _ZN9rocsolver6v33100L18getri_kernel_smallILi10E19rocblas_complex_numIfEPS3_EEvT1_iilPiilS6_bb.has_recursion, 0
	.set _ZN9rocsolver6v33100L18getri_kernel_smallILi10E19rocblas_complex_numIfEPS3_EEvT1_iilPiilS6_bb.has_indirect_call, 0
	.section	.AMDGPU.csdata,"",@progbits
; Kernel info:
; codeLenInByte = 8948
; TotalNumSgprs: 25
; NumVgprs: 68
; ScratchSize: 96
; MemoryBound: 0
; FloatMode: 240
; IeeeMode: 1
; LDSByteSize: 164 bytes/workgroup (compile time only)
; SGPRBlocks: 0
; VGPRBlocks: 8
; NumSGPRsForWavesPerEU: 25
; NumVGPRsForWavesPerEU: 68
; Occupancy: 12
; WaveLimiterHint : 1
; COMPUTE_PGM_RSRC2:SCRATCH_EN: 1
; COMPUTE_PGM_RSRC2:USER_SGPR: 6
; COMPUTE_PGM_RSRC2:TRAP_HANDLER: 0
; COMPUTE_PGM_RSRC2:TGID_X_EN: 1
; COMPUTE_PGM_RSRC2:TGID_Y_EN: 0
; COMPUTE_PGM_RSRC2:TGID_Z_EN: 0
; COMPUTE_PGM_RSRC2:TIDIG_COMP_CNT: 0
	.section	.text._ZN9rocsolver6v33100L18getri_kernel_smallILi11E19rocblas_complex_numIfEPS3_EEvT1_iilPiilS6_bb,"axG",@progbits,_ZN9rocsolver6v33100L18getri_kernel_smallILi11E19rocblas_complex_numIfEPS3_EEvT1_iilPiilS6_bb,comdat
	.globl	_ZN9rocsolver6v33100L18getri_kernel_smallILi11E19rocblas_complex_numIfEPS3_EEvT1_iilPiilS6_bb ; -- Begin function _ZN9rocsolver6v33100L18getri_kernel_smallILi11E19rocblas_complex_numIfEPS3_EEvT1_iilPiilS6_bb
	.p2align	8
	.type	_ZN9rocsolver6v33100L18getri_kernel_smallILi11E19rocblas_complex_numIfEPS3_EEvT1_iilPiilS6_bb,@function
_ZN9rocsolver6v33100L18getri_kernel_smallILi11E19rocblas_complex_numIfEPS3_EEvT1_iilPiilS6_bb: ; @_ZN9rocsolver6v33100L18getri_kernel_smallILi11E19rocblas_complex_numIfEPS3_EEvT1_iilPiilS6_bb
; %bb.0:
	s_add_u32 s0, s0, s7
	s_addc_u32 s1, s1, 0
	s_mov_b32 s7, exec_lo
	v_cmpx_gt_u32_e32 11, v0
	s_cbranch_execz .LBB10_58
; %bb.1:
	s_clause 0x2
	s_load_dword s7, s[4:5], 0x38
	s_load_dwordx4 s[16:19], s[4:5], 0x10
	s_load_dwordx4 s[8:11], s[4:5], 0x28
                                        ; implicit-def: $sgpr20_sgpr21
	s_waitcnt lgkmcnt(0)
	s_bitcmp1_b32 s7, 8
	s_cselect_b32 s22, -1, 0
	s_bfe_u32 s12, s7, 0x10008
	s_ashr_i32 s7, s6, 31
	s_cmp_eq_u32 s12, 0
	s_cbranch_scc1 .LBB10_3
; %bb.2:
	s_load_dword s12, s[4:5], 0x20
	s_mul_i32 s13, s8, s7
	s_mul_hi_u32 s14, s8, s6
	s_mul_i32 s9, s9, s6
	s_add_i32 s13, s14, s13
	s_mul_i32 s8, s8, s6
	s_add_i32 s9, s13, s9
	s_lshl_b64 s[8:9], s[8:9], 2
	s_waitcnt lgkmcnt(0)
	s_ashr_i32 s13, s12, 31
	s_add_u32 s14, s18, s8
	s_addc_u32 s15, s19, s9
	s_lshl_b64 s[8:9], s[12:13], 2
	s_add_u32 s20, s14, s8
	s_addc_u32 s21, s15, s9
.LBB10_3:
	s_clause 0x1
	s_load_dwordx4 s[12:15], s[4:5], 0x0
	s_load_dword s18, s[4:5], 0x38
	s_mul_i32 s4, s16, s7
	s_mul_hi_u32 s5, s16, s6
	s_mul_i32 s8, s17, s6
	s_add_i32 s5, s5, s4
	s_mul_i32 s4, s16, s6
	s_add_i32 s5, s5, s8
	v_lshlrev_b32_e32 v25, 3, v0
	s_lshl_b64 s[4:5], s[4:5], 3
	s_waitcnt lgkmcnt(0)
	v_add3_u32 v3, s15, s15, v0
	s_ashr_i32 s9, s14, 31
	s_mov_b32 s8, s14
	s_add_u32 s12, s12, s4
	s_addc_u32 s13, s13, s5
	v_add_nc_u32_e32 v5, s15, v3
	s_lshl_b64 s[4:5], s[8:9], 3
	v_ashrrev_i32_e32 v4, 31, v3
	s_add_u32 s4, s12, s4
	s_addc_u32 s5, s13, s5
	v_add_nc_u32_e32 v9, s15, v5
	v_ashrrev_i32_e32 v6, 31, v5
	v_add_co_u32 v1, s12, s4, v25
	s_mov_b32 s8, s15
	s_ashr_i32 s9, s15, 31
	v_lshlrev_b64 v[7:8], 3, v[3:4]
	v_ashrrev_i32_e32 v10, 31, v9
	v_add_co_ci_u32_e64 v2, null, s5, 0, s12
	s_lshl_b64 s[8:9], s[8:9], 3
	v_lshlrev_b64 v[11:12], 3, v[5:6]
	v_add_nc_u32_e32 v15, s15, v9
	v_add_co_u32 v3, vcc_lo, v1, s8
	v_lshlrev_b64 v[13:14], 3, v[9:10]
	v_add_co_ci_u32_e64 v4, null, s9, v2, vcc_lo
	v_add_co_u32 v5, vcc_lo, s4, v7
	v_add_co_ci_u32_e64 v6, null, s5, v8, vcc_lo
	v_add_co_u32 v7, vcc_lo, s4, v11
	v_ashrrev_i32_e32 v16, 31, v15
	v_add_nc_u32_e32 v11, s15, v15
	v_add_co_ci_u32_e64 v8, null, s5, v12, vcc_lo
	v_add_co_u32 v9, vcc_lo, s4, v13
	v_add_co_ci_u32_e64 v10, null, s5, v14, vcc_lo
	v_lshlrev_b64 v[13:14], 3, v[15:16]
	v_add_nc_u32_e32 v15, s15, v11
	v_ashrrev_i32_e32 v12, 31, v11
	s_clause 0x4
	global_load_dwordx2 v[23:24], v25, s[4:5]
	global_load_dwordx2 v[26:27], v[3:4], off
	global_load_dwordx2 v[28:29], v[5:6], off
	;; [unrolled: 1-line block ×4, first 2 shown]
	s_bitcmp0_b32 s18, 0
	v_ashrrev_i32_e32 v16, 31, v15
	v_lshlrev_b64 v[17:18], 3, v[11:12]
	v_add_nc_u32_e32 v21, s15, v15
	v_add_co_u32 v11, vcc_lo, s4, v13
	v_lshlrev_b64 v[19:20], 3, v[15:16]
	v_add_co_ci_u32_e64 v12, null, s5, v14, vcc_lo
	v_add_co_u32 v13, vcc_lo, s4, v17
	v_ashrrev_i32_e32 v22, 31, v21
	v_add_nc_u32_e32 v17, s15, v21
	v_add_co_ci_u32_e64 v14, null, s5, v18, vcc_lo
	v_add_co_u32 v15, vcc_lo, s4, v19
	v_add_co_ci_u32_e64 v16, null, s5, v20, vcc_lo
	v_lshlrev_b64 v[19:20], 3, v[21:22]
	v_add_nc_u32_e32 v21, s15, v17
	v_ashrrev_i32_e32 v18, 31, v17
	s_clause 0x2
	global_load_dwordx2 v[34:35], v[11:12], off
	global_load_dwordx2 v[36:37], v[13:14], off
	global_load_dwordx2 v[38:39], v[15:16], off
	v_ashrrev_i32_e32 v22, 31, v21
	v_lshlrev_b64 v[40:41], 3, v[17:18]
	v_add_co_u32 v17, vcc_lo, s4, v19
	v_add_co_ci_u32_e64 v18, null, s5, v20, vcc_lo
	v_lshlrev_b64 v[19:20], 3, v[21:22]
	v_add_co_u32 v21, vcc_lo, s4, v40
	v_add_co_ci_u32_e64 v22, null, s5, v41, vcc_lo
	v_add_co_u32 v19, vcc_lo, s4, v19
	v_add_co_ci_u32_e64 v20, null, s5, v20, vcc_lo
	s_clause 0x2
	global_load_dwordx2 v[40:41], v[17:18], off
	global_load_dwordx2 v[42:43], v[21:22], off
	;; [unrolled: 1-line block ×3, first 2 shown]
	s_mov_b32 s5, -1
	s_waitcnt vmcnt(10)
	buffer_store_dword v24, off, s[0:3], 0 offset:4
	buffer_store_dword v23, off, s[0:3], 0
	s_waitcnt vmcnt(9)
	buffer_store_dword v27, off, s[0:3], 0 offset:12
	buffer_store_dword v26, off, s[0:3], 0 offset:8
	s_waitcnt vmcnt(8)
	buffer_store_dword v29, off, s[0:3], 0 offset:20
	buffer_store_dword v28, off, s[0:3], 0 offset:16
	;; [unrolled: 3-line block ×10, first 2 shown]
	s_cbranch_scc1 .LBB10_56
; %bb.4:
	v_cmp_eq_u32_e64 s4, 0, v0
	s_and_saveexec_b32 s5, s4
; %bb.5:
	v_mov_b32_e32 v23, 0
	ds_write_b32 v23, v23 offset:88
; %bb.6:
	s_or_b32 exec_lo, exec_lo, s5
	v_lshl_add_u32 v27, v0, 3, 0
	s_waitcnt lgkmcnt(0)
	s_waitcnt_vscnt null, 0x0
	s_barrier
	buffer_gl0_inv
	s_clause 0x1
	buffer_load_dword v23, v27, s[0:3], 0 offen
	buffer_load_dword v24, v27, s[0:3], 0 offen offset:4
	s_waitcnt vmcnt(1)
	v_cmp_eq_f32_e32 vcc_lo, 0, v23
	s_waitcnt vmcnt(0)
	v_cmp_eq_f32_e64 s5, 0, v24
	s_and_b32 s5, vcc_lo, s5
	s_and_saveexec_b32 s8, s5
	s_cbranch_execz .LBB10_10
; %bb.7:
	v_mov_b32_e32 v23, 0
	s_mov_b32 s9, 0
	ds_read_b32 v24, v23 offset:88
	s_waitcnt lgkmcnt(0)
	v_readfirstlane_b32 s5, v24
	v_add_nc_u32_e32 v24, 1, v0
	s_cmp_eq_u32 s5, 0
	v_cmp_gt_i32_e32 vcc_lo, s5, v24
	s_cselect_b32 s12, -1, 0
	s_or_b32 s12, s12, vcc_lo
	s_and_b32 exec_lo, exec_lo, s12
	s_cbranch_execz .LBB10_10
; %bb.8:
	v_mov_b32_e32 v26, s5
.LBB10_9:                               ; =>This Inner Loop Header: Depth=1
	ds_cmpst_rtn_b32 v26, v23, v26, v24 offset:88
	s_waitcnt lgkmcnt(0)
	v_cmp_ne_u32_e32 vcc_lo, 0, v26
	v_cmp_le_i32_e64 s5, v26, v24
	s_and_b32 s5, vcc_lo, s5
	s_and_b32 s5, exec_lo, s5
	s_or_b32 s9, s5, s9
	s_andn2_b32 exec_lo, exec_lo, s9
	s_cbranch_execnz .LBB10_9
.LBB10_10:
	s_or_b32 exec_lo, exec_lo, s8
	v_mov_b32_e32 v23, 0
	s_barrier
	buffer_gl0_inv
	ds_read_b32 v24, v23 offset:88
	s_and_saveexec_b32 s5, s4
	s_cbranch_execz .LBB10_12
; %bb.11:
	s_lshl_b64 s[8:9], s[6:7], 2
	s_add_u32 s8, s10, s8
	s_addc_u32 s9, s11, s9
	s_waitcnt lgkmcnt(0)
	global_store_dword v23, v24, s[8:9]
.LBB10_12:
	s_or_b32 exec_lo, exec_lo, s5
	s_waitcnt lgkmcnt(0)
	v_cmp_ne_u32_e32 vcc_lo, 0, v24
	s_mov_b32 s5, 0
	s_cbranch_vccnz .LBB10_56
; %bb.13:
	s_clause 0x1
	buffer_load_dword v24, v27, s[0:3], 0 offen
	buffer_load_dword v26, v27, s[0:3], 0 offen offset:4
                                        ; implicit-def: $vgpr29
                                        ; implicit-def: $vgpr28
                                        ; implicit-def: $vgpr23
	s_waitcnt vmcnt(0)
	v_cmp_ngt_f32_e64 s5, |v24|, |v26|
	s_and_saveexec_b32 s8, s5
	s_xor_b32 s5, exec_lo, s8
	s_cbranch_execz .LBB10_15
; %bb.14:
	v_div_scale_f32 v23, null, v26, v26, v24
	v_div_scale_f32 v30, vcc_lo, v24, v26, v24
	v_rcp_f32_e32 v28, v23
	v_fma_f32 v29, -v23, v28, 1.0
	v_fmac_f32_e32 v28, v29, v28
	v_mul_f32_e32 v29, v30, v28
	v_fma_f32 v31, -v23, v29, v30
	v_fmac_f32_e32 v29, v31, v28
	v_fma_f32 v23, -v23, v29, v30
	v_div_fmas_f32 v23, v23, v28, v29
	v_div_fixup_f32 v23, v23, v26, v24
	v_fmac_f32_e32 v26, v24, v23
	v_div_scale_f32 v24, null, v26, v26, 1.0
	v_rcp_f32_e32 v28, v24
	v_fma_f32 v29, -v24, v28, 1.0
	v_fmac_f32_e32 v28, v29, v28
	v_div_scale_f32 v29, vcc_lo, 1.0, v26, 1.0
	v_mul_f32_e32 v30, v29, v28
	v_fma_f32 v31, -v24, v30, v29
	v_fmac_f32_e32 v30, v31, v28
	v_fma_f32 v24, -v24, v30, v29
	v_div_fmas_f32 v24, v24, v28, v30
	v_div_fixup_f32 v24, v24, v26, 1.0
                                        ; implicit-def: $vgpr26
	v_mul_f32_e32 v29, v23, v24
	v_xor_b32_e32 v28, 0x80000000, v24
                                        ; implicit-def: $vgpr24
	v_xor_b32_e32 v23, 0x80000000, v29
.LBB10_15:
	s_andn2_saveexec_b32 s5, s5
	s_cbranch_execz .LBB10_17
; %bb.16:
	v_div_scale_f32 v23, null, v24, v24, v26
	v_div_scale_f32 v30, vcc_lo, v26, v24, v26
	v_rcp_f32_e32 v28, v23
	v_fma_f32 v29, -v23, v28, 1.0
	v_fmac_f32_e32 v28, v29, v28
	v_mul_f32_e32 v29, v30, v28
	v_fma_f32 v31, -v23, v29, v30
	v_fmac_f32_e32 v29, v31, v28
	v_fma_f32 v23, -v23, v29, v30
	v_div_fmas_f32 v23, v23, v28, v29
	v_div_fixup_f32 v28, v23, v24, v26
	v_fmac_f32_e32 v24, v26, v28
	v_div_scale_f32 v23, null, v24, v24, 1.0
	v_div_scale_f32 v30, vcc_lo, 1.0, v24, 1.0
	v_rcp_f32_e32 v26, v23
	v_fma_f32 v29, -v23, v26, 1.0
	v_fmac_f32_e32 v26, v29, v26
	v_mul_f32_e32 v29, v30, v26
	v_fma_f32 v31, -v23, v29, v30
	v_fmac_f32_e32 v29, v31, v26
	v_fma_f32 v23, -v23, v29, v30
	v_div_fmas_f32 v23, v23, v26, v29
	v_div_fixup_f32 v29, v23, v24, 1.0
	v_xor_b32_e32 v23, 0x80000000, v29
	v_mul_f32_e64 v28, v28, -v29
.LBB10_17:
	s_or_b32 exec_lo, exec_lo, s5
	buffer_store_dword v29, v27, s[0:3], 0 offen
	buffer_store_dword v28, v27, s[0:3], 0 offen offset:4
	s_clause 0x1
	buffer_load_dword v30, off, s[0:3], 0 offset:12
	buffer_load_dword v29, off, s[0:3], 0 offset:8
	v_xor_b32_e32 v24, 0x80000000, v28
	v_add_nc_u32_e32 v26, 0x60, v25
	s_waitcnt vmcnt(0)
	ds_write2_b64 v25, v[23:24], v[29:30] offset1:12
	s_waitcnt lgkmcnt(0)
	s_waitcnt_vscnt null, 0x0
	s_barrier
	buffer_gl0_inv
	s_and_saveexec_b32 s5, s4
	s_cbranch_execz .LBB10_19
; %bb.18:
	s_clause 0x1
	buffer_load_dword v30, v27, s[0:3], 0 offen offset:4
	buffer_load_dword v31, v27, s[0:3], 0 offen
	ds_read_b64 v[23:24], v26
	v_mov_b32_e32 v28, 0
	ds_read_b64 v[28:29], v28 offset:8
	s_waitcnt vmcnt(1) lgkmcnt(1)
	v_mul_f32_e32 v32, v23, v30
	v_mul_f32_e32 v30, v24, v30
	s_waitcnt vmcnt(0)
	v_fmac_f32_e32 v32, v24, v31
	v_fma_f32 v23, v23, v31, -v30
	v_add_f32_e32 v24, 0, v32
	v_add_f32_e32 v23, 0, v23
	s_waitcnt lgkmcnt(0)
	v_mul_f32_e32 v30, v24, v29
	v_mul_f32_e32 v29, v23, v29
	v_fma_f32 v23, v23, v28, -v30
	v_fmac_f32_e32 v29, v24, v28
	buffer_store_dword v23, off, s[0:3], 0 offset:8
	buffer_store_dword v29, off, s[0:3], 0 offset:12
.LBB10_19:
	s_or_b32 exec_lo, exec_lo, s5
	s_waitcnt_vscnt null, 0x0
	s_barrier
	buffer_gl0_inv
	s_clause 0x1
	buffer_load_dword v23, off, s[0:3], 0 offset:16
	buffer_load_dword v24, off, s[0:3], 0 offset:20
	s_mov_b32 s5, exec_lo
	s_waitcnt vmcnt(0)
	ds_write_b64 v26, v[23:24]
	s_waitcnt lgkmcnt(0)
	s_barrier
	buffer_gl0_inv
	v_cmpx_gt_u32_e32 2, v0
	s_cbranch_execz .LBB10_23
; %bb.20:
	s_clause 0x1
	buffer_load_dword v28, v27, s[0:3], 0 offen offset:4
	buffer_load_dword v27, v27, s[0:3], 0 offen
	ds_read_b64 v[23:24], v26
	s_waitcnt vmcnt(1) lgkmcnt(0)
	v_mul_f32_e32 v29, v24, v28
	v_mul_f32_e32 v28, v23, v28
	s_waitcnt vmcnt(0)
	v_fma_f32 v23, v23, v27, -v29
	v_fmac_f32_e32 v28, v24, v27
	v_add_f32_e32 v24, 0, v23
	v_add_f32_e32 v23, 0, v28
	s_and_saveexec_b32 s8, s4
	s_cbranch_execz .LBB10_22
; %bb.21:
	s_clause 0x1
	buffer_load_dword v29, off, s[0:3], 0 offset:12
	buffer_load_dword v30, off, s[0:3], 0 offset:8
	v_mov_b32_e32 v27, 0
	ds_read_b64 v[27:28], v27 offset:104
	s_waitcnt vmcnt(1) lgkmcnt(0)
	v_mul_f32_e32 v31, v27, v29
	v_mul_f32_e32 v29, v28, v29
	s_waitcnt vmcnt(0)
	v_fmac_f32_e32 v31, v28, v30
	v_fma_f32 v27, v27, v30, -v29
	v_add_f32_e32 v23, v23, v31
	v_add_f32_e32 v24, v24, v27
.LBB10_22:
	s_or_b32 exec_lo, exec_lo, s8
	v_mov_b32_e32 v27, 0
	ds_read_b64 v[27:28], v27 offset:16
	s_waitcnt lgkmcnt(0)
	v_mul_f32_e32 v29, v23, v28
	v_mul_f32_e32 v28, v24, v28
	v_fma_f32 v24, v24, v27, -v29
	v_fmac_f32_e32 v28, v23, v27
	buffer_store_dword v24, off, s[0:3], 0 offset:16
	buffer_store_dword v28, off, s[0:3], 0 offset:20
.LBB10_23:
	s_or_b32 exec_lo, exec_lo, s5
	s_waitcnt_vscnt null, 0x0
	s_barrier
	buffer_gl0_inv
	s_clause 0x1
	buffer_load_dword v27, off, s[0:3], 0 offset:24
	buffer_load_dword v28, off, s[0:3], 0 offset:28
	v_add_nc_u32_e32 v23, -1, v0
	s_mov_b32 s4, exec_lo
	s_waitcnt vmcnt(0)
	ds_write_b64 v26, v[27:28]
	s_waitcnt lgkmcnt(0)
	s_barrier
	buffer_gl0_inv
	v_cmpx_gt_u32_e32 3, v0
	s_cbranch_execz .LBB10_27
; %bb.24:
	v_add_nc_u32_e32 v27, -1, v0
	v_add_nc_u32_e32 v28, 0x60, v25
	v_mov_b32_e32 v29, v25
	v_mov_b32_e32 v24, 0
	;; [unrolled: 1-line block ×3, first 2 shown]
	s_mov_b32 s5, 0
	.p2align	6
.LBB10_25:                              ; =>This Inner Loop Header: Depth=1
	s_clause 0x1
	buffer_load_dword v33, v29, s[0:3], 0 offen offset:4
	buffer_load_dword v34, v29, s[0:3], 0 offen
	ds_read_b64 v[31:32], v28
	v_add_nc_u32_e32 v27, 1, v27
	v_add_nc_u32_e32 v28, 8, v28
	v_add_nc_u32_e32 v29, 8, v29
	v_cmp_lt_u32_e32 vcc_lo, 1, v27
	s_or_b32 s5, vcc_lo, s5
	s_waitcnt vmcnt(1) lgkmcnt(0)
	v_mul_f32_e32 v35, v32, v33
	v_mul_f32_e32 v33, v31, v33
	s_waitcnt vmcnt(0)
	v_fma_f32 v31, v31, v34, -v35
	v_fmac_f32_e32 v33, v32, v34
	v_add_f32_e32 v30, v30, v31
	v_add_f32_e32 v24, v24, v33
	s_andn2_b32 exec_lo, exec_lo, s5
	s_cbranch_execnz .LBB10_25
; %bb.26:
	s_or_b32 exec_lo, exec_lo, s5
	v_mov_b32_e32 v27, 0
	ds_read_b64 v[27:28], v27 offset:24
	s_waitcnt lgkmcnt(0)
	v_mul_f32_e32 v29, v24, v28
	v_mul_f32_e32 v28, v30, v28
	v_fma_f32 v29, v30, v27, -v29
	v_fmac_f32_e32 v28, v24, v27
	buffer_store_dword v29, off, s[0:3], 0 offset:24
	buffer_store_dword v28, off, s[0:3], 0 offset:28
.LBB10_27:
	s_or_b32 exec_lo, exec_lo, s4
	s_waitcnt_vscnt null, 0x0
	s_barrier
	buffer_gl0_inv
	s_clause 0x1
	buffer_load_dword v27, off, s[0:3], 0 offset:32
	buffer_load_dword v28, off, s[0:3], 0 offset:36
	s_mov_b32 s4, exec_lo
	s_waitcnt vmcnt(0)
	ds_write_b64 v26, v[27:28]
	s_waitcnt lgkmcnt(0)
	s_barrier
	buffer_gl0_inv
	v_cmpx_gt_u32_e32 4, v0
	s_cbranch_execz .LBB10_31
; %bb.28:
	v_add_nc_u32_e32 v27, -1, v0
	v_add_nc_u32_e32 v28, 0x60, v25
	v_mov_b32_e32 v29, v25
	v_mov_b32_e32 v24, 0
	;; [unrolled: 1-line block ×3, first 2 shown]
	s_mov_b32 s5, 0
	.p2align	6
.LBB10_29:                              ; =>This Inner Loop Header: Depth=1
	s_clause 0x1
	buffer_load_dword v33, v29, s[0:3], 0 offen offset:4
	buffer_load_dword v34, v29, s[0:3], 0 offen
	ds_read_b64 v[31:32], v28
	v_add_nc_u32_e32 v27, 1, v27
	v_add_nc_u32_e32 v28, 8, v28
	;; [unrolled: 1-line block ×3, first 2 shown]
	v_cmp_lt_u32_e32 vcc_lo, 2, v27
	s_or_b32 s5, vcc_lo, s5
	s_waitcnt vmcnt(1) lgkmcnt(0)
	v_mul_f32_e32 v35, v32, v33
	v_mul_f32_e32 v33, v31, v33
	s_waitcnt vmcnt(0)
	v_fma_f32 v31, v31, v34, -v35
	v_fmac_f32_e32 v33, v32, v34
	v_add_f32_e32 v30, v30, v31
	v_add_f32_e32 v24, v24, v33
	s_andn2_b32 exec_lo, exec_lo, s5
	s_cbranch_execnz .LBB10_29
; %bb.30:
	s_or_b32 exec_lo, exec_lo, s5
	v_mov_b32_e32 v27, 0
	ds_read_b64 v[27:28], v27 offset:32
	s_waitcnt lgkmcnt(0)
	v_mul_f32_e32 v29, v24, v28
	v_mul_f32_e32 v28, v30, v28
	v_fma_f32 v29, v30, v27, -v29
	v_fmac_f32_e32 v28, v24, v27
	buffer_store_dword v29, off, s[0:3], 0 offset:32
	buffer_store_dword v28, off, s[0:3], 0 offset:36
.LBB10_31:
	s_or_b32 exec_lo, exec_lo, s4
	s_waitcnt_vscnt null, 0x0
	s_barrier
	buffer_gl0_inv
	s_clause 0x1
	buffer_load_dword v27, off, s[0:3], 0 offset:40
	buffer_load_dword v28, off, s[0:3], 0 offset:44
	s_mov_b32 s4, exec_lo
	s_waitcnt vmcnt(0)
	ds_write_b64 v26, v[27:28]
	s_waitcnt lgkmcnt(0)
	s_barrier
	buffer_gl0_inv
	v_cmpx_gt_u32_e32 5, v0
	s_cbranch_execz .LBB10_35
; %bb.32:
	v_add_nc_u32_e32 v27, -1, v0
	v_add_nc_u32_e32 v28, 0x60, v25
	v_mov_b32_e32 v29, v25
	v_mov_b32_e32 v24, 0
	;; [unrolled: 1-line block ×3, first 2 shown]
	s_mov_b32 s5, 0
	.p2align	6
.LBB10_33:                              ; =>This Inner Loop Header: Depth=1
	s_clause 0x1
	buffer_load_dword v33, v29, s[0:3], 0 offen offset:4
	buffer_load_dword v34, v29, s[0:3], 0 offen
	ds_read_b64 v[31:32], v28
	v_add_nc_u32_e32 v27, 1, v27
	v_add_nc_u32_e32 v28, 8, v28
	v_add_nc_u32_e32 v29, 8, v29
	v_cmp_lt_u32_e32 vcc_lo, 3, v27
	s_or_b32 s5, vcc_lo, s5
	s_waitcnt vmcnt(1) lgkmcnt(0)
	v_mul_f32_e32 v35, v32, v33
	v_mul_f32_e32 v33, v31, v33
	s_waitcnt vmcnt(0)
	v_fma_f32 v31, v31, v34, -v35
	v_fmac_f32_e32 v33, v32, v34
	v_add_f32_e32 v30, v30, v31
	v_add_f32_e32 v24, v24, v33
	s_andn2_b32 exec_lo, exec_lo, s5
	s_cbranch_execnz .LBB10_33
; %bb.34:
	s_or_b32 exec_lo, exec_lo, s5
	v_mov_b32_e32 v27, 0
	ds_read_b64 v[27:28], v27 offset:40
	s_waitcnt lgkmcnt(0)
	v_mul_f32_e32 v29, v24, v28
	v_mul_f32_e32 v28, v30, v28
	v_fma_f32 v29, v30, v27, -v29
	v_fmac_f32_e32 v28, v24, v27
	buffer_store_dword v29, off, s[0:3], 0 offset:40
	buffer_store_dword v28, off, s[0:3], 0 offset:44
.LBB10_35:
	s_or_b32 exec_lo, exec_lo, s4
	s_waitcnt_vscnt null, 0x0
	s_barrier
	buffer_gl0_inv
	s_clause 0x1
	buffer_load_dword v27, off, s[0:3], 0 offset:48
	buffer_load_dword v28, off, s[0:3], 0 offset:52
	s_mov_b32 s4, exec_lo
	s_waitcnt vmcnt(0)
	ds_write_b64 v26, v[27:28]
	s_waitcnt lgkmcnt(0)
	s_barrier
	buffer_gl0_inv
	v_cmpx_gt_u32_e32 6, v0
	s_cbranch_execz .LBB10_39
; %bb.36:
	v_add_nc_u32_e32 v27, -1, v0
	v_add_nc_u32_e32 v28, 0x60, v25
	v_mov_b32_e32 v29, v25
	v_mov_b32_e32 v24, 0
	;; [unrolled: 1-line block ×3, first 2 shown]
	s_mov_b32 s5, 0
	.p2align	6
.LBB10_37:                              ; =>This Inner Loop Header: Depth=1
	s_clause 0x1
	buffer_load_dword v33, v29, s[0:3], 0 offen offset:4
	buffer_load_dword v34, v29, s[0:3], 0 offen
	ds_read_b64 v[31:32], v28
	v_add_nc_u32_e32 v27, 1, v27
	v_add_nc_u32_e32 v28, 8, v28
	;; [unrolled: 1-line block ×3, first 2 shown]
	v_cmp_lt_u32_e32 vcc_lo, 4, v27
	s_or_b32 s5, vcc_lo, s5
	s_waitcnt vmcnt(1) lgkmcnt(0)
	v_mul_f32_e32 v35, v32, v33
	v_mul_f32_e32 v33, v31, v33
	s_waitcnt vmcnt(0)
	v_fma_f32 v31, v31, v34, -v35
	v_fmac_f32_e32 v33, v32, v34
	v_add_f32_e32 v30, v30, v31
	v_add_f32_e32 v24, v24, v33
	s_andn2_b32 exec_lo, exec_lo, s5
	s_cbranch_execnz .LBB10_37
; %bb.38:
	s_or_b32 exec_lo, exec_lo, s5
	v_mov_b32_e32 v27, 0
	ds_read_b64 v[27:28], v27 offset:48
	s_waitcnt lgkmcnt(0)
	v_mul_f32_e32 v29, v24, v28
	v_mul_f32_e32 v28, v30, v28
	v_fma_f32 v29, v30, v27, -v29
	v_fmac_f32_e32 v28, v24, v27
	buffer_store_dword v29, off, s[0:3], 0 offset:48
	buffer_store_dword v28, off, s[0:3], 0 offset:52
.LBB10_39:
	s_or_b32 exec_lo, exec_lo, s4
	s_waitcnt_vscnt null, 0x0
	s_barrier
	buffer_gl0_inv
	s_clause 0x1
	buffer_load_dword v27, off, s[0:3], 0 offset:56
	buffer_load_dword v28, off, s[0:3], 0 offset:60
	s_mov_b32 s4, exec_lo
	s_waitcnt vmcnt(0)
	ds_write_b64 v26, v[27:28]
	s_waitcnt lgkmcnt(0)
	s_barrier
	buffer_gl0_inv
	v_cmpx_gt_u32_e32 7, v0
	s_cbranch_execz .LBB10_43
; %bb.40:
	v_add_nc_u32_e32 v27, -1, v0
	v_add_nc_u32_e32 v28, 0x60, v25
	v_mov_b32_e32 v29, v25
	v_mov_b32_e32 v24, 0
	;; [unrolled: 1-line block ×3, first 2 shown]
	s_mov_b32 s5, 0
	.p2align	6
.LBB10_41:                              ; =>This Inner Loop Header: Depth=1
	s_clause 0x1
	buffer_load_dword v33, v29, s[0:3], 0 offen offset:4
	buffer_load_dword v34, v29, s[0:3], 0 offen
	ds_read_b64 v[31:32], v28
	v_add_nc_u32_e32 v27, 1, v27
	v_add_nc_u32_e32 v28, 8, v28
	;; [unrolled: 1-line block ×3, first 2 shown]
	v_cmp_lt_u32_e32 vcc_lo, 5, v27
	s_or_b32 s5, vcc_lo, s5
	s_waitcnt vmcnt(1) lgkmcnt(0)
	v_mul_f32_e32 v35, v32, v33
	v_mul_f32_e32 v33, v31, v33
	s_waitcnt vmcnt(0)
	v_fma_f32 v31, v31, v34, -v35
	v_fmac_f32_e32 v33, v32, v34
	v_add_f32_e32 v30, v30, v31
	v_add_f32_e32 v24, v24, v33
	s_andn2_b32 exec_lo, exec_lo, s5
	s_cbranch_execnz .LBB10_41
; %bb.42:
	s_or_b32 exec_lo, exec_lo, s5
	v_mov_b32_e32 v27, 0
	ds_read_b64 v[27:28], v27 offset:56
	s_waitcnt lgkmcnt(0)
	v_mul_f32_e32 v29, v24, v28
	v_mul_f32_e32 v28, v30, v28
	v_fma_f32 v29, v30, v27, -v29
	v_fmac_f32_e32 v28, v24, v27
	buffer_store_dword v29, off, s[0:3], 0 offset:56
	buffer_store_dword v28, off, s[0:3], 0 offset:60
.LBB10_43:
	s_or_b32 exec_lo, exec_lo, s4
	s_waitcnt_vscnt null, 0x0
	s_barrier
	buffer_gl0_inv
	s_clause 0x1
	buffer_load_dword v27, off, s[0:3], 0 offset:64
	buffer_load_dword v28, off, s[0:3], 0 offset:68
	s_mov_b32 s4, exec_lo
	s_waitcnt vmcnt(0)
	ds_write_b64 v26, v[27:28]
	s_waitcnt lgkmcnt(0)
	s_barrier
	buffer_gl0_inv
	v_cmpx_gt_u32_e32 8, v0
	s_cbranch_execz .LBB10_47
; %bb.44:
	v_add_nc_u32_e32 v27, -1, v0
	v_add_nc_u32_e32 v28, 0x60, v25
	v_mov_b32_e32 v29, v25
	v_mov_b32_e32 v24, 0
	;; [unrolled: 1-line block ×3, first 2 shown]
	s_mov_b32 s5, 0
	.p2align	6
.LBB10_45:                              ; =>This Inner Loop Header: Depth=1
	s_clause 0x1
	buffer_load_dword v33, v29, s[0:3], 0 offen offset:4
	buffer_load_dword v34, v29, s[0:3], 0 offen
	ds_read_b64 v[31:32], v28
	v_add_nc_u32_e32 v27, 1, v27
	v_add_nc_u32_e32 v28, 8, v28
	;; [unrolled: 1-line block ×3, first 2 shown]
	v_cmp_lt_u32_e32 vcc_lo, 6, v27
	s_or_b32 s5, vcc_lo, s5
	s_waitcnt vmcnt(1) lgkmcnt(0)
	v_mul_f32_e32 v35, v32, v33
	v_mul_f32_e32 v33, v31, v33
	s_waitcnt vmcnt(0)
	v_fma_f32 v31, v31, v34, -v35
	v_fmac_f32_e32 v33, v32, v34
	v_add_f32_e32 v30, v30, v31
	v_add_f32_e32 v24, v24, v33
	s_andn2_b32 exec_lo, exec_lo, s5
	s_cbranch_execnz .LBB10_45
; %bb.46:
	s_or_b32 exec_lo, exec_lo, s5
	v_mov_b32_e32 v27, 0
	ds_read_b64 v[27:28], v27 offset:64
	s_waitcnt lgkmcnt(0)
	v_mul_f32_e32 v29, v24, v28
	v_mul_f32_e32 v28, v30, v28
	v_fma_f32 v29, v30, v27, -v29
	v_fmac_f32_e32 v28, v24, v27
	buffer_store_dword v29, off, s[0:3], 0 offset:64
	buffer_store_dword v28, off, s[0:3], 0 offset:68
.LBB10_47:
	s_or_b32 exec_lo, exec_lo, s4
	s_waitcnt_vscnt null, 0x0
	s_barrier
	buffer_gl0_inv
	s_clause 0x1
	buffer_load_dword v27, off, s[0:3], 0 offset:72
	buffer_load_dword v28, off, s[0:3], 0 offset:76
	s_mov_b32 s4, exec_lo
	s_waitcnt vmcnt(0)
	ds_write_b64 v26, v[27:28]
	s_waitcnt lgkmcnt(0)
	s_barrier
	buffer_gl0_inv
	v_cmpx_gt_u32_e32 9, v0
	s_cbranch_execz .LBB10_51
; %bb.48:
	v_add_nc_u32_e32 v27, -1, v0
	v_add_nc_u32_e32 v28, 0x60, v25
	v_mov_b32_e32 v29, v25
	v_mov_b32_e32 v24, 0
	;; [unrolled: 1-line block ×3, first 2 shown]
	s_mov_b32 s5, 0
	.p2align	6
.LBB10_49:                              ; =>This Inner Loop Header: Depth=1
	s_clause 0x1
	buffer_load_dword v33, v29, s[0:3], 0 offen offset:4
	buffer_load_dword v34, v29, s[0:3], 0 offen
	ds_read_b64 v[31:32], v28
	v_add_nc_u32_e32 v27, 1, v27
	v_add_nc_u32_e32 v28, 8, v28
	;; [unrolled: 1-line block ×3, first 2 shown]
	v_cmp_lt_u32_e32 vcc_lo, 7, v27
	s_or_b32 s5, vcc_lo, s5
	s_waitcnt vmcnt(1) lgkmcnt(0)
	v_mul_f32_e32 v35, v32, v33
	v_mul_f32_e32 v33, v31, v33
	s_waitcnt vmcnt(0)
	v_fma_f32 v31, v31, v34, -v35
	v_fmac_f32_e32 v33, v32, v34
	v_add_f32_e32 v30, v30, v31
	v_add_f32_e32 v24, v24, v33
	s_andn2_b32 exec_lo, exec_lo, s5
	s_cbranch_execnz .LBB10_49
; %bb.50:
	s_or_b32 exec_lo, exec_lo, s5
	v_mov_b32_e32 v27, 0
	ds_read_b64 v[27:28], v27 offset:72
	s_waitcnt lgkmcnt(0)
	v_mul_f32_e32 v29, v24, v28
	v_mul_f32_e32 v28, v30, v28
	v_fma_f32 v29, v30, v27, -v29
	v_fmac_f32_e32 v28, v24, v27
	buffer_store_dword v29, off, s[0:3], 0 offset:72
	buffer_store_dword v28, off, s[0:3], 0 offset:76
.LBB10_51:
	s_or_b32 exec_lo, exec_lo, s4
	s_waitcnt_vscnt null, 0x0
	s_barrier
	buffer_gl0_inv
	s_clause 0x1
	buffer_load_dword v27, off, s[0:3], 0 offset:80
	buffer_load_dword v28, off, s[0:3], 0 offset:84
	s_mov_b32 s4, exec_lo
	s_waitcnt vmcnt(0)
	ds_write_b64 v26, v[27:28]
	s_waitcnt lgkmcnt(0)
	s_barrier
	buffer_gl0_inv
	v_cmpx_ne_u32_e32 10, v0
	s_cbranch_execz .LBB10_55
; %bb.52:
	v_mov_b32_e32 v24, 0
	v_mov_b32_e32 v27, 0
	s_mov_b32 s5, 0
	.p2align	6
.LBB10_53:                              ; =>This Inner Loop Header: Depth=1
	s_clause 0x1
	buffer_load_dword v30, v25, s[0:3], 0 offen offset:4
	buffer_load_dword v31, v25, s[0:3], 0 offen
	ds_read_b64 v[28:29], v26
	v_add_nc_u32_e32 v23, 1, v23
	v_add_nc_u32_e32 v26, 8, v26
	;; [unrolled: 1-line block ×3, first 2 shown]
	v_cmp_lt_u32_e32 vcc_lo, 8, v23
	s_or_b32 s5, vcc_lo, s5
	s_waitcnt vmcnt(1) lgkmcnt(0)
	v_mul_f32_e32 v32, v29, v30
	v_mul_f32_e32 v30, v28, v30
	s_waitcnt vmcnt(0)
	v_fma_f32 v28, v28, v31, -v32
	v_fmac_f32_e32 v30, v29, v31
	v_add_f32_e32 v27, v27, v28
	v_add_f32_e32 v24, v24, v30
	s_andn2_b32 exec_lo, exec_lo, s5
	s_cbranch_execnz .LBB10_53
; %bb.54:
	s_or_b32 exec_lo, exec_lo, s5
	v_mov_b32_e32 v23, 0
	ds_read_b64 v[25:26], v23 offset:80
	s_waitcnt lgkmcnt(0)
	v_mul_f32_e32 v23, v24, v26
	v_mul_f32_e32 v26, v27, v26
	v_fma_f32 v23, v27, v25, -v23
	v_fmac_f32_e32 v26, v24, v25
	buffer_store_dword v23, off, s[0:3], 0 offset:80
	buffer_store_dword v26, off, s[0:3], 0 offset:84
.LBB10_55:
	s_or_b32 exec_lo, exec_lo, s4
	s_mov_b32 s5, -1
	s_waitcnt_vscnt null, 0x0
	s_barrier
	buffer_gl0_inv
.LBB10_56:
	s_and_b32 vcc_lo, exec_lo, s5
	s_cbranch_vccz .LBB10_58
; %bb.57:
	s_lshl_b64 s[4:5], s[6:7], 2
	v_mov_b32_e32 v23, 0
	s_add_u32 s4, s10, s4
	s_addc_u32 s5, s11, s5
	global_load_dword v23, v23, s[4:5]
	s_waitcnt vmcnt(0)
	v_cmp_ne_u32_e32 vcc_lo, 0, v23
	s_cbranch_vccz .LBB10_59
.LBB10_58:
	s_endpgm
.LBB10_59:
	v_lshl_add_u32 v23, v0, 3, 0x60
	s_mov_b32 s4, exec_lo
	v_cmpx_eq_u32_e32 10, v0
	s_cbranch_execz .LBB10_61
; %bb.60:
	s_clause 0x1
	buffer_load_dword v24, off, s[0:3], 0 offset:72
	buffer_load_dword v25, off, s[0:3], 0 offset:76
	v_mov_b32_e32 v26, 0
	buffer_store_dword v26, off, s[0:3], 0 offset:72
	buffer_store_dword v26, off, s[0:3], 0 offset:76
	s_waitcnt vmcnt(0)
	ds_write_b64 v23, v[24:25]
.LBB10_61:
	s_or_b32 exec_lo, exec_lo, s4
	s_waitcnt lgkmcnt(0)
	s_waitcnt_vscnt null, 0x0
	s_barrier
	buffer_gl0_inv
	s_clause 0x3
	buffer_load_dword v27, off, s[0:3], 0 offset:84
	buffer_load_dword v28, off, s[0:3], 0 offset:80
	;; [unrolled: 1-line block ×4, first 2 shown]
	v_mov_b32_e32 v24, 0
	s_mov_b32 s4, exec_lo
	ds_read_b64 v[25:26], v24 offset:176
	s_waitcnt vmcnt(3) lgkmcnt(0)
	v_mul_f32_e32 v31, v26, v27
	v_mul_f32_e32 v27, v25, v27
	s_waitcnt vmcnt(2)
	v_fma_f32 v25, v25, v28, -v31
	v_fmac_f32_e32 v27, v26, v28
	v_add_f32_e32 v25, 0, v25
	v_add_f32_e32 v26, 0, v27
	s_waitcnt vmcnt(1)
	v_sub_f32_e32 v25, v29, v25
	s_waitcnt vmcnt(0)
	v_sub_f32_e32 v26, v30, v26
	buffer_store_dword v25, off, s[0:3], 0 offset:72
	buffer_store_dword v26, off, s[0:3], 0 offset:76
	v_cmpx_lt_u32_e32 8, v0
	s_cbranch_execz .LBB10_63
; %bb.62:
	s_clause 0x1
	buffer_load_dword v25, off, s[0:3], 0 offset:64
	buffer_load_dword v26, off, s[0:3], 0 offset:68
	buffer_store_dword v24, off, s[0:3], 0 offset:64
	buffer_store_dword v24, off, s[0:3], 0 offset:68
	s_waitcnt vmcnt(0)
	ds_write_b64 v23, v[25:26]
.LBB10_63:
	s_or_b32 exec_lo, exec_lo, s4
	s_waitcnt lgkmcnt(0)
	s_waitcnt_vscnt null, 0x0
	s_barrier
	buffer_gl0_inv
	s_clause 0x5
	buffer_load_dword v28, off, s[0:3], 0 offset:76
	buffer_load_dword v29, off, s[0:3], 0 offset:84
	;; [unrolled: 1-line block ×6, first 2 shown]
	ds_read2_b64 v[24:27], v24 offset0:21 offset1:22
	s_mov_b32 s4, exec_lo
	s_waitcnt vmcnt(5) lgkmcnt(0)
	v_mul_f32_e32 v34, v25, v28
	v_mul_f32_e32 v28, v24, v28
	s_waitcnt vmcnt(4)
	v_mul_f32_e32 v35, v26, v29
	v_mul_f32_e32 v29, v27, v29
	s_waitcnt vmcnt(3)
	v_fma_f32 v24, v24, v30, -v34
	v_fmac_f32_e32 v28, v25, v30
	s_waitcnt vmcnt(2)
	v_fmac_f32_e32 v35, v27, v31
	v_fma_f32 v25, v26, v31, -v29
	v_add_f32_e32 v24, 0, v24
	v_add_f32_e32 v26, 0, v28
	;; [unrolled: 1-line block ×4, first 2 shown]
	s_waitcnt vmcnt(1)
	v_sub_f32_e32 v24, v32, v24
	s_waitcnt vmcnt(0)
	v_sub_f32_e32 v25, v33, v25
	buffer_store_dword v24, off, s[0:3], 0 offset:64
	buffer_store_dword v25, off, s[0:3], 0 offset:68
	v_cmpx_lt_u32_e32 7, v0
	s_cbranch_execz .LBB10_65
; %bb.64:
	s_clause 0x1
	buffer_load_dword v24, off, s[0:3], 0 offset:56
	buffer_load_dword v25, off, s[0:3], 0 offset:60
	v_mov_b32_e32 v26, 0
	buffer_store_dword v26, off, s[0:3], 0 offset:56
	buffer_store_dword v26, off, s[0:3], 0 offset:60
	s_waitcnt vmcnt(0)
	ds_write_b64 v23, v[24:25]
.LBB10_65:
	s_or_b32 exec_lo, exec_lo, s4
	s_waitcnt lgkmcnt(0)
	s_waitcnt_vscnt null, 0x0
	s_barrier
	buffer_gl0_inv
	s_clause 0x7
	buffer_load_dword v31, off, s[0:3], 0 offset:68
	buffer_load_dword v32, off, s[0:3], 0 offset:76
	;; [unrolled: 1-line block ×8, first 2 shown]
	v_mov_b32_e32 v24, 0
	ds_read_b128 v[25:28], v24 offset:160
	ds_read_b64 v[29:30], v24 offset:176
	s_mov_b32 s4, exec_lo
	s_waitcnt vmcnt(7) lgkmcnt(1)
	v_mul_f32_e32 v39, v26, v31
	v_mul_f32_e32 v31, v25, v31
	s_waitcnt vmcnt(6)
	v_mul_f32_e32 v40, v27, v32
	v_mul_f32_e32 v32, v28, v32
	s_waitcnt vmcnt(5) lgkmcnt(0)
	v_mul_f32_e32 v41, v29, v33
	s_waitcnt vmcnt(4)
	v_fma_f32 v25, v25, v34, -v39
	v_fmac_f32_e32 v31, v26, v34
	v_mul_f32_e32 v26, v30, v33
	s_waitcnt vmcnt(3)
	v_fma_f32 v27, v27, v35, -v32
	v_fmac_f32_e32 v40, v28, v35
	v_add_f32_e32 v25, 0, v25
	v_add_f32_e32 v28, 0, v31
	s_waitcnt vmcnt(2)
	v_fma_f32 v26, v29, v36, -v26
	v_fmac_f32_e32 v41, v30, v36
	v_add_f32_e32 v25, v25, v27
	v_add_f32_e32 v27, v28, v40
	;; [unrolled: 1-line block ×4, first 2 shown]
	s_waitcnt vmcnt(1)
	v_sub_f32_e32 v25, v37, v25
	s_waitcnt vmcnt(0)
	v_sub_f32_e32 v26, v38, v26
	buffer_store_dword v25, off, s[0:3], 0 offset:56
	buffer_store_dword v26, off, s[0:3], 0 offset:60
	v_cmpx_lt_u32_e32 6, v0
	s_cbranch_execz .LBB10_67
; %bb.66:
	s_clause 0x1
	buffer_load_dword v25, off, s[0:3], 0 offset:48
	buffer_load_dword v26, off, s[0:3], 0 offset:52
	buffer_store_dword v24, off, s[0:3], 0 offset:48
	buffer_store_dword v24, off, s[0:3], 0 offset:52
	s_waitcnt vmcnt(0)
	ds_write_b64 v23, v[25:26]
.LBB10_67:
	s_or_b32 exec_lo, exec_lo, s4
	s_waitcnt lgkmcnt(0)
	s_waitcnt_vscnt null, 0x0
	s_barrier
	buffer_gl0_inv
	s_clause 0x9
	buffer_load_dword v33, off, s[0:3], 0 offset:60
	buffer_load_dword v34, off, s[0:3], 0 offset:68
	;; [unrolled: 1-line block ×10, first 2 shown]
	ds_read2_b64 v[25:28], v24 offset0:19 offset1:20
	ds_read2_b64 v[29:32], v24 offset0:21 offset1:22
	s_mov_b32 s4, exec_lo
	s_waitcnt vmcnt(9) lgkmcnt(1)
	v_mul_f32_e32 v24, v25, v33
	v_mul_f32_e32 v33, v26, v33
	s_waitcnt vmcnt(8)
	v_mul_f32_e32 v43, v27, v34
	v_mul_f32_e32 v34, v28, v34
	s_waitcnt vmcnt(7) lgkmcnt(0)
	v_mul_f32_e32 v44, v29, v35
	s_waitcnt vmcnt(5)
	v_fmac_f32_e32 v24, v26, v37
	v_fma_f32 v25, v25, v37, -v33
	v_mul_f32_e32 v26, v30, v35
	s_waitcnt vmcnt(4)
	v_fma_f32 v27, v27, v38, -v34
	v_fmac_f32_e32 v43, v28, v38
	v_add_f32_e32 v24, 0, v24
	v_add_f32_e32 v25, 0, v25
	v_mul_f32_e32 v28, v32, v36
	s_waitcnt vmcnt(3)
	v_fma_f32 v26, v29, v39, -v26
	v_mul_f32_e32 v45, v31, v36
	v_fmac_f32_e32 v44, v30, v39
	v_add_f32_e32 v25, v25, v27
	v_add_f32_e32 v24, v24, v43
	s_waitcnt vmcnt(2)
	v_fma_f32 v27, v31, v40, -v28
	v_fmac_f32_e32 v45, v32, v40
	v_add_f32_e32 v25, v25, v26
	v_add_f32_e32 v24, v24, v44
	;; [unrolled: 1-line block ×4, first 2 shown]
	s_waitcnt vmcnt(1)
	v_sub_f32_e32 v25, v41, v25
	s_waitcnt vmcnt(0)
	v_sub_f32_e32 v24, v42, v24
	buffer_store_dword v25, off, s[0:3], 0 offset:48
	buffer_store_dword v24, off, s[0:3], 0 offset:52
	v_cmpx_lt_u32_e32 5, v0
	s_cbranch_execz .LBB10_69
; %bb.68:
	s_clause 0x1
	buffer_load_dword v24, off, s[0:3], 0 offset:40
	buffer_load_dword v25, off, s[0:3], 0 offset:44
	v_mov_b32_e32 v26, 0
	buffer_store_dword v26, off, s[0:3], 0 offset:40
	buffer_store_dword v26, off, s[0:3], 0 offset:44
	s_waitcnt vmcnt(0)
	ds_write_b64 v23, v[24:25]
.LBB10_69:
	s_or_b32 exec_lo, exec_lo, s4
	s_waitcnt lgkmcnt(0)
	s_waitcnt_vscnt null, 0x0
	s_barrier
	buffer_gl0_inv
	s_clause 0xb
	buffer_load_dword v35, off, s[0:3], 0 offset:52
	buffer_load_dword v36, off, s[0:3], 0 offset:60
	buffer_load_dword v37, off, s[0:3], 0 offset:68
	buffer_load_dword v38, off, s[0:3], 0 offset:76
	buffer_load_dword v39, off, s[0:3], 0 offset:84
	buffer_load_dword v40, off, s[0:3], 0 offset:48
	buffer_load_dword v41, off, s[0:3], 0 offset:56
	buffer_load_dword v42, off, s[0:3], 0 offset:64
	buffer_load_dword v43, off, s[0:3], 0 offset:72
	buffer_load_dword v44, off, s[0:3], 0 offset:80
	buffer_load_dword v45, off, s[0:3], 0 offset:40
	buffer_load_dword v46, off, s[0:3], 0 offset:44
	v_mov_b32_e32 v24, 0
	ds_read_b128 v[25:28], v24 offset:144
	ds_read_b128 v[29:32], v24 offset:160
	ds_read_b64 v[33:34], v24 offset:176
	s_mov_b32 s4, exec_lo
	s_waitcnt vmcnt(11) lgkmcnt(2)
	v_mul_f32_e32 v47, v25, v35
	v_mul_f32_e32 v35, v26, v35
	s_waitcnt vmcnt(10)
	v_mul_f32_e32 v48, v27, v36
	v_mul_f32_e32 v36, v28, v36
	s_waitcnt vmcnt(9) lgkmcnt(1)
	v_mul_f32_e32 v49, v29, v37
	s_waitcnt vmcnt(6)
	v_fmac_f32_e32 v47, v26, v40
	v_fma_f32 v25, v25, v40, -v35
	v_mul_f32_e32 v26, v30, v37
	s_waitcnt vmcnt(5)
	v_fma_f32 v27, v27, v41, -v36
	v_fmac_f32_e32 v48, v28, v41
	v_add_f32_e32 v28, 0, v47
	v_add_f32_e32 v25, 0, v25
	v_mul_f32_e32 v35, v32, v38
	s_waitcnt vmcnt(4)
	v_fma_f32 v26, v29, v42, -v26
	v_mul_f32_e32 v50, v31, v38
	v_fmac_f32_e32 v49, v30, v42
	v_add_f32_e32 v25, v25, v27
	v_add_f32_e32 v27, v28, v48
	s_waitcnt lgkmcnt(0)
	v_mul_f32_e32 v28, v34, v39
	s_waitcnt vmcnt(3)
	v_fma_f32 v29, v31, v43, -v35
	v_mul_f32_e32 v51, v33, v39
	v_add_f32_e32 v25, v25, v26
	v_fmac_f32_e32 v50, v32, v43
	v_add_f32_e32 v26, v27, v49
	s_waitcnt vmcnt(2)
	v_fma_f32 v27, v33, v44, -v28
	v_fmac_f32_e32 v51, v34, v44
	v_add_f32_e32 v25, v25, v29
	v_add_f32_e32 v26, v26, v50
	;; [unrolled: 1-line block ×4, first 2 shown]
	s_waitcnt vmcnt(1)
	v_sub_f32_e32 v25, v45, v25
	s_waitcnt vmcnt(0)
	v_sub_f32_e32 v26, v46, v26
	buffer_store_dword v25, off, s[0:3], 0 offset:40
	buffer_store_dword v26, off, s[0:3], 0 offset:44
	v_cmpx_lt_u32_e32 4, v0
	s_cbranch_execz .LBB10_71
; %bb.70:
	s_clause 0x1
	buffer_load_dword v25, off, s[0:3], 0 offset:32
	buffer_load_dword v26, off, s[0:3], 0 offset:36
	buffer_store_dword v24, off, s[0:3], 0 offset:32
	buffer_store_dword v24, off, s[0:3], 0 offset:36
	s_waitcnt vmcnt(0)
	ds_write_b64 v23, v[25:26]
.LBB10_71:
	s_or_b32 exec_lo, exec_lo, s4
	s_waitcnt lgkmcnt(0)
	s_waitcnt_vscnt null, 0x0
	s_barrier
	buffer_gl0_inv
	s_clause 0xd
	buffer_load_dword v37, off, s[0:3], 0 offset:44
	buffer_load_dword v38, off, s[0:3], 0 offset:52
	;; [unrolled: 1-line block ×14, first 2 shown]
	ds_read2_b64 v[25:28], v24 offset0:17 offset1:18
	ds_read2_b64 v[29:32], v24 offset0:19 offset1:20
	;; [unrolled: 1-line block ×3, first 2 shown]
	s_mov_b32 s4, exec_lo
	s_waitcnt vmcnt(13) lgkmcnt(2)
	v_mul_f32_e32 v24, v25, v37
	v_mul_f32_e32 v37, v26, v37
	s_waitcnt vmcnt(12)
	v_mul_f32_e32 v51, v27, v38
	v_mul_f32_e32 v38, v28, v38
	s_waitcnt vmcnt(11) lgkmcnt(1)
	v_mul_f32_e32 v52, v29, v39
	s_waitcnt vmcnt(10)
	v_mul_f32_e32 v53, v31, v40
	s_waitcnt vmcnt(7)
	v_fma_f32 v25, v25, v43, -v37
	v_fmac_f32_e32 v24, v26, v43
	v_mul_f32_e32 v26, v30, v39
	s_waitcnt vmcnt(6)
	v_fma_f32 v27, v27, v44, -v38
	v_fmac_f32_e32 v51, v28, v44
	v_add_f32_e32 v25, 0, v25
	v_add_f32_e32 v24, 0, v24
	v_mul_f32_e32 v28, v32, v40
	s_waitcnt vmcnt(5)
	v_fma_f32 v26, v29, v45, -v26
	v_fmac_f32_e32 v52, v30, v45
	v_add_f32_e32 v25, v25, v27
	v_add_f32_e32 v24, v24, v51
	s_waitcnt lgkmcnt(0)
	v_mul_f32_e32 v27, v34, v41
	s_waitcnt vmcnt(4)
	v_fma_f32 v28, v31, v46, -v28
	v_mul_f32_e32 v54, v33, v41
	v_add_f32_e32 v25, v25, v26
	v_fmac_f32_e32 v53, v32, v46
	v_add_f32_e32 v24, v24, v52
	v_mul_f32_e32 v26, v36, v42
	s_waitcnt vmcnt(3)
	v_fma_f32 v27, v33, v47, -v27
	v_add_f32_e32 v25, v25, v28
	v_mul_f32_e32 v55, v35, v42
	v_fmac_f32_e32 v54, v34, v47
	v_add_f32_e32 v24, v24, v53
	s_waitcnt vmcnt(2)
	v_fma_f32 v26, v35, v48, -v26
	v_add_f32_e32 v25, v25, v27
	v_fmac_f32_e32 v55, v36, v48
	v_add_f32_e32 v24, v24, v54
	v_add_f32_e32 v25, v25, v26
	;; [unrolled: 1-line block ×3, first 2 shown]
	s_waitcnt vmcnt(1)
	v_sub_f32_e32 v25, v49, v25
	s_waitcnt vmcnt(0)
	v_sub_f32_e32 v24, v50, v24
	buffer_store_dword v25, off, s[0:3], 0 offset:32
	buffer_store_dword v24, off, s[0:3], 0 offset:36
	v_cmpx_lt_u32_e32 3, v0
	s_cbranch_execz .LBB10_73
; %bb.72:
	s_clause 0x1
	buffer_load_dword v24, off, s[0:3], 0 offset:24
	buffer_load_dword v25, off, s[0:3], 0 offset:28
	v_mov_b32_e32 v26, 0
	buffer_store_dword v26, off, s[0:3], 0 offset:24
	buffer_store_dword v26, off, s[0:3], 0 offset:28
	s_waitcnt vmcnt(0)
	ds_write_b64 v23, v[24:25]
.LBB10_73:
	s_or_b32 exec_lo, exec_lo, s4
	s_waitcnt lgkmcnt(0)
	s_waitcnt_vscnt null, 0x0
	s_barrier
	buffer_gl0_inv
	s_clause 0xf
	buffer_load_dword v39, off, s[0:3], 0 offset:36
	buffer_load_dword v40, off, s[0:3], 0 offset:44
	buffer_load_dword v41, off, s[0:3], 0 offset:52
	buffer_load_dword v42, off, s[0:3], 0 offset:60
	buffer_load_dword v43, off, s[0:3], 0 offset:68
	buffer_load_dword v44, off, s[0:3], 0 offset:76
	buffer_load_dword v45, off, s[0:3], 0 offset:84
	buffer_load_dword v46, off, s[0:3], 0 offset:32
	buffer_load_dword v47, off, s[0:3], 0 offset:40
	buffer_load_dword v48, off, s[0:3], 0 offset:48
	buffer_load_dword v49, off, s[0:3], 0 offset:56
	buffer_load_dword v50, off, s[0:3], 0 offset:64
	buffer_load_dword v51, off, s[0:3], 0 offset:72
	buffer_load_dword v52, off, s[0:3], 0 offset:80
	buffer_load_dword v53, off, s[0:3], 0 offset:24
	buffer_load_dword v54, off, s[0:3], 0 offset:28
	v_mov_b32_e32 v24, 0
	ds_read_b128 v[25:28], v24 offset:128
	ds_read_b128 v[29:32], v24 offset:144
	;; [unrolled: 1-line block ×3, first 2 shown]
	ds_read_b64 v[37:38], v24 offset:176
	s_mov_b32 s4, exec_lo
	s_waitcnt vmcnt(15) lgkmcnt(3)
	v_mul_f32_e32 v55, v25, v39
	v_mul_f32_e32 v39, v26, v39
	s_waitcnt vmcnt(14)
	v_mul_f32_e32 v56, v27, v40
	v_mul_f32_e32 v40, v28, v40
	s_waitcnt vmcnt(13) lgkmcnt(2)
	v_mul_f32_e32 v57, v29, v41
	s_waitcnt vmcnt(12)
	v_mul_f32_e32 v58, v31, v42
	s_waitcnt vmcnt(11) lgkmcnt(1)
	v_mul_f32_e32 v59, v33, v43
	s_waitcnt vmcnt(8)
	v_fma_f32 v25, v25, v46, -v39
	v_fmac_f32_e32 v55, v26, v46
	v_mul_f32_e32 v26, v30, v41
	s_waitcnt vmcnt(7)
	v_fma_f32 v27, v27, v47, -v40
	v_fmac_f32_e32 v56, v28, v47
	v_add_f32_e32 v25, 0, v25
	v_add_f32_e32 v28, 0, v55
	v_mul_f32_e32 v39, v32, v42
	s_waitcnt vmcnt(6)
	v_fma_f32 v26, v29, v48, -v26
	v_fmac_f32_e32 v57, v30, v48
	v_add_f32_e32 v25, v25, v27
	v_add_f32_e32 v27, v28, v56
	;; [unrolled: 6-line block ×3, first 2 shown]
	v_mul_f32_e32 v27, v36, v44
	s_waitcnt vmcnt(4)
	v_fma_f32 v28, v33, v50, -v28
	v_mul_f32_e32 v60, v35, v44
	v_add_f32_e32 v25, v25, v29
	v_fmac_f32_e32 v59, v34, v50
	v_add_f32_e32 v26, v26, v58
	s_waitcnt lgkmcnt(0)
	v_mul_f32_e32 v29, v38, v45
	s_waitcnt vmcnt(3)
	v_fma_f32 v27, v35, v51, -v27
	v_add_f32_e32 v25, v25, v28
	v_mul_f32_e32 v61, v37, v45
	v_fmac_f32_e32 v60, v36, v51
	v_add_f32_e32 v26, v26, v59
	s_waitcnt vmcnt(2)
	v_fma_f32 v28, v37, v52, -v29
	v_add_f32_e32 v25, v25, v27
	v_fmac_f32_e32 v61, v38, v52
	v_add_f32_e32 v26, v26, v60
	v_add_f32_e32 v25, v25, v28
	;; [unrolled: 1-line block ×3, first 2 shown]
	s_waitcnt vmcnt(1)
	v_sub_f32_e32 v25, v53, v25
	s_waitcnt vmcnt(0)
	v_sub_f32_e32 v26, v54, v26
	buffer_store_dword v25, off, s[0:3], 0 offset:24
	buffer_store_dword v26, off, s[0:3], 0 offset:28
	v_cmpx_lt_u32_e32 2, v0
	s_cbranch_execz .LBB10_75
; %bb.74:
	s_clause 0x1
	buffer_load_dword v25, off, s[0:3], 0 offset:16
	buffer_load_dword v26, off, s[0:3], 0 offset:20
	buffer_store_dword v24, off, s[0:3], 0 offset:16
	buffer_store_dword v24, off, s[0:3], 0 offset:20
	s_waitcnt vmcnt(0)
	ds_write_b64 v23, v[25:26]
.LBB10_75:
	s_or_b32 exec_lo, exec_lo, s4
	s_waitcnt lgkmcnt(0)
	s_waitcnt_vscnt null, 0x0
	s_barrier
	buffer_gl0_inv
	s_clause 0x11
	buffer_load_dword v41, off, s[0:3], 0 offset:28
	buffer_load_dword v42, off, s[0:3], 0 offset:36
	;; [unrolled: 1-line block ×18, first 2 shown]
	ds_read2_b64 v[25:28], v24 offset0:15 offset1:16
	ds_read2_b64 v[29:32], v24 offset0:17 offset1:18
	;; [unrolled: 1-line block ×4, first 2 shown]
	s_mov_b32 s4, exec_lo
	s_waitcnt vmcnt(17) lgkmcnt(3)
	v_mul_f32_e32 v24, v25, v41
	v_mul_f32_e32 v41, v26, v41
	s_waitcnt vmcnt(16)
	v_mul_f32_e32 v59, v27, v42
	v_mul_f32_e32 v42, v28, v42
	s_waitcnt vmcnt(15) lgkmcnt(2)
	v_mul_f32_e32 v60, v29, v43
	s_waitcnt vmcnt(14)
	v_mul_f32_e32 v61, v31, v44
	s_waitcnt vmcnt(13) lgkmcnt(1)
	v_mul_f32_e32 v62, v33, v45
	s_waitcnt vmcnt(12)
	v_mul_f32_e32 v63, v35, v46
	s_waitcnt vmcnt(9)
	v_fma_f32 v25, v25, v49, -v41
	v_fmac_f32_e32 v24, v26, v49
	v_mul_f32_e32 v26, v30, v43
	s_waitcnt vmcnt(8)
	v_fma_f32 v27, v27, v50, -v42
	v_fmac_f32_e32 v59, v28, v50
	v_add_f32_e32 v25, 0, v25
	v_add_f32_e32 v24, 0, v24
	v_mul_f32_e32 v28, v32, v44
	s_waitcnt vmcnt(7)
	v_fma_f32 v26, v29, v51, -v26
	v_fmac_f32_e32 v60, v30, v51
	v_add_f32_e32 v25, v25, v27
	v_add_f32_e32 v24, v24, v59
	;; [unrolled: 6-line block ×4, first 2 shown]
	s_waitcnt lgkmcnt(0)
	v_mul_f32_e32 v28, v38, v47
	s_waitcnt vmcnt(4)
	v_fma_f32 v26, v35, v54, -v26
	v_mul_f32_e32 v64, v37, v47
	v_add_f32_e32 v25, v25, v27
	v_fmac_f32_e32 v63, v36, v54
	v_add_f32_e32 v24, v24, v62
	v_mul_f32_e32 v27, v40, v48
	s_waitcnt vmcnt(3)
	v_fma_f32 v28, v37, v55, -v28
	v_add_f32_e32 v25, v25, v26
	v_mul_f32_e32 v65, v39, v48
	v_fmac_f32_e32 v64, v38, v55
	v_add_f32_e32 v24, v24, v63
	s_waitcnt vmcnt(2)
	v_fma_f32 v26, v39, v56, -v27
	v_add_f32_e32 v25, v25, v28
	v_fmac_f32_e32 v65, v40, v56
	v_add_f32_e32 v24, v24, v64
	v_add_f32_e32 v25, v25, v26
	;; [unrolled: 1-line block ×3, first 2 shown]
	s_waitcnt vmcnt(1)
	v_sub_f32_e32 v25, v57, v25
	s_waitcnt vmcnt(0)
	v_sub_f32_e32 v24, v58, v24
	buffer_store_dword v25, off, s[0:3], 0 offset:16
	buffer_store_dword v24, off, s[0:3], 0 offset:20
	v_cmpx_lt_u32_e32 1, v0
	s_cbranch_execz .LBB10_77
; %bb.76:
	s_clause 0x1
	buffer_load_dword v24, off, s[0:3], 0 offset:8
	buffer_load_dword v25, off, s[0:3], 0 offset:12
	v_mov_b32_e32 v26, 0
	buffer_store_dword v26, off, s[0:3], 0 offset:8
	buffer_store_dword v26, off, s[0:3], 0 offset:12
	s_waitcnt vmcnt(0)
	ds_write_b64 v23, v[24:25]
.LBB10_77:
	s_or_b32 exec_lo, exec_lo, s4
	s_waitcnt lgkmcnt(0)
	s_waitcnt_vscnt null, 0x0
	s_barrier
	buffer_gl0_inv
	s_clause 0x13
	buffer_load_dword v43, off, s[0:3], 0 offset:20
	buffer_load_dword v44, off, s[0:3], 0 offset:28
	;; [unrolled: 1-line block ×20, first 2 shown]
	v_mov_b32_e32 v24, 0
	ds_read_b128 v[25:28], v24 offset:112
	ds_read_b128 v[29:32], v24 offset:128
	;; [unrolled: 1-line block ×4, first 2 shown]
	ds_read_b64 v[41:42], v24 offset:176
	s_mov_b32 s4, exec_lo
	s_waitcnt vmcnt(19) lgkmcnt(4)
	v_mul_f32_e32 v63, v25, v43
	v_mul_f32_e32 v43, v26, v43
	s_waitcnt vmcnt(18)
	v_mul_f32_e32 v64, v27, v44
	v_mul_f32_e32 v44, v28, v44
	s_waitcnt vmcnt(17) lgkmcnt(3)
	v_mul_f32_e32 v65, v29, v45
	s_waitcnt vmcnt(16)
	v_mul_f32_e32 v66, v31, v46
	s_waitcnt vmcnt(15) lgkmcnt(2)
	v_mul_f32_e32 v67, v33, v47
	s_waitcnt vmcnt(14)
	;; [unrolled: 4-line block ×3, first 2 shown]
	v_fma_f32 v25, v25, v52, -v43
	v_fmac_f32_e32 v63, v26, v52
	v_mul_f32_e32 v26, v30, v45
	s_waitcnt vmcnt(9)
	v_fma_f32 v27, v27, v53, -v44
	v_fmac_f32_e32 v64, v28, v53
	v_add_f32_e32 v25, 0, v25
	v_add_f32_e32 v28, 0, v63
	v_mul_f32_e32 v43, v32, v46
	s_waitcnt vmcnt(8)
	v_fma_f32 v26, v29, v54, -v26
	v_fmac_f32_e32 v65, v30, v54
	v_add_f32_e32 v25, v25, v27
	v_add_f32_e32 v27, v28, v64
	;; [unrolled: 6-line block ×5, first 2 shown]
	v_mul_f32_e32 v28, v40, v50
	s_waitcnt vmcnt(4)
	v_fma_f32 v29, v37, v58, -v29
	v_mul_f32_e32 v70, v39, v50
	v_add_f32_e32 v25, v25, v27
	v_fmac_f32_e32 v69, v38, v58
	v_add_f32_e32 v26, v26, v68
	s_waitcnt lgkmcnt(0)
	v_mul_f32_e32 v27, v42, v51
	s_waitcnt vmcnt(3)
	v_fma_f32 v28, v39, v59, -v28
	v_add_f32_e32 v25, v25, v29
	v_mul_f32_e32 v71, v41, v51
	v_fmac_f32_e32 v70, v40, v59
	v_add_f32_e32 v26, v26, v69
	s_waitcnt vmcnt(2)
	v_fma_f32 v27, v41, v60, -v27
	v_add_f32_e32 v25, v25, v28
	v_fmac_f32_e32 v71, v42, v60
	v_add_f32_e32 v26, v26, v70
	v_add_f32_e32 v25, v25, v27
	;; [unrolled: 1-line block ×3, first 2 shown]
	s_waitcnt vmcnt(1)
	v_sub_f32_e32 v25, v61, v25
	s_waitcnt vmcnt(0)
	v_sub_f32_e32 v26, v62, v26
	buffer_store_dword v25, off, s[0:3], 0 offset:8
	buffer_store_dword v26, off, s[0:3], 0 offset:12
	v_cmpx_ne_u32_e32 0, v0
	s_cbranch_execz .LBB10_79
; %bb.78:
	s_clause 0x1
	buffer_load_dword v25, off, s[0:3], 0
	buffer_load_dword v26, off, s[0:3], 0 offset:4
	buffer_store_dword v24, off, s[0:3], 0
	buffer_store_dword v24, off, s[0:3], 0 offset:4
	s_waitcnt vmcnt(0)
	ds_write_b64 v23, v[25:26]
.LBB10_79:
	s_or_b32 exec_lo, exec_lo, s4
	s_waitcnt lgkmcnt(0)
	s_waitcnt_vscnt null, 0x0
	s_barrier
	buffer_gl0_inv
	s_clause 0x15
	buffer_load_dword v45, off, s[0:3], 0 offset:12
	buffer_load_dword v46, off, s[0:3], 0 offset:20
	buffer_load_dword v47, off, s[0:3], 0 offset:28
	buffer_load_dword v48, off, s[0:3], 0 offset:36
	buffer_load_dword v49, off, s[0:3], 0 offset:44
	buffer_load_dword v50, off, s[0:3], 0 offset:52
	buffer_load_dword v51, off, s[0:3], 0 offset:60
	buffer_load_dword v52, off, s[0:3], 0 offset:68
	buffer_load_dword v0, off, s[0:3], 0 offset:76
	buffer_load_dword v53, off, s[0:3], 0 offset:84
	buffer_load_dword v54, off, s[0:3], 0 offset:8
	buffer_load_dword v55, off, s[0:3], 0 offset:16
	buffer_load_dword v56, off, s[0:3], 0 offset:24
	buffer_load_dword v57, off, s[0:3], 0 offset:32
	buffer_load_dword v58, off, s[0:3], 0 offset:40
	buffer_load_dword v59, off, s[0:3], 0 offset:48
	buffer_load_dword v60, off, s[0:3], 0 offset:56
	buffer_load_dword v61, off, s[0:3], 0 offset:64
	buffer_load_dword v62, off, s[0:3], 0 offset:80
	buffer_load_dword v23, off, s[0:3], 0 offset:72
	buffer_load_dword v63, off, s[0:3], 0
	buffer_load_dword v64, off, s[0:3], 0 offset:4
	ds_read2_b64 v[25:28], v24 offset0:13 offset1:14
	ds_read2_b64 v[29:32], v24 offset0:15 offset1:16
	;; [unrolled: 1-line block ×5, first 2 shown]
	s_and_b32 vcc_lo, exec_lo, s22
	s_waitcnt vmcnt(21) lgkmcnt(4)
	v_mul_f32_e32 v24, v25, v45
	v_mul_f32_e32 v45, v26, v45
	s_waitcnt vmcnt(20)
	v_mul_f32_e32 v65, v27, v46
	v_mul_f32_e32 v46, v28, v46
	s_waitcnt vmcnt(19) lgkmcnt(3)
	v_mul_f32_e32 v66, v29, v47
	s_waitcnt vmcnt(18)
	v_mul_f32_e32 v67, v31, v48
	s_waitcnt vmcnt(17) lgkmcnt(2)
	v_mul_f32_e32 v68, v33, v49
	s_waitcnt vmcnt(16)
	;; [unrolled: 4-line block ×3, first 2 shown]
	v_mul_f32_e32 v71, v39, v52
	s_waitcnt vmcnt(11)
	v_fma_f32 v25, v25, v54, -v45
	v_fmac_f32_e32 v24, v26, v54
	v_mul_f32_e32 v26, v30, v47
	s_waitcnt vmcnt(10)
	v_fma_f32 v27, v27, v55, -v46
	v_fmac_f32_e32 v65, v28, v55
	v_add_f32_e32 v25, 0, v25
	v_add_f32_e32 v24, 0, v24
	v_mul_f32_e32 v28, v32, v48
	s_waitcnt vmcnt(9)
	v_fma_f32 v26, v29, v56, -v26
	v_fmac_f32_e32 v66, v30, v56
	v_add_f32_e32 v25, v25, v27
	v_add_f32_e32 v24, v24, v65
	;; [unrolled: 6-line block ×6, first 2 shown]
	s_waitcnt lgkmcnt(0)
	v_mul_f32_e32 v26, v42, v0
	s_waitcnt vmcnt(4)
	v_fma_f32 v27, v39, v61, -v27
	v_mul_f32_e32 v72, v41, v0
	v_add_f32_e32 v25, v25, v28
	v_fmac_f32_e32 v71, v40, v61
	v_add_f32_e32 v24, v24, v70
	v_mul_f32_e32 v28, v44, v53
	s_waitcnt vmcnt(2)
	v_fma_f32 v26, v41, v23, -v26
	v_add_f32_e32 v25, v25, v27
	v_mul_f32_e32 v73, v43, v53
	v_fmac_f32_e32 v72, v42, v23
	v_add_f32_e32 v24, v24, v71
	v_fma_f32 v27, v43, v62, -v28
	v_add_f32_e32 v25, v25, v26
	v_fmac_f32_e32 v73, v44, v62
	v_add_f32_e32 v24, v24, v72
	v_add_f32_e32 v25, v25, v27
	;; [unrolled: 1-line block ×3, first 2 shown]
	s_waitcnt vmcnt(1)
	v_sub_f32_e32 v25, v63, v25
	s_waitcnt vmcnt(0)
	v_sub_f32_e32 v24, v64, v24
	buffer_store_dword v25, off, s[0:3], 0
	buffer_store_dword v24, off, s[0:3], 0 offset:4
	s_cbranch_vccz .LBB10_100
; %bb.80:
	v_mov_b32_e32 v24, 0
	global_load_dword v25, v24, s[20:21] offset:36
	s_waitcnt vmcnt(0)
	v_add_nc_u32_e32 v25, -1, v25
	v_cmp_ne_u32_e32 vcc_lo, 9, v25
	s_cbranch_vccz .LBB10_82
; %bb.81:
	v_lshlrev_b32_e32 v25, 3, v25
	s_clause 0x1
	buffer_load_dword v26, v25, s[0:3], 0 offen
	buffer_load_dword v27, v25, s[0:3], 0 offen offset:4
	s_waitcnt vmcnt(1)
	buffer_store_dword v26, off, s[0:3], 0 offset:72
	s_waitcnt vmcnt(0)
	buffer_store_dword v27, off, s[0:3], 0 offset:76
	buffer_store_dword v23, v25, s[0:3], 0 offen
	buffer_store_dword v0, v25, s[0:3], 0 offen offset:4
.LBB10_82:
	global_load_dword v0, v24, s[20:21] offset:32
	s_waitcnt vmcnt(0)
	v_add_nc_u32_e32 v0, -1, v0
	v_cmp_eq_u32_e32 vcc_lo, 8, v0
	s_cbranch_vccnz .LBB10_84
; %bb.83:
	v_lshlrev_b32_e32 v0, 3, v0
	s_clause 0x3
	buffer_load_dword v23, v0, s[0:3], 0 offen
	buffer_load_dword v24, v0, s[0:3], 0 offen offset:4
	buffer_load_dword v25, off, s[0:3], 0 offset:68
	buffer_load_dword v26, off, s[0:3], 0 offset:64
	s_waitcnt vmcnt(3)
	buffer_store_dword v23, off, s[0:3], 0 offset:64
	s_waitcnt vmcnt(2)
	buffer_store_dword v24, off, s[0:3], 0 offset:68
	s_waitcnt vmcnt(1)
	buffer_store_dword v25, v0, s[0:3], 0 offen offset:4
	s_waitcnt vmcnt(0)
	buffer_store_dword v26, v0, s[0:3], 0 offen
.LBB10_84:
	v_mov_b32_e32 v0, 0
	global_load_dword v23, v0, s[20:21] offset:28
	s_waitcnt vmcnt(0)
	v_add_nc_u32_e32 v23, -1, v23
	v_cmp_eq_u32_e32 vcc_lo, 7, v23
	s_cbranch_vccnz .LBB10_86
; %bb.85:
	v_lshlrev_b32_e32 v23, 3, v23
	s_clause 0x3
	buffer_load_dword v24, v23, s[0:3], 0 offen
	buffer_load_dword v25, v23, s[0:3], 0 offen offset:4
	buffer_load_dword v26, off, s[0:3], 0 offset:56
	buffer_load_dword v27, off, s[0:3], 0 offset:60
	s_waitcnt vmcnt(3)
	buffer_store_dword v24, off, s[0:3], 0 offset:56
	s_waitcnt vmcnt(2)
	buffer_store_dword v25, off, s[0:3], 0 offset:60
	s_waitcnt vmcnt(1)
	buffer_store_dword v26, v23, s[0:3], 0 offen
	s_waitcnt vmcnt(0)
	buffer_store_dword v27, v23, s[0:3], 0 offen offset:4
.LBB10_86:
	global_load_dword v0, v0, s[20:21] offset:24
	s_waitcnt vmcnt(0)
	v_add_nc_u32_e32 v0, -1, v0
	v_cmp_eq_u32_e32 vcc_lo, 6, v0
	s_cbranch_vccnz .LBB10_88
; %bb.87:
	v_lshlrev_b32_e32 v0, 3, v0
	s_clause 0x3
	buffer_load_dword v23, v0, s[0:3], 0 offen
	buffer_load_dword v24, v0, s[0:3], 0 offen offset:4
	buffer_load_dword v25, off, s[0:3], 0 offset:52
	buffer_load_dword v26, off, s[0:3], 0 offset:48
	s_waitcnt vmcnt(3)
	buffer_store_dword v23, off, s[0:3], 0 offset:48
	s_waitcnt vmcnt(2)
	buffer_store_dword v24, off, s[0:3], 0 offset:52
	s_waitcnt vmcnt(1)
	buffer_store_dword v25, v0, s[0:3], 0 offen offset:4
	s_waitcnt vmcnt(0)
	buffer_store_dword v26, v0, s[0:3], 0 offen
.LBB10_88:
	v_mov_b32_e32 v0, 0
	global_load_dword v23, v0, s[20:21] offset:20
	s_waitcnt vmcnt(0)
	v_add_nc_u32_e32 v23, -1, v23
	v_cmp_eq_u32_e32 vcc_lo, 5, v23
	s_cbranch_vccnz .LBB10_90
; %bb.89:
	v_lshlrev_b32_e32 v23, 3, v23
	s_clause 0x3
	buffer_load_dword v24, v23, s[0:3], 0 offen
	buffer_load_dword v25, v23, s[0:3], 0 offen offset:4
	buffer_load_dword v26, off, s[0:3], 0 offset:40
	buffer_load_dword v27, off, s[0:3], 0 offset:44
	s_waitcnt vmcnt(3)
	buffer_store_dword v24, off, s[0:3], 0 offset:40
	s_waitcnt vmcnt(2)
	buffer_store_dword v25, off, s[0:3], 0 offset:44
	s_waitcnt vmcnt(1)
	buffer_store_dword v26, v23, s[0:3], 0 offen
	s_waitcnt vmcnt(0)
	buffer_store_dword v27, v23, s[0:3], 0 offen offset:4
.LBB10_90:
	;; [unrolled: 43-line block ×4, first 2 shown]
	global_load_dword v0, v0, s[20:21]
	s_waitcnt vmcnt(0)
	v_add_nc_u32_e32 v0, -1, v0
	v_cmp_eq_u32_e32 vcc_lo, 0, v0
	s_cbranch_vccnz .LBB10_100
; %bb.99:
	v_lshlrev_b32_e32 v0, 3, v0
	s_clause 0x3
	buffer_load_dword v23, v0, s[0:3], 0 offen
	buffer_load_dword v24, v0, s[0:3], 0 offen offset:4
	buffer_load_dword v25, off, s[0:3], 0 offset:4
	buffer_load_dword v26, off, s[0:3], 0
	s_waitcnt vmcnt(3)
	buffer_store_dword v23, off, s[0:3], 0
	s_waitcnt vmcnt(2)
	buffer_store_dword v24, off, s[0:3], 0 offset:4
	s_waitcnt vmcnt(1)
	buffer_store_dword v25, v0, s[0:3], 0 offen offset:4
	s_waitcnt vmcnt(0)
	buffer_store_dword v26, v0, s[0:3], 0 offen
.LBB10_100:
	s_clause 0x15
	buffer_load_dword v23, off, s[0:3], 0
	buffer_load_dword v24, off, s[0:3], 0 offset:4
	buffer_load_dword v25, off, s[0:3], 0 offset:8
	;; [unrolled: 1-line block ×21, first 2 shown]
	s_waitcnt vmcnt(20)
	global_store_dwordx2 v[1:2], v[23:24], off
	s_waitcnt vmcnt(18)
	global_store_dwordx2 v[3:4], v[25:26], off
	;; [unrolled: 2-line block ×9, first 2 shown]
	global_store_dwordx2 v[21:22], v[41:42], off
	global_store_dwordx2 v[19:20], v[43:44], off
	s_endpgm
	.section	.rodata,"a",@progbits
	.p2align	6, 0x0
	.amdhsa_kernel _ZN9rocsolver6v33100L18getri_kernel_smallILi11E19rocblas_complex_numIfEPS3_EEvT1_iilPiilS6_bb
		.amdhsa_group_segment_fixed_size 184
		.amdhsa_private_segment_fixed_size 96
		.amdhsa_kernarg_size 60
		.amdhsa_user_sgpr_count 6
		.amdhsa_user_sgpr_private_segment_buffer 1
		.amdhsa_user_sgpr_dispatch_ptr 0
		.amdhsa_user_sgpr_queue_ptr 0
		.amdhsa_user_sgpr_kernarg_segment_ptr 1
		.amdhsa_user_sgpr_dispatch_id 0
		.amdhsa_user_sgpr_flat_scratch_init 0
		.amdhsa_user_sgpr_private_segment_size 0
		.amdhsa_wavefront_size32 1
		.amdhsa_uses_dynamic_stack 0
		.amdhsa_system_sgpr_private_segment_wavefront_offset 1
		.amdhsa_system_sgpr_workgroup_id_x 1
		.amdhsa_system_sgpr_workgroup_id_y 0
		.amdhsa_system_sgpr_workgroup_id_z 0
		.amdhsa_system_sgpr_workgroup_info 0
		.amdhsa_system_vgpr_workitem_id 0
		.amdhsa_next_free_vgpr 74
		.amdhsa_next_free_sgpr 23
		.amdhsa_reserve_vcc 1
		.amdhsa_reserve_flat_scratch 0
		.amdhsa_float_round_mode_32 0
		.amdhsa_float_round_mode_16_64 0
		.amdhsa_float_denorm_mode_32 3
		.amdhsa_float_denorm_mode_16_64 3
		.amdhsa_dx10_clamp 1
		.amdhsa_ieee_mode 1
		.amdhsa_fp16_overflow 0
		.amdhsa_workgroup_processor_mode 1
		.amdhsa_memory_ordered 1
		.amdhsa_forward_progress 1
		.amdhsa_shared_vgpr_count 0
		.amdhsa_exception_fp_ieee_invalid_op 0
		.amdhsa_exception_fp_denorm_src 0
		.amdhsa_exception_fp_ieee_div_zero 0
		.amdhsa_exception_fp_ieee_overflow 0
		.amdhsa_exception_fp_ieee_underflow 0
		.amdhsa_exception_fp_ieee_inexact 0
		.amdhsa_exception_int_div_zero 0
	.end_amdhsa_kernel
	.section	.text._ZN9rocsolver6v33100L18getri_kernel_smallILi11E19rocblas_complex_numIfEPS3_EEvT1_iilPiilS6_bb,"axG",@progbits,_ZN9rocsolver6v33100L18getri_kernel_smallILi11E19rocblas_complex_numIfEPS3_EEvT1_iilPiilS6_bb,comdat
.Lfunc_end10:
	.size	_ZN9rocsolver6v33100L18getri_kernel_smallILi11E19rocblas_complex_numIfEPS3_EEvT1_iilPiilS6_bb, .Lfunc_end10-_ZN9rocsolver6v33100L18getri_kernel_smallILi11E19rocblas_complex_numIfEPS3_EEvT1_iilPiilS6_bb
                                        ; -- End function
	.set _ZN9rocsolver6v33100L18getri_kernel_smallILi11E19rocblas_complex_numIfEPS3_EEvT1_iilPiilS6_bb.num_vgpr, 74
	.set _ZN9rocsolver6v33100L18getri_kernel_smallILi11E19rocblas_complex_numIfEPS3_EEvT1_iilPiilS6_bb.num_agpr, 0
	.set _ZN9rocsolver6v33100L18getri_kernel_smallILi11E19rocblas_complex_numIfEPS3_EEvT1_iilPiilS6_bb.numbered_sgpr, 23
	.set _ZN9rocsolver6v33100L18getri_kernel_smallILi11E19rocblas_complex_numIfEPS3_EEvT1_iilPiilS6_bb.num_named_barrier, 0
	.set _ZN9rocsolver6v33100L18getri_kernel_smallILi11E19rocblas_complex_numIfEPS3_EEvT1_iilPiilS6_bb.private_seg_size, 96
	.set _ZN9rocsolver6v33100L18getri_kernel_smallILi11E19rocblas_complex_numIfEPS3_EEvT1_iilPiilS6_bb.uses_vcc, 1
	.set _ZN9rocsolver6v33100L18getri_kernel_smallILi11E19rocblas_complex_numIfEPS3_EEvT1_iilPiilS6_bb.uses_flat_scratch, 0
	.set _ZN9rocsolver6v33100L18getri_kernel_smallILi11E19rocblas_complex_numIfEPS3_EEvT1_iilPiilS6_bb.has_dyn_sized_stack, 0
	.set _ZN9rocsolver6v33100L18getri_kernel_smallILi11E19rocblas_complex_numIfEPS3_EEvT1_iilPiilS6_bb.has_recursion, 0
	.set _ZN9rocsolver6v33100L18getri_kernel_smallILi11E19rocblas_complex_numIfEPS3_EEvT1_iilPiilS6_bb.has_indirect_call, 0
	.section	.AMDGPU.csdata,"",@progbits
; Kernel info:
; codeLenInByte = 10100
; TotalNumSgprs: 25
; NumVgprs: 74
; ScratchSize: 96
; MemoryBound: 0
; FloatMode: 240
; IeeeMode: 1
; LDSByteSize: 184 bytes/workgroup (compile time only)
; SGPRBlocks: 0
; VGPRBlocks: 9
; NumSGPRsForWavesPerEU: 25
; NumVGPRsForWavesPerEU: 74
; Occupancy: 12
; WaveLimiterHint : 1
; COMPUTE_PGM_RSRC2:SCRATCH_EN: 1
; COMPUTE_PGM_RSRC2:USER_SGPR: 6
; COMPUTE_PGM_RSRC2:TRAP_HANDLER: 0
; COMPUTE_PGM_RSRC2:TGID_X_EN: 1
; COMPUTE_PGM_RSRC2:TGID_Y_EN: 0
; COMPUTE_PGM_RSRC2:TGID_Z_EN: 0
; COMPUTE_PGM_RSRC2:TIDIG_COMP_CNT: 0
	.section	.text._ZN9rocsolver6v33100L18getri_kernel_smallILi12E19rocblas_complex_numIfEPS3_EEvT1_iilPiilS6_bb,"axG",@progbits,_ZN9rocsolver6v33100L18getri_kernel_smallILi12E19rocblas_complex_numIfEPS3_EEvT1_iilPiilS6_bb,comdat
	.globl	_ZN9rocsolver6v33100L18getri_kernel_smallILi12E19rocblas_complex_numIfEPS3_EEvT1_iilPiilS6_bb ; -- Begin function _ZN9rocsolver6v33100L18getri_kernel_smallILi12E19rocblas_complex_numIfEPS3_EEvT1_iilPiilS6_bb
	.p2align	8
	.type	_ZN9rocsolver6v33100L18getri_kernel_smallILi12E19rocblas_complex_numIfEPS3_EEvT1_iilPiilS6_bb,@function
_ZN9rocsolver6v33100L18getri_kernel_smallILi12E19rocblas_complex_numIfEPS3_EEvT1_iilPiilS6_bb: ; @_ZN9rocsolver6v33100L18getri_kernel_smallILi12E19rocblas_complex_numIfEPS3_EEvT1_iilPiilS6_bb
; %bb.0:
	s_add_u32 s0, s0, s7
	s_addc_u32 s1, s1, 0
	s_mov_b32 s7, exec_lo
	v_cmpx_gt_u32_e32 12, v0
	s_cbranch_execz .LBB11_62
; %bb.1:
	s_clause 0x2
	s_load_dword s7, s[4:5], 0x38
	s_load_dwordx4 s[16:19], s[4:5], 0x10
	s_load_dwordx4 s[8:11], s[4:5], 0x28
                                        ; implicit-def: $sgpr20_sgpr21
	s_waitcnt lgkmcnt(0)
	s_bitcmp1_b32 s7, 8
	s_cselect_b32 s22, -1, 0
	s_bfe_u32 s12, s7, 0x10008
	s_ashr_i32 s7, s6, 31
	s_cmp_eq_u32 s12, 0
	s_cbranch_scc1 .LBB11_3
; %bb.2:
	s_load_dword s12, s[4:5], 0x20
	s_mul_i32 s13, s8, s7
	s_mul_hi_u32 s14, s8, s6
	s_mul_i32 s9, s9, s6
	s_add_i32 s13, s14, s13
	s_mul_i32 s8, s8, s6
	s_add_i32 s9, s13, s9
	s_lshl_b64 s[8:9], s[8:9], 2
	s_waitcnt lgkmcnt(0)
	s_ashr_i32 s13, s12, 31
	s_add_u32 s14, s18, s8
	s_addc_u32 s15, s19, s9
	s_lshl_b64 s[8:9], s[12:13], 2
	s_add_u32 s20, s14, s8
	s_addc_u32 s21, s15, s9
.LBB11_3:
	s_clause 0x1
	s_load_dwordx4 s[12:15], s[4:5], 0x0
	s_load_dword s8, s[4:5], 0x38
	s_mul_i32 s4, s16, s7
	s_mul_hi_u32 s5, s16, s6
	s_mul_i32 s9, s17, s6
	s_add_i32 s5, s5, s4
	s_mul_i32 s4, s16, s6
	s_add_i32 s5, s5, s9
	v_lshlrev_b32_e32 v27, 3, v0
	s_lshl_b64 s[4:5], s[4:5], 3
	s_waitcnt lgkmcnt(0)
	v_add3_u32 v3, s15, s15, v0
	s_ashr_i32 s17, s14, 31
	s_mov_b32 s16, s14
	s_add_u32 s9, s12, s4
	s_addc_u32 s13, s13, s5
	v_add_nc_u32_e32 v5, s15, v3
	s_lshl_b64 s[4:5], s[16:17], 3
	v_ashrrev_i32_e32 v4, 31, v3
	s_add_u32 s4, s9, s4
	s_addc_u32 s5, s13, s5
	v_add_nc_u32_e32 v9, s15, v5
	v_ashrrev_i32_e32 v6, 31, v5
	v_add_co_u32 v1, s9, s4, v27
	s_mov_b32 s12, s15
	s_ashr_i32 s13, s15, 31
	v_lshlrev_b64 v[7:8], 3, v[3:4]
	v_ashrrev_i32_e32 v10, 31, v9
	v_add_co_ci_u32_e64 v2, null, s5, 0, s9
	s_lshl_b64 s[12:13], s[12:13], 3
	v_lshlrev_b64 v[11:12], 3, v[5:6]
	v_add_nc_u32_e32 v15, s15, v9
	v_add_co_u32 v3, vcc_lo, v1, s12
	v_lshlrev_b64 v[13:14], 3, v[9:10]
	v_add_co_ci_u32_e64 v4, null, s13, v2, vcc_lo
	v_add_co_u32 v5, vcc_lo, s4, v7
	v_add_co_ci_u32_e64 v6, null, s5, v8, vcc_lo
	v_add_co_u32 v7, vcc_lo, s4, v11
	v_ashrrev_i32_e32 v16, 31, v15
	v_add_nc_u32_e32 v11, s15, v15
	v_add_co_ci_u32_e64 v8, null, s5, v12, vcc_lo
	v_add_co_u32 v9, vcc_lo, s4, v13
	v_add_co_ci_u32_e64 v10, null, s5, v14, vcc_lo
	v_lshlrev_b64 v[13:14], 3, v[15:16]
	v_add_nc_u32_e32 v15, s15, v11
	v_ashrrev_i32_e32 v12, 31, v11
	s_clause 0x4
	global_load_dwordx2 v[25:26], v27, s[4:5]
	global_load_dwordx2 v[28:29], v[3:4], off
	global_load_dwordx2 v[30:31], v[5:6], off
	global_load_dwordx2 v[32:33], v[7:8], off
	global_load_dwordx2 v[34:35], v[9:10], off
	s_bitcmp0_b32 s8, 0
	v_add_nc_u32_e32 v19, s15, v15
	v_lshlrev_b64 v[17:18], 3, v[11:12]
	v_add_co_u32 v11, vcc_lo, s4, v13
	v_add_co_ci_u32_e64 v12, null, s5, v14, vcc_lo
	v_ashrrev_i32_e32 v20, 31, v19
	v_add_co_u32 v13, vcc_lo, s4, v17
	v_add_co_ci_u32_e64 v14, null, s5, v18, vcc_lo
	v_lshlrev_b64 v[17:18], 3, v[19:20]
	v_add_nc_u32_e32 v19, s15, v19
	v_ashrrev_i32_e32 v16, 31, v15
	v_add_nc_u32_e32 v21, s15, v19
	v_ashrrev_i32_e32 v20, 31, v19
	v_lshlrev_b64 v[15:16], 3, v[15:16]
	v_add_nc_u32_e32 v23, s15, v21
	v_ashrrev_i32_e32 v22, 31, v21
	v_lshlrev_b64 v[19:20], 3, v[19:20]
	v_add_co_u32 v15, vcc_lo, s4, v15
	v_ashrrev_i32_e32 v24, 31, v23
	v_lshlrev_b64 v[21:22], 3, v[21:22]
	v_add_co_ci_u32_e64 v16, null, s5, v16, vcc_lo
	v_add_co_u32 v17, vcc_lo, s4, v17
	v_lshlrev_b64 v[44:45], 3, v[23:24]
	v_add_co_ci_u32_e64 v18, null, s5, v18, vcc_lo
	v_add_co_u32 v19, vcc_lo, s4, v19
	v_add_co_ci_u32_e64 v20, null, s5, v20, vcc_lo
	v_add_co_u32 v23, vcc_lo, s4, v21
	;; [unrolled: 2-line block ×3, first 2 shown]
	v_add_co_ci_u32_e64 v22, null, s5, v45, vcc_lo
	s_clause 0x6
	global_load_dwordx2 v[36:37], v[11:12], off
	global_load_dwordx2 v[38:39], v[13:14], off
	;; [unrolled: 1-line block ×7, first 2 shown]
	s_mov_b32 s5, -1
	s_waitcnt vmcnt(11)
	buffer_store_dword v26, off, s[0:3], 0 offset:4
	buffer_store_dword v25, off, s[0:3], 0
	s_waitcnt vmcnt(10)
	buffer_store_dword v29, off, s[0:3], 0 offset:12
	buffer_store_dword v28, off, s[0:3], 0 offset:8
	s_waitcnt vmcnt(9)
	buffer_store_dword v31, off, s[0:3], 0 offset:20
	buffer_store_dword v30, off, s[0:3], 0 offset:16
	s_waitcnt vmcnt(8)
	buffer_store_dword v33, off, s[0:3], 0 offset:28
	buffer_store_dword v32, off, s[0:3], 0 offset:24
	s_waitcnt vmcnt(7)
	buffer_store_dword v35, off, s[0:3], 0 offset:36
	buffer_store_dword v34, off, s[0:3], 0 offset:32
	s_waitcnt vmcnt(6)
	buffer_store_dword v37, off, s[0:3], 0 offset:44
	buffer_store_dword v36, off, s[0:3], 0 offset:40
	s_waitcnt vmcnt(5)
	buffer_store_dword v39, off, s[0:3], 0 offset:52
	buffer_store_dword v38, off, s[0:3], 0 offset:48
	s_waitcnt vmcnt(4)
	buffer_store_dword v41, off, s[0:3], 0 offset:60
	buffer_store_dword v40, off, s[0:3], 0 offset:56
	s_waitcnt vmcnt(3)
	buffer_store_dword v43, off, s[0:3], 0 offset:68
	buffer_store_dword v42, off, s[0:3], 0 offset:64
	s_waitcnt vmcnt(2)
	buffer_store_dword v44, off, s[0:3], 0 offset:72
	buffer_store_dword v45, off, s[0:3], 0 offset:76
	s_waitcnt vmcnt(1)
	buffer_store_dword v46, off, s[0:3], 0 offset:80
	buffer_store_dword v47, off, s[0:3], 0 offset:84
	s_waitcnt vmcnt(0)
	buffer_store_dword v48, off, s[0:3], 0 offset:88
	buffer_store_dword v49, off, s[0:3], 0 offset:92
	s_cbranch_scc1 .LBB11_60
; %bb.4:
	v_cmp_eq_u32_e64 s4, 0, v0
	s_and_saveexec_b32 s5, s4
; %bb.5:
	v_mov_b32_e32 v25, 0
	ds_write_b32 v25, v25 offset:192
; %bb.6:
	s_or_b32 exec_lo, exec_lo, s5
	v_lshl_add_u32 v29, v0, 3, 0
	s_waitcnt lgkmcnt(0)
	s_waitcnt_vscnt null, 0x0
	s_barrier
	buffer_gl0_inv
	s_clause 0x1
	buffer_load_dword v25, v29, s[0:3], 0 offen
	buffer_load_dword v26, v29, s[0:3], 0 offen offset:4
	s_waitcnt vmcnt(1)
	v_cmp_eq_f32_e32 vcc_lo, 0, v25
	s_waitcnt vmcnt(0)
	v_cmp_eq_f32_e64 s5, 0, v26
	s_and_b32 s5, vcc_lo, s5
	s_and_saveexec_b32 s8, s5
	s_cbranch_execz .LBB11_10
; %bb.7:
	v_mov_b32_e32 v25, 0
	s_mov_b32 s9, 0
	ds_read_b32 v26, v25 offset:192
	s_waitcnt lgkmcnt(0)
	v_readfirstlane_b32 s5, v26
	v_add_nc_u32_e32 v26, 1, v0
	s_cmp_eq_u32 s5, 0
	v_cmp_gt_i32_e32 vcc_lo, s5, v26
	s_cselect_b32 s12, -1, 0
	s_or_b32 s12, s12, vcc_lo
	s_and_b32 exec_lo, exec_lo, s12
	s_cbranch_execz .LBB11_10
; %bb.8:
	v_mov_b32_e32 v28, s5
.LBB11_9:                               ; =>This Inner Loop Header: Depth=1
	ds_cmpst_rtn_b32 v28, v25, v28, v26 offset:192
	s_waitcnt lgkmcnt(0)
	v_cmp_ne_u32_e32 vcc_lo, 0, v28
	v_cmp_le_i32_e64 s5, v28, v26
	s_and_b32 s5, vcc_lo, s5
	s_and_b32 s5, exec_lo, s5
	s_or_b32 s9, s5, s9
	s_andn2_b32 exec_lo, exec_lo, s9
	s_cbranch_execnz .LBB11_9
.LBB11_10:
	s_or_b32 exec_lo, exec_lo, s8
	v_mov_b32_e32 v25, 0
	s_barrier
	buffer_gl0_inv
	ds_read_b32 v26, v25 offset:192
	s_and_saveexec_b32 s5, s4
	s_cbranch_execz .LBB11_12
; %bb.11:
	s_lshl_b64 s[8:9], s[6:7], 2
	s_add_u32 s8, s10, s8
	s_addc_u32 s9, s11, s9
	s_waitcnt lgkmcnt(0)
	global_store_dword v25, v26, s[8:9]
.LBB11_12:
	s_or_b32 exec_lo, exec_lo, s5
	s_waitcnt lgkmcnt(0)
	v_cmp_ne_u32_e32 vcc_lo, 0, v26
	s_mov_b32 s5, 0
	s_cbranch_vccnz .LBB11_60
; %bb.13:
	s_clause 0x1
	buffer_load_dword v26, v29, s[0:3], 0 offen
	buffer_load_dword v28, v29, s[0:3], 0 offen offset:4
                                        ; implicit-def: $vgpr31
                                        ; implicit-def: $vgpr30
                                        ; implicit-def: $vgpr25
	s_waitcnt vmcnt(0)
	v_cmp_ngt_f32_e64 s5, |v26|, |v28|
	s_and_saveexec_b32 s8, s5
	s_xor_b32 s5, exec_lo, s8
	s_cbranch_execz .LBB11_15
; %bb.14:
	v_div_scale_f32 v25, null, v28, v28, v26
	v_div_scale_f32 v32, vcc_lo, v26, v28, v26
	v_rcp_f32_e32 v30, v25
	v_fma_f32 v31, -v25, v30, 1.0
	v_fmac_f32_e32 v30, v31, v30
	v_mul_f32_e32 v31, v32, v30
	v_fma_f32 v33, -v25, v31, v32
	v_fmac_f32_e32 v31, v33, v30
	v_fma_f32 v25, -v25, v31, v32
	v_div_fmas_f32 v25, v25, v30, v31
	v_div_fixup_f32 v25, v25, v28, v26
	v_fmac_f32_e32 v28, v26, v25
	v_div_scale_f32 v26, null, v28, v28, 1.0
	v_rcp_f32_e32 v30, v26
	v_fma_f32 v31, -v26, v30, 1.0
	v_fmac_f32_e32 v30, v31, v30
	v_div_scale_f32 v31, vcc_lo, 1.0, v28, 1.0
	v_mul_f32_e32 v32, v31, v30
	v_fma_f32 v33, -v26, v32, v31
	v_fmac_f32_e32 v32, v33, v30
	v_fma_f32 v26, -v26, v32, v31
	v_div_fmas_f32 v26, v26, v30, v32
	v_div_fixup_f32 v26, v26, v28, 1.0
                                        ; implicit-def: $vgpr28
	v_mul_f32_e32 v31, v25, v26
	v_xor_b32_e32 v30, 0x80000000, v26
                                        ; implicit-def: $vgpr26
	v_xor_b32_e32 v25, 0x80000000, v31
.LBB11_15:
	s_andn2_saveexec_b32 s5, s5
	s_cbranch_execz .LBB11_17
; %bb.16:
	v_div_scale_f32 v25, null, v26, v26, v28
	v_div_scale_f32 v32, vcc_lo, v28, v26, v28
	v_rcp_f32_e32 v30, v25
	v_fma_f32 v31, -v25, v30, 1.0
	v_fmac_f32_e32 v30, v31, v30
	v_mul_f32_e32 v31, v32, v30
	v_fma_f32 v33, -v25, v31, v32
	v_fmac_f32_e32 v31, v33, v30
	v_fma_f32 v25, -v25, v31, v32
	v_div_fmas_f32 v25, v25, v30, v31
	v_div_fixup_f32 v30, v25, v26, v28
	v_fmac_f32_e32 v26, v28, v30
	v_div_scale_f32 v25, null, v26, v26, 1.0
	v_div_scale_f32 v32, vcc_lo, 1.0, v26, 1.0
	v_rcp_f32_e32 v28, v25
	v_fma_f32 v31, -v25, v28, 1.0
	v_fmac_f32_e32 v28, v31, v28
	v_mul_f32_e32 v31, v32, v28
	v_fma_f32 v33, -v25, v31, v32
	v_fmac_f32_e32 v31, v33, v28
	v_fma_f32 v25, -v25, v31, v32
	v_div_fmas_f32 v25, v25, v28, v31
	v_div_fixup_f32 v31, v25, v26, 1.0
	v_xor_b32_e32 v25, 0x80000000, v31
	v_mul_f32_e64 v30, v30, -v31
.LBB11_17:
	s_or_b32 exec_lo, exec_lo, s5
	buffer_store_dword v31, v29, s[0:3], 0 offen
	buffer_store_dword v30, v29, s[0:3], 0 offen offset:4
	s_clause 0x1
	buffer_load_dword v32, off, s[0:3], 0 offset:12
	buffer_load_dword v31, off, s[0:3], 0 offset:8
	v_xor_b32_e32 v26, 0x80000000, v30
	v_add_nc_u32_e32 v28, 0x60, v27
	s_waitcnt vmcnt(0)
	ds_write2_b64 v27, v[25:26], v[31:32] offset1:12
	s_waitcnt lgkmcnt(0)
	s_waitcnt_vscnt null, 0x0
	s_barrier
	buffer_gl0_inv
	s_and_saveexec_b32 s5, s4
	s_cbranch_execz .LBB11_19
; %bb.18:
	s_clause 0x1
	buffer_load_dword v32, v29, s[0:3], 0 offen offset:4
	buffer_load_dword v33, v29, s[0:3], 0 offen
	ds_read_b64 v[25:26], v28
	v_mov_b32_e32 v30, 0
	ds_read_b64 v[30:31], v30 offset:8
	s_waitcnt vmcnt(1) lgkmcnt(1)
	v_mul_f32_e32 v34, v25, v32
	v_mul_f32_e32 v32, v26, v32
	s_waitcnt vmcnt(0)
	v_fmac_f32_e32 v34, v26, v33
	v_fma_f32 v25, v25, v33, -v32
	v_add_f32_e32 v26, 0, v34
	v_add_f32_e32 v25, 0, v25
	s_waitcnt lgkmcnt(0)
	v_mul_f32_e32 v32, v26, v31
	v_mul_f32_e32 v31, v25, v31
	v_fma_f32 v25, v25, v30, -v32
	v_fmac_f32_e32 v31, v26, v30
	buffer_store_dword v25, off, s[0:3], 0 offset:8
	buffer_store_dword v31, off, s[0:3], 0 offset:12
.LBB11_19:
	s_or_b32 exec_lo, exec_lo, s5
	s_waitcnt_vscnt null, 0x0
	s_barrier
	buffer_gl0_inv
	s_clause 0x1
	buffer_load_dword v25, off, s[0:3], 0 offset:16
	buffer_load_dword v26, off, s[0:3], 0 offset:20
	s_mov_b32 s5, exec_lo
	s_waitcnt vmcnt(0)
	ds_write_b64 v28, v[25:26]
	s_waitcnt lgkmcnt(0)
	s_barrier
	buffer_gl0_inv
	v_cmpx_gt_u32_e32 2, v0
	s_cbranch_execz .LBB11_23
; %bb.20:
	s_clause 0x1
	buffer_load_dword v30, v29, s[0:3], 0 offen offset:4
	buffer_load_dword v29, v29, s[0:3], 0 offen
	ds_read_b64 v[25:26], v28
	s_waitcnt vmcnt(1) lgkmcnt(0)
	v_mul_f32_e32 v31, v26, v30
	v_mul_f32_e32 v30, v25, v30
	s_waitcnt vmcnt(0)
	v_fma_f32 v25, v25, v29, -v31
	v_fmac_f32_e32 v30, v26, v29
	v_add_f32_e32 v26, 0, v25
	v_add_f32_e32 v25, 0, v30
	s_and_saveexec_b32 s8, s4
	s_cbranch_execz .LBB11_22
; %bb.21:
	s_clause 0x1
	buffer_load_dword v31, off, s[0:3], 0 offset:12
	buffer_load_dword v32, off, s[0:3], 0 offset:8
	v_mov_b32_e32 v29, 0
	ds_read_b64 v[29:30], v29 offset:104
	s_waitcnt vmcnt(1) lgkmcnt(0)
	v_mul_f32_e32 v33, v29, v31
	v_mul_f32_e32 v31, v30, v31
	s_waitcnt vmcnt(0)
	v_fmac_f32_e32 v33, v30, v32
	v_fma_f32 v29, v29, v32, -v31
	v_add_f32_e32 v25, v25, v33
	v_add_f32_e32 v26, v26, v29
.LBB11_22:
	s_or_b32 exec_lo, exec_lo, s8
	v_mov_b32_e32 v29, 0
	ds_read_b64 v[29:30], v29 offset:16
	s_waitcnt lgkmcnt(0)
	v_mul_f32_e32 v31, v25, v30
	v_mul_f32_e32 v30, v26, v30
	v_fma_f32 v26, v26, v29, -v31
	v_fmac_f32_e32 v30, v25, v29
	buffer_store_dword v26, off, s[0:3], 0 offset:16
	buffer_store_dword v30, off, s[0:3], 0 offset:20
.LBB11_23:
	s_or_b32 exec_lo, exec_lo, s5
	s_waitcnt_vscnt null, 0x0
	s_barrier
	buffer_gl0_inv
	s_clause 0x1
	buffer_load_dword v29, off, s[0:3], 0 offset:24
	buffer_load_dword v30, off, s[0:3], 0 offset:28
	v_add_nc_u32_e32 v25, -1, v0
	s_mov_b32 s4, exec_lo
	s_waitcnt vmcnt(0)
	ds_write_b64 v28, v[29:30]
	s_waitcnt lgkmcnt(0)
	s_barrier
	buffer_gl0_inv
	v_cmpx_gt_u32_e32 3, v0
	s_cbranch_execz .LBB11_27
; %bb.24:
	v_add_nc_u32_e32 v29, -1, v0
	v_add_nc_u32_e32 v30, 0x60, v27
	v_mov_b32_e32 v31, v27
	v_mov_b32_e32 v26, 0
	;; [unrolled: 1-line block ×3, first 2 shown]
	s_mov_b32 s5, 0
	.p2align	6
.LBB11_25:                              ; =>This Inner Loop Header: Depth=1
	s_clause 0x1
	buffer_load_dword v35, v31, s[0:3], 0 offen offset:4
	buffer_load_dword v36, v31, s[0:3], 0 offen
	ds_read_b64 v[33:34], v30
	v_add_nc_u32_e32 v29, 1, v29
	v_add_nc_u32_e32 v30, 8, v30
	;; [unrolled: 1-line block ×3, first 2 shown]
	v_cmp_lt_u32_e32 vcc_lo, 1, v29
	s_or_b32 s5, vcc_lo, s5
	s_waitcnt vmcnt(1) lgkmcnt(0)
	v_mul_f32_e32 v37, v34, v35
	v_mul_f32_e32 v35, v33, v35
	s_waitcnt vmcnt(0)
	v_fma_f32 v33, v33, v36, -v37
	v_fmac_f32_e32 v35, v34, v36
	v_add_f32_e32 v32, v32, v33
	v_add_f32_e32 v26, v26, v35
	s_andn2_b32 exec_lo, exec_lo, s5
	s_cbranch_execnz .LBB11_25
; %bb.26:
	s_or_b32 exec_lo, exec_lo, s5
	v_mov_b32_e32 v29, 0
	ds_read_b64 v[29:30], v29 offset:24
	s_waitcnt lgkmcnt(0)
	v_mul_f32_e32 v31, v26, v30
	v_mul_f32_e32 v30, v32, v30
	v_fma_f32 v31, v32, v29, -v31
	v_fmac_f32_e32 v30, v26, v29
	buffer_store_dword v31, off, s[0:3], 0 offset:24
	buffer_store_dword v30, off, s[0:3], 0 offset:28
.LBB11_27:
	s_or_b32 exec_lo, exec_lo, s4
	s_waitcnt_vscnt null, 0x0
	s_barrier
	buffer_gl0_inv
	s_clause 0x1
	buffer_load_dword v29, off, s[0:3], 0 offset:32
	buffer_load_dword v30, off, s[0:3], 0 offset:36
	s_mov_b32 s4, exec_lo
	s_waitcnt vmcnt(0)
	ds_write_b64 v28, v[29:30]
	s_waitcnt lgkmcnt(0)
	s_barrier
	buffer_gl0_inv
	v_cmpx_gt_u32_e32 4, v0
	s_cbranch_execz .LBB11_31
; %bb.28:
	v_add_nc_u32_e32 v29, -1, v0
	v_add_nc_u32_e32 v30, 0x60, v27
	v_mov_b32_e32 v31, v27
	v_mov_b32_e32 v26, 0
	;; [unrolled: 1-line block ×3, first 2 shown]
	s_mov_b32 s5, 0
	.p2align	6
.LBB11_29:                              ; =>This Inner Loop Header: Depth=1
	s_clause 0x1
	buffer_load_dword v35, v31, s[0:3], 0 offen offset:4
	buffer_load_dword v36, v31, s[0:3], 0 offen
	ds_read_b64 v[33:34], v30
	v_add_nc_u32_e32 v29, 1, v29
	v_add_nc_u32_e32 v30, 8, v30
	v_add_nc_u32_e32 v31, 8, v31
	v_cmp_lt_u32_e32 vcc_lo, 2, v29
	s_or_b32 s5, vcc_lo, s5
	s_waitcnt vmcnt(1) lgkmcnt(0)
	v_mul_f32_e32 v37, v34, v35
	v_mul_f32_e32 v35, v33, v35
	s_waitcnt vmcnt(0)
	v_fma_f32 v33, v33, v36, -v37
	v_fmac_f32_e32 v35, v34, v36
	v_add_f32_e32 v32, v32, v33
	v_add_f32_e32 v26, v26, v35
	s_andn2_b32 exec_lo, exec_lo, s5
	s_cbranch_execnz .LBB11_29
; %bb.30:
	s_or_b32 exec_lo, exec_lo, s5
	v_mov_b32_e32 v29, 0
	ds_read_b64 v[29:30], v29 offset:32
	s_waitcnt lgkmcnt(0)
	v_mul_f32_e32 v31, v26, v30
	v_mul_f32_e32 v30, v32, v30
	v_fma_f32 v31, v32, v29, -v31
	v_fmac_f32_e32 v30, v26, v29
	buffer_store_dword v31, off, s[0:3], 0 offset:32
	buffer_store_dword v30, off, s[0:3], 0 offset:36
.LBB11_31:
	s_or_b32 exec_lo, exec_lo, s4
	s_waitcnt_vscnt null, 0x0
	s_barrier
	buffer_gl0_inv
	s_clause 0x1
	buffer_load_dword v29, off, s[0:3], 0 offset:40
	buffer_load_dword v30, off, s[0:3], 0 offset:44
	s_mov_b32 s4, exec_lo
	s_waitcnt vmcnt(0)
	ds_write_b64 v28, v[29:30]
	s_waitcnt lgkmcnt(0)
	s_barrier
	buffer_gl0_inv
	v_cmpx_gt_u32_e32 5, v0
	s_cbranch_execz .LBB11_35
; %bb.32:
	v_add_nc_u32_e32 v29, -1, v0
	v_add_nc_u32_e32 v30, 0x60, v27
	v_mov_b32_e32 v31, v27
	v_mov_b32_e32 v26, 0
	;; [unrolled: 1-line block ×3, first 2 shown]
	s_mov_b32 s5, 0
	.p2align	6
.LBB11_33:                              ; =>This Inner Loop Header: Depth=1
	s_clause 0x1
	buffer_load_dword v35, v31, s[0:3], 0 offen offset:4
	buffer_load_dword v36, v31, s[0:3], 0 offen
	ds_read_b64 v[33:34], v30
	v_add_nc_u32_e32 v29, 1, v29
	v_add_nc_u32_e32 v30, 8, v30
	;; [unrolled: 1-line block ×3, first 2 shown]
	v_cmp_lt_u32_e32 vcc_lo, 3, v29
	s_or_b32 s5, vcc_lo, s5
	s_waitcnt vmcnt(1) lgkmcnt(0)
	v_mul_f32_e32 v37, v34, v35
	v_mul_f32_e32 v35, v33, v35
	s_waitcnt vmcnt(0)
	v_fma_f32 v33, v33, v36, -v37
	v_fmac_f32_e32 v35, v34, v36
	v_add_f32_e32 v32, v32, v33
	v_add_f32_e32 v26, v26, v35
	s_andn2_b32 exec_lo, exec_lo, s5
	s_cbranch_execnz .LBB11_33
; %bb.34:
	s_or_b32 exec_lo, exec_lo, s5
	v_mov_b32_e32 v29, 0
	ds_read_b64 v[29:30], v29 offset:40
	s_waitcnt lgkmcnt(0)
	v_mul_f32_e32 v31, v26, v30
	v_mul_f32_e32 v30, v32, v30
	v_fma_f32 v31, v32, v29, -v31
	v_fmac_f32_e32 v30, v26, v29
	buffer_store_dword v31, off, s[0:3], 0 offset:40
	buffer_store_dword v30, off, s[0:3], 0 offset:44
.LBB11_35:
	s_or_b32 exec_lo, exec_lo, s4
	s_waitcnt_vscnt null, 0x0
	s_barrier
	buffer_gl0_inv
	s_clause 0x1
	buffer_load_dword v29, off, s[0:3], 0 offset:48
	buffer_load_dword v30, off, s[0:3], 0 offset:52
	s_mov_b32 s4, exec_lo
	s_waitcnt vmcnt(0)
	ds_write_b64 v28, v[29:30]
	s_waitcnt lgkmcnt(0)
	s_barrier
	buffer_gl0_inv
	v_cmpx_gt_u32_e32 6, v0
	s_cbranch_execz .LBB11_39
; %bb.36:
	v_add_nc_u32_e32 v29, -1, v0
	v_add_nc_u32_e32 v30, 0x60, v27
	v_mov_b32_e32 v31, v27
	v_mov_b32_e32 v26, 0
	;; [unrolled: 1-line block ×3, first 2 shown]
	s_mov_b32 s5, 0
	.p2align	6
.LBB11_37:                              ; =>This Inner Loop Header: Depth=1
	s_clause 0x1
	buffer_load_dword v35, v31, s[0:3], 0 offen offset:4
	buffer_load_dword v36, v31, s[0:3], 0 offen
	ds_read_b64 v[33:34], v30
	v_add_nc_u32_e32 v29, 1, v29
	v_add_nc_u32_e32 v30, 8, v30
	;; [unrolled: 1-line block ×3, first 2 shown]
	v_cmp_lt_u32_e32 vcc_lo, 4, v29
	s_or_b32 s5, vcc_lo, s5
	s_waitcnt vmcnt(1) lgkmcnt(0)
	v_mul_f32_e32 v37, v34, v35
	v_mul_f32_e32 v35, v33, v35
	s_waitcnt vmcnt(0)
	v_fma_f32 v33, v33, v36, -v37
	v_fmac_f32_e32 v35, v34, v36
	v_add_f32_e32 v32, v32, v33
	v_add_f32_e32 v26, v26, v35
	s_andn2_b32 exec_lo, exec_lo, s5
	s_cbranch_execnz .LBB11_37
; %bb.38:
	s_or_b32 exec_lo, exec_lo, s5
	v_mov_b32_e32 v29, 0
	ds_read_b64 v[29:30], v29 offset:48
	s_waitcnt lgkmcnt(0)
	v_mul_f32_e32 v31, v26, v30
	v_mul_f32_e32 v30, v32, v30
	v_fma_f32 v31, v32, v29, -v31
	v_fmac_f32_e32 v30, v26, v29
	buffer_store_dword v31, off, s[0:3], 0 offset:48
	buffer_store_dword v30, off, s[0:3], 0 offset:52
.LBB11_39:
	s_or_b32 exec_lo, exec_lo, s4
	s_waitcnt_vscnt null, 0x0
	s_barrier
	buffer_gl0_inv
	s_clause 0x1
	buffer_load_dword v29, off, s[0:3], 0 offset:56
	buffer_load_dword v30, off, s[0:3], 0 offset:60
	s_mov_b32 s4, exec_lo
	s_waitcnt vmcnt(0)
	ds_write_b64 v28, v[29:30]
	s_waitcnt lgkmcnt(0)
	s_barrier
	buffer_gl0_inv
	v_cmpx_gt_u32_e32 7, v0
	s_cbranch_execz .LBB11_43
; %bb.40:
	v_add_nc_u32_e32 v29, -1, v0
	v_add_nc_u32_e32 v30, 0x60, v27
	v_mov_b32_e32 v31, v27
	v_mov_b32_e32 v26, 0
	;; [unrolled: 1-line block ×3, first 2 shown]
	s_mov_b32 s5, 0
	.p2align	6
.LBB11_41:                              ; =>This Inner Loop Header: Depth=1
	s_clause 0x1
	buffer_load_dword v35, v31, s[0:3], 0 offen offset:4
	buffer_load_dword v36, v31, s[0:3], 0 offen
	ds_read_b64 v[33:34], v30
	v_add_nc_u32_e32 v29, 1, v29
	v_add_nc_u32_e32 v30, 8, v30
	;; [unrolled: 1-line block ×3, first 2 shown]
	v_cmp_lt_u32_e32 vcc_lo, 5, v29
	s_or_b32 s5, vcc_lo, s5
	s_waitcnt vmcnt(1) lgkmcnt(0)
	v_mul_f32_e32 v37, v34, v35
	v_mul_f32_e32 v35, v33, v35
	s_waitcnt vmcnt(0)
	v_fma_f32 v33, v33, v36, -v37
	v_fmac_f32_e32 v35, v34, v36
	v_add_f32_e32 v32, v32, v33
	v_add_f32_e32 v26, v26, v35
	s_andn2_b32 exec_lo, exec_lo, s5
	s_cbranch_execnz .LBB11_41
; %bb.42:
	s_or_b32 exec_lo, exec_lo, s5
	v_mov_b32_e32 v29, 0
	ds_read_b64 v[29:30], v29 offset:56
	s_waitcnt lgkmcnt(0)
	v_mul_f32_e32 v31, v26, v30
	v_mul_f32_e32 v30, v32, v30
	v_fma_f32 v31, v32, v29, -v31
	v_fmac_f32_e32 v30, v26, v29
	buffer_store_dword v31, off, s[0:3], 0 offset:56
	buffer_store_dword v30, off, s[0:3], 0 offset:60
.LBB11_43:
	s_or_b32 exec_lo, exec_lo, s4
	s_waitcnt_vscnt null, 0x0
	s_barrier
	buffer_gl0_inv
	s_clause 0x1
	buffer_load_dword v29, off, s[0:3], 0 offset:64
	buffer_load_dword v30, off, s[0:3], 0 offset:68
	s_mov_b32 s4, exec_lo
	s_waitcnt vmcnt(0)
	ds_write_b64 v28, v[29:30]
	s_waitcnt lgkmcnt(0)
	s_barrier
	buffer_gl0_inv
	v_cmpx_gt_u32_e32 8, v0
	s_cbranch_execz .LBB11_47
; %bb.44:
	v_add_nc_u32_e32 v29, -1, v0
	v_add_nc_u32_e32 v30, 0x60, v27
	v_mov_b32_e32 v31, v27
	v_mov_b32_e32 v26, 0
	;; [unrolled: 1-line block ×3, first 2 shown]
	s_mov_b32 s5, 0
	.p2align	6
.LBB11_45:                              ; =>This Inner Loop Header: Depth=1
	s_clause 0x1
	buffer_load_dword v35, v31, s[0:3], 0 offen offset:4
	buffer_load_dword v36, v31, s[0:3], 0 offen
	ds_read_b64 v[33:34], v30
	v_add_nc_u32_e32 v29, 1, v29
	v_add_nc_u32_e32 v30, 8, v30
	v_add_nc_u32_e32 v31, 8, v31
	v_cmp_lt_u32_e32 vcc_lo, 6, v29
	s_or_b32 s5, vcc_lo, s5
	s_waitcnt vmcnt(1) lgkmcnt(0)
	v_mul_f32_e32 v37, v34, v35
	v_mul_f32_e32 v35, v33, v35
	s_waitcnt vmcnt(0)
	v_fma_f32 v33, v33, v36, -v37
	v_fmac_f32_e32 v35, v34, v36
	v_add_f32_e32 v32, v32, v33
	v_add_f32_e32 v26, v26, v35
	s_andn2_b32 exec_lo, exec_lo, s5
	s_cbranch_execnz .LBB11_45
; %bb.46:
	s_or_b32 exec_lo, exec_lo, s5
	v_mov_b32_e32 v29, 0
	ds_read_b64 v[29:30], v29 offset:64
	s_waitcnt lgkmcnt(0)
	v_mul_f32_e32 v31, v26, v30
	v_mul_f32_e32 v30, v32, v30
	v_fma_f32 v31, v32, v29, -v31
	v_fmac_f32_e32 v30, v26, v29
	buffer_store_dword v31, off, s[0:3], 0 offset:64
	buffer_store_dword v30, off, s[0:3], 0 offset:68
.LBB11_47:
	s_or_b32 exec_lo, exec_lo, s4
	s_waitcnt_vscnt null, 0x0
	s_barrier
	buffer_gl0_inv
	s_clause 0x1
	buffer_load_dword v29, off, s[0:3], 0 offset:72
	buffer_load_dword v30, off, s[0:3], 0 offset:76
	s_mov_b32 s4, exec_lo
	s_waitcnt vmcnt(0)
	ds_write_b64 v28, v[29:30]
	s_waitcnt lgkmcnt(0)
	s_barrier
	buffer_gl0_inv
	v_cmpx_gt_u32_e32 9, v0
	s_cbranch_execz .LBB11_51
; %bb.48:
	v_add_nc_u32_e32 v29, -1, v0
	v_add_nc_u32_e32 v30, 0x60, v27
	v_mov_b32_e32 v31, v27
	v_mov_b32_e32 v26, 0
	;; [unrolled: 1-line block ×3, first 2 shown]
	s_mov_b32 s5, 0
	.p2align	6
.LBB11_49:                              ; =>This Inner Loop Header: Depth=1
	s_clause 0x1
	buffer_load_dword v35, v31, s[0:3], 0 offen offset:4
	buffer_load_dword v36, v31, s[0:3], 0 offen
	ds_read_b64 v[33:34], v30
	v_add_nc_u32_e32 v29, 1, v29
	v_add_nc_u32_e32 v30, 8, v30
	;; [unrolled: 1-line block ×3, first 2 shown]
	v_cmp_lt_u32_e32 vcc_lo, 7, v29
	s_or_b32 s5, vcc_lo, s5
	s_waitcnt vmcnt(1) lgkmcnt(0)
	v_mul_f32_e32 v37, v34, v35
	v_mul_f32_e32 v35, v33, v35
	s_waitcnt vmcnt(0)
	v_fma_f32 v33, v33, v36, -v37
	v_fmac_f32_e32 v35, v34, v36
	v_add_f32_e32 v32, v32, v33
	v_add_f32_e32 v26, v26, v35
	s_andn2_b32 exec_lo, exec_lo, s5
	s_cbranch_execnz .LBB11_49
; %bb.50:
	s_or_b32 exec_lo, exec_lo, s5
	v_mov_b32_e32 v29, 0
	ds_read_b64 v[29:30], v29 offset:72
	s_waitcnt lgkmcnt(0)
	v_mul_f32_e32 v31, v26, v30
	v_mul_f32_e32 v30, v32, v30
	v_fma_f32 v31, v32, v29, -v31
	v_fmac_f32_e32 v30, v26, v29
	buffer_store_dword v31, off, s[0:3], 0 offset:72
	buffer_store_dword v30, off, s[0:3], 0 offset:76
.LBB11_51:
	s_or_b32 exec_lo, exec_lo, s4
	s_waitcnt_vscnt null, 0x0
	s_barrier
	buffer_gl0_inv
	s_clause 0x1
	buffer_load_dword v29, off, s[0:3], 0 offset:80
	buffer_load_dword v30, off, s[0:3], 0 offset:84
	s_mov_b32 s4, exec_lo
	s_waitcnt vmcnt(0)
	ds_write_b64 v28, v[29:30]
	s_waitcnt lgkmcnt(0)
	s_barrier
	buffer_gl0_inv
	v_cmpx_gt_u32_e32 10, v0
	s_cbranch_execz .LBB11_55
; %bb.52:
	v_add_nc_u32_e32 v29, -1, v0
	v_add_nc_u32_e32 v30, 0x60, v27
	v_mov_b32_e32 v31, v27
	v_mov_b32_e32 v26, 0
	;; [unrolled: 1-line block ×3, first 2 shown]
	s_mov_b32 s5, 0
	.p2align	6
.LBB11_53:                              ; =>This Inner Loop Header: Depth=1
	s_clause 0x1
	buffer_load_dword v35, v31, s[0:3], 0 offen offset:4
	buffer_load_dword v36, v31, s[0:3], 0 offen
	ds_read_b64 v[33:34], v30
	v_add_nc_u32_e32 v29, 1, v29
	v_add_nc_u32_e32 v30, 8, v30
	;; [unrolled: 1-line block ×3, first 2 shown]
	v_cmp_lt_u32_e32 vcc_lo, 8, v29
	s_or_b32 s5, vcc_lo, s5
	s_waitcnt vmcnt(1) lgkmcnt(0)
	v_mul_f32_e32 v37, v34, v35
	v_mul_f32_e32 v35, v33, v35
	s_waitcnt vmcnt(0)
	v_fma_f32 v33, v33, v36, -v37
	v_fmac_f32_e32 v35, v34, v36
	v_add_f32_e32 v32, v32, v33
	v_add_f32_e32 v26, v26, v35
	s_andn2_b32 exec_lo, exec_lo, s5
	s_cbranch_execnz .LBB11_53
; %bb.54:
	s_or_b32 exec_lo, exec_lo, s5
	v_mov_b32_e32 v29, 0
	ds_read_b64 v[29:30], v29 offset:80
	s_waitcnt lgkmcnt(0)
	v_mul_f32_e32 v31, v26, v30
	v_mul_f32_e32 v30, v32, v30
	v_fma_f32 v31, v32, v29, -v31
	v_fmac_f32_e32 v30, v26, v29
	buffer_store_dword v31, off, s[0:3], 0 offset:80
	buffer_store_dword v30, off, s[0:3], 0 offset:84
.LBB11_55:
	s_or_b32 exec_lo, exec_lo, s4
	s_waitcnt_vscnt null, 0x0
	s_barrier
	buffer_gl0_inv
	s_clause 0x1
	buffer_load_dword v29, off, s[0:3], 0 offset:88
	buffer_load_dword v30, off, s[0:3], 0 offset:92
	s_mov_b32 s4, exec_lo
	s_waitcnt vmcnt(0)
	ds_write_b64 v28, v[29:30]
	s_waitcnt lgkmcnt(0)
	s_barrier
	buffer_gl0_inv
	v_cmpx_ne_u32_e32 11, v0
	s_cbranch_execz .LBB11_59
; %bb.56:
	v_mov_b32_e32 v26, 0
	v_mov_b32_e32 v29, 0
	s_mov_b32 s5, 0
	.p2align	6
.LBB11_57:                              ; =>This Inner Loop Header: Depth=1
	s_clause 0x1
	buffer_load_dword v32, v27, s[0:3], 0 offen offset:4
	buffer_load_dword v33, v27, s[0:3], 0 offen
	ds_read_b64 v[30:31], v28
	v_add_nc_u32_e32 v25, 1, v25
	v_add_nc_u32_e32 v28, 8, v28
	;; [unrolled: 1-line block ×3, first 2 shown]
	v_cmp_lt_u32_e32 vcc_lo, 9, v25
	s_or_b32 s5, vcc_lo, s5
	s_waitcnt vmcnt(1) lgkmcnt(0)
	v_mul_f32_e32 v34, v31, v32
	v_mul_f32_e32 v32, v30, v32
	s_waitcnt vmcnt(0)
	v_fma_f32 v30, v30, v33, -v34
	v_fmac_f32_e32 v32, v31, v33
	v_add_f32_e32 v29, v29, v30
	v_add_f32_e32 v26, v26, v32
	s_andn2_b32 exec_lo, exec_lo, s5
	s_cbranch_execnz .LBB11_57
; %bb.58:
	s_or_b32 exec_lo, exec_lo, s5
	v_mov_b32_e32 v25, 0
	ds_read_b64 v[27:28], v25 offset:88
	s_waitcnt lgkmcnt(0)
	v_mul_f32_e32 v25, v26, v28
	v_mul_f32_e32 v28, v29, v28
	v_fma_f32 v25, v29, v27, -v25
	v_fmac_f32_e32 v28, v26, v27
	buffer_store_dword v25, off, s[0:3], 0 offset:88
	buffer_store_dword v28, off, s[0:3], 0 offset:92
.LBB11_59:
	s_or_b32 exec_lo, exec_lo, s4
	s_mov_b32 s5, -1
	s_waitcnt_vscnt null, 0x0
	s_barrier
	buffer_gl0_inv
.LBB11_60:
	s_and_b32 vcc_lo, exec_lo, s5
	s_cbranch_vccz .LBB11_62
; %bb.61:
	s_lshl_b64 s[4:5], s[6:7], 2
	v_mov_b32_e32 v25, 0
	s_add_u32 s4, s10, s4
	s_addc_u32 s5, s11, s5
	global_load_dword v25, v25, s[4:5]
	s_waitcnt vmcnt(0)
	v_cmp_ne_u32_e32 vcc_lo, 0, v25
	s_cbranch_vccz .LBB11_63
.LBB11_62:
	s_endpgm
.LBB11_63:
	v_lshl_add_u32 v25, v0, 3, 0x60
	s_mov_b32 s4, exec_lo
	v_cmpx_eq_u32_e32 11, v0
	s_cbranch_execz .LBB11_65
; %bb.64:
	s_clause 0x1
	buffer_load_dword v26, off, s[0:3], 0 offset:80
	buffer_load_dword v27, off, s[0:3], 0 offset:84
	v_mov_b32_e32 v28, 0
	buffer_store_dword v28, off, s[0:3], 0 offset:80
	buffer_store_dword v28, off, s[0:3], 0 offset:84
	s_waitcnt vmcnt(0)
	ds_write_b64 v25, v[26:27]
.LBB11_65:
	s_or_b32 exec_lo, exec_lo, s4
	s_waitcnt lgkmcnt(0)
	s_waitcnt_vscnt null, 0x0
	s_barrier
	buffer_gl0_inv
	s_clause 0x3
	buffer_load_dword v29, off, s[0:3], 0 offset:92
	buffer_load_dword v30, off, s[0:3], 0 offset:88
	;; [unrolled: 1-line block ×4, first 2 shown]
	v_mov_b32_e32 v26, 0
	s_mov_b32 s4, exec_lo
	ds_read_b64 v[27:28], v26 offset:184
	s_waitcnt vmcnt(3) lgkmcnt(0)
	v_mul_f32_e32 v33, v28, v29
	v_mul_f32_e32 v29, v27, v29
	s_waitcnt vmcnt(2)
	v_fma_f32 v27, v27, v30, -v33
	v_fmac_f32_e32 v29, v28, v30
	v_add_f32_e32 v27, 0, v27
	v_add_f32_e32 v28, 0, v29
	s_waitcnt vmcnt(1)
	v_sub_f32_e32 v27, v31, v27
	s_waitcnt vmcnt(0)
	v_sub_f32_e32 v28, v32, v28
	buffer_store_dword v27, off, s[0:3], 0 offset:80
	buffer_store_dword v28, off, s[0:3], 0 offset:84
	v_cmpx_lt_u32_e32 9, v0
	s_cbranch_execz .LBB11_67
; %bb.66:
	s_clause 0x1
	buffer_load_dword v27, off, s[0:3], 0 offset:72
	buffer_load_dword v28, off, s[0:3], 0 offset:76
	buffer_store_dword v26, off, s[0:3], 0 offset:72
	buffer_store_dword v26, off, s[0:3], 0 offset:76
	s_waitcnt vmcnt(0)
	ds_write_b64 v25, v[27:28]
.LBB11_67:
	s_or_b32 exec_lo, exec_lo, s4
	s_waitcnt lgkmcnt(0)
	s_waitcnt_vscnt null, 0x0
	s_barrier
	buffer_gl0_inv
	s_clause 0x5
	buffer_load_dword v30, off, s[0:3], 0 offset:84
	buffer_load_dword v31, off, s[0:3], 0 offset:92
	;; [unrolled: 1-line block ×6, first 2 shown]
	ds_read_b128 v[26:29], v26 offset:176
	s_mov_b32 s4, exec_lo
	s_waitcnt vmcnt(5) lgkmcnt(0)
	v_mul_f32_e32 v36, v27, v30
	v_mul_f32_e32 v30, v26, v30
	s_waitcnt vmcnt(4)
	v_mul_f32_e32 v37, v28, v31
	v_mul_f32_e32 v31, v29, v31
	s_waitcnt vmcnt(3)
	v_fma_f32 v26, v26, v32, -v36
	v_fmac_f32_e32 v30, v27, v32
	s_waitcnt vmcnt(2)
	v_fmac_f32_e32 v37, v29, v33
	v_fma_f32 v27, v28, v33, -v31
	v_add_f32_e32 v26, 0, v26
	v_add_f32_e32 v28, 0, v30
	;; [unrolled: 1-line block ×4, first 2 shown]
	s_waitcnt vmcnt(1)
	v_sub_f32_e32 v26, v34, v26
	s_waitcnt vmcnt(0)
	v_sub_f32_e32 v27, v35, v27
	buffer_store_dword v26, off, s[0:3], 0 offset:72
	buffer_store_dword v27, off, s[0:3], 0 offset:76
	v_cmpx_lt_u32_e32 8, v0
	s_cbranch_execz .LBB11_69
; %bb.68:
	s_clause 0x1
	buffer_load_dword v26, off, s[0:3], 0 offset:64
	buffer_load_dword v27, off, s[0:3], 0 offset:68
	v_mov_b32_e32 v28, 0
	buffer_store_dword v28, off, s[0:3], 0 offset:64
	buffer_store_dword v28, off, s[0:3], 0 offset:68
	s_waitcnt vmcnt(0)
	ds_write_b64 v25, v[26:27]
.LBB11_69:
	s_or_b32 exec_lo, exec_lo, s4
	s_waitcnt lgkmcnt(0)
	s_waitcnt_vscnt null, 0x0
	s_barrier
	buffer_gl0_inv
	s_clause 0x7
	buffer_load_dword v33, off, s[0:3], 0 offset:76
	buffer_load_dword v34, off, s[0:3], 0 offset:84
	;; [unrolled: 1-line block ×8, first 2 shown]
	v_mov_b32_e32 v26, 0
	ds_read2_b64 v[27:30], v26 offset0:21 offset1:22
	ds_read_b64 v[31:32], v26 offset:184
	s_mov_b32 s4, exec_lo
	s_waitcnt vmcnt(7) lgkmcnt(1)
	v_mul_f32_e32 v41, v28, v33
	v_mul_f32_e32 v33, v27, v33
	s_waitcnt vmcnt(6)
	v_mul_f32_e32 v42, v29, v34
	v_mul_f32_e32 v34, v30, v34
	s_waitcnt vmcnt(5) lgkmcnt(0)
	v_mul_f32_e32 v43, v31, v35
	s_waitcnt vmcnt(4)
	v_fma_f32 v27, v27, v36, -v41
	v_fmac_f32_e32 v33, v28, v36
	v_mul_f32_e32 v28, v32, v35
	s_waitcnt vmcnt(3)
	v_fma_f32 v29, v29, v37, -v34
	v_fmac_f32_e32 v42, v30, v37
	v_add_f32_e32 v27, 0, v27
	v_add_f32_e32 v30, 0, v33
	s_waitcnt vmcnt(2)
	v_fma_f32 v28, v31, v38, -v28
	v_fmac_f32_e32 v43, v32, v38
	v_add_f32_e32 v27, v27, v29
	v_add_f32_e32 v29, v30, v42
	;; [unrolled: 1-line block ×4, first 2 shown]
	s_waitcnt vmcnt(1)
	v_sub_f32_e32 v27, v39, v27
	s_waitcnt vmcnt(0)
	v_sub_f32_e32 v28, v40, v28
	buffer_store_dword v27, off, s[0:3], 0 offset:64
	buffer_store_dword v28, off, s[0:3], 0 offset:68
	v_cmpx_lt_u32_e32 7, v0
	s_cbranch_execz .LBB11_71
; %bb.70:
	s_clause 0x1
	buffer_load_dword v27, off, s[0:3], 0 offset:56
	buffer_load_dword v28, off, s[0:3], 0 offset:60
	buffer_store_dword v26, off, s[0:3], 0 offset:56
	buffer_store_dword v26, off, s[0:3], 0 offset:60
	s_waitcnt vmcnt(0)
	ds_write_b64 v25, v[27:28]
.LBB11_71:
	s_or_b32 exec_lo, exec_lo, s4
	s_waitcnt lgkmcnt(0)
	s_waitcnt_vscnt null, 0x0
	s_barrier
	buffer_gl0_inv
	s_clause 0x9
	buffer_load_dword v35, off, s[0:3], 0 offset:68
	buffer_load_dword v36, off, s[0:3], 0 offset:76
	;; [unrolled: 1-line block ×10, first 2 shown]
	ds_read_b128 v[27:30], v26 offset:160
	ds_read_b128 v[31:34], v26 offset:176
	s_mov_b32 s4, exec_lo
	s_waitcnt vmcnt(9) lgkmcnt(1)
	v_mul_f32_e32 v26, v27, v35
	v_mul_f32_e32 v35, v28, v35
	s_waitcnt vmcnt(8)
	v_mul_f32_e32 v45, v29, v36
	v_mul_f32_e32 v36, v30, v36
	s_waitcnt vmcnt(7) lgkmcnt(0)
	v_mul_f32_e32 v46, v31, v37
	s_waitcnt vmcnt(5)
	v_fmac_f32_e32 v26, v28, v39
	v_fma_f32 v27, v27, v39, -v35
	v_mul_f32_e32 v28, v32, v37
	s_waitcnt vmcnt(4)
	v_fma_f32 v29, v29, v40, -v36
	v_fmac_f32_e32 v45, v30, v40
	v_add_f32_e32 v26, 0, v26
	v_add_f32_e32 v27, 0, v27
	v_mul_f32_e32 v30, v34, v38
	s_waitcnt vmcnt(3)
	v_fma_f32 v28, v31, v41, -v28
	v_mul_f32_e32 v47, v33, v38
	v_fmac_f32_e32 v46, v32, v41
	v_add_f32_e32 v27, v27, v29
	v_add_f32_e32 v26, v26, v45
	s_waitcnt vmcnt(2)
	v_fma_f32 v29, v33, v42, -v30
	v_fmac_f32_e32 v47, v34, v42
	v_add_f32_e32 v27, v27, v28
	v_add_f32_e32 v26, v26, v46
	;; [unrolled: 1-line block ×4, first 2 shown]
	s_waitcnt vmcnt(1)
	v_sub_f32_e32 v27, v43, v27
	s_waitcnt vmcnt(0)
	v_sub_f32_e32 v26, v44, v26
	buffer_store_dword v27, off, s[0:3], 0 offset:56
	buffer_store_dword v26, off, s[0:3], 0 offset:60
	v_cmpx_lt_u32_e32 6, v0
	s_cbranch_execz .LBB11_73
; %bb.72:
	s_clause 0x1
	buffer_load_dword v26, off, s[0:3], 0 offset:48
	buffer_load_dword v27, off, s[0:3], 0 offset:52
	v_mov_b32_e32 v28, 0
	buffer_store_dword v28, off, s[0:3], 0 offset:48
	buffer_store_dword v28, off, s[0:3], 0 offset:52
	s_waitcnt vmcnt(0)
	ds_write_b64 v25, v[26:27]
.LBB11_73:
	s_or_b32 exec_lo, exec_lo, s4
	s_waitcnt lgkmcnt(0)
	s_waitcnt_vscnt null, 0x0
	s_barrier
	buffer_gl0_inv
	s_clause 0xb
	buffer_load_dword v37, off, s[0:3], 0 offset:60
	buffer_load_dword v38, off, s[0:3], 0 offset:68
	;; [unrolled: 1-line block ×12, first 2 shown]
	v_mov_b32_e32 v26, 0
	ds_read2_b64 v[27:30], v26 offset0:19 offset1:20
	ds_read2_b64 v[31:34], v26 offset0:21 offset1:22
	ds_read_b64 v[35:36], v26 offset:184
	s_mov_b32 s4, exec_lo
	s_waitcnt vmcnt(11) lgkmcnt(2)
	v_mul_f32_e32 v49, v27, v37
	v_mul_f32_e32 v37, v28, v37
	s_waitcnt vmcnt(10)
	v_mul_f32_e32 v50, v29, v38
	v_mul_f32_e32 v38, v30, v38
	s_waitcnt vmcnt(9) lgkmcnt(1)
	v_mul_f32_e32 v51, v31, v39
	s_waitcnt vmcnt(6)
	v_fmac_f32_e32 v49, v28, v42
	v_fma_f32 v27, v27, v42, -v37
	v_mul_f32_e32 v28, v32, v39
	s_waitcnt vmcnt(5)
	v_fma_f32 v29, v29, v43, -v38
	v_fmac_f32_e32 v50, v30, v43
	v_add_f32_e32 v30, 0, v49
	v_add_f32_e32 v27, 0, v27
	v_mul_f32_e32 v37, v34, v40
	s_waitcnt vmcnt(4)
	v_fma_f32 v28, v31, v44, -v28
	v_mul_f32_e32 v52, v33, v40
	v_fmac_f32_e32 v51, v32, v44
	v_add_f32_e32 v27, v27, v29
	v_add_f32_e32 v29, v30, v50
	s_waitcnt lgkmcnt(0)
	v_mul_f32_e32 v30, v36, v41
	s_waitcnt vmcnt(3)
	v_fma_f32 v31, v33, v45, -v37
	v_mul_f32_e32 v53, v35, v41
	v_add_f32_e32 v27, v27, v28
	v_fmac_f32_e32 v52, v34, v45
	v_add_f32_e32 v28, v29, v51
	s_waitcnt vmcnt(2)
	v_fma_f32 v29, v35, v46, -v30
	v_fmac_f32_e32 v53, v36, v46
	v_add_f32_e32 v27, v27, v31
	v_add_f32_e32 v28, v28, v52
	;; [unrolled: 1-line block ×4, first 2 shown]
	s_waitcnt vmcnt(1)
	v_sub_f32_e32 v27, v47, v27
	s_waitcnt vmcnt(0)
	v_sub_f32_e32 v28, v48, v28
	buffer_store_dword v27, off, s[0:3], 0 offset:48
	buffer_store_dword v28, off, s[0:3], 0 offset:52
	v_cmpx_lt_u32_e32 5, v0
	s_cbranch_execz .LBB11_75
; %bb.74:
	s_clause 0x1
	buffer_load_dword v27, off, s[0:3], 0 offset:40
	buffer_load_dword v28, off, s[0:3], 0 offset:44
	buffer_store_dword v26, off, s[0:3], 0 offset:40
	buffer_store_dword v26, off, s[0:3], 0 offset:44
	s_waitcnt vmcnt(0)
	ds_write_b64 v25, v[27:28]
.LBB11_75:
	s_or_b32 exec_lo, exec_lo, s4
	s_waitcnt lgkmcnt(0)
	s_waitcnt_vscnt null, 0x0
	s_barrier
	buffer_gl0_inv
	s_clause 0xd
	buffer_load_dword v39, off, s[0:3], 0 offset:52
	buffer_load_dword v40, off, s[0:3], 0 offset:60
	;; [unrolled: 1-line block ×14, first 2 shown]
	ds_read_b128 v[27:30], v26 offset:144
	ds_read_b128 v[31:34], v26 offset:160
	;; [unrolled: 1-line block ×3, first 2 shown]
	s_mov_b32 s4, exec_lo
	s_waitcnt vmcnt(13) lgkmcnt(2)
	v_mul_f32_e32 v26, v27, v39
	v_mul_f32_e32 v39, v28, v39
	s_waitcnt vmcnt(12)
	v_mul_f32_e32 v53, v29, v40
	v_mul_f32_e32 v40, v30, v40
	s_waitcnt vmcnt(11) lgkmcnt(1)
	v_mul_f32_e32 v54, v31, v41
	s_waitcnt vmcnt(10)
	v_mul_f32_e32 v55, v33, v42
	s_waitcnt vmcnt(7)
	v_fma_f32 v27, v27, v45, -v39
	v_fmac_f32_e32 v26, v28, v45
	v_mul_f32_e32 v28, v32, v41
	s_waitcnt vmcnt(6)
	v_fma_f32 v29, v29, v46, -v40
	v_fmac_f32_e32 v53, v30, v46
	v_add_f32_e32 v27, 0, v27
	v_add_f32_e32 v26, 0, v26
	v_mul_f32_e32 v30, v34, v42
	s_waitcnt vmcnt(5)
	v_fma_f32 v28, v31, v47, -v28
	v_fmac_f32_e32 v54, v32, v47
	v_add_f32_e32 v27, v27, v29
	v_add_f32_e32 v26, v26, v53
	s_waitcnt lgkmcnt(0)
	v_mul_f32_e32 v29, v36, v43
	s_waitcnt vmcnt(4)
	v_fma_f32 v30, v33, v48, -v30
	v_mul_f32_e32 v56, v35, v43
	v_add_f32_e32 v27, v27, v28
	v_fmac_f32_e32 v55, v34, v48
	v_add_f32_e32 v26, v26, v54
	v_mul_f32_e32 v28, v38, v44
	s_waitcnt vmcnt(3)
	v_fma_f32 v29, v35, v49, -v29
	v_add_f32_e32 v27, v27, v30
	v_mul_f32_e32 v57, v37, v44
	v_fmac_f32_e32 v56, v36, v49
	v_add_f32_e32 v26, v26, v55
	s_waitcnt vmcnt(2)
	v_fma_f32 v28, v37, v50, -v28
	v_add_f32_e32 v27, v27, v29
	v_fmac_f32_e32 v57, v38, v50
	v_add_f32_e32 v26, v26, v56
	v_add_f32_e32 v27, v27, v28
	;; [unrolled: 1-line block ×3, first 2 shown]
	s_waitcnt vmcnt(1)
	v_sub_f32_e32 v27, v51, v27
	s_waitcnt vmcnt(0)
	v_sub_f32_e32 v26, v52, v26
	buffer_store_dword v27, off, s[0:3], 0 offset:40
	buffer_store_dword v26, off, s[0:3], 0 offset:44
	v_cmpx_lt_u32_e32 4, v0
	s_cbranch_execz .LBB11_77
; %bb.76:
	s_clause 0x1
	buffer_load_dword v26, off, s[0:3], 0 offset:32
	buffer_load_dword v27, off, s[0:3], 0 offset:36
	v_mov_b32_e32 v28, 0
	buffer_store_dword v28, off, s[0:3], 0 offset:32
	buffer_store_dword v28, off, s[0:3], 0 offset:36
	s_waitcnt vmcnt(0)
	ds_write_b64 v25, v[26:27]
.LBB11_77:
	s_or_b32 exec_lo, exec_lo, s4
	s_waitcnt lgkmcnt(0)
	s_waitcnt_vscnt null, 0x0
	s_barrier
	buffer_gl0_inv
	s_clause 0xf
	buffer_load_dword v41, off, s[0:3], 0 offset:44
	buffer_load_dword v42, off, s[0:3], 0 offset:52
	;; [unrolled: 1-line block ×16, first 2 shown]
	v_mov_b32_e32 v26, 0
	ds_read2_b64 v[27:30], v26 offset0:17 offset1:18
	ds_read2_b64 v[31:34], v26 offset0:19 offset1:20
	;; [unrolled: 1-line block ×3, first 2 shown]
	ds_read_b64 v[39:40], v26 offset:184
	s_mov_b32 s4, exec_lo
	s_waitcnt vmcnt(15) lgkmcnt(3)
	v_mul_f32_e32 v57, v27, v41
	v_mul_f32_e32 v41, v28, v41
	s_waitcnt vmcnt(14)
	v_mul_f32_e32 v58, v29, v42
	v_mul_f32_e32 v42, v30, v42
	s_waitcnt vmcnt(13) lgkmcnt(2)
	v_mul_f32_e32 v59, v31, v43
	s_waitcnt vmcnt(12)
	v_mul_f32_e32 v60, v33, v44
	s_waitcnt vmcnt(11) lgkmcnt(1)
	v_mul_f32_e32 v61, v35, v45
	s_waitcnt vmcnt(8)
	v_fma_f32 v27, v27, v48, -v41
	v_fmac_f32_e32 v57, v28, v48
	v_mul_f32_e32 v28, v32, v43
	s_waitcnt vmcnt(7)
	v_fma_f32 v29, v29, v49, -v42
	v_fmac_f32_e32 v58, v30, v49
	v_add_f32_e32 v27, 0, v27
	v_add_f32_e32 v30, 0, v57
	v_mul_f32_e32 v41, v34, v44
	s_waitcnt vmcnt(6)
	v_fma_f32 v28, v31, v50, -v28
	v_fmac_f32_e32 v59, v32, v50
	v_add_f32_e32 v27, v27, v29
	v_add_f32_e32 v29, v30, v58
	;; [unrolled: 6-line block ×3, first 2 shown]
	v_mul_f32_e32 v29, v38, v46
	s_waitcnt vmcnt(4)
	v_fma_f32 v30, v35, v52, -v30
	v_mul_f32_e32 v62, v37, v46
	v_add_f32_e32 v27, v27, v31
	v_fmac_f32_e32 v61, v36, v52
	v_add_f32_e32 v28, v28, v60
	s_waitcnt lgkmcnt(0)
	v_mul_f32_e32 v31, v40, v47
	s_waitcnt vmcnt(3)
	v_fma_f32 v29, v37, v53, -v29
	v_add_f32_e32 v27, v27, v30
	v_mul_f32_e32 v63, v39, v47
	v_fmac_f32_e32 v62, v38, v53
	v_add_f32_e32 v28, v28, v61
	s_waitcnt vmcnt(2)
	v_fma_f32 v30, v39, v54, -v31
	v_add_f32_e32 v27, v27, v29
	v_fmac_f32_e32 v63, v40, v54
	v_add_f32_e32 v28, v28, v62
	v_add_f32_e32 v27, v27, v30
	;; [unrolled: 1-line block ×3, first 2 shown]
	s_waitcnt vmcnt(1)
	v_sub_f32_e32 v27, v55, v27
	s_waitcnt vmcnt(0)
	v_sub_f32_e32 v28, v56, v28
	buffer_store_dword v27, off, s[0:3], 0 offset:32
	buffer_store_dword v28, off, s[0:3], 0 offset:36
	v_cmpx_lt_u32_e32 3, v0
	s_cbranch_execz .LBB11_79
; %bb.78:
	s_clause 0x1
	buffer_load_dword v27, off, s[0:3], 0 offset:24
	buffer_load_dword v28, off, s[0:3], 0 offset:28
	buffer_store_dword v26, off, s[0:3], 0 offset:24
	buffer_store_dword v26, off, s[0:3], 0 offset:28
	s_waitcnt vmcnt(0)
	ds_write_b64 v25, v[27:28]
.LBB11_79:
	s_or_b32 exec_lo, exec_lo, s4
	s_waitcnt lgkmcnt(0)
	s_waitcnt_vscnt null, 0x0
	s_barrier
	buffer_gl0_inv
	s_clause 0x11
	buffer_load_dword v43, off, s[0:3], 0 offset:36
	buffer_load_dword v44, off, s[0:3], 0 offset:44
	;; [unrolled: 1-line block ×18, first 2 shown]
	ds_read_b128 v[27:30], v26 offset:128
	ds_read_b128 v[31:34], v26 offset:144
	;; [unrolled: 1-line block ×4, first 2 shown]
	s_mov_b32 s4, exec_lo
	s_waitcnt vmcnt(17) lgkmcnt(3)
	v_mul_f32_e32 v26, v27, v43
	v_mul_f32_e32 v43, v28, v43
	s_waitcnt vmcnt(16)
	v_mul_f32_e32 v61, v29, v44
	v_mul_f32_e32 v44, v30, v44
	s_waitcnt vmcnt(15) lgkmcnt(2)
	v_mul_f32_e32 v62, v31, v45
	s_waitcnt vmcnt(14)
	v_mul_f32_e32 v63, v33, v46
	s_waitcnt vmcnt(13) lgkmcnt(1)
	v_mul_f32_e32 v64, v35, v47
	s_waitcnt vmcnt(12)
	v_mul_f32_e32 v65, v37, v48
	s_waitcnt vmcnt(9)
	v_fma_f32 v27, v27, v51, -v43
	v_fmac_f32_e32 v26, v28, v51
	v_mul_f32_e32 v28, v32, v45
	s_waitcnt vmcnt(8)
	v_fma_f32 v29, v29, v52, -v44
	v_fmac_f32_e32 v61, v30, v52
	v_add_f32_e32 v27, 0, v27
	v_add_f32_e32 v26, 0, v26
	v_mul_f32_e32 v30, v34, v46
	s_waitcnt vmcnt(7)
	v_fma_f32 v28, v31, v53, -v28
	v_fmac_f32_e32 v62, v32, v53
	v_add_f32_e32 v27, v27, v29
	v_add_f32_e32 v26, v26, v61
	;; [unrolled: 6-line block ×4, first 2 shown]
	s_waitcnt lgkmcnt(0)
	v_mul_f32_e32 v30, v40, v49
	s_waitcnt vmcnt(4)
	v_fma_f32 v28, v37, v56, -v28
	v_mul_f32_e32 v66, v39, v49
	v_add_f32_e32 v27, v27, v29
	v_fmac_f32_e32 v65, v38, v56
	v_add_f32_e32 v26, v26, v64
	v_mul_f32_e32 v29, v42, v50
	s_waitcnt vmcnt(3)
	v_fma_f32 v30, v39, v57, -v30
	v_add_f32_e32 v27, v27, v28
	v_mul_f32_e32 v67, v41, v50
	v_fmac_f32_e32 v66, v40, v57
	v_add_f32_e32 v26, v26, v65
	s_waitcnt vmcnt(2)
	v_fma_f32 v28, v41, v58, -v29
	v_add_f32_e32 v27, v27, v30
	v_fmac_f32_e32 v67, v42, v58
	v_add_f32_e32 v26, v26, v66
	v_add_f32_e32 v27, v27, v28
	;; [unrolled: 1-line block ×3, first 2 shown]
	s_waitcnt vmcnt(1)
	v_sub_f32_e32 v27, v59, v27
	s_waitcnt vmcnt(0)
	v_sub_f32_e32 v26, v60, v26
	buffer_store_dword v27, off, s[0:3], 0 offset:24
	buffer_store_dword v26, off, s[0:3], 0 offset:28
	v_cmpx_lt_u32_e32 2, v0
	s_cbranch_execz .LBB11_81
; %bb.80:
	s_clause 0x1
	buffer_load_dword v26, off, s[0:3], 0 offset:16
	buffer_load_dword v27, off, s[0:3], 0 offset:20
	v_mov_b32_e32 v28, 0
	buffer_store_dword v28, off, s[0:3], 0 offset:16
	buffer_store_dword v28, off, s[0:3], 0 offset:20
	s_waitcnt vmcnt(0)
	ds_write_b64 v25, v[26:27]
.LBB11_81:
	s_or_b32 exec_lo, exec_lo, s4
	s_waitcnt lgkmcnt(0)
	s_waitcnt_vscnt null, 0x0
	s_barrier
	buffer_gl0_inv
	s_clause 0x13
	buffer_load_dword v45, off, s[0:3], 0 offset:28
	buffer_load_dword v46, off, s[0:3], 0 offset:36
	;; [unrolled: 1-line block ×20, first 2 shown]
	v_mov_b32_e32 v26, 0
	ds_read2_b64 v[27:30], v26 offset0:15 offset1:16
	ds_read2_b64 v[31:34], v26 offset0:17 offset1:18
	;; [unrolled: 1-line block ×4, first 2 shown]
	ds_read_b64 v[43:44], v26 offset:184
	s_mov_b32 s4, exec_lo
	s_waitcnt vmcnt(19) lgkmcnt(4)
	v_mul_f32_e32 v65, v27, v45
	v_mul_f32_e32 v45, v28, v45
	s_waitcnt vmcnt(18)
	v_mul_f32_e32 v66, v29, v46
	v_mul_f32_e32 v46, v30, v46
	s_waitcnt vmcnt(17) lgkmcnt(3)
	v_mul_f32_e32 v67, v31, v47
	s_waitcnt vmcnt(16)
	v_mul_f32_e32 v68, v33, v48
	s_waitcnt vmcnt(15) lgkmcnt(2)
	v_mul_f32_e32 v69, v35, v49
	s_waitcnt vmcnt(14)
	;; [unrolled: 4-line block ×3, first 2 shown]
	v_fma_f32 v27, v27, v54, -v45
	v_fmac_f32_e32 v65, v28, v54
	v_mul_f32_e32 v28, v32, v47
	s_waitcnt vmcnt(9)
	v_fma_f32 v29, v29, v55, -v46
	v_fmac_f32_e32 v66, v30, v55
	v_add_f32_e32 v27, 0, v27
	v_add_f32_e32 v30, 0, v65
	v_mul_f32_e32 v45, v34, v48
	s_waitcnt vmcnt(8)
	v_fma_f32 v28, v31, v56, -v28
	v_fmac_f32_e32 v67, v32, v56
	v_add_f32_e32 v27, v27, v29
	v_add_f32_e32 v29, v30, v66
	;; [unrolled: 6-line block ×5, first 2 shown]
	v_mul_f32_e32 v30, v42, v52
	s_waitcnt vmcnt(4)
	v_fma_f32 v31, v39, v60, -v31
	v_mul_f32_e32 v72, v41, v52
	v_add_f32_e32 v27, v27, v29
	v_fmac_f32_e32 v71, v40, v60
	v_add_f32_e32 v28, v28, v70
	s_waitcnt lgkmcnt(0)
	v_mul_f32_e32 v29, v44, v53
	s_waitcnt vmcnt(3)
	v_fma_f32 v30, v41, v61, -v30
	v_add_f32_e32 v27, v27, v31
	v_mul_f32_e32 v73, v43, v53
	v_fmac_f32_e32 v72, v42, v61
	v_add_f32_e32 v28, v28, v71
	s_waitcnt vmcnt(2)
	v_fma_f32 v29, v43, v62, -v29
	v_add_f32_e32 v27, v27, v30
	v_fmac_f32_e32 v73, v44, v62
	v_add_f32_e32 v28, v28, v72
	v_add_f32_e32 v27, v27, v29
	;; [unrolled: 1-line block ×3, first 2 shown]
	s_waitcnt vmcnt(1)
	v_sub_f32_e32 v27, v63, v27
	s_waitcnt vmcnt(0)
	v_sub_f32_e32 v28, v64, v28
	buffer_store_dword v27, off, s[0:3], 0 offset:16
	buffer_store_dword v28, off, s[0:3], 0 offset:20
	v_cmpx_lt_u32_e32 1, v0
	s_cbranch_execz .LBB11_83
; %bb.82:
	s_clause 0x1
	buffer_load_dword v27, off, s[0:3], 0 offset:8
	buffer_load_dword v28, off, s[0:3], 0 offset:12
	buffer_store_dword v26, off, s[0:3], 0 offset:8
	buffer_store_dword v26, off, s[0:3], 0 offset:12
	s_waitcnt vmcnt(0)
	ds_write_b64 v25, v[27:28]
.LBB11_83:
	s_or_b32 exec_lo, exec_lo, s4
	s_waitcnt lgkmcnt(0)
	s_waitcnt_vscnt null, 0x0
	s_barrier
	buffer_gl0_inv
	s_clause 0x15
	buffer_load_dword v47, off, s[0:3], 0 offset:20
	buffer_load_dword v48, off, s[0:3], 0 offset:28
	;; [unrolled: 1-line block ×22, first 2 shown]
	ds_read_b128 v[27:30], v26 offset:112
	ds_read_b128 v[31:34], v26 offset:128
	;; [unrolled: 1-line block ×5, first 2 shown]
	s_mov_b32 s4, exec_lo
	s_waitcnt vmcnt(21) lgkmcnt(4)
	v_mul_f32_e32 v26, v27, v47
	v_mul_f32_e32 v47, v28, v47
	s_waitcnt vmcnt(20)
	v_mul_f32_e32 v69, v29, v48
	v_mul_f32_e32 v48, v30, v48
	s_waitcnt vmcnt(19) lgkmcnt(3)
	v_mul_f32_e32 v70, v31, v49
	s_waitcnt vmcnt(18)
	v_mul_f32_e32 v71, v33, v50
	s_waitcnt vmcnt(17) lgkmcnt(2)
	v_mul_f32_e32 v72, v35, v51
	s_waitcnt vmcnt(16)
	;; [unrolled: 4-line block ×3, first 2 shown]
	v_mul_f32_e32 v75, v41, v54
	s_waitcnt vmcnt(11)
	v_fma_f32 v27, v27, v57, -v47
	v_fmac_f32_e32 v26, v28, v57
	v_mul_f32_e32 v28, v32, v49
	s_waitcnt vmcnt(10)
	v_fma_f32 v29, v29, v58, -v48
	v_fmac_f32_e32 v69, v30, v58
	v_add_f32_e32 v27, 0, v27
	v_add_f32_e32 v26, 0, v26
	v_mul_f32_e32 v30, v34, v50
	s_waitcnt vmcnt(9)
	v_fma_f32 v28, v31, v59, -v28
	v_fmac_f32_e32 v70, v32, v59
	v_add_f32_e32 v27, v27, v29
	v_add_f32_e32 v26, v26, v69
	;; [unrolled: 6-line block ×6, first 2 shown]
	s_waitcnt lgkmcnt(0)
	v_mul_f32_e32 v28, v44, v55
	s_waitcnt vmcnt(4)
	v_fma_f32 v29, v41, v64, -v29
	v_mul_f32_e32 v76, v43, v55
	v_add_f32_e32 v27, v27, v30
	v_fmac_f32_e32 v75, v42, v64
	v_add_f32_e32 v26, v26, v74
	v_mul_f32_e32 v30, v46, v56
	s_waitcnt vmcnt(3)
	v_fma_f32 v28, v43, v65, -v28
	v_add_f32_e32 v27, v27, v29
	v_mul_f32_e32 v77, v45, v56
	v_fmac_f32_e32 v76, v44, v65
	v_add_f32_e32 v26, v26, v75
	s_waitcnt vmcnt(2)
	v_fma_f32 v29, v45, v66, -v30
	v_add_f32_e32 v27, v27, v28
	v_fmac_f32_e32 v77, v46, v66
	v_add_f32_e32 v26, v26, v76
	v_add_f32_e32 v27, v27, v29
	;; [unrolled: 1-line block ×3, first 2 shown]
	s_waitcnt vmcnt(1)
	v_sub_f32_e32 v27, v67, v27
	s_waitcnt vmcnt(0)
	v_sub_f32_e32 v26, v68, v26
	buffer_store_dword v27, off, s[0:3], 0 offset:8
	buffer_store_dword v26, off, s[0:3], 0 offset:12
	v_cmpx_ne_u32_e32 0, v0
	s_cbranch_execz .LBB11_85
; %bb.84:
	s_clause 0x1
	buffer_load_dword v26, off, s[0:3], 0
	buffer_load_dword v27, off, s[0:3], 0 offset:4
	v_mov_b32_e32 v0, 0
	buffer_store_dword v0, off, s[0:3], 0
	buffer_store_dword v0, off, s[0:3], 0 offset:4
	s_waitcnt vmcnt(0)
	ds_write_b64 v25, v[26:27]
.LBB11_85:
	s_or_b32 exec_lo, exec_lo, s4
	s_waitcnt lgkmcnt(0)
	s_waitcnt_vscnt null, 0x0
	s_barrier
	buffer_gl0_inv
	s_clause 0x17
	buffer_load_dword v49, off, s[0:3], 0 offset:12
	buffer_load_dword v50, off, s[0:3], 0 offset:20
	;; [unrolled: 1-line block ×22, first 2 shown]
	buffer_load_dword v69, off, s[0:3], 0
	buffer_load_dword v70, off, s[0:3], 0 offset:4
	v_mov_b32_e32 v26, 0
	ds_read2_b64 v[27:30], v26 offset0:13 offset1:14
	ds_read2_b64 v[31:34], v26 offset0:15 offset1:16
	;; [unrolled: 1-line block ×5, first 2 shown]
	ds_read_b64 v[47:48], v26 offset:184
	s_and_b32 vcc_lo, exec_lo, s22
	s_waitcnt vmcnt(23) lgkmcnt(5)
	v_mul_f32_e32 v71, v27, v49
	v_mul_f32_e32 v49, v28, v49
	s_waitcnt vmcnt(22)
	v_mul_f32_e32 v72, v29, v50
	v_mul_f32_e32 v50, v30, v50
	s_waitcnt vmcnt(21) lgkmcnt(4)
	v_mul_f32_e32 v73, v31, v51
	s_waitcnt vmcnt(20)
	v_mul_f32_e32 v74, v33, v52
	s_waitcnt vmcnt(19) lgkmcnt(3)
	v_mul_f32_e32 v75, v35, v53
	s_waitcnt vmcnt(18)
	;; [unrolled: 4-line block ×4, first 2 shown]
	v_fma_f32 v27, v27, v59, -v49
	v_fmac_f32_e32 v71, v28, v59
	v_mul_f32_e32 v28, v32, v51
	s_waitcnt vmcnt(11)
	v_fma_f32 v29, v29, v60, -v50
	v_fmac_f32_e32 v72, v30, v60
	v_add_f32_e32 v27, 0, v27
	v_add_f32_e32 v30, 0, v71
	v_mul_f32_e32 v49, v34, v52
	s_waitcnt vmcnt(10)
	v_fma_f32 v28, v31, v61, -v28
	v_fmac_f32_e32 v73, v32, v61
	v_add_f32_e32 v27, v27, v29
	v_add_f32_e32 v29, v30, v72
	;; [unrolled: 6-line block ×7, first 2 shown]
	v_mul_f32_e32 v31, v46, v0
	s_waitcnt vmcnt(4)
	v_fma_f32 v29, v43, v67, -v29
	v_mul_f32_e32 v80, v45, v0
	v_add_f32_e32 v27, v27, v30
	v_fmac_f32_e32 v79, v44, v67
	v_add_f32_e32 v28, v28, v78
	s_waitcnt lgkmcnt(0)
	v_mul_f32_e32 v30, v48, v58
	s_waitcnt vmcnt(2)
	v_fma_f32 v31, v45, v25, -v31
	v_add_f32_e32 v27, v27, v29
	v_mul_f32_e32 v81, v47, v58
	v_fmac_f32_e32 v80, v46, v25
	v_add_f32_e32 v28, v28, v79
	v_fma_f32 v29, v47, v68, -v30
	v_add_f32_e32 v27, v27, v31
	v_fmac_f32_e32 v81, v48, v68
	v_add_f32_e32 v28, v28, v80
	v_add_f32_e32 v27, v27, v29
	v_add_f32_e32 v28, v28, v81
	s_waitcnt vmcnt(1)
	v_sub_f32_e32 v27, v69, v27
	s_waitcnt vmcnt(0)
	v_sub_f32_e32 v28, v70, v28
	buffer_store_dword v27, off, s[0:3], 0
	buffer_store_dword v28, off, s[0:3], 0 offset:4
	s_cbranch_vccz .LBB11_108
; %bb.86:
	global_load_dword v26, v26, s[20:21] offset:40
	s_waitcnt vmcnt(0)
	v_add_nc_u32_e32 v26, -1, v26
	v_cmp_ne_u32_e32 vcc_lo, 10, v26
	s_cbranch_vccz .LBB11_88
; %bb.87:
	v_lshlrev_b32_e32 v26, 3, v26
	s_clause 0x1
	buffer_load_dword v27, v26, s[0:3], 0 offen offset:4
	buffer_load_dword v28, v26, s[0:3], 0 offen
	s_waitcnt vmcnt(1)
	buffer_store_dword v27, off, s[0:3], 0 offset:84
	s_waitcnt vmcnt(0)
	buffer_store_dword v28, off, s[0:3], 0 offset:80
	buffer_store_dword v0, v26, s[0:3], 0 offen offset:4
	buffer_store_dword v25, v26, s[0:3], 0 offen
.LBB11_88:
	v_mov_b32_e32 v0, 0
	global_load_dword v25, v0, s[20:21] offset:36
	s_waitcnt vmcnt(0)
	v_add_nc_u32_e32 v25, -1, v25
	v_cmp_eq_u32_e32 vcc_lo, 9, v25
	s_cbranch_vccnz .LBB11_90
; %bb.89:
	v_lshlrev_b32_e32 v25, 3, v25
	s_clause 0x3
	buffer_load_dword v26, v25, s[0:3], 0 offen
	buffer_load_dword v27, v25, s[0:3], 0 offen offset:4
	buffer_load_dword v28, off, s[0:3], 0 offset:72
	buffer_load_dword v29, off, s[0:3], 0 offset:76
	s_waitcnt vmcnt(3)
	buffer_store_dword v26, off, s[0:3], 0 offset:72
	s_waitcnt vmcnt(2)
	buffer_store_dword v27, off, s[0:3], 0 offset:76
	s_waitcnt vmcnt(1)
	buffer_store_dword v28, v25, s[0:3], 0 offen
	s_waitcnt vmcnt(0)
	buffer_store_dword v29, v25, s[0:3], 0 offen offset:4
.LBB11_90:
	global_load_dword v0, v0, s[20:21] offset:32
	s_waitcnt vmcnt(0)
	v_add_nc_u32_e32 v0, -1, v0
	v_cmp_eq_u32_e32 vcc_lo, 8, v0
	s_cbranch_vccnz .LBB11_92
; %bb.91:
	v_lshlrev_b32_e32 v0, 3, v0
	s_clause 0x3
	buffer_load_dword v25, v0, s[0:3], 0 offen
	buffer_load_dword v26, v0, s[0:3], 0 offen offset:4
	buffer_load_dword v27, off, s[0:3], 0 offset:68
	buffer_load_dword v28, off, s[0:3], 0 offset:64
	s_waitcnt vmcnt(3)
	buffer_store_dword v25, off, s[0:3], 0 offset:64
	s_waitcnt vmcnt(2)
	buffer_store_dword v26, off, s[0:3], 0 offset:68
	s_waitcnt vmcnt(1)
	buffer_store_dword v27, v0, s[0:3], 0 offen offset:4
	s_waitcnt vmcnt(0)
	buffer_store_dword v28, v0, s[0:3], 0 offen
.LBB11_92:
	v_mov_b32_e32 v0, 0
	global_load_dword v25, v0, s[20:21] offset:28
	s_waitcnt vmcnt(0)
	v_add_nc_u32_e32 v25, -1, v25
	v_cmp_eq_u32_e32 vcc_lo, 7, v25
	s_cbranch_vccnz .LBB11_94
; %bb.93:
	v_lshlrev_b32_e32 v25, 3, v25
	s_clause 0x3
	buffer_load_dword v26, v25, s[0:3], 0 offen
	buffer_load_dword v27, v25, s[0:3], 0 offen offset:4
	buffer_load_dword v28, off, s[0:3], 0 offset:56
	buffer_load_dword v29, off, s[0:3], 0 offset:60
	s_waitcnt vmcnt(3)
	buffer_store_dword v26, off, s[0:3], 0 offset:56
	s_waitcnt vmcnt(2)
	buffer_store_dword v27, off, s[0:3], 0 offset:60
	s_waitcnt vmcnt(1)
	buffer_store_dword v28, v25, s[0:3], 0 offen
	s_waitcnt vmcnt(0)
	buffer_store_dword v29, v25, s[0:3], 0 offen offset:4
.LBB11_94:
	global_load_dword v0, v0, s[20:21] offset:24
	s_waitcnt vmcnt(0)
	v_add_nc_u32_e32 v0, -1, v0
	v_cmp_eq_u32_e32 vcc_lo, 6, v0
	s_cbranch_vccnz .LBB11_96
; %bb.95:
	v_lshlrev_b32_e32 v0, 3, v0
	s_clause 0x3
	buffer_load_dword v25, v0, s[0:3], 0 offen
	buffer_load_dword v26, v0, s[0:3], 0 offen offset:4
	buffer_load_dword v27, off, s[0:3], 0 offset:52
	buffer_load_dword v28, off, s[0:3], 0 offset:48
	s_waitcnt vmcnt(3)
	buffer_store_dword v25, off, s[0:3], 0 offset:48
	s_waitcnt vmcnt(2)
	buffer_store_dword v26, off, s[0:3], 0 offset:52
	s_waitcnt vmcnt(1)
	buffer_store_dword v27, v0, s[0:3], 0 offen offset:4
	s_waitcnt vmcnt(0)
	buffer_store_dword v28, v0, s[0:3], 0 offen
.LBB11_96:
	;; [unrolled: 43-line block ×4, first 2 shown]
	v_mov_b32_e32 v0, 0
	global_load_dword v25, v0, s[20:21] offset:4
	s_waitcnt vmcnt(0)
	v_add_nc_u32_e32 v25, -1, v25
	v_cmp_eq_u32_e32 vcc_lo, 1, v25
	s_cbranch_vccnz .LBB11_106
; %bb.105:
	v_lshlrev_b32_e32 v25, 3, v25
	s_clause 0x3
	buffer_load_dword v26, v25, s[0:3], 0 offen
	buffer_load_dword v27, v25, s[0:3], 0 offen offset:4
	buffer_load_dword v28, off, s[0:3], 0 offset:8
	buffer_load_dword v29, off, s[0:3], 0 offset:12
	s_waitcnt vmcnt(3)
	buffer_store_dword v26, off, s[0:3], 0 offset:8
	s_waitcnt vmcnt(2)
	buffer_store_dword v27, off, s[0:3], 0 offset:12
	s_waitcnt vmcnt(1)
	buffer_store_dword v28, v25, s[0:3], 0 offen
	s_waitcnt vmcnt(0)
	buffer_store_dword v29, v25, s[0:3], 0 offen offset:4
.LBB11_106:
	global_load_dword v0, v0, s[20:21]
	s_waitcnt vmcnt(0)
	v_add_nc_u32_e32 v0, -1, v0
	v_cmp_eq_u32_e32 vcc_lo, 0, v0
	s_cbranch_vccnz .LBB11_108
; %bb.107:
	v_lshlrev_b32_e32 v0, 3, v0
	s_clause 0x3
	buffer_load_dword v25, v0, s[0:3], 0 offen
	buffer_load_dword v26, v0, s[0:3], 0 offen offset:4
	buffer_load_dword v27, off, s[0:3], 0 offset:4
	buffer_load_dword v28, off, s[0:3], 0
	s_waitcnt vmcnt(3)
	buffer_store_dword v25, off, s[0:3], 0
	s_waitcnt vmcnt(2)
	buffer_store_dword v26, off, s[0:3], 0 offset:4
	s_waitcnt vmcnt(1)
	buffer_store_dword v27, v0, s[0:3], 0 offen offset:4
	s_waitcnt vmcnt(0)
	buffer_store_dword v28, v0, s[0:3], 0 offen
.LBB11_108:
	s_clause 0x17
	buffer_load_dword v25, off, s[0:3], 0
	buffer_load_dword v26, off, s[0:3], 0 offset:4
	buffer_load_dword v27, off, s[0:3], 0 offset:8
	;; [unrolled: 1-line block ×23, first 2 shown]
	s_waitcnt vmcnt(22)
	global_store_dwordx2 v[1:2], v[25:26], off
	s_waitcnt vmcnt(20)
	global_store_dwordx2 v[3:4], v[27:28], off
	;; [unrolled: 2-line block ×9, first 2 shown]
	global_store_dwordx2 v[19:20], v[43:44], off
	global_store_dwordx2 v[23:24], v[45:46], off
	;; [unrolled: 1-line block ×3, first 2 shown]
	s_endpgm
	.section	.rodata,"a",@progbits
	.p2align	6, 0x0
	.amdhsa_kernel _ZN9rocsolver6v33100L18getri_kernel_smallILi12E19rocblas_complex_numIfEPS3_EEvT1_iilPiilS6_bb
		.amdhsa_group_segment_fixed_size 196
		.amdhsa_private_segment_fixed_size 112
		.amdhsa_kernarg_size 60
		.amdhsa_user_sgpr_count 6
		.amdhsa_user_sgpr_private_segment_buffer 1
		.amdhsa_user_sgpr_dispatch_ptr 0
		.amdhsa_user_sgpr_queue_ptr 0
		.amdhsa_user_sgpr_kernarg_segment_ptr 1
		.amdhsa_user_sgpr_dispatch_id 0
		.amdhsa_user_sgpr_flat_scratch_init 0
		.amdhsa_user_sgpr_private_segment_size 0
		.amdhsa_wavefront_size32 1
		.amdhsa_uses_dynamic_stack 0
		.amdhsa_system_sgpr_private_segment_wavefront_offset 1
		.amdhsa_system_sgpr_workgroup_id_x 1
		.amdhsa_system_sgpr_workgroup_id_y 0
		.amdhsa_system_sgpr_workgroup_id_z 0
		.amdhsa_system_sgpr_workgroup_info 0
		.amdhsa_system_vgpr_workitem_id 0
		.amdhsa_next_free_vgpr 82
		.amdhsa_next_free_sgpr 23
		.amdhsa_reserve_vcc 1
		.amdhsa_reserve_flat_scratch 0
		.amdhsa_float_round_mode_32 0
		.amdhsa_float_round_mode_16_64 0
		.amdhsa_float_denorm_mode_32 3
		.amdhsa_float_denorm_mode_16_64 3
		.amdhsa_dx10_clamp 1
		.amdhsa_ieee_mode 1
		.amdhsa_fp16_overflow 0
		.amdhsa_workgroup_processor_mode 1
		.amdhsa_memory_ordered 1
		.amdhsa_forward_progress 1
		.amdhsa_shared_vgpr_count 0
		.amdhsa_exception_fp_ieee_invalid_op 0
		.amdhsa_exception_fp_denorm_src 0
		.amdhsa_exception_fp_ieee_div_zero 0
		.amdhsa_exception_fp_ieee_overflow 0
		.amdhsa_exception_fp_ieee_underflow 0
		.amdhsa_exception_fp_ieee_inexact 0
		.amdhsa_exception_int_div_zero 0
	.end_amdhsa_kernel
	.section	.text._ZN9rocsolver6v33100L18getri_kernel_smallILi12E19rocblas_complex_numIfEPS3_EEvT1_iilPiilS6_bb,"axG",@progbits,_ZN9rocsolver6v33100L18getri_kernel_smallILi12E19rocblas_complex_numIfEPS3_EEvT1_iilPiilS6_bb,comdat
.Lfunc_end11:
	.size	_ZN9rocsolver6v33100L18getri_kernel_smallILi12E19rocblas_complex_numIfEPS3_EEvT1_iilPiilS6_bb, .Lfunc_end11-_ZN9rocsolver6v33100L18getri_kernel_smallILi12E19rocblas_complex_numIfEPS3_EEvT1_iilPiilS6_bb
                                        ; -- End function
	.set _ZN9rocsolver6v33100L18getri_kernel_smallILi12E19rocblas_complex_numIfEPS3_EEvT1_iilPiilS6_bb.num_vgpr, 82
	.set _ZN9rocsolver6v33100L18getri_kernel_smallILi12E19rocblas_complex_numIfEPS3_EEvT1_iilPiilS6_bb.num_agpr, 0
	.set _ZN9rocsolver6v33100L18getri_kernel_smallILi12E19rocblas_complex_numIfEPS3_EEvT1_iilPiilS6_bb.numbered_sgpr, 23
	.set _ZN9rocsolver6v33100L18getri_kernel_smallILi12E19rocblas_complex_numIfEPS3_EEvT1_iilPiilS6_bb.num_named_barrier, 0
	.set _ZN9rocsolver6v33100L18getri_kernel_smallILi12E19rocblas_complex_numIfEPS3_EEvT1_iilPiilS6_bb.private_seg_size, 112
	.set _ZN9rocsolver6v33100L18getri_kernel_smallILi12E19rocblas_complex_numIfEPS3_EEvT1_iilPiilS6_bb.uses_vcc, 1
	.set _ZN9rocsolver6v33100L18getri_kernel_smallILi12E19rocblas_complex_numIfEPS3_EEvT1_iilPiilS6_bb.uses_flat_scratch, 0
	.set _ZN9rocsolver6v33100L18getri_kernel_smallILi12E19rocblas_complex_numIfEPS3_EEvT1_iilPiilS6_bb.has_dyn_sized_stack, 0
	.set _ZN9rocsolver6v33100L18getri_kernel_smallILi12E19rocblas_complex_numIfEPS3_EEvT1_iilPiilS6_bb.has_recursion, 0
	.set _ZN9rocsolver6v33100L18getri_kernel_smallILi12E19rocblas_complex_numIfEPS3_EEvT1_iilPiilS6_bb.has_indirect_call, 0
	.section	.AMDGPU.csdata,"",@progbits
; Kernel info:
; codeLenInByte = 11316
; TotalNumSgprs: 25
; NumVgprs: 82
; ScratchSize: 112
; MemoryBound: 0
; FloatMode: 240
; IeeeMode: 1
; LDSByteSize: 196 bytes/workgroup (compile time only)
; SGPRBlocks: 0
; VGPRBlocks: 10
; NumSGPRsForWavesPerEU: 25
; NumVGPRsForWavesPerEU: 82
; Occupancy: 10
; WaveLimiterHint : 1
; COMPUTE_PGM_RSRC2:SCRATCH_EN: 1
; COMPUTE_PGM_RSRC2:USER_SGPR: 6
; COMPUTE_PGM_RSRC2:TRAP_HANDLER: 0
; COMPUTE_PGM_RSRC2:TGID_X_EN: 1
; COMPUTE_PGM_RSRC2:TGID_Y_EN: 0
; COMPUTE_PGM_RSRC2:TGID_Z_EN: 0
; COMPUTE_PGM_RSRC2:TIDIG_COMP_CNT: 0
	.section	.text._ZN9rocsolver6v33100L18getri_kernel_smallILi13E19rocblas_complex_numIfEPS3_EEvT1_iilPiilS6_bb,"axG",@progbits,_ZN9rocsolver6v33100L18getri_kernel_smallILi13E19rocblas_complex_numIfEPS3_EEvT1_iilPiilS6_bb,comdat
	.globl	_ZN9rocsolver6v33100L18getri_kernel_smallILi13E19rocblas_complex_numIfEPS3_EEvT1_iilPiilS6_bb ; -- Begin function _ZN9rocsolver6v33100L18getri_kernel_smallILi13E19rocblas_complex_numIfEPS3_EEvT1_iilPiilS6_bb
	.p2align	8
	.type	_ZN9rocsolver6v33100L18getri_kernel_smallILi13E19rocblas_complex_numIfEPS3_EEvT1_iilPiilS6_bb,@function
_ZN9rocsolver6v33100L18getri_kernel_smallILi13E19rocblas_complex_numIfEPS3_EEvT1_iilPiilS6_bb: ; @_ZN9rocsolver6v33100L18getri_kernel_smallILi13E19rocblas_complex_numIfEPS3_EEvT1_iilPiilS6_bb
; %bb.0:
	s_add_u32 s0, s0, s7
	s_addc_u32 s1, s1, 0
	s_mov_b32 s7, exec_lo
	v_cmpx_gt_u32_e32 13, v0
	s_cbranch_execz .LBB12_66
; %bb.1:
	s_clause 0x2
	s_load_dword s7, s[4:5], 0x38
	s_load_dwordx4 s[16:19], s[4:5], 0x10
	s_load_dwordx4 s[8:11], s[4:5], 0x28
                                        ; implicit-def: $sgpr20_sgpr21
	s_waitcnt lgkmcnt(0)
	s_bitcmp1_b32 s7, 8
	s_cselect_b32 s22, -1, 0
	s_bfe_u32 s12, s7, 0x10008
	s_ashr_i32 s7, s6, 31
	s_cmp_eq_u32 s12, 0
	s_cbranch_scc1 .LBB12_3
; %bb.2:
	s_load_dword s12, s[4:5], 0x20
	s_mul_i32 s13, s8, s7
	s_mul_hi_u32 s14, s8, s6
	s_mul_i32 s9, s9, s6
	s_add_i32 s13, s14, s13
	s_mul_i32 s8, s8, s6
	s_add_i32 s9, s13, s9
	s_lshl_b64 s[8:9], s[8:9], 2
	s_waitcnt lgkmcnt(0)
	s_ashr_i32 s13, s12, 31
	s_add_u32 s14, s18, s8
	s_addc_u32 s15, s19, s9
	s_lshl_b64 s[8:9], s[12:13], 2
	s_add_u32 s20, s14, s8
	s_addc_u32 s21, s15, s9
.LBB12_3:
	s_clause 0x1
	s_load_dwordx4 s[12:15], s[4:5], 0x0
	s_load_dword s8, s[4:5], 0x38
	s_mul_i32 s4, s16, s7
	s_mul_hi_u32 s5, s16, s6
	s_mul_i32 s9, s17, s6
	s_add_i32 s5, s5, s4
	s_mul_i32 s4, s16, s6
	s_add_i32 s5, s5, s9
	v_lshlrev_b32_e32 v29, 3, v0
	s_lshl_b64 s[4:5], s[4:5], 3
	s_waitcnt lgkmcnt(0)
	v_add3_u32 v3, s15, s15, v0
	s_ashr_i32 s17, s14, 31
	s_mov_b32 s16, s14
	s_add_u32 s9, s12, s4
	s_addc_u32 s13, s13, s5
	v_add_nc_u32_e32 v5, s15, v3
	s_lshl_b64 s[4:5], s[16:17], 3
	v_ashrrev_i32_e32 v4, 31, v3
	s_add_u32 s4, s9, s4
	s_addc_u32 s5, s13, s5
	v_add_nc_u32_e32 v9, s15, v5
	v_ashrrev_i32_e32 v6, 31, v5
	v_add_co_u32 v1, s9, s4, v29
	s_mov_b32 s12, s15
	s_ashr_i32 s13, s15, 31
	v_lshlrev_b64 v[7:8], 3, v[3:4]
	v_ashrrev_i32_e32 v10, 31, v9
	v_add_co_ci_u32_e64 v2, null, s5, 0, s9
	s_lshl_b64 s[12:13], s[12:13], 3
	v_lshlrev_b64 v[11:12], 3, v[5:6]
	v_add_nc_u32_e32 v15, s15, v9
	v_add_co_u32 v3, vcc_lo, v1, s12
	v_lshlrev_b64 v[13:14], 3, v[9:10]
	v_add_co_ci_u32_e64 v4, null, s13, v2, vcc_lo
	v_add_co_u32 v5, vcc_lo, s4, v7
	v_add_co_ci_u32_e64 v6, null, s5, v8, vcc_lo
	v_add_co_u32 v7, vcc_lo, s4, v11
	v_ashrrev_i32_e32 v16, 31, v15
	v_add_nc_u32_e32 v11, s15, v15
	v_add_co_ci_u32_e64 v8, null, s5, v12, vcc_lo
	v_add_co_u32 v9, vcc_lo, s4, v13
	v_add_co_ci_u32_e64 v10, null, s5, v14, vcc_lo
	v_lshlrev_b64 v[13:14], 3, v[15:16]
	v_add_nc_u32_e32 v15, s15, v11
	v_ashrrev_i32_e32 v12, 31, v11
	s_clause 0x4
	global_load_dwordx2 v[27:28], v29, s[4:5]
	global_load_dwordx2 v[30:31], v[3:4], off
	global_load_dwordx2 v[32:33], v[5:6], off
	global_load_dwordx2 v[34:35], v[7:8], off
	global_load_dwordx2 v[36:37], v[9:10], off
	s_bitcmp0_b32 s8, 0
	v_add_nc_u32_e32 v19, s15, v15
	v_lshlrev_b64 v[17:18], 3, v[11:12]
	v_add_co_u32 v11, vcc_lo, s4, v13
	v_add_co_ci_u32_e64 v12, null, s5, v14, vcc_lo
	v_add_nc_u32_e32 v21, s15, v19
	v_ashrrev_i32_e32 v20, 31, v19
	v_add_co_u32 v13, vcc_lo, s4, v17
	v_add_co_ci_u32_e64 v14, null, s5, v18, vcc_lo
	v_ashrrev_i32_e32 v22, 31, v21
	v_lshlrev_b64 v[17:18], 3, v[19:20]
	v_ashrrev_i32_e32 v16, 31, v15
	v_lshlrev_b64 v[19:20], 3, v[21:22]
	v_add_nc_u32_e32 v21, s15, v21
	v_lshlrev_b64 v[15:16], 3, v[15:16]
	v_add_nc_u32_e32 v23, s15, v21
	v_ashrrev_i32_e32 v22, 31, v21
	v_add_co_u32 v15, vcc_lo, s4, v15
	v_add_co_ci_u32_e64 v16, null, s5, v16, vcc_lo
	v_add_nc_u32_e32 v25, s15, v23
	v_ashrrev_i32_e32 v24, 31, v23
	v_lshlrev_b64 v[21:22], 3, v[21:22]
	v_add_co_u32 v17, vcc_lo, s4, v17
	v_ashrrev_i32_e32 v26, 31, v25
	v_lshlrev_b64 v[23:24], 3, v[23:24]
	v_add_co_ci_u32_e64 v18, null, s5, v18, vcc_lo
	v_add_co_u32 v19, vcc_lo, s4, v19
	v_lshlrev_b64 v[48:49], 3, v[25:26]
	v_add_co_ci_u32_e64 v20, null, s5, v20, vcc_lo
	v_add_co_u32 v21, vcc_lo, s4, v21
	v_add_co_ci_u32_e64 v22, null, s5, v22, vcc_lo
	v_add_co_u32 v25, vcc_lo, s4, v23
	v_add_co_ci_u32_e64 v26, null, s5, v24, vcc_lo
	v_add_co_u32 v23, vcc_lo, s4, v48
	v_add_co_ci_u32_e64 v24, null, s5, v49, vcc_lo
	s_clause 0x7
	global_load_dwordx2 v[38:39], v[11:12], off
	global_load_dwordx2 v[40:41], v[13:14], off
	;; [unrolled: 1-line block ×8, first 2 shown]
	s_mov_b32 s5, -1
	s_waitcnt vmcnt(12)
	buffer_store_dword v28, off, s[0:3], 0 offset:4
	buffer_store_dword v27, off, s[0:3], 0
	s_waitcnt vmcnt(11)
	buffer_store_dword v31, off, s[0:3], 0 offset:12
	buffer_store_dword v30, off, s[0:3], 0 offset:8
	s_waitcnt vmcnt(10)
	buffer_store_dword v33, off, s[0:3], 0 offset:20
	buffer_store_dword v32, off, s[0:3], 0 offset:16
	;; [unrolled: 3-line block ×12, first 2 shown]
	s_cbranch_scc1 .LBB12_64
; %bb.4:
	v_cmp_eq_u32_e64 s4, 0, v0
	s_and_saveexec_b32 s5, s4
; %bb.5:
	v_mov_b32_e32 v27, 0
	ds_write_b32 v27, v27 offset:104
; %bb.6:
	s_or_b32 exec_lo, exec_lo, s5
	v_lshl_add_u32 v31, v0, 3, 0
	s_waitcnt lgkmcnt(0)
	s_waitcnt_vscnt null, 0x0
	s_barrier
	buffer_gl0_inv
	s_clause 0x1
	buffer_load_dword v27, v31, s[0:3], 0 offen
	buffer_load_dword v28, v31, s[0:3], 0 offen offset:4
	s_waitcnt vmcnt(1)
	v_cmp_eq_f32_e32 vcc_lo, 0, v27
	s_waitcnt vmcnt(0)
	v_cmp_eq_f32_e64 s5, 0, v28
	s_and_b32 s5, vcc_lo, s5
	s_and_saveexec_b32 s8, s5
	s_cbranch_execz .LBB12_10
; %bb.7:
	v_mov_b32_e32 v27, 0
	s_mov_b32 s9, 0
	ds_read_b32 v28, v27 offset:104
	s_waitcnt lgkmcnt(0)
	v_readfirstlane_b32 s5, v28
	v_add_nc_u32_e32 v28, 1, v0
	s_cmp_eq_u32 s5, 0
	v_cmp_gt_i32_e32 vcc_lo, s5, v28
	s_cselect_b32 s12, -1, 0
	s_or_b32 s12, s12, vcc_lo
	s_and_b32 exec_lo, exec_lo, s12
	s_cbranch_execz .LBB12_10
; %bb.8:
	v_mov_b32_e32 v30, s5
.LBB12_9:                               ; =>This Inner Loop Header: Depth=1
	ds_cmpst_rtn_b32 v30, v27, v30, v28 offset:104
	s_waitcnt lgkmcnt(0)
	v_cmp_ne_u32_e32 vcc_lo, 0, v30
	v_cmp_le_i32_e64 s5, v30, v28
	s_and_b32 s5, vcc_lo, s5
	s_and_b32 s5, exec_lo, s5
	s_or_b32 s9, s5, s9
	s_andn2_b32 exec_lo, exec_lo, s9
	s_cbranch_execnz .LBB12_9
.LBB12_10:
	s_or_b32 exec_lo, exec_lo, s8
	v_mov_b32_e32 v27, 0
	s_barrier
	buffer_gl0_inv
	ds_read_b32 v28, v27 offset:104
	s_and_saveexec_b32 s5, s4
	s_cbranch_execz .LBB12_12
; %bb.11:
	s_lshl_b64 s[8:9], s[6:7], 2
	s_add_u32 s8, s10, s8
	s_addc_u32 s9, s11, s9
	s_waitcnt lgkmcnt(0)
	global_store_dword v27, v28, s[8:9]
.LBB12_12:
	s_or_b32 exec_lo, exec_lo, s5
	s_waitcnt lgkmcnt(0)
	v_cmp_ne_u32_e32 vcc_lo, 0, v28
	s_mov_b32 s5, 0
	s_cbranch_vccnz .LBB12_64
; %bb.13:
	s_clause 0x1
	buffer_load_dword v28, v31, s[0:3], 0 offen
	buffer_load_dword v30, v31, s[0:3], 0 offen offset:4
                                        ; implicit-def: $vgpr33
                                        ; implicit-def: $vgpr32
                                        ; implicit-def: $vgpr27
	s_waitcnt vmcnt(0)
	v_cmp_ngt_f32_e64 s5, |v28|, |v30|
	s_and_saveexec_b32 s8, s5
	s_xor_b32 s5, exec_lo, s8
	s_cbranch_execz .LBB12_15
; %bb.14:
	v_div_scale_f32 v27, null, v30, v30, v28
	v_div_scale_f32 v34, vcc_lo, v28, v30, v28
	v_rcp_f32_e32 v32, v27
	v_fma_f32 v33, -v27, v32, 1.0
	v_fmac_f32_e32 v32, v33, v32
	v_mul_f32_e32 v33, v34, v32
	v_fma_f32 v35, -v27, v33, v34
	v_fmac_f32_e32 v33, v35, v32
	v_fma_f32 v27, -v27, v33, v34
	v_div_fmas_f32 v27, v27, v32, v33
	v_div_fixup_f32 v27, v27, v30, v28
	v_fmac_f32_e32 v30, v28, v27
	v_div_scale_f32 v28, null, v30, v30, 1.0
	v_rcp_f32_e32 v32, v28
	v_fma_f32 v33, -v28, v32, 1.0
	v_fmac_f32_e32 v32, v33, v32
	v_div_scale_f32 v33, vcc_lo, 1.0, v30, 1.0
	v_mul_f32_e32 v34, v33, v32
	v_fma_f32 v35, -v28, v34, v33
	v_fmac_f32_e32 v34, v35, v32
	v_fma_f32 v28, -v28, v34, v33
	v_div_fmas_f32 v28, v28, v32, v34
	v_div_fixup_f32 v28, v28, v30, 1.0
                                        ; implicit-def: $vgpr30
	v_mul_f32_e32 v33, v27, v28
	v_xor_b32_e32 v32, 0x80000000, v28
                                        ; implicit-def: $vgpr28
	v_xor_b32_e32 v27, 0x80000000, v33
.LBB12_15:
	s_andn2_saveexec_b32 s5, s5
	s_cbranch_execz .LBB12_17
; %bb.16:
	v_div_scale_f32 v27, null, v28, v28, v30
	v_div_scale_f32 v34, vcc_lo, v30, v28, v30
	v_rcp_f32_e32 v32, v27
	v_fma_f32 v33, -v27, v32, 1.0
	v_fmac_f32_e32 v32, v33, v32
	v_mul_f32_e32 v33, v34, v32
	v_fma_f32 v35, -v27, v33, v34
	v_fmac_f32_e32 v33, v35, v32
	v_fma_f32 v27, -v27, v33, v34
	v_div_fmas_f32 v27, v27, v32, v33
	v_div_fixup_f32 v32, v27, v28, v30
	v_fmac_f32_e32 v28, v30, v32
	v_div_scale_f32 v27, null, v28, v28, 1.0
	v_div_scale_f32 v34, vcc_lo, 1.0, v28, 1.0
	v_rcp_f32_e32 v30, v27
	v_fma_f32 v33, -v27, v30, 1.0
	v_fmac_f32_e32 v30, v33, v30
	v_mul_f32_e32 v33, v34, v30
	v_fma_f32 v35, -v27, v33, v34
	v_fmac_f32_e32 v33, v35, v30
	v_fma_f32 v27, -v27, v33, v34
	v_div_fmas_f32 v27, v27, v30, v33
	v_div_fixup_f32 v33, v27, v28, 1.0
	v_xor_b32_e32 v27, 0x80000000, v33
	v_mul_f32_e64 v32, v32, -v33
.LBB12_17:
	s_or_b32 exec_lo, exec_lo, s5
	buffer_store_dword v33, v31, s[0:3], 0 offen
	buffer_store_dword v32, v31, s[0:3], 0 offen offset:4
	s_clause 0x1
	buffer_load_dword v34, off, s[0:3], 0 offset:12
	buffer_load_dword v33, off, s[0:3], 0 offset:8
	v_xor_b32_e32 v28, 0x80000000, v32
	v_add_nc_u32_e32 v30, 0x70, v29
	s_waitcnt vmcnt(0)
	ds_write2_b64 v29, v[27:28], v[33:34] offset1:14
	s_waitcnt lgkmcnt(0)
	s_waitcnt_vscnt null, 0x0
	s_barrier
	buffer_gl0_inv
	s_and_saveexec_b32 s5, s4
	s_cbranch_execz .LBB12_19
; %bb.18:
	s_clause 0x1
	buffer_load_dword v34, v31, s[0:3], 0 offen offset:4
	buffer_load_dword v35, v31, s[0:3], 0 offen
	ds_read_b64 v[27:28], v30
	v_mov_b32_e32 v32, 0
	ds_read_b64 v[32:33], v32 offset:8
	s_waitcnt vmcnt(1) lgkmcnt(1)
	v_mul_f32_e32 v36, v27, v34
	v_mul_f32_e32 v34, v28, v34
	s_waitcnt vmcnt(0)
	v_fmac_f32_e32 v36, v28, v35
	v_fma_f32 v27, v27, v35, -v34
	v_add_f32_e32 v28, 0, v36
	v_add_f32_e32 v27, 0, v27
	s_waitcnt lgkmcnt(0)
	v_mul_f32_e32 v34, v28, v33
	v_mul_f32_e32 v33, v27, v33
	v_fma_f32 v27, v27, v32, -v34
	v_fmac_f32_e32 v33, v28, v32
	buffer_store_dword v27, off, s[0:3], 0 offset:8
	buffer_store_dword v33, off, s[0:3], 0 offset:12
.LBB12_19:
	s_or_b32 exec_lo, exec_lo, s5
	s_waitcnt_vscnt null, 0x0
	s_barrier
	buffer_gl0_inv
	s_clause 0x1
	buffer_load_dword v27, off, s[0:3], 0 offset:16
	buffer_load_dword v28, off, s[0:3], 0 offset:20
	s_mov_b32 s5, exec_lo
	s_waitcnt vmcnt(0)
	ds_write_b64 v30, v[27:28]
	s_waitcnt lgkmcnt(0)
	s_barrier
	buffer_gl0_inv
	v_cmpx_gt_u32_e32 2, v0
	s_cbranch_execz .LBB12_23
; %bb.20:
	s_clause 0x1
	buffer_load_dword v32, v31, s[0:3], 0 offen offset:4
	buffer_load_dword v31, v31, s[0:3], 0 offen
	ds_read_b64 v[27:28], v30
	s_waitcnt vmcnt(1) lgkmcnt(0)
	v_mul_f32_e32 v33, v28, v32
	v_mul_f32_e32 v32, v27, v32
	s_waitcnt vmcnt(0)
	v_fma_f32 v27, v27, v31, -v33
	v_fmac_f32_e32 v32, v28, v31
	v_add_f32_e32 v28, 0, v27
	v_add_f32_e32 v27, 0, v32
	s_and_saveexec_b32 s8, s4
	s_cbranch_execz .LBB12_22
; %bb.21:
	s_clause 0x1
	buffer_load_dword v33, off, s[0:3], 0 offset:12
	buffer_load_dword v34, off, s[0:3], 0 offset:8
	v_mov_b32_e32 v31, 0
	ds_read_b64 v[31:32], v31 offset:120
	s_waitcnt vmcnt(1) lgkmcnt(0)
	v_mul_f32_e32 v35, v31, v33
	v_mul_f32_e32 v33, v32, v33
	s_waitcnt vmcnt(0)
	v_fmac_f32_e32 v35, v32, v34
	v_fma_f32 v31, v31, v34, -v33
	v_add_f32_e32 v27, v27, v35
	v_add_f32_e32 v28, v28, v31
.LBB12_22:
	s_or_b32 exec_lo, exec_lo, s8
	v_mov_b32_e32 v31, 0
	ds_read_b64 v[31:32], v31 offset:16
	s_waitcnt lgkmcnt(0)
	v_mul_f32_e32 v33, v27, v32
	v_mul_f32_e32 v32, v28, v32
	v_fma_f32 v28, v28, v31, -v33
	v_fmac_f32_e32 v32, v27, v31
	buffer_store_dword v28, off, s[0:3], 0 offset:16
	buffer_store_dword v32, off, s[0:3], 0 offset:20
.LBB12_23:
	s_or_b32 exec_lo, exec_lo, s5
	s_waitcnt_vscnt null, 0x0
	s_barrier
	buffer_gl0_inv
	s_clause 0x1
	buffer_load_dword v31, off, s[0:3], 0 offset:24
	buffer_load_dword v32, off, s[0:3], 0 offset:28
	v_add_nc_u32_e32 v27, -1, v0
	s_mov_b32 s4, exec_lo
	s_waitcnt vmcnt(0)
	ds_write_b64 v30, v[31:32]
	s_waitcnt lgkmcnt(0)
	s_barrier
	buffer_gl0_inv
	v_cmpx_gt_u32_e32 3, v0
	s_cbranch_execz .LBB12_27
; %bb.24:
	v_add_nc_u32_e32 v31, -1, v0
	v_add_nc_u32_e32 v32, 0x70, v29
	v_mov_b32_e32 v33, v29
	v_mov_b32_e32 v28, 0
	;; [unrolled: 1-line block ×3, first 2 shown]
	s_mov_b32 s5, 0
	.p2align	6
.LBB12_25:                              ; =>This Inner Loop Header: Depth=1
	s_clause 0x1
	buffer_load_dword v37, v33, s[0:3], 0 offen offset:4
	buffer_load_dword v38, v33, s[0:3], 0 offen
	ds_read_b64 v[35:36], v32
	v_add_nc_u32_e32 v31, 1, v31
	v_add_nc_u32_e32 v32, 8, v32
	;; [unrolled: 1-line block ×3, first 2 shown]
	v_cmp_lt_u32_e32 vcc_lo, 1, v31
	s_or_b32 s5, vcc_lo, s5
	s_waitcnt vmcnt(1) lgkmcnt(0)
	v_mul_f32_e32 v39, v36, v37
	v_mul_f32_e32 v37, v35, v37
	s_waitcnt vmcnt(0)
	v_fma_f32 v35, v35, v38, -v39
	v_fmac_f32_e32 v37, v36, v38
	v_add_f32_e32 v34, v34, v35
	v_add_f32_e32 v28, v28, v37
	s_andn2_b32 exec_lo, exec_lo, s5
	s_cbranch_execnz .LBB12_25
; %bb.26:
	s_or_b32 exec_lo, exec_lo, s5
	v_mov_b32_e32 v31, 0
	ds_read_b64 v[31:32], v31 offset:24
	s_waitcnt lgkmcnt(0)
	v_mul_f32_e32 v33, v28, v32
	v_mul_f32_e32 v32, v34, v32
	v_fma_f32 v33, v34, v31, -v33
	v_fmac_f32_e32 v32, v28, v31
	buffer_store_dword v33, off, s[0:3], 0 offset:24
	buffer_store_dword v32, off, s[0:3], 0 offset:28
.LBB12_27:
	s_or_b32 exec_lo, exec_lo, s4
	s_waitcnt_vscnt null, 0x0
	s_barrier
	buffer_gl0_inv
	s_clause 0x1
	buffer_load_dword v31, off, s[0:3], 0 offset:32
	buffer_load_dword v32, off, s[0:3], 0 offset:36
	s_mov_b32 s4, exec_lo
	s_waitcnt vmcnt(0)
	ds_write_b64 v30, v[31:32]
	s_waitcnt lgkmcnt(0)
	s_barrier
	buffer_gl0_inv
	v_cmpx_gt_u32_e32 4, v0
	s_cbranch_execz .LBB12_31
; %bb.28:
	v_add_nc_u32_e32 v31, -1, v0
	v_add_nc_u32_e32 v32, 0x70, v29
	v_mov_b32_e32 v33, v29
	v_mov_b32_e32 v28, 0
	;; [unrolled: 1-line block ×3, first 2 shown]
	s_mov_b32 s5, 0
	.p2align	6
.LBB12_29:                              ; =>This Inner Loop Header: Depth=1
	s_clause 0x1
	buffer_load_dword v37, v33, s[0:3], 0 offen offset:4
	buffer_load_dword v38, v33, s[0:3], 0 offen
	ds_read_b64 v[35:36], v32
	v_add_nc_u32_e32 v31, 1, v31
	v_add_nc_u32_e32 v32, 8, v32
	;; [unrolled: 1-line block ×3, first 2 shown]
	v_cmp_lt_u32_e32 vcc_lo, 2, v31
	s_or_b32 s5, vcc_lo, s5
	s_waitcnt vmcnt(1) lgkmcnt(0)
	v_mul_f32_e32 v39, v36, v37
	v_mul_f32_e32 v37, v35, v37
	s_waitcnt vmcnt(0)
	v_fma_f32 v35, v35, v38, -v39
	v_fmac_f32_e32 v37, v36, v38
	v_add_f32_e32 v34, v34, v35
	v_add_f32_e32 v28, v28, v37
	s_andn2_b32 exec_lo, exec_lo, s5
	s_cbranch_execnz .LBB12_29
; %bb.30:
	s_or_b32 exec_lo, exec_lo, s5
	v_mov_b32_e32 v31, 0
	ds_read_b64 v[31:32], v31 offset:32
	s_waitcnt lgkmcnt(0)
	v_mul_f32_e32 v33, v28, v32
	v_mul_f32_e32 v32, v34, v32
	v_fma_f32 v33, v34, v31, -v33
	v_fmac_f32_e32 v32, v28, v31
	buffer_store_dword v33, off, s[0:3], 0 offset:32
	buffer_store_dword v32, off, s[0:3], 0 offset:36
.LBB12_31:
	s_or_b32 exec_lo, exec_lo, s4
	s_waitcnt_vscnt null, 0x0
	s_barrier
	buffer_gl0_inv
	s_clause 0x1
	buffer_load_dword v31, off, s[0:3], 0 offset:40
	buffer_load_dword v32, off, s[0:3], 0 offset:44
	s_mov_b32 s4, exec_lo
	s_waitcnt vmcnt(0)
	ds_write_b64 v30, v[31:32]
	s_waitcnt lgkmcnt(0)
	s_barrier
	buffer_gl0_inv
	v_cmpx_gt_u32_e32 5, v0
	s_cbranch_execz .LBB12_35
; %bb.32:
	v_add_nc_u32_e32 v31, -1, v0
	v_add_nc_u32_e32 v32, 0x70, v29
	v_mov_b32_e32 v33, v29
	v_mov_b32_e32 v28, 0
	;; [unrolled: 1-line block ×3, first 2 shown]
	s_mov_b32 s5, 0
	.p2align	6
.LBB12_33:                              ; =>This Inner Loop Header: Depth=1
	s_clause 0x1
	buffer_load_dword v37, v33, s[0:3], 0 offen offset:4
	buffer_load_dword v38, v33, s[0:3], 0 offen
	ds_read_b64 v[35:36], v32
	v_add_nc_u32_e32 v31, 1, v31
	v_add_nc_u32_e32 v32, 8, v32
	v_add_nc_u32_e32 v33, 8, v33
	v_cmp_lt_u32_e32 vcc_lo, 3, v31
	s_or_b32 s5, vcc_lo, s5
	s_waitcnt vmcnt(1) lgkmcnt(0)
	v_mul_f32_e32 v39, v36, v37
	v_mul_f32_e32 v37, v35, v37
	s_waitcnt vmcnt(0)
	v_fma_f32 v35, v35, v38, -v39
	v_fmac_f32_e32 v37, v36, v38
	v_add_f32_e32 v34, v34, v35
	v_add_f32_e32 v28, v28, v37
	s_andn2_b32 exec_lo, exec_lo, s5
	s_cbranch_execnz .LBB12_33
; %bb.34:
	s_or_b32 exec_lo, exec_lo, s5
	v_mov_b32_e32 v31, 0
	ds_read_b64 v[31:32], v31 offset:40
	s_waitcnt lgkmcnt(0)
	v_mul_f32_e32 v33, v28, v32
	v_mul_f32_e32 v32, v34, v32
	v_fma_f32 v33, v34, v31, -v33
	v_fmac_f32_e32 v32, v28, v31
	buffer_store_dword v33, off, s[0:3], 0 offset:40
	buffer_store_dword v32, off, s[0:3], 0 offset:44
.LBB12_35:
	s_or_b32 exec_lo, exec_lo, s4
	s_waitcnt_vscnt null, 0x0
	s_barrier
	buffer_gl0_inv
	s_clause 0x1
	buffer_load_dword v31, off, s[0:3], 0 offset:48
	buffer_load_dword v32, off, s[0:3], 0 offset:52
	s_mov_b32 s4, exec_lo
	s_waitcnt vmcnt(0)
	ds_write_b64 v30, v[31:32]
	s_waitcnt lgkmcnt(0)
	s_barrier
	buffer_gl0_inv
	v_cmpx_gt_u32_e32 6, v0
	s_cbranch_execz .LBB12_39
; %bb.36:
	v_add_nc_u32_e32 v31, -1, v0
	v_add_nc_u32_e32 v32, 0x70, v29
	v_mov_b32_e32 v33, v29
	v_mov_b32_e32 v28, 0
	;; [unrolled: 1-line block ×3, first 2 shown]
	s_mov_b32 s5, 0
	.p2align	6
.LBB12_37:                              ; =>This Inner Loop Header: Depth=1
	s_clause 0x1
	buffer_load_dword v37, v33, s[0:3], 0 offen offset:4
	buffer_load_dword v38, v33, s[0:3], 0 offen
	ds_read_b64 v[35:36], v32
	v_add_nc_u32_e32 v31, 1, v31
	v_add_nc_u32_e32 v32, 8, v32
	;; [unrolled: 1-line block ×3, first 2 shown]
	v_cmp_lt_u32_e32 vcc_lo, 4, v31
	s_or_b32 s5, vcc_lo, s5
	s_waitcnt vmcnt(1) lgkmcnt(0)
	v_mul_f32_e32 v39, v36, v37
	v_mul_f32_e32 v37, v35, v37
	s_waitcnt vmcnt(0)
	v_fma_f32 v35, v35, v38, -v39
	v_fmac_f32_e32 v37, v36, v38
	v_add_f32_e32 v34, v34, v35
	v_add_f32_e32 v28, v28, v37
	s_andn2_b32 exec_lo, exec_lo, s5
	s_cbranch_execnz .LBB12_37
; %bb.38:
	s_or_b32 exec_lo, exec_lo, s5
	v_mov_b32_e32 v31, 0
	ds_read_b64 v[31:32], v31 offset:48
	s_waitcnt lgkmcnt(0)
	v_mul_f32_e32 v33, v28, v32
	v_mul_f32_e32 v32, v34, v32
	v_fma_f32 v33, v34, v31, -v33
	v_fmac_f32_e32 v32, v28, v31
	buffer_store_dword v33, off, s[0:3], 0 offset:48
	buffer_store_dword v32, off, s[0:3], 0 offset:52
.LBB12_39:
	s_or_b32 exec_lo, exec_lo, s4
	s_waitcnt_vscnt null, 0x0
	s_barrier
	buffer_gl0_inv
	s_clause 0x1
	buffer_load_dword v31, off, s[0:3], 0 offset:56
	buffer_load_dword v32, off, s[0:3], 0 offset:60
	s_mov_b32 s4, exec_lo
	s_waitcnt vmcnt(0)
	ds_write_b64 v30, v[31:32]
	s_waitcnt lgkmcnt(0)
	s_barrier
	buffer_gl0_inv
	v_cmpx_gt_u32_e32 7, v0
	s_cbranch_execz .LBB12_43
; %bb.40:
	v_add_nc_u32_e32 v31, -1, v0
	v_add_nc_u32_e32 v32, 0x70, v29
	v_mov_b32_e32 v33, v29
	v_mov_b32_e32 v28, 0
	;; [unrolled: 1-line block ×3, first 2 shown]
	s_mov_b32 s5, 0
	.p2align	6
.LBB12_41:                              ; =>This Inner Loop Header: Depth=1
	s_clause 0x1
	buffer_load_dword v37, v33, s[0:3], 0 offen offset:4
	buffer_load_dword v38, v33, s[0:3], 0 offen
	ds_read_b64 v[35:36], v32
	v_add_nc_u32_e32 v31, 1, v31
	v_add_nc_u32_e32 v32, 8, v32
	;; [unrolled: 1-line block ×3, first 2 shown]
	v_cmp_lt_u32_e32 vcc_lo, 5, v31
	s_or_b32 s5, vcc_lo, s5
	s_waitcnt vmcnt(1) lgkmcnt(0)
	v_mul_f32_e32 v39, v36, v37
	v_mul_f32_e32 v37, v35, v37
	s_waitcnt vmcnt(0)
	v_fma_f32 v35, v35, v38, -v39
	v_fmac_f32_e32 v37, v36, v38
	v_add_f32_e32 v34, v34, v35
	v_add_f32_e32 v28, v28, v37
	s_andn2_b32 exec_lo, exec_lo, s5
	s_cbranch_execnz .LBB12_41
; %bb.42:
	s_or_b32 exec_lo, exec_lo, s5
	v_mov_b32_e32 v31, 0
	ds_read_b64 v[31:32], v31 offset:56
	s_waitcnt lgkmcnt(0)
	v_mul_f32_e32 v33, v28, v32
	v_mul_f32_e32 v32, v34, v32
	v_fma_f32 v33, v34, v31, -v33
	v_fmac_f32_e32 v32, v28, v31
	buffer_store_dword v33, off, s[0:3], 0 offset:56
	buffer_store_dword v32, off, s[0:3], 0 offset:60
.LBB12_43:
	s_or_b32 exec_lo, exec_lo, s4
	s_waitcnt_vscnt null, 0x0
	s_barrier
	buffer_gl0_inv
	s_clause 0x1
	buffer_load_dword v31, off, s[0:3], 0 offset:64
	buffer_load_dword v32, off, s[0:3], 0 offset:68
	s_mov_b32 s4, exec_lo
	s_waitcnt vmcnt(0)
	ds_write_b64 v30, v[31:32]
	s_waitcnt lgkmcnt(0)
	s_barrier
	buffer_gl0_inv
	v_cmpx_gt_u32_e32 8, v0
	s_cbranch_execz .LBB12_47
; %bb.44:
	v_add_nc_u32_e32 v31, -1, v0
	v_add_nc_u32_e32 v32, 0x70, v29
	v_mov_b32_e32 v33, v29
	v_mov_b32_e32 v28, 0
	;; [unrolled: 1-line block ×3, first 2 shown]
	s_mov_b32 s5, 0
	.p2align	6
.LBB12_45:                              ; =>This Inner Loop Header: Depth=1
	s_clause 0x1
	buffer_load_dword v37, v33, s[0:3], 0 offen offset:4
	buffer_load_dword v38, v33, s[0:3], 0 offen
	ds_read_b64 v[35:36], v32
	v_add_nc_u32_e32 v31, 1, v31
	v_add_nc_u32_e32 v32, 8, v32
	;; [unrolled: 1-line block ×3, first 2 shown]
	v_cmp_lt_u32_e32 vcc_lo, 6, v31
	s_or_b32 s5, vcc_lo, s5
	s_waitcnt vmcnt(1) lgkmcnt(0)
	v_mul_f32_e32 v39, v36, v37
	v_mul_f32_e32 v37, v35, v37
	s_waitcnt vmcnt(0)
	v_fma_f32 v35, v35, v38, -v39
	v_fmac_f32_e32 v37, v36, v38
	v_add_f32_e32 v34, v34, v35
	v_add_f32_e32 v28, v28, v37
	s_andn2_b32 exec_lo, exec_lo, s5
	s_cbranch_execnz .LBB12_45
; %bb.46:
	s_or_b32 exec_lo, exec_lo, s5
	v_mov_b32_e32 v31, 0
	ds_read_b64 v[31:32], v31 offset:64
	s_waitcnt lgkmcnt(0)
	v_mul_f32_e32 v33, v28, v32
	v_mul_f32_e32 v32, v34, v32
	v_fma_f32 v33, v34, v31, -v33
	v_fmac_f32_e32 v32, v28, v31
	buffer_store_dword v33, off, s[0:3], 0 offset:64
	buffer_store_dword v32, off, s[0:3], 0 offset:68
.LBB12_47:
	s_or_b32 exec_lo, exec_lo, s4
	s_waitcnt_vscnt null, 0x0
	s_barrier
	buffer_gl0_inv
	s_clause 0x1
	buffer_load_dword v31, off, s[0:3], 0 offset:72
	buffer_load_dword v32, off, s[0:3], 0 offset:76
	s_mov_b32 s4, exec_lo
	s_waitcnt vmcnt(0)
	ds_write_b64 v30, v[31:32]
	s_waitcnt lgkmcnt(0)
	s_barrier
	buffer_gl0_inv
	v_cmpx_gt_u32_e32 9, v0
	s_cbranch_execz .LBB12_51
; %bb.48:
	v_add_nc_u32_e32 v31, -1, v0
	v_add_nc_u32_e32 v32, 0x70, v29
	v_mov_b32_e32 v33, v29
	v_mov_b32_e32 v28, 0
	;; [unrolled: 1-line block ×3, first 2 shown]
	s_mov_b32 s5, 0
	.p2align	6
.LBB12_49:                              ; =>This Inner Loop Header: Depth=1
	s_clause 0x1
	buffer_load_dword v37, v33, s[0:3], 0 offen offset:4
	buffer_load_dword v38, v33, s[0:3], 0 offen
	ds_read_b64 v[35:36], v32
	v_add_nc_u32_e32 v31, 1, v31
	v_add_nc_u32_e32 v32, 8, v32
	;; [unrolled: 1-line block ×3, first 2 shown]
	v_cmp_lt_u32_e32 vcc_lo, 7, v31
	s_or_b32 s5, vcc_lo, s5
	s_waitcnt vmcnt(1) lgkmcnt(0)
	v_mul_f32_e32 v39, v36, v37
	v_mul_f32_e32 v37, v35, v37
	s_waitcnt vmcnt(0)
	v_fma_f32 v35, v35, v38, -v39
	v_fmac_f32_e32 v37, v36, v38
	v_add_f32_e32 v34, v34, v35
	v_add_f32_e32 v28, v28, v37
	s_andn2_b32 exec_lo, exec_lo, s5
	s_cbranch_execnz .LBB12_49
; %bb.50:
	s_or_b32 exec_lo, exec_lo, s5
	v_mov_b32_e32 v31, 0
	ds_read_b64 v[31:32], v31 offset:72
	s_waitcnt lgkmcnt(0)
	v_mul_f32_e32 v33, v28, v32
	v_mul_f32_e32 v32, v34, v32
	v_fma_f32 v33, v34, v31, -v33
	v_fmac_f32_e32 v32, v28, v31
	buffer_store_dword v33, off, s[0:3], 0 offset:72
	buffer_store_dword v32, off, s[0:3], 0 offset:76
.LBB12_51:
	s_or_b32 exec_lo, exec_lo, s4
	s_waitcnt_vscnt null, 0x0
	s_barrier
	buffer_gl0_inv
	s_clause 0x1
	buffer_load_dword v31, off, s[0:3], 0 offset:80
	buffer_load_dword v32, off, s[0:3], 0 offset:84
	s_mov_b32 s4, exec_lo
	s_waitcnt vmcnt(0)
	ds_write_b64 v30, v[31:32]
	s_waitcnt lgkmcnt(0)
	s_barrier
	buffer_gl0_inv
	v_cmpx_gt_u32_e32 10, v0
	s_cbranch_execz .LBB12_55
; %bb.52:
	v_add_nc_u32_e32 v31, -1, v0
	v_add_nc_u32_e32 v32, 0x70, v29
	v_mov_b32_e32 v33, v29
	v_mov_b32_e32 v28, 0
	;; [unrolled: 1-line block ×3, first 2 shown]
	s_mov_b32 s5, 0
	.p2align	6
.LBB12_53:                              ; =>This Inner Loop Header: Depth=1
	s_clause 0x1
	buffer_load_dword v37, v33, s[0:3], 0 offen offset:4
	buffer_load_dword v38, v33, s[0:3], 0 offen
	ds_read_b64 v[35:36], v32
	v_add_nc_u32_e32 v31, 1, v31
	v_add_nc_u32_e32 v32, 8, v32
	;; [unrolled: 1-line block ×3, first 2 shown]
	v_cmp_lt_u32_e32 vcc_lo, 8, v31
	s_or_b32 s5, vcc_lo, s5
	s_waitcnt vmcnt(1) lgkmcnt(0)
	v_mul_f32_e32 v39, v36, v37
	v_mul_f32_e32 v37, v35, v37
	s_waitcnt vmcnt(0)
	v_fma_f32 v35, v35, v38, -v39
	v_fmac_f32_e32 v37, v36, v38
	v_add_f32_e32 v34, v34, v35
	v_add_f32_e32 v28, v28, v37
	s_andn2_b32 exec_lo, exec_lo, s5
	s_cbranch_execnz .LBB12_53
; %bb.54:
	s_or_b32 exec_lo, exec_lo, s5
	v_mov_b32_e32 v31, 0
	ds_read_b64 v[31:32], v31 offset:80
	s_waitcnt lgkmcnt(0)
	v_mul_f32_e32 v33, v28, v32
	v_mul_f32_e32 v32, v34, v32
	v_fma_f32 v33, v34, v31, -v33
	v_fmac_f32_e32 v32, v28, v31
	buffer_store_dword v33, off, s[0:3], 0 offset:80
	buffer_store_dword v32, off, s[0:3], 0 offset:84
.LBB12_55:
	s_or_b32 exec_lo, exec_lo, s4
	s_waitcnt_vscnt null, 0x0
	s_barrier
	buffer_gl0_inv
	s_clause 0x1
	buffer_load_dword v31, off, s[0:3], 0 offset:88
	buffer_load_dword v32, off, s[0:3], 0 offset:92
	s_mov_b32 s4, exec_lo
	s_waitcnt vmcnt(0)
	ds_write_b64 v30, v[31:32]
	s_waitcnt lgkmcnt(0)
	s_barrier
	buffer_gl0_inv
	v_cmpx_gt_u32_e32 11, v0
	s_cbranch_execz .LBB12_59
; %bb.56:
	v_add_nc_u32_e32 v31, -1, v0
	v_add_nc_u32_e32 v32, 0x70, v29
	v_mov_b32_e32 v33, v29
	v_mov_b32_e32 v28, 0
	;; [unrolled: 1-line block ×3, first 2 shown]
	s_mov_b32 s5, 0
	.p2align	6
.LBB12_57:                              ; =>This Inner Loop Header: Depth=1
	s_clause 0x1
	buffer_load_dword v37, v33, s[0:3], 0 offen offset:4
	buffer_load_dword v38, v33, s[0:3], 0 offen
	ds_read_b64 v[35:36], v32
	v_add_nc_u32_e32 v31, 1, v31
	v_add_nc_u32_e32 v32, 8, v32
	;; [unrolled: 1-line block ×3, first 2 shown]
	v_cmp_lt_u32_e32 vcc_lo, 9, v31
	s_or_b32 s5, vcc_lo, s5
	s_waitcnt vmcnt(1) lgkmcnt(0)
	v_mul_f32_e32 v39, v36, v37
	v_mul_f32_e32 v37, v35, v37
	s_waitcnt vmcnt(0)
	v_fma_f32 v35, v35, v38, -v39
	v_fmac_f32_e32 v37, v36, v38
	v_add_f32_e32 v34, v34, v35
	v_add_f32_e32 v28, v28, v37
	s_andn2_b32 exec_lo, exec_lo, s5
	s_cbranch_execnz .LBB12_57
; %bb.58:
	s_or_b32 exec_lo, exec_lo, s5
	v_mov_b32_e32 v31, 0
	ds_read_b64 v[31:32], v31 offset:88
	s_waitcnt lgkmcnt(0)
	v_mul_f32_e32 v33, v28, v32
	v_mul_f32_e32 v32, v34, v32
	v_fma_f32 v33, v34, v31, -v33
	v_fmac_f32_e32 v32, v28, v31
	buffer_store_dword v33, off, s[0:3], 0 offset:88
	buffer_store_dword v32, off, s[0:3], 0 offset:92
.LBB12_59:
	s_or_b32 exec_lo, exec_lo, s4
	s_waitcnt_vscnt null, 0x0
	s_barrier
	buffer_gl0_inv
	s_clause 0x1
	buffer_load_dword v31, off, s[0:3], 0 offset:96
	buffer_load_dword v32, off, s[0:3], 0 offset:100
	s_mov_b32 s4, exec_lo
	s_waitcnt vmcnt(0)
	ds_write_b64 v30, v[31:32]
	s_waitcnt lgkmcnt(0)
	s_barrier
	buffer_gl0_inv
	v_cmpx_ne_u32_e32 12, v0
	s_cbranch_execz .LBB12_63
; %bb.60:
	v_mov_b32_e32 v28, 0
	v_mov_b32_e32 v31, 0
	s_mov_b32 s5, 0
	.p2align	6
.LBB12_61:                              ; =>This Inner Loop Header: Depth=1
	s_clause 0x1
	buffer_load_dword v34, v29, s[0:3], 0 offen offset:4
	buffer_load_dword v35, v29, s[0:3], 0 offen
	ds_read_b64 v[32:33], v30
	v_add_nc_u32_e32 v27, 1, v27
	v_add_nc_u32_e32 v30, 8, v30
	;; [unrolled: 1-line block ×3, first 2 shown]
	v_cmp_lt_u32_e32 vcc_lo, 10, v27
	s_or_b32 s5, vcc_lo, s5
	s_waitcnt vmcnt(1) lgkmcnt(0)
	v_mul_f32_e32 v36, v33, v34
	v_mul_f32_e32 v34, v32, v34
	s_waitcnt vmcnt(0)
	v_fma_f32 v32, v32, v35, -v36
	v_fmac_f32_e32 v34, v33, v35
	v_add_f32_e32 v31, v31, v32
	v_add_f32_e32 v28, v28, v34
	s_andn2_b32 exec_lo, exec_lo, s5
	s_cbranch_execnz .LBB12_61
; %bb.62:
	s_or_b32 exec_lo, exec_lo, s5
	v_mov_b32_e32 v27, 0
	ds_read_b64 v[29:30], v27 offset:96
	s_waitcnt lgkmcnt(0)
	v_mul_f32_e32 v27, v28, v30
	v_mul_f32_e32 v30, v31, v30
	v_fma_f32 v27, v31, v29, -v27
	v_fmac_f32_e32 v30, v28, v29
	buffer_store_dword v27, off, s[0:3], 0 offset:96
	buffer_store_dword v30, off, s[0:3], 0 offset:100
.LBB12_63:
	s_or_b32 exec_lo, exec_lo, s4
	s_mov_b32 s5, -1
	s_waitcnt_vscnt null, 0x0
	s_barrier
	buffer_gl0_inv
.LBB12_64:
	s_and_b32 vcc_lo, exec_lo, s5
	s_cbranch_vccz .LBB12_66
; %bb.65:
	s_lshl_b64 s[4:5], s[6:7], 2
	v_mov_b32_e32 v27, 0
	s_add_u32 s4, s10, s4
	s_addc_u32 s5, s11, s5
	global_load_dword v27, v27, s[4:5]
	s_waitcnt vmcnt(0)
	v_cmp_ne_u32_e32 vcc_lo, 0, v27
	s_cbranch_vccz .LBB12_67
.LBB12_66:
	s_endpgm
.LBB12_67:
	v_lshl_add_u32 v27, v0, 3, 0x70
	s_mov_b32 s4, exec_lo
	v_cmpx_eq_u32_e32 12, v0
	s_cbranch_execz .LBB12_69
; %bb.68:
	s_clause 0x1
	buffer_load_dword v28, off, s[0:3], 0 offset:88
	buffer_load_dword v29, off, s[0:3], 0 offset:92
	v_mov_b32_e32 v30, 0
	buffer_store_dword v30, off, s[0:3], 0 offset:88
	buffer_store_dword v30, off, s[0:3], 0 offset:92
	s_waitcnt vmcnt(0)
	ds_write_b64 v27, v[28:29]
.LBB12_69:
	s_or_b32 exec_lo, exec_lo, s4
	s_waitcnt lgkmcnt(0)
	s_waitcnt_vscnt null, 0x0
	s_barrier
	buffer_gl0_inv
	s_clause 0x3
	buffer_load_dword v31, off, s[0:3], 0 offset:100
	buffer_load_dword v32, off, s[0:3], 0 offset:96
	;; [unrolled: 1-line block ×4, first 2 shown]
	v_mov_b32_e32 v28, 0
	s_mov_b32 s4, exec_lo
	ds_read_b64 v[29:30], v28 offset:208
	s_waitcnt vmcnt(3) lgkmcnt(0)
	v_mul_f32_e32 v35, v30, v31
	v_mul_f32_e32 v31, v29, v31
	s_waitcnt vmcnt(2)
	v_fma_f32 v29, v29, v32, -v35
	v_fmac_f32_e32 v31, v30, v32
	v_add_f32_e32 v29, 0, v29
	v_add_f32_e32 v30, 0, v31
	s_waitcnt vmcnt(1)
	v_sub_f32_e32 v29, v33, v29
	s_waitcnt vmcnt(0)
	v_sub_f32_e32 v30, v34, v30
	buffer_store_dword v29, off, s[0:3], 0 offset:88
	buffer_store_dword v30, off, s[0:3], 0 offset:92
	v_cmpx_lt_u32_e32 10, v0
	s_cbranch_execz .LBB12_71
; %bb.70:
	s_clause 0x1
	buffer_load_dword v29, off, s[0:3], 0 offset:80
	buffer_load_dword v30, off, s[0:3], 0 offset:84
	buffer_store_dword v28, off, s[0:3], 0 offset:80
	buffer_store_dword v28, off, s[0:3], 0 offset:84
	s_waitcnt vmcnt(0)
	ds_write_b64 v27, v[29:30]
.LBB12_71:
	s_or_b32 exec_lo, exec_lo, s4
	s_waitcnt lgkmcnt(0)
	s_waitcnt_vscnt null, 0x0
	s_barrier
	buffer_gl0_inv
	s_clause 0x5
	buffer_load_dword v32, off, s[0:3], 0 offset:92
	buffer_load_dword v33, off, s[0:3], 0 offset:100
	;; [unrolled: 1-line block ×6, first 2 shown]
	ds_read2_b64 v[28:31], v28 offset0:25 offset1:26
	s_mov_b32 s4, exec_lo
	s_waitcnt vmcnt(5) lgkmcnt(0)
	v_mul_f32_e32 v38, v29, v32
	v_mul_f32_e32 v32, v28, v32
	s_waitcnt vmcnt(4)
	v_mul_f32_e32 v39, v30, v33
	v_mul_f32_e32 v33, v31, v33
	s_waitcnt vmcnt(3)
	v_fma_f32 v28, v28, v34, -v38
	v_fmac_f32_e32 v32, v29, v34
	s_waitcnt vmcnt(2)
	v_fmac_f32_e32 v39, v31, v35
	v_fma_f32 v29, v30, v35, -v33
	v_add_f32_e32 v28, 0, v28
	v_add_f32_e32 v30, 0, v32
	;; [unrolled: 1-line block ×4, first 2 shown]
	s_waitcnt vmcnt(1)
	v_sub_f32_e32 v28, v36, v28
	s_waitcnt vmcnt(0)
	v_sub_f32_e32 v29, v37, v29
	buffer_store_dword v28, off, s[0:3], 0 offset:80
	buffer_store_dword v29, off, s[0:3], 0 offset:84
	v_cmpx_lt_u32_e32 9, v0
	s_cbranch_execz .LBB12_73
; %bb.72:
	s_clause 0x1
	buffer_load_dword v28, off, s[0:3], 0 offset:72
	buffer_load_dword v29, off, s[0:3], 0 offset:76
	v_mov_b32_e32 v30, 0
	buffer_store_dword v30, off, s[0:3], 0 offset:72
	buffer_store_dword v30, off, s[0:3], 0 offset:76
	s_waitcnt vmcnt(0)
	ds_write_b64 v27, v[28:29]
.LBB12_73:
	s_or_b32 exec_lo, exec_lo, s4
	s_waitcnt lgkmcnt(0)
	s_waitcnt_vscnt null, 0x0
	s_barrier
	buffer_gl0_inv
	s_clause 0x7
	buffer_load_dword v35, off, s[0:3], 0 offset:84
	buffer_load_dword v36, off, s[0:3], 0 offset:92
	;; [unrolled: 1-line block ×8, first 2 shown]
	v_mov_b32_e32 v28, 0
	ds_read_b128 v[29:32], v28 offset:192
	ds_read_b64 v[33:34], v28 offset:208
	s_mov_b32 s4, exec_lo
	s_waitcnt vmcnt(7) lgkmcnt(1)
	v_mul_f32_e32 v43, v30, v35
	v_mul_f32_e32 v35, v29, v35
	s_waitcnt vmcnt(6)
	v_mul_f32_e32 v44, v31, v36
	v_mul_f32_e32 v36, v32, v36
	s_waitcnt vmcnt(5) lgkmcnt(0)
	v_mul_f32_e32 v45, v33, v37
	s_waitcnt vmcnt(4)
	v_fma_f32 v29, v29, v38, -v43
	v_fmac_f32_e32 v35, v30, v38
	v_mul_f32_e32 v30, v34, v37
	s_waitcnt vmcnt(3)
	v_fma_f32 v31, v31, v39, -v36
	v_fmac_f32_e32 v44, v32, v39
	v_add_f32_e32 v29, 0, v29
	v_add_f32_e32 v32, 0, v35
	s_waitcnt vmcnt(2)
	v_fma_f32 v30, v33, v40, -v30
	v_fmac_f32_e32 v45, v34, v40
	v_add_f32_e32 v29, v29, v31
	v_add_f32_e32 v31, v32, v44
	;; [unrolled: 1-line block ×4, first 2 shown]
	s_waitcnt vmcnt(1)
	v_sub_f32_e32 v29, v41, v29
	s_waitcnt vmcnt(0)
	v_sub_f32_e32 v30, v42, v30
	buffer_store_dword v29, off, s[0:3], 0 offset:72
	buffer_store_dword v30, off, s[0:3], 0 offset:76
	v_cmpx_lt_u32_e32 8, v0
	s_cbranch_execz .LBB12_75
; %bb.74:
	s_clause 0x1
	buffer_load_dword v29, off, s[0:3], 0 offset:64
	buffer_load_dword v30, off, s[0:3], 0 offset:68
	buffer_store_dword v28, off, s[0:3], 0 offset:64
	buffer_store_dword v28, off, s[0:3], 0 offset:68
	s_waitcnt vmcnt(0)
	ds_write_b64 v27, v[29:30]
.LBB12_75:
	s_or_b32 exec_lo, exec_lo, s4
	s_waitcnt lgkmcnt(0)
	s_waitcnt_vscnt null, 0x0
	s_barrier
	buffer_gl0_inv
	s_clause 0x9
	buffer_load_dword v37, off, s[0:3], 0 offset:76
	buffer_load_dword v38, off, s[0:3], 0 offset:84
	;; [unrolled: 1-line block ×10, first 2 shown]
	ds_read2_b64 v[29:32], v28 offset0:23 offset1:24
	ds_read2_b64 v[33:36], v28 offset0:25 offset1:26
	s_mov_b32 s4, exec_lo
	s_waitcnt vmcnt(9) lgkmcnt(1)
	v_mul_f32_e32 v28, v29, v37
	v_mul_f32_e32 v37, v30, v37
	s_waitcnt vmcnt(8)
	v_mul_f32_e32 v47, v31, v38
	v_mul_f32_e32 v38, v32, v38
	s_waitcnt vmcnt(7) lgkmcnt(0)
	v_mul_f32_e32 v48, v33, v39
	s_waitcnt vmcnt(5)
	v_fmac_f32_e32 v28, v30, v41
	v_fma_f32 v29, v29, v41, -v37
	v_mul_f32_e32 v30, v34, v39
	s_waitcnt vmcnt(4)
	v_fma_f32 v31, v31, v42, -v38
	v_fmac_f32_e32 v47, v32, v42
	v_add_f32_e32 v28, 0, v28
	v_add_f32_e32 v29, 0, v29
	v_mul_f32_e32 v32, v36, v40
	s_waitcnt vmcnt(3)
	v_fma_f32 v30, v33, v43, -v30
	v_mul_f32_e32 v49, v35, v40
	v_fmac_f32_e32 v48, v34, v43
	v_add_f32_e32 v29, v29, v31
	v_add_f32_e32 v28, v28, v47
	s_waitcnt vmcnt(2)
	v_fma_f32 v31, v35, v44, -v32
	v_fmac_f32_e32 v49, v36, v44
	v_add_f32_e32 v29, v29, v30
	v_add_f32_e32 v28, v28, v48
	;; [unrolled: 1-line block ×4, first 2 shown]
	s_waitcnt vmcnt(1)
	v_sub_f32_e32 v29, v45, v29
	s_waitcnt vmcnt(0)
	v_sub_f32_e32 v28, v46, v28
	buffer_store_dword v29, off, s[0:3], 0 offset:64
	buffer_store_dword v28, off, s[0:3], 0 offset:68
	v_cmpx_lt_u32_e32 7, v0
	s_cbranch_execz .LBB12_77
; %bb.76:
	s_clause 0x1
	buffer_load_dword v28, off, s[0:3], 0 offset:56
	buffer_load_dword v29, off, s[0:3], 0 offset:60
	v_mov_b32_e32 v30, 0
	buffer_store_dword v30, off, s[0:3], 0 offset:56
	buffer_store_dword v30, off, s[0:3], 0 offset:60
	s_waitcnt vmcnt(0)
	ds_write_b64 v27, v[28:29]
.LBB12_77:
	s_or_b32 exec_lo, exec_lo, s4
	s_waitcnt lgkmcnt(0)
	s_waitcnt_vscnt null, 0x0
	s_barrier
	buffer_gl0_inv
	s_clause 0xb
	buffer_load_dword v39, off, s[0:3], 0 offset:68
	buffer_load_dword v40, off, s[0:3], 0 offset:76
	;; [unrolled: 1-line block ×12, first 2 shown]
	v_mov_b32_e32 v28, 0
	ds_read_b128 v[29:32], v28 offset:176
	ds_read_b128 v[33:36], v28 offset:192
	ds_read_b64 v[37:38], v28 offset:208
	s_mov_b32 s4, exec_lo
	s_waitcnt vmcnt(11) lgkmcnt(2)
	v_mul_f32_e32 v51, v29, v39
	v_mul_f32_e32 v39, v30, v39
	s_waitcnt vmcnt(10)
	v_mul_f32_e32 v52, v31, v40
	v_mul_f32_e32 v40, v32, v40
	s_waitcnt vmcnt(9) lgkmcnt(1)
	v_mul_f32_e32 v53, v33, v41
	s_waitcnt vmcnt(6)
	v_fmac_f32_e32 v51, v30, v44
	v_fma_f32 v29, v29, v44, -v39
	v_mul_f32_e32 v30, v34, v41
	s_waitcnt vmcnt(5)
	v_fma_f32 v31, v31, v45, -v40
	v_fmac_f32_e32 v52, v32, v45
	v_add_f32_e32 v32, 0, v51
	v_add_f32_e32 v29, 0, v29
	v_mul_f32_e32 v39, v36, v42
	s_waitcnt vmcnt(4)
	v_fma_f32 v30, v33, v46, -v30
	v_mul_f32_e32 v54, v35, v42
	v_fmac_f32_e32 v53, v34, v46
	v_add_f32_e32 v29, v29, v31
	v_add_f32_e32 v31, v32, v52
	s_waitcnt lgkmcnt(0)
	v_mul_f32_e32 v32, v38, v43
	s_waitcnt vmcnt(3)
	v_fma_f32 v33, v35, v47, -v39
	v_mul_f32_e32 v55, v37, v43
	v_add_f32_e32 v29, v29, v30
	v_fmac_f32_e32 v54, v36, v47
	v_add_f32_e32 v30, v31, v53
	s_waitcnt vmcnt(2)
	v_fma_f32 v31, v37, v48, -v32
	v_fmac_f32_e32 v55, v38, v48
	v_add_f32_e32 v29, v29, v33
	v_add_f32_e32 v30, v30, v54
	;; [unrolled: 1-line block ×4, first 2 shown]
	s_waitcnt vmcnt(1)
	v_sub_f32_e32 v29, v49, v29
	s_waitcnt vmcnt(0)
	v_sub_f32_e32 v30, v50, v30
	buffer_store_dword v29, off, s[0:3], 0 offset:56
	buffer_store_dword v30, off, s[0:3], 0 offset:60
	v_cmpx_lt_u32_e32 6, v0
	s_cbranch_execz .LBB12_79
; %bb.78:
	s_clause 0x1
	buffer_load_dword v29, off, s[0:3], 0 offset:48
	buffer_load_dword v30, off, s[0:3], 0 offset:52
	buffer_store_dword v28, off, s[0:3], 0 offset:48
	buffer_store_dword v28, off, s[0:3], 0 offset:52
	s_waitcnt vmcnt(0)
	ds_write_b64 v27, v[29:30]
.LBB12_79:
	s_or_b32 exec_lo, exec_lo, s4
	s_waitcnt lgkmcnt(0)
	s_waitcnt_vscnt null, 0x0
	s_barrier
	buffer_gl0_inv
	s_clause 0xd
	buffer_load_dword v41, off, s[0:3], 0 offset:60
	buffer_load_dword v42, off, s[0:3], 0 offset:68
	;; [unrolled: 1-line block ×14, first 2 shown]
	ds_read2_b64 v[29:32], v28 offset0:21 offset1:22
	ds_read2_b64 v[33:36], v28 offset0:23 offset1:24
	;; [unrolled: 1-line block ×3, first 2 shown]
	s_mov_b32 s4, exec_lo
	s_waitcnt vmcnt(13) lgkmcnt(2)
	v_mul_f32_e32 v28, v29, v41
	v_mul_f32_e32 v41, v30, v41
	s_waitcnt vmcnt(12)
	v_mul_f32_e32 v55, v31, v42
	v_mul_f32_e32 v42, v32, v42
	s_waitcnt vmcnt(11) lgkmcnt(1)
	v_mul_f32_e32 v56, v33, v43
	s_waitcnt vmcnt(10)
	v_mul_f32_e32 v57, v35, v44
	s_waitcnt vmcnt(7)
	v_fma_f32 v29, v29, v47, -v41
	v_fmac_f32_e32 v28, v30, v47
	v_mul_f32_e32 v30, v34, v43
	s_waitcnt vmcnt(6)
	v_fma_f32 v31, v31, v48, -v42
	v_fmac_f32_e32 v55, v32, v48
	v_add_f32_e32 v29, 0, v29
	v_add_f32_e32 v28, 0, v28
	v_mul_f32_e32 v32, v36, v44
	s_waitcnt vmcnt(5)
	v_fma_f32 v30, v33, v49, -v30
	v_fmac_f32_e32 v56, v34, v49
	v_add_f32_e32 v29, v29, v31
	v_add_f32_e32 v28, v28, v55
	s_waitcnt lgkmcnt(0)
	v_mul_f32_e32 v31, v38, v45
	s_waitcnt vmcnt(4)
	v_fma_f32 v32, v35, v50, -v32
	v_mul_f32_e32 v58, v37, v45
	v_add_f32_e32 v29, v29, v30
	v_fmac_f32_e32 v57, v36, v50
	v_add_f32_e32 v28, v28, v56
	v_mul_f32_e32 v30, v40, v46
	s_waitcnt vmcnt(3)
	v_fma_f32 v31, v37, v51, -v31
	v_add_f32_e32 v29, v29, v32
	v_mul_f32_e32 v59, v39, v46
	v_fmac_f32_e32 v58, v38, v51
	v_add_f32_e32 v28, v28, v57
	s_waitcnt vmcnt(2)
	v_fma_f32 v30, v39, v52, -v30
	v_add_f32_e32 v29, v29, v31
	v_fmac_f32_e32 v59, v40, v52
	v_add_f32_e32 v28, v28, v58
	v_add_f32_e32 v29, v29, v30
	;; [unrolled: 1-line block ×3, first 2 shown]
	s_waitcnt vmcnt(1)
	v_sub_f32_e32 v29, v53, v29
	s_waitcnt vmcnt(0)
	v_sub_f32_e32 v28, v54, v28
	buffer_store_dword v29, off, s[0:3], 0 offset:48
	buffer_store_dword v28, off, s[0:3], 0 offset:52
	v_cmpx_lt_u32_e32 5, v0
	s_cbranch_execz .LBB12_81
; %bb.80:
	s_clause 0x1
	buffer_load_dword v28, off, s[0:3], 0 offset:40
	buffer_load_dword v29, off, s[0:3], 0 offset:44
	v_mov_b32_e32 v30, 0
	buffer_store_dword v30, off, s[0:3], 0 offset:40
	buffer_store_dword v30, off, s[0:3], 0 offset:44
	s_waitcnt vmcnt(0)
	ds_write_b64 v27, v[28:29]
.LBB12_81:
	s_or_b32 exec_lo, exec_lo, s4
	s_waitcnt lgkmcnt(0)
	s_waitcnt_vscnt null, 0x0
	s_barrier
	buffer_gl0_inv
	s_clause 0xf
	buffer_load_dword v43, off, s[0:3], 0 offset:52
	buffer_load_dword v44, off, s[0:3], 0 offset:60
	;; [unrolled: 1-line block ×16, first 2 shown]
	v_mov_b32_e32 v28, 0
	ds_read_b128 v[29:32], v28 offset:160
	ds_read_b128 v[33:36], v28 offset:176
	;; [unrolled: 1-line block ×3, first 2 shown]
	ds_read_b64 v[41:42], v28 offset:208
	s_mov_b32 s4, exec_lo
	s_waitcnt vmcnt(15) lgkmcnt(3)
	v_mul_f32_e32 v59, v29, v43
	v_mul_f32_e32 v43, v30, v43
	s_waitcnt vmcnt(14)
	v_mul_f32_e32 v60, v31, v44
	v_mul_f32_e32 v44, v32, v44
	s_waitcnt vmcnt(13) lgkmcnt(2)
	v_mul_f32_e32 v61, v33, v45
	s_waitcnt vmcnt(12)
	v_mul_f32_e32 v62, v35, v46
	s_waitcnt vmcnt(11) lgkmcnt(1)
	v_mul_f32_e32 v63, v37, v47
	s_waitcnt vmcnt(8)
	v_fma_f32 v29, v29, v50, -v43
	v_fmac_f32_e32 v59, v30, v50
	v_mul_f32_e32 v30, v34, v45
	s_waitcnt vmcnt(7)
	v_fma_f32 v31, v31, v51, -v44
	v_fmac_f32_e32 v60, v32, v51
	v_add_f32_e32 v29, 0, v29
	v_add_f32_e32 v32, 0, v59
	v_mul_f32_e32 v43, v36, v46
	s_waitcnt vmcnt(6)
	v_fma_f32 v30, v33, v52, -v30
	v_fmac_f32_e32 v61, v34, v52
	v_add_f32_e32 v29, v29, v31
	v_add_f32_e32 v31, v32, v60
	;; [unrolled: 6-line block ×3, first 2 shown]
	v_mul_f32_e32 v31, v40, v48
	s_waitcnt vmcnt(4)
	v_fma_f32 v32, v37, v54, -v32
	v_mul_f32_e32 v64, v39, v48
	v_add_f32_e32 v29, v29, v33
	v_fmac_f32_e32 v63, v38, v54
	v_add_f32_e32 v30, v30, v62
	s_waitcnt lgkmcnt(0)
	v_mul_f32_e32 v33, v42, v49
	s_waitcnt vmcnt(3)
	v_fma_f32 v31, v39, v55, -v31
	v_add_f32_e32 v29, v29, v32
	v_mul_f32_e32 v65, v41, v49
	v_fmac_f32_e32 v64, v40, v55
	v_add_f32_e32 v30, v30, v63
	s_waitcnt vmcnt(2)
	v_fma_f32 v32, v41, v56, -v33
	v_add_f32_e32 v29, v29, v31
	v_fmac_f32_e32 v65, v42, v56
	v_add_f32_e32 v30, v30, v64
	v_add_f32_e32 v29, v29, v32
	;; [unrolled: 1-line block ×3, first 2 shown]
	s_waitcnt vmcnt(1)
	v_sub_f32_e32 v29, v57, v29
	s_waitcnt vmcnt(0)
	v_sub_f32_e32 v30, v58, v30
	buffer_store_dword v29, off, s[0:3], 0 offset:40
	buffer_store_dword v30, off, s[0:3], 0 offset:44
	v_cmpx_lt_u32_e32 4, v0
	s_cbranch_execz .LBB12_83
; %bb.82:
	s_clause 0x1
	buffer_load_dword v29, off, s[0:3], 0 offset:32
	buffer_load_dword v30, off, s[0:3], 0 offset:36
	buffer_store_dword v28, off, s[0:3], 0 offset:32
	buffer_store_dword v28, off, s[0:3], 0 offset:36
	s_waitcnt vmcnt(0)
	ds_write_b64 v27, v[29:30]
.LBB12_83:
	s_or_b32 exec_lo, exec_lo, s4
	s_waitcnt lgkmcnt(0)
	s_waitcnt_vscnt null, 0x0
	s_barrier
	buffer_gl0_inv
	s_clause 0x11
	buffer_load_dword v45, off, s[0:3], 0 offset:44
	buffer_load_dword v46, off, s[0:3], 0 offset:52
	;; [unrolled: 1-line block ×18, first 2 shown]
	ds_read2_b64 v[29:32], v28 offset0:19 offset1:20
	ds_read2_b64 v[33:36], v28 offset0:21 offset1:22
	;; [unrolled: 1-line block ×4, first 2 shown]
	s_mov_b32 s4, exec_lo
	s_waitcnt vmcnt(17) lgkmcnt(3)
	v_mul_f32_e32 v28, v29, v45
	v_mul_f32_e32 v45, v30, v45
	s_waitcnt vmcnt(16)
	v_mul_f32_e32 v63, v31, v46
	v_mul_f32_e32 v46, v32, v46
	s_waitcnt vmcnt(15) lgkmcnt(2)
	v_mul_f32_e32 v64, v33, v47
	s_waitcnt vmcnt(14)
	v_mul_f32_e32 v65, v35, v48
	s_waitcnt vmcnt(13) lgkmcnt(1)
	v_mul_f32_e32 v66, v37, v49
	s_waitcnt vmcnt(12)
	v_mul_f32_e32 v67, v39, v50
	s_waitcnt vmcnt(9)
	v_fma_f32 v29, v29, v53, -v45
	v_fmac_f32_e32 v28, v30, v53
	v_mul_f32_e32 v30, v34, v47
	s_waitcnt vmcnt(8)
	v_fma_f32 v31, v31, v54, -v46
	v_fmac_f32_e32 v63, v32, v54
	v_add_f32_e32 v29, 0, v29
	v_add_f32_e32 v28, 0, v28
	v_mul_f32_e32 v32, v36, v48
	s_waitcnt vmcnt(7)
	v_fma_f32 v30, v33, v55, -v30
	v_fmac_f32_e32 v64, v34, v55
	v_add_f32_e32 v29, v29, v31
	v_add_f32_e32 v28, v28, v63
	;; [unrolled: 6-line block ×4, first 2 shown]
	s_waitcnt lgkmcnt(0)
	v_mul_f32_e32 v32, v42, v51
	s_waitcnt vmcnt(4)
	v_fma_f32 v30, v39, v58, -v30
	v_mul_f32_e32 v68, v41, v51
	v_add_f32_e32 v29, v29, v31
	v_fmac_f32_e32 v67, v40, v58
	v_add_f32_e32 v28, v28, v66
	v_mul_f32_e32 v31, v44, v52
	s_waitcnt vmcnt(3)
	v_fma_f32 v32, v41, v59, -v32
	v_add_f32_e32 v29, v29, v30
	v_mul_f32_e32 v69, v43, v52
	v_fmac_f32_e32 v68, v42, v59
	v_add_f32_e32 v28, v28, v67
	s_waitcnt vmcnt(2)
	v_fma_f32 v30, v43, v60, -v31
	v_add_f32_e32 v29, v29, v32
	v_fmac_f32_e32 v69, v44, v60
	v_add_f32_e32 v28, v28, v68
	v_add_f32_e32 v29, v29, v30
	;; [unrolled: 1-line block ×3, first 2 shown]
	s_waitcnt vmcnt(1)
	v_sub_f32_e32 v29, v61, v29
	s_waitcnt vmcnt(0)
	v_sub_f32_e32 v28, v62, v28
	buffer_store_dword v29, off, s[0:3], 0 offset:32
	buffer_store_dword v28, off, s[0:3], 0 offset:36
	v_cmpx_lt_u32_e32 3, v0
	s_cbranch_execz .LBB12_85
; %bb.84:
	s_clause 0x1
	buffer_load_dword v28, off, s[0:3], 0 offset:24
	buffer_load_dword v29, off, s[0:3], 0 offset:28
	v_mov_b32_e32 v30, 0
	buffer_store_dword v30, off, s[0:3], 0 offset:24
	buffer_store_dword v30, off, s[0:3], 0 offset:28
	s_waitcnt vmcnt(0)
	ds_write_b64 v27, v[28:29]
.LBB12_85:
	s_or_b32 exec_lo, exec_lo, s4
	s_waitcnt lgkmcnt(0)
	s_waitcnt_vscnt null, 0x0
	s_barrier
	buffer_gl0_inv
	s_clause 0x13
	buffer_load_dword v47, off, s[0:3], 0 offset:36
	buffer_load_dword v48, off, s[0:3], 0 offset:44
	;; [unrolled: 1-line block ×20, first 2 shown]
	v_mov_b32_e32 v28, 0
	ds_read_b128 v[29:32], v28 offset:144
	ds_read_b128 v[33:36], v28 offset:160
	;; [unrolled: 1-line block ×4, first 2 shown]
	ds_read_b64 v[45:46], v28 offset:208
	s_mov_b32 s4, exec_lo
	s_waitcnt vmcnt(19) lgkmcnt(4)
	v_mul_f32_e32 v67, v29, v47
	v_mul_f32_e32 v47, v30, v47
	s_waitcnt vmcnt(18)
	v_mul_f32_e32 v68, v31, v48
	v_mul_f32_e32 v48, v32, v48
	s_waitcnt vmcnt(17) lgkmcnt(3)
	v_mul_f32_e32 v69, v33, v49
	s_waitcnt vmcnt(16)
	v_mul_f32_e32 v70, v35, v50
	s_waitcnt vmcnt(15) lgkmcnt(2)
	v_mul_f32_e32 v71, v37, v51
	s_waitcnt vmcnt(14)
	;; [unrolled: 4-line block ×3, first 2 shown]
	v_fma_f32 v29, v29, v56, -v47
	v_fmac_f32_e32 v67, v30, v56
	v_mul_f32_e32 v30, v34, v49
	s_waitcnt vmcnt(9)
	v_fma_f32 v31, v31, v57, -v48
	v_fmac_f32_e32 v68, v32, v57
	v_add_f32_e32 v29, 0, v29
	v_add_f32_e32 v32, 0, v67
	v_mul_f32_e32 v47, v36, v50
	s_waitcnt vmcnt(8)
	v_fma_f32 v30, v33, v58, -v30
	v_fmac_f32_e32 v69, v34, v58
	v_add_f32_e32 v29, v29, v31
	v_add_f32_e32 v31, v32, v68
	;; [unrolled: 6-line block ×5, first 2 shown]
	v_mul_f32_e32 v32, v44, v54
	s_waitcnt vmcnt(4)
	v_fma_f32 v33, v41, v62, -v33
	v_mul_f32_e32 v74, v43, v54
	v_add_f32_e32 v29, v29, v31
	v_fmac_f32_e32 v73, v42, v62
	v_add_f32_e32 v30, v30, v72
	s_waitcnt lgkmcnt(0)
	v_mul_f32_e32 v31, v46, v55
	s_waitcnt vmcnt(3)
	v_fma_f32 v32, v43, v63, -v32
	v_add_f32_e32 v29, v29, v33
	v_mul_f32_e32 v75, v45, v55
	v_fmac_f32_e32 v74, v44, v63
	v_add_f32_e32 v30, v30, v73
	s_waitcnt vmcnt(2)
	v_fma_f32 v31, v45, v64, -v31
	v_add_f32_e32 v29, v29, v32
	v_fmac_f32_e32 v75, v46, v64
	v_add_f32_e32 v30, v30, v74
	v_add_f32_e32 v29, v29, v31
	;; [unrolled: 1-line block ×3, first 2 shown]
	s_waitcnt vmcnt(1)
	v_sub_f32_e32 v29, v65, v29
	s_waitcnt vmcnt(0)
	v_sub_f32_e32 v30, v66, v30
	buffer_store_dword v29, off, s[0:3], 0 offset:24
	buffer_store_dword v30, off, s[0:3], 0 offset:28
	v_cmpx_lt_u32_e32 2, v0
	s_cbranch_execz .LBB12_87
; %bb.86:
	s_clause 0x1
	buffer_load_dword v29, off, s[0:3], 0 offset:16
	buffer_load_dword v30, off, s[0:3], 0 offset:20
	buffer_store_dword v28, off, s[0:3], 0 offset:16
	buffer_store_dword v28, off, s[0:3], 0 offset:20
	s_waitcnt vmcnt(0)
	ds_write_b64 v27, v[29:30]
.LBB12_87:
	s_or_b32 exec_lo, exec_lo, s4
	s_waitcnt lgkmcnt(0)
	s_waitcnt_vscnt null, 0x0
	s_barrier
	buffer_gl0_inv
	s_clause 0x15
	buffer_load_dword v49, off, s[0:3], 0 offset:28
	buffer_load_dword v50, off, s[0:3], 0 offset:36
	;; [unrolled: 1-line block ×22, first 2 shown]
	ds_read2_b64 v[29:32], v28 offset0:17 offset1:18
	ds_read2_b64 v[33:36], v28 offset0:19 offset1:20
	;; [unrolled: 1-line block ×5, first 2 shown]
	s_mov_b32 s4, exec_lo
	s_waitcnt vmcnt(21) lgkmcnt(4)
	v_mul_f32_e32 v28, v29, v49
	v_mul_f32_e32 v49, v30, v49
	s_waitcnt vmcnt(20)
	v_mul_f32_e32 v71, v31, v50
	v_mul_f32_e32 v50, v32, v50
	s_waitcnt vmcnt(19) lgkmcnt(3)
	v_mul_f32_e32 v72, v33, v51
	s_waitcnt vmcnt(18)
	v_mul_f32_e32 v73, v35, v52
	s_waitcnt vmcnt(17) lgkmcnt(2)
	v_mul_f32_e32 v74, v37, v53
	s_waitcnt vmcnt(16)
	;; [unrolled: 4-line block ×3, first 2 shown]
	v_mul_f32_e32 v77, v43, v56
	s_waitcnt vmcnt(11)
	v_fma_f32 v29, v29, v59, -v49
	v_fmac_f32_e32 v28, v30, v59
	v_mul_f32_e32 v30, v34, v51
	s_waitcnt vmcnt(10)
	v_fma_f32 v31, v31, v60, -v50
	v_fmac_f32_e32 v71, v32, v60
	v_add_f32_e32 v29, 0, v29
	v_add_f32_e32 v28, 0, v28
	v_mul_f32_e32 v32, v36, v52
	s_waitcnt vmcnt(9)
	v_fma_f32 v30, v33, v61, -v30
	v_fmac_f32_e32 v72, v34, v61
	v_add_f32_e32 v29, v29, v31
	v_add_f32_e32 v28, v28, v71
	;; [unrolled: 6-line block ×6, first 2 shown]
	s_waitcnt lgkmcnt(0)
	v_mul_f32_e32 v30, v46, v57
	s_waitcnt vmcnt(4)
	v_fma_f32 v31, v43, v66, -v31
	v_mul_f32_e32 v78, v45, v57
	v_add_f32_e32 v29, v29, v32
	v_fmac_f32_e32 v77, v44, v66
	v_add_f32_e32 v28, v28, v76
	v_mul_f32_e32 v32, v48, v58
	s_waitcnt vmcnt(3)
	v_fma_f32 v30, v45, v67, -v30
	v_add_f32_e32 v29, v29, v31
	v_mul_f32_e32 v79, v47, v58
	v_fmac_f32_e32 v78, v46, v67
	v_add_f32_e32 v28, v28, v77
	s_waitcnt vmcnt(2)
	v_fma_f32 v31, v47, v68, -v32
	v_add_f32_e32 v29, v29, v30
	v_fmac_f32_e32 v79, v48, v68
	v_add_f32_e32 v28, v28, v78
	v_add_f32_e32 v29, v29, v31
	;; [unrolled: 1-line block ×3, first 2 shown]
	s_waitcnt vmcnt(1)
	v_sub_f32_e32 v29, v69, v29
	s_waitcnt vmcnt(0)
	v_sub_f32_e32 v28, v70, v28
	buffer_store_dword v29, off, s[0:3], 0 offset:16
	buffer_store_dword v28, off, s[0:3], 0 offset:20
	v_cmpx_lt_u32_e32 1, v0
	s_cbranch_execz .LBB12_89
; %bb.88:
	s_clause 0x1
	buffer_load_dword v28, off, s[0:3], 0 offset:8
	buffer_load_dword v29, off, s[0:3], 0 offset:12
	v_mov_b32_e32 v30, 0
	buffer_store_dword v30, off, s[0:3], 0 offset:8
	buffer_store_dword v30, off, s[0:3], 0 offset:12
	s_waitcnt vmcnt(0)
	ds_write_b64 v27, v[28:29]
.LBB12_89:
	s_or_b32 exec_lo, exec_lo, s4
	s_waitcnt lgkmcnt(0)
	s_waitcnt_vscnt null, 0x0
	s_barrier
	buffer_gl0_inv
	s_clause 0x17
	buffer_load_dword v51, off, s[0:3], 0 offset:20
	buffer_load_dword v52, off, s[0:3], 0 offset:28
	;; [unrolled: 1-line block ×24, first 2 shown]
	v_mov_b32_e32 v28, 0
	ds_read_b128 v[29:32], v28 offset:128
	ds_read_b128 v[33:36], v28 offset:144
	;; [unrolled: 1-line block ×5, first 2 shown]
	ds_read_b64 v[49:50], v28 offset:208
	s_mov_b32 s4, exec_lo
	s_waitcnt vmcnt(23) lgkmcnt(5)
	v_mul_f32_e32 v75, v29, v51
	v_mul_f32_e32 v51, v30, v51
	s_waitcnt vmcnt(22)
	v_mul_f32_e32 v76, v31, v52
	v_mul_f32_e32 v52, v32, v52
	s_waitcnt vmcnt(21) lgkmcnt(4)
	v_mul_f32_e32 v77, v33, v53
	s_waitcnt vmcnt(20)
	v_mul_f32_e32 v78, v35, v54
	s_waitcnt vmcnt(19) lgkmcnt(3)
	v_mul_f32_e32 v79, v37, v55
	s_waitcnt vmcnt(18)
	;; [unrolled: 4-line block ×4, first 2 shown]
	v_fma_f32 v29, v29, v62, -v51
	v_fmac_f32_e32 v75, v30, v62
	v_mul_f32_e32 v30, v34, v53
	s_waitcnt vmcnt(11)
	v_fma_f32 v31, v31, v63, -v52
	v_fmac_f32_e32 v76, v32, v63
	v_add_f32_e32 v29, 0, v29
	v_add_f32_e32 v32, 0, v75
	v_mul_f32_e32 v51, v36, v54
	s_waitcnt vmcnt(10)
	v_fma_f32 v30, v33, v64, -v30
	v_fmac_f32_e32 v77, v34, v64
	v_add_f32_e32 v29, v29, v31
	v_add_f32_e32 v31, v32, v76
	;; [unrolled: 6-line block ×7, first 2 shown]
	v_mul_f32_e32 v33, v48, v60
	s_waitcnt vmcnt(4)
	v_fma_f32 v31, v45, v70, -v31
	v_mul_f32_e32 v84, v47, v60
	v_add_f32_e32 v29, v29, v32
	v_fmac_f32_e32 v83, v46, v70
	v_add_f32_e32 v30, v30, v82
	s_waitcnt lgkmcnt(0)
	v_mul_f32_e32 v32, v50, v61
	s_waitcnt vmcnt(3)
	v_fma_f32 v33, v47, v71, -v33
	v_add_f32_e32 v29, v29, v31
	v_mul_f32_e32 v85, v49, v61
	v_fmac_f32_e32 v84, v48, v71
	v_add_f32_e32 v30, v30, v83
	s_waitcnt vmcnt(2)
	v_fma_f32 v31, v49, v72, -v32
	v_add_f32_e32 v29, v29, v33
	v_fmac_f32_e32 v85, v50, v72
	v_add_f32_e32 v30, v30, v84
	v_add_f32_e32 v29, v29, v31
	;; [unrolled: 1-line block ×3, first 2 shown]
	s_waitcnt vmcnt(1)
	v_sub_f32_e32 v29, v73, v29
	s_waitcnt vmcnt(0)
	v_sub_f32_e32 v30, v74, v30
	buffer_store_dword v29, off, s[0:3], 0 offset:8
	buffer_store_dword v30, off, s[0:3], 0 offset:12
	v_cmpx_ne_u32_e32 0, v0
	s_cbranch_execz .LBB12_91
; %bb.90:
	s_clause 0x1
	buffer_load_dword v29, off, s[0:3], 0
	buffer_load_dword v30, off, s[0:3], 0 offset:4
	buffer_store_dword v28, off, s[0:3], 0
	buffer_store_dword v28, off, s[0:3], 0 offset:4
	s_waitcnt vmcnt(0)
	ds_write_b64 v27, v[29:30]
.LBB12_91:
	s_or_b32 exec_lo, exec_lo, s4
	s_waitcnt lgkmcnt(0)
	s_waitcnt_vscnt null, 0x0
	s_barrier
	buffer_gl0_inv
	s_clause 0x19
	buffer_load_dword v53, off, s[0:3], 0 offset:12
	buffer_load_dword v54, off, s[0:3], 0 offset:20
	;; [unrolled: 1-line block ×24, first 2 shown]
	buffer_load_dword v75, off, s[0:3], 0
	buffer_load_dword v76, off, s[0:3], 0 offset:4
	ds_read2_b64 v[29:32], v28 offset0:15 offset1:16
	ds_read2_b64 v[33:36], v28 offset0:17 offset1:18
	;; [unrolled: 1-line block ×6, first 2 shown]
	s_and_b32 vcc_lo, exec_lo, s22
	s_waitcnt vmcnt(25) lgkmcnt(5)
	v_mul_f32_e32 v28, v29, v53
	v_mul_f32_e32 v53, v30, v53
	s_waitcnt vmcnt(24)
	v_mul_f32_e32 v77, v31, v54
	v_mul_f32_e32 v54, v32, v54
	s_waitcnt vmcnt(23) lgkmcnt(4)
	v_mul_f32_e32 v78, v33, v55
	s_waitcnt vmcnt(22)
	v_mul_f32_e32 v79, v35, v56
	s_waitcnt vmcnt(21) lgkmcnt(3)
	v_mul_f32_e32 v80, v37, v57
	s_waitcnt vmcnt(20)
	;; [unrolled: 4-line block ×4, first 2 shown]
	v_mul_f32_e32 v85, v47, v62
	s_waitcnt vmcnt(13)
	v_fma_f32 v29, v29, v64, -v53
	v_fmac_f32_e32 v28, v30, v64
	v_mul_f32_e32 v30, v34, v55
	s_waitcnt vmcnt(12)
	v_fma_f32 v31, v31, v65, -v54
	v_fmac_f32_e32 v77, v32, v65
	v_add_f32_e32 v29, 0, v29
	v_add_f32_e32 v28, 0, v28
	v_mul_f32_e32 v32, v36, v56
	s_waitcnt vmcnt(11)
	v_fma_f32 v30, v33, v66, -v30
	v_fmac_f32_e32 v78, v34, v66
	v_add_f32_e32 v29, v29, v31
	v_add_f32_e32 v28, v28, v77
	;; [unrolled: 6-line block ×8, first 2 shown]
	s_waitcnt lgkmcnt(0)
	v_mul_f32_e32 v31, v50, v0
	s_waitcnt vmcnt(4)
	v_fma_f32 v32, v47, v73, -v32
	v_mul_f32_e32 v86, v49, v0
	v_add_f32_e32 v29, v29, v30
	v_fmac_f32_e32 v85, v48, v73
	v_add_f32_e32 v28, v28, v84
	v_mul_f32_e32 v30, v52, v63
	s_waitcnt vmcnt(3)
	v_fma_f32 v31, v49, v27, -v31
	v_add_f32_e32 v29, v29, v32
	v_mul_f32_e32 v87, v51, v63
	v_fmac_f32_e32 v86, v50, v27
	v_add_f32_e32 v28, v28, v85
	s_waitcnt vmcnt(2)
	v_fma_f32 v30, v51, v74, -v30
	v_add_f32_e32 v29, v29, v31
	v_fmac_f32_e32 v87, v52, v74
	v_add_f32_e32 v28, v28, v86
	v_add_f32_e32 v29, v29, v30
	;; [unrolled: 1-line block ×3, first 2 shown]
	s_waitcnt vmcnt(1)
	v_sub_f32_e32 v29, v75, v29
	s_waitcnt vmcnt(0)
	v_sub_f32_e32 v28, v76, v28
	buffer_store_dword v29, off, s[0:3], 0
	buffer_store_dword v28, off, s[0:3], 0 offset:4
	s_cbranch_vccz .LBB12_116
; %bb.92:
	v_mov_b32_e32 v28, 0
	global_load_dword v29, v28, s[20:21] offset:44
	s_waitcnt vmcnt(0)
	v_add_nc_u32_e32 v29, -1, v29
	v_cmp_ne_u32_e32 vcc_lo, 11, v29
	s_cbranch_vccz .LBB12_94
; %bb.93:
	v_lshlrev_b32_e32 v29, 3, v29
	s_clause 0x1
	buffer_load_dword v30, v29, s[0:3], 0 offen
	buffer_load_dword v31, v29, s[0:3], 0 offen offset:4
	s_waitcnt vmcnt(1)
	buffer_store_dword v30, off, s[0:3], 0 offset:88
	s_waitcnt vmcnt(0)
	buffer_store_dword v31, off, s[0:3], 0 offset:92
	buffer_store_dword v27, v29, s[0:3], 0 offen
	buffer_store_dword v0, v29, s[0:3], 0 offen offset:4
.LBB12_94:
	global_load_dword v0, v28, s[20:21] offset:40
	s_waitcnt vmcnt(0)
	v_add_nc_u32_e32 v0, -1, v0
	v_cmp_eq_u32_e32 vcc_lo, 10, v0
	s_cbranch_vccnz .LBB12_96
; %bb.95:
	v_lshlrev_b32_e32 v0, 3, v0
	s_clause 0x3
	buffer_load_dword v27, v0, s[0:3], 0 offen
	buffer_load_dword v28, v0, s[0:3], 0 offen offset:4
	buffer_load_dword v29, off, s[0:3], 0 offset:84
	buffer_load_dword v30, off, s[0:3], 0 offset:80
	s_waitcnt vmcnt(3)
	buffer_store_dword v27, off, s[0:3], 0 offset:80
	s_waitcnt vmcnt(2)
	buffer_store_dword v28, off, s[0:3], 0 offset:84
	s_waitcnt vmcnt(1)
	buffer_store_dword v29, v0, s[0:3], 0 offen offset:4
	s_waitcnt vmcnt(0)
	buffer_store_dword v30, v0, s[0:3], 0 offen
.LBB12_96:
	v_mov_b32_e32 v0, 0
	global_load_dword v27, v0, s[20:21] offset:36
	s_waitcnt vmcnt(0)
	v_add_nc_u32_e32 v27, -1, v27
	v_cmp_eq_u32_e32 vcc_lo, 9, v27
	s_cbranch_vccnz .LBB12_98
; %bb.97:
	v_lshlrev_b32_e32 v27, 3, v27
	s_clause 0x3
	buffer_load_dword v28, v27, s[0:3], 0 offen
	buffer_load_dword v29, v27, s[0:3], 0 offen offset:4
	buffer_load_dword v30, off, s[0:3], 0 offset:72
	buffer_load_dword v31, off, s[0:3], 0 offset:76
	s_waitcnt vmcnt(3)
	buffer_store_dword v28, off, s[0:3], 0 offset:72
	s_waitcnt vmcnt(2)
	buffer_store_dword v29, off, s[0:3], 0 offset:76
	s_waitcnt vmcnt(1)
	buffer_store_dword v30, v27, s[0:3], 0 offen
	s_waitcnt vmcnt(0)
	buffer_store_dword v31, v27, s[0:3], 0 offen offset:4
.LBB12_98:
	global_load_dword v0, v0, s[20:21] offset:32
	s_waitcnt vmcnt(0)
	v_add_nc_u32_e32 v0, -1, v0
	v_cmp_eq_u32_e32 vcc_lo, 8, v0
	s_cbranch_vccnz .LBB12_100
; %bb.99:
	v_lshlrev_b32_e32 v0, 3, v0
	s_clause 0x3
	buffer_load_dword v27, v0, s[0:3], 0 offen
	buffer_load_dword v28, v0, s[0:3], 0 offen offset:4
	buffer_load_dword v29, off, s[0:3], 0 offset:68
	buffer_load_dword v30, off, s[0:3], 0 offset:64
	s_waitcnt vmcnt(3)
	buffer_store_dword v27, off, s[0:3], 0 offset:64
	s_waitcnt vmcnt(2)
	buffer_store_dword v28, off, s[0:3], 0 offset:68
	s_waitcnt vmcnt(1)
	buffer_store_dword v29, v0, s[0:3], 0 offen offset:4
	s_waitcnt vmcnt(0)
	buffer_store_dword v30, v0, s[0:3], 0 offen
.LBB12_100:
	v_mov_b32_e32 v0, 0
	global_load_dword v27, v0, s[20:21] offset:28
	s_waitcnt vmcnt(0)
	v_add_nc_u32_e32 v27, -1, v27
	v_cmp_eq_u32_e32 vcc_lo, 7, v27
	s_cbranch_vccnz .LBB12_102
; %bb.101:
	v_lshlrev_b32_e32 v27, 3, v27
	s_clause 0x3
	buffer_load_dword v28, v27, s[0:3], 0 offen
	buffer_load_dword v29, v27, s[0:3], 0 offen offset:4
	buffer_load_dword v30, off, s[0:3], 0 offset:56
	buffer_load_dword v31, off, s[0:3], 0 offset:60
	s_waitcnt vmcnt(3)
	buffer_store_dword v28, off, s[0:3], 0 offset:56
	s_waitcnt vmcnt(2)
	buffer_store_dword v29, off, s[0:3], 0 offset:60
	s_waitcnt vmcnt(1)
	buffer_store_dword v30, v27, s[0:3], 0 offen
	s_waitcnt vmcnt(0)
	buffer_store_dword v31, v27, s[0:3], 0 offen offset:4
.LBB12_102:
	;; [unrolled: 43-line block ×5, first 2 shown]
	global_load_dword v0, v0, s[20:21]
	s_waitcnt vmcnt(0)
	v_add_nc_u32_e32 v0, -1, v0
	v_cmp_eq_u32_e32 vcc_lo, 0, v0
	s_cbranch_vccnz .LBB12_116
; %bb.115:
	v_lshlrev_b32_e32 v0, 3, v0
	s_clause 0x3
	buffer_load_dword v27, v0, s[0:3], 0 offen
	buffer_load_dword v28, v0, s[0:3], 0 offen offset:4
	buffer_load_dword v29, off, s[0:3], 0 offset:4
	buffer_load_dword v30, off, s[0:3], 0
	s_waitcnt vmcnt(3)
	buffer_store_dword v27, off, s[0:3], 0
	s_waitcnt vmcnt(2)
	buffer_store_dword v28, off, s[0:3], 0 offset:4
	s_waitcnt vmcnt(1)
	buffer_store_dword v29, v0, s[0:3], 0 offen offset:4
	s_waitcnt vmcnt(0)
	buffer_store_dword v30, v0, s[0:3], 0 offen
.LBB12_116:
	s_clause 0x19
	buffer_load_dword v27, off, s[0:3], 0
	buffer_load_dword v28, off, s[0:3], 0 offset:4
	buffer_load_dword v29, off, s[0:3], 0 offset:8
	;; [unrolled: 1-line block ×25, first 2 shown]
	s_waitcnt vmcnt(24)
	global_store_dwordx2 v[1:2], v[27:28], off
	s_waitcnt vmcnt(22)
	global_store_dwordx2 v[3:4], v[29:30], off
	;; [unrolled: 2-line block ×9, first 2 shown]
	global_store_dwordx2 v[19:20], v[45:46], off
	global_store_dwordx2 v[21:22], v[47:48], off
	;; [unrolled: 1-line block ×3, first 2 shown]
	s_waitcnt vmcnt(0)
	global_store_dwordx2 v[23:24], v[51:52], off
	s_endpgm
	.section	.rodata,"a",@progbits
	.p2align	6, 0x0
	.amdhsa_kernel _ZN9rocsolver6v33100L18getri_kernel_smallILi13E19rocblas_complex_numIfEPS3_EEvT1_iilPiilS6_bb
		.amdhsa_group_segment_fixed_size 216
		.amdhsa_private_segment_fixed_size 112
		.amdhsa_kernarg_size 60
		.amdhsa_user_sgpr_count 6
		.amdhsa_user_sgpr_private_segment_buffer 1
		.amdhsa_user_sgpr_dispatch_ptr 0
		.amdhsa_user_sgpr_queue_ptr 0
		.amdhsa_user_sgpr_kernarg_segment_ptr 1
		.amdhsa_user_sgpr_dispatch_id 0
		.amdhsa_user_sgpr_flat_scratch_init 0
		.amdhsa_user_sgpr_private_segment_size 0
		.amdhsa_wavefront_size32 1
		.amdhsa_uses_dynamic_stack 0
		.amdhsa_system_sgpr_private_segment_wavefront_offset 1
		.amdhsa_system_sgpr_workgroup_id_x 1
		.amdhsa_system_sgpr_workgroup_id_y 0
		.amdhsa_system_sgpr_workgroup_id_z 0
		.amdhsa_system_sgpr_workgroup_info 0
		.amdhsa_system_vgpr_workitem_id 0
		.amdhsa_next_free_vgpr 88
		.amdhsa_next_free_sgpr 23
		.amdhsa_reserve_vcc 1
		.amdhsa_reserve_flat_scratch 0
		.amdhsa_float_round_mode_32 0
		.amdhsa_float_round_mode_16_64 0
		.amdhsa_float_denorm_mode_32 3
		.amdhsa_float_denorm_mode_16_64 3
		.amdhsa_dx10_clamp 1
		.amdhsa_ieee_mode 1
		.amdhsa_fp16_overflow 0
		.amdhsa_workgroup_processor_mode 1
		.amdhsa_memory_ordered 1
		.amdhsa_forward_progress 1
		.amdhsa_shared_vgpr_count 0
		.amdhsa_exception_fp_ieee_invalid_op 0
		.amdhsa_exception_fp_denorm_src 0
		.amdhsa_exception_fp_ieee_div_zero 0
		.amdhsa_exception_fp_ieee_overflow 0
		.amdhsa_exception_fp_ieee_underflow 0
		.amdhsa_exception_fp_ieee_inexact 0
		.amdhsa_exception_int_div_zero 0
	.end_amdhsa_kernel
	.section	.text._ZN9rocsolver6v33100L18getri_kernel_smallILi13E19rocblas_complex_numIfEPS3_EEvT1_iilPiilS6_bb,"axG",@progbits,_ZN9rocsolver6v33100L18getri_kernel_smallILi13E19rocblas_complex_numIfEPS3_EEvT1_iilPiilS6_bb,comdat
.Lfunc_end12:
	.size	_ZN9rocsolver6v33100L18getri_kernel_smallILi13E19rocblas_complex_numIfEPS3_EEvT1_iilPiilS6_bb, .Lfunc_end12-_ZN9rocsolver6v33100L18getri_kernel_smallILi13E19rocblas_complex_numIfEPS3_EEvT1_iilPiilS6_bb
                                        ; -- End function
	.set _ZN9rocsolver6v33100L18getri_kernel_smallILi13E19rocblas_complex_numIfEPS3_EEvT1_iilPiilS6_bb.num_vgpr, 88
	.set _ZN9rocsolver6v33100L18getri_kernel_smallILi13E19rocblas_complex_numIfEPS3_EEvT1_iilPiilS6_bb.num_agpr, 0
	.set _ZN9rocsolver6v33100L18getri_kernel_smallILi13E19rocblas_complex_numIfEPS3_EEvT1_iilPiilS6_bb.numbered_sgpr, 23
	.set _ZN9rocsolver6v33100L18getri_kernel_smallILi13E19rocblas_complex_numIfEPS3_EEvT1_iilPiilS6_bb.num_named_barrier, 0
	.set _ZN9rocsolver6v33100L18getri_kernel_smallILi13E19rocblas_complex_numIfEPS3_EEvT1_iilPiilS6_bb.private_seg_size, 112
	.set _ZN9rocsolver6v33100L18getri_kernel_smallILi13E19rocblas_complex_numIfEPS3_EEvT1_iilPiilS6_bb.uses_vcc, 1
	.set _ZN9rocsolver6v33100L18getri_kernel_smallILi13E19rocblas_complex_numIfEPS3_EEvT1_iilPiilS6_bb.uses_flat_scratch, 0
	.set _ZN9rocsolver6v33100L18getri_kernel_smallILi13E19rocblas_complex_numIfEPS3_EEvT1_iilPiilS6_bb.has_dyn_sized_stack, 0
	.set _ZN9rocsolver6v33100L18getri_kernel_smallILi13E19rocblas_complex_numIfEPS3_EEvT1_iilPiilS6_bb.has_recursion, 0
	.set _ZN9rocsolver6v33100L18getri_kernel_smallILi13E19rocblas_complex_numIfEPS3_EEvT1_iilPiilS6_bb.has_indirect_call, 0
	.section	.AMDGPU.csdata,"",@progbits
; Kernel info:
; codeLenInByte = 12588
; TotalNumSgprs: 25
; NumVgprs: 88
; ScratchSize: 112
; MemoryBound: 0
; FloatMode: 240
; IeeeMode: 1
; LDSByteSize: 216 bytes/workgroup (compile time only)
; SGPRBlocks: 0
; VGPRBlocks: 10
; NumSGPRsForWavesPerEU: 25
; NumVGPRsForWavesPerEU: 88
; Occupancy: 10
; WaveLimiterHint : 1
; COMPUTE_PGM_RSRC2:SCRATCH_EN: 1
; COMPUTE_PGM_RSRC2:USER_SGPR: 6
; COMPUTE_PGM_RSRC2:TRAP_HANDLER: 0
; COMPUTE_PGM_RSRC2:TGID_X_EN: 1
; COMPUTE_PGM_RSRC2:TGID_Y_EN: 0
; COMPUTE_PGM_RSRC2:TGID_Z_EN: 0
; COMPUTE_PGM_RSRC2:TIDIG_COMP_CNT: 0
	.section	.text._ZN9rocsolver6v33100L18getri_kernel_smallILi14E19rocblas_complex_numIfEPS3_EEvT1_iilPiilS6_bb,"axG",@progbits,_ZN9rocsolver6v33100L18getri_kernel_smallILi14E19rocblas_complex_numIfEPS3_EEvT1_iilPiilS6_bb,comdat
	.globl	_ZN9rocsolver6v33100L18getri_kernel_smallILi14E19rocblas_complex_numIfEPS3_EEvT1_iilPiilS6_bb ; -- Begin function _ZN9rocsolver6v33100L18getri_kernel_smallILi14E19rocblas_complex_numIfEPS3_EEvT1_iilPiilS6_bb
	.p2align	8
	.type	_ZN9rocsolver6v33100L18getri_kernel_smallILi14E19rocblas_complex_numIfEPS3_EEvT1_iilPiilS6_bb,@function
_ZN9rocsolver6v33100L18getri_kernel_smallILi14E19rocblas_complex_numIfEPS3_EEvT1_iilPiilS6_bb: ; @_ZN9rocsolver6v33100L18getri_kernel_smallILi14E19rocblas_complex_numIfEPS3_EEvT1_iilPiilS6_bb
; %bb.0:
	s_add_u32 s0, s0, s7
	s_addc_u32 s1, s1, 0
	s_mov_b32 s7, exec_lo
	v_cmpx_gt_u32_e32 14, v0
	s_cbranch_execz .LBB13_70
; %bb.1:
	s_clause 0x2
	s_load_dword s7, s[4:5], 0x38
	s_load_dwordx4 s[16:19], s[4:5], 0x10
	s_load_dwordx4 s[8:11], s[4:5], 0x28
                                        ; implicit-def: $sgpr20_sgpr21
	s_waitcnt lgkmcnt(0)
	s_bitcmp1_b32 s7, 8
	s_cselect_b32 s22, -1, 0
	s_bfe_u32 s12, s7, 0x10008
	s_ashr_i32 s7, s6, 31
	s_cmp_eq_u32 s12, 0
	s_cbranch_scc1 .LBB13_3
; %bb.2:
	s_load_dword s12, s[4:5], 0x20
	s_mul_i32 s13, s8, s7
	s_mul_hi_u32 s14, s8, s6
	s_mul_i32 s9, s9, s6
	s_add_i32 s13, s14, s13
	s_mul_i32 s8, s8, s6
	s_add_i32 s9, s13, s9
	s_lshl_b64 s[8:9], s[8:9], 2
	s_waitcnt lgkmcnt(0)
	s_ashr_i32 s13, s12, 31
	s_add_u32 s14, s18, s8
	s_addc_u32 s15, s19, s9
	s_lshl_b64 s[8:9], s[12:13], 2
	s_add_u32 s20, s14, s8
	s_addc_u32 s21, s15, s9
.LBB13_3:
	s_clause 0x1
	s_load_dwordx4 s[12:15], s[4:5], 0x0
	s_load_dword s8, s[4:5], 0x38
	s_mul_i32 s4, s16, s7
	s_mul_hi_u32 s5, s16, s6
	s_mul_i32 s9, s17, s6
	s_add_i32 s5, s5, s4
	s_mul_i32 s4, s16, s6
	s_add_i32 s5, s5, s9
	v_lshlrev_b32_e32 v31, 3, v0
	s_lshl_b64 s[4:5], s[4:5], 3
	s_waitcnt lgkmcnt(0)
	v_add3_u32 v3, s15, s15, v0
	s_ashr_i32 s17, s14, 31
	s_mov_b32 s16, s14
	s_add_u32 s9, s12, s4
	s_addc_u32 s13, s13, s5
	v_add_nc_u32_e32 v5, s15, v3
	s_lshl_b64 s[4:5], s[16:17], 3
	v_ashrrev_i32_e32 v4, 31, v3
	s_add_u32 s4, s9, s4
	s_addc_u32 s5, s13, s5
	v_add_nc_u32_e32 v9, s15, v5
	v_ashrrev_i32_e32 v6, 31, v5
	v_add_co_u32 v1, s9, s4, v31
	s_mov_b32 s12, s15
	s_ashr_i32 s13, s15, 31
	v_lshlrev_b64 v[7:8], 3, v[3:4]
	v_ashrrev_i32_e32 v10, 31, v9
	v_add_co_ci_u32_e64 v2, null, s5, 0, s9
	s_lshl_b64 s[12:13], s[12:13], 3
	v_lshlrev_b64 v[11:12], 3, v[5:6]
	v_add_nc_u32_e32 v15, s15, v9
	v_add_co_u32 v3, vcc_lo, v1, s12
	v_lshlrev_b64 v[13:14], 3, v[9:10]
	v_add_co_ci_u32_e64 v4, null, s13, v2, vcc_lo
	v_add_co_u32 v5, vcc_lo, s4, v7
	v_add_co_ci_u32_e64 v6, null, s5, v8, vcc_lo
	v_add_co_u32 v7, vcc_lo, s4, v11
	v_ashrrev_i32_e32 v16, 31, v15
	v_add_nc_u32_e32 v11, s15, v15
	v_add_co_ci_u32_e64 v8, null, s5, v12, vcc_lo
	v_add_co_u32 v9, vcc_lo, s4, v13
	v_add_co_ci_u32_e64 v10, null, s5, v14, vcc_lo
	v_lshlrev_b64 v[13:14], 3, v[15:16]
	v_add_nc_u32_e32 v15, s15, v11
	v_ashrrev_i32_e32 v12, 31, v11
	s_clause 0x4
	global_load_dwordx2 v[29:30], v31, s[4:5]
	global_load_dwordx2 v[32:33], v[3:4], off
	global_load_dwordx2 v[34:35], v[5:6], off
	;; [unrolled: 1-line block ×4, first 2 shown]
	s_bitcmp0_b32 s8, 0
	v_add_nc_u32_e32 v19, s15, v15
	v_lshlrev_b64 v[17:18], 3, v[11:12]
	v_add_co_u32 v11, vcc_lo, s4, v13
	v_add_co_ci_u32_e64 v12, null, s5, v14, vcc_lo
	v_ashrrev_i32_e32 v20, 31, v19
	v_add_co_u32 v13, vcc_lo, s4, v17
	v_add_co_ci_u32_e64 v14, null, s5, v18, vcc_lo
	v_lshlrev_b64 v[17:18], 3, v[19:20]
	v_add_nc_u32_e32 v19, s15, v19
	v_ashrrev_i32_e32 v16, 31, v15
	v_add_nc_u32_e32 v21, s15, v19
	v_ashrrev_i32_e32 v20, 31, v19
	v_lshlrev_b64 v[15:16], 3, v[15:16]
	v_add_nc_u32_e32 v24, s15, v21
	v_ashrrev_i32_e32 v22, 31, v21
	v_lshlrev_b64 v[19:20], 3, v[19:20]
	v_add_co_u32 v15, vcc_lo, s4, v15
	v_add_nc_u32_e32 v26, s15, v24
	v_lshlrev_b64 v[22:23], 3, v[21:22]
	v_add_co_ci_u32_e64 v16, null, s5, v16, vcc_lo
	v_add_co_u32 v17, vcc_lo, s4, v17
	v_add_nc_u32_e32 v48, s15, v26
	v_ashrrev_i32_e32 v25, 31, v24
	v_add_co_ci_u32_e64 v18, null, s5, v18, vcc_lo
	v_add_co_u32 v19, vcc_lo, s4, v19
	v_ashrrev_i32_e32 v27, 31, v26
	v_add_co_ci_u32_e64 v20, null, s5, v20, vcc_lo
	v_add_co_u32 v21, vcc_lo, s4, v22
	v_ashrrev_i32_e32 v49, 31, v48
	v_add_co_ci_u32_e64 v22, null, s5, v23, vcc_lo
	v_lshlrev_b64 v[23:24], 3, v[24:25]
	v_lshlrev_b64 v[25:26], 3, v[26:27]
	;; [unrolled: 1-line block ×3, first 2 shown]
	s_clause 0x5
	global_load_dwordx2 v[40:41], v[11:12], off
	global_load_dwordx2 v[42:43], v[13:14], off
	;; [unrolled: 1-line block ×6, first 2 shown]
	v_add_co_u32 v23, vcc_lo, s4, v23
	v_add_co_ci_u32_e64 v24, null, s5, v24, vcc_lo
	v_add_co_u32 v27, vcc_lo, s4, v25
	v_add_co_ci_u32_e64 v28, null, s5, v26, vcc_lo
	;; [unrolled: 2-line block ×3, first 2 shown]
	s_clause 0x2
	global_load_dwordx2 v[48:49], v[23:24], off
	global_load_dwordx2 v[54:55], v[27:28], off
	;; [unrolled: 1-line block ×3, first 2 shown]
	s_mov_b32 s5, -1
	s_waitcnt vmcnt(13)
	buffer_store_dword v30, off, s[0:3], 0 offset:4
	buffer_store_dword v29, off, s[0:3], 0
	s_waitcnt vmcnt(12)
	buffer_store_dword v33, off, s[0:3], 0 offset:12
	buffer_store_dword v32, off, s[0:3], 0 offset:8
	s_waitcnt vmcnt(11)
	buffer_store_dword v35, off, s[0:3], 0 offset:20
	buffer_store_dword v34, off, s[0:3], 0 offset:16
	;; [unrolled: 3-line block ×13, first 2 shown]
	s_cbranch_scc1 .LBB13_68
; %bb.4:
	v_cmp_eq_u32_e64 s4, 0, v0
	s_and_saveexec_b32 s5, s4
; %bb.5:
	v_mov_b32_e32 v29, 0
	ds_write_b32 v29, v29 offset:224
; %bb.6:
	s_or_b32 exec_lo, exec_lo, s5
	v_lshl_add_u32 v33, v0, 3, 0
	s_waitcnt lgkmcnt(0)
	s_waitcnt_vscnt null, 0x0
	s_barrier
	buffer_gl0_inv
	s_clause 0x1
	buffer_load_dword v29, v33, s[0:3], 0 offen
	buffer_load_dword v30, v33, s[0:3], 0 offen offset:4
	s_waitcnt vmcnt(1)
	v_cmp_eq_f32_e32 vcc_lo, 0, v29
	s_waitcnt vmcnt(0)
	v_cmp_eq_f32_e64 s5, 0, v30
	s_and_b32 s5, vcc_lo, s5
	s_and_saveexec_b32 s8, s5
	s_cbranch_execz .LBB13_10
; %bb.7:
	v_mov_b32_e32 v29, 0
	s_mov_b32 s9, 0
	ds_read_b32 v30, v29 offset:224
	s_waitcnt lgkmcnt(0)
	v_readfirstlane_b32 s5, v30
	v_add_nc_u32_e32 v30, 1, v0
	s_cmp_eq_u32 s5, 0
	v_cmp_gt_i32_e32 vcc_lo, s5, v30
	s_cselect_b32 s12, -1, 0
	s_or_b32 s12, s12, vcc_lo
	s_and_b32 exec_lo, exec_lo, s12
	s_cbranch_execz .LBB13_10
; %bb.8:
	v_mov_b32_e32 v32, s5
.LBB13_9:                               ; =>This Inner Loop Header: Depth=1
	ds_cmpst_rtn_b32 v32, v29, v32, v30 offset:224
	s_waitcnt lgkmcnt(0)
	v_cmp_ne_u32_e32 vcc_lo, 0, v32
	v_cmp_le_i32_e64 s5, v32, v30
	s_and_b32 s5, vcc_lo, s5
	s_and_b32 s5, exec_lo, s5
	s_or_b32 s9, s5, s9
	s_andn2_b32 exec_lo, exec_lo, s9
	s_cbranch_execnz .LBB13_9
.LBB13_10:
	s_or_b32 exec_lo, exec_lo, s8
	v_mov_b32_e32 v29, 0
	s_barrier
	buffer_gl0_inv
	ds_read_b32 v30, v29 offset:224
	s_and_saveexec_b32 s5, s4
	s_cbranch_execz .LBB13_12
; %bb.11:
	s_lshl_b64 s[8:9], s[6:7], 2
	s_add_u32 s8, s10, s8
	s_addc_u32 s9, s11, s9
	s_waitcnt lgkmcnt(0)
	global_store_dword v29, v30, s[8:9]
.LBB13_12:
	s_or_b32 exec_lo, exec_lo, s5
	s_waitcnt lgkmcnt(0)
	v_cmp_ne_u32_e32 vcc_lo, 0, v30
	s_mov_b32 s5, 0
	s_cbranch_vccnz .LBB13_68
; %bb.13:
	s_clause 0x1
	buffer_load_dword v30, v33, s[0:3], 0 offen
	buffer_load_dword v32, v33, s[0:3], 0 offen offset:4
                                        ; implicit-def: $vgpr35
                                        ; implicit-def: $vgpr34
                                        ; implicit-def: $vgpr29
	s_waitcnt vmcnt(0)
	v_cmp_ngt_f32_e64 s5, |v30|, |v32|
	s_and_saveexec_b32 s8, s5
	s_xor_b32 s5, exec_lo, s8
	s_cbranch_execz .LBB13_15
; %bb.14:
	v_div_scale_f32 v29, null, v32, v32, v30
	v_div_scale_f32 v36, vcc_lo, v30, v32, v30
	v_rcp_f32_e32 v34, v29
	v_fma_f32 v35, -v29, v34, 1.0
	v_fmac_f32_e32 v34, v35, v34
	v_mul_f32_e32 v35, v36, v34
	v_fma_f32 v37, -v29, v35, v36
	v_fmac_f32_e32 v35, v37, v34
	v_fma_f32 v29, -v29, v35, v36
	v_div_fmas_f32 v29, v29, v34, v35
	v_div_fixup_f32 v29, v29, v32, v30
	v_fmac_f32_e32 v32, v30, v29
	v_div_scale_f32 v30, null, v32, v32, 1.0
	v_rcp_f32_e32 v34, v30
	v_fma_f32 v35, -v30, v34, 1.0
	v_fmac_f32_e32 v34, v35, v34
	v_div_scale_f32 v35, vcc_lo, 1.0, v32, 1.0
	v_mul_f32_e32 v36, v35, v34
	v_fma_f32 v37, -v30, v36, v35
	v_fmac_f32_e32 v36, v37, v34
	v_fma_f32 v30, -v30, v36, v35
	v_div_fmas_f32 v30, v30, v34, v36
	v_div_fixup_f32 v30, v30, v32, 1.0
                                        ; implicit-def: $vgpr32
	v_mul_f32_e32 v35, v29, v30
	v_xor_b32_e32 v34, 0x80000000, v30
                                        ; implicit-def: $vgpr30
	v_xor_b32_e32 v29, 0x80000000, v35
.LBB13_15:
	s_andn2_saveexec_b32 s5, s5
	s_cbranch_execz .LBB13_17
; %bb.16:
	v_div_scale_f32 v29, null, v30, v30, v32
	v_div_scale_f32 v36, vcc_lo, v32, v30, v32
	v_rcp_f32_e32 v34, v29
	v_fma_f32 v35, -v29, v34, 1.0
	v_fmac_f32_e32 v34, v35, v34
	v_mul_f32_e32 v35, v36, v34
	v_fma_f32 v37, -v29, v35, v36
	v_fmac_f32_e32 v35, v37, v34
	v_fma_f32 v29, -v29, v35, v36
	v_div_fmas_f32 v29, v29, v34, v35
	v_div_fixup_f32 v34, v29, v30, v32
	v_fmac_f32_e32 v30, v32, v34
	v_div_scale_f32 v29, null, v30, v30, 1.0
	v_div_scale_f32 v36, vcc_lo, 1.0, v30, 1.0
	v_rcp_f32_e32 v32, v29
	v_fma_f32 v35, -v29, v32, 1.0
	v_fmac_f32_e32 v32, v35, v32
	v_mul_f32_e32 v35, v36, v32
	v_fma_f32 v37, -v29, v35, v36
	v_fmac_f32_e32 v35, v37, v32
	v_fma_f32 v29, -v29, v35, v36
	v_div_fmas_f32 v29, v29, v32, v35
	v_div_fixup_f32 v35, v29, v30, 1.0
	v_xor_b32_e32 v29, 0x80000000, v35
	v_mul_f32_e64 v34, v34, -v35
.LBB13_17:
	s_or_b32 exec_lo, exec_lo, s5
	buffer_store_dword v35, v33, s[0:3], 0 offen
	buffer_store_dword v34, v33, s[0:3], 0 offen offset:4
	s_clause 0x1
	buffer_load_dword v36, off, s[0:3], 0 offset:12
	buffer_load_dword v35, off, s[0:3], 0 offset:8
	v_xor_b32_e32 v30, 0x80000000, v34
	v_add_nc_u32_e32 v32, 0x70, v31
	s_waitcnt vmcnt(0)
	ds_write2_b64 v31, v[29:30], v[35:36] offset1:14
	s_waitcnt lgkmcnt(0)
	s_waitcnt_vscnt null, 0x0
	s_barrier
	buffer_gl0_inv
	s_and_saveexec_b32 s5, s4
	s_cbranch_execz .LBB13_19
; %bb.18:
	s_clause 0x1
	buffer_load_dword v36, v33, s[0:3], 0 offen offset:4
	buffer_load_dword v37, v33, s[0:3], 0 offen
	ds_read_b64 v[29:30], v32
	v_mov_b32_e32 v34, 0
	ds_read_b64 v[34:35], v34 offset:8
	s_waitcnt vmcnt(1) lgkmcnt(1)
	v_mul_f32_e32 v38, v29, v36
	v_mul_f32_e32 v36, v30, v36
	s_waitcnt vmcnt(0)
	v_fmac_f32_e32 v38, v30, v37
	v_fma_f32 v29, v29, v37, -v36
	v_add_f32_e32 v30, 0, v38
	v_add_f32_e32 v29, 0, v29
	s_waitcnt lgkmcnt(0)
	v_mul_f32_e32 v36, v30, v35
	v_mul_f32_e32 v35, v29, v35
	v_fma_f32 v29, v29, v34, -v36
	v_fmac_f32_e32 v35, v30, v34
	buffer_store_dword v29, off, s[0:3], 0 offset:8
	buffer_store_dword v35, off, s[0:3], 0 offset:12
.LBB13_19:
	s_or_b32 exec_lo, exec_lo, s5
	s_waitcnt_vscnt null, 0x0
	s_barrier
	buffer_gl0_inv
	s_clause 0x1
	buffer_load_dword v29, off, s[0:3], 0 offset:16
	buffer_load_dword v30, off, s[0:3], 0 offset:20
	s_mov_b32 s5, exec_lo
	s_waitcnt vmcnt(0)
	ds_write_b64 v32, v[29:30]
	s_waitcnt lgkmcnt(0)
	s_barrier
	buffer_gl0_inv
	v_cmpx_gt_u32_e32 2, v0
	s_cbranch_execz .LBB13_23
; %bb.20:
	s_clause 0x1
	buffer_load_dword v34, v33, s[0:3], 0 offen offset:4
	buffer_load_dword v33, v33, s[0:3], 0 offen
	ds_read_b64 v[29:30], v32
	s_waitcnt vmcnt(1) lgkmcnt(0)
	v_mul_f32_e32 v35, v30, v34
	v_mul_f32_e32 v34, v29, v34
	s_waitcnt vmcnt(0)
	v_fma_f32 v29, v29, v33, -v35
	v_fmac_f32_e32 v34, v30, v33
	v_add_f32_e32 v30, 0, v29
	v_add_f32_e32 v29, 0, v34
	s_and_saveexec_b32 s8, s4
	s_cbranch_execz .LBB13_22
; %bb.21:
	s_clause 0x1
	buffer_load_dword v35, off, s[0:3], 0 offset:12
	buffer_load_dword v36, off, s[0:3], 0 offset:8
	v_mov_b32_e32 v33, 0
	ds_read_b64 v[33:34], v33 offset:120
	s_waitcnt vmcnt(1) lgkmcnt(0)
	v_mul_f32_e32 v37, v33, v35
	v_mul_f32_e32 v35, v34, v35
	s_waitcnt vmcnt(0)
	v_fmac_f32_e32 v37, v34, v36
	v_fma_f32 v33, v33, v36, -v35
	v_add_f32_e32 v29, v29, v37
	v_add_f32_e32 v30, v30, v33
.LBB13_22:
	s_or_b32 exec_lo, exec_lo, s8
	v_mov_b32_e32 v33, 0
	ds_read_b64 v[33:34], v33 offset:16
	s_waitcnt lgkmcnt(0)
	v_mul_f32_e32 v35, v29, v34
	v_mul_f32_e32 v34, v30, v34
	v_fma_f32 v30, v30, v33, -v35
	v_fmac_f32_e32 v34, v29, v33
	buffer_store_dword v30, off, s[0:3], 0 offset:16
	buffer_store_dword v34, off, s[0:3], 0 offset:20
.LBB13_23:
	s_or_b32 exec_lo, exec_lo, s5
	s_waitcnt_vscnt null, 0x0
	s_barrier
	buffer_gl0_inv
	s_clause 0x1
	buffer_load_dword v33, off, s[0:3], 0 offset:24
	buffer_load_dword v34, off, s[0:3], 0 offset:28
	v_add_nc_u32_e32 v29, -1, v0
	s_mov_b32 s4, exec_lo
	s_waitcnt vmcnt(0)
	ds_write_b64 v32, v[33:34]
	s_waitcnt lgkmcnt(0)
	s_barrier
	buffer_gl0_inv
	v_cmpx_gt_u32_e32 3, v0
	s_cbranch_execz .LBB13_27
; %bb.24:
	v_add_nc_u32_e32 v33, -1, v0
	v_add_nc_u32_e32 v34, 0x70, v31
	v_mov_b32_e32 v35, v31
	v_mov_b32_e32 v30, 0
	;; [unrolled: 1-line block ×3, first 2 shown]
	s_mov_b32 s5, 0
	.p2align	6
.LBB13_25:                              ; =>This Inner Loop Header: Depth=1
	s_clause 0x1
	buffer_load_dword v39, v35, s[0:3], 0 offen offset:4
	buffer_load_dword v40, v35, s[0:3], 0 offen
	ds_read_b64 v[37:38], v34
	v_add_nc_u32_e32 v33, 1, v33
	v_add_nc_u32_e32 v34, 8, v34
	;; [unrolled: 1-line block ×3, first 2 shown]
	v_cmp_lt_u32_e32 vcc_lo, 1, v33
	s_or_b32 s5, vcc_lo, s5
	s_waitcnt vmcnt(1) lgkmcnt(0)
	v_mul_f32_e32 v41, v38, v39
	v_mul_f32_e32 v39, v37, v39
	s_waitcnt vmcnt(0)
	v_fma_f32 v37, v37, v40, -v41
	v_fmac_f32_e32 v39, v38, v40
	v_add_f32_e32 v36, v36, v37
	v_add_f32_e32 v30, v30, v39
	s_andn2_b32 exec_lo, exec_lo, s5
	s_cbranch_execnz .LBB13_25
; %bb.26:
	s_or_b32 exec_lo, exec_lo, s5
	v_mov_b32_e32 v33, 0
	ds_read_b64 v[33:34], v33 offset:24
	s_waitcnt lgkmcnt(0)
	v_mul_f32_e32 v35, v30, v34
	v_mul_f32_e32 v34, v36, v34
	v_fma_f32 v35, v36, v33, -v35
	v_fmac_f32_e32 v34, v30, v33
	buffer_store_dword v35, off, s[0:3], 0 offset:24
	buffer_store_dword v34, off, s[0:3], 0 offset:28
.LBB13_27:
	s_or_b32 exec_lo, exec_lo, s4
	s_waitcnt_vscnt null, 0x0
	s_barrier
	buffer_gl0_inv
	s_clause 0x1
	buffer_load_dword v33, off, s[0:3], 0 offset:32
	buffer_load_dword v34, off, s[0:3], 0 offset:36
	s_mov_b32 s4, exec_lo
	s_waitcnt vmcnt(0)
	ds_write_b64 v32, v[33:34]
	s_waitcnt lgkmcnt(0)
	s_barrier
	buffer_gl0_inv
	v_cmpx_gt_u32_e32 4, v0
	s_cbranch_execz .LBB13_31
; %bb.28:
	v_add_nc_u32_e32 v33, -1, v0
	v_add_nc_u32_e32 v34, 0x70, v31
	v_mov_b32_e32 v35, v31
	v_mov_b32_e32 v30, 0
	;; [unrolled: 1-line block ×3, first 2 shown]
	s_mov_b32 s5, 0
	.p2align	6
.LBB13_29:                              ; =>This Inner Loop Header: Depth=1
	s_clause 0x1
	buffer_load_dword v39, v35, s[0:3], 0 offen offset:4
	buffer_load_dword v40, v35, s[0:3], 0 offen
	ds_read_b64 v[37:38], v34
	v_add_nc_u32_e32 v33, 1, v33
	v_add_nc_u32_e32 v34, 8, v34
	;; [unrolled: 1-line block ×3, first 2 shown]
	v_cmp_lt_u32_e32 vcc_lo, 2, v33
	s_or_b32 s5, vcc_lo, s5
	s_waitcnt vmcnt(1) lgkmcnt(0)
	v_mul_f32_e32 v41, v38, v39
	v_mul_f32_e32 v39, v37, v39
	s_waitcnt vmcnt(0)
	v_fma_f32 v37, v37, v40, -v41
	v_fmac_f32_e32 v39, v38, v40
	v_add_f32_e32 v36, v36, v37
	v_add_f32_e32 v30, v30, v39
	s_andn2_b32 exec_lo, exec_lo, s5
	s_cbranch_execnz .LBB13_29
; %bb.30:
	s_or_b32 exec_lo, exec_lo, s5
	v_mov_b32_e32 v33, 0
	ds_read_b64 v[33:34], v33 offset:32
	s_waitcnt lgkmcnt(0)
	v_mul_f32_e32 v35, v30, v34
	v_mul_f32_e32 v34, v36, v34
	v_fma_f32 v35, v36, v33, -v35
	v_fmac_f32_e32 v34, v30, v33
	buffer_store_dword v35, off, s[0:3], 0 offset:32
	buffer_store_dword v34, off, s[0:3], 0 offset:36
.LBB13_31:
	s_or_b32 exec_lo, exec_lo, s4
	s_waitcnt_vscnt null, 0x0
	s_barrier
	buffer_gl0_inv
	s_clause 0x1
	buffer_load_dword v33, off, s[0:3], 0 offset:40
	buffer_load_dword v34, off, s[0:3], 0 offset:44
	s_mov_b32 s4, exec_lo
	s_waitcnt vmcnt(0)
	ds_write_b64 v32, v[33:34]
	s_waitcnt lgkmcnt(0)
	s_barrier
	buffer_gl0_inv
	v_cmpx_gt_u32_e32 5, v0
	s_cbranch_execz .LBB13_35
; %bb.32:
	v_add_nc_u32_e32 v33, -1, v0
	v_add_nc_u32_e32 v34, 0x70, v31
	v_mov_b32_e32 v35, v31
	v_mov_b32_e32 v30, 0
	v_mov_b32_e32 v36, 0
	s_mov_b32 s5, 0
	.p2align	6
.LBB13_33:                              ; =>This Inner Loop Header: Depth=1
	s_clause 0x1
	buffer_load_dword v39, v35, s[0:3], 0 offen offset:4
	buffer_load_dword v40, v35, s[0:3], 0 offen
	ds_read_b64 v[37:38], v34
	v_add_nc_u32_e32 v33, 1, v33
	v_add_nc_u32_e32 v34, 8, v34
	;; [unrolled: 1-line block ×3, first 2 shown]
	v_cmp_lt_u32_e32 vcc_lo, 3, v33
	s_or_b32 s5, vcc_lo, s5
	s_waitcnt vmcnt(1) lgkmcnt(0)
	v_mul_f32_e32 v41, v38, v39
	v_mul_f32_e32 v39, v37, v39
	s_waitcnt vmcnt(0)
	v_fma_f32 v37, v37, v40, -v41
	v_fmac_f32_e32 v39, v38, v40
	v_add_f32_e32 v36, v36, v37
	v_add_f32_e32 v30, v30, v39
	s_andn2_b32 exec_lo, exec_lo, s5
	s_cbranch_execnz .LBB13_33
; %bb.34:
	s_or_b32 exec_lo, exec_lo, s5
	v_mov_b32_e32 v33, 0
	ds_read_b64 v[33:34], v33 offset:40
	s_waitcnt lgkmcnt(0)
	v_mul_f32_e32 v35, v30, v34
	v_mul_f32_e32 v34, v36, v34
	v_fma_f32 v35, v36, v33, -v35
	v_fmac_f32_e32 v34, v30, v33
	buffer_store_dword v35, off, s[0:3], 0 offset:40
	buffer_store_dword v34, off, s[0:3], 0 offset:44
.LBB13_35:
	s_or_b32 exec_lo, exec_lo, s4
	s_waitcnt_vscnt null, 0x0
	s_barrier
	buffer_gl0_inv
	s_clause 0x1
	buffer_load_dword v33, off, s[0:3], 0 offset:48
	buffer_load_dword v34, off, s[0:3], 0 offset:52
	s_mov_b32 s4, exec_lo
	s_waitcnt vmcnt(0)
	ds_write_b64 v32, v[33:34]
	s_waitcnt lgkmcnt(0)
	s_barrier
	buffer_gl0_inv
	v_cmpx_gt_u32_e32 6, v0
	s_cbranch_execz .LBB13_39
; %bb.36:
	v_add_nc_u32_e32 v33, -1, v0
	v_add_nc_u32_e32 v34, 0x70, v31
	v_mov_b32_e32 v35, v31
	v_mov_b32_e32 v30, 0
	;; [unrolled: 1-line block ×3, first 2 shown]
	s_mov_b32 s5, 0
	.p2align	6
.LBB13_37:                              ; =>This Inner Loop Header: Depth=1
	s_clause 0x1
	buffer_load_dword v39, v35, s[0:3], 0 offen offset:4
	buffer_load_dword v40, v35, s[0:3], 0 offen
	ds_read_b64 v[37:38], v34
	v_add_nc_u32_e32 v33, 1, v33
	v_add_nc_u32_e32 v34, 8, v34
	;; [unrolled: 1-line block ×3, first 2 shown]
	v_cmp_lt_u32_e32 vcc_lo, 4, v33
	s_or_b32 s5, vcc_lo, s5
	s_waitcnt vmcnt(1) lgkmcnt(0)
	v_mul_f32_e32 v41, v38, v39
	v_mul_f32_e32 v39, v37, v39
	s_waitcnt vmcnt(0)
	v_fma_f32 v37, v37, v40, -v41
	v_fmac_f32_e32 v39, v38, v40
	v_add_f32_e32 v36, v36, v37
	v_add_f32_e32 v30, v30, v39
	s_andn2_b32 exec_lo, exec_lo, s5
	s_cbranch_execnz .LBB13_37
; %bb.38:
	s_or_b32 exec_lo, exec_lo, s5
	v_mov_b32_e32 v33, 0
	ds_read_b64 v[33:34], v33 offset:48
	s_waitcnt lgkmcnt(0)
	v_mul_f32_e32 v35, v30, v34
	v_mul_f32_e32 v34, v36, v34
	v_fma_f32 v35, v36, v33, -v35
	v_fmac_f32_e32 v34, v30, v33
	buffer_store_dword v35, off, s[0:3], 0 offset:48
	buffer_store_dword v34, off, s[0:3], 0 offset:52
.LBB13_39:
	s_or_b32 exec_lo, exec_lo, s4
	s_waitcnt_vscnt null, 0x0
	s_barrier
	buffer_gl0_inv
	s_clause 0x1
	buffer_load_dword v33, off, s[0:3], 0 offset:56
	buffer_load_dword v34, off, s[0:3], 0 offset:60
	s_mov_b32 s4, exec_lo
	s_waitcnt vmcnt(0)
	ds_write_b64 v32, v[33:34]
	s_waitcnt lgkmcnt(0)
	s_barrier
	buffer_gl0_inv
	v_cmpx_gt_u32_e32 7, v0
	s_cbranch_execz .LBB13_43
; %bb.40:
	v_add_nc_u32_e32 v33, -1, v0
	v_add_nc_u32_e32 v34, 0x70, v31
	v_mov_b32_e32 v35, v31
	v_mov_b32_e32 v30, 0
	;; [unrolled: 1-line block ×3, first 2 shown]
	s_mov_b32 s5, 0
	.p2align	6
.LBB13_41:                              ; =>This Inner Loop Header: Depth=1
	s_clause 0x1
	buffer_load_dword v39, v35, s[0:3], 0 offen offset:4
	buffer_load_dword v40, v35, s[0:3], 0 offen
	ds_read_b64 v[37:38], v34
	v_add_nc_u32_e32 v33, 1, v33
	v_add_nc_u32_e32 v34, 8, v34
	;; [unrolled: 1-line block ×3, first 2 shown]
	v_cmp_lt_u32_e32 vcc_lo, 5, v33
	s_or_b32 s5, vcc_lo, s5
	s_waitcnt vmcnt(1) lgkmcnt(0)
	v_mul_f32_e32 v41, v38, v39
	v_mul_f32_e32 v39, v37, v39
	s_waitcnt vmcnt(0)
	v_fma_f32 v37, v37, v40, -v41
	v_fmac_f32_e32 v39, v38, v40
	v_add_f32_e32 v36, v36, v37
	v_add_f32_e32 v30, v30, v39
	s_andn2_b32 exec_lo, exec_lo, s5
	s_cbranch_execnz .LBB13_41
; %bb.42:
	s_or_b32 exec_lo, exec_lo, s5
	v_mov_b32_e32 v33, 0
	ds_read_b64 v[33:34], v33 offset:56
	s_waitcnt lgkmcnt(0)
	v_mul_f32_e32 v35, v30, v34
	v_mul_f32_e32 v34, v36, v34
	v_fma_f32 v35, v36, v33, -v35
	v_fmac_f32_e32 v34, v30, v33
	buffer_store_dword v35, off, s[0:3], 0 offset:56
	buffer_store_dword v34, off, s[0:3], 0 offset:60
.LBB13_43:
	s_or_b32 exec_lo, exec_lo, s4
	s_waitcnt_vscnt null, 0x0
	s_barrier
	buffer_gl0_inv
	s_clause 0x1
	buffer_load_dword v33, off, s[0:3], 0 offset:64
	buffer_load_dword v34, off, s[0:3], 0 offset:68
	s_mov_b32 s4, exec_lo
	s_waitcnt vmcnt(0)
	ds_write_b64 v32, v[33:34]
	s_waitcnt lgkmcnt(0)
	s_barrier
	buffer_gl0_inv
	v_cmpx_gt_u32_e32 8, v0
	s_cbranch_execz .LBB13_47
; %bb.44:
	v_add_nc_u32_e32 v33, -1, v0
	v_add_nc_u32_e32 v34, 0x70, v31
	v_mov_b32_e32 v35, v31
	v_mov_b32_e32 v30, 0
	;; [unrolled: 1-line block ×3, first 2 shown]
	s_mov_b32 s5, 0
	.p2align	6
.LBB13_45:                              ; =>This Inner Loop Header: Depth=1
	s_clause 0x1
	buffer_load_dword v39, v35, s[0:3], 0 offen offset:4
	buffer_load_dword v40, v35, s[0:3], 0 offen
	ds_read_b64 v[37:38], v34
	v_add_nc_u32_e32 v33, 1, v33
	v_add_nc_u32_e32 v34, 8, v34
	;; [unrolled: 1-line block ×3, first 2 shown]
	v_cmp_lt_u32_e32 vcc_lo, 6, v33
	s_or_b32 s5, vcc_lo, s5
	s_waitcnt vmcnt(1) lgkmcnt(0)
	v_mul_f32_e32 v41, v38, v39
	v_mul_f32_e32 v39, v37, v39
	s_waitcnt vmcnt(0)
	v_fma_f32 v37, v37, v40, -v41
	v_fmac_f32_e32 v39, v38, v40
	v_add_f32_e32 v36, v36, v37
	v_add_f32_e32 v30, v30, v39
	s_andn2_b32 exec_lo, exec_lo, s5
	s_cbranch_execnz .LBB13_45
; %bb.46:
	s_or_b32 exec_lo, exec_lo, s5
	v_mov_b32_e32 v33, 0
	ds_read_b64 v[33:34], v33 offset:64
	s_waitcnt lgkmcnt(0)
	v_mul_f32_e32 v35, v30, v34
	v_mul_f32_e32 v34, v36, v34
	v_fma_f32 v35, v36, v33, -v35
	v_fmac_f32_e32 v34, v30, v33
	buffer_store_dword v35, off, s[0:3], 0 offset:64
	buffer_store_dword v34, off, s[0:3], 0 offset:68
.LBB13_47:
	s_or_b32 exec_lo, exec_lo, s4
	s_waitcnt_vscnt null, 0x0
	s_barrier
	buffer_gl0_inv
	s_clause 0x1
	buffer_load_dword v33, off, s[0:3], 0 offset:72
	buffer_load_dword v34, off, s[0:3], 0 offset:76
	s_mov_b32 s4, exec_lo
	s_waitcnt vmcnt(0)
	ds_write_b64 v32, v[33:34]
	s_waitcnt lgkmcnt(0)
	s_barrier
	buffer_gl0_inv
	v_cmpx_gt_u32_e32 9, v0
	s_cbranch_execz .LBB13_51
; %bb.48:
	v_add_nc_u32_e32 v33, -1, v0
	v_add_nc_u32_e32 v34, 0x70, v31
	v_mov_b32_e32 v35, v31
	v_mov_b32_e32 v30, 0
	;; [unrolled: 1-line block ×3, first 2 shown]
	s_mov_b32 s5, 0
	.p2align	6
.LBB13_49:                              ; =>This Inner Loop Header: Depth=1
	s_clause 0x1
	buffer_load_dword v39, v35, s[0:3], 0 offen offset:4
	buffer_load_dword v40, v35, s[0:3], 0 offen
	ds_read_b64 v[37:38], v34
	v_add_nc_u32_e32 v33, 1, v33
	v_add_nc_u32_e32 v34, 8, v34
	;; [unrolled: 1-line block ×3, first 2 shown]
	v_cmp_lt_u32_e32 vcc_lo, 7, v33
	s_or_b32 s5, vcc_lo, s5
	s_waitcnt vmcnt(1) lgkmcnt(0)
	v_mul_f32_e32 v41, v38, v39
	v_mul_f32_e32 v39, v37, v39
	s_waitcnt vmcnt(0)
	v_fma_f32 v37, v37, v40, -v41
	v_fmac_f32_e32 v39, v38, v40
	v_add_f32_e32 v36, v36, v37
	v_add_f32_e32 v30, v30, v39
	s_andn2_b32 exec_lo, exec_lo, s5
	s_cbranch_execnz .LBB13_49
; %bb.50:
	s_or_b32 exec_lo, exec_lo, s5
	v_mov_b32_e32 v33, 0
	ds_read_b64 v[33:34], v33 offset:72
	s_waitcnt lgkmcnt(0)
	v_mul_f32_e32 v35, v30, v34
	v_mul_f32_e32 v34, v36, v34
	v_fma_f32 v35, v36, v33, -v35
	v_fmac_f32_e32 v34, v30, v33
	buffer_store_dword v35, off, s[0:3], 0 offset:72
	buffer_store_dword v34, off, s[0:3], 0 offset:76
.LBB13_51:
	s_or_b32 exec_lo, exec_lo, s4
	s_waitcnt_vscnt null, 0x0
	s_barrier
	buffer_gl0_inv
	s_clause 0x1
	buffer_load_dword v33, off, s[0:3], 0 offset:80
	buffer_load_dword v34, off, s[0:3], 0 offset:84
	s_mov_b32 s4, exec_lo
	s_waitcnt vmcnt(0)
	ds_write_b64 v32, v[33:34]
	s_waitcnt lgkmcnt(0)
	s_barrier
	buffer_gl0_inv
	v_cmpx_gt_u32_e32 10, v0
	s_cbranch_execz .LBB13_55
; %bb.52:
	v_add_nc_u32_e32 v33, -1, v0
	v_add_nc_u32_e32 v34, 0x70, v31
	v_mov_b32_e32 v35, v31
	v_mov_b32_e32 v30, 0
	;; [unrolled: 1-line block ×3, first 2 shown]
	s_mov_b32 s5, 0
	.p2align	6
.LBB13_53:                              ; =>This Inner Loop Header: Depth=1
	s_clause 0x1
	buffer_load_dword v39, v35, s[0:3], 0 offen offset:4
	buffer_load_dword v40, v35, s[0:3], 0 offen
	ds_read_b64 v[37:38], v34
	v_add_nc_u32_e32 v33, 1, v33
	v_add_nc_u32_e32 v34, 8, v34
	v_add_nc_u32_e32 v35, 8, v35
	v_cmp_lt_u32_e32 vcc_lo, 8, v33
	s_or_b32 s5, vcc_lo, s5
	s_waitcnt vmcnt(1) lgkmcnt(0)
	v_mul_f32_e32 v41, v38, v39
	v_mul_f32_e32 v39, v37, v39
	s_waitcnt vmcnt(0)
	v_fma_f32 v37, v37, v40, -v41
	v_fmac_f32_e32 v39, v38, v40
	v_add_f32_e32 v36, v36, v37
	v_add_f32_e32 v30, v30, v39
	s_andn2_b32 exec_lo, exec_lo, s5
	s_cbranch_execnz .LBB13_53
; %bb.54:
	s_or_b32 exec_lo, exec_lo, s5
	v_mov_b32_e32 v33, 0
	ds_read_b64 v[33:34], v33 offset:80
	s_waitcnt lgkmcnt(0)
	v_mul_f32_e32 v35, v30, v34
	v_mul_f32_e32 v34, v36, v34
	v_fma_f32 v35, v36, v33, -v35
	v_fmac_f32_e32 v34, v30, v33
	buffer_store_dword v35, off, s[0:3], 0 offset:80
	buffer_store_dword v34, off, s[0:3], 0 offset:84
.LBB13_55:
	s_or_b32 exec_lo, exec_lo, s4
	s_waitcnt_vscnt null, 0x0
	s_barrier
	buffer_gl0_inv
	s_clause 0x1
	buffer_load_dword v33, off, s[0:3], 0 offset:88
	buffer_load_dword v34, off, s[0:3], 0 offset:92
	s_mov_b32 s4, exec_lo
	s_waitcnt vmcnt(0)
	ds_write_b64 v32, v[33:34]
	s_waitcnt lgkmcnt(0)
	s_barrier
	buffer_gl0_inv
	v_cmpx_gt_u32_e32 11, v0
	s_cbranch_execz .LBB13_59
; %bb.56:
	v_add_nc_u32_e32 v33, -1, v0
	v_add_nc_u32_e32 v34, 0x70, v31
	v_mov_b32_e32 v35, v31
	v_mov_b32_e32 v30, 0
	;; [unrolled: 1-line block ×3, first 2 shown]
	s_mov_b32 s5, 0
	.p2align	6
.LBB13_57:                              ; =>This Inner Loop Header: Depth=1
	s_clause 0x1
	buffer_load_dword v39, v35, s[0:3], 0 offen offset:4
	buffer_load_dword v40, v35, s[0:3], 0 offen
	ds_read_b64 v[37:38], v34
	v_add_nc_u32_e32 v33, 1, v33
	v_add_nc_u32_e32 v34, 8, v34
	;; [unrolled: 1-line block ×3, first 2 shown]
	v_cmp_lt_u32_e32 vcc_lo, 9, v33
	s_or_b32 s5, vcc_lo, s5
	s_waitcnt vmcnt(1) lgkmcnt(0)
	v_mul_f32_e32 v41, v38, v39
	v_mul_f32_e32 v39, v37, v39
	s_waitcnt vmcnt(0)
	v_fma_f32 v37, v37, v40, -v41
	v_fmac_f32_e32 v39, v38, v40
	v_add_f32_e32 v36, v36, v37
	v_add_f32_e32 v30, v30, v39
	s_andn2_b32 exec_lo, exec_lo, s5
	s_cbranch_execnz .LBB13_57
; %bb.58:
	s_or_b32 exec_lo, exec_lo, s5
	v_mov_b32_e32 v33, 0
	ds_read_b64 v[33:34], v33 offset:88
	s_waitcnt lgkmcnt(0)
	v_mul_f32_e32 v35, v30, v34
	v_mul_f32_e32 v34, v36, v34
	v_fma_f32 v35, v36, v33, -v35
	v_fmac_f32_e32 v34, v30, v33
	buffer_store_dword v35, off, s[0:3], 0 offset:88
	buffer_store_dword v34, off, s[0:3], 0 offset:92
.LBB13_59:
	s_or_b32 exec_lo, exec_lo, s4
	s_waitcnt_vscnt null, 0x0
	s_barrier
	buffer_gl0_inv
	s_clause 0x1
	buffer_load_dword v33, off, s[0:3], 0 offset:96
	buffer_load_dword v34, off, s[0:3], 0 offset:100
	s_mov_b32 s4, exec_lo
	s_waitcnt vmcnt(0)
	ds_write_b64 v32, v[33:34]
	s_waitcnt lgkmcnt(0)
	s_barrier
	buffer_gl0_inv
	v_cmpx_gt_u32_e32 12, v0
	s_cbranch_execz .LBB13_63
; %bb.60:
	v_add_nc_u32_e32 v33, -1, v0
	v_add_nc_u32_e32 v34, 0x70, v31
	v_mov_b32_e32 v35, v31
	v_mov_b32_e32 v30, 0
	;; [unrolled: 1-line block ×3, first 2 shown]
	s_mov_b32 s5, 0
	.p2align	6
.LBB13_61:                              ; =>This Inner Loop Header: Depth=1
	s_clause 0x1
	buffer_load_dword v39, v35, s[0:3], 0 offen offset:4
	buffer_load_dword v40, v35, s[0:3], 0 offen
	ds_read_b64 v[37:38], v34
	v_add_nc_u32_e32 v33, 1, v33
	v_add_nc_u32_e32 v34, 8, v34
	;; [unrolled: 1-line block ×3, first 2 shown]
	v_cmp_lt_u32_e32 vcc_lo, 10, v33
	s_or_b32 s5, vcc_lo, s5
	s_waitcnt vmcnt(1) lgkmcnt(0)
	v_mul_f32_e32 v41, v38, v39
	v_mul_f32_e32 v39, v37, v39
	s_waitcnt vmcnt(0)
	v_fma_f32 v37, v37, v40, -v41
	v_fmac_f32_e32 v39, v38, v40
	v_add_f32_e32 v36, v36, v37
	v_add_f32_e32 v30, v30, v39
	s_andn2_b32 exec_lo, exec_lo, s5
	s_cbranch_execnz .LBB13_61
; %bb.62:
	s_or_b32 exec_lo, exec_lo, s5
	v_mov_b32_e32 v33, 0
	ds_read_b64 v[33:34], v33 offset:96
	s_waitcnt lgkmcnt(0)
	v_mul_f32_e32 v35, v30, v34
	v_mul_f32_e32 v34, v36, v34
	v_fma_f32 v35, v36, v33, -v35
	v_fmac_f32_e32 v34, v30, v33
	buffer_store_dword v35, off, s[0:3], 0 offset:96
	buffer_store_dword v34, off, s[0:3], 0 offset:100
.LBB13_63:
	s_or_b32 exec_lo, exec_lo, s4
	s_waitcnt_vscnt null, 0x0
	s_barrier
	buffer_gl0_inv
	s_clause 0x1
	buffer_load_dword v33, off, s[0:3], 0 offset:104
	buffer_load_dword v34, off, s[0:3], 0 offset:108
	s_mov_b32 s4, exec_lo
	s_waitcnt vmcnt(0)
	ds_write_b64 v32, v[33:34]
	s_waitcnt lgkmcnt(0)
	s_barrier
	buffer_gl0_inv
	v_cmpx_ne_u32_e32 13, v0
	s_cbranch_execz .LBB13_67
; %bb.64:
	v_mov_b32_e32 v30, 0
	v_mov_b32_e32 v33, 0
	s_mov_b32 s5, 0
	.p2align	6
.LBB13_65:                              ; =>This Inner Loop Header: Depth=1
	s_clause 0x1
	buffer_load_dword v36, v31, s[0:3], 0 offen offset:4
	buffer_load_dword v37, v31, s[0:3], 0 offen
	ds_read_b64 v[34:35], v32
	v_add_nc_u32_e32 v29, 1, v29
	v_add_nc_u32_e32 v32, 8, v32
	;; [unrolled: 1-line block ×3, first 2 shown]
	v_cmp_lt_u32_e32 vcc_lo, 11, v29
	s_or_b32 s5, vcc_lo, s5
	s_waitcnt vmcnt(1) lgkmcnt(0)
	v_mul_f32_e32 v38, v35, v36
	v_mul_f32_e32 v36, v34, v36
	s_waitcnt vmcnt(0)
	v_fma_f32 v34, v34, v37, -v38
	v_fmac_f32_e32 v36, v35, v37
	v_add_f32_e32 v33, v33, v34
	v_add_f32_e32 v30, v30, v36
	s_andn2_b32 exec_lo, exec_lo, s5
	s_cbranch_execnz .LBB13_65
; %bb.66:
	s_or_b32 exec_lo, exec_lo, s5
	v_mov_b32_e32 v29, 0
	ds_read_b64 v[31:32], v29 offset:104
	s_waitcnt lgkmcnt(0)
	v_mul_f32_e32 v29, v30, v32
	v_mul_f32_e32 v32, v33, v32
	v_fma_f32 v29, v33, v31, -v29
	v_fmac_f32_e32 v32, v30, v31
	buffer_store_dword v29, off, s[0:3], 0 offset:104
	buffer_store_dword v32, off, s[0:3], 0 offset:108
.LBB13_67:
	s_or_b32 exec_lo, exec_lo, s4
	s_mov_b32 s5, -1
	s_waitcnt_vscnt null, 0x0
	s_barrier
	buffer_gl0_inv
.LBB13_68:
	s_and_b32 vcc_lo, exec_lo, s5
	s_cbranch_vccz .LBB13_70
; %bb.69:
	s_lshl_b64 s[4:5], s[6:7], 2
	v_mov_b32_e32 v29, 0
	s_add_u32 s4, s10, s4
	s_addc_u32 s5, s11, s5
	global_load_dword v29, v29, s[4:5]
	s_waitcnt vmcnt(0)
	v_cmp_ne_u32_e32 vcc_lo, 0, v29
	s_cbranch_vccz .LBB13_71
.LBB13_70:
	s_endpgm
.LBB13_71:
	v_lshl_add_u32 v29, v0, 3, 0x70
	s_mov_b32 s4, exec_lo
	v_cmpx_eq_u32_e32 13, v0
	s_cbranch_execz .LBB13_73
; %bb.72:
	s_clause 0x1
	buffer_load_dword v30, off, s[0:3], 0 offset:96
	buffer_load_dword v31, off, s[0:3], 0 offset:100
	v_mov_b32_e32 v32, 0
	buffer_store_dword v32, off, s[0:3], 0 offset:96
	buffer_store_dword v32, off, s[0:3], 0 offset:100
	s_waitcnt vmcnt(0)
	ds_write_b64 v29, v[30:31]
.LBB13_73:
	s_or_b32 exec_lo, exec_lo, s4
	s_waitcnt lgkmcnt(0)
	s_waitcnt_vscnt null, 0x0
	s_barrier
	buffer_gl0_inv
	s_clause 0x3
	buffer_load_dword v33, off, s[0:3], 0 offset:108
	buffer_load_dword v34, off, s[0:3], 0 offset:104
	;; [unrolled: 1-line block ×4, first 2 shown]
	v_mov_b32_e32 v30, 0
	s_mov_b32 s4, exec_lo
	ds_read_b64 v[31:32], v30 offset:216
	s_waitcnt vmcnt(3) lgkmcnt(0)
	v_mul_f32_e32 v37, v32, v33
	v_mul_f32_e32 v33, v31, v33
	s_waitcnt vmcnt(2)
	v_fma_f32 v31, v31, v34, -v37
	v_fmac_f32_e32 v33, v32, v34
	v_add_f32_e32 v31, 0, v31
	v_add_f32_e32 v32, 0, v33
	s_waitcnt vmcnt(1)
	v_sub_f32_e32 v31, v35, v31
	s_waitcnt vmcnt(0)
	v_sub_f32_e32 v32, v36, v32
	buffer_store_dword v31, off, s[0:3], 0 offset:96
	buffer_store_dword v32, off, s[0:3], 0 offset:100
	v_cmpx_lt_u32_e32 11, v0
	s_cbranch_execz .LBB13_75
; %bb.74:
	s_clause 0x1
	buffer_load_dword v31, off, s[0:3], 0 offset:88
	buffer_load_dword v32, off, s[0:3], 0 offset:92
	buffer_store_dword v30, off, s[0:3], 0 offset:88
	buffer_store_dword v30, off, s[0:3], 0 offset:92
	s_waitcnt vmcnt(0)
	ds_write_b64 v29, v[31:32]
.LBB13_75:
	s_or_b32 exec_lo, exec_lo, s4
	s_waitcnt lgkmcnt(0)
	s_waitcnt_vscnt null, 0x0
	s_barrier
	buffer_gl0_inv
	s_clause 0x5
	buffer_load_dword v34, off, s[0:3], 0 offset:100
	buffer_load_dword v35, off, s[0:3], 0 offset:108
	;; [unrolled: 1-line block ×6, first 2 shown]
	ds_read_b128 v[30:33], v30 offset:208
	s_mov_b32 s4, exec_lo
	s_waitcnt vmcnt(5) lgkmcnt(0)
	v_mul_f32_e32 v40, v31, v34
	v_mul_f32_e32 v34, v30, v34
	s_waitcnt vmcnt(4)
	v_mul_f32_e32 v41, v32, v35
	v_mul_f32_e32 v35, v33, v35
	s_waitcnt vmcnt(3)
	v_fma_f32 v30, v30, v36, -v40
	v_fmac_f32_e32 v34, v31, v36
	s_waitcnt vmcnt(2)
	v_fmac_f32_e32 v41, v33, v37
	v_fma_f32 v31, v32, v37, -v35
	v_add_f32_e32 v30, 0, v30
	v_add_f32_e32 v32, 0, v34
	v_add_f32_e32 v30, v30, v31
	v_add_f32_e32 v31, v32, v41
	s_waitcnt vmcnt(1)
	v_sub_f32_e32 v30, v38, v30
	s_waitcnt vmcnt(0)
	v_sub_f32_e32 v31, v39, v31
	buffer_store_dword v30, off, s[0:3], 0 offset:88
	buffer_store_dword v31, off, s[0:3], 0 offset:92
	v_cmpx_lt_u32_e32 10, v0
	s_cbranch_execz .LBB13_77
; %bb.76:
	s_clause 0x1
	buffer_load_dword v30, off, s[0:3], 0 offset:80
	buffer_load_dword v31, off, s[0:3], 0 offset:84
	v_mov_b32_e32 v32, 0
	buffer_store_dword v32, off, s[0:3], 0 offset:80
	buffer_store_dword v32, off, s[0:3], 0 offset:84
	s_waitcnt vmcnt(0)
	ds_write_b64 v29, v[30:31]
.LBB13_77:
	s_or_b32 exec_lo, exec_lo, s4
	s_waitcnt lgkmcnt(0)
	s_waitcnt_vscnt null, 0x0
	s_barrier
	buffer_gl0_inv
	s_clause 0x7
	buffer_load_dword v37, off, s[0:3], 0 offset:92
	buffer_load_dword v38, off, s[0:3], 0 offset:100
	;; [unrolled: 1-line block ×8, first 2 shown]
	v_mov_b32_e32 v30, 0
	ds_read2_b64 v[31:34], v30 offset0:25 offset1:26
	ds_read_b64 v[35:36], v30 offset:216
	s_mov_b32 s4, exec_lo
	s_waitcnt vmcnt(7) lgkmcnt(1)
	v_mul_f32_e32 v45, v32, v37
	v_mul_f32_e32 v37, v31, v37
	s_waitcnt vmcnt(6)
	v_mul_f32_e32 v46, v33, v38
	v_mul_f32_e32 v38, v34, v38
	s_waitcnt vmcnt(5) lgkmcnt(0)
	v_mul_f32_e32 v47, v35, v39
	s_waitcnt vmcnt(4)
	v_fma_f32 v31, v31, v40, -v45
	v_fmac_f32_e32 v37, v32, v40
	v_mul_f32_e32 v32, v36, v39
	s_waitcnt vmcnt(3)
	v_fma_f32 v33, v33, v41, -v38
	v_fmac_f32_e32 v46, v34, v41
	v_add_f32_e32 v31, 0, v31
	v_add_f32_e32 v34, 0, v37
	s_waitcnt vmcnt(2)
	v_fma_f32 v32, v35, v42, -v32
	v_fmac_f32_e32 v47, v36, v42
	v_add_f32_e32 v31, v31, v33
	v_add_f32_e32 v33, v34, v46
	;; [unrolled: 1-line block ×4, first 2 shown]
	s_waitcnt vmcnt(1)
	v_sub_f32_e32 v31, v43, v31
	s_waitcnt vmcnt(0)
	v_sub_f32_e32 v32, v44, v32
	buffer_store_dword v31, off, s[0:3], 0 offset:80
	buffer_store_dword v32, off, s[0:3], 0 offset:84
	v_cmpx_lt_u32_e32 9, v0
	s_cbranch_execz .LBB13_79
; %bb.78:
	s_clause 0x1
	buffer_load_dword v31, off, s[0:3], 0 offset:72
	buffer_load_dword v32, off, s[0:3], 0 offset:76
	buffer_store_dword v30, off, s[0:3], 0 offset:72
	buffer_store_dword v30, off, s[0:3], 0 offset:76
	s_waitcnt vmcnt(0)
	ds_write_b64 v29, v[31:32]
.LBB13_79:
	s_or_b32 exec_lo, exec_lo, s4
	s_waitcnt lgkmcnt(0)
	s_waitcnt_vscnt null, 0x0
	s_barrier
	buffer_gl0_inv
	s_clause 0x9
	buffer_load_dword v39, off, s[0:3], 0 offset:84
	buffer_load_dword v40, off, s[0:3], 0 offset:92
	;; [unrolled: 1-line block ×10, first 2 shown]
	ds_read_b128 v[31:34], v30 offset:192
	ds_read_b128 v[35:38], v30 offset:208
	s_mov_b32 s4, exec_lo
	s_waitcnt vmcnt(9) lgkmcnt(1)
	v_mul_f32_e32 v30, v31, v39
	v_mul_f32_e32 v39, v32, v39
	s_waitcnt vmcnt(8)
	v_mul_f32_e32 v49, v33, v40
	v_mul_f32_e32 v40, v34, v40
	s_waitcnt vmcnt(7) lgkmcnt(0)
	v_mul_f32_e32 v50, v35, v41
	s_waitcnt vmcnt(5)
	v_fmac_f32_e32 v30, v32, v43
	v_fma_f32 v31, v31, v43, -v39
	v_mul_f32_e32 v32, v36, v41
	s_waitcnt vmcnt(4)
	v_fma_f32 v33, v33, v44, -v40
	v_fmac_f32_e32 v49, v34, v44
	v_add_f32_e32 v30, 0, v30
	v_add_f32_e32 v31, 0, v31
	v_mul_f32_e32 v34, v38, v42
	s_waitcnt vmcnt(3)
	v_fma_f32 v32, v35, v45, -v32
	v_mul_f32_e32 v51, v37, v42
	v_fmac_f32_e32 v50, v36, v45
	v_add_f32_e32 v31, v31, v33
	v_add_f32_e32 v30, v30, v49
	s_waitcnt vmcnt(2)
	v_fma_f32 v33, v37, v46, -v34
	v_fmac_f32_e32 v51, v38, v46
	v_add_f32_e32 v31, v31, v32
	v_add_f32_e32 v30, v30, v50
	;; [unrolled: 1-line block ×4, first 2 shown]
	s_waitcnt vmcnt(1)
	v_sub_f32_e32 v31, v47, v31
	s_waitcnt vmcnt(0)
	v_sub_f32_e32 v30, v48, v30
	buffer_store_dword v31, off, s[0:3], 0 offset:72
	buffer_store_dword v30, off, s[0:3], 0 offset:76
	v_cmpx_lt_u32_e32 8, v0
	s_cbranch_execz .LBB13_81
; %bb.80:
	s_clause 0x1
	buffer_load_dword v30, off, s[0:3], 0 offset:64
	buffer_load_dword v31, off, s[0:3], 0 offset:68
	v_mov_b32_e32 v32, 0
	buffer_store_dword v32, off, s[0:3], 0 offset:64
	buffer_store_dword v32, off, s[0:3], 0 offset:68
	s_waitcnt vmcnt(0)
	ds_write_b64 v29, v[30:31]
.LBB13_81:
	s_or_b32 exec_lo, exec_lo, s4
	s_waitcnt lgkmcnt(0)
	s_waitcnt_vscnt null, 0x0
	s_barrier
	buffer_gl0_inv
	s_clause 0xb
	buffer_load_dword v41, off, s[0:3], 0 offset:76
	buffer_load_dword v42, off, s[0:3], 0 offset:84
	;; [unrolled: 1-line block ×12, first 2 shown]
	v_mov_b32_e32 v30, 0
	ds_read2_b64 v[31:34], v30 offset0:23 offset1:24
	ds_read2_b64 v[35:38], v30 offset0:25 offset1:26
	ds_read_b64 v[39:40], v30 offset:216
	s_mov_b32 s4, exec_lo
	s_waitcnt vmcnt(11) lgkmcnt(2)
	v_mul_f32_e32 v53, v31, v41
	v_mul_f32_e32 v41, v32, v41
	s_waitcnt vmcnt(10)
	v_mul_f32_e32 v54, v33, v42
	v_mul_f32_e32 v42, v34, v42
	s_waitcnt vmcnt(9) lgkmcnt(1)
	v_mul_f32_e32 v55, v35, v43
	s_waitcnt vmcnt(6)
	v_fmac_f32_e32 v53, v32, v46
	v_fma_f32 v31, v31, v46, -v41
	v_mul_f32_e32 v32, v36, v43
	s_waitcnt vmcnt(5)
	v_fma_f32 v33, v33, v47, -v42
	v_fmac_f32_e32 v54, v34, v47
	v_add_f32_e32 v34, 0, v53
	v_add_f32_e32 v31, 0, v31
	v_mul_f32_e32 v41, v38, v44
	s_waitcnt vmcnt(4)
	v_fma_f32 v32, v35, v48, -v32
	v_mul_f32_e32 v56, v37, v44
	v_fmac_f32_e32 v55, v36, v48
	v_add_f32_e32 v31, v31, v33
	v_add_f32_e32 v33, v34, v54
	s_waitcnt lgkmcnt(0)
	v_mul_f32_e32 v34, v40, v45
	s_waitcnt vmcnt(3)
	v_fma_f32 v35, v37, v49, -v41
	v_mul_f32_e32 v57, v39, v45
	v_add_f32_e32 v31, v31, v32
	v_fmac_f32_e32 v56, v38, v49
	v_add_f32_e32 v32, v33, v55
	s_waitcnt vmcnt(2)
	v_fma_f32 v33, v39, v50, -v34
	v_fmac_f32_e32 v57, v40, v50
	v_add_f32_e32 v31, v31, v35
	v_add_f32_e32 v32, v32, v56
	;; [unrolled: 1-line block ×4, first 2 shown]
	s_waitcnt vmcnt(1)
	v_sub_f32_e32 v31, v51, v31
	s_waitcnt vmcnt(0)
	v_sub_f32_e32 v32, v52, v32
	buffer_store_dword v31, off, s[0:3], 0 offset:64
	buffer_store_dword v32, off, s[0:3], 0 offset:68
	v_cmpx_lt_u32_e32 7, v0
	s_cbranch_execz .LBB13_83
; %bb.82:
	s_clause 0x1
	buffer_load_dword v31, off, s[0:3], 0 offset:56
	buffer_load_dword v32, off, s[0:3], 0 offset:60
	buffer_store_dword v30, off, s[0:3], 0 offset:56
	buffer_store_dword v30, off, s[0:3], 0 offset:60
	s_waitcnt vmcnt(0)
	ds_write_b64 v29, v[31:32]
.LBB13_83:
	s_or_b32 exec_lo, exec_lo, s4
	s_waitcnt lgkmcnt(0)
	s_waitcnt_vscnt null, 0x0
	s_barrier
	buffer_gl0_inv
	s_clause 0xd
	buffer_load_dword v43, off, s[0:3], 0 offset:68
	buffer_load_dword v44, off, s[0:3], 0 offset:76
	;; [unrolled: 1-line block ×14, first 2 shown]
	ds_read_b128 v[31:34], v30 offset:176
	ds_read_b128 v[35:38], v30 offset:192
	;; [unrolled: 1-line block ×3, first 2 shown]
	s_mov_b32 s4, exec_lo
	s_waitcnt vmcnt(13) lgkmcnt(2)
	v_mul_f32_e32 v30, v31, v43
	v_mul_f32_e32 v43, v32, v43
	s_waitcnt vmcnt(12)
	v_mul_f32_e32 v57, v33, v44
	v_mul_f32_e32 v44, v34, v44
	s_waitcnt vmcnt(11) lgkmcnt(1)
	v_mul_f32_e32 v58, v35, v45
	s_waitcnt vmcnt(10)
	v_mul_f32_e32 v59, v37, v46
	s_waitcnt vmcnt(7)
	v_fma_f32 v31, v31, v49, -v43
	v_fmac_f32_e32 v30, v32, v49
	v_mul_f32_e32 v32, v36, v45
	s_waitcnt vmcnt(6)
	v_fma_f32 v33, v33, v50, -v44
	v_fmac_f32_e32 v57, v34, v50
	v_add_f32_e32 v31, 0, v31
	v_add_f32_e32 v30, 0, v30
	v_mul_f32_e32 v34, v38, v46
	s_waitcnt vmcnt(5)
	v_fma_f32 v32, v35, v51, -v32
	v_fmac_f32_e32 v58, v36, v51
	v_add_f32_e32 v31, v31, v33
	v_add_f32_e32 v30, v30, v57
	s_waitcnt lgkmcnt(0)
	v_mul_f32_e32 v33, v40, v47
	s_waitcnt vmcnt(4)
	v_fma_f32 v34, v37, v52, -v34
	v_mul_f32_e32 v60, v39, v47
	v_add_f32_e32 v31, v31, v32
	v_fmac_f32_e32 v59, v38, v52
	v_add_f32_e32 v30, v30, v58
	v_mul_f32_e32 v32, v42, v48
	s_waitcnt vmcnt(3)
	v_fma_f32 v33, v39, v53, -v33
	v_add_f32_e32 v31, v31, v34
	v_mul_f32_e32 v61, v41, v48
	v_fmac_f32_e32 v60, v40, v53
	v_add_f32_e32 v30, v30, v59
	s_waitcnt vmcnt(2)
	v_fma_f32 v32, v41, v54, -v32
	v_add_f32_e32 v31, v31, v33
	v_fmac_f32_e32 v61, v42, v54
	v_add_f32_e32 v30, v30, v60
	v_add_f32_e32 v31, v31, v32
	;; [unrolled: 1-line block ×3, first 2 shown]
	s_waitcnt vmcnt(1)
	v_sub_f32_e32 v31, v55, v31
	s_waitcnt vmcnt(0)
	v_sub_f32_e32 v30, v56, v30
	buffer_store_dword v31, off, s[0:3], 0 offset:56
	buffer_store_dword v30, off, s[0:3], 0 offset:60
	v_cmpx_lt_u32_e32 6, v0
	s_cbranch_execz .LBB13_85
; %bb.84:
	s_clause 0x1
	buffer_load_dword v30, off, s[0:3], 0 offset:48
	buffer_load_dword v31, off, s[0:3], 0 offset:52
	v_mov_b32_e32 v32, 0
	buffer_store_dword v32, off, s[0:3], 0 offset:48
	buffer_store_dword v32, off, s[0:3], 0 offset:52
	s_waitcnt vmcnt(0)
	ds_write_b64 v29, v[30:31]
.LBB13_85:
	s_or_b32 exec_lo, exec_lo, s4
	s_waitcnt lgkmcnt(0)
	s_waitcnt_vscnt null, 0x0
	s_barrier
	buffer_gl0_inv
	s_clause 0xf
	buffer_load_dword v45, off, s[0:3], 0 offset:60
	buffer_load_dword v46, off, s[0:3], 0 offset:68
	;; [unrolled: 1-line block ×16, first 2 shown]
	v_mov_b32_e32 v30, 0
	ds_read2_b64 v[31:34], v30 offset0:21 offset1:22
	ds_read2_b64 v[35:38], v30 offset0:23 offset1:24
	;; [unrolled: 1-line block ×3, first 2 shown]
	ds_read_b64 v[43:44], v30 offset:216
	s_mov_b32 s4, exec_lo
	s_waitcnt vmcnt(15) lgkmcnt(3)
	v_mul_f32_e32 v61, v31, v45
	v_mul_f32_e32 v45, v32, v45
	s_waitcnt vmcnt(14)
	v_mul_f32_e32 v62, v33, v46
	v_mul_f32_e32 v46, v34, v46
	s_waitcnt vmcnt(13) lgkmcnt(2)
	v_mul_f32_e32 v63, v35, v47
	s_waitcnt vmcnt(12)
	v_mul_f32_e32 v64, v37, v48
	s_waitcnt vmcnt(11) lgkmcnt(1)
	v_mul_f32_e32 v65, v39, v49
	s_waitcnt vmcnt(8)
	v_fma_f32 v31, v31, v52, -v45
	v_fmac_f32_e32 v61, v32, v52
	v_mul_f32_e32 v32, v36, v47
	s_waitcnt vmcnt(7)
	v_fma_f32 v33, v33, v53, -v46
	v_fmac_f32_e32 v62, v34, v53
	v_add_f32_e32 v31, 0, v31
	v_add_f32_e32 v34, 0, v61
	v_mul_f32_e32 v45, v38, v48
	s_waitcnt vmcnt(6)
	v_fma_f32 v32, v35, v54, -v32
	v_fmac_f32_e32 v63, v36, v54
	v_add_f32_e32 v31, v31, v33
	v_add_f32_e32 v33, v34, v62
	v_mul_f32_e32 v34, v40, v49
	s_waitcnt vmcnt(5)
	v_fma_f32 v35, v37, v55, -v45
	v_fmac_f32_e32 v64, v38, v55
	v_add_f32_e32 v31, v31, v32
	v_add_f32_e32 v32, v33, v63
	v_mul_f32_e32 v33, v42, v50
	s_waitcnt vmcnt(4)
	v_fma_f32 v34, v39, v56, -v34
	v_mul_f32_e32 v66, v41, v50
	v_add_f32_e32 v31, v31, v35
	v_fmac_f32_e32 v65, v40, v56
	v_add_f32_e32 v32, v32, v64
	s_waitcnt lgkmcnt(0)
	v_mul_f32_e32 v35, v44, v51
	s_waitcnt vmcnt(3)
	v_fma_f32 v33, v41, v57, -v33
	v_add_f32_e32 v31, v31, v34
	v_mul_f32_e32 v67, v43, v51
	v_fmac_f32_e32 v66, v42, v57
	v_add_f32_e32 v32, v32, v65
	s_waitcnt vmcnt(2)
	v_fma_f32 v34, v43, v58, -v35
	v_add_f32_e32 v31, v31, v33
	v_fmac_f32_e32 v67, v44, v58
	v_add_f32_e32 v32, v32, v66
	v_add_f32_e32 v31, v31, v34
	;; [unrolled: 1-line block ×3, first 2 shown]
	s_waitcnt vmcnt(1)
	v_sub_f32_e32 v31, v59, v31
	s_waitcnt vmcnt(0)
	v_sub_f32_e32 v32, v60, v32
	buffer_store_dword v31, off, s[0:3], 0 offset:48
	buffer_store_dword v32, off, s[0:3], 0 offset:52
	v_cmpx_lt_u32_e32 5, v0
	s_cbranch_execz .LBB13_87
; %bb.86:
	s_clause 0x1
	buffer_load_dword v31, off, s[0:3], 0 offset:40
	buffer_load_dword v32, off, s[0:3], 0 offset:44
	buffer_store_dword v30, off, s[0:3], 0 offset:40
	buffer_store_dword v30, off, s[0:3], 0 offset:44
	s_waitcnt vmcnt(0)
	ds_write_b64 v29, v[31:32]
.LBB13_87:
	s_or_b32 exec_lo, exec_lo, s4
	s_waitcnt lgkmcnt(0)
	s_waitcnt_vscnt null, 0x0
	s_barrier
	buffer_gl0_inv
	s_clause 0x11
	buffer_load_dword v47, off, s[0:3], 0 offset:52
	buffer_load_dword v48, off, s[0:3], 0 offset:60
	;; [unrolled: 1-line block ×18, first 2 shown]
	ds_read_b128 v[31:34], v30 offset:160
	ds_read_b128 v[35:38], v30 offset:176
	;; [unrolled: 1-line block ×4, first 2 shown]
	s_mov_b32 s4, exec_lo
	s_waitcnt vmcnt(17) lgkmcnt(3)
	v_mul_f32_e32 v30, v31, v47
	v_mul_f32_e32 v47, v32, v47
	s_waitcnt vmcnt(16)
	v_mul_f32_e32 v65, v33, v48
	v_mul_f32_e32 v48, v34, v48
	s_waitcnt vmcnt(15) lgkmcnt(2)
	v_mul_f32_e32 v66, v35, v49
	s_waitcnt vmcnt(14)
	v_mul_f32_e32 v67, v37, v50
	s_waitcnt vmcnt(13) lgkmcnt(1)
	v_mul_f32_e32 v68, v39, v51
	s_waitcnt vmcnt(12)
	v_mul_f32_e32 v69, v41, v52
	s_waitcnt vmcnt(9)
	v_fma_f32 v31, v31, v55, -v47
	v_fmac_f32_e32 v30, v32, v55
	v_mul_f32_e32 v32, v36, v49
	s_waitcnt vmcnt(8)
	v_fma_f32 v33, v33, v56, -v48
	v_fmac_f32_e32 v65, v34, v56
	v_add_f32_e32 v31, 0, v31
	v_add_f32_e32 v30, 0, v30
	v_mul_f32_e32 v34, v38, v50
	s_waitcnt vmcnt(7)
	v_fma_f32 v32, v35, v57, -v32
	v_fmac_f32_e32 v66, v36, v57
	v_add_f32_e32 v31, v31, v33
	v_add_f32_e32 v30, v30, v65
	;; [unrolled: 6-line block ×4, first 2 shown]
	s_waitcnt lgkmcnt(0)
	v_mul_f32_e32 v34, v44, v53
	s_waitcnt vmcnt(4)
	v_fma_f32 v32, v41, v60, -v32
	v_mul_f32_e32 v70, v43, v53
	v_add_f32_e32 v31, v31, v33
	v_fmac_f32_e32 v69, v42, v60
	v_add_f32_e32 v30, v30, v68
	v_mul_f32_e32 v33, v46, v54
	s_waitcnt vmcnt(3)
	v_fma_f32 v34, v43, v61, -v34
	v_add_f32_e32 v31, v31, v32
	v_mul_f32_e32 v71, v45, v54
	v_fmac_f32_e32 v70, v44, v61
	v_add_f32_e32 v30, v30, v69
	s_waitcnt vmcnt(2)
	v_fma_f32 v32, v45, v62, -v33
	v_add_f32_e32 v31, v31, v34
	v_fmac_f32_e32 v71, v46, v62
	v_add_f32_e32 v30, v30, v70
	v_add_f32_e32 v31, v31, v32
	;; [unrolled: 1-line block ×3, first 2 shown]
	s_waitcnt vmcnt(1)
	v_sub_f32_e32 v31, v63, v31
	s_waitcnt vmcnt(0)
	v_sub_f32_e32 v30, v64, v30
	buffer_store_dword v31, off, s[0:3], 0 offset:40
	buffer_store_dword v30, off, s[0:3], 0 offset:44
	v_cmpx_lt_u32_e32 4, v0
	s_cbranch_execz .LBB13_89
; %bb.88:
	s_clause 0x1
	buffer_load_dword v30, off, s[0:3], 0 offset:32
	buffer_load_dword v31, off, s[0:3], 0 offset:36
	v_mov_b32_e32 v32, 0
	buffer_store_dword v32, off, s[0:3], 0 offset:32
	buffer_store_dword v32, off, s[0:3], 0 offset:36
	s_waitcnt vmcnt(0)
	ds_write_b64 v29, v[30:31]
.LBB13_89:
	s_or_b32 exec_lo, exec_lo, s4
	s_waitcnt lgkmcnt(0)
	s_waitcnt_vscnt null, 0x0
	s_barrier
	buffer_gl0_inv
	s_clause 0x13
	buffer_load_dword v49, off, s[0:3], 0 offset:44
	buffer_load_dword v50, off, s[0:3], 0 offset:52
	;; [unrolled: 1-line block ×20, first 2 shown]
	v_mov_b32_e32 v30, 0
	ds_read2_b64 v[31:34], v30 offset0:19 offset1:20
	ds_read2_b64 v[35:38], v30 offset0:21 offset1:22
	;; [unrolled: 1-line block ×4, first 2 shown]
	ds_read_b64 v[47:48], v30 offset:216
	s_mov_b32 s4, exec_lo
	s_waitcnt vmcnt(19) lgkmcnt(4)
	v_mul_f32_e32 v69, v31, v49
	v_mul_f32_e32 v49, v32, v49
	s_waitcnt vmcnt(18)
	v_mul_f32_e32 v70, v33, v50
	v_mul_f32_e32 v50, v34, v50
	s_waitcnt vmcnt(17) lgkmcnt(3)
	v_mul_f32_e32 v71, v35, v51
	s_waitcnt vmcnt(16)
	v_mul_f32_e32 v72, v37, v52
	s_waitcnt vmcnt(15) lgkmcnt(2)
	v_mul_f32_e32 v73, v39, v53
	s_waitcnt vmcnt(14)
	;; [unrolled: 4-line block ×3, first 2 shown]
	v_fma_f32 v31, v31, v58, -v49
	v_fmac_f32_e32 v69, v32, v58
	v_mul_f32_e32 v32, v36, v51
	s_waitcnt vmcnt(9)
	v_fma_f32 v33, v33, v59, -v50
	v_fmac_f32_e32 v70, v34, v59
	v_add_f32_e32 v31, 0, v31
	v_add_f32_e32 v34, 0, v69
	v_mul_f32_e32 v49, v38, v52
	s_waitcnt vmcnt(8)
	v_fma_f32 v32, v35, v60, -v32
	v_fmac_f32_e32 v71, v36, v60
	v_add_f32_e32 v31, v31, v33
	v_add_f32_e32 v33, v34, v70
	v_mul_f32_e32 v34, v40, v53
	s_waitcnt vmcnt(7)
	v_fma_f32 v35, v37, v61, -v49
	v_fmac_f32_e32 v72, v38, v61
	v_add_f32_e32 v31, v31, v32
	v_add_f32_e32 v32, v33, v71
	v_mul_f32_e32 v33, v42, v54
	s_waitcnt vmcnt(6)
	v_fma_f32 v34, v39, v62, -v34
	v_fmac_f32_e32 v73, v40, v62
	v_add_f32_e32 v31, v31, v35
	v_add_f32_e32 v32, v32, v72
	v_mul_f32_e32 v35, v44, v55
	s_waitcnt vmcnt(5)
	v_fma_f32 v33, v41, v63, -v33
	v_fmac_f32_e32 v74, v42, v63
	v_add_f32_e32 v31, v31, v34
	v_add_f32_e32 v32, v32, v73
	v_mul_f32_e32 v34, v46, v56
	s_waitcnt vmcnt(4)
	v_fma_f32 v35, v43, v64, -v35
	v_mul_f32_e32 v76, v45, v56
	v_add_f32_e32 v31, v31, v33
	v_fmac_f32_e32 v75, v44, v64
	v_add_f32_e32 v32, v32, v74
	s_waitcnt lgkmcnt(0)
	v_mul_f32_e32 v33, v48, v57
	s_waitcnt vmcnt(3)
	v_fma_f32 v34, v45, v65, -v34
	v_add_f32_e32 v31, v31, v35
	v_mul_f32_e32 v77, v47, v57
	v_fmac_f32_e32 v76, v46, v65
	v_add_f32_e32 v32, v32, v75
	s_waitcnt vmcnt(2)
	v_fma_f32 v33, v47, v66, -v33
	v_add_f32_e32 v31, v31, v34
	v_fmac_f32_e32 v77, v48, v66
	v_add_f32_e32 v32, v32, v76
	v_add_f32_e32 v31, v31, v33
	;; [unrolled: 1-line block ×3, first 2 shown]
	s_waitcnt vmcnt(1)
	v_sub_f32_e32 v31, v67, v31
	s_waitcnt vmcnt(0)
	v_sub_f32_e32 v32, v68, v32
	buffer_store_dword v31, off, s[0:3], 0 offset:32
	buffer_store_dword v32, off, s[0:3], 0 offset:36
	v_cmpx_lt_u32_e32 3, v0
	s_cbranch_execz .LBB13_91
; %bb.90:
	s_clause 0x1
	buffer_load_dword v31, off, s[0:3], 0 offset:24
	buffer_load_dword v32, off, s[0:3], 0 offset:28
	buffer_store_dword v30, off, s[0:3], 0 offset:24
	buffer_store_dword v30, off, s[0:3], 0 offset:28
	s_waitcnt vmcnt(0)
	ds_write_b64 v29, v[31:32]
.LBB13_91:
	s_or_b32 exec_lo, exec_lo, s4
	s_waitcnt lgkmcnt(0)
	s_waitcnt_vscnt null, 0x0
	s_barrier
	buffer_gl0_inv
	s_clause 0x15
	buffer_load_dword v51, off, s[0:3], 0 offset:36
	buffer_load_dword v52, off, s[0:3], 0 offset:44
	;; [unrolled: 1-line block ×22, first 2 shown]
	ds_read_b128 v[31:34], v30 offset:144
	ds_read_b128 v[35:38], v30 offset:160
	;; [unrolled: 1-line block ×5, first 2 shown]
	s_mov_b32 s4, exec_lo
	s_waitcnt vmcnt(21) lgkmcnt(4)
	v_mul_f32_e32 v30, v31, v51
	v_mul_f32_e32 v51, v32, v51
	s_waitcnt vmcnt(20)
	v_mul_f32_e32 v73, v33, v52
	v_mul_f32_e32 v52, v34, v52
	s_waitcnt vmcnt(19) lgkmcnt(3)
	v_mul_f32_e32 v74, v35, v53
	s_waitcnt vmcnt(18)
	v_mul_f32_e32 v75, v37, v54
	s_waitcnt vmcnt(17) lgkmcnt(2)
	v_mul_f32_e32 v76, v39, v55
	s_waitcnt vmcnt(16)
	;; [unrolled: 4-line block ×3, first 2 shown]
	v_mul_f32_e32 v79, v45, v58
	s_waitcnt vmcnt(11)
	v_fma_f32 v31, v31, v61, -v51
	v_fmac_f32_e32 v30, v32, v61
	v_mul_f32_e32 v32, v36, v53
	s_waitcnt vmcnt(10)
	v_fma_f32 v33, v33, v62, -v52
	v_fmac_f32_e32 v73, v34, v62
	v_add_f32_e32 v31, 0, v31
	v_add_f32_e32 v30, 0, v30
	v_mul_f32_e32 v34, v38, v54
	s_waitcnt vmcnt(9)
	v_fma_f32 v32, v35, v63, -v32
	v_fmac_f32_e32 v74, v36, v63
	v_add_f32_e32 v31, v31, v33
	v_add_f32_e32 v30, v30, v73
	;; [unrolled: 6-line block ×6, first 2 shown]
	s_waitcnt lgkmcnt(0)
	v_mul_f32_e32 v32, v48, v59
	s_waitcnt vmcnt(4)
	v_fma_f32 v33, v45, v68, -v33
	v_mul_f32_e32 v80, v47, v59
	v_add_f32_e32 v31, v31, v34
	v_fmac_f32_e32 v79, v46, v68
	v_add_f32_e32 v30, v30, v78
	v_mul_f32_e32 v34, v50, v60
	s_waitcnt vmcnt(3)
	v_fma_f32 v32, v47, v69, -v32
	v_add_f32_e32 v31, v31, v33
	v_mul_f32_e32 v81, v49, v60
	v_fmac_f32_e32 v80, v48, v69
	v_add_f32_e32 v30, v30, v79
	s_waitcnt vmcnt(2)
	v_fma_f32 v33, v49, v70, -v34
	v_add_f32_e32 v31, v31, v32
	v_fmac_f32_e32 v81, v50, v70
	v_add_f32_e32 v30, v30, v80
	v_add_f32_e32 v31, v31, v33
	;; [unrolled: 1-line block ×3, first 2 shown]
	s_waitcnt vmcnt(1)
	v_sub_f32_e32 v31, v71, v31
	s_waitcnt vmcnt(0)
	v_sub_f32_e32 v30, v72, v30
	buffer_store_dword v31, off, s[0:3], 0 offset:24
	buffer_store_dword v30, off, s[0:3], 0 offset:28
	v_cmpx_lt_u32_e32 2, v0
	s_cbranch_execz .LBB13_93
; %bb.92:
	s_clause 0x1
	buffer_load_dword v30, off, s[0:3], 0 offset:16
	buffer_load_dword v31, off, s[0:3], 0 offset:20
	v_mov_b32_e32 v32, 0
	buffer_store_dword v32, off, s[0:3], 0 offset:16
	buffer_store_dword v32, off, s[0:3], 0 offset:20
	s_waitcnt vmcnt(0)
	ds_write_b64 v29, v[30:31]
.LBB13_93:
	s_or_b32 exec_lo, exec_lo, s4
	s_waitcnt lgkmcnt(0)
	s_waitcnt_vscnt null, 0x0
	s_barrier
	buffer_gl0_inv
	s_clause 0x17
	buffer_load_dword v53, off, s[0:3], 0 offset:28
	buffer_load_dword v54, off, s[0:3], 0 offset:36
	;; [unrolled: 1-line block ×24, first 2 shown]
	v_mov_b32_e32 v30, 0
	ds_read2_b64 v[31:34], v30 offset0:17 offset1:18
	ds_read2_b64 v[35:38], v30 offset0:19 offset1:20
	;; [unrolled: 1-line block ×5, first 2 shown]
	ds_read_b64 v[51:52], v30 offset:216
	s_mov_b32 s4, exec_lo
	s_waitcnt vmcnt(23) lgkmcnt(5)
	v_mul_f32_e32 v77, v31, v53
	v_mul_f32_e32 v53, v32, v53
	s_waitcnt vmcnt(22)
	v_mul_f32_e32 v78, v33, v54
	v_mul_f32_e32 v54, v34, v54
	s_waitcnt vmcnt(21) lgkmcnt(4)
	v_mul_f32_e32 v79, v35, v55
	s_waitcnt vmcnt(20)
	v_mul_f32_e32 v80, v37, v56
	s_waitcnt vmcnt(19) lgkmcnt(3)
	v_mul_f32_e32 v81, v39, v57
	s_waitcnt vmcnt(18)
	;; [unrolled: 4-line block ×4, first 2 shown]
	v_fma_f32 v31, v31, v64, -v53
	v_fmac_f32_e32 v77, v32, v64
	v_mul_f32_e32 v32, v36, v55
	s_waitcnt vmcnt(11)
	v_fma_f32 v33, v33, v65, -v54
	v_fmac_f32_e32 v78, v34, v65
	v_add_f32_e32 v31, 0, v31
	v_add_f32_e32 v34, 0, v77
	v_mul_f32_e32 v53, v38, v56
	s_waitcnt vmcnt(10)
	v_fma_f32 v32, v35, v66, -v32
	v_fmac_f32_e32 v79, v36, v66
	v_add_f32_e32 v31, v31, v33
	v_add_f32_e32 v33, v34, v78
	;; [unrolled: 6-line block ×7, first 2 shown]
	v_mul_f32_e32 v35, v50, v62
	s_waitcnt vmcnt(4)
	v_fma_f32 v33, v47, v72, -v33
	v_mul_f32_e32 v86, v49, v62
	v_add_f32_e32 v31, v31, v34
	v_fmac_f32_e32 v85, v48, v72
	v_add_f32_e32 v32, v32, v84
	s_waitcnt lgkmcnt(0)
	v_mul_f32_e32 v34, v52, v63
	s_waitcnt vmcnt(3)
	v_fma_f32 v35, v49, v73, -v35
	v_add_f32_e32 v31, v31, v33
	v_mul_f32_e32 v87, v51, v63
	v_fmac_f32_e32 v86, v50, v73
	v_add_f32_e32 v32, v32, v85
	s_waitcnt vmcnt(2)
	v_fma_f32 v33, v51, v74, -v34
	v_add_f32_e32 v31, v31, v35
	v_fmac_f32_e32 v87, v52, v74
	v_add_f32_e32 v32, v32, v86
	v_add_f32_e32 v31, v31, v33
	;; [unrolled: 1-line block ×3, first 2 shown]
	s_waitcnt vmcnt(1)
	v_sub_f32_e32 v31, v75, v31
	s_waitcnt vmcnt(0)
	v_sub_f32_e32 v32, v76, v32
	buffer_store_dword v31, off, s[0:3], 0 offset:16
	buffer_store_dword v32, off, s[0:3], 0 offset:20
	v_cmpx_lt_u32_e32 1, v0
	s_cbranch_execz .LBB13_95
; %bb.94:
	s_clause 0x1
	buffer_load_dword v31, off, s[0:3], 0 offset:8
	buffer_load_dword v32, off, s[0:3], 0 offset:12
	buffer_store_dword v30, off, s[0:3], 0 offset:8
	buffer_store_dword v30, off, s[0:3], 0 offset:12
	s_waitcnt vmcnt(0)
	ds_write_b64 v29, v[31:32]
.LBB13_95:
	s_or_b32 exec_lo, exec_lo, s4
	s_waitcnt lgkmcnt(0)
	s_waitcnt_vscnt null, 0x0
	s_barrier
	buffer_gl0_inv
	s_clause 0x19
	buffer_load_dword v55, off, s[0:3], 0 offset:20
	buffer_load_dword v56, off, s[0:3], 0 offset:28
	;; [unrolled: 1-line block ×26, first 2 shown]
	ds_read_b128 v[31:34], v30 offset:128
	ds_read_b128 v[35:38], v30 offset:144
	;; [unrolled: 1-line block ×6, first 2 shown]
	s_mov_b32 s4, exec_lo
	s_waitcnt vmcnt(25) lgkmcnt(5)
	v_mul_f32_e32 v30, v31, v55
	v_mul_f32_e32 v55, v32, v55
	s_waitcnt vmcnt(24)
	v_mul_f32_e32 v81, v33, v56
	v_mul_f32_e32 v56, v34, v56
	s_waitcnt vmcnt(23) lgkmcnt(4)
	v_mul_f32_e32 v82, v35, v57
	s_waitcnt vmcnt(22)
	v_mul_f32_e32 v83, v37, v58
	s_waitcnt vmcnt(21) lgkmcnt(3)
	v_mul_f32_e32 v84, v39, v59
	s_waitcnt vmcnt(20)
	;; [unrolled: 4-line block ×4, first 2 shown]
	v_mul_f32_e32 v89, v49, v64
	s_waitcnt vmcnt(13)
	v_fma_f32 v31, v31, v67, -v55
	v_fmac_f32_e32 v30, v32, v67
	v_mul_f32_e32 v32, v36, v57
	s_waitcnt vmcnt(12)
	v_fma_f32 v33, v33, v68, -v56
	v_fmac_f32_e32 v81, v34, v68
	v_add_f32_e32 v31, 0, v31
	v_add_f32_e32 v30, 0, v30
	v_mul_f32_e32 v34, v38, v58
	s_waitcnt vmcnt(11)
	v_fma_f32 v32, v35, v69, -v32
	v_fmac_f32_e32 v82, v36, v69
	v_add_f32_e32 v31, v31, v33
	v_add_f32_e32 v30, v30, v81
	;; [unrolled: 6-line block ×8, first 2 shown]
	s_waitcnt lgkmcnt(0)
	v_mul_f32_e32 v33, v52, v65
	s_waitcnt vmcnt(4)
	v_fma_f32 v34, v49, v76, -v34
	v_mul_f32_e32 v90, v51, v65
	v_add_f32_e32 v31, v31, v32
	v_fmac_f32_e32 v89, v50, v76
	v_add_f32_e32 v30, v30, v88
	v_mul_f32_e32 v32, v54, v66
	s_waitcnt vmcnt(3)
	v_fma_f32 v33, v51, v77, -v33
	v_add_f32_e32 v31, v31, v34
	v_mul_f32_e32 v91, v53, v66
	v_fmac_f32_e32 v90, v52, v77
	v_add_f32_e32 v30, v30, v89
	s_waitcnt vmcnt(2)
	v_fma_f32 v32, v53, v78, -v32
	v_add_f32_e32 v31, v31, v33
	v_fmac_f32_e32 v91, v54, v78
	v_add_f32_e32 v30, v30, v90
	v_add_f32_e32 v31, v31, v32
	;; [unrolled: 1-line block ×3, first 2 shown]
	s_waitcnt vmcnt(1)
	v_sub_f32_e32 v31, v79, v31
	s_waitcnt vmcnt(0)
	v_sub_f32_e32 v30, v80, v30
	buffer_store_dword v31, off, s[0:3], 0 offset:8
	buffer_store_dword v30, off, s[0:3], 0 offset:12
	v_cmpx_ne_u32_e32 0, v0
	s_cbranch_execz .LBB13_97
; %bb.96:
	s_clause 0x1
	buffer_load_dword v30, off, s[0:3], 0
	buffer_load_dword v31, off, s[0:3], 0 offset:4
	v_mov_b32_e32 v0, 0
	buffer_store_dword v0, off, s[0:3], 0
	buffer_store_dword v0, off, s[0:3], 0 offset:4
	s_waitcnt vmcnt(0)
	ds_write_b64 v29, v[30:31]
.LBB13_97:
	s_or_b32 exec_lo, exec_lo, s4
	s_waitcnt lgkmcnt(0)
	s_waitcnt_vscnt null, 0x0
	s_barrier
	buffer_gl0_inv
	s_clause 0x1b
	buffer_load_dword v57, off, s[0:3], 0 offset:12
	buffer_load_dword v58, off, s[0:3], 0 offset:20
	;; [unrolled: 1-line block ×26, first 2 shown]
	buffer_load_dword v81, off, s[0:3], 0
	buffer_load_dword v82, off, s[0:3], 0 offset:4
	v_mov_b32_e32 v30, 0
	ds_read2_b64 v[31:34], v30 offset0:15 offset1:16
	ds_read2_b64 v[35:38], v30 offset0:17 offset1:18
	;; [unrolled: 1-line block ×6, first 2 shown]
	ds_read_b64 v[55:56], v30 offset:216
	s_and_b32 vcc_lo, exec_lo, s22
	s_waitcnt vmcnt(27) lgkmcnt(6)
	v_mul_f32_e32 v83, v31, v57
	v_mul_f32_e32 v57, v32, v57
	s_waitcnt vmcnt(26)
	v_mul_f32_e32 v84, v33, v58
	v_mul_f32_e32 v58, v34, v58
	s_waitcnt vmcnt(25) lgkmcnt(5)
	v_mul_f32_e32 v85, v35, v59
	s_waitcnt vmcnt(24)
	v_mul_f32_e32 v86, v37, v60
	s_waitcnt vmcnt(23) lgkmcnt(4)
	v_mul_f32_e32 v87, v39, v61
	s_waitcnt vmcnt(22)
	;; [unrolled: 4-line block ×5, first 2 shown]
	v_fma_f32 v31, v31, v69, -v57
	v_fmac_f32_e32 v83, v32, v69
	v_mul_f32_e32 v32, v36, v59
	s_waitcnt vmcnt(13)
	v_fma_f32 v33, v33, v70, -v58
	v_fmac_f32_e32 v84, v34, v70
	v_add_f32_e32 v31, 0, v31
	v_add_f32_e32 v34, 0, v83
	v_mul_f32_e32 v57, v38, v60
	s_waitcnt vmcnt(12)
	v_fma_f32 v32, v35, v71, -v32
	v_fmac_f32_e32 v85, v36, v71
	v_add_f32_e32 v31, v31, v33
	v_add_f32_e32 v33, v34, v84
	;; [unrolled: 6-line block ×9, first 2 shown]
	v_mul_f32_e32 v33, v54, v0
	s_waitcnt vmcnt(4)
	v_fma_f32 v34, v51, v79, -v34
	v_mul_f32_e32 v94, v53, v0
	v_add_f32_e32 v31, v31, v35
	v_fmac_f32_e32 v93, v52, v79
	v_add_f32_e32 v32, v32, v92
	s_waitcnt lgkmcnt(0)
	v_mul_f32_e32 v35, v56, v68
	s_waitcnt vmcnt(2)
	v_fma_f32 v33, v53, v29, -v33
	v_add_f32_e32 v31, v31, v34
	v_mul_f32_e32 v95, v55, v68
	v_fmac_f32_e32 v94, v54, v29
	v_add_f32_e32 v32, v32, v93
	v_fma_f32 v34, v55, v80, -v35
	v_add_f32_e32 v31, v31, v33
	v_fmac_f32_e32 v95, v56, v80
	v_add_f32_e32 v32, v32, v94
	v_add_f32_e32 v31, v31, v34
	;; [unrolled: 1-line block ×3, first 2 shown]
	s_waitcnt vmcnt(1)
	v_sub_f32_e32 v31, v81, v31
	s_waitcnt vmcnt(0)
	v_sub_f32_e32 v32, v82, v32
	buffer_store_dword v31, off, s[0:3], 0
	buffer_store_dword v32, off, s[0:3], 0 offset:4
	s_cbranch_vccz .LBB13_124
; %bb.98:
	global_load_dword v30, v30, s[20:21] offset:48
	s_waitcnt vmcnt(0)
	v_add_nc_u32_e32 v30, -1, v30
	v_cmp_ne_u32_e32 vcc_lo, 12, v30
	s_cbranch_vccz .LBB13_100
; %bb.99:
	v_lshlrev_b32_e32 v30, 3, v30
	s_clause 0x1
	buffer_load_dword v31, v30, s[0:3], 0 offen offset:4
	buffer_load_dword v32, v30, s[0:3], 0 offen
	s_waitcnt vmcnt(1)
	buffer_store_dword v31, off, s[0:3], 0 offset:100
	s_waitcnt vmcnt(0)
	buffer_store_dword v32, off, s[0:3], 0 offset:96
	buffer_store_dword v0, v30, s[0:3], 0 offen offset:4
	buffer_store_dword v29, v30, s[0:3], 0 offen
.LBB13_100:
	v_mov_b32_e32 v0, 0
	global_load_dword v29, v0, s[20:21] offset:44
	s_waitcnt vmcnt(0)
	v_add_nc_u32_e32 v29, -1, v29
	v_cmp_eq_u32_e32 vcc_lo, 11, v29
	s_cbranch_vccnz .LBB13_102
; %bb.101:
	v_lshlrev_b32_e32 v29, 3, v29
	s_clause 0x3
	buffer_load_dword v30, v29, s[0:3], 0 offen
	buffer_load_dword v31, v29, s[0:3], 0 offen offset:4
	buffer_load_dword v32, off, s[0:3], 0 offset:88
	buffer_load_dword v33, off, s[0:3], 0 offset:92
	s_waitcnt vmcnt(3)
	buffer_store_dword v30, off, s[0:3], 0 offset:88
	s_waitcnt vmcnt(2)
	buffer_store_dword v31, off, s[0:3], 0 offset:92
	s_waitcnt vmcnt(1)
	buffer_store_dword v32, v29, s[0:3], 0 offen
	s_waitcnt vmcnt(0)
	buffer_store_dword v33, v29, s[0:3], 0 offen offset:4
.LBB13_102:
	global_load_dword v0, v0, s[20:21] offset:40
	s_waitcnt vmcnt(0)
	v_add_nc_u32_e32 v0, -1, v0
	v_cmp_eq_u32_e32 vcc_lo, 10, v0
	s_cbranch_vccnz .LBB13_104
; %bb.103:
	v_lshlrev_b32_e32 v0, 3, v0
	s_clause 0x3
	buffer_load_dword v29, v0, s[0:3], 0 offen
	buffer_load_dword v30, v0, s[0:3], 0 offen offset:4
	buffer_load_dword v31, off, s[0:3], 0 offset:84
	buffer_load_dword v32, off, s[0:3], 0 offset:80
	s_waitcnt vmcnt(3)
	buffer_store_dword v29, off, s[0:3], 0 offset:80
	s_waitcnt vmcnt(2)
	buffer_store_dword v30, off, s[0:3], 0 offset:84
	s_waitcnt vmcnt(1)
	buffer_store_dword v31, v0, s[0:3], 0 offen offset:4
	s_waitcnt vmcnt(0)
	buffer_store_dword v32, v0, s[0:3], 0 offen
.LBB13_104:
	v_mov_b32_e32 v0, 0
	global_load_dword v29, v0, s[20:21] offset:36
	s_waitcnt vmcnt(0)
	v_add_nc_u32_e32 v29, -1, v29
	v_cmp_eq_u32_e32 vcc_lo, 9, v29
	s_cbranch_vccnz .LBB13_106
; %bb.105:
	v_lshlrev_b32_e32 v29, 3, v29
	s_clause 0x3
	buffer_load_dword v30, v29, s[0:3], 0 offen
	buffer_load_dword v31, v29, s[0:3], 0 offen offset:4
	buffer_load_dword v32, off, s[0:3], 0 offset:72
	buffer_load_dword v33, off, s[0:3], 0 offset:76
	s_waitcnt vmcnt(3)
	buffer_store_dword v30, off, s[0:3], 0 offset:72
	s_waitcnt vmcnt(2)
	buffer_store_dword v31, off, s[0:3], 0 offset:76
	s_waitcnt vmcnt(1)
	buffer_store_dword v32, v29, s[0:3], 0 offen
	s_waitcnt vmcnt(0)
	buffer_store_dword v33, v29, s[0:3], 0 offen offset:4
.LBB13_106:
	global_load_dword v0, v0, s[20:21] offset:32
	s_waitcnt vmcnt(0)
	v_add_nc_u32_e32 v0, -1, v0
	v_cmp_eq_u32_e32 vcc_lo, 8, v0
	s_cbranch_vccnz .LBB13_108
; %bb.107:
	v_lshlrev_b32_e32 v0, 3, v0
	s_clause 0x3
	buffer_load_dword v29, v0, s[0:3], 0 offen
	buffer_load_dword v30, v0, s[0:3], 0 offen offset:4
	buffer_load_dword v31, off, s[0:3], 0 offset:68
	buffer_load_dword v32, off, s[0:3], 0 offset:64
	s_waitcnt vmcnt(3)
	buffer_store_dword v29, off, s[0:3], 0 offset:64
	s_waitcnt vmcnt(2)
	buffer_store_dword v30, off, s[0:3], 0 offset:68
	s_waitcnt vmcnt(1)
	buffer_store_dword v31, v0, s[0:3], 0 offen offset:4
	s_waitcnt vmcnt(0)
	buffer_store_dword v32, v0, s[0:3], 0 offen
.LBB13_108:
	;; [unrolled: 43-line block ×5, first 2 shown]
	v_mov_b32_e32 v0, 0
	global_load_dword v29, v0, s[20:21] offset:4
	s_waitcnt vmcnt(0)
	v_add_nc_u32_e32 v29, -1, v29
	v_cmp_eq_u32_e32 vcc_lo, 1, v29
	s_cbranch_vccnz .LBB13_122
; %bb.121:
	v_lshlrev_b32_e32 v29, 3, v29
	s_clause 0x3
	buffer_load_dword v30, v29, s[0:3], 0 offen
	buffer_load_dword v31, v29, s[0:3], 0 offen offset:4
	buffer_load_dword v32, off, s[0:3], 0 offset:8
	buffer_load_dword v33, off, s[0:3], 0 offset:12
	s_waitcnt vmcnt(3)
	buffer_store_dword v30, off, s[0:3], 0 offset:8
	s_waitcnt vmcnt(2)
	buffer_store_dword v31, off, s[0:3], 0 offset:12
	s_waitcnt vmcnt(1)
	buffer_store_dword v32, v29, s[0:3], 0 offen
	s_waitcnt vmcnt(0)
	buffer_store_dword v33, v29, s[0:3], 0 offen offset:4
.LBB13_122:
	global_load_dword v0, v0, s[20:21]
	s_waitcnt vmcnt(0)
	v_add_nc_u32_e32 v0, -1, v0
	v_cmp_eq_u32_e32 vcc_lo, 0, v0
	s_cbranch_vccnz .LBB13_124
; %bb.123:
	v_lshlrev_b32_e32 v0, 3, v0
	s_clause 0x3
	buffer_load_dword v29, v0, s[0:3], 0 offen
	buffer_load_dword v30, v0, s[0:3], 0 offen offset:4
	buffer_load_dword v31, off, s[0:3], 0 offset:4
	buffer_load_dword v32, off, s[0:3], 0
	s_waitcnt vmcnt(3)
	buffer_store_dword v29, off, s[0:3], 0
	s_waitcnt vmcnt(2)
	buffer_store_dword v30, off, s[0:3], 0 offset:4
	s_waitcnt vmcnt(1)
	buffer_store_dword v31, v0, s[0:3], 0 offen offset:4
	s_waitcnt vmcnt(0)
	buffer_store_dword v32, v0, s[0:3], 0 offen
.LBB13_124:
	s_clause 0x1b
	buffer_load_dword v29, off, s[0:3], 0
	buffer_load_dword v30, off, s[0:3], 0 offset:4
	buffer_load_dword v31, off, s[0:3], 0 offset:8
	;; [unrolled: 1-line block ×27, first 2 shown]
	s_waitcnt vmcnt(26)
	global_store_dwordx2 v[1:2], v[29:30], off
	s_waitcnt vmcnt(24)
	global_store_dwordx2 v[3:4], v[31:32], off
	;; [unrolled: 2-line block ×9, first 2 shown]
	global_store_dwordx2 v[19:20], v[47:48], off
	global_store_dwordx2 v[21:22], v[49:50], off
	;; [unrolled: 1-line block ×3, first 2 shown]
	s_waitcnt vmcnt(2)
	global_store_dwordx2 v[27:28], v[53:54], off
	s_waitcnt vmcnt(0)
	global_store_dwordx2 v[25:26], v[55:56], off
	s_endpgm
	.section	.rodata,"a",@progbits
	.p2align	6, 0x0
	.amdhsa_kernel _ZN9rocsolver6v33100L18getri_kernel_smallILi14E19rocblas_complex_numIfEPS3_EEvT1_iilPiilS6_bb
		.amdhsa_group_segment_fixed_size 228
		.amdhsa_private_segment_fixed_size 128
		.amdhsa_kernarg_size 60
		.amdhsa_user_sgpr_count 6
		.amdhsa_user_sgpr_private_segment_buffer 1
		.amdhsa_user_sgpr_dispatch_ptr 0
		.amdhsa_user_sgpr_queue_ptr 0
		.amdhsa_user_sgpr_kernarg_segment_ptr 1
		.amdhsa_user_sgpr_dispatch_id 0
		.amdhsa_user_sgpr_flat_scratch_init 0
		.amdhsa_user_sgpr_private_segment_size 0
		.amdhsa_wavefront_size32 1
		.amdhsa_uses_dynamic_stack 0
		.amdhsa_system_sgpr_private_segment_wavefront_offset 1
		.amdhsa_system_sgpr_workgroup_id_x 1
		.amdhsa_system_sgpr_workgroup_id_y 0
		.amdhsa_system_sgpr_workgroup_id_z 0
		.amdhsa_system_sgpr_workgroup_info 0
		.amdhsa_system_vgpr_workitem_id 0
		.amdhsa_next_free_vgpr 96
		.amdhsa_next_free_sgpr 23
		.amdhsa_reserve_vcc 1
		.amdhsa_reserve_flat_scratch 0
		.amdhsa_float_round_mode_32 0
		.amdhsa_float_round_mode_16_64 0
		.amdhsa_float_denorm_mode_32 3
		.amdhsa_float_denorm_mode_16_64 3
		.amdhsa_dx10_clamp 1
		.amdhsa_ieee_mode 1
		.amdhsa_fp16_overflow 0
		.amdhsa_workgroup_processor_mode 1
		.amdhsa_memory_ordered 1
		.amdhsa_forward_progress 1
		.amdhsa_shared_vgpr_count 0
		.amdhsa_exception_fp_ieee_invalid_op 0
		.amdhsa_exception_fp_denorm_src 0
		.amdhsa_exception_fp_ieee_div_zero 0
		.amdhsa_exception_fp_ieee_overflow 0
		.amdhsa_exception_fp_ieee_underflow 0
		.amdhsa_exception_fp_ieee_inexact 0
		.amdhsa_exception_int_div_zero 0
	.end_amdhsa_kernel
	.section	.text._ZN9rocsolver6v33100L18getri_kernel_smallILi14E19rocblas_complex_numIfEPS3_EEvT1_iilPiilS6_bb,"axG",@progbits,_ZN9rocsolver6v33100L18getri_kernel_smallILi14E19rocblas_complex_numIfEPS3_EEvT1_iilPiilS6_bb,comdat
.Lfunc_end13:
	.size	_ZN9rocsolver6v33100L18getri_kernel_smallILi14E19rocblas_complex_numIfEPS3_EEvT1_iilPiilS6_bb, .Lfunc_end13-_ZN9rocsolver6v33100L18getri_kernel_smallILi14E19rocblas_complex_numIfEPS3_EEvT1_iilPiilS6_bb
                                        ; -- End function
	.set _ZN9rocsolver6v33100L18getri_kernel_smallILi14E19rocblas_complex_numIfEPS3_EEvT1_iilPiilS6_bb.num_vgpr, 96
	.set _ZN9rocsolver6v33100L18getri_kernel_smallILi14E19rocblas_complex_numIfEPS3_EEvT1_iilPiilS6_bb.num_agpr, 0
	.set _ZN9rocsolver6v33100L18getri_kernel_smallILi14E19rocblas_complex_numIfEPS3_EEvT1_iilPiilS6_bb.numbered_sgpr, 23
	.set _ZN9rocsolver6v33100L18getri_kernel_smallILi14E19rocblas_complex_numIfEPS3_EEvT1_iilPiilS6_bb.num_named_barrier, 0
	.set _ZN9rocsolver6v33100L18getri_kernel_smallILi14E19rocblas_complex_numIfEPS3_EEvT1_iilPiilS6_bb.private_seg_size, 128
	.set _ZN9rocsolver6v33100L18getri_kernel_smallILi14E19rocblas_complex_numIfEPS3_EEvT1_iilPiilS6_bb.uses_vcc, 1
	.set _ZN9rocsolver6v33100L18getri_kernel_smallILi14E19rocblas_complex_numIfEPS3_EEvT1_iilPiilS6_bb.uses_flat_scratch, 0
	.set _ZN9rocsolver6v33100L18getri_kernel_smallILi14E19rocblas_complex_numIfEPS3_EEvT1_iilPiilS6_bb.has_dyn_sized_stack, 0
	.set _ZN9rocsolver6v33100L18getri_kernel_smallILi14E19rocblas_complex_numIfEPS3_EEvT1_iilPiilS6_bb.has_recursion, 0
	.set _ZN9rocsolver6v33100L18getri_kernel_smallILi14E19rocblas_complex_numIfEPS3_EEvT1_iilPiilS6_bb.has_indirect_call, 0
	.section	.AMDGPU.csdata,"",@progbits
; Kernel info:
; codeLenInByte = 13916
; TotalNumSgprs: 25
; NumVgprs: 96
; ScratchSize: 128
; MemoryBound: 0
; FloatMode: 240
; IeeeMode: 1
; LDSByteSize: 228 bytes/workgroup (compile time only)
; SGPRBlocks: 0
; VGPRBlocks: 11
; NumSGPRsForWavesPerEU: 25
; NumVGPRsForWavesPerEU: 96
; Occupancy: 10
; WaveLimiterHint : 1
; COMPUTE_PGM_RSRC2:SCRATCH_EN: 1
; COMPUTE_PGM_RSRC2:USER_SGPR: 6
; COMPUTE_PGM_RSRC2:TRAP_HANDLER: 0
; COMPUTE_PGM_RSRC2:TGID_X_EN: 1
; COMPUTE_PGM_RSRC2:TGID_Y_EN: 0
; COMPUTE_PGM_RSRC2:TGID_Z_EN: 0
; COMPUTE_PGM_RSRC2:TIDIG_COMP_CNT: 0
	.section	.text._ZN9rocsolver6v33100L18getri_kernel_smallILi15E19rocblas_complex_numIfEPS3_EEvT1_iilPiilS6_bb,"axG",@progbits,_ZN9rocsolver6v33100L18getri_kernel_smallILi15E19rocblas_complex_numIfEPS3_EEvT1_iilPiilS6_bb,comdat
	.globl	_ZN9rocsolver6v33100L18getri_kernel_smallILi15E19rocblas_complex_numIfEPS3_EEvT1_iilPiilS6_bb ; -- Begin function _ZN9rocsolver6v33100L18getri_kernel_smallILi15E19rocblas_complex_numIfEPS3_EEvT1_iilPiilS6_bb
	.p2align	8
	.type	_ZN9rocsolver6v33100L18getri_kernel_smallILi15E19rocblas_complex_numIfEPS3_EEvT1_iilPiilS6_bb,@function
_ZN9rocsolver6v33100L18getri_kernel_smallILi15E19rocblas_complex_numIfEPS3_EEvT1_iilPiilS6_bb: ; @_ZN9rocsolver6v33100L18getri_kernel_smallILi15E19rocblas_complex_numIfEPS3_EEvT1_iilPiilS6_bb
; %bb.0:
	s_add_u32 s0, s0, s7
	s_addc_u32 s1, s1, 0
	s_mov_b32 s7, exec_lo
	v_cmpx_gt_u32_e32 15, v0
	s_cbranch_execz .LBB14_74
; %bb.1:
	s_clause 0x2
	s_load_dword s7, s[4:5], 0x38
	s_load_dwordx4 s[16:19], s[4:5], 0x10
	s_load_dwordx4 s[8:11], s[4:5], 0x28
                                        ; implicit-def: $sgpr20_sgpr21
	s_waitcnt lgkmcnt(0)
	s_bitcmp1_b32 s7, 8
	s_cselect_b32 s22, -1, 0
	s_bfe_u32 s12, s7, 0x10008
	s_ashr_i32 s7, s6, 31
	s_cmp_eq_u32 s12, 0
	s_cbranch_scc1 .LBB14_3
; %bb.2:
	s_load_dword s12, s[4:5], 0x20
	s_mul_i32 s13, s8, s7
	s_mul_hi_u32 s14, s8, s6
	s_mul_i32 s9, s9, s6
	s_add_i32 s13, s14, s13
	s_mul_i32 s8, s8, s6
	s_add_i32 s9, s13, s9
	s_lshl_b64 s[8:9], s[8:9], 2
	s_waitcnt lgkmcnt(0)
	s_ashr_i32 s13, s12, 31
	s_add_u32 s14, s18, s8
	s_addc_u32 s15, s19, s9
	s_lshl_b64 s[8:9], s[12:13], 2
	s_add_u32 s20, s14, s8
	s_addc_u32 s21, s15, s9
.LBB14_3:
	s_clause 0x1
	s_load_dwordx4 s[12:15], s[4:5], 0x0
	s_load_dword s8, s[4:5], 0x38
	s_mul_i32 s4, s16, s7
	s_mul_hi_u32 s5, s16, s6
	s_mul_i32 s9, s17, s6
	s_add_i32 s5, s5, s4
	s_mul_i32 s4, s16, s6
	s_add_i32 s5, s5, s9
	v_lshlrev_b32_e32 v33, 3, v0
	s_lshl_b64 s[4:5], s[4:5], 3
	s_waitcnt lgkmcnt(0)
	v_add3_u32 v3, s15, s15, v0
	s_ashr_i32 s17, s14, 31
	s_mov_b32 s16, s14
	s_add_u32 s9, s12, s4
	s_addc_u32 s13, s13, s5
	v_add_nc_u32_e32 v5, s15, v3
	s_lshl_b64 s[4:5], s[16:17], 3
	v_ashrrev_i32_e32 v4, 31, v3
	s_add_u32 s4, s9, s4
	s_addc_u32 s5, s13, s5
	v_add_nc_u32_e32 v9, s15, v5
	v_ashrrev_i32_e32 v6, 31, v5
	v_add_co_u32 v1, s9, s4, v33
	s_mov_b32 s12, s15
	s_ashr_i32 s13, s15, 31
	v_lshlrev_b64 v[7:8], 3, v[3:4]
	v_add_nc_u32_e32 v13, s15, v9
	v_add_co_ci_u32_e64 v2, null, s5, 0, s9
	s_lshl_b64 s[12:13], s[12:13], 3
	v_lshlrev_b64 v[11:12], 3, v[5:6]
	v_add_co_u32 v3, vcc_lo, v1, s12
	v_ashrrev_i32_e32 v14, 31, v13
	v_add_nc_u32_e32 v15, s15, v13
	v_add_co_ci_u32_e64 v4, null, s13, v2, vcc_lo
	v_add_co_u32 v5, vcc_lo, s4, v7
	v_add_co_ci_u32_e64 v6, null, s5, v8, vcc_lo
	v_add_co_u32 v7, vcc_lo, s4, v11
	v_add_co_ci_u32_e64 v8, null, s5, v12, vcc_lo
	v_lshlrev_b64 v[11:12], 3, v[13:14]
	v_add_nc_u32_e32 v13, s15, v15
	v_ashrrev_i32_e32 v10, 31, v9
	v_ashrrev_i32_e32 v16, 31, v15
	global_load_dwordx2 v[31:32], v33, s[4:5]
	s_bitcmp0_b32 s8, 0
	v_add_nc_u32_e32 v17, s15, v13
	v_lshlrev_b64 v[9:10], 3, v[9:10]
	v_ashrrev_i32_e32 v14, 31, v13
	v_lshlrev_b64 v[15:16], 3, v[15:16]
	v_add_nc_u32_e32 v21, s15, v17
	v_ashrrev_i32_e32 v18, 31, v17
	v_add_co_u32 v9, vcc_lo, s4, v9
	v_lshlrev_b64 v[19:20], 3, v[13:14]
	v_add_co_ci_u32_e64 v10, null, s5, v10, vcc_lo
	v_add_co_u32 v11, vcc_lo, s4, v11
	v_ashrrev_i32_e32 v22, 31, v21
	v_add_nc_u32_e32 v23, s15, v21
	v_add_co_ci_u32_e64 v12, null, s5, v12, vcc_lo
	v_add_co_u32 v13, vcc_lo, s4, v15
	v_add_co_ci_u32_e64 v14, null, s5, v16, vcc_lo
	v_add_co_u32 v15, vcc_lo, s4, v19
	v_add_co_ci_u32_e64 v16, null, s5, v20, vcc_lo
	v_lshlrev_b64 v[19:20], 3, v[21:22]
	v_add_nc_u32_e32 v21, s15, v23
	v_ashrrev_i32_e32 v24, 31, v23
	v_lshlrev_b64 v[17:18], 3, v[17:18]
	s_clause 0x3
	global_load_dwordx2 v[34:35], v[3:4], off
	global_load_dwordx2 v[36:37], v[5:6], off
	;; [unrolled: 1-line block ×4, first 2 shown]
	v_add_nc_u32_e32 v25, s15, v21
	v_ashrrev_i32_e32 v22, 31, v21
	v_lshlrev_b64 v[23:24], 3, v[23:24]
	v_add_co_u32 v17, vcc_lo, s4, v17
	v_add_nc_u32_e32 v29, s15, v25
	v_lshlrev_b64 v[27:28], 3, v[21:22]
	v_ashrrev_i32_e32 v26, 31, v25
	v_add_co_ci_u32_e64 v18, null, s5, v18, vcc_lo
	v_add_nc_u32_e32 v50, s15, v29
	v_add_co_u32 v19, vcc_lo, s4, v19
	v_ashrrev_i32_e32 v30, 31, v29
	v_add_co_ci_u32_e64 v20, null, s5, v20, vcc_lo
	v_add_co_u32 v21, vcc_lo, s4, v23
	v_ashrrev_i32_e32 v51, 31, v50
	v_add_co_ci_u32_e64 v22, null, s5, v24, vcc_lo
	v_lshlrev_b64 v[25:26], 3, v[25:26]
	v_add_co_u32 v23, vcc_lo, s4, v27
	v_add_co_ci_u32_e64 v24, null, s5, v28, vcc_lo
	v_lshlrev_b64 v[27:28], 3, v[29:30]
	v_lshlrev_b64 v[50:51], 3, v[50:51]
	v_add_co_u32 v25, vcc_lo, s4, v25
	v_add_co_ci_u32_e64 v26, null, s5, v26, vcc_lo
	v_add_co_u32 v29, vcc_lo, s4, v27
	v_add_co_ci_u32_e64 v30, null, s5, v28, vcc_lo
	;; [unrolled: 2-line block ×3, first 2 shown]
	s_clause 0x9
	global_load_dwordx2 v[42:43], v[11:12], off
	global_load_dwordx2 v[44:45], v[13:14], off
	;; [unrolled: 1-line block ×10, first 2 shown]
	s_mov_b32 s5, -1
	s_waitcnt vmcnt(14)
	buffer_store_dword v32, off, s[0:3], 0 offset:4
	buffer_store_dword v31, off, s[0:3], 0
	s_waitcnt vmcnt(13)
	buffer_store_dword v35, off, s[0:3], 0 offset:12
	buffer_store_dword v34, off, s[0:3], 0 offset:8
	s_waitcnt vmcnt(12)
	buffer_store_dword v37, off, s[0:3], 0 offset:20
	buffer_store_dword v36, off, s[0:3], 0 offset:16
	;; [unrolled: 3-line block ×14, first 2 shown]
	s_cbranch_scc1 .LBB14_72
; %bb.4:
	v_cmp_eq_u32_e64 s4, 0, v0
	s_and_saveexec_b32 s5, s4
; %bb.5:
	v_mov_b32_e32 v31, 0
	ds_write_b32 v31, v31 offset:120
; %bb.6:
	s_or_b32 exec_lo, exec_lo, s5
	v_lshl_add_u32 v35, v0, 3, 0
	s_waitcnt lgkmcnt(0)
	s_waitcnt_vscnt null, 0x0
	s_barrier
	buffer_gl0_inv
	s_clause 0x1
	buffer_load_dword v31, v35, s[0:3], 0 offen
	buffer_load_dword v32, v35, s[0:3], 0 offen offset:4
	s_waitcnt vmcnt(1)
	v_cmp_eq_f32_e32 vcc_lo, 0, v31
	s_waitcnt vmcnt(0)
	v_cmp_eq_f32_e64 s5, 0, v32
	s_and_b32 s5, vcc_lo, s5
	s_and_saveexec_b32 s8, s5
	s_cbranch_execz .LBB14_10
; %bb.7:
	v_mov_b32_e32 v31, 0
	s_mov_b32 s9, 0
	ds_read_b32 v32, v31 offset:120
	s_waitcnt lgkmcnt(0)
	v_readfirstlane_b32 s5, v32
	v_add_nc_u32_e32 v32, 1, v0
	s_cmp_eq_u32 s5, 0
	v_cmp_gt_i32_e32 vcc_lo, s5, v32
	s_cselect_b32 s12, -1, 0
	s_or_b32 s12, s12, vcc_lo
	s_and_b32 exec_lo, exec_lo, s12
	s_cbranch_execz .LBB14_10
; %bb.8:
	v_mov_b32_e32 v34, s5
.LBB14_9:                               ; =>This Inner Loop Header: Depth=1
	ds_cmpst_rtn_b32 v34, v31, v34, v32 offset:120
	s_waitcnt lgkmcnt(0)
	v_cmp_ne_u32_e32 vcc_lo, 0, v34
	v_cmp_le_i32_e64 s5, v34, v32
	s_and_b32 s5, vcc_lo, s5
	s_and_b32 s5, exec_lo, s5
	s_or_b32 s9, s5, s9
	s_andn2_b32 exec_lo, exec_lo, s9
	s_cbranch_execnz .LBB14_9
.LBB14_10:
	s_or_b32 exec_lo, exec_lo, s8
	v_mov_b32_e32 v31, 0
	s_barrier
	buffer_gl0_inv
	ds_read_b32 v32, v31 offset:120
	s_and_saveexec_b32 s5, s4
	s_cbranch_execz .LBB14_12
; %bb.11:
	s_lshl_b64 s[8:9], s[6:7], 2
	s_add_u32 s8, s10, s8
	s_addc_u32 s9, s11, s9
	s_waitcnt lgkmcnt(0)
	global_store_dword v31, v32, s[8:9]
.LBB14_12:
	s_or_b32 exec_lo, exec_lo, s5
	s_waitcnt lgkmcnt(0)
	v_cmp_ne_u32_e32 vcc_lo, 0, v32
	s_mov_b32 s5, 0
	s_cbranch_vccnz .LBB14_72
; %bb.13:
	s_clause 0x1
	buffer_load_dword v32, v35, s[0:3], 0 offen
	buffer_load_dword v34, v35, s[0:3], 0 offen offset:4
                                        ; implicit-def: $vgpr37
                                        ; implicit-def: $vgpr36
                                        ; implicit-def: $vgpr31
	s_waitcnt vmcnt(0)
	v_cmp_ngt_f32_e64 s5, |v32|, |v34|
	s_and_saveexec_b32 s8, s5
	s_xor_b32 s5, exec_lo, s8
	s_cbranch_execz .LBB14_15
; %bb.14:
	v_div_scale_f32 v31, null, v34, v34, v32
	v_div_scale_f32 v38, vcc_lo, v32, v34, v32
	v_rcp_f32_e32 v36, v31
	v_fma_f32 v37, -v31, v36, 1.0
	v_fmac_f32_e32 v36, v37, v36
	v_mul_f32_e32 v37, v38, v36
	v_fma_f32 v39, -v31, v37, v38
	v_fmac_f32_e32 v37, v39, v36
	v_fma_f32 v31, -v31, v37, v38
	v_div_fmas_f32 v31, v31, v36, v37
	v_div_fixup_f32 v31, v31, v34, v32
	v_fmac_f32_e32 v34, v32, v31
	v_div_scale_f32 v32, null, v34, v34, 1.0
	v_rcp_f32_e32 v36, v32
	v_fma_f32 v37, -v32, v36, 1.0
	v_fmac_f32_e32 v36, v37, v36
	v_div_scale_f32 v37, vcc_lo, 1.0, v34, 1.0
	v_mul_f32_e32 v38, v37, v36
	v_fma_f32 v39, -v32, v38, v37
	v_fmac_f32_e32 v38, v39, v36
	v_fma_f32 v32, -v32, v38, v37
	v_div_fmas_f32 v32, v32, v36, v38
	v_div_fixup_f32 v32, v32, v34, 1.0
                                        ; implicit-def: $vgpr34
	v_mul_f32_e32 v37, v31, v32
	v_xor_b32_e32 v36, 0x80000000, v32
                                        ; implicit-def: $vgpr32
	v_xor_b32_e32 v31, 0x80000000, v37
.LBB14_15:
	s_andn2_saveexec_b32 s5, s5
	s_cbranch_execz .LBB14_17
; %bb.16:
	v_div_scale_f32 v31, null, v32, v32, v34
	v_div_scale_f32 v38, vcc_lo, v34, v32, v34
	v_rcp_f32_e32 v36, v31
	v_fma_f32 v37, -v31, v36, 1.0
	v_fmac_f32_e32 v36, v37, v36
	v_mul_f32_e32 v37, v38, v36
	v_fma_f32 v39, -v31, v37, v38
	v_fmac_f32_e32 v37, v39, v36
	v_fma_f32 v31, -v31, v37, v38
	v_div_fmas_f32 v31, v31, v36, v37
	v_div_fixup_f32 v36, v31, v32, v34
	v_fmac_f32_e32 v32, v34, v36
	v_div_scale_f32 v31, null, v32, v32, 1.0
	v_div_scale_f32 v38, vcc_lo, 1.0, v32, 1.0
	v_rcp_f32_e32 v34, v31
	v_fma_f32 v37, -v31, v34, 1.0
	v_fmac_f32_e32 v34, v37, v34
	v_mul_f32_e32 v37, v38, v34
	v_fma_f32 v39, -v31, v37, v38
	v_fmac_f32_e32 v37, v39, v34
	v_fma_f32 v31, -v31, v37, v38
	v_div_fmas_f32 v31, v31, v34, v37
	v_div_fixup_f32 v37, v31, v32, 1.0
	v_xor_b32_e32 v31, 0x80000000, v37
	v_mul_f32_e64 v36, v36, -v37
.LBB14_17:
	s_or_b32 exec_lo, exec_lo, s5
	buffer_store_dword v37, v35, s[0:3], 0 offen
	buffer_store_dword v36, v35, s[0:3], 0 offen offset:4
	s_clause 0x1
	buffer_load_dword v38, off, s[0:3], 0 offset:12
	buffer_load_dword v37, off, s[0:3], 0 offset:8
	v_xor_b32_e32 v32, 0x80000000, v36
	v_add_nc_u32_e32 v34, 0x80, v33
	s_waitcnt vmcnt(0)
	ds_write2_b64 v33, v[31:32], v[37:38] offset1:16
	s_waitcnt lgkmcnt(0)
	s_waitcnt_vscnt null, 0x0
	s_barrier
	buffer_gl0_inv
	s_and_saveexec_b32 s5, s4
	s_cbranch_execz .LBB14_19
; %bb.18:
	s_clause 0x1
	buffer_load_dword v38, v35, s[0:3], 0 offen offset:4
	buffer_load_dword v39, v35, s[0:3], 0 offen
	ds_read_b64 v[31:32], v34
	v_mov_b32_e32 v36, 0
	ds_read_b64 v[36:37], v36 offset:8
	s_waitcnt vmcnt(1) lgkmcnt(1)
	v_mul_f32_e32 v40, v31, v38
	v_mul_f32_e32 v38, v32, v38
	s_waitcnt vmcnt(0)
	v_fmac_f32_e32 v40, v32, v39
	v_fma_f32 v31, v31, v39, -v38
	v_add_f32_e32 v32, 0, v40
	v_add_f32_e32 v31, 0, v31
	s_waitcnt lgkmcnt(0)
	v_mul_f32_e32 v38, v32, v37
	v_mul_f32_e32 v37, v31, v37
	v_fma_f32 v31, v31, v36, -v38
	v_fmac_f32_e32 v37, v32, v36
	buffer_store_dword v31, off, s[0:3], 0 offset:8
	buffer_store_dword v37, off, s[0:3], 0 offset:12
.LBB14_19:
	s_or_b32 exec_lo, exec_lo, s5
	s_waitcnt_vscnt null, 0x0
	s_barrier
	buffer_gl0_inv
	s_clause 0x1
	buffer_load_dword v31, off, s[0:3], 0 offset:16
	buffer_load_dword v32, off, s[0:3], 0 offset:20
	s_mov_b32 s5, exec_lo
	s_waitcnt vmcnt(0)
	ds_write_b64 v34, v[31:32]
	s_waitcnt lgkmcnt(0)
	s_barrier
	buffer_gl0_inv
	v_cmpx_gt_u32_e32 2, v0
	s_cbranch_execz .LBB14_23
; %bb.20:
	s_clause 0x1
	buffer_load_dword v36, v35, s[0:3], 0 offen offset:4
	buffer_load_dword v35, v35, s[0:3], 0 offen
	ds_read_b64 v[31:32], v34
	s_waitcnt vmcnt(1) lgkmcnt(0)
	v_mul_f32_e32 v37, v32, v36
	v_mul_f32_e32 v36, v31, v36
	s_waitcnt vmcnt(0)
	v_fma_f32 v31, v31, v35, -v37
	v_fmac_f32_e32 v36, v32, v35
	v_add_f32_e32 v32, 0, v31
	v_add_f32_e32 v31, 0, v36
	s_and_saveexec_b32 s8, s4
	s_cbranch_execz .LBB14_22
; %bb.21:
	s_clause 0x1
	buffer_load_dword v37, off, s[0:3], 0 offset:12
	buffer_load_dword v38, off, s[0:3], 0 offset:8
	v_mov_b32_e32 v35, 0
	ds_read_b64 v[35:36], v35 offset:136
	s_waitcnt vmcnt(1) lgkmcnt(0)
	v_mul_f32_e32 v39, v35, v37
	v_mul_f32_e32 v37, v36, v37
	s_waitcnt vmcnt(0)
	v_fmac_f32_e32 v39, v36, v38
	v_fma_f32 v35, v35, v38, -v37
	v_add_f32_e32 v31, v31, v39
	v_add_f32_e32 v32, v32, v35
.LBB14_22:
	s_or_b32 exec_lo, exec_lo, s8
	v_mov_b32_e32 v35, 0
	ds_read_b64 v[35:36], v35 offset:16
	s_waitcnt lgkmcnt(0)
	v_mul_f32_e32 v37, v31, v36
	v_mul_f32_e32 v36, v32, v36
	v_fma_f32 v32, v32, v35, -v37
	v_fmac_f32_e32 v36, v31, v35
	buffer_store_dword v32, off, s[0:3], 0 offset:16
	buffer_store_dword v36, off, s[0:3], 0 offset:20
.LBB14_23:
	s_or_b32 exec_lo, exec_lo, s5
	s_waitcnt_vscnt null, 0x0
	s_barrier
	buffer_gl0_inv
	s_clause 0x1
	buffer_load_dword v35, off, s[0:3], 0 offset:24
	buffer_load_dword v36, off, s[0:3], 0 offset:28
	v_add_nc_u32_e32 v31, -1, v0
	s_mov_b32 s4, exec_lo
	s_waitcnt vmcnt(0)
	ds_write_b64 v34, v[35:36]
	s_waitcnt lgkmcnt(0)
	s_barrier
	buffer_gl0_inv
	v_cmpx_gt_u32_e32 3, v0
	s_cbranch_execz .LBB14_27
; %bb.24:
	v_add_nc_u32_e32 v35, -1, v0
	v_add_nc_u32_e32 v36, 0x80, v33
	v_mov_b32_e32 v37, v33
	v_mov_b32_e32 v32, 0
	;; [unrolled: 1-line block ×3, first 2 shown]
	s_mov_b32 s5, 0
	.p2align	6
.LBB14_25:                              ; =>This Inner Loop Header: Depth=1
	s_clause 0x1
	buffer_load_dword v41, v37, s[0:3], 0 offen offset:4
	buffer_load_dword v42, v37, s[0:3], 0 offen
	ds_read_b64 v[39:40], v36
	v_add_nc_u32_e32 v35, 1, v35
	v_add_nc_u32_e32 v36, 8, v36
	;; [unrolled: 1-line block ×3, first 2 shown]
	v_cmp_lt_u32_e32 vcc_lo, 1, v35
	s_or_b32 s5, vcc_lo, s5
	s_waitcnt vmcnt(1) lgkmcnt(0)
	v_mul_f32_e32 v43, v40, v41
	v_mul_f32_e32 v41, v39, v41
	s_waitcnt vmcnt(0)
	v_fma_f32 v39, v39, v42, -v43
	v_fmac_f32_e32 v41, v40, v42
	v_add_f32_e32 v38, v38, v39
	v_add_f32_e32 v32, v32, v41
	s_andn2_b32 exec_lo, exec_lo, s5
	s_cbranch_execnz .LBB14_25
; %bb.26:
	s_or_b32 exec_lo, exec_lo, s5
	v_mov_b32_e32 v35, 0
	ds_read_b64 v[35:36], v35 offset:24
	s_waitcnt lgkmcnt(0)
	v_mul_f32_e32 v37, v32, v36
	v_mul_f32_e32 v36, v38, v36
	v_fma_f32 v37, v38, v35, -v37
	v_fmac_f32_e32 v36, v32, v35
	buffer_store_dword v37, off, s[0:3], 0 offset:24
	buffer_store_dword v36, off, s[0:3], 0 offset:28
.LBB14_27:
	s_or_b32 exec_lo, exec_lo, s4
	s_waitcnt_vscnt null, 0x0
	s_barrier
	buffer_gl0_inv
	s_clause 0x1
	buffer_load_dword v35, off, s[0:3], 0 offset:32
	buffer_load_dword v36, off, s[0:3], 0 offset:36
	s_mov_b32 s4, exec_lo
	s_waitcnt vmcnt(0)
	ds_write_b64 v34, v[35:36]
	s_waitcnt lgkmcnt(0)
	s_barrier
	buffer_gl0_inv
	v_cmpx_gt_u32_e32 4, v0
	s_cbranch_execz .LBB14_31
; %bb.28:
	v_add_nc_u32_e32 v35, -1, v0
	v_add_nc_u32_e32 v36, 0x80, v33
	v_mov_b32_e32 v37, v33
	v_mov_b32_e32 v32, 0
	v_mov_b32_e32 v38, 0
	s_mov_b32 s5, 0
	.p2align	6
.LBB14_29:                              ; =>This Inner Loop Header: Depth=1
	s_clause 0x1
	buffer_load_dword v41, v37, s[0:3], 0 offen offset:4
	buffer_load_dword v42, v37, s[0:3], 0 offen
	ds_read_b64 v[39:40], v36
	v_add_nc_u32_e32 v35, 1, v35
	v_add_nc_u32_e32 v36, 8, v36
	v_add_nc_u32_e32 v37, 8, v37
	v_cmp_lt_u32_e32 vcc_lo, 2, v35
	s_or_b32 s5, vcc_lo, s5
	s_waitcnt vmcnt(1) lgkmcnt(0)
	v_mul_f32_e32 v43, v40, v41
	v_mul_f32_e32 v41, v39, v41
	s_waitcnt vmcnt(0)
	v_fma_f32 v39, v39, v42, -v43
	v_fmac_f32_e32 v41, v40, v42
	v_add_f32_e32 v38, v38, v39
	v_add_f32_e32 v32, v32, v41
	s_andn2_b32 exec_lo, exec_lo, s5
	s_cbranch_execnz .LBB14_29
; %bb.30:
	s_or_b32 exec_lo, exec_lo, s5
	v_mov_b32_e32 v35, 0
	ds_read_b64 v[35:36], v35 offset:32
	s_waitcnt lgkmcnt(0)
	v_mul_f32_e32 v37, v32, v36
	v_mul_f32_e32 v36, v38, v36
	v_fma_f32 v37, v38, v35, -v37
	v_fmac_f32_e32 v36, v32, v35
	buffer_store_dword v37, off, s[0:3], 0 offset:32
	buffer_store_dword v36, off, s[0:3], 0 offset:36
.LBB14_31:
	s_or_b32 exec_lo, exec_lo, s4
	s_waitcnt_vscnt null, 0x0
	s_barrier
	buffer_gl0_inv
	s_clause 0x1
	buffer_load_dword v35, off, s[0:3], 0 offset:40
	buffer_load_dword v36, off, s[0:3], 0 offset:44
	s_mov_b32 s4, exec_lo
	s_waitcnt vmcnt(0)
	ds_write_b64 v34, v[35:36]
	s_waitcnt lgkmcnt(0)
	s_barrier
	buffer_gl0_inv
	v_cmpx_gt_u32_e32 5, v0
	s_cbranch_execz .LBB14_35
; %bb.32:
	v_add_nc_u32_e32 v35, -1, v0
	v_add_nc_u32_e32 v36, 0x80, v33
	v_mov_b32_e32 v37, v33
	v_mov_b32_e32 v32, 0
	;; [unrolled: 1-line block ×3, first 2 shown]
	s_mov_b32 s5, 0
	.p2align	6
.LBB14_33:                              ; =>This Inner Loop Header: Depth=1
	s_clause 0x1
	buffer_load_dword v41, v37, s[0:3], 0 offen offset:4
	buffer_load_dword v42, v37, s[0:3], 0 offen
	ds_read_b64 v[39:40], v36
	v_add_nc_u32_e32 v35, 1, v35
	v_add_nc_u32_e32 v36, 8, v36
	;; [unrolled: 1-line block ×3, first 2 shown]
	v_cmp_lt_u32_e32 vcc_lo, 3, v35
	s_or_b32 s5, vcc_lo, s5
	s_waitcnt vmcnt(1) lgkmcnt(0)
	v_mul_f32_e32 v43, v40, v41
	v_mul_f32_e32 v41, v39, v41
	s_waitcnt vmcnt(0)
	v_fma_f32 v39, v39, v42, -v43
	v_fmac_f32_e32 v41, v40, v42
	v_add_f32_e32 v38, v38, v39
	v_add_f32_e32 v32, v32, v41
	s_andn2_b32 exec_lo, exec_lo, s5
	s_cbranch_execnz .LBB14_33
; %bb.34:
	s_or_b32 exec_lo, exec_lo, s5
	v_mov_b32_e32 v35, 0
	ds_read_b64 v[35:36], v35 offset:40
	s_waitcnt lgkmcnt(0)
	v_mul_f32_e32 v37, v32, v36
	v_mul_f32_e32 v36, v38, v36
	v_fma_f32 v37, v38, v35, -v37
	v_fmac_f32_e32 v36, v32, v35
	buffer_store_dword v37, off, s[0:3], 0 offset:40
	buffer_store_dword v36, off, s[0:3], 0 offset:44
.LBB14_35:
	s_or_b32 exec_lo, exec_lo, s4
	s_waitcnt_vscnt null, 0x0
	s_barrier
	buffer_gl0_inv
	s_clause 0x1
	buffer_load_dword v35, off, s[0:3], 0 offset:48
	buffer_load_dword v36, off, s[0:3], 0 offset:52
	s_mov_b32 s4, exec_lo
	s_waitcnt vmcnt(0)
	ds_write_b64 v34, v[35:36]
	s_waitcnt lgkmcnt(0)
	s_barrier
	buffer_gl0_inv
	v_cmpx_gt_u32_e32 6, v0
	s_cbranch_execz .LBB14_39
; %bb.36:
	v_add_nc_u32_e32 v35, -1, v0
	v_add_nc_u32_e32 v36, 0x80, v33
	v_mov_b32_e32 v37, v33
	v_mov_b32_e32 v32, 0
	;; [unrolled: 1-line block ×3, first 2 shown]
	s_mov_b32 s5, 0
	.p2align	6
.LBB14_37:                              ; =>This Inner Loop Header: Depth=1
	s_clause 0x1
	buffer_load_dword v41, v37, s[0:3], 0 offen offset:4
	buffer_load_dword v42, v37, s[0:3], 0 offen
	ds_read_b64 v[39:40], v36
	v_add_nc_u32_e32 v35, 1, v35
	v_add_nc_u32_e32 v36, 8, v36
	;; [unrolled: 1-line block ×3, first 2 shown]
	v_cmp_lt_u32_e32 vcc_lo, 4, v35
	s_or_b32 s5, vcc_lo, s5
	s_waitcnt vmcnt(1) lgkmcnt(0)
	v_mul_f32_e32 v43, v40, v41
	v_mul_f32_e32 v41, v39, v41
	s_waitcnt vmcnt(0)
	v_fma_f32 v39, v39, v42, -v43
	v_fmac_f32_e32 v41, v40, v42
	v_add_f32_e32 v38, v38, v39
	v_add_f32_e32 v32, v32, v41
	s_andn2_b32 exec_lo, exec_lo, s5
	s_cbranch_execnz .LBB14_37
; %bb.38:
	s_or_b32 exec_lo, exec_lo, s5
	v_mov_b32_e32 v35, 0
	ds_read_b64 v[35:36], v35 offset:48
	s_waitcnt lgkmcnt(0)
	v_mul_f32_e32 v37, v32, v36
	v_mul_f32_e32 v36, v38, v36
	v_fma_f32 v37, v38, v35, -v37
	v_fmac_f32_e32 v36, v32, v35
	buffer_store_dword v37, off, s[0:3], 0 offset:48
	buffer_store_dword v36, off, s[0:3], 0 offset:52
.LBB14_39:
	s_or_b32 exec_lo, exec_lo, s4
	s_waitcnt_vscnt null, 0x0
	s_barrier
	buffer_gl0_inv
	s_clause 0x1
	buffer_load_dword v35, off, s[0:3], 0 offset:56
	buffer_load_dword v36, off, s[0:3], 0 offset:60
	s_mov_b32 s4, exec_lo
	s_waitcnt vmcnt(0)
	ds_write_b64 v34, v[35:36]
	s_waitcnt lgkmcnt(0)
	s_barrier
	buffer_gl0_inv
	v_cmpx_gt_u32_e32 7, v0
	s_cbranch_execz .LBB14_43
; %bb.40:
	v_add_nc_u32_e32 v35, -1, v0
	v_add_nc_u32_e32 v36, 0x80, v33
	v_mov_b32_e32 v37, v33
	v_mov_b32_e32 v32, 0
	v_mov_b32_e32 v38, 0
	s_mov_b32 s5, 0
	.p2align	6
.LBB14_41:                              ; =>This Inner Loop Header: Depth=1
	s_clause 0x1
	buffer_load_dword v41, v37, s[0:3], 0 offen offset:4
	buffer_load_dword v42, v37, s[0:3], 0 offen
	ds_read_b64 v[39:40], v36
	v_add_nc_u32_e32 v35, 1, v35
	v_add_nc_u32_e32 v36, 8, v36
	;; [unrolled: 1-line block ×3, first 2 shown]
	v_cmp_lt_u32_e32 vcc_lo, 5, v35
	s_or_b32 s5, vcc_lo, s5
	s_waitcnt vmcnt(1) lgkmcnt(0)
	v_mul_f32_e32 v43, v40, v41
	v_mul_f32_e32 v41, v39, v41
	s_waitcnt vmcnt(0)
	v_fma_f32 v39, v39, v42, -v43
	v_fmac_f32_e32 v41, v40, v42
	v_add_f32_e32 v38, v38, v39
	v_add_f32_e32 v32, v32, v41
	s_andn2_b32 exec_lo, exec_lo, s5
	s_cbranch_execnz .LBB14_41
; %bb.42:
	s_or_b32 exec_lo, exec_lo, s5
	v_mov_b32_e32 v35, 0
	ds_read_b64 v[35:36], v35 offset:56
	s_waitcnt lgkmcnt(0)
	v_mul_f32_e32 v37, v32, v36
	v_mul_f32_e32 v36, v38, v36
	v_fma_f32 v37, v38, v35, -v37
	v_fmac_f32_e32 v36, v32, v35
	buffer_store_dword v37, off, s[0:3], 0 offset:56
	buffer_store_dword v36, off, s[0:3], 0 offset:60
.LBB14_43:
	s_or_b32 exec_lo, exec_lo, s4
	s_waitcnt_vscnt null, 0x0
	s_barrier
	buffer_gl0_inv
	s_clause 0x1
	buffer_load_dword v35, off, s[0:3], 0 offset:64
	buffer_load_dword v36, off, s[0:3], 0 offset:68
	s_mov_b32 s4, exec_lo
	s_waitcnt vmcnt(0)
	ds_write_b64 v34, v[35:36]
	s_waitcnt lgkmcnt(0)
	s_barrier
	buffer_gl0_inv
	v_cmpx_gt_u32_e32 8, v0
	s_cbranch_execz .LBB14_47
; %bb.44:
	v_add_nc_u32_e32 v35, -1, v0
	v_add_nc_u32_e32 v36, 0x80, v33
	v_mov_b32_e32 v37, v33
	v_mov_b32_e32 v32, 0
	;; [unrolled: 1-line block ×3, first 2 shown]
	s_mov_b32 s5, 0
	.p2align	6
.LBB14_45:                              ; =>This Inner Loop Header: Depth=1
	s_clause 0x1
	buffer_load_dword v41, v37, s[0:3], 0 offen offset:4
	buffer_load_dword v42, v37, s[0:3], 0 offen
	ds_read_b64 v[39:40], v36
	v_add_nc_u32_e32 v35, 1, v35
	v_add_nc_u32_e32 v36, 8, v36
	;; [unrolled: 1-line block ×3, first 2 shown]
	v_cmp_lt_u32_e32 vcc_lo, 6, v35
	s_or_b32 s5, vcc_lo, s5
	s_waitcnt vmcnt(1) lgkmcnt(0)
	v_mul_f32_e32 v43, v40, v41
	v_mul_f32_e32 v41, v39, v41
	s_waitcnt vmcnt(0)
	v_fma_f32 v39, v39, v42, -v43
	v_fmac_f32_e32 v41, v40, v42
	v_add_f32_e32 v38, v38, v39
	v_add_f32_e32 v32, v32, v41
	s_andn2_b32 exec_lo, exec_lo, s5
	s_cbranch_execnz .LBB14_45
; %bb.46:
	s_or_b32 exec_lo, exec_lo, s5
	v_mov_b32_e32 v35, 0
	ds_read_b64 v[35:36], v35 offset:64
	s_waitcnt lgkmcnt(0)
	v_mul_f32_e32 v37, v32, v36
	v_mul_f32_e32 v36, v38, v36
	v_fma_f32 v37, v38, v35, -v37
	v_fmac_f32_e32 v36, v32, v35
	buffer_store_dword v37, off, s[0:3], 0 offset:64
	buffer_store_dword v36, off, s[0:3], 0 offset:68
.LBB14_47:
	s_or_b32 exec_lo, exec_lo, s4
	s_waitcnt_vscnt null, 0x0
	s_barrier
	buffer_gl0_inv
	s_clause 0x1
	buffer_load_dword v35, off, s[0:3], 0 offset:72
	buffer_load_dword v36, off, s[0:3], 0 offset:76
	s_mov_b32 s4, exec_lo
	s_waitcnt vmcnt(0)
	ds_write_b64 v34, v[35:36]
	s_waitcnt lgkmcnt(0)
	s_barrier
	buffer_gl0_inv
	v_cmpx_gt_u32_e32 9, v0
	s_cbranch_execz .LBB14_51
; %bb.48:
	v_add_nc_u32_e32 v35, -1, v0
	v_add_nc_u32_e32 v36, 0x80, v33
	v_mov_b32_e32 v37, v33
	v_mov_b32_e32 v32, 0
	;; [unrolled: 1-line block ×3, first 2 shown]
	s_mov_b32 s5, 0
	.p2align	6
.LBB14_49:                              ; =>This Inner Loop Header: Depth=1
	s_clause 0x1
	buffer_load_dword v41, v37, s[0:3], 0 offen offset:4
	buffer_load_dword v42, v37, s[0:3], 0 offen
	ds_read_b64 v[39:40], v36
	v_add_nc_u32_e32 v35, 1, v35
	v_add_nc_u32_e32 v36, 8, v36
	;; [unrolled: 1-line block ×3, first 2 shown]
	v_cmp_lt_u32_e32 vcc_lo, 7, v35
	s_or_b32 s5, vcc_lo, s5
	s_waitcnt vmcnt(1) lgkmcnt(0)
	v_mul_f32_e32 v43, v40, v41
	v_mul_f32_e32 v41, v39, v41
	s_waitcnt vmcnt(0)
	v_fma_f32 v39, v39, v42, -v43
	v_fmac_f32_e32 v41, v40, v42
	v_add_f32_e32 v38, v38, v39
	v_add_f32_e32 v32, v32, v41
	s_andn2_b32 exec_lo, exec_lo, s5
	s_cbranch_execnz .LBB14_49
; %bb.50:
	s_or_b32 exec_lo, exec_lo, s5
	v_mov_b32_e32 v35, 0
	ds_read_b64 v[35:36], v35 offset:72
	s_waitcnt lgkmcnt(0)
	v_mul_f32_e32 v37, v32, v36
	v_mul_f32_e32 v36, v38, v36
	v_fma_f32 v37, v38, v35, -v37
	v_fmac_f32_e32 v36, v32, v35
	buffer_store_dword v37, off, s[0:3], 0 offset:72
	buffer_store_dword v36, off, s[0:3], 0 offset:76
.LBB14_51:
	s_or_b32 exec_lo, exec_lo, s4
	s_waitcnt_vscnt null, 0x0
	s_barrier
	buffer_gl0_inv
	s_clause 0x1
	buffer_load_dword v35, off, s[0:3], 0 offset:80
	buffer_load_dword v36, off, s[0:3], 0 offset:84
	s_mov_b32 s4, exec_lo
	s_waitcnt vmcnt(0)
	ds_write_b64 v34, v[35:36]
	s_waitcnt lgkmcnt(0)
	s_barrier
	buffer_gl0_inv
	v_cmpx_gt_u32_e32 10, v0
	s_cbranch_execz .LBB14_55
; %bb.52:
	v_add_nc_u32_e32 v35, -1, v0
	v_add_nc_u32_e32 v36, 0x80, v33
	v_mov_b32_e32 v37, v33
	v_mov_b32_e32 v32, 0
	;; [unrolled: 1-line block ×3, first 2 shown]
	s_mov_b32 s5, 0
	.p2align	6
.LBB14_53:                              ; =>This Inner Loop Header: Depth=1
	s_clause 0x1
	buffer_load_dword v41, v37, s[0:3], 0 offen offset:4
	buffer_load_dword v42, v37, s[0:3], 0 offen
	ds_read_b64 v[39:40], v36
	v_add_nc_u32_e32 v35, 1, v35
	v_add_nc_u32_e32 v36, 8, v36
	v_add_nc_u32_e32 v37, 8, v37
	v_cmp_lt_u32_e32 vcc_lo, 8, v35
	s_or_b32 s5, vcc_lo, s5
	s_waitcnt vmcnt(1) lgkmcnt(0)
	v_mul_f32_e32 v43, v40, v41
	v_mul_f32_e32 v41, v39, v41
	s_waitcnt vmcnt(0)
	v_fma_f32 v39, v39, v42, -v43
	v_fmac_f32_e32 v41, v40, v42
	v_add_f32_e32 v38, v38, v39
	v_add_f32_e32 v32, v32, v41
	s_andn2_b32 exec_lo, exec_lo, s5
	s_cbranch_execnz .LBB14_53
; %bb.54:
	s_or_b32 exec_lo, exec_lo, s5
	v_mov_b32_e32 v35, 0
	ds_read_b64 v[35:36], v35 offset:80
	s_waitcnt lgkmcnt(0)
	v_mul_f32_e32 v37, v32, v36
	v_mul_f32_e32 v36, v38, v36
	v_fma_f32 v37, v38, v35, -v37
	v_fmac_f32_e32 v36, v32, v35
	buffer_store_dword v37, off, s[0:3], 0 offset:80
	buffer_store_dword v36, off, s[0:3], 0 offset:84
.LBB14_55:
	s_or_b32 exec_lo, exec_lo, s4
	s_waitcnt_vscnt null, 0x0
	s_barrier
	buffer_gl0_inv
	s_clause 0x1
	buffer_load_dword v35, off, s[0:3], 0 offset:88
	buffer_load_dword v36, off, s[0:3], 0 offset:92
	s_mov_b32 s4, exec_lo
	s_waitcnt vmcnt(0)
	ds_write_b64 v34, v[35:36]
	s_waitcnt lgkmcnt(0)
	s_barrier
	buffer_gl0_inv
	v_cmpx_gt_u32_e32 11, v0
	s_cbranch_execz .LBB14_59
; %bb.56:
	v_add_nc_u32_e32 v35, -1, v0
	v_add_nc_u32_e32 v36, 0x80, v33
	v_mov_b32_e32 v37, v33
	v_mov_b32_e32 v32, 0
	;; [unrolled: 1-line block ×3, first 2 shown]
	s_mov_b32 s5, 0
	.p2align	6
.LBB14_57:                              ; =>This Inner Loop Header: Depth=1
	s_clause 0x1
	buffer_load_dword v41, v37, s[0:3], 0 offen offset:4
	buffer_load_dword v42, v37, s[0:3], 0 offen
	ds_read_b64 v[39:40], v36
	v_add_nc_u32_e32 v35, 1, v35
	v_add_nc_u32_e32 v36, 8, v36
	;; [unrolled: 1-line block ×3, first 2 shown]
	v_cmp_lt_u32_e32 vcc_lo, 9, v35
	s_or_b32 s5, vcc_lo, s5
	s_waitcnt vmcnt(1) lgkmcnt(0)
	v_mul_f32_e32 v43, v40, v41
	v_mul_f32_e32 v41, v39, v41
	s_waitcnt vmcnt(0)
	v_fma_f32 v39, v39, v42, -v43
	v_fmac_f32_e32 v41, v40, v42
	v_add_f32_e32 v38, v38, v39
	v_add_f32_e32 v32, v32, v41
	s_andn2_b32 exec_lo, exec_lo, s5
	s_cbranch_execnz .LBB14_57
; %bb.58:
	s_or_b32 exec_lo, exec_lo, s5
	v_mov_b32_e32 v35, 0
	ds_read_b64 v[35:36], v35 offset:88
	s_waitcnt lgkmcnt(0)
	v_mul_f32_e32 v37, v32, v36
	v_mul_f32_e32 v36, v38, v36
	v_fma_f32 v37, v38, v35, -v37
	v_fmac_f32_e32 v36, v32, v35
	buffer_store_dword v37, off, s[0:3], 0 offset:88
	buffer_store_dword v36, off, s[0:3], 0 offset:92
.LBB14_59:
	s_or_b32 exec_lo, exec_lo, s4
	s_waitcnt_vscnt null, 0x0
	s_barrier
	buffer_gl0_inv
	s_clause 0x1
	buffer_load_dword v35, off, s[0:3], 0 offset:96
	buffer_load_dword v36, off, s[0:3], 0 offset:100
	s_mov_b32 s4, exec_lo
	s_waitcnt vmcnt(0)
	ds_write_b64 v34, v[35:36]
	s_waitcnt lgkmcnt(0)
	s_barrier
	buffer_gl0_inv
	v_cmpx_gt_u32_e32 12, v0
	s_cbranch_execz .LBB14_63
; %bb.60:
	v_add_nc_u32_e32 v35, -1, v0
	v_add_nc_u32_e32 v36, 0x80, v33
	v_mov_b32_e32 v37, v33
	v_mov_b32_e32 v32, 0
	;; [unrolled: 1-line block ×3, first 2 shown]
	s_mov_b32 s5, 0
	.p2align	6
.LBB14_61:                              ; =>This Inner Loop Header: Depth=1
	s_clause 0x1
	buffer_load_dword v41, v37, s[0:3], 0 offen offset:4
	buffer_load_dword v42, v37, s[0:3], 0 offen
	ds_read_b64 v[39:40], v36
	v_add_nc_u32_e32 v35, 1, v35
	v_add_nc_u32_e32 v36, 8, v36
	;; [unrolled: 1-line block ×3, first 2 shown]
	v_cmp_lt_u32_e32 vcc_lo, 10, v35
	s_or_b32 s5, vcc_lo, s5
	s_waitcnt vmcnt(1) lgkmcnt(0)
	v_mul_f32_e32 v43, v40, v41
	v_mul_f32_e32 v41, v39, v41
	s_waitcnt vmcnt(0)
	v_fma_f32 v39, v39, v42, -v43
	v_fmac_f32_e32 v41, v40, v42
	v_add_f32_e32 v38, v38, v39
	v_add_f32_e32 v32, v32, v41
	s_andn2_b32 exec_lo, exec_lo, s5
	s_cbranch_execnz .LBB14_61
; %bb.62:
	s_or_b32 exec_lo, exec_lo, s5
	v_mov_b32_e32 v35, 0
	ds_read_b64 v[35:36], v35 offset:96
	s_waitcnt lgkmcnt(0)
	v_mul_f32_e32 v37, v32, v36
	v_mul_f32_e32 v36, v38, v36
	v_fma_f32 v37, v38, v35, -v37
	v_fmac_f32_e32 v36, v32, v35
	buffer_store_dword v37, off, s[0:3], 0 offset:96
	buffer_store_dword v36, off, s[0:3], 0 offset:100
.LBB14_63:
	s_or_b32 exec_lo, exec_lo, s4
	s_waitcnt_vscnt null, 0x0
	s_barrier
	buffer_gl0_inv
	s_clause 0x1
	buffer_load_dword v35, off, s[0:3], 0 offset:104
	buffer_load_dword v36, off, s[0:3], 0 offset:108
	s_mov_b32 s4, exec_lo
	s_waitcnt vmcnt(0)
	ds_write_b64 v34, v[35:36]
	s_waitcnt lgkmcnt(0)
	s_barrier
	buffer_gl0_inv
	v_cmpx_gt_u32_e32 13, v0
	s_cbranch_execz .LBB14_67
; %bb.64:
	v_add_nc_u32_e32 v35, -1, v0
	v_add_nc_u32_e32 v36, 0x80, v33
	v_mov_b32_e32 v37, v33
	v_mov_b32_e32 v32, 0
	;; [unrolled: 1-line block ×3, first 2 shown]
	s_mov_b32 s5, 0
	.p2align	6
.LBB14_65:                              ; =>This Inner Loop Header: Depth=1
	s_clause 0x1
	buffer_load_dword v41, v37, s[0:3], 0 offen offset:4
	buffer_load_dword v42, v37, s[0:3], 0 offen
	ds_read_b64 v[39:40], v36
	v_add_nc_u32_e32 v35, 1, v35
	v_add_nc_u32_e32 v36, 8, v36
	;; [unrolled: 1-line block ×3, first 2 shown]
	v_cmp_lt_u32_e32 vcc_lo, 11, v35
	s_or_b32 s5, vcc_lo, s5
	s_waitcnt vmcnt(1) lgkmcnt(0)
	v_mul_f32_e32 v43, v40, v41
	v_mul_f32_e32 v41, v39, v41
	s_waitcnt vmcnt(0)
	v_fma_f32 v39, v39, v42, -v43
	v_fmac_f32_e32 v41, v40, v42
	v_add_f32_e32 v38, v38, v39
	v_add_f32_e32 v32, v32, v41
	s_andn2_b32 exec_lo, exec_lo, s5
	s_cbranch_execnz .LBB14_65
; %bb.66:
	s_or_b32 exec_lo, exec_lo, s5
	v_mov_b32_e32 v35, 0
	ds_read_b64 v[35:36], v35 offset:104
	s_waitcnt lgkmcnt(0)
	v_mul_f32_e32 v37, v32, v36
	v_mul_f32_e32 v36, v38, v36
	v_fma_f32 v37, v38, v35, -v37
	v_fmac_f32_e32 v36, v32, v35
	buffer_store_dword v37, off, s[0:3], 0 offset:104
	buffer_store_dword v36, off, s[0:3], 0 offset:108
.LBB14_67:
	s_or_b32 exec_lo, exec_lo, s4
	s_waitcnt_vscnt null, 0x0
	s_barrier
	buffer_gl0_inv
	s_clause 0x1
	buffer_load_dword v35, off, s[0:3], 0 offset:112
	buffer_load_dword v36, off, s[0:3], 0 offset:116
	s_mov_b32 s4, exec_lo
	s_waitcnt vmcnt(0)
	ds_write_b64 v34, v[35:36]
	s_waitcnt lgkmcnt(0)
	s_barrier
	buffer_gl0_inv
	v_cmpx_ne_u32_e32 14, v0
	s_cbranch_execz .LBB14_71
; %bb.68:
	v_mov_b32_e32 v32, 0
	v_mov_b32_e32 v35, 0
	s_mov_b32 s5, 0
	.p2align	6
.LBB14_69:                              ; =>This Inner Loop Header: Depth=1
	s_clause 0x1
	buffer_load_dword v38, v33, s[0:3], 0 offen offset:4
	buffer_load_dword v39, v33, s[0:3], 0 offen
	ds_read_b64 v[36:37], v34
	v_add_nc_u32_e32 v31, 1, v31
	v_add_nc_u32_e32 v34, 8, v34
	;; [unrolled: 1-line block ×3, first 2 shown]
	v_cmp_lt_u32_e32 vcc_lo, 12, v31
	s_or_b32 s5, vcc_lo, s5
	s_waitcnt vmcnt(1) lgkmcnt(0)
	v_mul_f32_e32 v40, v37, v38
	v_mul_f32_e32 v38, v36, v38
	s_waitcnt vmcnt(0)
	v_fma_f32 v36, v36, v39, -v40
	v_fmac_f32_e32 v38, v37, v39
	v_add_f32_e32 v35, v35, v36
	v_add_f32_e32 v32, v32, v38
	s_andn2_b32 exec_lo, exec_lo, s5
	s_cbranch_execnz .LBB14_69
; %bb.70:
	s_or_b32 exec_lo, exec_lo, s5
	v_mov_b32_e32 v31, 0
	ds_read_b64 v[33:34], v31 offset:112
	s_waitcnt lgkmcnt(0)
	v_mul_f32_e32 v31, v32, v34
	v_mul_f32_e32 v34, v35, v34
	v_fma_f32 v31, v35, v33, -v31
	v_fmac_f32_e32 v34, v32, v33
	buffer_store_dword v31, off, s[0:3], 0 offset:112
	buffer_store_dword v34, off, s[0:3], 0 offset:116
.LBB14_71:
	s_or_b32 exec_lo, exec_lo, s4
	s_mov_b32 s5, -1
	s_waitcnt_vscnt null, 0x0
	s_barrier
	buffer_gl0_inv
.LBB14_72:
	s_and_b32 vcc_lo, exec_lo, s5
	s_cbranch_vccz .LBB14_74
; %bb.73:
	s_lshl_b64 s[4:5], s[6:7], 2
	v_mov_b32_e32 v31, 0
	s_add_u32 s4, s10, s4
	s_addc_u32 s5, s11, s5
	global_load_dword v31, v31, s[4:5]
	s_waitcnt vmcnt(0)
	v_cmp_ne_u32_e32 vcc_lo, 0, v31
	s_cbranch_vccz .LBB14_75
.LBB14_74:
	s_endpgm
.LBB14_75:
	v_lshl_add_u32 v31, v0, 3, 0x80
	s_mov_b32 s4, exec_lo
	v_cmpx_eq_u32_e32 14, v0
	s_cbranch_execz .LBB14_77
; %bb.76:
	s_clause 0x1
	buffer_load_dword v32, off, s[0:3], 0 offset:104
	buffer_load_dword v33, off, s[0:3], 0 offset:108
	v_mov_b32_e32 v34, 0
	buffer_store_dword v34, off, s[0:3], 0 offset:104
	buffer_store_dword v34, off, s[0:3], 0 offset:108
	s_waitcnt vmcnt(0)
	ds_write_b64 v31, v[32:33]
.LBB14_77:
	s_or_b32 exec_lo, exec_lo, s4
	s_waitcnt lgkmcnt(0)
	s_waitcnt_vscnt null, 0x0
	s_barrier
	buffer_gl0_inv
	s_clause 0x3
	buffer_load_dword v35, off, s[0:3], 0 offset:116
	buffer_load_dword v36, off, s[0:3], 0 offset:112
	;; [unrolled: 1-line block ×4, first 2 shown]
	v_mov_b32_e32 v32, 0
	s_mov_b32 s4, exec_lo
	ds_read_b64 v[33:34], v32 offset:240
	s_waitcnt vmcnt(3) lgkmcnt(0)
	v_mul_f32_e32 v39, v34, v35
	v_mul_f32_e32 v35, v33, v35
	s_waitcnt vmcnt(2)
	v_fma_f32 v33, v33, v36, -v39
	v_fmac_f32_e32 v35, v34, v36
	v_add_f32_e32 v33, 0, v33
	v_add_f32_e32 v34, 0, v35
	s_waitcnt vmcnt(1)
	v_sub_f32_e32 v33, v37, v33
	s_waitcnt vmcnt(0)
	v_sub_f32_e32 v34, v38, v34
	buffer_store_dword v33, off, s[0:3], 0 offset:104
	buffer_store_dword v34, off, s[0:3], 0 offset:108
	v_cmpx_lt_u32_e32 12, v0
	s_cbranch_execz .LBB14_79
; %bb.78:
	s_clause 0x1
	buffer_load_dword v33, off, s[0:3], 0 offset:96
	buffer_load_dword v34, off, s[0:3], 0 offset:100
	buffer_store_dword v32, off, s[0:3], 0 offset:96
	buffer_store_dword v32, off, s[0:3], 0 offset:100
	s_waitcnt vmcnt(0)
	ds_write_b64 v31, v[33:34]
.LBB14_79:
	s_or_b32 exec_lo, exec_lo, s4
	s_waitcnt lgkmcnt(0)
	s_waitcnt_vscnt null, 0x0
	s_barrier
	buffer_gl0_inv
	s_clause 0x5
	buffer_load_dword v36, off, s[0:3], 0 offset:108
	buffer_load_dword v37, off, s[0:3], 0 offset:116
	;; [unrolled: 1-line block ×6, first 2 shown]
	ds_read2_b64 v[32:35], v32 offset0:29 offset1:30
	s_mov_b32 s4, exec_lo
	s_waitcnt vmcnt(5) lgkmcnt(0)
	v_mul_f32_e32 v42, v33, v36
	v_mul_f32_e32 v36, v32, v36
	s_waitcnt vmcnt(4)
	v_mul_f32_e32 v43, v34, v37
	v_mul_f32_e32 v37, v35, v37
	s_waitcnt vmcnt(3)
	v_fma_f32 v32, v32, v38, -v42
	v_fmac_f32_e32 v36, v33, v38
	s_waitcnt vmcnt(2)
	v_fmac_f32_e32 v43, v35, v39
	v_fma_f32 v33, v34, v39, -v37
	v_add_f32_e32 v32, 0, v32
	v_add_f32_e32 v34, 0, v36
	;; [unrolled: 1-line block ×4, first 2 shown]
	s_waitcnt vmcnt(1)
	v_sub_f32_e32 v32, v40, v32
	s_waitcnt vmcnt(0)
	v_sub_f32_e32 v33, v41, v33
	buffer_store_dword v32, off, s[0:3], 0 offset:96
	buffer_store_dword v33, off, s[0:3], 0 offset:100
	v_cmpx_lt_u32_e32 11, v0
	s_cbranch_execz .LBB14_81
; %bb.80:
	s_clause 0x1
	buffer_load_dword v32, off, s[0:3], 0 offset:88
	buffer_load_dword v33, off, s[0:3], 0 offset:92
	v_mov_b32_e32 v34, 0
	buffer_store_dword v34, off, s[0:3], 0 offset:88
	buffer_store_dword v34, off, s[0:3], 0 offset:92
	s_waitcnt vmcnt(0)
	ds_write_b64 v31, v[32:33]
.LBB14_81:
	s_or_b32 exec_lo, exec_lo, s4
	s_waitcnt lgkmcnt(0)
	s_waitcnt_vscnt null, 0x0
	s_barrier
	buffer_gl0_inv
	s_clause 0x7
	buffer_load_dword v39, off, s[0:3], 0 offset:100
	buffer_load_dword v40, off, s[0:3], 0 offset:108
	;; [unrolled: 1-line block ×8, first 2 shown]
	v_mov_b32_e32 v32, 0
	ds_read_b128 v[33:36], v32 offset:224
	ds_read_b64 v[37:38], v32 offset:240
	s_mov_b32 s4, exec_lo
	s_waitcnt vmcnt(7) lgkmcnt(1)
	v_mul_f32_e32 v47, v34, v39
	v_mul_f32_e32 v39, v33, v39
	s_waitcnt vmcnt(6)
	v_mul_f32_e32 v48, v35, v40
	v_mul_f32_e32 v40, v36, v40
	s_waitcnt vmcnt(5) lgkmcnt(0)
	v_mul_f32_e32 v49, v37, v41
	s_waitcnt vmcnt(4)
	v_fma_f32 v33, v33, v42, -v47
	v_fmac_f32_e32 v39, v34, v42
	v_mul_f32_e32 v34, v38, v41
	s_waitcnt vmcnt(3)
	v_fma_f32 v35, v35, v43, -v40
	v_fmac_f32_e32 v48, v36, v43
	v_add_f32_e32 v33, 0, v33
	v_add_f32_e32 v36, 0, v39
	s_waitcnt vmcnt(2)
	v_fma_f32 v34, v37, v44, -v34
	v_fmac_f32_e32 v49, v38, v44
	v_add_f32_e32 v33, v33, v35
	v_add_f32_e32 v35, v36, v48
	;; [unrolled: 1-line block ×4, first 2 shown]
	s_waitcnt vmcnt(1)
	v_sub_f32_e32 v33, v45, v33
	s_waitcnt vmcnt(0)
	v_sub_f32_e32 v34, v46, v34
	buffer_store_dword v33, off, s[0:3], 0 offset:88
	buffer_store_dword v34, off, s[0:3], 0 offset:92
	v_cmpx_lt_u32_e32 10, v0
	s_cbranch_execz .LBB14_83
; %bb.82:
	s_clause 0x1
	buffer_load_dword v33, off, s[0:3], 0 offset:80
	buffer_load_dword v34, off, s[0:3], 0 offset:84
	buffer_store_dword v32, off, s[0:3], 0 offset:80
	buffer_store_dword v32, off, s[0:3], 0 offset:84
	s_waitcnt vmcnt(0)
	ds_write_b64 v31, v[33:34]
.LBB14_83:
	s_or_b32 exec_lo, exec_lo, s4
	s_waitcnt lgkmcnt(0)
	s_waitcnt_vscnt null, 0x0
	s_barrier
	buffer_gl0_inv
	s_clause 0x9
	buffer_load_dword v41, off, s[0:3], 0 offset:92
	buffer_load_dword v42, off, s[0:3], 0 offset:100
	;; [unrolled: 1-line block ×10, first 2 shown]
	ds_read2_b64 v[33:36], v32 offset0:27 offset1:28
	ds_read2_b64 v[37:40], v32 offset0:29 offset1:30
	s_mov_b32 s4, exec_lo
	s_waitcnt vmcnt(9) lgkmcnt(1)
	v_mul_f32_e32 v32, v33, v41
	v_mul_f32_e32 v41, v34, v41
	s_waitcnt vmcnt(8)
	v_mul_f32_e32 v51, v35, v42
	v_mul_f32_e32 v42, v36, v42
	s_waitcnt vmcnt(7) lgkmcnt(0)
	v_mul_f32_e32 v52, v37, v43
	s_waitcnt vmcnt(5)
	v_fmac_f32_e32 v32, v34, v45
	v_fma_f32 v33, v33, v45, -v41
	v_mul_f32_e32 v34, v38, v43
	s_waitcnt vmcnt(4)
	v_fma_f32 v35, v35, v46, -v42
	v_fmac_f32_e32 v51, v36, v46
	v_add_f32_e32 v32, 0, v32
	v_add_f32_e32 v33, 0, v33
	v_mul_f32_e32 v36, v40, v44
	s_waitcnt vmcnt(3)
	v_fma_f32 v34, v37, v47, -v34
	v_mul_f32_e32 v53, v39, v44
	v_fmac_f32_e32 v52, v38, v47
	v_add_f32_e32 v33, v33, v35
	v_add_f32_e32 v32, v32, v51
	s_waitcnt vmcnt(2)
	v_fma_f32 v35, v39, v48, -v36
	v_fmac_f32_e32 v53, v40, v48
	v_add_f32_e32 v33, v33, v34
	v_add_f32_e32 v32, v32, v52
	;; [unrolled: 1-line block ×4, first 2 shown]
	s_waitcnt vmcnt(1)
	v_sub_f32_e32 v33, v49, v33
	s_waitcnt vmcnt(0)
	v_sub_f32_e32 v32, v50, v32
	buffer_store_dword v33, off, s[0:3], 0 offset:80
	buffer_store_dword v32, off, s[0:3], 0 offset:84
	v_cmpx_lt_u32_e32 9, v0
	s_cbranch_execz .LBB14_85
; %bb.84:
	s_clause 0x1
	buffer_load_dword v32, off, s[0:3], 0 offset:72
	buffer_load_dword v33, off, s[0:3], 0 offset:76
	v_mov_b32_e32 v34, 0
	buffer_store_dword v34, off, s[0:3], 0 offset:72
	buffer_store_dword v34, off, s[0:3], 0 offset:76
	s_waitcnt vmcnt(0)
	ds_write_b64 v31, v[32:33]
.LBB14_85:
	s_or_b32 exec_lo, exec_lo, s4
	s_waitcnt lgkmcnt(0)
	s_waitcnt_vscnt null, 0x0
	s_barrier
	buffer_gl0_inv
	s_clause 0xb
	buffer_load_dword v43, off, s[0:3], 0 offset:84
	buffer_load_dword v44, off, s[0:3], 0 offset:92
	;; [unrolled: 1-line block ×12, first 2 shown]
	v_mov_b32_e32 v32, 0
	ds_read_b128 v[33:36], v32 offset:208
	ds_read_b128 v[37:40], v32 offset:224
	ds_read_b64 v[41:42], v32 offset:240
	s_mov_b32 s4, exec_lo
	s_waitcnt vmcnt(11) lgkmcnt(2)
	v_mul_f32_e32 v55, v33, v43
	v_mul_f32_e32 v43, v34, v43
	s_waitcnt vmcnt(10)
	v_mul_f32_e32 v56, v35, v44
	v_mul_f32_e32 v44, v36, v44
	s_waitcnt vmcnt(9) lgkmcnt(1)
	v_mul_f32_e32 v57, v37, v45
	s_waitcnt vmcnt(6)
	v_fmac_f32_e32 v55, v34, v48
	v_fma_f32 v33, v33, v48, -v43
	v_mul_f32_e32 v34, v38, v45
	s_waitcnt vmcnt(5)
	v_fma_f32 v35, v35, v49, -v44
	v_fmac_f32_e32 v56, v36, v49
	v_add_f32_e32 v36, 0, v55
	v_add_f32_e32 v33, 0, v33
	v_mul_f32_e32 v43, v40, v46
	s_waitcnt vmcnt(4)
	v_fma_f32 v34, v37, v50, -v34
	v_mul_f32_e32 v58, v39, v46
	v_fmac_f32_e32 v57, v38, v50
	v_add_f32_e32 v33, v33, v35
	v_add_f32_e32 v35, v36, v56
	s_waitcnt lgkmcnt(0)
	v_mul_f32_e32 v36, v42, v47
	s_waitcnt vmcnt(3)
	v_fma_f32 v37, v39, v51, -v43
	v_mul_f32_e32 v59, v41, v47
	v_add_f32_e32 v33, v33, v34
	v_fmac_f32_e32 v58, v40, v51
	v_add_f32_e32 v34, v35, v57
	s_waitcnt vmcnt(2)
	v_fma_f32 v35, v41, v52, -v36
	v_fmac_f32_e32 v59, v42, v52
	v_add_f32_e32 v33, v33, v37
	v_add_f32_e32 v34, v34, v58
	;; [unrolled: 1-line block ×4, first 2 shown]
	s_waitcnt vmcnt(1)
	v_sub_f32_e32 v33, v53, v33
	s_waitcnt vmcnt(0)
	v_sub_f32_e32 v34, v54, v34
	buffer_store_dword v33, off, s[0:3], 0 offset:72
	buffer_store_dword v34, off, s[0:3], 0 offset:76
	v_cmpx_lt_u32_e32 8, v0
	s_cbranch_execz .LBB14_87
; %bb.86:
	s_clause 0x1
	buffer_load_dword v33, off, s[0:3], 0 offset:64
	buffer_load_dword v34, off, s[0:3], 0 offset:68
	buffer_store_dword v32, off, s[0:3], 0 offset:64
	buffer_store_dword v32, off, s[0:3], 0 offset:68
	s_waitcnt vmcnt(0)
	ds_write_b64 v31, v[33:34]
.LBB14_87:
	s_or_b32 exec_lo, exec_lo, s4
	s_waitcnt lgkmcnt(0)
	s_waitcnt_vscnt null, 0x0
	s_barrier
	buffer_gl0_inv
	s_clause 0xd
	buffer_load_dword v45, off, s[0:3], 0 offset:76
	buffer_load_dword v46, off, s[0:3], 0 offset:84
	;; [unrolled: 1-line block ×14, first 2 shown]
	ds_read2_b64 v[33:36], v32 offset0:25 offset1:26
	ds_read2_b64 v[37:40], v32 offset0:27 offset1:28
	;; [unrolled: 1-line block ×3, first 2 shown]
	s_mov_b32 s4, exec_lo
	s_waitcnt vmcnt(13) lgkmcnt(2)
	v_mul_f32_e32 v32, v33, v45
	v_mul_f32_e32 v45, v34, v45
	s_waitcnt vmcnt(12)
	v_mul_f32_e32 v59, v35, v46
	v_mul_f32_e32 v46, v36, v46
	s_waitcnt vmcnt(11) lgkmcnt(1)
	v_mul_f32_e32 v60, v37, v47
	s_waitcnt vmcnt(10)
	v_mul_f32_e32 v61, v39, v48
	s_waitcnt vmcnt(7)
	v_fma_f32 v33, v33, v51, -v45
	v_fmac_f32_e32 v32, v34, v51
	v_mul_f32_e32 v34, v38, v47
	s_waitcnt vmcnt(6)
	v_fma_f32 v35, v35, v52, -v46
	v_fmac_f32_e32 v59, v36, v52
	v_add_f32_e32 v33, 0, v33
	v_add_f32_e32 v32, 0, v32
	v_mul_f32_e32 v36, v40, v48
	s_waitcnt vmcnt(5)
	v_fma_f32 v34, v37, v53, -v34
	v_fmac_f32_e32 v60, v38, v53
	v_add_f32_e32 v33, v33, v35
	v_add_f32_e32 v32, v32, v59
	s_waitcnt lgkmcnt(0)
	v_mul_f32_e32 v35, v42, v49
	s_waitcnt vmcnt(4)
	v_fma_f32 v36, v39, v54, -v36
	v_mul_f32_e32 v62, v41, v49
	v_add_f32_e32 v33, v33, v34
	v_fmac_f32_e32 v61, v40, v54
	v_add_f32_e32 v32, v32, v60
	v_mul_f32_e32 v34, v44, v50
	s_waitcnt vmcnt(3)
	v_fma_f32 v35, v41, v55, -v35
	v_add_f32_e32 v33, v33, v36
	v_mul_f32_e32 v63, v43, v50
	v_fmac_f32_e32 v62, v42, v55
	v_add_f32_e32 v32, v32, v61
	s_waitcnt vmcnt(2)
	v_fma_f32 v34, v43, v56, -v34
	v_add_f32_e32 v33, v33, v35
	v_fmac_f32_e32 v63, v44, v56
	v_add_f32_e32 v32, v32, v62
	v_add_f32_e32 v33, v33, v34
	;; [unrolled: 1-line block ×3, first 2 shown]
	s_waitcnt vmcnt(1)
	v_sub_f32_e32 v33, v57, v33
	s_waitcnt vmcnt(0)
	v_sub_f32_e32 v32, v58, v32
	buffer_store_dword v33, off, s[0:3], 0 offset:64
	buffer_store_dword v32, off, s[0:3], 0 offset:68
	v_cmpx_lt_u32_e32 7, v0
	s_cbranch_execz .LBB14_89
; %bb.88:
	s_clause 0x1
	buffer_load_dword v32, off, s[0:3], 0 offset:56
	buffer_load_dword v33, off, s[0:3], 0 offset:60
	v_mov_b32_e32 v34, 0
	buffer_store_dword v34, off, s[0:3], 0 offset:56
	buffer_store_dword v34, off, s[0:3], 0 offset:60
	s_waitcnt vmcnt(0)
	ds_write_b64 v31, v[32:33]
.LBB14_89:
	s_or_b32 exec_lo, exec_lo, s4
	s_waitcnt lgkmcnt(0)
	s_waitcnt_vscnt null, 0x0
	s_barrier
	buffer_gl0_inv
	s_clause 0xf
	buffer_load_dword v47, off, s[0:3], 0 offset:68
	buffer_load_dword v48, off, s[0:3], 0 offset:76
	;; [unrolled: 1-line block ×16, first 2 shown]
	v_mov_b32_e32 v32, 0
	ds_read_b128 v[33:36], v32 offset:192
	ds_read_b128 v[37:40], v32 offset:208
	;; [unrolled: 1-line block ×3, first 2 shown]
	ds_read_b64 v[45:46], v32 offset:240
	s_mov_b32 s4, exec_lo
	s_waitcnt vmcnt(15) lgkmcnt(3)
	v_mul_f32_e32 v63, v33, v47
	v_mul_f32_e32 v47, v34, v47
	s_waitcnt vmcnt(14)
	v_mul_f32_e32 v64, v35, v48
	v_mul_f32_e32 v48, v36, v48
	s_waitcnt vmcnt(13) lgkmcnt(2)
	v_mul_f32_e32 v65, v37, v49
	s_waitcnt vmcnt(12)
	v_mul_f32_e32 v66, v39, v50
	s_waitcnt vmcnt(11) lgkmcnt(1)
	v_mul_f32_e32 v67, v41, v51
	s_waitcnt vmcnt(8)
	v_fma_f32 v33, v33, v54, -v47
	v_fmac_f32_e32 v63, v34, v54
	v_mul_f32_e32 v34, v38, v49
	s_waitcnt vmcnt(7)
	v_fma_f32 v35, v35, v55, -v48
	v_fmac_f32_e32 v64, v36, v55
	v_add_f32_e32 v33, 0, v33
	v_add_f32_e32 v36, 0, v63
	v_mul_f32_e32 v47, v40, v50
	s_waitcnt vmcnt(6)
	v_fma_f32 v34, v37, v56, -v34
	v_fmac_f32_e32 v65, v38, v56
	v_add_f32_e32 v33, v33, v35
	v_add_f32_e32 v35, v36, v64
	v_mul_f32_e32 v36, v42, v51
	s_waitcnt vmcnt(5)
	v_fma_f32 v37, v39, v57, -v47
	v_fmac_f32_e32 v66, v40, v57
	v_add_f32_e32 v33, v33, v34
	v_add_f32_e32 v34, v35, v65
	v_mul_f32_e32 v35, v44, v52
	s_waitcnt vmcnt(4)
	v_fma_f32 v36, v41, v58, -v36
	v_mul_f32_e32 v68, v43, v52
	v_add_f32_e32 v33, v33, v37
	v_fmac_f32_e32 v67, v42, v58
	v_add_f32_e32 v34, v34, v66
	s_waitcnt lgkmcnt(0)
	v_mul_f32_e32 v37, v46, v53
	s_waitcnt vmcnt(3)
	v_fma_f32 v35, v43, v59, -v35
	v_add_f32_e32 v33, v33, v36
	v_mul_f32_e32 v69, v45, v53
	v_fmac_f32_e32 v68, v44, v59
	v_add_f32_e32 v34, v34, v67
	s_waitcnt vmcnt(2)
	v_fma_f32 v36, v45, v60, -v37
	v_add_f32_e32 v33, v33, v35
	v_fmac_f32_e32 v69, v46, v60
	v_add_f32_e32 v34, v34, v68
	v_add_f32_e32 v33, v33, v36
	v_add_f32_e32 v34, v34, v69
	s_waitcnt vmcnt(1)
	v_sub_f32_e32 v33, v61, v33
	s_waitcnt vmcnt(0)
	v_sub_f32_e32 v34, v62, v34
	buffer_store_dword v33, off, s[0:3], 0 offset:56
	buffer_store_dword v34, off, s[0:3], 0 offset:60
	v_cmpx_lt_u32_e32 6, v0
	s_cbranch_execz .LBB14_91
; %bb.90:
	s_clause 0x1
	buffer_load_dword v33, off, s[0:3], 0 offset:48
	buffer_load_dword v34, off, s[0:3], 0 offset:52
	buffer_store_dword v32, off, s[0:3], 0 offset:48
	buffer_store_dword v32, off, s[0:3], 0 offset:52
	s_waitcnt vmcnt(0)
	ds_write_b64 v31, v[33:34]
.LBB14_91:
	s_or_b32 exec_lo, exec_lo, s4
	s_waitcnt lgkmcnt(0)
	s_waitcnt_vscnt null, 0x0
	s_barrier
	buffer_gl0_inv
	s_clause 0x11
	buffer_load_dword v49, off, s[0:3], 0 offset:60
	buffer_load_dword v50, off, s[0:3], 0 offset:68
	;; [unrolled: 1-line block ×18, first 2 shown]
	ds_read2_b64 v[33:36], v32 offset0:23 offset1:24
	ds_read2_b64 v[37:40], v32 offset0:25 offset1:26
	;; [unrolled: 1-line block ×4, first 2 shown]
	s_mov_b32 s4, exec_lo
	s_waitcnt vmcnt(17) lgkmcnt(3)
	v_mul_f32_e32 v32, v33, v49
	v_mul_f32_e32 v49, v34, v49
	s_waitcnt vmcnt(16)
	v_mul_f32_e32 v67, v35, v50
	v_mul_f32_e32 v50, v36, v50
	s_waitcnt vmcnt(15) lgkmcnt(2)
	v_mul_f32_e32 v68, v37, v51
	s_waitcnt vmcnt(14)
	v_mul_f32_e32 v69, v39, v52
	s_waitcnt vmcnt(13) lgkmcnt(1)
	v_mul_f32_e32 v70, v41, v53
	s_waitcnt vmcnt(12)
	v_mul_f32_e32 v71, v43, v54
	s_waitcnt vmcnt(9)
	v_fma_f32 v33, v33, v57, -v49
	v_fmac_f32_e32 v32, v34, v57
	v_mul_f32_e32 v34, v38, v51
	s_waitcnt vmcnt(8)
	v_fma_f32 v35, v35, v58, -v50
	v_fmac_f32_e32 v67, v36, v58
	v_add_f32_e32 v33, 0, v33
	v_add_f32_e32 v32, 0, v32
	v_mul_f32_e32 v36, v40, v52
	s_waitcnt vmcnt(7)
	v_fma_f32 v34, v37, v59, -v34
	v_fmac_f32_e32 v68, v38, v59
	v_add_f32_e32 v33, v33, v35
	v_add_f32_e32 v32, v32, v67
	;; [unrolled: 6-line block ×4, first 2 shown]
	s_waitcnt lgkmcnt(0)
	v_mul_f32_e32 v36, v46, v55
	s_waitcnt vmcnt(4)
	v_fma_f32 v34, v43, v62, -v34
	v_mul_f32_e32 v72, v45, v55
	v_add_f32_e32 v33, v33, v35
	v_fmac_f32_e32 v71, v44, v62
	v_add_f32_e32 v32, v32, v70
	v_mul_f32_e32 v35, v48, v56
	s_waitcnt vmcnt(3)
	v_fma_f32 v36, v45, v63, -v36
	v_add_f32_e32 v33, v33, v34
	v_mul_f32_e32 v73, v47, v56
	v_fmac_f32_e32 v72, v46, v63
	v_add_f32_e32 v32, v32, v71
	s_waitcnt vmcnt(2)
	v_fma_f32 v34, v47, v64, -v35
	v_add_f32_e32 v33, v33, v36
	v_fmac_f32_e32 v73, v48, v64
	v_add_f32_e32 v32, v32, v72
	v_add_f32_e32 v33, v33, v34
	v_add_f32_e32 v32, v32, v73
	s_waitcnt vmcnt(1)
	v_sub_f32_e32 v33, v65, v33
	s_waitcnt vmcnt(0)
	v_sub_f32_e32 v32, v66, v32
	buffer_store_dword v33, off, s[0:3], 0 offset:48
	buffer_store_dword v32, off, s[0:3], 0 offset:52
	v_cmpx_lt_u32_e32 5, v0
	s_cbranch_execz .LBB14_93
; %bb.92:
	s_clause 0x1
	buffer_load_dword v32, off, s[0:3], 0 offset:40
	buffer_load_dword v33, off, s[0:3], 0 offset:44
	v_mov_b32_e32 v34, 0
	buffer_store_dword v34, off, s[0:3], 0 offset:40
	buffer_store_dword v34, off, s[0:3], 0 offset:44
	s_waitcnt vmcnt(0)
	ds_write_b64 v31, v[32:33]
.LBB14_93:
	s_or_b32 exec_lo, exec_lo, s4
	s_waitcnt lgkmcnt(0)
	s_waitcnt_vscnt null, 0x0
	s_barrier
	buffer_gl0_inv
	s_clause 0x13
	buffer_load_dword v51, off, s[0:3], 0 offset:52
	buffer_load_dword v52, off, s[0:3], 0 offset:60
	;; [unrolled: 1-line block ×20, first 2 shown]
	v_mov_b32_e32 v32, 0
	ds_read_b128 v[33:36], v32 offset:176
	ds_read_b128 v[37:40], v32 offset:192
	;; [unrolled: 1-line block ×4, first 2 shown]
	ds_read_b64 v[49:50], v32 offset:240
	s_mov_b32 s4, exec_lo
	s_waitcnt vmcnt(19) lgkmcnt(4)
	v_mul_f32_e32 v71, v33, v51
	v_mul_f32_e32 v51, v34, v51
	s_waitcnt vmcnt(18)
	v_mul_f32_e32 v72, v35, v52
	v_mul_f32_e32 v52, v36, v52
	s_waitcnt vmcnt(17) lgkmcnt(3)
	v_mul_f32_e32 v73, v37, v53
	s_waitcnt vmcnt(16)
	v_mul_f32_e32 v74, v39, v54
	s_waitcnt vmcnt(15) lgkmcnt(2)
	v_mul_f32_e32 v75, v41, v55
	s_waitcnt vmcnt(14)
	;; [unrolled: 4-line block ×3, first 2 shown]
	v_fma_f32 v33, v33, v60, -v51
	v_fmac_f32_e32 v71, v34, v60
	v_mul_f32_e32 v34, v38, v53
	s_waitcnt vmcnt(9)
	v_fma_f32 v35, v35, v61, -v52
	v_fmac_f32_e32 v72, v36, v61
	v_add_f32_e32 v33, 0, v33
	v_add_f32_e32 v36, 0, v71
	v_mul_f32_e32 v51, v40, v54
	s_waitcnt vmcnt(8)
	v_fma_f32 v34, v37, v62, -v34
	v_fmac_f32_e32 v73, v38, v62
	v_add_f32_e32 v33, v33, v35
	v_add_f32_e32 v35, v36, v72
	;; [unrolled: 6-line block ×5, first 2 shown]
	v_mul_f32_e32 v36, v48, v58
	s_waitcnt vmcnt(4)
	v_fma_f32 v37, v45, v66, -v37
	v_mul_f32_e32 v78, v47, v58
	v_add_f32_e32 v33, v33, v35
	v_fmac_f32_e32 v77, v46, v66
	v_add_f32_e32 v34, v34, v76
	s_waitcnt lgkmcnt(0)
	v_mul_f32_e32 v35, v50, v59
	s_waitcnt vmcnt(3)
	v_fma_f32 v36, v47, v67, -v36
	v_add_f32_e32 v33, v33, v37
	v_mul_f32_e32 v79, v49, v59
	v_fmac_f32_e32 v78, v48, v67
	v_add_f32_e32 v34, v34, v77
	s_waitcnt vmcnt(2)
	v_fma_f32 v35, v49, v68, -v35
	v_add_f32_e32 v33, v33, v36
	v_fmac_f32_e32 v79, v50, v68
	v_add_f32_e32 v34, v34, v78
	v_add_f32_e32 v33, v33, v35
	;; [unrolled: 1-line block ×3, first 2 shown]
	s_waitcnt vmcnt(1)
	v_sub_f32_e32 v33, v69, v33
	s_waitcnt vmcnt(0)
	v_sub_f32_e32 v34, v70, v34
	buffer_store_dword v33, off, s[0:3], 0 offset:40
	buffer_store_dword v34, off, s[0:3], 0 offset:44
	v_cmpx_lt_u32_e32 4, v0
	s_cbranch_execz .LBB14_95
; %bb.94:
	s_clause 0x1
	buffer_load_dword v33, off, s[0:3], 0 offset:32
	buffer_load_dword v34, off, s[0:3], 0 offset:36
	buffer_store_dword v32, off, s[0:3], 0 offset:32
	buffer_store_dword v32, off, s[0:3], 0 offset:36
	s_waitcnt vmcnt(0)
	ds_write_b64 v31, v[33:34]
.LBB14_95:
	s_or_b32 exec_lo, exec_lo, s4
	s_waitcnt lgkmcnt(0)
	s_waitcnt_vscnt null, 0x0
	s_barrier
	buffer_gl0_inv
	s_clause 0x15
	buffer_load_dword v53, off, s[0:3], 0 offset:44
	buffer_load_dword v54, off, s[0:3], 0 offset:52
	;; [unrolled: 1-line block ×22, first 2 shown]
	ds_read2_b64 v[33:36], v32 offset0:21 offset1:22
	ds_read2_b64 v[37:40], v32 offset0:23 offset1:24
	;; [unrolled: 1-line block ×5, first 2 shown]
	s_mov_b32 s4, exec_lo
	s_waitcnt vmcnt(21) lgkmcnt(4)
	v_mul_f32_e32 v32, v33, v53
	v_mul_f32_e32 v53, v34, v53
	s_waitcnt vmcnt(20)
	v_mul_f32_e32 v75, v35, v54
	v_mul_f32_e32 v54, v36, v54
	s_waitcnt vmcnt(19) lgkmcnt(3)
	v_mul_f32_e32 v76, v37, v55
	s_waitcnt vmcnt(18)
	v_mul_f32_e32 v77, v39, v56
	s_waitcnt vmcnt(17) lgkmcnt(2)
	v_mul_f32_e32 v78, v41, v57
	s_waitcnt vmcnt(16)
	;; [unrolled: 4-line block ×3, first 2 shown]
	v_mul_f32_e32 v81, v47, v60
	s_waitcnt vmcnt(11)
	v_fma_f32 v33, v33, v63, -v53
	v_fmac_f32_e32 v32, v34, v63
	v_mul_f32_e32 v34, v38, v55
	s_waitcnt vmcnt(10)
	v_fma_f32 v35, v35, v64, -v54
	v_fmac_f32_e32 v75, v36, v64
	v_add_f32_e32 v33, 0, v33
	v_add_f32_e32 v32, 0, v32
	v_mul_f32_e32 v36, v40, v56
	s_waitcnt vmcnt(9)
	v_fma_f32 v34, v37, v65, -v34
	v_fmac_f32_e32 v76, v38, v65
	v_add_f32_e32 v33, v33, v35
	v_add_f32_e32 v32, v32, v75
	;; [unrolled: 6-line block ×6, first 2 shown]
	s_waitcnt lgkmcnt(0)
	v_mul_f32_e32 v34, v50, v61
	s_waitcnt vmcnt(4)
	v_fma_f32 v35, v47, v70, -v35
	v_mul_f32_e32 v82, v49, v61
	v_add_f32_e32 v33, v33, v36
	v_fmac_f32_e32 v81, v48, v70
	v_add_f32_e32 v32, v32, v80
	v_mul_f32_e32 v36, v52, v62
	s_waitcnt vmcnt(3)
	v_fma_f32 v34, v49, v71, -v34
	v_add_f32_e32 v33, v33, v35
	v_mul_f32_e32 v83, v51, v62
	v_fmac_f32_e32 v82, v50, v71
	v_add_f32_e32 v32, v32, v81
	s_waitcnt vmcnt(2)
	v_fma_f32 v35, v51, v72, -v36
	v_add_f32_e32 v33, v33, v34
	v_fmac_f32_e32 v83, v52, v72
	v_add_f32_e32 v32, v32, v82
	v_add_f32_e32 v33, v33, v35
	;; [unrolled: 1-line block ×3, first 2 shown]
	s_waitcnt vmcnt(1)
	v_sub_f32_e32 v33, v73, v33
	s_waitcnt vmcnt(0)
	v_sub_f32_e32 v32, v74, v32
	buffer_store_dword v33, off, s[0:3], 0 offset:32
	buffer_store_dword v32, off, s[0:3], 0 offset:36
	v_cmpx_lt_u32_e32 3, v0
	s_cbranch_execz .LBB14_97
; %bb.96:
	s_clause 0x1
	buffer_load_dword v32, off, s[0:3], 0 offset:24
	buffer_load_dword v33, off, s[0:3], 0 offset:28
	v_mov_b32_e32 v34, 0
	buffer_store_dword v34, off, s[0:3], 0 offset:24
	buffer_store_dword v34, off, s[0:3], 0 offset:28
	s_waitcnt vmcnt(0)
	ds_write_b64 v31, v[32:33]
.LBB14_97:
	s_or_b32 exec_lo, exec_lo, s4
	s_waitcnt lgkmcnt(0)
	s_waitcnt_vscnt null, 0x0
	s_barrier
	buffer_gl0_inv
	s_clause 0x17
	buffer_load_dword v55, off, s[0:3], 0 offset:36
	buffer_load_dword v56, off, s[0:3], 0 offset:44
	;; [unrolled: 1-line block ×24, first 2 shown]
	v_mov_b32_e32 v32, 0
	ds_read_b128 v[33:36], v32 offset:160
	ds_read_b128 v[37:40], v32 offset:176
	;; [unrolled: 1-line block ×5, first 2 shown]
	ds_read_b64 v[53:54], v32 offset:240
	s_mov_b32 s4, exec_lo
	s_waitcnt vmcnt(23) lgkmcnt(5)
	v_mul_f32_e32 v79, v33, v55
	v_mul_f32_e32 v55, v34, v55
	s_waitcnt vmcnt(22)
	v_mul_f32_e32 v80, v35, v56
	v_mul_f32_e32 v56, v36, v56
	s_waitcnt vmcnt(21) lgkmcnt(4)
	v_mul_f32_e32 v81, v37, v57
	s_waitcnt vmcnt(20)
	v_mul_f32_e32 v82, v39, v58
	s_waitcnt vmcnt(19) lgkmcnt(3)
	v_mul_f32_e32 v83, v41, v59
	s_waitcnt vmcnt(18)
	;; [unrolled: 4-line block ×4, first 2 shown]
	v_fma_f32 v33, v33, v66, -v55
	v_fmac_f32_e32 v79, v34, v66
	v_mul_f32_e32 v34, v38, v57
	s_waitcnt vmcnt(11)
	v_fma_f32 v35, v35, v67, -v56
	v_fmac_f32_e32 v80, v36, v67
	v_add_f32_e32 v33, 0, v33
	v_add_f32_e32 v36, 0, v79
	v_mul_f32_e32 v55, v40, v58
	s_waitcnt vmcnt(10)
	v_fma_f32 v34, v37, v68, -v34
	v_fmac_f32_e32 v81, v38, v68
	v_add_f32_e32 v33, v33, v35
	v_add_f32_e32 v35, v36, v80
	;; [unrolled: 6-line block ×7, first 2 shown]
	v_mul_f32_e32 v37, v52, v64
	s_waitcnt vmcnt(4)
	v_fma_f32 v35, v49, v74, -v35
	v_mul_f32_e32 v88, v51, v64
	v_add_f32_e32 v33, v33, v36
	v_fmac_f32_e32 v87, v50, v74
	v_add_f32_e32 v34, v34, v86
	s_waitcnt lgkmcnt(0)
	v_mul_f32_e32 v36, v54, v65
	s_waitcnt vmcnt(3)
	v_fma_f32 v37, v51, v75, -v37
	v_add_f32_e32 v33, v33, v35
	v_mul_f32_e32 v89, v53, v65
	v_fmac_f32_e32 v88, v52, v75
	v_add_f32_e32 v34, v34, v87
	s_waitcnt vmcnt(2)
	v_fma_f32 v35, v53, v76, -v36
	v_add_f32_e32 v33, v33, v37
	v_fmac_f32_e32 v89, v54, v76
	v_add_f32_e32 v34, v34, v88
	v_add_f32_e32 v33, v33, v35
	;; [unrolled: 1-line block ×3, first 2 shown]
	s_waitcnt vmcnt(1)
	v_sub_f32_e32 v33, v77, v33
	s_waitcnt vmcnt(0)
	v_sub_f32_e32 v34, v78, v34
	buffer_store_dword v33, off, s[0:3], 0 offset:24
	buffer_store_dword v34, off, s[0:3], 0 offset:28
	v_cmpx_lt_u32_e32 2, v0
	s_cbranch_execz .LBB14_99
; %bb.98:
	s_clause 0x1
	buffer_load_dword v33, off, s[0:3], 0 offset:16
	buffer_load_dword v34, off, s[0:3], 0 offset:20
	buffer_store_dword v32, off, s[0:3], 0 offset:16
	buffer_store_dword v32, off, s[0:3], 0 offset:20
	s_waitcnt vmcnt(0)
	ds_write_b64 v31, v[33:34]
.LBB14_99:
	s_or_b32 exec_lo, exec_lo, s4
	s_waitcnt lgkmcnt(0)
	s_waitcnt_vscnt null, 0x0
	s_barrier
	buffer_gl0_inv
	s_clause 0x19
	buffer_load_dword v57, off, s[0:3], 0 offset:28
	buffer_load_dword v58, off, s[0:3], 0 offset:36
	;; [unrolled: 1-line block ×26, first 2 shown]
	ds_read2_b64 v[33:36], v32 offset0:19 offset1:20
	ds_read2_b64 v[37:40], v32 offset0:21 offset1:22
	;; [unrolled: 1-line block ×6, first 2 shown]
	s_mov_b32 s4, exec_lo
	s_waitcnt vmcnt(25) lgkmcnt(5)
	v_mul_f32_e32 v32, v33, v57
	v_mul_f32_e32 v57, v34, v57
	s_waitcnt vmcnt(24)
	v_mul_f32_e32 v83, v35, v58
	v_mul_f32_e32 v58, v36, v58
	s_waitcnt vmcnt(23) lgkmcnt(4)
	v_mul_f32_e32 v84, v37, v59
	s_waitcnt vmcnt(22)
	v_mul_f32_e32 v85, v39, v60
	s_waitcnt vmcnt(21) lgkmcnt(3)
	v_mul_f32_e32 v86, v41, v61
	s_waitcnt vmcnt(20)
	;; [unrolled: 4-line block ×4, first 2 shown]
	v_mul_f32_e32 v91, v51, v66
	s_waitcnt vmcnt(13)
	v_fma_f32 v33, v33, v69, -v57
	v_fmac_f32_e32 v32, v34, v69
	v_mul_f32_e32 v34, v38, v59
	s_waitcnt vmcnt(12)
	v_fma_f32 v35, v35, v70, -v58
	v_fmac_f32_e32 v83, v36, v70
	v_add_f32_e32 v33, 0, v33
	v_add_f32_e32 v32, 0, v32
	v_mul_f32_e32 v36, v40, v60
	s_waitcnt vmcnt(11)
	v_fma_f32 v34, v37, v71, -v34
	v_fmac_f32_e32 v84, v38, v71
	v_add_f32_e32 v33, v33, v35
	v_add_f32_e32 v32, v32, v83
	;; [unrolled: 6-line block ×8, first 2 shown]
	s_waitcnt lgkmcnt(0)
	v_mul_f32_e32 v35, v54, v67
	s_waitcnt vmcnt(4)
	v_fma_f32 v36, v51, v78, -v36
	v_mul_f32_e32 v92, v53, v67
	v_add_f32_e32 v33, v33, v34
	v_fmac_f32_e32 v91, v52, v78
	v_add_f32_e32 v32, v32, v90
	v_mul_f32_e32 v34, v56, v68
	s_waitcnt vmcnt(3)
	v_fma_f32 v35, v53, v79, -v35
	v_add_f32_e32 v33, v33, v36
	v_mul_f32_e32 v93, v55, v68
	v_fmac_f32_e32 v92, v54, v79
	v_add_f32_e32 v32, v32, v91
	s_waitcnt vmcnt(2)
	v_fma_f32 v34, v55, v80, -v34
	v_add_f32_e32 v33, v33, v35
	v_fmac_f32_e32 v93, v56, v80
	v_add_f32_e32 v32, v32, v92
	v_add_f32_e32 v33, v33, v34
	;; [unrolled: 1-line block ×3, first 2 shown]
	s_waitcnt vmcnt(1)
	v_sub_f32_e32 v33, v81, v33
	s_waitcnt vmcnt(0)
	v_sub_f32_e32 v32, v82, v32
	buffer_store_dword v33, off, s[0:3], 0 offset:16
	buffer_store_dword v32, off, s[0:3], 0 offset:20
	v_cmpx_lt_u32_e32 1, v0
	s_cbranch_execz .LBB14_101
; %bb.100:
	s_clause 0x1
	buffer_load_dword v32, off, s[0:3], 0 offset:8
	buffer_load_dword v33, off, s[0:3], 0 offset:12
	v_mov_b32_e32 v34, 0
	buffer_store_dword v34, off, s[0:3], 0 offset:8
	buffer_store_dword v34, off, s[0:3], 0 offset:12
	s_waitcnt vmcnt(0)
	ds_write_b64 v31, v[32:33]
.LBB14_101:
	s_or_b32 exec_lo, exec_lo, s4
	s_waitcnt lgkmcnt(0)
	s_waitcnt_vscnt null, 0x0
	s_barrier
	buffer_gl0_inv
	s_clause 0x1b
	buffer_load_dword v59, off, s[0:3], 0 offset:20
	buffer_load_dword v60, off, s[0:3], 0 offset:28
	;; [unrolled: 1-line block ×28, first 2 shown]
	v_mov_b32_e32 v32, 0
	ds_read_b128 v[33:36], v32 offset:144
	ds_read_b128 v[37:40], v32 offset:160
	;; [unrolled: 1-line block ×6, first 2 shown]
	ds_read_b64 v[57:58], v32 offset:240
	s_mov_b32 s4, exec_lo
	s_waitcnt vmcnt(27) lgkmcnt(6)
	v_mul_f32_e32 v87, v33, v59
	v_mul_f32_e32 v59, v34, v59
	s_waitcnt vmcnt(26)
	v_mul_f32_e32 v88, v35, v60
	v_mul_f32_e32 v60, v36, v60
	s_waitcnt vmcnt(25) lgkmcnt(5)
	v_mul_f32_e32 v89, v37, v61
	s_waitcnt vmcnt(24)
	v_mul_f32_e32 v90, v39, v62
	s_waitcnt vmcnt(23) lgkmcnt(4)
	v_mul_f32_e32 v91, v41, v63
	s_waitcnt vmcnt(22)
	;; [unrolled: 4-line block ×5, first 2 shown]
	v_fma_f32 v33, v33, v72, -v59
	v_fmac_f32_e32 v87, v34, v72
	v_mul_f32_e32 v34, v38, v61
	s_waitcnt vmcnt(13)
	v_fma_f32 v35, v35, v73, -v60
	v_fmac_f32_e32 v88, v36, v73
	v_add_f32_e32 v33, 0, v33
	v_add_f32_e32 v36, 0, v87
	v_mul_f32_e32 v59, v40, v62
	s_waitcnt vmcnt(12)
	v_fma_f32 v34, v37, v74, -v34
	v_fmac_f32_e32 v89, v38, v74
	v_add_f32_e32 v33, v33, v35
	v_add_f32_e32 v35, v36, v88
	;; [unrolled: 6-line block ×9, first 2 shown]
	v_mul_f32_e32 v35, v56, v70
	s_waitcnt vmcnt(4)
	v_fma_f32 v36, v53, v82, -v36
	v_mul_f32_e32 v98, v55, v70
	v_add_f32_e32 v33, v33, v37
	v_fmac_f32_e32 v97, v54, v82
	v_add_f32_e32 v34, v34, v96
	s_waitcnt lgkmcnt(0)
	v_mul_f32_e32 v37, v58, v71
	s_waitcnt vmcnt(3)
	v_fma_f32 v35, v55, v83, -v35
	v_add_f32_e32 v33, v33, v36
	v_mul_f32_e32 v99, v57, v71
	v_fmac_f32_e32 v98, v56, v83
	v_add_f32_e32 v34, v34, v97
	s_waitcnt vmcnt(2)
	v_fma_f32 v36, v57, v84, -v37
	v_add_f32_e32 v33, v33, v35
	v_fmac_f32_e32 v99, v58, v84
	v_add_f32_e32 v34, v34, v98
	v_add_f32_e32 v33, v33, v36
	;; [unrolled: 1-line block ×3, first 2 shown]
	s_waitcnt vmcnt(1)
	v_sub_f32_e32 v33, v85, v33
	s_waitcnt vmcnt(0)
	v_sub_f32_e32 v34, v86, v34
	buffer_store_dword v33, off, s[0:3], 0 offset:8
	buffer_store_dword v34, off, s[0:3], 0 offset:12
	v_cmpx_ne_u32_e32 0, v0
	s_cbranch_execz .LBB14_103
; %bb.102:
	s_clause 0x1
	buffer_load_dword v33, off, s[0:3], 0
	buffer_load_dword v34, off, s[0:3], 0 offset:4
	buffer_store_dword v32, off, s[0:3], 0
	buffer_store_dword v32, off, s[0:3], 0 offset:4
	s_waitcnt vmcnt(0)
	ds_write_b64 v31, v[33:34]
.LBB14_103:
	s_or_b32 exec_lo, exec_lo, s4
	s_waitcnt lgkmcnt(0)
	s_waitcnt_vscnt null, 0x0
	s_barrier
	buffer_gl0_inv
	s_clause 0x1d
	buffer_load_dword v61, off, s[0:3], 0 offset:12
	buffer_load_dword v62, off, s[0:3], 0 offset:20
	;; [unrolled: 1-line block ×28, first 2 shown]
	buffer_load_dword v87, off, s[0:3], 0
	buffer_load_dword v88, off, s[0:3], 0 offset:4
	ds_read2_b64 v[33:36], v32 offset0:17 offset1:18
	ds_read2_b64 v[37:40], v32 offset0:19 offset1:20
	;; [unrolled: 1-line block ×7, first 2 shown]
	s_and_b32 vcc_lo, exec_lo, s22
	s_waitcnt vmcnt(29) lgkmcnt(6)
	v_mul_f32_e32 v32, v33, v61
	v_mul_f32_e32 v61, v34, v61
	s_waitcnt vmcnt(28)
	v_mul_f32_e32 v89, v35, v62
	v_mul_f32_e32 v62, v36, v62
	s_waitcnt vmcnt(27) lgkmcnt(5)
	v_mul_f32_e32 v90, v37, v63
	s_waitcnt vmcnt(26)
	v_mul_f32_e32 v91, v39, v64
	s_waitcnt vmcnt(25) lgkmcnt(4)
	v_mul_f32_e32 v92, v41, v65
	s_waitcnt vmcnt(24)
	;; [unrolled: 4-line block ×5, first 2 shown]
	v_mul_f32_e32 v99, v55, v72
	s_waitcnt vmcnt(15)
	v_fma_f32 v33, v33, v74, -v61
	v_fmac_f32_e32 v32, v34, v74
	v_mul_f32_e32 v34, v38, v63
	s_waitcnt vmcnt(14)
	v_fma_f32 v35, v35, v75, -v62
	v_fmac_f32_e32 v89, v36, v75
	v_add_f32_e32 v33, 0, v33
	v_add_f32_e32 v32, 0, v32
	v_mul_f32_e32 v36, v40, v64
	s_waitcnt vmcnt(13)
	v_fma_f32 v34, v37, v76, -v34
	v_fmac_f32_e32 v90, v38, v76
	v_add_f32_e32 v33, v33, v35
	v_add_f32_e32 v32, v32, v89
	v_mul_f32_e32 v35, v42, v65
	s_waitcnt vmcnt(12)
	v_fma_f32 v36, v39, v77, -v36
	v_fmac_f32_e32 v91, v40, v77
	v_add_f32_e32 v33, v33, v34
	v_add_f32_e32 v32, v32, v90
	v_mul_f32_e32 v34, v44, v66
	s_waitcnt vmcnt(11)
	v_fma_f32 v35, v41, v78, -v35
	v_fmac_f32_e32 v92, v42, v78
	v_add_f32_e32 v33, v33, v36
	v_add_f32_e32 v32, v32, v91
	v_mul_f32_e32 v36, v46, v67
	s_waitcnt vmcnt(10)
	v_fma_f32 v34, v43, v79, -v34
	v_fmac_f32_e32 v93, v44, v79
	v_add_f32_e32 v33, v33, v35
	v_add_f32_e32 v32, v32, v92
	v_mul_f32_e32 v35, v48, v68
	s_waitcnt vmcnt(9)
	v_fma_f32 v36, v45, v80, -v36
	v_fmac_f32_e32 v94, v46, v80
	v_add_f32_e32 v33, v33, v34
	v_add_f32_e32 v32, v32, v93
	v_mul_f32_e32 v34, v50, v69
	s_waitcnt vmcnt(8)
	v_fma_f32 v35, v47, v81, -v35
	v_fmac_f32_e32 v95, v48, v81
	v_add_f32_e32 v33, v33, v36
	v_add_f32_e32 v32, v32, v94
	v_mul_f32_e32 v36, v52, v70
	s_waitcnt vmcnt(7)
	v_fma_f32 v34, v49, v82, -v34
	v_fmac_f32_e32 v96, v50, v82
	v_add_f32_e32 v33, v33, v35
	v_add_f32_e32 v32, v32, v95
	v_mul_f32_e32 v35, v54, v71
	s_waitcnt vmcnt(6)
	v_fma_f32 v36, v51, v83, -v36
	v_fmac_f32_e32 v97, v52, v83
	v_add_f32_e32 v33, v33, v34
	v_add_f32_e32 v32, v32, v96
	v_mul_f32_e32 v34, v56, v72
	s_waitcnt vmcnt(5)
	v_fma_f32 v35, v53, v84, -v35
	v_fmac_f32_e32 v98, v54, v84
	v_add_f32_e32 v33, v33, v36
	v_add_f32_e32 v32, v32, v97
	s_waitcnt lgkmcnt(0)
	v_mul_f32_e32 v36, v58, v0
	s_waitcnt vmcnt(4)
	v_fma_f32 v34, v55, v85, -v34
	v_mul_f32_e32 v100, v57, v0
	v_add_f32_e32 v33, v33, v35
	v_fmac_f32_e32 v99, v56, v85
	v_add_f32_e32 v32, v32, v98
	v_mul_f32_e32 v35, v60, v73
	s_waitcnt vmcnt(2)
	v_fma_f32 v36, v57, v31, -v36
	v_add_f32_e32 v33, v33, v34
	v_mul_f32_e32 v101, v59, v73
	v_fmac_f32_e32 v100, v58, v31
	v_add_f32_e32 v32, v32, v99
	v_fma_f32 v34, v59, v86, -v35
	v_add_f32_e32 v33, v33, v36
	v_fmac_f32_e32 v101, v60, v86
	v_add_f32_e32 v32, v32, v100
	v_add_f32_e32 v33, v33, v34
	;; [unrolled: 1-line block ×3, first 2 shown]
	s_waitcnt vmcnt(1)
	v_sub_f32_e32 v33, v87, v33
	s_waitcnt vmcnt(0)
	v_sub_f32_e32 v32, v88, v32
	buffer_store_dword v33, off, s[0:3], 0
	buffer_store_dword v32, off, s[0:3], 0 offset:4
	s_cbranch_vccz .LBB14_132
; %bb.104:
	v_mov_b32_e32 v32, 0
	global_load_dword v33, v32, s[20:21] offset:52
	s_waitcnt vmcnt(0)
	v_add_nc_u32_e32 v33, -1, v33
	v_cmp_ne_u32_e32 vcc_lo, 13, v33
	s_cbranch_vccz .LBB14_106
; %bb.105:
	v_lshlrev_b32_e32 v33, 3, v33
	s_clause 0x1
	buffer_load_dword v34, v33, s[0:3], 0 offen
	buffer_load_dword v35, v33, s[0:3], 0 offen offset:4
	s_waitcnt vmcnt(1)
	buffer_store_dword v34, off, s[0:3], 0 offset:104
	s_waitcnt vmcnt(0)
	buffer_store_dword v35, off, s[0:3], 0 offset:108
	buffer_store_dword v31, v33, s[0:3], 0 offen
	buffer_store_dword v0, v33, s[0:3], 0 offen offset:4
.LBB14_106:
	global_load_dword v0, v32, s[20:21] offset:48
	s_waitcnt vmcnt(0)
	v_add_nc_u32_e32 v0, -1, v0
	v_cmp_eq_u32_e32 vcc_lo, 12, v0
	s_cbranch_vccnz .LBB14_108
; %bb.107:
	v_lshlrev_b32_e32 v0, 3, v0
	s_clause 0x3
	buffer_load_dword v31, v0, s[0:3], 0 offen
	buffer_load_dword v32, v0, s[0:3], 0 offen offset:4
	buffer_load_dword v33, off, s[0:3], 0 offset:100
	buffer_load_dword v34, off, s[0:3], 0 offset:96
	s_waitcnt vmcnt(3)
	buffer_store_dword v31, off, s[0:3], 0 offset:96
	s_waitcnt vmcnt(2)
	buffer_store_dword v32, off, s[0:3], 0 offset:100
	s_waitcnt vmcnt(1)
	buffer_store_dword v33, v0, s[0:3], 0 offen offset:4
	s_waitcnt vmcnt(0)
	buffer_store_dword v34, v0, s[0:3], 0 offen
.LBB14_108:
	v_mov_b32_e32 v0, 0
	global_load_dword v31, v0, s[20:21] offset:44
	s_waitcnt vmcnt(0)
	v_add_nc_u32_e32 v31, -1, v31
	v_cmp_eq_u32_e32 vcc_lo, 11, v31
	s_cbranch_vccnz .LBB14_110
; %bb.109:
	v_lshlrev_b32_e32 v31, 3, v31
	s_clause 0x3
	buffer_load_dword v32, v31, s[0:3], 0 offen
	buffer_load_dword v33, v31, s[0:3], 0 offen offset:4
	buffer_load_dword v34, off, s[0:3], 0 offset:88
	buffer_load_dword v35, off, s[0:3], 0 offset:92
	s_waitcnt vmcnt(3)
	buffer_store_dword v32, off, s[0:3], 0 offset:88
	s_waitcnt vmcnt(2)
	buffer_store_dword v33, off, s[0:3], 0 offset:92
	s_waitcnt vmcnt(1)
	buffer_store_dword v34, v31, s[0:3], 0 offen
	s_waitcnt vmcnt(0)
	buffer_store_dword v35, v31, s[0:3], 0 offen offset:4
.LBB14_110:
	global_load_dword v0, v0, s[20:21] offset:40
	s_waitcnt vmcnt(0)
	v_add_nc_u32_e32 v0, -1, v0
	v_cmp_eq_u32_e32 vcc_lo, 10, v0
	s_cbranch_vccnz .LBB14_112
; %bb.111:
	v_lshlrev_b32_e32 v0, 3, v0
	s_clause 0x3
	buffer_load_dword v31, v0, s[0:3], 0 offen
	buffer_load_dword v32, v0, s[0:3], 0 offen offset:4
	buffer_load_dword v33, off, s[0:3], 0 offset:84
	buffer_load_dword v34, off, s[0:3], 0 offset:80
	s_waitcnt vmcnt(3)
	buffer_store_dword v31, off, s[0:3], 0 offset:80
	s_waitcnt vmcnt(2)
	buffer_store_dword v32, off, s[0:3], 0 offset:84
	s_waitcnt vmcnt(1)
	buffer_store_dword v33, v0, s[0:3], 0 offen offset:4
	s_waitcnt vmcnt(0)
	buffer_store_dword v34, v0, s[0:3], 0 offen
.LBB14_112:
	v_mov_b32_e32 v0, 0
	global_load_dword v31, v0, s[20:21] offset:36
	s_waitcnt vmcnt(0)
	v_add_nc_u32_e32 v31, -1, v31
	v_cmp_eq_u32_e32 vcc_lo, 9, v31
	s_cbranch_vccnz .LBB14_114
; %bb.113:
	v_lshlrev_b32_e32 v31, 3, v31
	s_clause 0x3
	buffer_load_dword v32, v31, s[0:3], 0 offen
	buffer_load_dword v33, v31, s[0:3], 0 offen offset:4
	buffer_load_dword v34, off, s[0:3], 0 offset:72
	buffer_load_dword v35, off, s[0:3], 0 offset:76
	s_waitcnt vmcnt(3)
	buffer_store_dword v32, off, s[0:3], 0 offset:72
	s_waitcnt vmcnt(2)
	buffer_store_dword v33, off, s[0:3], 0 offset:76
	s_waitcnt vmcnt(1)
	buffer_store_dword v34, v31, s[0:3], 0 offen
	s_waitcnt vmcnt(0)
	buffer_store_dword v35, v31, s[0:3], 0 offen offset:4
.LBB14_114:
	;; [unrolled: 43-line block ×6, first 2 shown]
	global_load_dword v0, v0, s[20:21]
	s_waitcnt vmcnt(0)
	v_add_nc_u32_e32 v0, -1, v0
	v_cmp_eq_u32_e32 vcc_lo, 0, v0
	s_cbranch_vccnz .LBB14_132
; %bb.131:
	v_lshlrev_b32_e32 v0, 3, v0
	s_clause 0x3
	buffer_load_dword v31, v0, s[0:3], 0 offen
	buffer_load_dword v32, v0, s[0:3], 0 offen offset:4
	buffer_load_dword v33, off, s[0:3], 0 offset:4
	buffer_load_dword v34, off, s[0:3], 0
	s_waitcnt vmcnt(3)
	buffer_store_dword v31, off, s[0:3], 0
	s_waitcnt vmcnt(2)
	buffer_store_dword v32, off, s[0:3], 0 offset:4
	s_waitcnt vmcnt(1)
	buffer_store_dword v33, v0, s[0:3], 0 offen offset:4
	s_waitcnt vmcnt(0)
	buffer_store_dword v34, v0, s[0:3], 0 offen
.LBB14_132:
	s_clause 0x1d
	buffer_load_dword v31, off, s[0:3], 0
	buffer_load_dword v32, off, s[0:3], 0 offset:4
	buffer_load_dword v33, off, s[0:3], 0 offset:8
	buffer_load_dword v34, off, s[0:3], 0 offset:12
	buffer_load_dword v35, off, s[0:3], 0 offset:16
	buffer_load_dword v36, off, s[0:3], 0 offset:20
	buffer_load_dword v37, off, s[0:3], 0 offset:24
	buffer_load_dword v38, off, s[0:3], 0 offset:28
	buffer_load_dword v39, off, s[0:3], 0 offset:32
	buffer_load_dword v40, off, s[0:3], 0 offset:36
	buffer_load_dword v41, off, s[0:3], 0 offset:40
	buffer_load_dword v42, off, s[0:3], 0 offset:44
	buffer_load_dword v43, off, s[0:3], 0 offset:48
	buffer_load_dword v44, off, s[0:3], 0 offset:52
	buffer_load_dword v45, off, s[0:3], 0 offset:56
	buffer_load_dword v46, off, s[0:3], 0 offset:60
	buffer_load_dword v48, off, s[0:3], 0 offset:68
	buffer_load_dword v49, off, s[0:3], 0 offset:72
	buffer_load_dword v50, off, s[0:3], 0 offset:76
	buffer_load_dword v51, off, s[0:3], 0 offset:80
	buffer_load_dword v52, off, s[0:3], 0 offset:84
	buffer_load_dword v53, off, s[0:3], 0 offset:88
	buffer_load_dword v54, off, s[0:3], 0 offset:92
	buffer_load_dword v47, off, s[0:3], 0 offset:64
	buffer_load_dword v55, off, s[0:3], 0 offset:96
	buffer_load_dword v56, off, s[0:3], 0 offset:100
	buffer_load_dword v57, off, s[0:3], 0 offset:104
	buffer_load_dword v58, off, s[0:3], 0 offset:108
	buffer_load_dword v59, off, s[0:3], 0 offset:112
	buffer_load_dword v60, off, s[0:3], 0 offset:116
	s_waitcnt vmcnt(28)
	global_store_dwordx2 v[1:2], v[31:32], off
	s_waitcnt vmcnt(26)
	global_store_dwordx2 v[3:4], v[33:34], off
	;; [unrolled: 2-line block ×9, first 2 shown]
	global_store_dwordx2 v[19:20], v[49:50], off
	global_store_dwordx2 v[21:22], v[51:52], off
	;; [unrolled: 1-line block ×3, first 2 shown]
	s_waitcnt vmcnt(4)
	global_store_dwordx2 v[25:26], v[55:56], off
	s_waitcnt vmcnt(2)
	global_store_dwordx2 v[29:30], v[57:58], off
	;; [unrolled: 2-line block ×3, first 2 shown]
	s_endpgm
	.section	.rodata,"a",@progbits
	.p2align	6, 0x0
	.amdhsa_kernel _ZN9rocsolver6v33100L18getri_kernel_smallILi15E19rocblas_complex_numIfEPS3_EEvT1_iilPiilS6_bb
		.amdhsa_group_segment_fixed_size 248
		.amdhsa_private_segment_fixed_size 128
		.amdhsa_kernarg_size 60
		.amdhsa_user_sgpr_count 6
		.amdhsa_user_sgpr_private_segment_buffer 1
		.amdhsa_user_sgpr_dispatch_ptr 0
		.amdhsa_user_sgpr_queue_ptr 0
		.amdhsa_user_sgpr_kernarg_segment_ptr 1
		.amdhsa_user_sgpr_dispatch_id 0
		.amdhsa_user_sgpr_flat_scratch_init 0
		.amdhsa_user_sgpr_private_segment_size 0
		.amdhsa_wavefront_size32 1
		.amdhsa_uses_dynamic_stack 0
		.amdhsa_system_sgpr_private_segment_wavefront_offset 1
		.amdhsa_system_sgpr_workgroup_id_x 1
		.amdhsa_system_sgpr_workgroup_id_y 0
		.amdhsa_system_sgpr_workgroup_id_z 0
		.amdhsa_system_sgpr_workgroup_info 0
		.amdhsa_system_vgpr_workitem_id 0
		.amdhsa_next_free_vgpr 102
		.amdhsa_next_free_sgpr 23
		.amdhsa_reserve_vcc 1
		.amdhsa_reserve_flat_scratch 0
		.amdhsa_float_round_mode_32 0
		.amdhsa_float_round_mode_16_64 0
		.amdhsa_float_denorm_mode_32 3
		.amdhsa_float_denorm_mode_16_64 3
		.amdhsa_dx10_clamp 1
		.amdhsa_ieee_mode 1
		.amdhsa_fp16_overflow 0
		.amdhsa_workgroup_processor_mode 1
		.amdhsa_memory_ordered 1
		.amdhsa_forward_progress 1
		.amdhsa_shared_vgpr_count 0
		.amdhsa_exception_fp_ieee_invalid_op 0
		.amdhsa_exception_fp_denorm_src 0
		.amdhsa_exception_fp_ieee_div_zero 0
		.amdhsa_exception_fp_ieee_overflow 0
		.amdhsa_exception_fp_ieee_underflow 0
		.amdhsa_exception_fp_ieee_inexact 0
		.amdhsa_exception_int_div_zero 0
	.end_amdhsa_kernel
	.section	.text._ZN9rocsolver6v33100L18getri_kernel_smallILi15E19rocblas_complex_numIfEPS3_EEvT1_iilPiilS6_bb,"axG",@progbits,_ZN9rocsolver6v33100L18getri_kernel_smallILi15E19rocblas_complex_numIfEPS3_EEvT1_iilPiilS6_bb,comdat
.Lfunc_end14:
	.size	_ZN9rocsolver6v33100L18getri_kernel_smallILi15E19rocblas_complex_numIfEPS3_EEvT1_iilPiilS6_bb, .Lfunc_end14-_ZN9rocsolver6v33100L18getri_kernel_smallILi15E19rocblas_complex_numIfEPS3_EEvT1_iilPiilS6_bb
                                        ; -- End function
	.set _ZN9rocsolver6v33100L18getri_kernel_smallILi15E19rocblas_complex_numIfEPS3_EEvT1_iilPiilS6_bb.num_vgpr, 102
	.set _ZN9rocsolver6v33100L18getri_kernel_smallILi15E19rocblas_complex_numIfEPS3_EEvT1_iilPiilS6_bb.num_agpr, 0
	.set _ZN9rocsolver6v33100L18getri_kernel_smallILi15E19rocblas_complex_numIfEPS3_EEvT1_iilPiilS6_bb.numbered_sgpr, 23
	.set _ZN9rocsolver6v33100L18getri_kernel_smallILi15E19rocblas_complex_numIfEPS3_EEvT1_iilPiilS6_bb.num_named_barrier, 0
	.set _ZN9rocsolver6v33100L18getri_kernel_smallILi15E19rocblas_complex_numIfEPS3_EEvT1_iilPiilS6_bb.private_seg_size, 128
	.set _ZN9rocsolver6v33100L18getri_kernel_smallILi15E19rocblas_complex_numIfEPS3_EEvT1_iilPiilS6_bb.uses_vcc, 1
	.set _ZN9rocsolver6v33100L18getri_kernel_smallILi15E19rocblas_complex_numIfEPS3_EEvT1_iilPiilS6_bb.uses_flat_scratch, 0
	.set _ZN9rocsolver6v33100L18getri_kernel_smallILi15E19rocblas_complex_numIfEPS3_EEvT1_iilPiilS6_bb.has_dyn_sized_stack, 0
	.set _ZN9rocsolver6v33100L18getri_kernel_smallILi15E19rocblas_complex_numIfEPS3_EEvT1_iilPiilS6_bb.has_recursion, 0
	.set _ZN9rocsolver6v33100L18getri_kernel_smallILi15E19rocblas_complex_numIfEPS3_EEvT1_iilPiilS6_bb.has_indirect_call, 0
	.section	.AMDGPU.csdata,"",@progbits
; Kernel info:
; codeLenInByte = 15296
; TotalNumSgprs: 25
; NumVgprs: 102
; ScratchSize: 128
; MemoryBound: 0
; FloatMode: 240
; IeeeMode: 1
; LDSByteSize: 248 bytes/workgroup (compile time only)
; SGPRBlocks: 0
; VGPRBlocks: 12
; NumSGPRsForWavesPerEU: 25
; NumVGPRsForWavesPerEU: 102
; Occupancy: 9
; WaveLimiterHint : 1
; COMPUTE_PGM_RSRC2:SCRATCH_EN: 1
; COMPUTE_PGM_RSRC2:USER_SGPR: 6
; COMPUTE_PGM_RSRC2:TRAP_HANDLER: 0
; COMPUTE_PGM_RSRC2:TGID_X_EN: 1
; COMPUTE_PGM_RSRC2:TGID_Y_EN: 0
; COMPUTE_PGM_RSRC2:TGID_Z_EN: 0
; COMPUTE_PGM_RSRC2:TIDIG_COMP_CNT: 0
	.section	.text._ZN9rocsolver6v33100L18getri_kernel_smallILi16E19rocblas_complex_numIfEPS3_EEvT1_iilPiilS6_bb,"axG",@progbits,_ZN9rocsolver6v33100L18getri_kernel_smallILi16E19rocblas_complex_numIfEPS3_EEvT1_iilPiilS6_bb,comdat
	.globl	_ZN9rocsolver6v33100L18getri_kernel_smallILi16E19rocblas_complex_numIfEPS3_EEvT1_iilPiilS6_bb ; -- Begin function _ZN9rocsolver6v33100L18getri_kernel_smallILi16E19rocblas_complex_numIfEPS3_EEvT1_iilPiilS6_bb
	.p2align	8
	.type	_ZN9rocsolver6v33100L18getri_kernel_smallILi16E19rocblas_complex_numIfEPS3_EEvT1_iilPiilS6_bb,@function
_ZN9rocsolver6v33100L18getri_kernel_smallILi16E19rocblas_complex_numIfEPS3_EEvT1_iilPiilS6_bb: ; @_ZN9rocsolver6v33100L18getri_kernel_smallILi16E19rocblas_complex_numIfEPS3_EEvT1_iilPiilS6_bb
; %bb.0:
	s_add_u32 s0, s0, s7
	s_addc_u32 s1, s1, 0
	s_mov_b32 s7, exec_lo
	v_cmpx_gt_u32_e32 16, v0
	s_cbranch_execz .LBB15_78
; %bb.1:
	s_clause 0x2
	s_load_dword s7, s[4:5], 0x38
	s_load_dwordx4 s[16:19], s[4:5], 0x10
	s_load_dwordx4 s[8:11], s[4:5], 0x28
                                        ; implicit-def: $sgpr20_sgpr21
	s_waitcnt lgkmcnt(0)
	s_bitcmp1_b32 s7, 8
	s_cselect_b32 s22, -1, 0
	s_bfe_u32 s12, s7, 0x10008
	s_ashr_i32 s7, s6, 31
	s_cmp_eq_u32 s12, 0
	s_cbranch_scc1 .LBB15_3
; %bb.2:
	s_load_dword s12, s[4:5], 0x20
	s_mul_i32 s13, s8, s7
	s_mul_hi_u32 s14, s8, s6
	s_mul_i32 s9, s9, s6
	s_add_i32 s13, s14, s13
	s_mul_i32 s8, s8, s6
	s_add_i32 s9, s13, s9
	s_lshl_b64 s[8:9], s[8:9], 2
	s_waitcnt lgkmcnt(0)
	s_ashr_i32 s13, s12, 31
	s_add_u32 s14, s18, s8
	s_addc_u32 s15, s19, s9
	s_lshl_b64 s[8:9], s[12:13], 2
	s_add_u32 s20, s14, s8
	s_addc_u32 s21, s15, s9
.LBB15_3:
	s_clause 0x1
	s_load_dwordx4 s[12:15], s[4:5], 0x0
	s_load_dword s8, s[4:5], 0x38
	s_mul_i32 s4, s16, s7
	s_mul_hi_u32 s5, s16, s6
	s_mul_i32 s9, s17, s6
	s_add_i32 s5, s5, s4
	s_mul_i32 s4, s16, s6
	s_add_i32 s5, s5, s9
	v_lshlrev_b32_e32 v35, 3, v0
	s_lshl_b64 s[4:5], s[4:5], 3
	s_waitcnt lgkmcnt(0)
	v_add3_u32 v3, s15, s15, v0
	s_ashr_i32 s17, s14, 31
	s_mov_b32 s16, s14
	s_add_u32 s9, s12, s4
	s_addc_u32 s13, s13, s5
	v_add_nc_u32_e32 v5, s15, v3
	s_lshl_b64 s[4:5], s[16:17], 3
	v_ashrrev_i32_e32 v4, 31, v3
	s_add_u32 s4, s9, s4
	s_addc_u32 s5, s13, s5
	v_add_nc_u32_e32 v9, s15, v5
	v_ashrrev_i32_e32 v6, 31, v5
	v_add_co_u32 v1, s9, s4, v35
	s_mov_b32 s12, s15
	v_add_nc_u32_e32 v11, s15, v9
	s_ashr_i32 s13, s15, 31
	v_lshlrev_b64 v[7:8], 3, v[3:4]
	v_add_co_ci_u32_e64 v2, null, s5, 0, s9
	s_lshl_b64 s[12:13], s[12:13], 3
	v_lshlrev_b64 v[13:14], 3, v[5:6]
	v_add_nc_u32_e32 v15, s15, v11
	v_add_co_u32 v3, vcc_lo, v1, s12
	v_add_co_ci_u32_e64 v4, null, s13, v2, vcc_lo
	v_add_co_u32 v5, vcc_lo, s4, v7
	v_add_co_ci_u32_e64 v6, null, s5, v8, vcc_lo
	v_add_co_u32 v7, vcc_lo, s4, v13
	v_add_nc_u32_e32 v13, s15, v15
	v_ashrrev_i32_e32 v10, 31, v9
	v_ashrrev_i32_e32 v12, 31, v11
	;; [unrolled: 1-line block ×3, first 2 shown]
	v_add_co_ci_u32_e64 v8, null, s5, v14, vcc_lo
	v_add_nc_u32_e32 v17, s15, v13
	v_lshlrev_b64 v[9:10], 3, v[9:10]
	v_ashrrev_i32_e32 v14, 31, v13
	v_lshlrev_b64 v[11:12], 3, v[11:12]
	v_lshlrev_b64 v[15:16], 3, v[15:16]
	v_add_nc_u32_e32 v21, s15, v17
	v_ashrrev_i32_e32 v18, 31, v17
	v_add_co_u32 v9, vcc_lo, s4, v9
	v_lshlrev_b64 v[19:20], 3, v[13:14]
	v_add_co_ci_u32_e64 v10, null, s5, v10, vcc_lo
	v_add_co_u32 v11, vcc_lo, s4, v11
	v_ashrrev_i32_e32 v22, 31, v21
	v_add_nc_u32_e32 v23, s15, v21
	v_add_co_ci_u32_e64 v12, null, s5, v12, vcc_lo
	v_add_co_u32 v13, vcc_lo, s4, v15
	v_add_co_ci_u32_e64 v14, null, s5, v16, vcc_lo
	v_add_co_u32 v15, vcc_lo, s4, v19
	v_add_co_ci_u32_e64 v16, null, s5, v20, vcc_lo
	v_lshlrev_b64 v[19:20], 3, v[21:22]
	v_add_nc_u32_e32 v21, s15, v23
	v_ashrrev_i32_e32 v24, 31, v23
	v_lshlrev_b64 v[17:18], 3, v[17:18]
	s_clause 0x4
	global_load_dwordx2 v[33:34], v35, s[4:5]
	global_load_dwordx2 v[36:37], v[3:4], off
	global_load_dwordx2 v[38:39], v[5:6], off
	;; [unrolled: 1-line block ×4, first 2 shown]
	v_add_nc_u32_e32 v25, s15, v21
	v_ashrrev_i32_e32 v22, 31, v21
	v_lshlrev_b64 v[23:24], 3, v[23:24]
	v_add_co_u32 v17, vcc_lo, s4, v17
	v_add_nc_u32_e32 v29, s15, v25
	v_lshlrev_b64 v[27:28], 3, v[21:22]
	v_add_co_ci_u32_e64 v18, null, s5, v18, vcc_lo
	v_add_co_u32 v19, vcc_lo, s4, v19
	v_ashrrev_i32_e32 v30, 31, v29
	v_add_nc_u32_e32 v31, s15, v29
	v_add_co_ci_u32_e64 v20, null, s5, v20, vcc_lo
	v_add_co_u32 v21, vcc_lo, s4, v23
	v_add_co_ci_u32_e64 v22, null, s5, v24, vcc_lo
	v_add_co_u32 v23, vcc_lo, s4, v27
	v_ashrrev_i32_e32 v26, 31, v25
	v_add_co_ci_u32_e64 v24, null, s5, v28, vcc_lo
	v_lshlrev_b64 v[27:28], 3, v[29:30]
	v_add_nc_u32_e32 v29, s15, v31
	v_ashrrev_i32_e32 v32, 31, v31
	v_lshlrev_b64 v[25:26], 3, v[25:26]
	s_clause 0x3
	global_load_dwordx2 v[44:45], v[11:12], off
	global_load_dwordx2 v[46:47], v[13:14], off
	;; [unrolled: 1-line block ×4, first 2 shown]
	s_bitcmp0_b32 s8, 0
	v_ashrrev_i32_e32 v30, 31, v29
	v_lshlrev_b64 v[31:32], 3, v[31:32]
	v_add_co_u32 v25, vcc_lo, s4, v25
	v_lshlrev_b64 v[52:53], 3, v[29:30]
	v_add_co_ci_u32_e64 v26, null, s5, v26, vcc_lo
	v_add_co_u32 v27, vcc_lo, s4, v27
	v_add_co_ci_u32_e64 v28, null, s5, v28, vcc_lo
	v_add_co_u32 v29, vcc_lo, s4, v31
	;; [unrolled: 2-line block ×3, first 2 shown]
	v_add_co_ci_u32_e64 v32, null, s5, v53, vcc_lo
	s_clause 0x6
	global_load_dwordx2 v[54:55], v[19:20], off
	global_load_dwordx2 v[56:57], v[21:22], off
	global_load_dwordx2 v[58:59], v[23:24], off
	global_load_dwordx2 v[60:61], v[25:26], off
	global_load_dwordx2 v[52:53], v[27:28], off
	global_load_dwordx2 v[62:63], v[29:30], off
	global_load_dwordx2 v[64:65], v[31:32], off
	s_mov_b32 s5, -1
	s_waitcnt vmcnt(15)
	buffer_store_dword v34, off, s[0:3], 0 offset:4
	buffer_store_dword v33, off, s[0:3], 0
	s_waitcnt vmcnt(14)
	buffer_store_dword v37, off, s[0:3], 0 offset:12
	buffer_store_dword v36, off, s[0:3], 0 offset:8
	s_waitcnt vmcnt(13)
	buffer_store_dword v39, off, s[0:3], 0 offset:20
	buffer_store_dword v38, off, s[0:3], 0 offset:16
	;; [unrolled: 3-line block ×15, first 2 shown]
	s_cbranch_scc1 .LBB15_76
; %bb.4:
	v_cmp_eq_u32_e64 s4, 0, v0
	s_and_saveexec_b32 s5, s4
; %bb.5:
	v_mov_b32_e32 v33, 0
	ds_write_b32 v33, v33 offset:256
; %bb.6:
	s_or_b32 exec_lo, exec_lo, s5
	v_lshl_add_u32 v37, v0, 3, 0
	s_waitcnt lgkmcnt(0)
	s_waitcnt_vscnt null, 0x0
	s_barrier
	buffer_gl0_inv
	s_clause 0x1
	buffer_load_dword v33, v37, s[0:3], 0 offen
	buffer_load_dword v34, v37, s[0:3], 0 offen offset:4
	s_waitcnt vmcnt(1)
	v_cmp_eq_f32_e32 vcc_lo, 0, v33
	s_waitcnt vmcnt(0)
	v_cmp_eq_f32_e64 s5, 0, v34
	s_and_b32 s5, vcc_lo, s5
	s_and_saveexec_b32 s8, s5
	s_cbranch_execz .LBB15_10
; %bb.7:
	v_mov_b32_e32 v33, 0
	s_mov_b32 s9, 0
	ds_read_b32 v34, v33 offset:256
	s_waitcnt lgkmcnt(0)
	v_readfirstlane_b32 s5, v34
	v_add_nc_u32_e32 v34, 1, v0
	s_cmp_eq_u32 s5, 0
	v_cmp_gt_i32_e32 vcc_lo, s5, v34
	s_cselect_b32 s12, -1, 0
	s_or_b32 s12, s12, vcc_lo
	s_and_b32 exec_lo, exec_lo, s12
	s_cbranch_execz .LBB15_10
; %bb.8:
	v_mov_b32_e32 v36, s5
.LBB15_9:                               ; =>This Inner Loop Header: Depth=1
	ds_cmpst_rtn_b32 v36, v33, v36, v34 offset:256
	s_waitcnt lgkmcnt(0)
	v_cmp_ne_u32_e32 vcc_lo, 0, v36
	v_cmp_le_i32_e64 s5, v36, v34
	s_and_b32 s5, vcc_lo, s5
	s_and_b32 s5, exec_lo, s5
	s_or_b32 s9, s5, s9
	s_andn2_b32 exec_lo, exec_lo, s9
	s_cbranch_execnz .LBB15_9
.LBB15_10:
	s_or_b32 exec_lo, exec_lo, s8
	v_mov_b32_e32 v33, 0
	s_barrier
	buffer_gl0_inv
	ds_read_b32 v34, v33 offset:256
	s_and_saveexec_b32 s5, s4
	s_cbranch_execz .LBB15_12
; %bb.11:
	s_lshl_b64 s[8:9], s[6:7], 2
	s_add_u32 s8, s10, s8
	s_addc_u32 s9, s11, s9
	s_waitcnt lgkmcnt(0)
	global_store_dword v33, v34, s[8:9]
.LBB15_12:
	s_or_b32 exec_lo, exec_lo, s5
	s_waitcnt lgkmcnt(0)
	v_cmp_ne_u32_e32 vcc_lo, 0, v34
	s_mov_b32 s5, 0
	s_cbranch_vccnz .LBB15_76
; %bb.13:
	s_clause 0x1
	buffer_load_dword v34, v37, s[0:3], 0 offen
	buffer_load_dword v36, v37, s[0:3], 0 offen offset:4
                                        ; implicit-def: $vgpr39
                                        ; implicit-def: $vgpr38
                                        ; implicit-def: $vgpr33
	s_waitcnt vmcnt(0)
	v_cmp_ngt_f32_e64 s5, |v34|, |v36|
	s_and_saveexec_b32 s8, s5
	s_xor_b32 s5, exec_lo, s8
	s_cbranch_execz .LBB15_15
; %bb.14:
	v_div_scale_f32 v33, null, v36, v36, v34
	v_div_scale_f32 v40, vcc_lo, v34, v36, v34
	v_rcp_f32_e32 v38, v33
	v_fma_f32 v39, -v33, v38, 1.0
	v_fmac_f32_e32 v38, v39, v38
	v_mul_f32_e32 v39, v40, v38
	v_fma_f32 v41, -v33, v39, v40
	v_fmac_f32_e32 v39, v41, v38
	v_fma_f32 v33, -v33, v39, v40
	v_div_fmas_f32 v33, v33, v38, v39
	v_div_fixup_f32 v33, v33, v36, v34
	v_fmac_f32_e32 v36, v34, v33
	v_div_scale_f32 v34, null, v36, v36, 1.0
	v_rcp_f32_e32 v38, v34
	v_fma_f32 v39, -v34, v38, 1.0
	v_fmac_f32_e32 v38, v39, v38
	v_div_scale_f32 v39, vcc_lo, 1.0, v36, 1.0
	v_mul_f32_e32 v40, v39, v38
	v_fma_f32 v41, -v34, v40, v39
	v_fmac_f32_e32 v40, v41, v38
	v_fma_f32 v34, -v34, v40, v39
	v_div_fmas_f32 v34, v34, v38, v40
	v_div_fixup_f32 v34, v34, v36, 1.0
                                        ; implicit-def: $vgpr36
	v_mul_f32_e32 v39, v33, v34
	v_xor_b32_e32 v38, 0x80000000, v34
                                        ; implicit-def: $vgpr34
	v_xor_b32_e32 v33, 0x80000000, v39
.LBB15_15:
	s_andn2_saveexec_b32 s5, s5
	s_cbranch_execz .LBB15_17
; %bb.16:
	v_div_scale_f32 v33, null, v34, v34, v36
	v_div_scale_f32 v40, vcc_lo, v36, v34, v36
	v_rcp_f32_e32 v38, v33
	v_fma_f32 v39, -v33, v38, 1.0
	v_fmac_f32_e32 v38, v39, v38
	v_mul_f32_e32 v39, v40, v38
	v_fma_f32 v41, -v33, v39, v40
	v_fmac_f32_e32 v39, v41, v38
	v_fma_f32 v33, -v33, v39, v40
	v_div_fmas_f32 v33, v33, v38, v39
	v_div_fixup_f32 v38, v33, v34, v36
	v_fmac_f32_e32 v34, v36, v38
	v_div_scale_f32 v33, null, v34, v34, 1.0
	v_div_scale_f32 v40, vcc_lo, 1.0, v34, 1.0
	v_rcp_f32_e32 v36, v33
	v_fma_f32 v39, -v33, v36, 1.0
	v_fmac_f32_e32 v36, v39, v36
	v_mul_f32_e32 v39, v40, v36
	v_fma_f32 v41, -v33, v39, v40
	v_fmac_f32_e32 v39, v41, v36
	v_fma_f32 v33, -v33, v39, v40
	v_div_fmas_f32 v33, v33, v36, v39
	v_div_fixup_f32 v39, v33, v34, 1.0
	v_xor_b32_e32 v33, 0x80000000, v39
	v_mul_f32_e64 v38, v38, -v39
.LBB15_17:
	s_or_b32 exec_lo, exec_lo, s5
	buffer_store_dword v39, v37, s[0:3], 0 offen
	buffer_store_dword v38, v37, s[0:3], 0 offen offset:4
	s_clause 0x1
	buffer_load_dword v40, off, s[0:3], 0 offset:12
	buffer_load_dword v39, off, s[0:3], 0 offset:8
	v_xor_b32_e32 v34, 0x80000000, v38
	v_add_nc_u32_e32 v36, 0x80, v35
	s_waitcnt vmcnt(0)
	ds_write2_b64 v35, v[33:34], v[39:40] offset1:16
	s_waitcnt lgkmcnt(0)
	s_waitcnt_vscnt null, 0x0
	s_barrier
	buffer_gl0_inv
	s_and_saveexec_b32 s5, s4
	s_cbranch_execz .LBB15_19
; %bb.18:
	s_clause 0x1
	buffer_load_dword v40, v37, s[0:3], 0 offen offset:4
	buffer_load_dword v41, v37, s[0:3], 0 offen
	ds_read_b64 v[33:34], v36
	v_mov_b32_e32 v38, 0
	ds_read_b64 v[38:39], v38 offset:8
	s_waitcnt vmcnt(1) lgkmcnt(1)
	v_mul_f32_e32 v42, v33, v40
	v_mul_f32_e32 v40, v34, v40
	s_waitcnt vmcnt(0)
	v_fmac_f32_e32 v42, v34, v41
	v_fma_f32 v33, v33, v41, -v40
	v_add_f32_e32 v34, 0, v42
	v_add_f32_e32 v33, 0, v33
	s_waitcnt lgkmcnt(0)
	v_mul_f32_e32 v40, v34, v39
	v_mul_f32_e32 v39, v33, v39
	v_fma_f32 v33, v33, v38, -v40
	v_fmac_f32_e32 v39, v34, v38
	buffer_store_dword v33, off, s[0:3], 0 offset:8
	buffer_store_dword v39, off, s[0:3], 0 offset:12
.LBB15_19:
	s_or_b32 exec_lo, exec_lo, s5
	s_waitcnt_vscnt null, 0x0
	s_barrier
	buffer_gl0_inv
	s_clause 0x1
	buffer_load_dword v33, off, s[0:3], 0 offset:16
	buffer_load_dword v34, off, s[0:3], 0 offset:20
	s_mov_b32 s5, exec_lo
	s_waitcnt vmcnt(0)
	ds_write_b64 v36, v[33:34]
	s_waitcnt lgkmcnt(0)
	s_barrier
	buffer_gl0_inv
	v_cmpx_gt_u32_e32 2, v0
	s_cbranch_execz .LBB15_23
; %bb.20:
	s_clause 0x1
	buffer_load_dword v38, v37, s[0:3], 0 offen offset:4
	buffer_load_dword v37, v37, s[0:3], 0 offen
	ds_read_b64 v[33:34], v36
	s_waitcnt vmcnt(1) lgkmcnt(0)
	v_mul_f32_e32 v39, v34, v38
	v_mul_f32_e32 v38, v33, v38
	s_waitcnt vmcnt(0)
	v_fma_f32 v33, v33, v37, -v39
	v_fmac_f32_e32 v38, v34, v37
	v_add_f32_e32 v34, 0, v33
	v_add_f32_e32 v33, 0, v38
	s_and_saveexec_b32 s8, s4
	s_cbranch_execz .LBB15_22
; %bb.21:
	s_clause 0x1
	buffer_load_dword v39, off, s[0:3], 0 offset:12
	buffer_load_dword v40, off, s[0:3], 0 offset:8
	v_mov_b32_e32 v37, 0
	ds_read_b64 v[37:38], v37 offset:136
	s_waitcnt vmcnt(1) lgkmcnt(0)
	v_mul_f32_e32 v41, v37, v39
	v_mul_f32_e32 v39, v38, v39
	s_waitcnt vmcnt(0)
	v_fmac_f32_e32 v41, v38, v40
	v_fma_f32 v37, v37, v40, -v39
	v_add_f32_e32 v33, v33, v41
	v_add_f32_e32 v34, v34, v37
.LBB15_22:
	s_or_b32 exec_lo, exec_lo, s8
	v_mov_b32_e32 v37, 0
	ds_read_b64 v[37:38], v37 offset:16
	s_waitcnt lgkmcnt(0)
	v_mul_f32_e32 v39, v33, v38
	v_mul_f32_e32 v38, v34, v38
	v_fma_f32 v34, v34, v37, -v39
	v_fmac_f32_e32 v38, v33, v37
	buffer_store_dword v34, off, s[0:3], 0 offset:16
	buffer_store_dword v38, off, s[0:3], 0 offset:20
.LBB15_23:
	s_or_b32 exec_lo, exec_lo, s5
	s_waitcnt_vscnt null, 0x0
	s_barrier
	buffer_gl0_inv
	s_clause 0x1
	buffer_load_dword v37, off, s[0:3], 0 offset:24
	buffer_load_dword v38, off, s[0:3], 0 offset:28
	v_add_nc_u32_e32 v33, -1, v0
	s_mov_b32 s4, exec_lo
	s_waitcnt vmcnt(0)
	ds_write_b64 v36, v[37:38]
	s_waitcnt lgkmcnt(0)
	s_barrier
	buffer_gl0_inv
	v_cmpx_gt_u32_e32 3, v0
	s_cbranch_execz .LBB15_27
; %bb.24:
	v_add_nc_u32_e32 v37, -1, v0
	v_add_nc_u32_e32 v38, 0x80, v35
	v_mov_b32_e32 v39, v35
	v_mov_b32_e32 v34, 0
	;; [unrolled: 1-line block ×3, first 2 shown]
	s_mov_b32 s5, 0
	.p2align	6
.LBB15_25:                              ; =>This Inner Loop Header: Depth=1
	s_clause 0x1
	buffer_load_dword v43, v39, s[0:3], 0 offen offset:4
	buffer_load_dword v44, v39, s[0:3], 0 offen
	ds_read_b64 v[41:42], v38
	v_add_nc_u32_e32 v37, 1, v37
	v_add_nc_u32_e32 v38, 8, v38
	;; [unrolled: 1-line block ×3, first 2 shown]
	v_cmp_lt_u32_e32 vcc_lo, 1, v37
	s_or_b32 s5, vcc_lo, s5
	s_waitcnt vmcnt(1) lgkmcnt(0)
	v_mul_f32_e32 v45, v42, v43
	v_mul_f32_e32 v43, v41, v43
	s_waitcnt vmcnt(0)
	v_fma_f32 v41, v41, v44, -v45
	v_fmac_f32_e32 v43, v42, v44
	v_add_f32_e32 v40, v40, v41
	v_add_f32_e32 v34, v34, v43
	s_andn2_b32 exec_lo, exec_lo, s5
	s_cbranch_execnz .LBB15_25
; %bb.26:
	s_or_b32 exec_lo, exec_lo, s5
	v_mov_b32_e32 v37, 0
	ds_read_b64 v[37:38], v37 offset:24
	s_waitcnt lgkmcnt(0)
	v_mul_f32_e32 v39, v34, v38
	v_mul_f32_e32 v38, v40, v38
	v_fma_f32 v39, v40, v37, -v39
	v_fmac_f32_e32 v38, v34, v37
	buffer_store_dword v39, off, s[0:3], 0 offset:24
	buffer_store_dword v38, off, s[0:3], 0 offset:28
.LBB15_27:
	s_or_b32 exec_lo, exec_lo, s4
	s_waitcnt_vscnt null, 0x0
	s_barrier
	buffer_gl0_inv
	s_clause 0x1
	buffer_load_dword v37, off, s[0:3], 0 offset:32
	buffer_load_dword v38, off, s[0:3], 0 offset:36
	s_mov_b32 s4, exec_lo
	s_waitcnt vmcnt(0)
	ds_write_b64 v36, v[37:38]
	s_waitcnt lgkmcnt(0)
	s_barrier
	buffer_gl0_inv
	v_cmpx_gt_u32_e32 4, v0
	s_cbranch_execz .LBB15_31
; %bb.28:
	v_add_nc_u32_e32 v37, -1, v0
	v_add_nc_u32_e32 v38, 0x80, v35
	v_mov_b32_e32 v39, v35
	v_mov_b32_e32 v34, 0
	;; [unrolled: 1-line block ×3, first 2 shown]
	s_mov_b32 s5, 0
	.p2align	6
.LBB15_29:                              ; =>This Inner Loop Header: Depth=1
	s_clause 0x1
	buffer_load_dword v43, v39, s[0:3], 0 offen offset:4
	buffer_load_dword v44, v39, s[0:3], 0 offen
	ds_read_b64 v[41:42], v38
	v_add_nc_u32_e32 v37, 1, v37
	v_add_nc_u32_e32 v38, 8, v38
	;; [unrolled: 1-line block ×3, first 2 shown]
	v_cmp_lt_u32_e32 vcc_lo, 2, v37
	s_or_b32 s5, vcc_lo, s5
	s_waitcnt vmcnt(1) lgkmcnt(0)
	v_mul_f32_e32 v45, v42, v43
	v_mul_f32_e32 v43, v41, v43
	s_waitcnt vmcnt(0)
	v_fma_f32 v41, v41, v44, -v45
	v_fmac_f32_e32 v43, v42, v44
	v_add_f32_e32 v40, v40, v41
	v_add_f32_e32 v34, v34, v43
	s_andn2_b32 exec_lo, exec_lo, s5
	s_cbranch_execnz .LBB15_29
; %bb.30:
	s_or_b32 exec_lo, exec_lo, s5
	v_mov_b32_e32 v37, 0
	ds_read_b64 v[37:38], v37 offset:32
	s_waitcnt lgkmcnt(0)
	v_mul_f32_e32 v39, v34, v38
	v_mul_f32_e32 v38, v40, v38
	v_fma_f32 v39, v40, v37, -v39
	v_fmac_f32_e32 v38, v34, v37
	buffer_store_dword v39, off, s[0:3], 0 offset:32
	buffer_store_dword v38, off, s[0:3], 0 offset:36
.LBB15_31:
	s_or_b32 exec_lo, exec_lo, s4
	s_waitcnt_vscnt null, 0x0
	s_barrier
	buffer_gl0_inv
	s_clause 0x1
	buffer_load_dword v37, off, s[0:3], 0 offset:40
	buffer_load_dword v38, off, s[0:3], 0 offset:44
	s_mov_b32 s4, exec_lo
	s_waitcnt vmcnt(0)
	ds_write_b64 v36, v[37:38]
	s_waitcnt lgkmcnt(0)
	s_barrier
	buffer_gl0_inv
	v_cmpx_gt_u32_e32 5, v0
	s_cbranch_execz .LBB15_35
; %bb.32:
	v_add_nc_u32_e32 v37, -1, v0
	v_add_nc_u32_e32 v38, 0x80, v35
	v_mov_b32_e32 v39, v35
	v_mov_b32_e32 v34, 0
	;; [unrolled: 1-line block ×3, first 2 shown]
	s_mov_b32 s5, 0
	.p2align	6
.LBB15_33:                              ; =>This Inner Loop Header: Depth=1
	s_clause 0x1
	buffer_load_dword v43, v39, s[0:3], 0 offen offset:4
	buffer_load_dword v44, v39, s[0:3], 0 offen
	ds_read_b64 v[41:42], v38
	v_add_nc_u32_e32 v37, 1, v37
	v_add_nc_u32_e32 v38, 8, v38
	;; [unrolled: 1-line block ×3, first 2 shown]
	v_cmp_lt_u32_e32 vcc_lo, 3, v37
	s_or_b32 s5, vcc_lo, s5
	s_waitcnt vmcnt(1) lgkmcnt(0)
	v_mul_f32_e32 v45, v42, v43
	v_mul_f32_e32 v43, v41, v43
	s_waitcnt vmcnt(0)
	v_fma_f32 v41, v41, v44, -v45
	v_fmac_f32_e32 v43, v42, v44
	v_add_f32_e32 v40, v40, v41
	v_add_f32_e32 v34, v34, v43
	s_andn2_b32 exec_lo, exec_lo, s5
	s_cbranch_execnz .LBB15_33
; %bb.34:
	s_or_b32 exec_lo, exec_lo, s5
	v_mov_b32_e32 v37, 0
	ds_read_b64 v[37:38], v37 offset:40
	s_waitcnt lgkmcnt(0)
	v_mul_f32_e32 v39, v34, v38
	v_mul_f32_e32 v38, v40, v38
	v_fma_f32 v39, v40, v37, -v39
	v_fmac_f32_e32 v38, v34, v37
	buffer_store_dword v39, off, s[0:3], 0 offset:40
	buffer_store_dword v38, off, s[0:3], 0 offset:44
.LBB15_35:
	s_or_b32 exec_lo, exec_lo, s4
	s_waitcnt_vscnt null, 0x0
	s_barrier
	buffer_gl0_inv
	s_clause 0x1
	buffer_load_dword v37, off, s[0:3], 0 offset:48
	buffer_load_dword v38, off, s[0:3], 0 offset:52
	s_mov_b32 s4, exec_lo
	s_waitcnt vmcnt(0)
	ds_write_b64 v36, v[37:38]
	s_waitcnt lgkmcnt(0)
	s_barrier
	buffer_gl0_inv
	v_cmpx_gt_u32_e32 6, v0
	s_cbranch_execz .LBB15_39
; %bb.36:
	v_add_nc_u32_e32 v37, -1, v0
	v_add_nc_u32_e32 v38, 0x80, v35
	v_mov_b32_e32 v39, v35
	v_mov_b32_e32 v34, 0
	;; [unrolled: 1-line block ×3, first 2 shown]
	s_mov_b32 s5, 0
	.p2align	6
.LBB15_37:                              ; =>This Inner Loop Header: Depth=1
	s_clause 0x1
	buffer_load_dword v43, v39, s[0:3], 0 offen offset:4
	buffer_load_dword v44, v39, s[0:3], 0 offen
	ds_read_b64 v[41:42], v38
	v_add_nc_u32_e32 v37, 1, v37
	v_add_nc_u32_e32 v38, 8, v38
	;; [unrolled: 1-line block ×3, first 2 shown]
	v_cmp_lt_u32_e32 vcc_lo, 4, v37
	s_or_b32 s5, vcc_lo, s5
	s_waitcnt vmcnt(1) lgkmcnt(0)
	v_mul_f32_e32 v45, v42, v43
	v_mul_f32_e32 v43, v41, v43
	s_waitcnt vmcnt(0)
	v_fma_f32 v41, v41, v44, -v45
	v_fmac_f32_e32 v43, v42, v44
	v_add_f32_e32 v40, v40, v41
	v_add_f32_e32 v34, v34, v43
	s_andn2_b32 exec_lo, exec_lo, s5
	s_cbranch_execnz .LBB15_37
; %bb.38:
	s_or_b32 exec_lo, exec_lo, s5
	v_mov_b32_e32 v37, 0
	ds_read_b64 v[37:38], v37 offset:48
	s_waitcnt lgkmcnt(0)
	v_mul_f32_e32 v39, v34, v38
	v_mul_f32_e32 v38, v40, v38
	v_fma_f32 v39, v40, v37, -v39
	v_fmac_f32_e32 v38, v34, v37
	buffer_store_dword v39, off, s[0:3], 0 offset:48
	buffer_store_dword v38, off, s[0:3], 0 offset:52
.LBB15_39:
	s_or_b32 exec_lo, exec_lo, s4
	s_waitcnt_vscnt null, 0x0
	s_barrier
	buffer_gl0_inv
	s_clause 0x1
	buffer_load_dword v37, off, s[0:3], 0 offset:56
	buffer_load_dword v38, off, s[0:3], 0 offset:60
	s_mov_b32 s4, exec_lo
	s_waitcnt vmcnt(0)
	ds_write_b64 v36, v[37:38]
	s_waitcnt lgkmcnt(0)
	s_barrier
	buffer_gl0_inv
	v_cmpx_gt_u32_e32 7, v0
	s_cbranch_execz .LBB15_43
; %bb.40:
	v_add_nc_u32_e32 v37, -1, v0
	v_add_nc_u32_e32 v38, 0x80, v35
	v_mov_b32_e32 v39, v35
	v_mov_b32_e32 v34, 0
	;; [unrolled: 1-line block ×3, first 2 shown]
	s_mov_b32 s5, 0
	.p2align	6
.LBB15_41:                              ; =>This Inner Loop Header: Depth=1
	s_clause 0x1
	buffer_load_dword v43, v39, s[0:3], 0 offen offset:4
	buffer_load_dword v44, v39, s[0:3], 0 offen
	ds_read_b64 v[41:42], v38
	v_add_nc_u32_e32 v37, 1, v37
	v_add_nc_u32_e32 v38, 8, v38
	;; [unrolled: 1-line block ×3, first 2 shown]
	v_cmp_lt_u32_e32 vcc_lo, 5, v37
	s_or_b32 s5, vcc_lo, s5
	s_waitcnt vmcnt(1) lgkmcnt(0)
	v_mul_f32_e32 v45, v42, v43
	v_mul_f32_e32 v43, v41, v43
	s_waitcnt vmcnt(0)
	v_fma_f32 v41, v41, v44, -v45
	v_fmac_f32_e32 v43, v42, v44
	v_add_f32_e32 v40, v40, v41
	v_add_f32_e32 v34, v34, v43
	s_andn2_b32 exec_lo, exec_lo, s5
	s_cbranch_execnz .LBB15_41
; %bb.42:
	s_or_b32 exec_lo, exec_lo, s5
	v_mov_b32_e32 v37, 0
	ds_read_b64 v[37:38], v37 offset:56
	s_waitcnt lgkmcnt(0)
	v_mul_f32_e32 v39, v34, v38
	v_mul_f32_e32 v38, v40, v38
	v_fma_f32 v39, v40, v37, -v39
	v_fmac_f32_e32 v38, v34, v37
	buffer_store_dword v39, off, s[0:3], 0 offset:56
	buffer_store_dword v38, off, s[0:3], 0 offset:60
.LBB15_43:
	s_or_b32 exec_lo, exec_lo, s4
	s_waitcnt_vscnt null, 0x0
	s_barrier
	buffer_gl0_inv
	s_clause 0x1
	buffer_load_dword v37, off, s[0:3], 0 offset:64
	buffer_load_dword v38, off, s[0:3], 0 offset:68
	s_mov_b32 s4, exec_lo
	s_waitcnt vmcnt(0)
	ds_write_b64 v36, v[37:38]
	s_waitcnt lgkmcnt(0)
	s_barrier
	buffer_gl0_inv
	v_cmpx_gt_u32_e32 8, v0
	s_cbranch_execz .LBB15_47
; %bb.44:
	v_add_nc_u32_e32 v37, -1, v0
	v_add_nc_u32_e32 v38, 0x80, v35
	v_mov_b32_e32 v39, v35
	v_mov_b32_e32 v34, 0
	;; [unrolled: 1-line block ×3, first 2 shown]
	s_mov_b32 s5, 0
	.p2align	6
.LBB15_45:                              ; =>This Inner Loop Header: Depth=1
	s_clause 0x1
	buffer_load_dword v43, v39, s[0:3], 0 offen offset:4
	buffer_load_dword v44, v39, s[0:3], 0 offen
	ds_read_b64 v[41:42], v38
	v_add_nc_u32_e32 v37, 1, v37
	v_add_nc_u32_e32 v38, 8, v38
	;; [unrolled: 1-line block ×3, first 2 shown]
	v_cmp_lt_u32_e32 vcc_lo, 6, v37
	s_or_b32 s5, vcc_lo, s5
	s_waitcnt vmcnt(1) lgkmcnt(0)
	v_mul_f32_e32 v45, v42, v43
	v_mul_f32_e32 v43, v41, v43
	s_waitcnt vmcnt(0)
	v_fma_f32 v41, v41, v44, -v45
	v_fmac_f32_e32 v43, v42, v44
	v_add_f32_e32 v40, v40, v41
	v_add_f32_e32 v34, v34, v43
	s_andn2_b32 exec_lo, exec_lo, s5
	s_cbranch_execnz .LBB15_45
; %bb.46:
	s_or_b32 exec_lo, exec_lo, s5
	v_mov_b32_e32 v37, 0
	ds_read_b64 v[37:38], v37 offset:64
	s_waitcnt lgkmcnt(0)
	v_mul_f32_e32 v39, v34, v38
	v_mul_f32_e32 v38, v40, v38
	v_fma_f32 v39, v40, v37, -v39
	v_fmac_f32_e32 v38, v34, v37
	buffer_store_dword v39, off, s[0:3], 0 offset:64
	buffer_store_dword v38, off, s[0:3], 0 offset:68
.LBB15_47:
	s_or_b32 exec_lo, exec_lo, s4
	s_waitcnt_vscnt null, 0x0
	s_barrier
	buffer_gl0_inv
	s_clause 0x1
	buffer_load_dword v37, off, s[0:3], 0 offset:72
	buffer_load_dword v38, off, s[0:3], 0 offset:76
	s_mov_b32 s4, exec_lo
	s_waitcnt vmcnt(0)
	ds_write_b64 v36, v[37:38]
	s_waitcnt lgkmcnt(0)
	s_barrier
	buffer_gl0_inv
	v_cmpx_gt_u32_e32 9, v0
	s_cbranch_execz .LBB15_51
; %bb.48:
	v_add_nc_u32_e32 v37, -1, v0
	v_add_nc_u32_e32 v38, 0x80, v35
	v_mov_b32_e32 v39, v35
	v_mov_b32_e32 v34, 0
	;; [unrolled: 1-line block ×3, first 2 shown]
	s_mov_b32 s5, 0
	.p2align	6
.LBB15_49:                              ; =>This Inner Loop Header: Depth=1
	s_clause 0x1
	buffer_load_dword v43, v39, s[0:3], 0 offen offset:4
	buffer_load_dword v44, v39, s[0:3], 0 offen
	ds_read_b64 v[41:42], v38
	v_add_nc_u32_e32 v37, 1, v37
	v_add_nc_u32_e32 v38, 8, v38
	;; [unrolled: 1-line block ×3, first 2 shown]
	v_cmp_lt_u32_e32 vcc_lo, 7, v37
	s_or_b32 s5, vcc_lo, s5
	s_waitcnt vmcnt(1) lgkmcnt(0)
	v_mul_f32_e32 v45, v42, v43
	v_mul_f32_e32 v43, v41, v43
	s_waitcnt vmcnt(0)
	v_fma_f32 v41, v41, v44, -v45
	v_fmac_f32_e32 v43, v42, v44
	v_add_f32_e32 v40, v40, v41
	v_add_f32_e32 v34, v34, v43
	s_andn2_b32 exec_lo, exec_lo, s5
	s_cbranch_execnz .LBB15_49
; %bb.50:
	s_or_b32 exec_lo, exec_lo, s5
	v_mov_b32_e32 v37, 0
	ds_read_b64 v[37:38], v37 offset:72
	s_waitcnt lgkmcnt(0)
	v_mul_f32_e32 v39, v34, v38
	v_mul_f32_e32 v38, v40, v38
	v_fma_f32 v39, v40, v37, -v39
	v_fmac_f32_e32 v38, v34, v37
	buffer_store_dword v39, off, s[0:3], 0 offset:72
	buffer_store_dword v38, off, s[0:3], 0 offset:76
.LBB15_51:
	s_or_b32 exec_lo, exec_lo, s4
	s_waitcnt_vscnt null, 0x0
	s_barrier
	buffer_gl0_inv
	s_clause 0x1
	buffer_load_dword v37, off, s[0:3], 0 offset:80
	buffer_load_dword v38, off, s[0:3], 0 offset:84
	s_mov_b32 s4, exec_lo
	s_waitcnt vmcnt(0)
	ds_write_b64 v36, v[37:38]
	s_waitcnt lgkmcnt(0)
	s_barrier
	buffer_gl0_inv
	v_cmpx_gt_u32_e32 10, v0
	s_cbranch_execz .LBB15_55
; %bb.52:
	v_add_nc_u32_e32 v37, -1, v0
	v_add_nc_u32_e32 v38, 0x80, v35
	v_mov_b32_e32 v39, v35
	v_mov_b32_e32 v34, 0
	;; [unrolled: 1-line block ×3, first 2 shown]
	s_mov_b32 s5, 0
	.p2align	6
.LBB15_53:                              ; =>This Inner Loop Header: Depth=1
	s_clause 0x1
	buffer_load_dword v43, v39, s[0:3], 0 offen offset:4
	buffer_load_dword v44, v39, s[0:3], 0 offen
	ds_read_b64 v[41:42], v38
	v_add_nc_u32_e32 v37, 1, v37
	v_add_nc_u32_e32 v38, 8, v38
	;; [unrolled: 1-line block ×3, first 2 shown]
	v_cmp_lt_u32_e32 vcc_lo, 8, v37
	s_or_b32 s5, vcc_lo, s5
	s_waitcnt vmcnt(1) lgkmcnt(0)
	v_mul_f32_e32 v45, v42, v43
	v_mul_f32_e32 v43, v41, v43
	s_waitcnt vmcnt(0)
	v_fma_f32 v41, v41, v44, -v45
	v_fmac_f32_e32 v43, v42, v44
	v_add_f32_e32 v40, v40, v41
	v_add_f32_e32 v34, v34, v43
	s_andn2_b32 exec_lo, exec_lo, s5
	s_cbranch_execnz .LBB15_53
; %bb.54:
	s_or_b32 exec_lo, exec_lo, s5
	v_mov_b32_e32 v37, 0
	ds_read_b64 v[37:38], v37 offset:80
	s_waitcnt lgkmcnt(0)
	v_mul_f32_e32 v39, v34, v38
	v_mul_f32_e32 v38, v40, v38
	v_fma_f32 v39, v40, v37, -v39
	v_fmac_f32_e32 v38, v34, v37
	buffer_store_dword v39, off, s[0:3], 0 offset:80
	buffer_store_dword v38, off, s[0:3], 0 offset:84
.LBB15_55:
	s_or_b32 exec_lo, exec_lo, s4
	s_waitcnt_vscnt null, 0x0
	s_barrier
	buffer_gl0_inv
	s_clause 0x1
	buffer_load_dword v37, off, s[0:3], 0 offset:88
	buffer_load_dword v38, off, s[0:3], 0 offset:92
	s_mov_b32 s4, exec_lo
	s_waitcnt vmcnt(0)
	ds_write_b64 v36, v[37:38]
	s_waitcnt lgkmcnt(0)
	s_barrier
	buffer_gl0_inv
	v_cmpx_gt_u32_e32 11, v0
	s_cbranch_execz .LBB15_59
; %bb.56:
	v_add_nc_u32_e32 v37, -1, v0
	v_add_nc_u32_e32 v38, 0x80, v35
	v_mov_b32_e32 v39, v35
	v_mov_b32_e32 v34, 0
	;; [unrolled: 1-line block ×3, first 2 shown]
	s_mov_b32 s5, 0
	.p2align	6
.LBB15_57:                              ; =>This Inner Loop Header: Depth=1
	s_clause 0x1
	buffer_load_dword v43, v39, s[0:3], 0 offen offset:4
	buffer_load_dword v44, v39, s[0:3], 0 offen
	ds_read_b64 v[41:42], v38
	v_add_nc_u32_e32 v37, 1, v37
	v_add_nc_u32_e32 v38, 8, v38
	v_add_nc_u32_e32 v39, 8, v39
	v_cmp_lt_u32_e32 vcc_lo, 9, v37
	s_or_b32 s5, vcc_lo, s5
	s_waitcnt vmcnt(1) lgkmcnt(0)
	v_mul_f32_e32 v45, v42, v43
	v_mul_f32_e32 v43, v41, v43
	s_waitcnt vmcnt(0)
	v_fma_f32 v41, v41, v44, -v45
	v_fmac_f32_e32 v43, v42, v44
	v_add_f32_e32 v40, v40, v41
	v_add_f32_e32 v34, v34, v43
	s_andn2_b32 exec_lo, exec_lo, s5
	s_cbranch_execnz .LBB15_57
; %bb.58:
	s_or_b32 exec_lo, exec_lo, s5
	v_mov_b32_e32 v37, 0
	ds_read_b64 v[37:38], v37 offset:88
	s_waitcnt lgkmcnt(0)
	v_mul_f32_e32 v39, v34, v38
	v_mul_f32_e32 v38, v40, v38
	v_fma_f32 v39, v40, v37, -v39
	v_fmac_f32_e32 v38, v34, v37
	buffer_store_dword v39, off, s[0:3], 0 offset:88
	buffer_store_dword v38, off, s[0:3], 0 offset:92
.LBB15_59:
	s_or_b32 exec_lo, exec_lo, s4
	s_waitcnt_vscnt null, 0x0
	s_barrier
	buffer_gl0_inv
	s_clause 0x1
	buffer_load_dword v37, off, s[0:3], 0 offset:96
	buffer_load_dword v38, off, s[0:3], 0 offset:100
	s_mov_b32 s4, exec_lo
	s_waitcnt vmcnt(0)
	ds_write_b64 v36, v[37:38]
	s_waitcnt lgkmcnt(0)
	s_barrier
	buffer_gl0_inv
	v_cmpx_gt_u32_e32 12, v0
	s_cbranch_execz .LBB15_63
; %bb.60:
	v_add_nc_u32_e32 v37, -1, v0
	v_add_nc_u32_e32 v38, 0x80, v35
	v_mov_b32_e32 v39, v35
	v_mov_b32_e32 v34, 0
	;; [unrolled: 1-line block ×3, first 2 shown]
	s_mov_b32 s5, 0
	.p2align	6
.LBB15_61:                              ; =>This Inner Loop Header: Depth=1
	s_clause 0x1
	buffer_load_dword v43, v39, s[0:3], 0 offen offset:4
	buffer_load_dword v44, v39, s[0:3], 0 offen
	ds_read_b64 v[41:42], v38
	v_add_nc_u32_e32 v37, 1, v37
	v_add_nc_u32_e32 v38, 8, v38
	;; [unrolled: 1-line block ×3, first 2 shown]
	v_cmp_lt_u32_e32 vcc_lo, 10, v37
	s_or_b32 s5, vcc_lo, s5
	s_waitcnt vmcnt(1) lgkmcnt(0)
	v_mul_f32_e32 v45, v42, v43
	v_mul_f32_e32 v43, v41, v43
	s_waitcnt vmcnt(0)
	v_fma_f32 v41, v41, v44, -v45
	v_fmac_f32_e32 v43, v42, v44
	v_add_f32_e32 v40, v40, v41
	v_add_f32_e32 v34, v34, v43
	s_andn2_b32 exec_lo, exec_lo, s5
	s_cbranch_execnz .LBB15_61
; %bb.62:
	s_or_b32 exec_lo, exec_lo, s5
	v_mov_b32_e32 v37, 0
	ds_read_b64 v[37:38], v37 offset:96
	s_waitcnt lgkmcnt(0)
	v_mul_f32_e32 v39, v34, v38
	v_mul_f32_e32 v38, v40, v38
	v_fma_f32 v39, v40, v37, -v39
	v_fmac_f32_e32 v38, v34, v37
	buffer_store_dword v39, off, s[0:3], 0 offset:96
	buffer_store_dword v38, off, s[0:3], 0 offset:100
.LBB15_63:
	s_or_b32 exec_lo, exec_lo, s4
	s_waitcnt_vscnt null, 0x0
	s_barrier
	buffer_gl0_inv
	s_clause 0x1
	buffer_load_dword v37, off, s[0:3], 0 offset:104
	buffer_load_dword v38, off, s[0:3], 0 offset:108
	s_mov_b32 s4, exec_lo
	s_waitcnt vmcnt(0)
	ds_write_b64 v36, v[37:38]
	s_waitcnt lgkmcnt(0)
	s_barrier
	buffer_gl0_inv
	v_cmpx_gt_u32_e32 13, v0
	s_cbranch_execz .LBB15_67
; %bb.64:
	v_add_nc_u32_e32 v37, -1, v0
	v_add_nc_u32_e32 v38, 0x80, v35
	v_mov_b32_e32 v39, v35
	v_mov_b32_e32 v34, 0
	;; [unrolled: 1-line block ×3, first 2 shown]
	s_mov_b32 s5, 0
	.p2align	6
.LBB15_65:                              ; =>This Inner Loop Header: Depth=1
	s_clause 0x1
	buffer_load_dword v43, v39, s[0:3], 0 offen offset:4
	buffer_load_dword v44, v39, s[0:3], 0 offen
	ds_read_b64 v[41:42], v38
	v_add_nc_u32_e32 v37, 1, v37
	v_add_nc_u32_e32 v38, 8, v38
	;; [unrolled: 1-line block ×3, first 2 shown]
	v_cmp_lt_u32_e32 vcc_lo, 11, v37
	s_or_b32 s5, vcc_lo, s5
	s_waitcnt vmcnt(1) lgkmcnt(0)
	v_mul_f32_e32 v45, v42, v43
	v_mul_f32_e32 v43, v41, v43
	s_waitcnt vmcnt(0)
	v_fma_f32 v41, v41, v44, -v45
	v_fmac_f32_e32 v43, v42, v44
	v_add_f32_e32 v40, v40, v41
	v_add_f32_e32 v34, v34, v43
	s_andn2_b32 exec_lo, exec_lo, s5
	s_cbranch_execnz .LBB15_65
; %bb.66:
	s_or_b32 exec_lo, exec_lo, s5
	v_mov_b32_e32 v37, 0
	ds_read_b64 v[37:38], v37 offset:104
	s_waitcnt lgkmcnt(0)
	v_mul_f32_e32 v39, v34, v38
	v_mul_f32_e32 v38, v40, v38
	v_fma_f32 v39, v40, v37, -v39
	v_fmac_f32_e32 v38, v34, v37
	buffer_store_dword v39, off, s[0:3], 0 offset:104
	buffer_store_dword v38, off, s[0:3], 0 offset:108
.LBB15_67:
	s_or_b32 exec_lo, exec_lo, s4
	s_waitcnt_vscnt null, 0x0
	s_barrier
	buffer_gl0_inv
	s_clause 0x1
	buffer_load_dword v37, off, s[0:3], 0 offset:112
	buffer_load_dword v38, off, s[0:3], 0 offset:116
	s_mov_b32 s4, exec_lo
	s_waitcnt vmcnt(0)
	ds_write_b64 v36, v[37:38]
	s_waitcnt lgkmcnt(0)
	s_barrier
	buffer_gl0_inv
	v_cmpx_gt_u32_e32 14, v0
	s_cbranch_execz .LBB15_71
; %bb.68:
	v_add_nc_u32_e32 v37, -1, v0
	v_add_nc_u32_e32 v38, 0x80, v35
	v_mov_b32_e32 v39, v35
	v_mov_b32_e32 v34, 0
	;; [unrolled: 1-line block ×3, first 2 shown]
	s_mov_b32 s5, 0
	.p2align	6
.LBB15_69:                              ; =>This Inner Loop Header: Depth=1
	s_clause 0x1
	buffer_load_dword v43, v39, s[0:3], 0 offen offset:4
	buffer_load_dword v44, v39, s[0:3], 0 offen
	ds_read_b64 v[41:42], v38
	v_add_nc_u32_e32 v37, 1, v37
	v_add_nc_u32_e32 v38, 8, v38
	;; [unrolled: 1-line block ×3, first 2 shown]
	v_cmp_lt_u32_e32 vcc_lo, 12, v37
	s_or_b32 s5, vcc_lo, s5
	s_waitcnt vmcnt(1) lgkmcnt(0)
	v_mul_f32_e32 v45, v42, v43
	v_mul_f32_e32 v43, v41, v43
	s_waitcnt vmcnt(0)
	v_fma_f32 v41, v41, v44, -v45
	v_fmac_f32_e32 v43, v42, v44
	v_add_f32_e32 v40, v40, v41
	v_add_f32_e32 v34, v34, v43
	s_andn2_b32 exec_lo, exec_lo, s5
	s_cbranch_execnz .LBB15_69
; %bb.70:
	s_or_b32 exec_lo, exec_lo, s5
	v_mov_b32_e32 v37, 0
	ds_read_b64 v[37:38], v37 offset:112
	s_waitcnt lgkmcnt(0)
	v_mul_f32_e32 v39, v34, v38
	v_mul_f32_e32 v38, v40, v38
	v_fma_f32 v39, v40, v37, -v39
	v_fmac_f32_e32 v38, v34, v37
	buffer_store_dword v39, off, s[0:3], 0 offset:112
	buffer_store_dword v38, off, s[0:3], 0 offset:116
.LBB15_71:
	s_or_b32 exec_lo, exec_lo, s4
	s_waitcnt_vscnt null, 0x0
	s_barrier
	buffer_gl0_inv
	s_clause 0x1
	buffer_load_dword v37, off, s[0:3], 0 offset:120
	buffer_load_dword v38, off, s[0:3], 0 offset:124
	s_mov_b32 s4, exec_lo
	s_waitcnt vmcnt(0)
	ds_write_b64 v36, v[37:38]
	s_waitcnt lgkmcnt(0)
	s_barrier
	buffer_gl0_inv
	v_cmpx_ne_u32_e32 15, v0
	s_cbranch_execz .LBB15_75
; %bb.72:
	v_mov_b32_e32 v34, 0
	v_mov_b32_e32 v37, 0
	s_mov_b32 s5, 0
	.p2align	6
.LBB15_73:                              ; =>This Inner Loop Header: Depth=1
	s_clause 0x1
	buffer_load_dword v40, v35, s[0:3], 0 offen offset:4
	buffer_load_dword v41, v35, s[0:3], 0 offen
	ds_read_b64 v[38:39], v36
	v_add_nc_u32_e32 v33, 1, v33
	v_add_nc_u32_e32 v36, 8, v36
	;; [unrolled: 1-line block ×3, first 2 shown]
	v_cmp_lt_u32_e32 vcc_lo, 13, v33
	s_or_b32 s5, vcc_lo, s5
	s_waitcnt vmcnt(1) lgkmcnt(0)
	v_mul_f32_e32 v42, v39, v40
	v_mul_f32_e32 v40, v38, v40
	s_waitcnt vmcnt(0)
	v_fma_f32 v38, v38, v41, -v42
	v_fmac_f32_e32 v40, v39, v41
	v_add_f32_e32 v37, v37, v38
	v_add_f32_e32 v34, v34, v40
	s_andn2_b32 exec_lo, exec_lo, s5
	s_cbranch_execnz .LBB15_73
; %bb.74:
	s_or_b32 exec_lo, exec_lo, s5
	v_mov_b32_e32 v33, 0
	ds_read_b64 v[35:36], v33 offset:120
	s_waitcnt lgkmcnt(0)
	v_mul_f32_e32 v33, v34, v36
	v_mul_f32_e32 v36, v37, v36
	v_fma_f32 v33, v37, v35, -v33
	v_fmac_f32_e32 v36, v34, v35
	buffer_store_dword v33, off, s[0:3], 0 offset:120
	buffer_store_dword v36, off, s[0:3], 0 offset:124
.LBB15_75:
	s_or_b32 exec_lo, exec_lo, s4
	s_mov_b32 s5, -1
	s_waitcnt_vscnt null, 0x0
	s_barrier
	buffer_gl0_inv
.LBB15_76:
	s_and_b32 vcc_lo, exec_lo, s5
	s_cbranch_vccz .LBB15_78
; %bb.77:
	s_lshl_b64 s[4:5], s[6:7], 2
	v_mov_b32_e32 v33, 0
	s_add_u32 s4, s10, s4
	s_addc_u32 s5, s11, s5
	global_load_dword v33, v33, s[4:5]
	s_waitcnt vmcnt(0)
	v_cmp_ne_u32_e32 vcc_lo, 0, v33
	s_cbranch_vccz .LBB15_79
.LBB15_78:
	s_endpgm
.LBB15_79:
	v_lshl_add_u32 v33, v0, 3, 0x80
	s_mov_b32 s4, exec_lo
	v_cmpx_eq_u32_e32 15, v0
	s_cbranch_execz .LBB15_81
; %bb.80:
	s_clause 0x1
	buffer_load_dword v34, off, s[0:3], 0 offset:112
	buffer_load_dword v35, off, s[0:3], 0 offset:116
	v_mov_b32_e32 v36, 0
	buffer_store_dword v36, off, s[0:3], 0 offset:112
	buffer_store_dword v36, off, s[0:3], 0 offset:116
	s_waitcnt vmcnt(0)
	ds_write_b64 v33, v[34:35]
.LBB15_81:
	s_or_b32 exec_lo, exec_lo, s4
	s_waitcnt lgkmcnt(0)
	s_waitcnt_vscnt null, 0x0
	s_barrier
	buffer_gl0_inv
	s_clause 0x3
	buffer_load_dword v37, off, s[0:3], 0 offset:124
	buffer_load_dword v38, off, s[0:3], 0 offset:120
	;; [unrolled: 1-line block ×4, first 2 shown]
	v_mov_b32_e32 v34, 0
	s_mov_b32 s4, exec_lo
	ds_read_b64 v[35:36], v34 offset:248
	s_waitcnt vmcnt(3) lgkmcnt(0)
	v_mul_f32_e32 v41, v36, v37
	v_mul_f32_e32 v37, v35, v37
	s_waitcnt vmcnt(2)
	v_fma_f32 v35, v35, v38, -v41
	v_fmac_f32_e32 v37, v36, v38
	v_add_f32_e32 v35, 0, v35
	v_add_f32_e32 v36, 0, v37
	s_waitcnt vmcnt(1)
	v_sub_f32_e32 v35, v39, v35
	s_waitcnt vmcnt(0)
	v_sub_f32_e32 v36, v40, v36
	buffer_store_dword v35, off, s[0:3], 0 offset:112
	buffer_store_dword v36, off, s[0:3], 0 offset:116
	v_cmpx_lt_u32_e32 13, v0
	s_cbranch_execz .LBB15_83
; %bb.82:
	s_clause 0x1
	buffer_load_dword v35, off, s[0:3], 0 offset:104
	buffer_load_dword v36, off, s[0:3], 0 offset:108
	buffer_store_dword v34, off, s[0:3], 0 offset:104
	buffer_store_dword v34, off, s[0:3], 0 offset:108
	s_waitcnt vmcnt(0)
	ds_write_b64 v33, v[35:36]
.LBB15_83:
	s_or_b32 exec_lo, exec_lo, s4
	s_waitcnt lgkmcnt(0)
	s_waitcnt_vscnt null, 0x0
	s_barrier
	buffer_gl0_inv
	s_clause 0x5
	buffer_load_dword v38, off, s[0:3], 0 offset:116
	buffer_load_dword v39, off, s[0:3], 0 offset:124
	;; [unrolled: 1-line block ×6, first 2 shown]
	ds_read_b128 v[34:37], v34 offset:240
	s_mov_b32 s4, exec_lo
	s_waitcnt vmcnt(5) lgkmcnt(0)
	v_mul_f32_e32 v44, v35, v38
	v_mul_f32_e32 v38, v34, v38
	s_waitcnt vmcnt(4)
	v_mul_f32_e32 v45, v36, v39
	v_mul_f32_e32 v39, v37, v39
	s_waitcnt vmcnt(3)
	v_fma_f32 v34, v34, v40, -v44
	v_fmac_f32_e32 v38, v35, v40
	s_waitcnt vmcnt(2)
	v_fmac_f32_e32 v45, v37, v41
	v_fma_f32 v35, v36, v41, -v39
	v_add_f32_e32 v34, 0, v34
	v_add_f32_e32 v36, 0, v38
	v_add_f32_e32 v34, v34, v35
	v_add_f32_e32 v35, v36, v45
	s_waitcnt vmcnt(1)
	v_sub_f32_e32 v34, v42, v34
	s_waitcnt vmcnt(0)
	v_sub_f32_e32 v35, v43, v35
	buffer_store_dword v34, off, s[0:3], 0 offset:104
	buffer_store_dword v35, off, s[0:3], 0 offset:108
	v_cmpx_lt_u32_e32 12, v0
	s_cbranch_execz .LBB15_85
; %bb.84:
	s_clause 0x1
	buffer_load_dword v34, off, s[0:3], 0 offset:96
	buffer_load_dword v35, off, s[0:3], 0 offset:100
	v_mov_b32_e32 v36, 0
	buffer_store_dword v36, off, s[0:3], 0 offset:96
	buffer_store_dword v36, off, s[0:3], 0 offset:100
	s_waitcnt vmcnt(0)
	ds_write_b64 v33, v[34:35]
.LBB15_85:
	s_or_b32 exec_lo, exec_lo, s4
	s_waitcnt lgkmcnt(0)
	s_waitcnt_vscnt null, 0x0
	s_barrier
	buffer_gl0_inv
	s_clause 0x7
	buffer_load_dword v41, off, s[0:3], 0 offset:108
	buffer_load_dword v42, off, s[0:3], 0 offset:116
	;; [unrolled: 1-line block ×8, first 2 shown]
	v_mov_b32_e32 v34, 0
	ds_read2_b64 v[35:38], v34 offset0:29 offset1:30
	ds_read_b64 v[39:40], v34 offset:248
	s_mov_b32 s4, exec_lo
	s_waitcnt vmcnt(7) lgkmcnt(1)
	v_mul_f32_e32 v49, v36, v41
	v_mul_f32_e32 v41, v35, v41
	s_waitcnt vmcnt(6)
	v_mul_f32_e32 v50, v37, v42
	v_mul_f32_e32 v42, v38, v42
	s_waitcnt vmcnt(5) lgkmcnt(0)
	v_mul_f32_e32 v51, v39, v43
	s_waitcnt vmcnt(4)
	v_fma_f32 v35, v35, v44, -v49
	v_fmac_f32_e32 v41, v36, v44
	v_mul_f32_e32 v36, v40, v43
	s_waitcnt vmcnt(3)
	v_fma_f32 v37, v37, v45, -v42
	v_fmac_f32_e32 v50, v38, v45
	v_add_f32_e32 v35, 0, v35
	v_add_f32_e32 v38, 0, v41
	s_waitcnt vmcnt(2)
	v_fma_f32 v36, v39, v46, -v36
	v_fmac_f32_e32 v51, v40, v46
	v_add_f32_e32 v35, v35, v37
	v_add_f32_e32 v37, v38, v50
	v_add_f32_e32 v35, v35, v36
	v_add_f32_e32 v36, v37, v51
	s_waitcnt vmcnt(1)
	v_sub_f32_e32 v35, v47, v35
	s_waitcnt vmcnt(0)
	v_sub_f32_e32 v36, v48, v36
	buffer_store_dword v35, off, s[0:3], 0 offset:96
	buffer_store_dword v36, off, s[0:3], 0 offset:100
	v_cmpx_lt_u32_e32 11, v0
	s_cbranch_execz .LBB15_87
; %bb.86:
	s_clause 0x1
	buffer_load_dword v35, off, s[0:3], 0 offset:88
	buffer_load_dword v36, off, s[0:3], 0 offset:92
	buffer_store_dword v34, off, s[0:3], 0 offset:88
	buffer_store_dword v34, off, s[0:3], 0 offset:92
	s_waitcnt vmcnt(0)
	ds_write_b64 v33, v[35:36]
.LBB15_87:
	s_or_b32 exec_lo, exec_lo, s4
	s_waitcnt lgkmcnt(0)
	s_waitcnt_vscnt null, 0x0
	s_barrier
	buffer_gl0_inv
	s_clause 0x9
	buffer_load_dword v43, off, s[0:3], 0 offset:100
	buffer_load_dword v44, off, s[0:3], 0 offset:108
	;; [unrolled: 1-line block ×10, first 2 shown]
	ds_read_b128 v[35:38], v34 offset:224
	ds_read_b128 v[39:42], v34 offset:240
	s_mov_b32 s4, exec_lo
	s_waitcnt vmcnt(9) lgkmcnt(1)
	v_mul_f32_e32 v34, v35, v43
	v_mul_f32_e32 v43, v36, v43
	s_waitcnt vmcnt(8)
	v_mul_f32_e32 v53, v37, v44
	v_mul_f32_e32 v44, v38, v44
	s_waitcnt vmcnt(7) lgkmcnt(0)
	v_mul_f32_e32 v54, v39, v45
	s_waitcnt vmcnt(5)
	v_fmac_f32_e32 v34, v36, v47
	v_fma_f32 v35, v35, v47, -v43
	v_mul_f32_e32 v36, v40, v45
	s_waitcnt vmcnt(4)
	v_fma_f32 v37, v37, v48, -v44
	v_fmac_f32_e32 v53, v38, v48
	v_add_f32_e32 v34, 0, v34
	v_add_f32_e32 v35, 0, v35
	v_mul_f32_e32 v38, v42, v46
	s_waitcnt vmcnt(3)
	v_fma_f32 v36, v39, v49, -v36
	v_mul_f32_e32 v55, v41, v46
	v_fmac_f32_e32 v54, v40, v49
	v_add_f32_e32 v35, v35, v37
	v_add_f32_e32 v34, v34, v53
	s_waitcnt vmcnt(2)
	v_fma_f32 v37, v41, v50, -v38
	v_fmac_f32_e32 v55, v42, v50
	v_add_f32_e32 v35, v35, v36
	v_add_f32_e32 v34, v34, v54
	;; [unrolled: 1-line block ×4, first 2 shown]
	s_waitcnt vmcnt(1)
	v_sub_f32_e32 v35, v51, v35
	s_waitcnt vmcnt(0)
	v_sub_f32_e32 v34, v52, v34
	buffer_store_dword v35, off, s[0:3], 0 offset:88
	buffer_store_dword v34, off, s[0:3], 0 offset:92
	v_cmpx_lt_u32_e32 10, v0
	s_cbranch_execz .LBB15_89
; %bb.88:
	s_clause 0x1
	buffer_load_dword v34, off, s[0:3], 0 offset:80
	buffer_load_dword v35, off, s[0:3], 0 offset:84
	v_mov_b32_e32 v36, 0
	buffer_store_dword v36, off, s[0:3], 0 offset:80
	buffer_store_dword v36, off, s[0:3], 0 offset:84
	s_waitcnt vmcnt(0)
	ds_write_b64 v33, v[34:35]
.LBB15_89:
	s_or_b32 exec_lo, exec_lo, s4
	s_waitcnt lgkmcnt(0)
	s_waitcnt_vscnt null, 0x0
	s_barrier
	buffer_gl0_inv
	s_clause 0xb
	buffer_load_dword v45, off, s[0:3], 0 offset:92
	buffer_load_dword v46, off, s[0:3], 0 offset:100
	buffer_load_dword v47, off, s[0:3], 0 offset:108
	buffer_load_dword v48, off, s[0:3], 0 offset:116
	buffer_load_dword v49, off, s[0:3], 0 offset:124
	buffer_load_dword v50, off, s[0:3], 0 offset:88
	buffer_load_dword v51, off, s[0:3], 0 offset:96
	buffer_load_dword v52, off, s[0:3], 0 offset:104
	buffer_load_dword v53, off, s[0:3], 0 offset:112
	buffer_load_dword v54, off, s[0:3], 0 offset:120
	buffer_load_dword v55, off, s[0:3], 0 offset:80
	buffer_load_dword v56, off, s[0:3], 0 offset:84
	v_mov_b32_e32 v34, 0
	ds_read2_b64 v[35:38], v34 offset0:27 offset1:28
	ds_read2_b64 v[39:42], v34 offset0:29 offset1:30
	ds_read_b64 v[43:44], v34 offset:248
	s_mov_b32 s4, exec_lo
	s_waitcnt vmcnt(11) lgkmcnt(2)
	v_mul_f32_e32 v57, v35, v45
	v_mul_f32_e32 v45, v36, v45
	s_waitcnt vmcnt(10)
	v_mul_f32_e32 v58, v37, v46
	v_mul_f32_e32 v46, v38, v46
	s_waitcnt vmcnt(9) lgkmcnt(1)
	v_mul_f32_e32 v59, v39, v47
	s_waitcnt vmcnt(6)
	v_fmac_f32_e32 v57, v36, v50
	v_fma_f32 v35, v35, v50, -v45
	v_mul_f32_e32 v36, v40, v47
	s_waitcnt vmcnt(5)
	v_fma_f32 v37, v37, v51, -v46
	v_fmac_f32_e32 v58, v38, v51
	v_add_f32_e32 v38, 0, v57
	v_add_f32_e32 v35, 0, v35
	v_mul_f32_e32 v45, v42, v48
	s_waitcnt vmcnt(4)
	v_fma_f32 v36, v39, v52, -v36
	v_mul_f32_e32 v60, v41, v48
	v_fmac_f32_e32 v59, v40, v52
	v_add_f32_e32 v35, v35, v37
	v_add_f32_e32 v37, v38, v58
	s_waitcnt lgkmcnt(0)
	v_mul_f32_e32 v38, v44, v49
	s_waitcnt vmcnt(3)
	v_fma_f32 v39, v41, v53, -v45
	v_mul_f32_e32 v61, v43, v49
	v_add_f32_e32 v35, v35, v36
	v_fmac_f32_e32 v60, v42, v53
	v_add_f32_e32 v36, v37, v59
	s_waitcnt vmcnt(2)
	v_fma_f32 v37, v43, v54, -v38
	v_fmac_f32_e32 v61, v44, v54
	v_add_f32_e32 v35, v35, v39
	v_add_f32_e32 v36, v36, v60
	v_add_f32_e32 v35, v35, v37
	v_add_f32_e32 v36, v36, v61
	s_waitcnt vmcnt(1)
	v_sub_f32_e32 v35, v55, v35
	s_waitcnt vmcnt(0)
	v_sub_f32_e32 v36, v56, v36
	buffer_store_dword v35, off, s[0:3], 0 offset:80
	buffer_store_dword v36, off, s[0:3], 0 offset:84
	v_cmpx_lt_u32_e32 9, v0
	s_cbranch_execz .LBB15_91
; %bb.90:
	s_clause 0x1
	buffer_load_dword v35, off, s[0:3], 0 offset:72
	buffer_load_dword v36, off, s[0:3], 0 offset:76
	buffer_store_dword v34, off, s[0:3], 0 offset:72
	buffer_store_dword v34, off, s[0:3], 0 offset:76
	s_waitcnt vmcnt(0)
	ds_write_b64 v33, v[35:36]
.LBB15_91:
	s_or_b32 exec_lo, exec_lo, s4
	s_waitcnt lgkmcnt(0)
	s_waitcnt_vscnt null, 0x0
	s_barrier
	buffer_gl0_inv
	s_clause 0xd
	buffer_load_dword v47, off, s[0:3], 0 offset:84
	buffer_load_dword v48, off, s[0:3], 0 offset:92
	;; [unrolled: 1-line block ×14, first 2 shown]
	ds_read_b128 v[35:38], v34 offset:208
	ds_read_b128 v[39:42], v34 offset:224
	;; [unrolled: 1-line block ×3, first 2 shown]
	s_mov_b32 s4, exec_lo
	s_waitcnt vmcnt(13) lgkmcnt(2)
	v_mul_f32_e32 v34, v35, v47
	v_mul_f32_e32 v47, v36, v47
	s_waitcnt vmcnt(12)
	v_mul_f32_e32 v61, v37, v48
	v_mul_f32_e32 v48, v38, v48
	s_waitcnt vmcnt(11) lgkmcnt(1)
	v_mul_f32_e32 v62, v39, v49
	s_waitcnt vmcnt(10)
	v_mul_f32_e32 v63, v41, v50
	s_waitcnt vmcnt(7)
	v_fma_f32 v35, v35, v53, -v47
	v_fmac_f32_e32 v34, v36, v53
	v_mul_f32_e32 v36, v40, v49
	s_waitcnt vmcnt(6)
	v_fma_f32 v37, v37, v54, -v48
	v_fmac_f32_e32 v61, v38, v54
	v_add_f32_e32 v35, 0, v35
	v_add_f32_e32 v34, 0, v34
	v_mul_f32_e32 v38, v42, v50
	s_waitcnt vmcnt(5)
	v_fma_f32 v36, v39, v55, -v36
	v_fmac_f32_e32 v62, v40, v55
	v_add_f32_e32 v35, v35, v37
	v_add_f32_e32 v34, v34, v61
	s_waitcnt lgkmcnt(0)
	v_mul_f32_e32 v37, v44, v51
	s_waitcnt vmcnt(4)
	v_fma_f32 v38, v41, v56, -v38
	v_mul_f32_e32 v64, v43, v51
	v_add_f32_e32 v35, v35, v36
	v_fmac_f32_e32 v63, v42, v56
	v_add_f32_e32 v34, v34, v62
	v_mul_f32_e32 v36, v46, v52
	s_waitcnt vmcnt(3)
	v_fma_f32 v37, v43, v57, -v37
	v_add_f32_e32 v35, v35, v38
	v_mul_f32_e32 v65, v45, v52
	v_fmac_f32_e32 v64, v44, v57
	v_add_f32_e32 v34, v34, v63
	s_waitcnt vmcnt(2)
	v_fma_f32 v36, v45, v58, -v36
	v_add_f32_e32 v35, v35, v37
	v_fmac_f32_e32 v65, v46, v58
	v_add_f32_e32 v34, v34, v64
	v_add_f32_e32 v35, v35, v36
	;; [unrolled: 1-line block ×3, first 2 shown]
	s_waitcnt vmcnt(1)
	v_sub_f32_e32 v35, v59, v35
	s_waitcnt vmcnt(0)
	v_sub_f32_e32 v34, v60, v34
	buffer_store_dword v35, off, s[0:3], 0 offset:72
	buffer_store_dword v34, off, s[0:3], 0 offset:76
	v_cmpx_lt_u32_e32 8, v0
	s_cbranch_execz .LBB15_93
; %bb.92:
	s_clause 0x1
	buffer_load_dword v34, off, s[0:3], 0 offset:64
	buffer_load_dword v35, off, s[0:3], 0 offset:68
	v_mov_b32_e32 v36, 0
	buffer_store_dword v36, off, s[0:3], 0 offset:64
	buffer_store_dword v36, off, s[0:3], 0 offset:68
	s_waitcnt vmcnt(0)
	ds_write_b64 v33, v[34:35]
.LBB15_93:
	s_or_b32 exec_lo, exec_lo, s4
	s_waitcnt lgkmcnt(0)
	s_waitcnt_vscnt null, 0x0
	s_barrier
	buffer_gl0_inv
	s_clause 0xf
	buffer_load_dword v49, off, s[0:3], 0 offset:76
	buffer_load_dword v50, off, s[0:3], 0 offset:84
	;; [unrolled: 1-line block ×16, first 2 shown]
	v_mov_b32_e32 v34, 0
	ds_read2_b64 v[35:38], v34 offset0:25 offset1:26
	ds_read2_b64 v[39:42], v34 offset0:27 offset1:28
	ds_read2_b64 v[43:46], v34 offset0:29 offset1:30
	ds_read_b64 v[47:48], v34 offset:248
	s_mov_b32 s4, exec_lo
	s_waitcnt vmcnt(15) lgkmcnt(3)
	v_mul_f32_e32 v65, v35, v49
	v_mul_f32_e32 v49, v36, v49
	s_waitcnt vmcnt(14)
	v_mul_f32_e32 v66, v37, v50
	v_mul_f32_e32 v50, v38, v50
	s_waitcnt vmcnt(13) lgkmcnt(2)
	v_mul_f32_e32 v67, v39, v51
	s_waitcnt vmcnt(12)
	v_mul_f32_e32 v68, v41, v52
	s_waitcnt vmcnt(11) lgkmcnt(1)
	v_mul_f32_e32 v69, v43, v53
	s_waitcnt vmcnt(8)
	v_fma_f32 v35, v35, v56, -v49
	v_fmac_f32_e32 v65, v36, v56
	v_mul_f32_e32 v36, v40, v51
	s_waitcnt vmcnt(7)
	v_fma_f32 v37, v37, v57, -v50
	v_fmac_f32_e32 v66, v38, v57
	v_add_f32_e32 v35, 0, v35
	v_add_f32_e32 v38, 0, v65
	v_mul_f32_e32 v49, v42, v52
	s_waitcnt vmcnt(6)
	v_fma_f32 v36, v39, v58, -v36
	v_fmac_f32_e32 v67, v40, v58
	v_add_f32_e32 v35, v35, v37
	v_add_f32_e32 v37, v38, v66
	;; [unrolled: 6-line block ×3, first 2 shown]
	v_mul_f32_e32 v37, v46, v54
	s_waitcnt vmcnt(4)
	v_fma_f32 v38, v43, v60, -v38
	v_mul_f32_e32 v70, v45, v54
	v_add_f32_e32 v35, v35, v39
	v_fmac_f32_e32 v69, v44, v60
	v_add_f32_e32 v36, v36, v68
	s_waitcnt lgkmcnt(0)
	v_mul_f32_e32 v39, v48, v55
	s_waitcnt vmcnt(3)
	v_fma_f32 v37, v45, v61, -v37
	v_add_f32_e32 v35, v35, v38
	v_mul_f32_e32 v71, v47, v55
	v_fmac_f32_e32 v70, v46, v61
	v_add_f32_e32 v36, v36, v69
	s_waitcnt vmcnt(2)
	v_fma_f32 v38, v47, v62, -v39
	v_add_f32_e32 v35, v35, v37
	v_fmac_f32_e32 v71, v48, v62
	v_add_f32_e32 v36, v36, v70
	v_add_f32_e32 v35, v35, v38
	;; [unrolled: 1-line block ×3, first 2 shown]
	s_waitcnt vmcnt(1)
	v_sub_f32_e32 v35, v63, v35
	s_waitcnt vmcnt(0)
	v_sub_f32_e32 v36, v64, v36
	buffer_store_dword v35, off, s[0:3], 0 offset:64
	buffer_store_dword v36, off, s[0:3], 0 offset:68
	v_cmpx_lt_u32_e32 7, v0
	s_cbranch_execz .LBB15_95
; %bb.94:
	s_clause 0x1
	buffer_load_dword v35, off, s[0:3], 0 offset:56
	buffer_load_dword v36, off, s[0:3], 0 offset:60
	buffer_store_dword v34, off, s[0:3], 0 offset:56
	buffer_store_dword v34, off, s[0:3], 0 offset:60
	s_waitcnt vmcnt(0)
	ds_write_b64 v33, v[35:36]
.LBB15_95:
	s_or_b32 exec_lo, exec_lo, s4
	s_waitcnt lgkmcnt(0)
	s_waitcnt_vscnt null, 0x0
	s_barrier
	buffer_gl0_inv
	s_clause 0x11
	buffer_load_dword v51, off, s[0:3], 0 offset:68
	buffer_load_dword v52, off, s[0:3], 0 offset:76
	;; [unrolled: 1-line block ×18, first 2 shown]
	ds_read_b128 v[35:38], v34 offset:192
	ds_read_b128 v[39:42], v34 offset:208
	;; [unrolled: 1-line block ×4, first 2 shown]
	s_mov_b32 s4, exec_lo
	s_waitcnt vmcnt(17) lgkmcnt(3)
	v_mul_f32_e32 v34, v35, v51
	v_mul_f32_e32 v51, v36, v51
	s_waitcnt vmcnt(16)
	v_mul_f32_e32 v69, v37, v52
	v_mul_f32_e32 v52, v38, v52
	s_waitcnt vmcnt(15) lgkmcnt(2)
	v_mul_f32_e32 v70, v39, v53
	s_waitcnt vmcnt(14)
	v_mul_f32_e32 v71, v41, v54
	s_waitcnt vmcnt(13) lgkmcnt(1)
	v_mul_f32_e32 v72, v43, v55
	s_waitcnt vmcnt(12)
	v_mul_f32_e32 v73, v45, v56
	s_waitcnt vmcnt(9)
	v_fma_f32 v35, v35, v59, -v51
	v_fmac_f32_e32 v34, v36, v59
	v_mul_f32_e32 v36, v40, v53
	s_waitcnt vmcnt(8)
	v_fma_f32 v37, v37, v60, -v52
	v_fmac_f32_e32 v69, v38, v60
	v_add_f32_e32 v35, 0, v35
	v_add_f32_e32 v34, 0, v34
	v_mul_f32_e32 v38, v42, v54
	s_waitcnt vmcnt(7)
	v_fma_f32 v36, v39, v61, -v36
	v_fmac_f32_e32 v70, v40, v61
	v_add_f32_e32 v35, v35, v37
	v_add_f32_e32 v34, v34, v69
	;; [unrolled: 6-line block ×4, first 2 shown]
	s_waitcnt lgkmcnt(0)
	v_mul_f32_e32 v38, v48, v57
	s_waitcnt vmcnt(4)
	v_fma_f32 v36, v45, v64, -v36
	v_mul_f32_e32 v74, v47, v57
	v_add_f32_e32 v35, v35, v37
	v_fmac_f32_e32 v73, v46, v64
	v_add_f32_e32 v34, v34, v72
	v_mul_f32_e32 v37, v50, v58
	s_waitcnt vmcnt(3)
	v_fma_f32 v38, v47, v65, -v38
	v_add_f32_e32 v35, v35, v36
	v_mul_f32_e32 v75, v49, v58
	v_fmac_f32_e32 v74, v48, v65
	v_add_f32_e32 v34, v34, v73
	s_waitcnt vmcnt(2)
	v_fma_f32 v36, v49, v66, -v37
	v_add_f32_e32 v35, v35, v38
	v_fmac_f32_e32 v75, v50, v66
	v_add_f32_e32 v34, v34, v74
	v_add_f32_e32 v35, v35, v36
	;; [unrolled: 1-line block ×3, first 2 shown]
	s_waitcnt vmcnt(1)
	v_sub_f32_e32 v35, v67, v35
	s_waitcnt vmcnt(0)
	v_sub_f32_e32 v34, v68, v34
	buffer_store_dword v35, off, s[0:3], 0 offset:56
	buffer_store_dword v34, off, s[0:3], 0 offset:60
	v_cmpx_lt_u32_e32 6, v0
	s_cbranch_execz .LBB15_97
; %bb.96:
	s_clause 0x1
	buffer_load_dword v34, off, s[0:3], 0 offset:48
	buffer_load_dword v35, off, s[0:3], 0 offset:52
	v_mov_b32_e32 v36, 0
	buffer_store_dword v36, off, s[0:3], 0 offset:48
	buffer_store_dword v36, off, s[0:3], 0 offset:52
	s_waitcnt vmcnt(0)
	ds_write_b64 v33, v[34:35]
.LBB15_97:
	s_or_b32 exec_lo, exec_lo, s4
	s_waitcnt lgkmcnt(0)
	s_waitcnt_vscnt null, 0x0
	s_barrier
	buffer_gl0_inv
	s_clause 0x13
	buffer_load_dword v53, off, s[0:3], 0 offset:60
	buffer_load_dword v54, off, s[0:3], 0 offset:68
	;; [unrolled: 1-line block ×20, first 2 shown]
	v_mov_b32_e32 v34, 0
	ds_read2_b64 v[35:38], v34 offset0:23 offset1:24
	ds_read2_b64 v[39:42], v34 offset0:25 offset1:26
	ds_read2_b64 v[43:46], v34 offset0:27 offset1:28
	ds_read2_b64 v[47:50], v34 offset0:29 offset1:30
	ds_read_b64 v[51:52], v34 offset:248
	s_mov_b32 s4, exec_lo
	s_waitcnt vmcnt(19) lgkmcnt(4)
	v_mul_f32_e32 v73, v35, v53
	v_mul_f32_e32 v53, v36, v53
	s_waitcnt vmcnt(18)
	v_mul_f32_e32 v74, v37, v54
	v_mul_f32_e32 v54, v38, v54
	s_waitcnt vmcnt(17) lgkmcnt(3)
	v_mul_f32_e32 v75, v39, v55
	s_waitcnt vmcnt(16)
	v_mul_f32_e32 v76, v41, v56
	s_waitcnt vmcnt(15) lgkmcnt(2)
	v_mul_f32_e32 v77, v43, v57
	s_waitcnt vmcnt(14)
	;; [unrolled: 4-line block ×3, first 2 shown]
	v_fma_f32 v35, v35, v62, -v53
	v_fmac_f32_e32 v73, v36, v62
	v_mul_f32_e32 v36, v40, v55
	s_waitcnt vmcnt(9)
	v_fma_f32 v37, v37, v63, -v54
	v_fmac_f32_e32 v74, v38, v63
	v_add_f32_e32 v35, 0, v35
	v_add_f32_e32 v38, 0, v73
	v_mul_f32_e32 v53, v42, v56
	s_waitcnt vmcnt(8)
	v_fma_f32 v36, v39, v64, -v36
	v_fmac_f32_e32 v75, v40, v64
	v_add_f32_e32 v35, v35, v37
	v_add_f32_e32 v37, v38, v74
	;; [unrolled: 6-line block ×5, first 2 shown]
	v_mul_f32_e32 v38, v50, v60
	s_waitcnt vmcnt(4)
	v_fma_f32 v39, v47, v68, -v39
	v_mul_f32_e32 v80, v49, v60
	v_add_f32_e32 v35, v35, v37
	v_fmac_f32_e32 v79, v48, v68
	v_add_f32_e32 v36, v36, v78
	s_waitcnt lgkmcnt(0)
	v_mul_f32_e32 v37, v52, v61
	s_waitcnt vmcnt(3)
	v_fma_f32 v38, v49, v69, -v38
	v_add_f32_e32 v35, v35, v39
	v_mul_f32_e32 v81, v51, v61
	v_fmac_f32_e32 v80, v50, v69
	v_add_f32_e32 v36, v36, v79
	s_waitcnt vmcnt(2)
	v_fma_f32 v37, v51, v70, -v37
	v_add_f32_e32 v35, v35, v38
	v_fmac_f32_e32 v81, v52, v70
	v_add_f32_e32 v36, v36, v80
	v_add_f32_e32 v35, v35, v37
	;; [unrolled: 1-line block ×3, first 2 shown]
	s_waitcnt vmcnt(1)
	v_sub_f32_e32 v35, v71, v35
	s_waitcnt vmcnt(0)
	v_sub_f32_e32 v36, v72, v36
	buffer_store_dword v35, off, s[0:3], 0 offset:48
	buffer_store_dword v36, off, s[0:3], 0 offset:52
	v_cmpx_lt_u32_e32 5, v0
	s_cbranch_execz .LBB15_99
; %bb.98:
	s_clause 0x1
	buffer_load_dword v35, off, s[0:3], 0 offset:40
	buffer_load_dword v36, off, s[0:3], 0 offset:44
	buffer_store_dword v34, off, s[0:3], 0 offset:40
	buffer_store_dword v34, off, s[0:3], 0 offset:44
	s_waitcnt vmcnt(0)
	ds_write_b64 v33, v[35:36]
.LBB15_99:
	s_or_b32 exec_lo, exec_lo, s4
	s_waitcnt lgkmcnt(0)
	s_waitcnt_vscnt null, 0x0
	s_barrier
	buffer_gl0_inv
	s_clause 0x15
	buffer_load_dword v55, off, s[0:3], 0 offset:52
	buffer_load_dword v56, off, s[0:3], 0 offset:60
	;; [unrolled: 1-line block ×22, first 2 shown]
	ds_read_b128 v[35:38], v34 offset:176
	ds_read_b128 v[39:42], v34 offset:192
	;; [unrolled: 1-line block ×5, first 2 shown]
	s_mov_b32 s4, exec_lo
	s_waitcnt vmcnt(21) lgkmcnt(4)
	v_mul_f32_e32 v34, v35, v55
	v_mul_f32_e32 v55, v36, v55
	s_waitcnt vmcnt(20)
	v_mul_f32_e32 v77, v37, v56
	v_mul_f32_e32 v56, v38, v56
	s_waitcnt vmcnt(19) lgkmcnt(3)
	v_mul_f32_e32 v78, v39, v57
	s_waitcnt vmcnt(18)
	v_mul_f32_e32 v79, v41, v58
	s_waitcnt vmcnt(17) lgkmcnt(2)
	v_mul_f32_e32 v80, v43, v59
	s_waitcnt vmcnt(16)
	;; [unrolled: 4-line block ×3, first 2 shown]
	v_mul_f32_e32 v83, v49, v62
	s_waitcnt vmcnt(11)
	v_fma_f32 v35, v35, v65, -v55
	v_fmac_f32_e32 v34, v36, v65
	v_mul_f32_e32 v36, v40, v57
	s_waitcnt vmcnt(10)
	v_fma_f32 v37, v37, v66, -v56
	v_fmac_f32_e32 v77, v38, v66
	v_add_f32_e32 v35, 0, v35
	v_add_f32_e32 v34, 0, v34
	v_mul_f32_e32 v38, v42, v58
	s_waitcnt vmcnt(9)
	v_fma_f32 v36, v39, v67, -v36
	v_fmac_f32_e32 v78, v40, v67
	v_add_f32_e32 v35, v35, v37
	v_add_f32_e32 v34, v34, v77
	;; [unrolled: 6-line block ×6, first 2 shown]
	s_waitcnt lgkmcnt(0)
	v_mul_f32_e32 v36, v52, v63
	s_waitcnt vmcnt(4)
	v_fma_f32 v37, v49, v72, -v37
	v_mul_f32_e32 v84, v51, v63
	v_add_f32_e32 v35, v35, v38
	v_fmac_f32_e32 v83, v50, v72
	v_add_f32_e32 v34, v34, v82
	v_mul_f32_e32 v38, v54, v64
	s_waitcnt vmcnt(3)
	v_fma_f32 v36, v51, v73, -v36
	v_add_f32_e32 v35, v35, v37
	v_mul_f32_e32 v85, v53, v64
	v_fmac_f32_e32 v84, v52, v73
	v_add_f32_e32 v34, v34, v83
	s_waitcnt vmcnt(2)
	v_fma_f32 v37, v53, v74, -v38
	v_add_f32_e32 v35, v35, v36
	v_fmac_f32_e32 v85, v54, v74
	v_add_f32_e32 v34, v34, v84
	v_add_f32_e32 v35, v35, v37
	v_add_f32_e32 v34, v34, v85
	s_waitcnt vmcnt(1)
	v_sub_f32_e32 v35, v75, v35
	s_waitcnt vmcnt(0)
	v_sub_f32_e32 v34, v76, v34
	buffer_store_dword v35, off, s[0:3], 0 offset:40
	buffer_store_dword v34, off, s[0:3], 0 offset:44
	v_cmpx_lt_u32_e32 4, v0
	s_cbranch_execz .LBB15_101
; %bb.100:
	s_clause 0x1
	buffer_load_dword v34, off, s[0:3], 0 offset:32
	buffer_load_dword v35, off, s[0:3], 0 offset:36
	v_mov_b32_e32 v36, 0
	buffer_store_dword v36, off, s[0:3], 0 offset:32
	buffer_store_dword v36, off, s[0:3], 0 offset:36
	s_waitcnt vmcnt(0)
	ds_write_b64 v33, v[34:35]
.LBB15_101:
	s_or_b32 exec_lo, exec_lo, s4
	s_waitcnt lgkmcnt(0)
	s_waitcnt_vscnt null, 0x0
	s_barrier
	buffer_gl0_inv
	s_clause 0x17
	buffer_load_dword v57, off, s[0:3], 0 offset:44
	buffer_load_dword v58, off, s[0:3], 0 offset:52
	;; [unrolled: 1-line block ×24, first 2 shown]
	v_mov_b32_e32 v34, 0
	ds_read2_b64 v[35:38], v34 offset0:21 offset1:22
	ds_read2_b64 v[39:42], v34 offset0:23 offset1:24
	;; [unrolled: 1-line block ×5, first 2 shown]
	ds_read_b64 v[55:56], v34 offset:248
	s_mov_b32 s4, exec_lo
	s_waitcnt vmcnt(23) lgkmcnt(5)
	v_mul_f32_e32 v81, v35, v57
	v_mul_f32_e32 v57, v36, v57
	s_waitcnt vmcnt(22)
	v_mul_f32_e32 v82, v37, v58
	v_mul_f32_e32 v58, v38, v58
	s_waitcnt vmcnt(21) lgkmcnt(4)
	v_mul_f32_e32 v83, v39, v59
	s_waitcnt vmcnt(20)
	v_mul_f32_e32 v84, v41, v60
	s_waitcnt vmcnt(19) lgkmcnt(3)
	v_mul_f32_e32 v85, v43, v61
	s_waitcnt vmcnt(18)
	;; [unrolled: 4-line block ×4, first 2 shown]
	v_fma_f32 v35, v35, v68, -v57
	v_fmac_f32_e32 v81, v36, v68
	v_mul_f32_e32 v36, v40, v59
	s_waitcnt vmcnt(11)
	v_fma_f32 v37, v37, v69, -v58
	v_fmac_f32_e32 v82, v38, v69
	v_add_f32_e32 v35, 0, v35
	v_add_f32_e32 v38, 0, v81
	v_mul_f32_e32 v57, v42, v60
	s_waitcnt vmcnt(10)
	v_fma_f32 v36, v39, v70, -v36
	v_fmac_f32_e32 v83, v40, v70
	v_add_f32_e32 v35, v35, v37
	v_add_f32_e32 v37, v38, v82
	;; [unrolled: 6-line block ×7, first 2 shown]
	v_mul_f32_e32 v39, v54, v66
	s_waitcnt vmcnt(4)
	v_fma_f32 v37, v51, v76, -v37
	v_mul_f32_e32 v90, v53, v66
	v_add_f32_e32 v35, v35, v38
	v_fmac_f32_e32 v89, v52, v76
	v_add_f32_e32 v36, v36, v88
	s_waitcnt lgkmcnt(0)
	v_mul_f32_e32 v38, v56, v67
	s_waitcnt vmcnt(3)
	v_fma_f32 v39, v53, v77, -v39
	v_add_f32_e32 v35, v35, v37
	v_mul_f32_e32 v91, v55, v67
	v_fmac_f32_e32 v90, v54, v77
	v_add_f32_e32 v36, v36, v89
	s_waitcnt vmcnt(2)
	v_fma_f32 v37, v55, v78, -v38
	v_add_f32_e32 v35, v35, v39
	v_fmac_f32_e32 v91, v56, v78
	v_add_f32_e32 v36, v36, v90
	v_add_f32_e32 v35, v35, v37
	;; [unrolled: 1-line block ×3, first 2 shown]
	s_waitcnt vmcnt(1)
	v_sub_f32_e32 v35, v79, v35
	s_waitcnt vmcnt(0)
	v_sub_f32_e32 v36, v80, v36
	buffer_store_dword v35, off, s[0:3], 0 offset:32
	buffer_store_dword v36, off, s[0:3], 0 offset:36
	v_cmpx_lt_u32_e32 3, v0
	s_cbranch_execz .LBB15_103
; %bb.102:
	s_clause 0x1
	buffer_load_dword v35, off, s[0:3], 0 offset:24
	buffer_load_dword v36, off, s[0:3], 0 offset:28
	buffer_store_dword v34, off, s[0:3], 0 offset:24
	buffer_store_dword v34, off, s[0:3], 0 offset:28
	s_waitcnt vmcnt(0)
	ds_write_b64 v33, v[35:36]
.LBB15_103:
	s_or_b32 exec_lo, exec_lo, s4
	s_waitcnt lgkmcnt(0)
	s_waitcnt_vscnt null, 0x0
	s_barrier
	buffer_gl0_inv
	s_clause 0x19
	buffer_load_dword v59, off, s[0:3], 0 offset:36
	buffer_load_dword v60, off, s[0:3], 0 offset:44
	;; [unrolled: 1-line block ×26, first 2 shown]
	ds_read_b128 v[35:38], v34 offset:160
	ds_read_b128 v[39:42], v34 offset:176
	;; [unrolled: 1-line block ×6, first 2 shown]
	s_mov_b32 s4, exec_lo
	s_waitcnt vmcnt(25) lgkmcnt(5)
	v_mul_f32_e32 v34, v35, v59
	v_mul_f32_e32 v59, v36, v59
	s_waitcnt vmcnt(24)
	v_mul_f32_e32 v85, v37, v60
	v_mul_f32_e32 v60, v38, v60
	s_waitcnt vmcnt(23) lgkmcnt(4)
	v_mul_f32_e32 v86, v39, v61
	s_waitcnt vmcnt(22)
	v_mul_f32_e32 v87, v41, v62
	s_waitcnt vmcnt(21) lgkmcnt(3)
	v_mul_f32_e32 v88, v43, v63
	s_waitcnt vmcnt(20)
	;; [unrolled: 4-line block ×4, first 2 shown]
	v_mul_f32_e32 v93, v53, v68
	s_waitcnt vmcnt(13)
	v_fma_f32 v35, v35, v71, -v59
	v_fmac_f32_e32 v34, v36, v71
	v_mul_f32_e32 v36, v40, v61
	s_waitcnt vmcnt(12)
	v_fma_f32 v37, v37, v72, -v60
	v_fmac_f32_e32 v85, v38, v72
	v_add_f32_e32 v35, 0, v35
	v_add_f32_e32 v34, 0, v34
	v_mul_f32_e32 v38, v42, v62
	s_waitcnt vmcnt(11)
	v_fma_f32 v36, v39, v73, -v36
	v_fmac_f32_e32 v86, v40, v73
	v_add_f32_e32 v35, v35, v37
	v_add_f32_e32 v34, v34, v85
	;; [unrolled: 6-line block ×8, first 2 shown]
	s_waitcnt lgkmcnt(0)
	v_mul_f32_e32 v37, v56, v69
	s_waitcnt vmcnt(4)
	v_fma_f32 v38, v53, v80, -v38
	v_mul_f32_e32 v94, v55, v69
	v_add_f32_e32 v35, v35, v36
	v_fmac_f32_e32 v93, v54, v80
	v_add_f32_e32 v34, v34, v92
	v_mul_f32_e32 v36, v58, v70
	s_waitcnt vmcnt(3)
	v_fma_f32 v37, v55, v81, -v37
	v_add_f32_e32 v35, v35, v38
	v_mul_f32_e32 v95, v57, v70
	v_fmac_f32_e32 v94, v56, v81
	v_add_f32_e32 v34, v34, v93
	s_waitcnt vmcnt(2)
	v_fma_f32 v36, v57, v82, -v36
	v_add_f32_e32 v35, v35, v37
	v_fmac_f32_e32 v95, v58, v82
	v_add_f32_e32 v34, v34, v94
	v_add_f32_e32 v35, v35, v36
	;; [unrolled: 1-line block ×3, first 2 shown]
	s_waitcnt vmcnt(1)
	v_sub_f32_e32 v35, v83, v35
	s_waitcnt vmcnt(0)
	v_sub_f32_e32 v34, v84, v34
	buffer_store_dword v35, off, s[0:3], 0 offset:24
	buffer_store_dword v34, off, s[0:3], 0 offset:28
	v_cmpx_lt_u32_e32 2, v0
	s_cbranch_execz .LBB15_105
; %bb.104:
	s_clause 0x1
	buffer_load_dword v34, off, s[0:3], 0 offset:16
	buffer_load_dword v35, off, s[0:3], 0 offset:20
	v_mov_b32_e32 v36, 0
	buffer_store_dword v36, off, s[0:3], 0 offset:16
	buffer_store_dword v36, off, s[0:3], 0 offset:20
	s_waitcnt vmcnt(0)
	ds_write_b64 v33, v[34:35]
.LBB15_105:
	s_or_b32 exec_lo, exec_lo, s4
	s_waitcnt lgkmcnt(0)
	s_waitcnt_vscnt null, 0x0
	s_barrier
	buffer_gl0_inv
	s_clause 0x1b
	buffer_load_dword v61, off, s[0:3], 0 offset:28
	buffer_load_dword v62, off, s[0:3], 0 offset:36
	;; [unrolled: 1-line block ×28, first 2 shown]
	v_mov_b32_e32 v34, 0
	ds_read2_b64 v[35:38], v34 offset0:19 offset1:20
	ds_read2_b64 v[39:42], v34 offset0:21 offset1:22
	;; [unrolled: 1-line block ×6, first 2 shown]
	ds_read_b64 v[59:60], v34 offset:248
	s_mov_b32 s4, exec_lo
	s_waitcnt vmcnt(27) lgkmcnt(6)
	v_mul_f32_e32 v89, v35, v61
	v_mul_f32_e32 v61, v36, v61
	s_waitcnt vmcnt(26)
	v_mul_f32_e32 v90, v37, v62
	v_mul_f32_e32 v62, v38, v62
	s_waitcnt vmcnt(25) lgkmcnt(5)
	v_mul_f32_e32 v91, v39, v63
	s_waitcnt vmcnt(24)
	v_mul_f32_e32 v92, v41, v64
	s_waitcnt vmcnt(23) lgkmcnt(4)
	v_mul_f32_e32 v93, v43, v65
	s_waitcnt vmcnt(22)
	;; [unrolled: 4-line block ×5, first 2 shown]
	v_fma_f32 v35, v35, v74, -v61
	v_fmac_f32_e32 v89, v36, v74
	v_mul_f32_e32 v36, v40, v63
	s_waitcnt vmcnt(13)
	v_fma_f32 v37, v37, v75, -v62
	v_fmac_f32_e32 v90, v38, v75
	v_add_f32_e32 v35, 0, v35
	v_add_f32_e32 v38, 0, v89
	v_mul_f32_e32 v61, v42, v64
	s_waitcnt vmcnt(12)
	v_fma_f32 v36, v39, v76, -v36
	v_fmac_f32_e32 v91, v40, v76
	v_add_f32_e32 v35, v35, v37
	v_add_f32_e32 v37, v38, v90
	;; [unrolled: 6-line block ×9, first 2 shown]
	v_mul_f32_e32 v37, v58, v72
	s_waitcnt vmcnt(4)
	v_fma_f32 v38, v55, v84, -v38
	v_mul_f32_e32 v100, v57, v72
	v_add_f32_e32 v35, v35, v39
	v_fmac_f32_e32 v99, v56, v84
	v_add_f32_e32 v36, v36, v98
	s_waitcnt lgkmcnt(0)
	v_mul_f32_e32 v39, v60, v73
	s_waitcnt vmcnt(3)
	v_fma_f32 v37, v57, v85, -v37
	v_add_f32_e32 v35, v35, v38
	v_mul_f32_e32 v101, v59, v73
	v_fmac_f32_e32 v100, v58, v85
	v_add_f32_e32 v36, v36, v99
	s_waitcnt vmcnt(2)
	v_fma_f32 v38, v59, v86, -v39
	v_add_f32_e32 v35, v35, v37
	v_fmac_f32_e32 v101, v60, v86
	v_add_f32_e32 v36, v36, v100
	v_add_f32_e32 v35, v35, v38
	;; [unrolled: 1-line block ×3, first 2 shown]
	s_waitcnt vmcnt(1)
	v_sub_f32_e32 v35, v87, v35
	s_waitcnt vmcnt(0)
	v_sub_f32_e32 v36, v88, v36
	buffer_store_dword v35, off, s[0:3], 0 offset:16
	buffer_store_dword v36, off, s[0:3], 0 offset:20
	v_cmpx_lt_u32_e32 1, v0
	s_cbranch_execz .LBB15_107
; %bb.106:
	s_clause 0x1
	buffer_load_dword v35, off, s[0:3], 0 offset:8
	buffer_load_dword v36, off, s[0:3], 0 offset:12
	buffer_store_dword v34, off, s[0:3], 0 offset:8
	buffer_store_dword v34, off, s[0:3], 0 offset:12
	s_waitcnt vmcnt(0)
	ds_write_b64 v33, v[35:36]
.LBB15_107:
	s_or_b32 exec_lo, exec_lo, s4
	s_waitcnt lgkmcnt(0)
	s_waitcnt_vscnt null, 0x0
	s_barrier
	buffer_gl0_inv
	s_clause 0x1d
	buffer_load_dword v63, off, s[0:3], 0 offset:20
	buffer_load_dword v64, off, s[0:3], 0 offset:28
	;; [unrolled: 1-line block ×30, first 2 shown]
	ds_read_b128 v[35:38], v34 offset:144
	ds_read_b128 v[39:42], v34 offset:160
	;; [unrolled: 1-line block ×7, first 2 shown]
	s_mov_b32 s4, exec_lo
	s_waitcnt vmcnt(29) lgkmcnt(6)
	v_mul_f32_e32 v34, v35, v63
	v_mul_f32_e32 v63, v36, v63
	s_waitcnt vmcnt(28)
	v_mul_f32_e32 v93, v37, v64
	v_mul_f32_e32 v64, v38, v64
	s_waitcnt vmcnt(27) lgkmcnt(5)
	v_mul_f32_e32 v94, v39, v65
	s_waitcnt vmcnt(26)
	v_mul_f32_e32 v95, v41, v66
	s_waitcnt vmcnt(25) lgkmcnt(4)
	v_mul_f32_e32 v96, v43, v67
	s_waitcnt vmcnt(24)
	;; [unrolled: 4-line block ×5, first 2 shown]
	v_mul_f32_e32 v103, v57, v74
	s_waitcnt vmcnt(15)
	v_fma_f32 v35, v35, v77, -v63
	v_fmac_f32_e32 v34, v36, v77
	v_mul_f32_e32 v36, v40, v65
	s_waitcnt vmcnt(14)
	v_fma_f32 v37, v37, v78, -v64
	v_fmac_f32_e32 v93, v38, v78
	v_add_f32_e32 v35, 0, v35
	v_add_f32_e32 v34, 0, v34
	v_mul_f32_e32 v38, v42, v66
	s_waitcnt vmcnt(13)
	v_fma_f32 v36, v39, v79, -v36
	v_fmac_f32_e32 v94, v40, v79
	v_add_f32_e32 v35, v35, v37
	v_add_f32_e32 v34, v34, v93
	;; [unrolled: 6-line block ×10, first 2 shown]
	s_waitcnt lgkmcnt(0)
	v_mul_f32_e32 v38, v60, v75
	s_waitcnt vmcnt(4)
	v_fma_f32 v36, v57, v88, -v36
	v_mul_f32_e32 v104, v59, v75
	v_add_f32_e32 v35, v35, v37
	v_fmac_f32_e32 v103, v58, v88
	v_add_f32_e32 v34, v34, v102
	v_mul_f32_e32 v37, v62, v76
	s_waitcnt vmcnt(3)
	v_fma_f32 v38, v59, v89, -v38
	v_add_f32_e32 v35, v35, v36
	v_mul_f32_e32 v105, v61, v76
	v_fmac_f32_e32 v104, v60, v89
	v_add_f32_e32 v34, v34, v103
	s_waitcnt vmcnt(2)
	v_fma_f32 v36, v61, v90, -v37
	v_add_f32_e32 v35, v35, v38
	v_fmac_f32_e32 v105, v62, v90
	v_add_f32_e32 v34, v34, v104
	v_add_f32_e32 v35, v35, v36
	;; [unrolled: 1-line block ×3, first 2 shown]
	s_waitcnt vmcnt(1)
	v_sub_f32_e32 v35, v91, v35
	s_waitcnt vmcnt(0)
	v_sub_f32_e32 v34, v92, v34
	buffer_store_dword v35, off, s[0:3], 0 offset:8
	buffer_store_dword v34, off, s[0:3], 0 offset:12
	v_cmpx_ne_u32_e32 0, v0
	s_cbranch_execz .LBB15_109
; %bb.108:
	s_clause 0x1
	buffer_load_dword v34, off, s[0:3], 0
	buffer_load_dword v35, off, s[0:3], 0 offset:4
	v_mov_b32_e32 v0, 0
	buffer_store_dword v0, off, s[0:3], 0
	buffer_store_dword v0, off, s[0:3], 0 offset:4
	s_waitcnt vmcnt(0)
	ds_write_b64 v33, v[34:35]
.LBB15_109:
	s_or_b32 exec_lo, exec_lo, s4
	s_waitcnt lgkmcnt(0)
	s_waitcnt_vscnt null, 0x0
	s_barrier
	buffer_gl0_inv
	s_clause 0x1f
	buffer_load_dword v65, off, s[0:3], 0 offset:12
	buffer_load_dword v66, off, s[0:3], 0 offset:20
	;; [unrolled: 1-line block ×30, first 2 shown]
	buffer_load_dword v93, off, s[0:3], 0
	buffer_load_dword v94, off, s[0:3], 0 offset:4
	v_mov_b32_e32 v34, 0
	ds_read2_b64 v[35:38], v34 offset0:17 offset1:18
	ds_read2_b64 v[39:42], v34 offset0:19 offset1:20
	;; [unrolled: 1-line block ×7, first 2 shown]
	ds_read_b64 v[63:64], v34 offset:248
	s_and_b32 vcc_lo, exec_lo, s22
	s_waitcnt vmcnt(31) lgkmcnt(7)
	v_mul_f32_e32 v95, v35, v65
	v_mul_f32_e32 v65, v36, v65
	s_waitcnt vmcnt(30)
	v_mul_f32_e32 v96, v37, v66
	v_mul_f32_e32 v66, v38, v66
	s_waitcnt vmcnt(29) lgkmcnt(6)
	v_mul_f32_e32 v97, v39, v67
	s_waitcnt vmcnt(28)
	v_mul_f32_e32 v98, v41, v68
	s_waitcnt vmcnt(27) lgkmcnt(5)
	v_mul_f32_e32 v99, v43, v69
	s_waitcnt vmcnt(26)
	;; [unrolled: 4-line block ×6, first 2 shown]
	v_fma_f32 v35, v35, v79, -v65
	v_fmac_f32_e32 v95, v36, v79
	v_mul_f32_e32 v36, v40, v67
	s_waitcnt vmcnt(15)
	v_fma_f32 v37, v37, v80, -v66
	v_fmac_f32_e32 v96, v38, v80
	v_add_f32_e32 v35, 0, v35
	v_add_f32_e32 v38, 0, v95
	v_mul_f32_e32 v65, v42, v68
	s_waitcnt vmcnt(14)
	v_fma_f32 v36, v39, v81, -v36
	v_fmac_f32_e32 v97, v40, v81
	v_add_f32_e32 v35, v35, v37
	v_add_f32_e32 v37, v38, v96
	;; [unrolled: 6-line block ×11, first 2 shown]
	v_mul_f32_e32 v38, v62, v0
	s_waitcnt vmcnt(4)
	v_fma_f32 v39, v59, v91, -v39
	v_mul_f32_e32 v108, v61, v0
	v_add_f32_e32 v35, v35, v37
	v_fmac_f32_e32 v107, v60, v91
	v_add_f32_e32 v36, v36, v106
	s_waitcnt lgkmcnt(0)
	v_mul_f32_e32 v37, v64, v78
	s_waitcnt vmcnt(2)
	v_fma_f32 v38, v61, v33, -v38
	v_add_f32_e32 v35, v35, v39
	v_mul_f32_e32 v109, v63, v78
	v_fmac_f32_e32 v108, v62, v33
	v_add_f32_e32 v36, v36, v107
	v_fma_f32 v37, v63, v92, -v37
	v_add_f32_e32 v35, v35, v38
	v_fmac_f32_e32 v109, v64, v92
	v_add_f32_e32 v36, v36, v108
	v_add_f32_e32 v35, v35, v37
	;; [unrolled: 1-line block ×3, first 2 shown]
	s_waitcnt vmcnt(1)
	v_sub_f32_e32 v35, v93, v35
	s_waitcnt vmcnt(0)
	v_sub_f32_e32 v36, v94, v36
	buffer_store_dword v35, off, s[0:3], 0
	buffer_store_dword v36, off, s[0:3], 0 offset:4
	s_cbranch_vccz .LBB15_140
; %bb.110:
	global_load_dword v34, v34, s[20:21] offset:56
	s_waitcnt vmcnt(0)
	v_add_nc_u32_e32 v34, -1, v34
	v_cmp_ne_u32_e32 vcc_lo, 14, v34
	s_cbranch_vccz .LBB15_112
; %bb.111:
	v_lshlrev_b32_e32 v34, 3, v34
	s_clause 0x1
	buffer_load_dword v35, v34, s[0:3], 0 offen offset:4
	buffer_load_dword v36, v34, s[0:3], 0 offen
	s_waitcnt vmcnt(1)
	buffer_store_dword v35, off, s[0:3], 0 offset:116
	s_waitcnt vmcnt(0)
	buffer_store_dword v36, off, s[0:3], 0 offset:112
	buffer_store_dword v0, v34, s[0:3], 0 offen offset:4
	buffer_store_dword v33, v34, s[0:3], 0 offen
.LBB15_112:
	v_mov_b32_e32 v0, 0
	global_load_dword v33, v0, s[20:21] offset:52
	s_waitcnt vmcnt(0)
	v_add_nc_u32_e32 v33, -1, v33
	v_cmp_eq_u32_e32 vcc_lo, 13, v33
	s_cbranch_vccnz .LBB15_114
; %bb.113:
	v_lshlrev_b32_e32 v33, 3, v33
	s_clause 0x3
	buffer_load_dword v34, v33, s[0:3], 0 offen
	buffer_load_dword v35, v33, s[0:3], 0 offen offset:4
	buffer_load_dword v36, off, s[0:3], 0 offset:104
	buffer_load_dword v37, off, s[0:3], 0 offset:108
	s_waitcnt vmcnt(3)
	buffer_store_dword v34, off, s[0:3], 0 offset:104
	s_waitcnt vmcnt(2)
	buffer_store_dword v35, off, s[0:3], 0 offset:108
	s_waitcnt vmcnt(1)
	buffer_store_dword v36, v33, s[0:3], 0 offen
	s_waitcnt vmcnt(0)
	buffer_store_dword v37, v33, s[0:3], 0 offen offset:4
.LBB15_114:
	global_load_dword v0, v0, s[20:21] offset:48
	s_waitcnt vmcnt(0)
	v_add_nc_u32_e32 v0, -1, v0
	v_cmp_eq_u32_e32 vcc_lo, 12, v0
	s_cbranch_vccnz .LBB15_116
; %bb.115:
	v_lshlrev_b32_e32 v0, 3, v0
	s_clause 0x3
	buffer_load_dword v33, v0, s[0:3], 0 offen
	buffer_load_dword v34, v0, s[0:3], 0 offen offset:4
	buffer_load_dword v35, off, s[0:3], 0 offset:100
	buffer_load_dword v36, off, s[0:3], 0 offset:96
	s_waitcnt vmcnt(3)
	buffer_store_dword v33, off, s[0:3], 0 offset:96
	s_waitcnt vmcnt(2)
	buffer_store_dword v34, off, s[0:3], 0 offset:100
	s_waitcnt vmcnt(1)
	buffer_store_dword v35, v0, s[0:3], 0 offen offset:4
	s_waitcnt vmcnt(0)
	buffer_store_dword v36, v0, s[0:3], 0 offen
.LBB15_116:
	v_mov_b32_e32 v0, 0
	global_load_dword v33, v0, s[20:21] offset:44
	s_waitcnt vmcnt(0)
	v_add_nc_u32_e32 v33, -1, v33
	v_cmp_eq_u32_e32 vcc_lo, 11, v33
	s_cbranch_vccnz .LBB15_118
; %bb.117:
	v_lshlrev_b32_e32 v33, 3, v33
	s_clause 0x3
	buffer_load_dword v34, v33, s[0:3], 0 offen
	buffer_load_dword v35, v33, s[0:3], 0 offen offset:4
	buffer_load_dword v36, off, s[0:3], 0 offset:88
	buffer_load_dword v37, off, s[0:3], 0 offset:92
	s_waitcnt vmcnt(3)
	buffer_store_dword v34, off, s[0:3], 0 offset:88
	s_waitcnt vmcnt(2)
	buffer_store_dword v35, off, s[0:3], 0 offset:92
	s_waitcnt vmcnt(1)
	buffer_store_dword v36, v33, s[0:3], 0 offen
	s_waitcnt vmcnt(0)
	buffer_store_dword v37, v33, s[0:3], 0 offen offset:4
.LBB15_118:
	global_load_dword v0, v0, s[20:21] offset:40
	s_waitcnt vmcnt(0)
	v_add_nc_u32_e32 v0, -1, v0
	v_cmp_eq_u32_e32 vcc_lo, 10, v0
	s_cbranch_vccnz .LBB15_120
; %bb.119:
	v_lshlrev_b32_e32 v0, 3, v0
	s_clause 0x3
	buffer_load_dword v33, v0, s[0:3], 0 offen
	buffer_load_dword v34, v0, s[0:3], 0 offen offset:4
	buffer_load_dword v35, off, s[0:3], 0 offset:84
	buffer_load_dword v36, off, s[0:3], 0 offset:80
	s_waitcnt vmcnt(3)
	buffer_store_dword v33, off, s[0:3], 0 offset:80
	s_waitcnt vmcnt(2)
	buffer_store_dword v34, off, s[0:3], 0 offset:84
	s_waitcnt vmcnt(1)
	buffer_store_dword v35, v0, s[0:3], 0 offen offset:4
	s_waitcnt vmcnt(0)
	buffer_store_dword v36, v0, s[0:3], 0 offen
.LBB15_120:
	;; [unrolled: 43-line block ×6, first 2 shown]
	v_mov_b32_e32 v0, 0
	global_load_dword v33, v0, s[20:21] offset:4
	s_waitcnt vmcnt(0)
	v_add_nc_u32_e32 v33, -1, v33
	v_cmp_eq_u32_e32 vcc_lo, 1, v33
	s_cbranch_vccnz .LBB15_138
; %bb.137:
	v_lshlrev_b32_e32 v33, 3, v33
	s_clause 0x3
	buffer_load_dword v34, v33, s[0:3], 0 offen
	buffer_load_dword v35, v33, s[0:3], 0 offen offset:4
	buffer_load_dword v36, off, s[0:3], 0 offset:8
	buffer_load_dword v37, off, s[0:3], 0 offset:12
	s_waitcnt vmcnt(3)
	buffer_store_dword v34, off, s[0:3], 0 offset:8
	s_waitcnt vmcnt(2)
	buffer_store_dword v35, off, s[0:3], 0 offset:12
	s_waitcnt vmcnt(1)
	buffer_store_dword v36, v33, s[0:3], 0 offen
	s_waitcnt vmcnt(0)
	buffer_store_dword v37, v33, s[0:3], 0 offen offset:4
.LBB15_138:
	global_load_dword v0, v0, s[20:21]
	s_waitcnt vmcnt(0)
	v_add_nc_u32_e32 v0, -1, v0
	v_cmp_eq_u32_e32 vcc_lo, 0, v0
	s_cbranch_vccnz .LBB15_140
; %bb.139:
	v_lshlrev_b32_e32 v0, 3, v0
	s_clause 0x3
	buffer_load_dword v33, v0, s[0:3], 0 offen
	buffer_load_dword v34, v0, s[0:3], 0 offen offset:4
	buffer_load_dword v35, off, s[0:3], 0 offset:4
	buffer_load_dword v36, off, s[0:3], 0
	s_waitcnt vmcnt(3)
	buffer_store_dword v33, off, s[0:3], 0
	s_waitcnt vmcnt(2)
	buffer_store_dword v34, off, s[0:3], 0 offset:4
	s_waitcnt vmcnt(1)
	buffer_store_dword v35, v0, s[0:3], 0 offen offset:4
	s_waitcnt vmcnt(0)
	buffer_store_dword v36, v0, s[0:3], 0 offen
.LBB15_140:
	s_clause 0x1f
	buffer_load_dword v33, off, s[0:3], 0
	buffer_load_dword v34, off, s[0:3], 0 offset:4
	buffer_load_dword v35, off, s[0:3], 0 offset:8
	;; [unrolled: 1-line block ×31, first 2 shown]
	s_waitcnt vmcnt(30)
	global_store_dwordx2 v[1:2], v[33:34], off
	s_waitcnt vmcnt(28)
	global_store_dwordx2 v[3:4], v[35:36], off
	;; [unrolled: 2-line block ×9, first 2 shown]
	global_store_dwordx2 v[19:20], v[51:52], off
	global_store_dwordx2 v[21:22], v[53:54], off
	;; [unrolled: 1-line block ×3, first 2 shown]
	s_waitcnt vmcnt(6)
	global_store_dwordx2 v[25:26], v[57:58], off
	s_waitcnt vmcnt(4)
	global_store_dwordx2 v[27:28], v[59:60], off
	;; [unrolled: 2-line block ×4, first 2 shown]
	s_endpgm
	.section	.rodata,"a",@progbits
	.p2align	6, 0x0
	.amdhsa_kernel _ZN9rocsolver6v33100L18getri_kernel_smallILi16E19rocblas_complex_numIfEPS3_EEvT1_iilPiilS6_bb
		.amdhsa_group_segment_fixed_size 260
		.amdhsa_private_segment_fixed_size 144
		.amdhsa_kernarg_size 60
		.amdhsa_user_sgpr_count 6
		.amdhsa_user_sgpr_private_segment_buffer 1
		.amdhsa_user_sgpr_dispatch_ptr 0
		.amdhsa_user_sgpr_queue_ptr 0
		.amdhsa_user_sgpr_kernarg_segment_ptr 1
		.amdhsa_user_sgpr_dispatch_id 0
		.amdhsa_user_sgpr_flat_scratch_init 0
		.amdhsa_user_sgpr_private_segment_size 0
		.amdhsa_wavefront_size32 1
		.amdhsa_uses_dynamic_stack 0
		.amdhsa_system_sgpr_private_segment_wavefront_offset 1
		.amdhsa_system_sgpr_workgroup_id_x 1
		.amdhsa_system_sgpr_workgroup_id_y 0
		.amdhsa_system_sgpr_workgroup_id_z 0
		.amdhsa_system_sgpr_workgroup_info 0
		.amdhsa_system_vgpr_workitem_id 0
		.amdhsa_next_free_vgpr 110
		.amdhsa_next_free_sgpr 23
		.amdhsa_reserve_vcc 1
		.amdhsa_reserve_flat_scratch 0
		.amdhsa_float_round_mode_32 0
		.amdhsa_float_round_mode_16_64 0
		.amdhsa_float_denorm_mode_32 3
		.amdhsa_float_denorm_mode_16_64 3
		.amdhsa_dx10_clamp 1
		.amdhsa_ieee_mode 1
		.amdhsa_fp16_overflow 0
		.amdhsa_workgroup_processor_mode 1
		.amdhsa_memory_ordered 1
		.amdhsa_forward_progress 1
		.amdhsa_shared_vgpr_count 0
		.amdhsa_exception_fp_ieee_invalid_op 0
		.amdhsa_exception_fp_denorm_src 0
		.amdhsa_exception_fp_ieee_div_zero 0
		.amdhsa_exception_fp_ieee_overflow 0
		.amdhsa_exception_fp_ieee_underflow 0
		.amdhsa_exception_fp_ieee_inexact 0
		.amdhsa_exception_int_div_zero 0
	.end_amdhsa_kernel
	.section	.text._ZN9rocsolver6v33100L18getri_kernel_smallILi16E19rocblas_complex_numIfEPS3_EEvT1_iilPiilS6_bb,"axG",@progbits,_ZN9rocsolver6v33100L18getri_kernel_smallILi16E19rocblas_complex_numIfEPS3_EEvT1_iilPiilS6_bb,comdat
.Lfunc_end15:
	.size	_ZN9rocsolver6v33100L18getri_kernel_smallILi16E19rocblas_complex_numIfEPS3_EEvT1_iilPiilS6_bb, .Lfunc_end15-_ZN9rocsolver6v33100L18getri_kernel_smallILi16E19rocblas_complex_numIfEPS3_EEvT1_iilPiilS6_bb
                                        ; -- End function
	.set _ZN9rocsolver6v33100L18getri_kernel_smallILi16E19rocblas_complex_numIfEPS3_EEvT1_iilPiilS6_bb.num_vgpr, 110
	.set _ZN9rocsolver6v33100L18getri_kernel_smallILi16E19rocblas_complex_numIfEPS3_EEvT1_iilPiilS6_bb.num_agpr, 0
	.set _ZN9rocsolver6v33100L18getri_kernel_smallILi16E19rocblas_complex_numIfEPS3_EEvT1_iilPiilS6_bb.numbered_sgpr, 23
	.set _ZN9rocsolver6v33100L18getri_kernel_smallILi16E19rocblas_complex_numIfEPS3_EEvT1_iilPiilS6_bb.num_named_barrier, 0
	.set _ZN9rocsolver6v33100L18getri_kernel_smallILi16E19rocblas_complex_numIfEPS3_EEvT1_iilPiilS6_bb.private_seg_size, 144
	.set _ZN9rocsolver6v33100L18getri_kernel_smallILi16E19rocblas_complex_numIfEPS3_EEvT1_iilPiilS6_bb.uses_vcc, 1
	.set _ZN9rocsolver6v33100L18getri_kernel_smallILi16E19rocblas_complex_numIfEPS3_EEvT1_iilPiilS6_bb.uses_flat_scratch, 0
	.set _ZN9rocsolver6v33100L18getri_kernel_smallILi16E19rocblas_complex_numIfEPS3_EEvT1_iilPiilS6_bb.has_dyn_sized_stack, 0
	.set _ZN9rocsolver6v33100L18getri_kernel_smallILi16E19rocblas_complex_numIfEPS3_EEvT1_iilPiilS6_bb.has_recursion, 0
	.set _ZN9rocsolver6v33100L18getri_kernel_smallILi16E19rocblas_complex_numIfEPS3_EEvT1_iilPiilS6_bb.has_indirect_call, 0
	.section	.AMDGPU.csdata,"",@progbits
; Kernel info:
; codeLenInByte = 16740
; TotalNumSgprs: 25
; NumVgprs: 110
; ScratchSize: 144
; MemoryBound: 0
; FloatMode: 240
; IeeeMode: 1
; LDSByteSize: 260 bytes/workgroup (compile time only)
; SGPRBlocks: 0
; VGPRBlocks: 13
; NumSGPRsForWavesPerEU: 25
; NumVGPRsForWavesPerEU: 110
; Occupancy: 9
; WaveLimiterHint : 1
; COMPUTE_PGM_RSRC2:SCRATCH_EN: 1
; COMPUTE_PGM_RSRC2:USER_SGPR: 6
; COMPUTE_PGM_RSRC2:TRAP_HANDLER: 0
; COMPUTE_PGM_RSRC2:TGID_X_EN: 1
; COMPUTE_PGM_RSRC2:TGID_Y_EN: 0
; COMPUTE_PGM_RSRC2:TGID_Z_EN: 0
; COMPUTE_PGM_RSRC2:TIDIG_COMP_CNT: 0
	.section	.text._ZN9rocsolver6v33100L18getri_kernel_smallILi17E19rocblas_complex_numIfEPS3_EEvT1_iilPiilS6_bb,"axG",@progbits,_ZN9rocsolver6v33100L18getri_kernel_smallILi17E19rocblas_complex_numIfEPS3_EEvT1_iilPiilS6_bb,comdat
	.globl	_ZN9rocsolver6v33100L18getri_kernel_smallILi17E19rocblas_complex_numIfEPS3_EEvT1_iilPiilS6_bb ; -- Begin function _ZN9rocsolver6v33100L18getri_kernel_smallILi17E19rocblas_complex_numIfEPS3_EEvT1_iilPiilS6_bb
	.p2align	8
	.type	_ZN9rocsolver6v33100L18getri_kernel_smallILi17E19rocblas_complex_numIfEPS3_EEvT1_iilPiilS6_bb,@function
_ZN9rocsolver6v33100L18getri_kernel_smallILi17E19rocblas_complex_numIfEPS3_EEvT1_iilPiilS6_bb: ; @_ZN9rocsolver6v33100L18getri_kernel_smallILi17E19rocblas_complex_numIfEPS3_EEvT1_iilPiilS6_bb
; %bb.0:
	s_add_u32 s0, s0, s7
	s_addc_u32 s1, s1, 0
	s_mov_b32 s7, exec_lo
	v_cmpx_gt_u32_e32 17, v0
	s_cbranch_execz .LBB16_82
; %bb.1:
	s_clause 0x2
	s_load_dword s7, s[4:5], 0x38
	s_load_dwordx4 s[16:19], s[4:5], 0x10
	s_load_dwordx4 s[8:11], s[4:5], 0x28
                                        ; implicit-def: $sgpr20_sgpr21
	s_waitcnt lgkmcnt(0)
	s_bitcmp1_b32 s7, 8
	s_cselect_b32 s22, -1, 0
	s_bfe_u32 s12, s7, 0x10008
	s_ashr_i32 s7, s6, 31
	s_cmp_eq_u32 s12, 0
	s_cbranch_scc1 .LBB16_3
; %bb.2:
	s_load_dword s12, s[4:5], 0x20
	s_mul_i32 s13, s8, s7
	s_mul_hi_u32 s14, s8, s6
	s_mul_i32 s9, s9, s6
	s_add_i32 s13, s14, s13
	s_mul_i32 s8, s8, s6
	s_add_i32 s9, s13, s9
	s_lshl_b64 s[8:9], s[8:9], 2
	s_waitcnt lgkmcnt(0)
	s_ashr_i32 s13, s12, 31
	s_add_u32 s14, s18, s8
	s_addc_u32 s15, s19, s9
	s_lshl_b64 s[8:9], s[12:13], 2
	s_add_u32 s20, s14, s8
	s_addc_u32 s21, s15, s9
.LBB16_3:
	s_clause 0x1
	s_load_dwordx4 s[12:15], s[4:5], 0x0
	s_load_dword s8, s[4:5], 0x38
	s_mul_i32 s4, s16, s7
	s_mul_hi_u32 s5, s16, s6
	s_mul_i32 s9, s17, s6
	s_add_i32 s5, s5, s4
	s_mul_i32 s4, s16, s6
	s_add_i32 s5, s5, s9
	v_lshlrev_b32_e32 v37, 3, v0
	s_lshl_b64 s[4:5], s[4:5], 3
	s_waitcnt lgkmcnt(0)
	v_add3_u32 v3, s15, s15, v0
	s_ashr_i32 s17, s14, 31
	s_mov_b32 s16, s14
	s_add_u32 s9, s12, s4
	s_addc_u32 s13, s13, s5
	v_add_nc_u32_e32 v5, s15, v3
	s_lshl_b64 s[4:5], s[16:17], 3
	v_ashrrev_i32_e32 v4, 31, v3
	s_add_u32 s4, s9, s4
	s_addc_u32 s5, s13, s5
	v_ashrrev_i32_e32 v6, 31, v5
	v_add_nc_u32_e32 v9, s15, v5
	v_add_co_u32 v1, s9, s4, v37
	s_mov_b32 s12, s15
	s_ashr_i32 s13, s15, 31
	v_lshlrev_b64 v[7:8], 3, v[3:4]
	v_add_co_ci_u32_e64 v2, null, s5, 0, s9
	s_lshl_b64 s[12:13], s[12:13], 3
	v_ashrrev_i32_e32 v10, 31, v9
	v_lshlrev_b64 v[11:12], 3, v[5:6]
	v_add_nc_u32_e32 v15, s15, v9
	v_add_co_u32 v3, vcc_lo, v1, s12
	v_add_co_ci_u32_e64 v4, null, s13, v2, vcc_lo
	v_add_co_u32 v5, vcc_lo, s4, v7
	v_lshlrev_b64 v[13:14], 3, v[9:10]
	v_add_co_ci_u32_e64 v6, null, s5, v8, vcc_lo
	v_add_co_u32 v7, vcc_lo, s4, v11
	v_add_nc_u32_e32 v11, s15, v15
	v_add_co_ci_u32_e64 v8, null, s5, v12, vcc_lo
	v_ashrrev_i32_e32 v16, 31, v15
	v_add_co_u32 v9, vcc_lo, s4, v13
	v_add_nc_u32_e32 v13, s15, v11
	v_ashrrev_i32_e32 v12, 31, v11
	v_lshlrev_b64 v[15:16], 3, v[15:16]
	v_add_co_ci_u32_e64 v10, null, s5, v14, vcc_lo
	v_add_nc_u32_e32 v19, s15, v13
	v_lshlrev_b64 v[17:18], 3, v[11:12]
	v_ashrrev_i32_e32 v14, 31, v13
	v_add_co_u32 v11, vcc_lo, s4, v15
	v_ashrrev_i32_e32 v20, 31, v19
	v_add_nc_u32_e32 v21, s15, v19
	v_add_co_ci_u32_e64 v12, null, s5, v16, vcc_lo
	v_lshlrev_b64 v[15:16], 3, v[13:14]
	v_add_co_u32 v13, vcc_lo, s4, v17
	v_add_co_ci_u32_e64 v14, null, s5, v18, vcc_lo
	v_lshlrev_b64 v[17:18], 3, v[19:20]
	v_add_nc_u32_e32 v19, s15, v21
	v_ashrrev_i32_e32 v22, 31, v21
	v_add_co_u32 v15, vcc_lo, s4, v15
	v_add_co_ci_u32_e64 v16, null, s5, v16, vcc_lo
	v_add_nc_u32_e32 v23, s15, v19
	v_ashrrev_i32_e32 v20, 31, v19
	v_lshlrev_b64 v[21:22], 3, v[21:22]
	v_add_co_u32 v17, vcc_lo, s4, v17
	v_add_nc_u32_e32 v27, s15, v23
	v_lshlrev_b64 v[25:26], 3, v[19:20]
	v_add_co_ci_u32_e64 v18, null, s5, v18, vcc_lo
	v_add_co_u32 v19, vcc_lo, s4, v21
	v_ashrrev_i32_e32 v28, 31, v27
	v_add_nc_u32_e32 v29, s15, v27
	v_add_co_ci_u32_e64 v20, null, s5, v22, vcc_lo
	v_add_co_u32 v21, vcc_lo, s4, v25
	v_add_co_ci_u32_e64 v22, null, s5, v26, vcc_lo
	v_lshlrev_b64 v[25:26], 3, v[27:28]
	v_add_nc_u32_e32 v27, s15, v29
	v_ashrrev_i32_e32 v24, 31, v23
	v_ashrrev_i32_e32 v30, 31, v29
	s_clause 0x4
	global_load_dwordx2 v[35:36], v37, s[4:5]
	global_load_dwordx2 v[38:39], v[3:4], off
	global_load_dwordx2 v[40:41], v[5:6], off
	;; [unrolled: 1-line block ×4, first 2 shown]
	v_add_nc_u32_e32 v31, s15, v27
	v_lshlrev_b64 v[23:24], 3, v[23:24]
	v_ashrrev_i32_e32 v28, 31, v27
	v_lshlrev_b64 v[29:30], 3, v[29:30]
	s_clause 0x3
	global_load_dwordx2 v[46:47], v[11:12], off
	global_load_dwordx2 v[48:49], v[13:14], off
	;; [unrolled: 1-line block ×4, first 2 shown]
	v_add_nc_u32_e32 v54, s15, v31
	v_ashrrev_i32_e32 v32, 31, v31
	v_add_co_u32 v23, vcc_lo, s4, v23
	v_lshlrev_b64 v[33:34], 3, v[27:28]
	v_add_co_ci_u32_e64 v24, null, s5, v24, vcc_lo
	v_add_co_u32 v25, vcc_lo, s4, v25
	v_ashrrev_i32_e32 v55, 31, v54
	v_add_co_ci_u32_e64 v26, null, s5, v26, vcc_lo
	v_add_co_u32 v27, vcc_lo, s4, v29
	v_add_co_ci_u32_e64 v28, null, s5, v30, vcc_lo
	v_lshlrev_b64 v[31:32], 3, v[31:32]
	v_add_co_u32 v29, vcc_lo, s4, v33
	v_add_co_ci_u32_e64 v30, null, s5, v34, vcc_lo
	v_lshlrev_b64 v[33:34], 3, v[54:55]
	v_add_co_u32 v31, vcc_lo, s4, v31
	v_add_co_ci_u32_e64 v32, null, s5, v32, vcc_lo
	global_load_dwordx2 v[54:55], v[19:20], off
	v_add_co_u32 v33, vcc_lo, s4, v33
	v_add_co_ci_u32_e64 v34, null, s5, v34, vcc_lo
	s_clause 0x6
	global_load_dwordx2 v[56:57], v[21:22], off
	global_load_dwordx2 v[58:59], v[23:24], off
	;; [unrolled: 1-line block ×7, first 2 shown]
	s_mov_b32 s5, -1
	s_bitcmp0_b32 s8, 0
	s_waitcnt vmcnt(16)
	buffer_store_dword v36, off, s[0:3], 0 offset:4
	buffer_store_dword v35, off, s[0:3], 0
	s_waitcnt vmcnt(15)
	buffer_store_dword v39, off, s[0:3], 0 offset:12
	buffer_store_dword v38, off, s[0:3], 0 offset:8
	s_waitcnt vmcnt(14)
	buffer_store_dword v41, off, s[0:3], 0 offset:20
	buffer_store_dword v40, off, s[0:3], 0 offset:16
	;; [unrolled: 3-line block ×16, first 2 shown]
	s_cbranch_scc1 .LBB16_80
; %bb.4:
	v_cmp_eq_u32_e64 s4, 0, v0
	s_and_saveexec_b32 s5, s4
; %bb.5:
	v_mov_b32_e32 v35, 0
	ds_write_b32 v35, v35 offset:136
; %bb.6:
	s_or_b32 exec_lo, exec_lo, s5
	v_lshl_add_u32 v39, v0, 3, 0
	s_waitcnt lgkmcnt(0)
	s_waitcnt_vscnt null, 0x0
	s_barrier
	buffer_gl0_inv
	s_clause 0x1
	buffer_load_dword v35, v39, s[0:3], 0 offen
	buffer_load_dword v36, v39, s[0:3], 0 offen offset:4
	s_waitcnt vmcnt(1)
	v_cmp_eq_f32_e32 vcc_lo, 0, v35
	s_waitcnt vmcnt(0)
	v_cmp_eq_f32_e64 s5, 0, v36
	s_and_b32 s5, vcc_lo, s5
	s_and_saveexec_b32 s8, s5
	s_cbranch_execz .LBB16_10
; %bb.7:
	v_mov_b32_e32 v35, 0
	s_mov_b32 s9, 0
	ds_read_b32 v36, v35 offset:136
	s_waitcnt lgkmcnt(0)
	v_readfirstlane_b32 s5, v36
	v_add_nc_u32_e32 v36, 1, v0
	s_cmp_eq_u32 s5, 0
	v_cmp_gt_i32_e32 vcc_lo, s5, v36
	s_cselect_b32 s12, -1, 0
	s_or_b32 s12, s12, vcc_lo
	s_and_b32 exec_lo, exec_lo, s12
	s_cbranch_execz .LBB16_10
; %bb.8:
	v_mov_b32_e32 v38, s5
.LBB16_9:                               ; =>This Inner Loop Header: Depth=1
	ds_cmpst_rtn_b32 v38, v35, v38, v36 offset:136
	s_waitcnt lgkmcnt(0)
	v_cmp_ne_u32_e32 vcc_lo, 0, v38
	v_cmp_le_i32_e64 s5, v38, v36
	s_and_b32 s5, vcc_lo, s5
	s_and_b32 s5, exec_lo, s5
	s_or_b32 s9, s5, s9
	s_andn2_b32 exec_lo, exec_lo, s9
	s_cbranch_execnz .LBB16_9
.LBB16_10:
	s_or_b32 exec_lo, exec_lo, s8
	v_mov_b32_e32 v35, 0
	s_barrier
	buffer_gl0_inv
	ds_read_b32 v36, v35 offset:136
	s_and_saveexec_b32 s5, s4
	s_cbranch_execz .LBB16_12
; %bb.11:
	s_lshl_b64 s[8:9], s[6:7], 2
	s_add_u32 s8, s10, s8
	s_addc_u32 s9, s11, s9
	s_waitcnt lgkmcnt(0)
	global_store_dword v35, v36, s[8:9]
.LBB16_12:
	s_or_b32 exec_lo, exec_lo, s5
	s_waitcnt lgkmcnt(0)
	v_cmp_ne_u32_e32 vcc_lo, 0, v36
	s_mov_b32 s5, 0
	s_cbranch_vccnz .LBB16_80
; %bb.13:
	s_clause 0x1
	buffer_load_dword v36, v39, s[0:3], 0 offen
	buffer_load_dword v38, v39, s[0:3], 0 offen offset:4
                                        ; implicit-def: $vgpr41
                                        ; implicit-def: $vgpr40
                                        ; implicit-def: $vgpr35
	s_waitcnt vmcnt(0)
	v_cmp_ngt_f32_e64 s5, |v36|, |v38|
	s_and_saveexec_b32 s8, s5
	s_xor_b32 s5, exec_lo, s8
	s_cbranch_execz .LBB16_15
; %bb.14:
	v_div_scale_f32 v35, null, v38, v38, v36
	v_div_scale_f32 v42, vcc_lo, v36, v38, v36
	v_rcp_f32_e32 v40, v35
	v_fma_f32 v41, -v35, v40, 1.0
	v_fmac_f32_e32 v40, v41, v40
	v_mul_f32_e32 v41, v42, v40
	v_fma_f32 v43, -v35, v41, v42
	v_fmac_f32_e32 v41, v43, v40
	v_fma_f32 v35, -v35, v41, v42
	v_div_fmas_f32 v35, v35, v40, v41
	v_div_fixup_f32 v35, v35, v38, v36
	v_fmac_f32_e32 v38, v36, v35
	v_div_scale_f32 v36, null, v38, v38, 1.0
	v_rcp_f32_e32 v40, v36
	v_fma_f32 v41, -v36, v40, 1.0
	v_fmac_f32_e32 v40, v41, v40
	v_div_scale_f32 v41, vcc_lo, 1.0, v38, 1.0
	v_mul_f32_e32 v42, v41, v40
	v_fma_f32 v43, -v36, v42, v41
	v_fmac_f32_e32 v42, v43, v40
	v_fma_f32 v36, -v36, v42, v41
	v_div_fmas_f32 v36, v36, v40, v42
	v_div_fixup_f32 v36, v36, v38, 1.0
                                        ; implicit-def: $vgpr38
	v_mul_f32_e32 v41, v35, v36
	v_xor_b32_e32 v40, 0x80000000, v36
                                        ; implicit-def: $vgpr36
	v_xor_b32_e32 v35, 0x80000000, v41
.LBB16_15:
	s_andn2_saveexec_b32 s5, s5
	s_cbranch_execz .LBB16_17
; %bb.16:
	v_div_scale_f32 v35, null, v36, v36, v38
	v_div_scale_f32 v42, vcc_lo, v38, v36, v38
	v_rcp_f32_e32 v40, v35
	v_fma_f32 v41, -v35, v40, 1.0
	v_fmac_f32_e32 v40, v41, v40
	v_mul_f32_e32 v41, v42, v40
	v_fma_f32 v43, -v35, v41, v42
	v_fmac_f32_e32 v41, v43, v40
	v_fma_f32 v35, -v35, v41, v42
	v_div_fmas_f32 v35, v35, v40, v41
	v_div_fixup_f32 v40, v35, v36, v38
	v_fmac_f32_e32 v36, v38, v40
	v_div_scale_f32 v35, null, v36, v36, 1.0
	v_div_scale_f32 v42, vcc_lo, 1.0, v36, 1.0
	v_rcp_f32_e32 v38, v35
	v_fma_f32 v41, -v35, v38, 1.0
	v_fmac_f32_e32 v38, v41, v38
	v_mul_f32_e32 v41, v42, v38
	v_fma_f32 v43, -v35, v41, v42
	v_fmac_f32_e32 v41, v43, v38
	v_fma_f32 v35, -v35, v41, v42
	v_div_fmas_f32 v35, v35, v38, v41
	v_div_fixup_f32 v41, v35, v36, 1.0
	v_xor_b32_e32 v35, 0x80000000, v41
	v_mul_f32_e64 v40, v40, -v41
.LBB16_17:
	s_or_b32 exec_lo, exec_lo, s5
	buffer_store_dword v41, v39, s[0:3], 0 offen
	buffer_store_dword v40, v39, s[0:3], 0 offen offset:4
	s_clause 0x1
	buffer_load_dword v42, off, s[0:3], 0 offset:12
	buffer_load_dword v41, off, s[0:3], 0 offset:8
	v_xor_b32_e32 v36, 0x80000000, v40
	v_add_nc_u32_e32 v38, 0x90, v37
	s_waitcnt vmcnt(0)
	ds_write2_b64 v37, v[35:36], v[41:42] offset1:18
	s_waitcnt lgkmcnt(0)
	s_waitcnt_vscnt null, 0x0
	s_barrier
	buffer_gl0_inv
	s_and_saveexec_b32 s5, s4
	s_cbranch_execz .LBB16_19
; %bb.18:
	s_clause 0x1
	buffer_load_dword v42, v39, s[0:3], 0 offen offset:4
	buffer_load_dword v43, v39, s[0:3], 0 offen
	ds_read_b64 v[35:36], v38
	v_mov_b32_e32 v40, 0
	ds_read_b64 v[40:41], v40 offset:8
	s_waitcnt vmcnt(1) lgkmcnt(1)
	v_mul_f32_e32 v44, v35, v42
	v_mul_f32_e32 v42, v36, v42
	s_waitcnt vmcnt(0)
	v_fmac_f32_e32 v44, v36, v43
	v_fma_f32 v35, v35, v43, -v42
	v_add_f32_e32 v36, 0, v44
	v_add_f32_e32 v35, 0, v35
	s_waitcnt lgkmcnt(0)
	v_mul_f32_e32 v42, v36, v41
	v_mul_f32_e32 v41, v35, v41
	v_fma_f32 v35, v35, v40, -v42
	v_fmac_f32_e32 v41, v36, v40
	buffer_store_dword v35, off, s[0:3], 0 offset:8
	buffer_store_dword v41, off, s[0:3], 0 offset:12
.LBB16_19:
	s_or_b32 exec_lo, exec_lo, s5
	s_waitcnt_vscnt null, 0x0
	s_barrier
	buffer_gl0_inv
	s_clause 0x1
	buffer_load_dword v35, off, s[0:3], 0 offset:16
	buffer_load_dword v36, off, s[0:3], 0 offset:20
	s_mov_b32 s5, exec_lo
	s_waitcnt vmcnt(0)
	ds_write_b64 v38, v[35:36]
	s_waitcnt lgkmcnt(0)
	s_barrier
	buffer_gl0_inv
	v_cmpx_gt_u32_e32 2, v0
	s_cbranch_execz .LBB16_23
; %bb.20:
	s_clause 0x1
	buffer_load_dword v40, v39, s[0:3], 0 offen offset:4
	buffer_load_dword v39, v39, s[0:3], 0 offen
	ds_read_b64 v[35:36], v38
	s_waitcnt vmcnt(1) lgkmcnt(0)
	v_mul_f32_e32 v41, v36, v40
	v_mul_f32_e32 v40, v35, v40
	s_waitcnt vmcnt(0)
	v_fma_f32 v35, v35, v39, -v41
	v_fmac_f32_e32 v40, v36, v39
	v_add_f32_e32 v36, 0, v35
	v_add_f32_e32 v35, 0, v40
	s_and_saveexec_b32 s8, s4
	s_cbranch_execz .LBB16_22
; %bb.21:
	s_clause 0x1
	buffer_load_dword v41, off, s[0:3], 0 offset:12
	buffer_load_dword v42, off, s[0:3], 0 offset:8
	v_mov_b32_e32 v39, 0
	ds_read_b64 v[39:40], v39 offset:152
	s_waitcnt vmcnt(1) lgkmcnt(0)
	v_mul_f32_e32 v43, v39, v41
	v_mul_f32_e32 v41, v40, v41
	s_waitcnt vmcnt(0)
	v_fmac_f32_e32 v43, v40, v42
	v_fma_f32 v39, v39, v42, -v41
	v_add_f32_e32 v35, v35, v43
	v_add_f32_e32 v36, v36, v39
.LBB16_22:
	s_or_b32 exec_lo, exec_lo, s8
	v_mov_b32_e32 v39, 0
	ds_read_b64 v[39:40], v39 offset:16
	s_waitcnt lgkmcnt(0)
	v_mul_f32_e32 v41, v35, v40
	v_mul_f32_e32 v40, v36, v40
	v_fma_f32 v36, v36, v39, -v41
	v_fmac_f32_e32 v40, v35, v39
	buffer_store_dword v36, off, s[0:3], 0 offset:16
	buffer_store_dword v40, off, s[0:3], 0 offset:20
.LBB16_23:
	s_or_b32 exec_lo, exec_lo, s5
	s_waitcnt_vscnt null, 0x0
	s_barrier
	buffer_gl0_inv
	s_clause 0x1
	buffer_load_dword v39, off, s[0:3], 0 offset:24
	buffer_load_dword v40, off, s[0:3], 0 offset:28
	v_add_nc_u32_e32 v35, -1, v0
	s_mov_b32 s4, exec_lo
	s_waitcnt vmcnt(0)
	ds_write_b64 v38, v[39:40]
	s_waitcnt lgkmcnt(0)
	s_barrier
	buffer_gl0_inv
	v_cmpx_gt_u32_e32 3, v0
	s_cbranch_execz .LBB16_27
; %bb.24:
	v_add_nc_u32_e32 v39, -1, v0
	v_add_nc_u32_e32 v40, 0x90, v37
	v_mov_b32_e32 v41, v37
	v_mov_b32_e32 v36, 0
	;; [unrolled: 1-line block ×3, first 2 shown]
	s_mov_b32 s5, 0
	.p2align	6
.LBB16_25:                              ; =>This Inner Loop Header: Depth=1
	s_clause 0x1
	buffer_load_dword v45, v41, s[0:3], 0 offen offset:4
	buffer_load_dword v46, v41, s[0:3], 0 offen
	ds_read_b64 v[43:44], v40
	v_add_nc_u32_e32 v39, 1, v39
	v_add_nc_u32_e32 v40, 8, v40
	;; [unrolled: 1-line block ×3, first 2 shown]
	v_cmp_lt_u32_e32 vcc_lo, 1, v39
	s_or_b32 s5, vcc_lo, s5
	s_waitcnt vmcnt(1) lgkmcnt(0)
	v_mul_f32_e32 v47, v44, v45
	v_mul_f32_e32 v45, v43, v45
	s_waitcnt vmcnt(0)
	v_fma_f32 v43, v43, v46, -v47
	v_fmac_f32_e32 v45, v44, v46
	v_add_f32_e32 v42, v42, v43
	v_add_f32_e32 v36, v36, v45
	s_andn2_b32 exec_lo, exec_lo, s5
	s_cbranch_execnz .LBB16_25
; %bb.26:
	s_or_b32 exec_lo, exec_lo, s5
	v_mov_b32_e32 v39, 0
	ds_read_b64 v[39:40], v39 offset:24
	s_waitcnt lgkmcnt(0)
	v_mul_f32_e32 v41, v36, v40
	v_mul_f32_e32 v40, v42, v40
	v_fma_f32 v41, v42, v39, -v41
	v_fmac_f32_e32 v40, v36, v39
	buffer_store_dword v41, off, s[0:3], 0 offset:24
	buffer_store_dword v40, off, s[0:3], 0 offset:28
.LBB16_27:
	s_or_b32 exec_lo, exec_lo, s4
	s_waitcnt_vscnt null, 0x0
	s_barrier
	buffer_gl0_inv
	s_clause 0x1
	buffer_load_dword v39, off, s[0:3], 0 offset:32
	buffer_load_dword v40, off, s[0:3], 0 offset:36
	s_mov_b32 s4, exec_lo
	s_waitcnt vmcnt(0)
	ds_write_b64 v38, v[39:40]
	s_waitcnt lgkmcnt(0)
	s_barrier
	buffer_gl0_inv
	v_cmpx_gt_u32_e32 4, v0
	s_cbranch_execz .LBB16_31
; %bb.28:
	v_add_nc_u32_e32 v39, -1, v0
	v_add_nc_u32_e32 v40, 0x90, v37
	v_mov_b32_e32 v41, v37
	v_mov_b32_e32 v36, 0
	;; [unrolled: 1-line block ×3, first 2 shown]
	s_mov_b32 s5, 0
	.p2align	6
.LBB16_29:                              ; =>This Inner Loop Header: Depth=1
	s_clause 0x1
	buffer_load_dword v45, v41, s[0:3], 0 offen offset:4
	buffer_load_dword v46, v41, s[0:3], 0 offen
	ds_read_b64 v[43:44], v40
	v_add_nc_u32_e32 v39, 1, v39
	v_add_nc_u32_e32 v40, 8, v40
	;; [unrolled: 1-line block ×3, first 2 shown]
	v_cmp_lt_u32_e32 vcc_lo, 2, v39
	s_or_b32 s5, vcc_lo, s5
	s_waitcnt vmcnt(1) lgkmcnt(0)
	v_mul_f32_e32 v47, v44, v45
	v_mul_f32_e32 v45, v43, v45
	s_waitcnt vmcnt(0)
	v_fma_f32 v43, v43, v46, -v47
	v_fmac_f32_e32 v45, v44, v46
	v_add_f32_e32 v42, v42, v43
	v_add_f32_e32 v36, v36, v45
	s_andn2_b32 exec_lo, exec_lo, s5
	s_cbranch_execnz .LBB16_29
; %bb.30:
	s_or_b32 exec_lo, exec_lo, s5
	v_mov_b32_e32 v39, 0
	ds_read_b64 v[39:40], v39 offset:32
	s_waitcnt lgkmcnt(0)
	v_mul_f32_e32 v41, v36, v40
	v_mul_f32_e32 v40, v42, v40
	v_fma_f32 v41, v42, v39, -v41
	v_fmac_f32_e32 v40, v36, v39
	buffer_store_dword v41, off, s[0:3], 0 offset:32
	buffer_store_dword v40, off, s[0:3], 0 offset:36
.LBB16_31:
	s_or_b32 exec_lo, exec_lo, s4
	s_waitcnt_vscnt null, 0x0
	s_barrier
	buffer_gl0_inv
	s_clause 0x1
	buffer_load_dword v39, off, s[0:3], 0 offset:40
	buffer_load_dword v40, off, s[0:3], 0 offset:44
	s_mov_b32 s4, exec_lo
	s_waitcnt vmcnt(0)
	ds_write_b64 v38, v[39:40]
	s_waitcnt lgkmcnt(0)
	s_barrier
	buffer_gl0_inv
	v_cmpx_gt_u32_e32 5, v0
	s_cbranch_execz .LBB16_35
; %bb.32:
	v_add_nc_u32_e32 v39, -1, v0
	v_add_nc_u32_e32 v40, 0x90, v37
	v_mov_b32_e32 v41, v37
	v_mov_b32_e32 v36, 0
	;; [unrolled: 1-line block ×3, first 2 shown]
	s_mov_b32 s5, 0
	.p2align	6
.LBB16_33:                              ; =>This Inner Loop Header: Depth=1
	s_clause 0x1
	buffer_load_dword v45, v41, s[0:3], 0 offen offset:4
	buffer_load_dword v46, v41, s[0:3], 0 offen
	ds_read_b64 v[43:44], v40
	v_add_nc_u32_e32 v39, 1, v39
	v_add_nc_u32_e32 v40, 8, v40
	;; [unrolled: 1-line block ×3, first 2 shown]
	v_cmp_lt_u32_e32 vcc_lo, 3, v39
	s_or_b32 s5, vcc_lo, s5
	s_waitcnt vmcnt(1) lgkmcnt(0)
	v_mul_f32_e32 v47, v44, v45
	v_mul_f32_e32 v45, v43, v45
	s_waitcnt vmcnt(0)
	v_fma_f32 v43, v43, v46, -v47
	v_fmac_f32_e32 v45, v44, v46
	v_add_f32_e32 v42, v42, v43
	v_add_f32_e32 v36, v36, v45
	s_andn2_b32 exec_lo, exec_lo, s5
	s_cbranch_execnz .LBB16_33
; %bb.34:
	s_or_b32 exec_lo, exec_lo, s5
	v_mov_b32_e32 v39, 0
	ds_read_b64 v[39:40], v39 offset:40
	s_waitcnt lgkmcnt(0)
	v_mul_f32_e32 v41, v36, v40
	v_mul_f32_e32 v40, v42, v40
	v_fma_f32 v41, v42, v39, -v41
	v_fmac_f32_e32 v40, v36, v39
	buffer_store_dword v41, off, s[0:3], 0 offset:40
	buffer_store_dword v40, off, s[0:3], 0 offset:44
.LBB16_35:
	s_or_b32 exec_lo, exec_lo, s4
	s_waitcnt_vscnt null, 0x0
	s_barrier
	buffer_gl0_inv
	s_clause 0x1
	buffer_load_dword v39, off, s[0:3], 0 offset:48
	buffer_load_dword v40, off, s[0:3], 0 offset:52
	s_mov_b32 s4, exec_lo
	s_waitcnt vmcnt(0)
	ds_write_b64 v38, v[39:40]
	s_waitcnt lgkmcnt(0)
	s_barrier
	buffer_gl0_inv
	v_cmpx_gt_u32_e32 6, v0
	s_cbranch_execz .LBB16_39
; %bb.36:
	v_add_nc_u32_e32 v39, -1, v0
	v_add_nc_u32_e32 v40, 0x90, v37
	v_mov_b32_e32 v41, v37
	v_mov_b32_e32 v36, 0
	;; [unrolled: 1-line block ×3, first 2 shown]
	s_mov_b32 s5, 0
	.p2align	6
.LBB16_37:                              ; =>This Inner Loop Header: Depth=1
	s_clause 0x1
	buffer_load_dword v45, v41, s[0:3], 0 offen offset:4
	buffer_load_dword v46, v41, s[0:3], 0 offen
	ds_read_b64 v[43:44], v40
	v_add_nc_u32_e32 v39, 1, v39
	v_add_nc_u32_e32 v40, 8, v40
	;; [unrolled: 1-line block ×3, first 2 shown]
	v_cmp_lt_u32_e32 vcc_lo, 4, v39
	s_or_b32 s5, vcc_lo, s5
	s_waitcnt vmcnt(1) lgkmcnt(0)
	v_mul_f32_e32 v47, v44, v45
	v_mul_f32_e32 v45, v43, v45
	s_waitcnt vmcnt(0)
	v_fma_f32 v43, v43, v46, -v47
	v_fmac_f32_e32 v45, v44, v46
	v_add_f32_e32 v42, v42, v43
	v_add_f32_e32 v36, v36, v45
	s_andn2_b32 exec_lo, exec_lo, s5
	s_cbranch_execnz .LBB16_37
; %bb.38:
	s_or_b32 exec_lo, exec_lo, s5
	v_mov_b32_e32 v39, 0
	ds_read_b64 v[39:40], v39 offset:48
	s_waitcnt lgkmcnt(0)
	v_mul_f32_e32 v41, v36, v40
	v_mul_f32_e32 v40, v42, v40
	v_fma_f32 v41, v42, v39, -v41
	v_fmac_f32_e32 v40, v36, v39
	buffer_store_dword v41, off, s[0:3], 0 offset:48
	buffer_store_dword v40, off, s[0:3], 0 offset:52
.LBB16_39:
	s_or_b32 exec_lo, exec_lo, s4
	s_waitcnt_vscnt null, 0x0
	s_barrier
	buffer_gl0_inv
	s_clause 0x1
	buffer_load_dword v39, off, s[0:3], 0 offset:56
	buffer_load_dword v40, off, s[0:3], 0 offset:60
	s_mov_b32 s4, exec_lo
	s_waitcnt vmcnt(0)
	ds_write_b64 v38, v[39:40]
	s_waitcnt lgkmcnt(0)
	s_barrier
	buffer_gl0_inv
	v_cmpx_gt_u32_e32 7, v0
	s_cbranch_execz .LBB16_43
; %bb.40:
	v_add_nc_u32_e32 v39, -1, v0
	v_add_nc_u32_e32 v40, 0x90, v37
	v_mov_b32_e32 v41, v37
	v_mov_b32_e32 v36, 0
	;; [unrolled: 1-line block ×3, first 2 shown]
	s_mov_b32 s5, 0
	.p2align	6
.LBB16_41:                              ; =>This Inner Loop Header: Depth=1
	s_clause 0x1
	buffer_load_dword v45, v41, s[0:3], 0 offen offset:4
	buffer_load_dword v46, v41, s[0:3], 0 offen
	ds_read_b64 v[43:44], v40
	v_add_nc_u32_e32 v39, 1, v39
	v_add_nc_u32_e32 v40, 8, v40
	;; [unrolled: 1-line block ×3, first 2 shown]
	v_cmp_lt_u32_e32 vcc_lo, 5, v39
	s_or_b32 s5, vcc_lo, s5
	s_waitcnt vmcnt(1) lgkmcnt(0)
	v_mul_f32_e32 v47, v44, v45
	v_mul_f32_e32 v45, v43, v45
	s_waitcnt vmcnt(0)
	v_fma_f32 v43, v43, v46, -v47
	v_fmac_f32_e32 v45, v44, v46
	v_add_f32_e32 v42, v42, v43
	v_add_f32_e32 v36, v36, v45
	s_andn2_b32 exec_lo, exec_lo, s5
	s_cbranch_execnz .LBB16_41
; %bb.42:
	s_or_b32 exec_lo, exec_lo, s5
	v_mov_b32_e32 v39, 0
	ds_read_b64 v[39:40], v39 offset:56
	s_waitcnt lgkmcnt(0)
	v_mul_f32_e32 v41, v36, v40
	v_mul_f32_e32 v40, v42, v40
	v_fma_f32 v41, v42, v39, -v41
	v_fmac_f32_e32 v40, v36, v39
	buffer_store_dword v41, off, s[0:3], 0 offset:56
	buffer_store_dword v40, off, s[0:3], 0 offset:60
.LBB16_43:
	s_or_b32 exec_lo, exec_lo, s4
	s_waitcnt_vscnt null, 0x0
	s_barrier
	buffer_gl0_inv
	s_clause 0x1
	buffer_load_dword v39, off, s[0:3], 0 offset:64
	buffer_load_dword v40, off, s[0:3], 0 offset:68
	s_mov_b32 s4, exec_lo
	s_waitcnt vmcnt(0)
	ds_write_b64 v38, v[39:40]
	s_waitcnt lgkmcnt(0)
	s_barrier
	buffer_gl0_inv
	v_cmpx_gt_u32_e32 8, v0
	s_cbranch_execz .LBB16_47
; %bb.44:
	v_add_nc_u32_e32 v39, -1, v0
	v_add_nc_u32_e32 v40, 0x90, v37
	v_mov_b32_e32 v41, v37
	v_mov_b32_e32 v36, 0
	;; [unrolled: 1-line block ×3, first 2 shown]
	s_mov_b32 s5, 0
	.p2align	6
.LBB16_45:                              ; =>This Inner Loop Header: Depth=1
	s_clause 0x1
	buffer_load_dword v45, v41, s[0:3], 0 offen offset:4
	buffer_load_dword v46, v41, s[0:3], 0 offen
	ds_read_b64 v[43:44], v40
	v_add_nc_u32_e32 v39, 1, v39
	v_add_nc_u32_e32 v40, 8, v40
	;; [unrolled: 1-line block ×3, first 2 shown]
	v_cmp_lt_u32_e32 vcc_lo, 6, v39
	s_or_b32 s5, vcc_lo, s5
	s_waitcnt vmcnt(1) lgkmcnt(0)
	v_mul_f32_e32 v47, v44, v45
	v_mul_f32_e32 v45, v43, v45
	s_waitcnt vmcnt(0)
	v_fma_f32 v43, v43, v46, -v47
	v_fmac_f32_e32 v45, v44, v46
	v_add_f32_e32 v42, v42, v43
	v_add_f32_e32 v36, v36, v45
	s_andn2_b32 exec_lo, exec_lo, s5
	s_cbranch_execnz .LBB16_45
; %bb.46:
	s_or_b32 exec_lo, exec_lo, s5
	v_mov_b32_e32 v39, 0
	ds_read_b64 v[39:40], v39 offset:64
	s_waitcnt lgkmcnt(0)
	v_mul_f32_e32 v41, v36, v40
	v_mul_f32_e32 v40, v42, v40
	v_fma_f32 v41, v42, v39, -v41
	v_fmac_f32_e32 v40, v36, v39
	buffer_store_dword v41, off, s[0:3], 0 offset:64
	buffer_store_dword v40, off, s[0:3], 0 offset:68
.LBB16_47:
	s_or_b32 exec_lo, exec_lo, s4
	s_waitcnt_vscnt null, 0x0
	s_barrier
	buffer_gl0_inv
	s_clause 0x1
	buffer_load_dword v39, off, s[0:3], 0 offset:72
	buffer_load_dword v40, off, s[0:3], 0 offset:76
	s_mov_b32 s4, exec_lo
	s_waitcnt vmcnt(0)
	ds_write_b64 v38, v[39:40]
	s_waitcnt lgkmcnt(0)
	s_barrier
	buffer_gl0_inv
	v_cmpx_gt_u32_e32 9, v0
	s_cbranch_execz .LBB16_51
; %bb.48:
	v_add_nc_u32_e32 v39, -1, v0
	v_add_nc_u32_e32 v40, 0x90, v37
	v_mov_b32_e32 v41, v37
	v_mov_b32_e32 v36, 0
	;; [unrolled: 1-line block ×3, first 2 shown]
	s_mov_b32 s5, 0
	.p2align	6
.LBB16_49:                              ; =>This Inner Loop Header: Depth=1
	s_clause 0x1
	buffer_load_dword v45, v41, s[0:3], 0 offen offset:4
	buffer_load_dword v46, v41, s[0:3], 0 offen
	ds_read_b64 v[43:44], v40
	v_add_nc_u32_e32 v39, 1, v39
	v_add_nc_u32_e32 v40, 8, v40
	;; [unrolled: 1-line block ×3, first 2 shown]
	v_cmp_lt_u32_e32 vcc_lo, 7, v39
	s_or_b32 s5, vcc_lo, s5
	s_waitcnt vmcnt(1) lgkmcnt(0)
	v_mul_f32_e32 v47, v44, v45
	v_mul_f32_e32 v45, v43, v45
	s_waitcnt vmcnt(0)
	v_fma_f32 v43, v43, v46, -v47
	v_fmac_f32_e32 v45, v44, v46
	v_add_f32_e32 v42, v42, v43
	v_add_f32_e32 v36, v36, v45
	s_andn2_b32 exec_lo, exec_lo, s5
	s_cbranch_execnz .LBB16_49
; %bb.50:
	s_or_b32 exec_lo, exec_lo, s5
	v_mov_b32_e32 v39, 0
	ds_read_b64 v[39:40], v39 offset:72
	s_waitcnt lgkmcnt(0)
	v_mul_f32_e32 v41, v36, v40
	v_mul_f32_e32 v40, v42, v40
	v_fma_f32 v41, v42, v39, -v41
	v_fmac_f32_e32 v40, v36, v39
	buffer_store_dword v41, off, s[0:3], 0 offset:72
	buffer_store_dword v40, off, s[0:3], 0 offset:76
.LBB16_51:
	s_or_b32 exec_lo, exec_lo, s4
	s_waitcnt_vscnt null, 0x0
	s_barrier
	buffer_gl0_inv
	s_clause 0x1
	buffer_load_dword v39, off, s[0:3], 0 offset:80
	buffer_load_dword v40, off, s[0:3], 0 offset:84
	s_mov_b32 s4, exec_lo
	s_waitcnt vmcnt(0)
	ds_write_b64 v38, v[39:40]
	s_waitcnt lgkmcnt(0)
	s_barrier
	buffer_gl0_inv
	v_cmpx_gt_u32_e32 10, v0
	s_cbranch_execz .LBB16_55
; %bb.52:
	v_add_nc_u32_e32 v39, -1, v0
	v_add_nc_u32_e32 v40, 0x90, v37
	v_mov_b32_e32 v41, v37
	v_mov_b32_e32 v36, 0
	;; [unrolled: 1-line block ×3, first 2 shown]
	s_mov_b32 s5, 0
	.p2align	6
.LBB16_53:                              ; =>This Inner Loop Header: Depth=1
	s_clause 0x1
	buffer_load_dword v45, v41, s[0:3], 0 offen offset:4
	buffer_load_dword v46, v41, s[0:3], 0 offen
	ds_read_b64 v[43:44], v40
	v_add_nc_u32_e32 v39, 1, v39
	v_add_nc_u32_e32 v40, 8, v40
	;; [unrolled: 1-line block ×3, first 2 shown]
	v_cmp_lt_u32_e32 vcc_lo, 8, v39
	s_or_b32 s5, vcc_lo, s5
	s_waitcnt vmcnt(1) lgkmcnt(0)
	v_mul_f32_e32 v47, v44, v45
	v_mul_f32_e32 v45, v43, v45
	s_waitcnt vmcnt(0)
	v_fma_f32 v43, v43, v46, -v47
	v_fmac_f32_e32 v45, v44, v46
	v_add_f32_e32 v42, v42, v43
	v_add_f32_e32 v36, v36, v45
	s_andn2_b32 exec_lo, exec_lo, s5
	s_cbranch_execnz .LBB16_53
; %bb.54:
	s_or_b32 exec_lo, exec_lo, s5
	v_mov_b32_e32 v39, 0
	ds_read_b64 v[39:40], v39 offset:80
	s_waitcnt lgkmcnt(0)
	v_mul_f32_e32 v41, v36, v40
	v_mul_f32_e32 v40, v42, v40
	v_fma_f32 v41, v42, v39, -v41
	v_fmac_f32_e32 v40, v36, v39
	buffer_store_dword v41, off, s[0:3], 0 offset:80
	buffer_store_dword v40, off, s[0:3], 0 offset:84
.LBB16_55:
	s_or_b32 exec_lo, exec_lo, s4
	s_waitcnt_vscnt null, 0x0
	s_barrier
	buffer_gl0_inv
	s_clause 0x1
	buffer_load_dword v39, off, s[0:3], 0 offset:88
	buffer_load_dword v40, off, s[0:3], 0 offset:92
	s_mov_b32 s4, exec_lo
	s_waitcnt vmcnt(0)
	ds_write_b64 v38, v[39:40]
	s_waitcnt lgkmcnt(0)
	s_barrier
	buffer_gl0_inv
	v_cmpx_gt_u32_e32 11, v0
	s_cbranch_execz .LBB16_59
; %bb.56:
	v_add_nc_u32_e32 v39, -1, v0
	v_add_nc_u32_e32 v40, 0x90, v37
	v_mov_b32_e32 v41, v37
	v_mov_b32_e32 v36, 0
	;; [unrolled: 1-line block ×3, first 2 shown]
	s_mov_b32 s5, 0
	.p2align	6
.LBB16_57:                              ; =>This Inner Loop Header: Depth=1
	s_clause 0x1
	buffer_load_dword v45, v41, s[0:3], 0 offen offset:4
	buffer_load_dword v46, v41, s[0:3], 0 offen
	ds_read_b64 v[43:44], v40
	v_add_nc_u32_e32 v39, 1, v39
	v_add_nc_u32_e32 v40, 8, v40
	v_add_nc_u32_e32 v41, 8, v41
	v_cmp_lt_u32_e32 vcc_lo, 9, v39
	s_or_b32 s5, vcc_lo, s5
	s_waitcnt vmcnt(1) lgkmcnt(0)
	v_mul_f32_e32 v47, v44, v45
	v_mul_f32_e32 v45, v43, v45
	s_waitcnt vmcnt(0)
	v_fma_f32 v43, v43, v46, -v47
	v_fmac_f32_e32 v45, v44, v46
	v_add_f32_e32 v42, v42, v43
	v_add_f32_e32 v36, v36, v45
	s_andn2_b32 exec_lo, exec_lo, s5
	s_cbranch_execnz .LBB16_57
; %bb.58:
	s_or_b32 exec_lo, exec_lo, s5
	v_mov_b32_e32 v39, 0
	ds_read_b64 v[39:40], v39 offset:88
	s_waitcnt lgkmcnt(0)
	v_mul_f32_e32 v41, v36, v40
	v_mul_f32_e32 v40, v42, v40
	v_fma_f32 v41, v42, v39, -v41
	v_fmac_f32_e32 v40, v36, v39
	buffer_store_dword v41, off, s[0:3], 0 offset:88
	buffer_store_dword v40, off, s[0:3], 0 offset:92
.LBB16_59:
	s_or_b32 exec_lo, exec_lo, s4
	s_waitcnt_vscnt null, 0x0
	s_barrier
	buffer_gl0_inv
	s_clause 0x1
	buffer_load_dword v39, off, s[0:3], 0 offset:96
	buffer_load_dword v40, off, s[0:3], 0 offset:100
	s_mov_b32 s4, exec_lo
	s_waitcnt vmcnt(0)
	ds_write_b64 v38, v[39:40]
	s_waitcnt lgkmcnt(0)
	s_barrier
	buffer_gl0_inv
	v_cmpx_gt_u32_e32 12, v0
	s_cbranch_execz .LBB16_63
; %bb.60:
	v_add_nc_u32_e32 v39, -1, v0
	v_add_nc_u32_e32 v40, 0x90, v37
	v_mov_b32_e32 v41, v37
	v_mov_b32_e32 v36, 0
	;; [unrolled: 1-line block ×3, first 2 shown]
	s_mov_b32 s5, 0
	.p2align	6
.LBB16_61:                              ; =>This Inner Loop Header: Depth=1
	s_clause 0x1
	buffer_load_dword v45, v41, s[0:3], 0 offen offset:4
	buffer_load_dword v46, v41, s[0:3], 0 offen
	ds_read_b64 v[43:44], v40
	v_add_nc_u32_e32 v39, 1, v39
	v_add_nc_u32_e32 v40, 8, v40
	v_add_nc_u32_e32 v41, 8, v41
	v_cmp_lt_u32_e32 vcc_lo, 10, v39
	s_or_b32 s5, vcc_lo, s5
	s_waitcnt vmcnt(1) lgkmcnt(0)
	v_mul_f32_e32 v47, v44, v45
	v_mul_f32_e32 v45, v43, v45
	s_waitcnt vmcnt(0)
	v_fma_f32 v43, v43, v46, -v47
	v_fmac_f32_e32 v45, v44, v46
	v_add_f32_e32 v42, v42, v43
	v_add_f32_e32 v36, v36, v45
	s_andn2_b32 exec_lo, exec_lo, s5
	s_cbranch_execnz .LBB16_61
; %bb.62:
	s_or_b32 exec_lo, exec_lo, s5
	v_mov_b32_e32 v39, 0
	ds_read_b64 v[39:40], v39 offset:96
	s_waitcnt lgkmcnt(0)
	v_mul_f32_e32 v41, v36, v40
	v_mul_f32_e32 v40, v42, v40
	v_fma_f32 v41, v42, v39, -v41
	v_fmac_f32_e32 v40, v36, v39
	buffer_store_dword v41, off, s[0:3], 0 offset:96
	buffer_store_dword v40, off, s[0:3], 0 offset:100
.LBB16_63:
	s_or_b32 exec_lo, exec_lo, s4
	s_waitcnt_vscnt null, 0x0
	s_barrier
	buffer_gl0_inv
	s_clause 0x1
	buffer_load_dword v39, off, s[0:3], 0 offset:104
	buffer_load_dword v40, off, s[0:3], 0 offset:108
	s_mov_b32 s4, exec_lo
	s_waitcnt vmcnt(0)
	ds_write_b64 v38, v[39:40]
	s_waitcnt lgkmcnt(0)
	s_barrier
	buffer_gl0_inv
	v_cmpx_gt_u32_e32 13, v0
	s_cbranch_execz .LBB16_67
; %bb.64:
	v_add_nc_u32_e32 v39, -1, v0
	v_add_nc_u32_e32 v40, 0x90, v37
	v_mov_b32_e32 v41, v37
	v_mov_b32_e32 v36, 0
	;; [unrolled: 1-line block ×3, first 2 shown]
	s_mov_b32 s5, 0
	.p2align	6
.LBB16_65:                              ; =>This Inner Loop Header: Depth=1
	s_clause 0x1
	buffer_load_dword v45, v41, s[0:3], 0 offen offset:4
	buffer_load_dword v46, v41, s[0:3], 0 offen
	ds_read_b64 v[43:44], v40
	v_add_nc_u32_e32 v39, 1, v39
	v_add_nc_u32_e32 v40, 8, v40
	v_add_nc_u32_e32 v41, 8, v41
	v_cmp_lt_u32_e32 vcc_lo, 11, v39
	s_or_b32 s5, vcc_lo, s5
	s_waitcnt vmcnt(1) lgkmcnt(0)
	v_mul_f32_e32 v47, v44, v45
	v_mul_f32_e32 v45, v43, v45
	s_waitcnt vmcnt(0)
	v_fma_f32 v43, v43, v46, -v47
	v_fmac_f32_e32 v45, v44, v46
	v_add_f32_e32 v42, v42, v43
	v_add_f32_e32 v36, v36, v45
	s_andn2_b32 exec_lo, exec_lo, s5
	s_cbranch_execnz .LBB16_65
; %bb.66:
	s_or_b32 exec_lo, exec_lo, s5
	v_mov_b32_e32 v39, 0
	ds_read_b64 v[39:40], v39 offset:104
	s_waitcnt lgkmcnt(0)
	v_mul_f32_e32 v41, v36, v40
	v_mul_f32_e32 v40, v42, v40
	v_fma_f32 v41, v42, v39, -v41
	v_fmac_f32_e32 v40, v36, v39
	buffer_store_dword v41, off, s[0:3], 0 offset:104
	buffer_store_dword v40, off, s[0:3], 0 offset:108
.LBB16_67:
	s_or_b32 exec_lo, exec_lo, s4
	s_waitcnt_vscnt null, 0x0
	s_barrier
	buffer_gl0_inv
	s_clause 0x1
	buffer_load_dword v39, off, s[0:3], 0 offset:112
	buffer_load_dword v40, off, s[0:3], 0 offset:116
	s_mov_b32 s4, exec_lo
	s_waitcnt vmcnt(0)
	ds_write_b64 v38, v[39:40]
	s_waitcnt lgkmcnt(0)
	s_barrier
	buffer_gl0_inv
	v_cmpx_gt_u32_e32 14, v0
	s_cbranch_execz .LBB16_71
; %bb.68:
	v_add_nc_u32_e32 v39, -1, v0
	v_add_nc_u32_e32 v40, 0x90, v37
	v_mov_b32_e32 v41, v37
	v_mov_b32_e32 v36, 0
	;; [unrolled: 1-line block ×3, first 2 shown]
	s_mov_b32 s5, 0
	.p2align	6
.LBB16_69:                              ; =>This Inner Loop Header: Depth=1
	s_clause 0x1
	buffer_load_dword v45, v41, s[0:3], 0 offen offset:4
	buffer_load_dword v46, v41, s[0:3], 0 offen
	ds_read_b64 v[43:44], v40
	v_add_nc_u32_e32 v39, 1, v39
	v_add_nc_u32_e32 v40, 8, v40
	;; [unrolled: 1-line block ×3, first 2 shown]
	v_cmp_lt_u32_e32 vcc_lo, 12, v39
	s_or_b32 s5, vcc_lo, s5
	s_waitcnt vmcnt(1) lgkmcnt(0)
	v_mul_f32_e32 v47, v44, v45
	v_mul_f32_e32 v45, v43, v45
	s_waitcnt vmcnt(0)
	v_fma_f32 v43, v43, v46, -v47
	v_fmac_f32_e32 v45, v44, v46
	v_add_f32_e32 v42, v42, v43
	v_add_f32_e32 v36, v36, v45
	s_andn2_b32 exec_lo, exec_lo, s5
	s_cbranch_execnz .LBB16_69
; %bb.70:
	s_or_b32 exec_lo, exec_lo, s5
	v_mov_b32_e32 v39, 0
	ds_read_b64 v[39:40], v39 offset:112
	s_waitcnt lgkmcnt(0)
	v_mul_f32_e32 v41, v36, v40
	v_mul_f32_e32 v40, v42, v40
	v_fma_f32 v41, v42, v39, -v41
	v_fmac_f32_e32 v40, v36, v39
	buffer_store_dword v41, off, s[0:3], 0 offset:112
	buffer_store_dword v40, off, s[0:3], 0 offset:116
.LBB16_71:
	s_or_b32 exec_lo, exec_lo, s4
	s_waitcnt_vscnt null, 0x0
	s_barrier
	buffer_gl0_inv
	s_clause 0x1
	buffer_load_dword v39, off, s[0:3], 0 offset:120
	buffer_load_dword v40, off, s[0:3], 0 offset:124
	s_mov_b32 s4, exec_lo
	s_waitcnt vmcnt(0)
	ds_write_b64 v38, v[39:40]
	s_waitcnt lgkmcnt(0)
	s_barrier
	buffer_gl0_inv
	v_cmpx_gt_u32_e32 15, v0
	s_cbranch_execz .LBB16_75
; %bb.72:
	v_add_nc_u32_e32 v39, -1, v0
	v_add_nc_u32_e32 v40, 0x90, v37
	v_mov_b32_e32 v41, v37
	v_mov_b32_e32 v36, 0
	;; [unrolled: 1-line block ×3, first 2 shown]
	s_mov_b32 s5, 0
	.p2align	6
.LBB16_73:                              ; =>This Inner Loop Header: Depth=1
	s_clause 0x1
	buffer_load_dword v45, v41, s[0:3], 0 offen offset:4
	buffer_load_dword v46, v41, s[0:3], 0 offen
	ds_read_b64 v[43:44], v40
	v_add_nc_u32_e32 v39, 1, v39
	v_add_nc_u32_e32 v40, 8, v40
	;; [unrolled: 1-line block ×3, first 2 shown]
	v_cmp_lt_u32_e32 vcc_lo, 13, v39
	s_or_b32 s5, vcc_lo, s5
	s_waitcnt vmcnt(1) lgkmcnt(0)
	v_mul_f32_e32 v47, v44, v45
	v_mul_f32_e32 v45, v43, v45
	s_waitcnt vmcnt(0)
	v_fma_f32 v43, v43, v46, -v47
	v_fmac_f32_e32 v45, v44, v46
	v_add_f32_e32 v42, v42, v43
	v_add_f32_e32 v36, v36, v45
	s_andn2_b32 exec_lo, exec_lo, s5
	s_cbranch_execnz .LBB16_73
; %bb.74:
	s_or_b32 exec_lo, exec_lo, s5
	v_mov_b32_e32 v39, 0
	ds_read_b64 v[39:40], v39 offset:120
	s_waitcnt lgkmcnt(0)
	v_mul_f32_e32 v41, v36, v40
	v_mul_f32_e32 v40, v42, v40
	v_fma_f32 v41, v42, v39, -v41
	v_fmac_f32_e32 v40, v36, v39
	buffer_store_dword v41, off, s[0:3], 0 offset:120
	buffer_store_dword v40, off, s[0:3], 0 offset:124
.LBB16_75:
	s_or_b32 exec_lo, exec_lo, s4
	s_waitcnt_vscnt null, 0x0
	s_barrier
	buffer_gl0_inv
	s_clause 0x1
	buffer_load_dword v39, off, s[0:3], 0 offset:128
	buffer_load_dword v40, off, s[0:3], 0 offset:132
	s_mov_b32 s4, exec_lo
	s_waitcnt vmcnt(0)
	ds_write_b64 v38, v[39:40]
	s_waitcnt lgkmcnt(0)
	s_barrier
	buffer_gl0_inv
	v_cmpx_ne_u32_e32 16, v0
	s_cbranch_execz .LBB16_79
; %bb.76:
	v_mov_b32_e32 v36, 0
	v_mov_b32_e32 v39, 0
	s_mov_b32 s5, 0
	.p2align	6
.LBB16_77:                              ; =>This Inner Loop Header: Depth=1
	s_clause 0x1
	buffer_load_dword v42, v37, s[0:3], 0 offen offset:4
	buffer_load_dword v43, v37, s[0:3], 0 offen
	ds_read_b64 v[40:41], v38
	v_add_nc_u32_e32 v35, 1, v35
	v_add_nc_u32_e32 v38, 8, v38
	v_add_nc_u32_e32 v37, 8, v37
	v_cmp_lt_u32_e32 vcc_lo, 14, v35
	s_or_b32 s5, vcc_lo, s5
	s_waitcnt vmcnt(1) lgkmcnt(0)
	v_mul_f32_e32 v44, v41, v42
	v_mul_f32_e32 v42, v40, v42
	s_waitcnt vmcnt(0)
	v_fma_f32 v40, v40, v43, -v44
	v_fmac_f32_e32 v42, v41, v43
	v_add_f32_e32 v39, v39, v40
	v_add_f32_e32 v36, v36, v42
	s_andn2_b32 exec_lo, exec_lo, s5
	s_cbranch_execnz .LBB16_77
; %bb.78:
	s_or_b32 exec_lo, exec_lo, s5
	v_mov_b32_e32 v35, 0
	ds_read_b64 v[37:38], v35 offset:128
	s_waitcnt lgkmcnt(0)
	v_mul_f32_e32 v35, v36, v38
	v_mul_f32_e32 v38, v39, v38
	v_fma_f32 v35, v39, v37, -v35
	v_fmac_f32_e32 v38, v36, v37
	buffer_store_dword v35, off, s[0:3], 0 offset:128
	buffer_store_dword v38, off, s[0:3], 0 offset:132
.LBB16_79:
	s_or_b32 exec_lo, exec_lo, s4
	s_mov_b32 s5, -1
	s_waitcnt_vscnt null, 0x0
	s_barrier
	buffer_gl0_inv
.LBB16_80:
	s_and_b32 vcc_lo, exec_lo, s5
	s_cbranch_vccz .LBB16_82
; %bb.81:
	s_lshl_b64 s[4:5], s[6:7], 2
	v_mov_b32_e32 v35, 0
	s_add_u32 s4, s10, s4
	s_addc_u32 s5, s11, s5
	global_load_dword v35, v35, s[4:5]
	s_waitcnt vmcnt(0)
	v_cmp_ne_u32_e32 vcc_lo, 0, v35
	s_cbranch_vccz .LBB16_83
.LBB16_82:
	s_endpgm
.LBB16_83:
	v_lshl_add_u32 v35, v0, 3, 0x90
	s_mov_b32 s4, exec_lo
	v_cmpx_eq_u32_e32 16, v0
	s_cbranch_execz .LBB16_85
; %bb.84:
	s_clause 0x1
	buffer_load_dword v36, off, s[0:3], 0 offset:120
	buffer_load_dword v37, off, s[0:3], 0 offset:124
	v_mov_b32_e32 v38, 0
	buffer_store_dword v38, off, s[0:3], 0 offset:120
	buffer_store_dword v38, off, s[0:3], 0 offset:124
	s_waitcnt vmcnt(0)
	ds_write_b64 v35, v[36:37]
.LBB16_85:
	s_or_b32 exec_lo, exec_lo, s4
	s_waitcnt lgkmcnt(0)
	s_waitcnt_vscnt null, 0x0
	s_barrier
	buffer_gl0_inv
	s_clause 0x3
	buffer_load_dword v39, off, s[0:3], 0 offset:132
	buffer_load_dword v40, off, s[0:3], 0 offset:128
	;; [unrolled: 1-line block ×4, first 2 shown]
	v_mov_b32_e32 v36, 0
	s_mov_b32 s4, exec_lo
	ds_read_b64 v[37:38], v36 offset:272
	s_waitcnt vmcnt(3) lgkmcnt(0)
	v_mul_f32_e32 v43, v38, v39
	v_mul_f32_e32 v39, v37, v39
	s_waitcnt vmcnt(2)
	v_fma_f32 v37, v37, v40, -v43
	v_fmac_f32_e32 v39, v38, v40
	v_add_f32_e32 v37, 0, v37
	v_add_f32_e32 v38, 0, v39
	s_waitcnt vmcnt(1)
	v_sub_f32_e32 v37, v41, v37
	s_waitcnt vmcnt(0)
	v_sub_f32_e32 v38, v42, v38
	buffer_store_dword v37, off, s[0:3], 0 offset:120
	buffer_store_dword v38, off, s[0:3], 0 offset:124
	v_cmpx_lt_u32_e32 14, v0
	s_cbranch_execz .LBB16_87
; %bb.86:
	s_clause 0x1
	buffer_load_dword v37, off, s[0:3], 0 offset:112
	buffer_load_dword v38, off, s[0:3], 0 offset:116
	buffer_store_dword v36, off, s[0:3], 0 offset:112
	buffer_store_dword v36, off, s[0:3], 0 offset:116
	s_waitcnt vmcnt(0)
	ds_write_b64 v35, v[37:38]
.LBB16_87:
	s_or_b32 exec_lo, exec_lo, s4
	s_waitcnt lgkmcnt(0)
	s_waitcnt_vscnt null, 0x0
	s_barrier
	buffer_gl0_inv
	s_clause 0x5
	buffer_load_dword v40, off, s[0:3], 0 offset:124
	buffer_load_dword v41, off, s[0:3], 0 offset:132
	;; [unrolled: 1-line block ×6, first 2 shown]
	ds_read2_b64 v[36:39], v36 offset0:33 offset1:34
	s_mov_b32 s4, exec_lo
	s_waitcnt vmcnt(5) lgkmcnt(0)
	v_mul_f32_e32 v46, v37, v40
	v_mul_f32_e32 v40, v36, v40
	s_waitcnt vmcnt(4)
	v_mul_f32_e32 v47, v38, v41
	v_mul_f32_e32 v41, v39, v41
	s_waitcnt vmcnt(3)
	v_fma_f32 v36, v36, v42, -v46
	v_fmac_f32_e32 v40, v37, v42
	s_waitcnt vmcnt(2)
	v_fmac_f32_e32 v47, v39, v43
	v_fma_f32 v37, v38, v43, -v41
	v_add_f32_e32 v36, 0, v36
	v_add_f32_e32 v38, 0, v40
	;; [unrolled: 1-line block ×4, first 2 shown]
	s_waitcnt vmcnt(1)
	v_sub_f32_e32 v36, v44, v36
	s_waitcnt vmcnt(0)
	v_sub_f32_e32 v37, v45, v37
	buffer_store_dword v36, off, s[0:3], 0 offset:112
	buffer_store_dword v37, off, s[0:3], 0 offset:116
	v_cmpx_lt_u32_e32 13, v0
	s_cbranch_execz .LBB16_89
; %bb.88:
	s_clause 0x1
	buffer_load_dword v36, off, s[0:3], 0 offset:104
	buffer_load_dword v37, off, s[0:3], 0 offset:108
	v_mov_b32_e32 v38, 0
	buffer_store_dword v38, off, s[0:3], 0 offset:104
	buffer_store_dword v38, off, s[0:3], 0 offset:108
	s_waitcnt vmcnt(0)
	ds_write_b64 v35, v[36:37]
.LBB16_89:
	s_or_b32 exec_lo, exec_lo, s4
	s_waitcnt lgkmcnt(0)
	s_waitcnt_vscnt null, 0x0
	s_barrier
	buffer_gl0_inv
	s_clause 0x7
	buffer_load_dword v43, off, s[0:3], 0 offset:116
	buffer_load_dword v44, off, s[0:3], 0 offset:124
	;; [unrolled: 1-line block ×8, first 2 shown]
	v_mov_b32_e32 v36, 0
	ds_read_b128 v[37:40], v36 offset:256
	ds_read_b64 v[41:42], v36 offset:272
	s_mov_b32 s4, exec_lo
	s_waitcnt vmcnt(7) lgkmcnt(1)
	v_mul_f32_e32 v51, v38, v43
	v_mul_f32_e32 v43, v37, v43
	s_waitcnt vmcnt(6)
	v_mul_f32_e32 v52, v39, v44
	v_mul_f32_e32 v44, v40, v44
	s_waitcnt vmcnt(5) lgkmcnt(0)
	v_mul_f32_e32 v53, v41, v45
	s_waitcnt vmcnt(4)
	v_fma_f32 v37, v37, v46, -v51
	v_fmac_f32_e32 v43, v38, v46
	v_mul_f32_e32 v38, v42, v45
	s_waitcnt vmcnt(3)
	v_fma_f32 v39, v39, v47, -v44
	v_fmac_f32_e32 v52, v40, v47
	v_add_f32_e32 v37, 0, v37
	v_add_f32_e32 v40, 0, v43
	s_waitcnt vmcnt(2)
	v_fma_f32 v38, v41, v48, -v38
	v_fmac_f32_e32 v53, v42, v48
	v_add_f32_e32 v37, v37, v39
	v_add_f32_e32 v39, v40, v52
	;; [unrolled: 1-line block ×4, first 2 shown]
	s_waitcnt vmcnt(1)
	v_sub_f32_e32 v37, v49, v37
	s_waitcnt vmcnt(0)
	v_sub_f32_e32 v38, v50, v38
	buffer_store_dword v37, off, s[0:3], 0 offset:104
	buffer_store_dword v38, off, s[0:3], 0 offset:108
	v_cmpx_lt_u32_e32 12, v0
	s_cbranch_execz .LBB16_91
; %bb.90:
	s_clause 0x1
	buffer_load_dword v37, off, s[0:3], 0 offset:96
	buffer_load_dword v38, off, s[0:3], 0 offset:100
	buffer_store_dword v36, off, s[0:3], 0 offset:96
	buffer_store_dword v36, off, s[0:3], 0 offset:100
	s_waitcnt vmcnt(0)
	ds_write_b64 v35, v[37:38]
.LBB16_91:
	s_or_b32 exec_lo, exec_lo, s4
	s_waitcnt lgkmcnt(0)
	s_waitcnt_vscnt null, 0x0
	s_barrier
	buffer_gl0_inv
	s_clause 0x9
	buffer_load_dword v45, off, s[0:3], 0 offset:108
	buffer_load_dword v46, off, s[0:3], 0 offset:116
	;; [unrolled: 1-line block ×10, first 2 shown]
	ds_read2_b64 v[37:40], v36 offset0:31 offset1:32
	ds_read2_b64 v[41:44], v36 offset0:33 offset1:34
	s_mov_b32 s4, exec_lo
	s_waitcnt vmcnt(9) lgkmcnt(1)
	v_mul_f32_e32 v36, v37, v45
	v_mul_f32_e32 v45, v38, v45
	s_waitcnt vmcnt(8)
	v_mul_f32_e32 v55, v39, v46
	v_mul_f32_e32 v46, v40, v46
	s_waitcnt vmcnt(7) lgkmcnt(0)
	v_mul_f32_e32 v56, v41, v47
	s_waitcnt vmcnt(5)
	v_fmac_f32_e32 v36, v38, v49
	v_fma_f32 v37, v37, v49, -v45
	v_mul_f32_e32 v38, v42, v47
	s_waitcnt vmcnt(4)
	v_fma_f32 v39, v39, v50, -v46
	v_fmac_f32_e32 v55, v40, v50
	v_add_f32_e32 v36, 0, v36
	v_add_f32_e32 v37, 0, v37
	v_mul_f32_e32 v40, v44, v48
	s_waitcnt vmcnt(3)
	v_fma_f32 v38, v41, v51, -v38
	v_mul_f32_e32 v57, v43, v48
	v_fmac_f32_e32 v56, v42, v51
	v_add_f32_e32 v37, v37, v39
	v_add_f32_e32 v36, v36, v55
	s_waitcnt vmcnt(2)
	v_fma_f32 v39, v43, v52, -v40
	v_fmac_f32_e32 v57, v44, v52
	v_add_f32_e32 v37, v37, v38
	v_add_f32_e32 v36, v36, v56
	;; [unrolled: 1-line block ×4, first 2 shown]
	s_waitcnt vmcnt(1)
	v_sub_f32_e32 v37, v53, v37
	s_waitcnt vmcnt(0)
	v_sub_f32_e32 v36, v54, v36
	buffer_store_dword v37, off, s[0:3], 0 offset:96
	buffer_store_dword v36, off, s[0:3], 0 offset:100
	v_cmpx_lt_u32_e32 11, v0
	s_cbranch_execz .LBB16_93
; %bb.92:
	s_clause 0x1
	buffer_load_dword v36, off, s[0:3], 0 offset:88
	buffer_load_dword v37, off, s[0:3], 0 offset:92
	v_mov_b32_e32 v38, 0
	buffer_store_dword v38, off, s[0:3], 0 offset:88
	buffer_store_dword v38, off, s[0:3], 0 offset:92
	s_waitcnt vmcnt(0)
	ds_write_b64 v35, v[36:37]
.LBB16_93:
	s_or_b32 exec_lo, exec_lo, s4
	s_waitcnt lgkmcnt(0)
	s_waitcnt_vscnt null, 0x0
	s_barrier
	buffer_gl0_inv
	s_clause 0xb
	buffer_load_dword v47, off, s[0:3], 0 offset:100
	buffer_load_dword v48, off, s[0:3], 0 offset:108
	;; [unrolled: 1-line block ×12, first 2 shown]
	v_mov_b32_e32 v36, 0
	ds_read_b128 v[37:40], v36 offset:240
	ds_read_b128 v[41:44], v36 offset:256
	ds_read_b64 v[45:46], v36 offset:272
	s_mov_b32 s4, exec_lo
	s_waitcnt vmcnt(11) lgkmcnt(2)
	v_mul_f32_e32 v59, v37, v47
	v_mul_f32_e32 v47, v38, v47
	s_waitcnt vmcnt(10)
	v_mul_f32_e32 v60, v39, v48
	v_mul_f32_e32 v48, v40, v48
	s_waitcnt vmcnt(9) lgkmcnt(1)
	v_mul_f32_e32 v61, v41, v49
	s_waitcnt vmcnt(6)
	v_fmac_f32_e32 v59, v38, v52
	v_fma_f32 v37, v37, v52, -v47
	v_mul_f32_e32 v38, v42, v49
	s_waitcnt vmcnt(5)
	v_fma_f32 v39, v39, v53, -v48
	v_fmac_f32_e32 v60, v40, v53
	v_add_f32_e32 v40, 0, v59
	v_add_f32_e32 v37, 0, v37
	v_mul_f32_e32 v47, v44, v50
	s_waitcnt vmcnt(4)
	v_fma_f32 v38, v41, v54, -v38
	v_mul_f32_e32 v62, v43, v50
	v_fmac_f32_e32 v61, v42, v54
	v_add_f32_e32 v37, v37, v39
	v_add_f32_e32 v39, v40, v60
	s_waitcnt lgkmcnt(0)
	v_mul_f32_e32 v40, v46, v51
	s_waitcnt vmcnt(3)
	v_fma_f32 v41, v43, v55, -v47
	v_mul_f32_e32 v63, v45, v51
	v_add_f32_e32 v37, v37, v38
	v_fmac_f32_e32 v62, v44, v55
	v_add_f32_e32 v38, v39, v61
	s_waitcnt vmcnt(2)
	v_fma_f32 v39, v45, v56, -v40
	v_fmac_f32_e32 v63, v46, v56
	v_add_f32_e32 v37, v37, v41
	v_add_f32_e32 v38, v38, v62
	;; [unrolled: 1-line block ×4, first 2 shown]
	s_waitcnt vmcnt(1)
	v_sub_f32_e32 v37, v57, v37
	s_waitcnt vmcnt(0)
	v_sub_f32_e32 v38, v58, v38
	buffer_store_dword v37, off, s[0:3], 0 offset:88
	buffer_store_dword v38, off, s[0:3], 0 offset:92
	v_cmpx_lt_u32_e32 10, v0
	s_cbranch_execz .LBB16_95
; %bb.94:
	s_clause 0x1
	buffer_load_dword v37, off, s[0:3], 0 offset:80
	buffer_load_dword v38, off, s[0:3], 0 offset:84
	buffer_store_dword v36, off, s[0:3], 0 offset:80
	buffer_store_dword v36, off, s[0:3], 0 offset:84
	s_waitcnt vmcnt(0)
	ds_write_b64 v35, v[37:38]
.LBB16_95:
	s_or_b32 exec_lo, exec_lo, s4
	s_waitcnt lgkmcnt(0)
	s_waitcnt_vscnt null, 0x0
	s_barrier
	buffer_gl0_inv
	s_clause 0xd
	buffer_load_dword v49, off, s[0:3], 0 offset:92
	buffer_load_dword v50, off, s[0:3], 0 offset:100
	;; [unrolled: 1-line block ×14, first 2 shown]
	ds_read2_b64 v[37:40], v36 offset0:29 offset1:30
	ds_read2_b64 v[41:44], v36 offset0:31 offset1:32
	;; [unrolled: 1-line block ×3, first 2 shown]
	s_mov_b32 s4, exec_lo
	s_waitcnt vmcnt(13) lgkmcnt(2)
	v_mul_f32_e32 v36, v37, v49
	v_mul_f32_e32 v49, v38, v49
	s_waitcnt vmcnt(12)
	v_mul_f32_e32 v63, v39, v50
	v_mul_f32_e32 v50, v40, v50
	s_waitcnt vmcnt(11) lgkmcnt(1)
	v_mul_f32_e32 v64, v41, v51
	s_waitcnt vmcnt(10)
	v_mul_f32_e32 v65, v43, v52
	s_waitcnt vmcnt(7)
	v_fma_f32 v37, v37, v55, -v49
	v_fmac_f32_e32 v36, v38, v55
	v_mul_f32_e32 v38, v42, v51
	s_waitcnt vmcnt(6)
	v_fma_f32 v39, v39, v56, -v50
	v_fmac_f32_e32 v63, v40, v56
	v_add_f32_e32 v37, 0, v37
	v_add_f32_e32 v36, 0, v36
	v_mul_f32_e32 v40, v44, v52
	s_waitcnt vmcnt(5)
	v_fma_f32 v38, v41, v57, -v38
	v_fmac_f32_e32 v64, v42, v57
	v_add_f32_e32 v37, v37, v39
	v_add_f32_e32 v36, v36, v63
	s_waitcnt lgkmcnt(0)
	v_mul_f32_e32 v39, v46, v53
	s_waitcnt vmcnt(4)
	v_fma_f32 v40, v43, v58, -v40
	v_mul_f32_e32 v66, v45, v53
	v_add_f32_e32 v37, v37, v38
	v_fmac_f32_e32 v65, v44, v58
	v_add_f32_e32 v36, v36, v64
	v_mul_f32_e32 v38, v48, v54
	s_waitcnt vmcnt(3)
	v_fma_f32 v39, v45, v59, -v39
	v_add_f32_e32 v37, v37, v40
	v_mul_f32_e32 v67, v47, v54
	v_fmac_f32_e32 v66, v46, v59
	v_add_f32_e32 v36, v36, v65
	s_waitcnt vmcnt(2)
	v_fma_f32 v38, v47, v60, -v38
	v_add_f32_e32 v37, v37, v39
	v_fmac_f32_e32 v67, v48, v60
	v_add_f32_e32 v36, v36, v66
	v_add_f32_e32 v37, v37, v38
	;; [unrolled: 1-line block ×3, first 2 shown]
	s_waitcnt vmcnt(1)
	v_sub_f32_e32 v37, v61, v37
	s_waitcnt vmcnt(0)
	v_sub_f32_e32 v36, v62, v36
	buffer_store_dword v37, off, s[0:3], 0 offset:80
	buffer_store_dword v36, off, s[0:3], 0 offset:84
	v_cmpx_lt_u32_e32 9, v0
	s_cbranch_execz .LBB16_97
; %bb.96:
	s_clause 0x1
	buffer_load_dword v36, off, s[0:3], 0 offset:72
	buffer_load_dword v37, off, s[0:3], 0 offset:76
	v_mov_b32_e32 v38, 0
	buffer_store_dword v38, off, s[0:3], 0 offset:72
	buffer_store_dword v38, off, s[0:3], 0 offset:76
	s_waitcnt vmcnt(0)
	ds_write_b64 v35, v[36:37]
.LBB16_97:
	s_or_b32 exec_lo, exec_lo, s4
	s_waitcnt lgkmcnt(0)
	s_waitcnt_vscnt null, 0x0
	s_barrier
	buffer_gl0_inv
	s_clause 0xf
	buffer_load_dword v51, off, s[0:3], 0 offset:84
	buffer_load_dword v52, off, s[0:3], 0 offset:92
	;; [unrolled: 1-line block ×16, first 2 shown]
	v_mov_b32_e32 v36, 0
	ds_read_b128 v[37:40], v36 offset:224
	ds_read_b128 v[41:44], v36 offset:240
	;; [unrolled: 1-line block ×3, first 2 shown]
	ds_read_b64 v[49:50], v36 offset:272
	s_mov_b32 s4, exec_lo
	s_waitcnt vmcnt(15) lgkmcnt(3)
	v_mul_f32_e32 v67, v37, v51
	v_mul_f32_e32 v51, v38, v51
	s_waitcnt vmcnt(14)
	v_mul_f32_e32 v68, v39, v52
	v_mul_f32_e32 v52, v40, v52
	s_waitcnt vmcnt(13) lgkmcnt(2)
	v_mul_f32_e32 v69, v41, v53
	s_waitcnt vmcnt(12)
	v_mul_f32_e32 v70, v43, v54
	s_waitcnt vmcnt(11) lgkmcnt(1)
	v_mul_f32_e32 v71, v45, v55
	s_waitcnt vmcnt(8)
	v_fma_f32 v37, v37, v58, -v51
	v_fmac_f32_e32 v67, v38, v58
	v_mul_f32_e32 v38, v42, v53
	s_waitcnt vmcnt(7)
	v_fma_f32 v39, v39, v59, -v52
	v_fmac_f32_e32 v68, v40, v59
	v_add_f32_e32 v37, 0, v37
	v_add_f32_e32 v40, 0, v67
	v_mul_f32_e32 v51, v44, v54
	s_waitcnt vmcnt(6)
	v_fma_f32 v38, v41, v60, -v38
	v_fmac_f32_e32 v69, v42, v60
	v_add_f32_e32 v37, v37, v39
	v_add_f32_e32 v39, v40, v68
	;; [unrolled: 6-line block ×3, first 2 shown]
	v_mul_f32_e32 v39, v48, v56
	s_waitcnt vmcnt(4)
	v_fma_f32 v40, v45, v62, -v40
	v_mul_f32_e32 v72, v47, v56
	v_add_f32_e32 v37, v37, v41
	v_fmac_f32_e32 v71, v46, v62
	v_add_f32_e32 v38, v38, v70
	s_waitcnt lgkmcnt(0)
	v_mul_f32_e32 v41, v50, v57
	s_waitcnt vmcnt(3)
	v_fma_f32 v39, v47, v63, -v39
	v_add_f32_e32 v37, v37, v40
	v_mul_f32_e32 v73, v49, v57
	v_fmac_f32_e32 v72, v48, v63
	v_add_f32_e32 v38, v38, v71
	s_waitcnt vmcnt(2)
	v_fma_f32 v40, v49, v64, -v41
	v_add_f32_e32 v37, v37, v39
	v_fmac_f32_e32 v73, v50, v64
	v_add_f32_e32 v38, v38, v72
	v_add_f32_e32 v37, v37, v40
	;; [unrolled: 1-line block ×3, first 2 shown]
	s_waitcnt vmcnt(1)
	v_sub_f32_e32 v37, v65, v37
	s_waitcnt vmcnt(0)
	v_sub_f32_e32 v38, v66, v38
	buffer_store_dword v37, off, s[0:3], 0 offset:72
	buffer_store_dword v38, off, s[0:3], 0 offset:76
	v_cmpx_lt_u32_e32 8, v0
	s_cbranch_execz .LBB16_99
; %bb.98:
	s_clause 0x1
	buffer_load_dword v37, off, s[0:3], 0 offset:64
	buffer_load_dword v38, off, s[0:3], 0 offset:68
	buffer_store_dword v36, off, s[0:3], 0 offset:64
	buffer_store_dword v36, off, s[0:3], 0 offset:68
	s_waitcnt vmcnt(0)
	ds_write_b64 v35, v[37:38]
.LBB16_99:
	s_or_b32 exec_lo, exec_lo, s4
	s_waitcnt lgkmcnt(0)
	s_waitcnt_vscnt null, 0x0
	s_barrier
	buffer_gl0_inv
	s_clause 0x11
	buffer_load_dword v53, off, s[0:3], 0 offset:76
	buffer_load_dword v54, off, s[0:3], 0 offset:84
	;; [unrolled: 1-line block ×18, first 2 shown]
	ds_read2_b64 v[37:40], v36 offset0:27 offset1:28
	ds_read2_b64 v[41:44], v36 offset0:29 offset1:30
	;; [unrolled: 1-line block ×4, first 2 shown]
	s_mov_b32 s4, exec_lo
	s_waitcnt vmcnt(17) lgkmcnt(3)
	v_mul_f32_e32 v36, v37, v53
	v_mul_f32_e32 v53, v38, v53
	s_waitcnt vmcnt(16)
	v_mul_f32_e32 v71, v39, v54
	v_mul_f32_e32 v54, v40, v54
	s_waitcnt vmcnt(15) lgkmcnt(2)
	v_mul_f32_e32 v72, v41, v55
	s_waitcnt vmcnt(14)
	v_mul_f32_e32 v73, v43, v56
	s_waitcnt vmcnt(13) lgkmcnt(1)
	v_mul_f32_e32 v74, v45, v57
	s_waitcnt vmcnt(12)
	v_mul_f32_e32 v75, v47, v58
	s_waitcnt vmcnt(9)
	v_fma_f32 v37, v37, v61, -v53
	v_fmac_f32_e32 v36, v38, v61
	v_mul_f32_e32 v38, v42, v55
	s_waitcnt vmcnt(8)
	v_fma_f32 v39, v39, v62, -v54
	v_fmac_f32_e32 v71, v40, v62
	v_add_f32_e32 v37, 0, v37
	v_add_f32_e32 v36, 0, v36
	v_mul_f32_e32 v40, v44, v56
	s_waitcnt vmcnt(7)
	v_fma_f32 v38, v41, v63, -v38
	v_fmac_f32_e32 v72, v42, v63
	v_add_f32_e32 v37, v37, v39
	v_add_f32_e32 v36, v36, v71
	;; [unrolled: 6-line block ×4, first 2 shown]
	s_waitcnt lgkmcnt(0)
	v_mul_f32_e32 v40, v50, v59
	s_waitcnt vmcnt(4)
	v_fma_f32 v38, v47, v66, -v38
	v_mul_f32_e32 v76, v49, v59
	v_add_f32_e32 v37, v37, v39
	v_fmac_f32_e32 v75, v48, v66
	v_add_f32_e32 v36, v36, v74
	v_mul_f32_e32 v39, v52, v60
	s_waitcnt vmcnt(3)
	v_fma_f32 v40, v49, v67, -v40
	v_add_f32_e32 v37, v37, v38
	v_mul_f32_e32 v77, v51, v60
	v_fmac_f32_e32 v76, v50, v67
	v_add_f32_e32 v36, v36, v75
	s_waitcnt vmcnt(2)
	v_fma_f32 v38, v51, v68, -v39
	v_add_f32_e32 v37, v37, v40
	v_fmac_f32_e32 v77, v52, v68
	v_add_f32_e32 v36, v36, v76
	v_add_f32_e32 v37, v37, v38
	v_add_f32_e32 v36, v36, v77
	s_waitcnt vmcnt(1)
	v_sub_f32_e32 v37, v69, v37
	s_waitcnt vmcnt(0)
	v_sub_f32_e32 v36, v70, v36
	buffer_store_dword v37, off, s[0:3], 0 offset:64
	buffer_store_dword v36, off, s[0:3], 0 offset:68
	v_cmpx_lt_u32_e32 7, v0
	s_cbranch_execz .LBB16_101
; %bb.100:
	s_clause 0x1
	buffer_load_dword v36, off, s[0:3], 0 offset:56
	buffer_load_dword v37, off, s[0:3], 0 offset:60
	v_mov_b32_e32 v38, 0
	buffer_store_dword v38, off, s[0:3], 0 offset:56
	buffer_store_dword v38, off, s[0:3], 0 offset:60
	s_waitcnt vmcnt(0)
	ds_write_b64 v35, v[36:37]
.LBB16_101:
	s_or_b32 exec_lo, exec_lo, s4
	s_waitcnt lgkmcnt(0)
	s_waitcnt_vscnt null, 0x0
	s_barrier
	buffer_gl0_inv
	s_clause 0x13
	buffer_load_dword v55, off, s[0:3], 0 offset:68
	buffer_load_dword v56, off, s[0:3], 0 offset:76
	;; [unrolled: 1-line block ×20, first 2 shown]
	v_mov_b32_e32 v36, 0
	ds_read_b128 v[37:40], v36 offset:208
	ds_read_b128 v[41:44], v36 offset:224
	;; [unrolled: 1-line block ×4, first 2 shown]
	ds_read_b64 v[53:54], v36 offset:272
	s_mov_b32 s4, exec_lo
	s_waitcnt vmcnt(19) lgkmcnt(4)
	v_mul_f32_e32 v75, v37, v55
	v_mul_f32_e32 v55, v38, v55
	s_waitcnt vmcnt(18)
	v_mul_f32_e32 v76, v39, v56
	v_mul_f32_e32 v56, v40, v56
	s_waitcnt vmcnt(17) lgkmcnt(3)
	v_mul_f32_e32 v77, v41, v57
	s_waitcnt vmcnt(16)
	v_mul_f32_e32 v78, v43, v58
	s_waitcnt vmcnt(15) lgkmcnt(2)
	v_mul_f32_e32 v79, v45, v59
	s_waitcnt vmcnt(14)
	;; [unrolled: 4-line block ×3, first 2 shown]
	v_fma_f32 v37, v37, v64, -v55
	v_fmac_f32_e32 v75, v38, v64
	v_mul_f32_e32 v38, v42, v57
	s_waitcnt vmcnt(9)
	v_fma_f32 v39, v39, v65, -v56
	v_fmac_f32_e32 v76, v40, v65
	v_add_f32_e32 v37, 0, v37
	v_add_f32_e32 v40, 0, v75
	v_mul_f32_e32 v55, v44, v58
	s_waitcnt vmcnt(8)
	v_fma_f32 v38, v41, v66, -v38
	v_fmac_f32_e32 v77, v42, v66
	v_add_f32_e32 v37, v37, v39
	v_add_f32_e32 v39, v40, v76
	;; [unrolled: 6-line block ×5, first 2 shown]
	v_mul_f32_e32 v40, v52, v62
	s_waitcnt vmcnt(4)
	v_fma_f32 v41, v49, v70, -v41
	v_mul_f32_e32 v82, v51, v62
	v_add_f32_e32 v37, v37, v39
	v_fmac_f32_e32 v81, v50, v70
	v_add_f32_e32 v38, v38, v80
	s_waitcnt lgkmcnt(0)
	v_mul_f32_e32 v39, v54, v63
	s_waitcnt vmcnt(3)
	v_fma_f32 v40, v51, v71, -v40
	v_add_f32_e32 v37, v37, v41
	v_mul_f32_e32 v83, v53, v63
	v_fmac_f32_e32 v82, v52, v71
	v_add_f32_e32 v38, v38, v81
	s_waitcnt vmcnt(2)
	v_fma_f32 v39, v53, v72, -v39
	v_add_f32_e32 v37, v37, v40
	v_fmac_f32_e32 v83, v54, v72
	v_add_f32_e32 v38, v38, v82
	v_add_f32_e32 v37, v37, v39
	;; [unrolled: 1-line block ×3, first 2 shown]
	s_waitcnt vmcnt(1)
	v_sub_f32_e32 v37, v73, v37
	s_waitcnt vmcnt(0)
	v_sub_f32_e32 v38, v74, v38
	buffer_store_dword v37, off, s[0:3], 0 offset:56
	buffer_store_dword v38, off, s[0:3], 0 offset:60
	v_cmpx_lt_u32_e32 6, v0
	s_cbranch_execz .LBB16_103
; %bb.102:
	s_clause 0x1
	buffer_load_dword v37, off, s[0:3], 0 offset:48
	buffer_load_dword v38, off, s[0:3], 0 offset:52
	buffer_store_dword v36, off, s[0:3], 0 offset:48
	buffer_store_dword v36, off, s[0:3], 0 offset:52
	s_waitcnt vmcnt(0)
	ds_write_b64 v35, v[37:38]
.LBB16_103:
	s_or_b32 exec_lo, exec_lo, s4
	s_waitcnt lgkmcnt(0)
	s_waitcnt_vscnt null, 0x0
	s_barrier
	buffer_gl0_inv
	s_clause 0x15
	buffer_load_dword v57, off, s[0:3], 0 offset:60
	buffer_load_dword v58, off, s[0:3], 0 offset:68
	;; [unrolled: 1-line block ×22, first 2 shown]
	ds_read2_b64 v[37:40], v36 offset0:25 offset1:26
	ds_read2_b64 v[41:44], v36 offset0:27 offset1:28
	;; [unrolled: 1-line block ×5, first 2 shown]
	s_mov_b32 s4, exec_lo
	s_waitcnt vmcnt(21) lgkmcnt(4)
	v_mul_f32_e32 v36, v37, v57
	v_mul_f32_e32 v57, v38, v57
	s_waitcnt vmcnt(20)
	v_mul_f32_e32 v79, v39, v58
	v_mul_f32_e32 v58, v40, v58
	s_waitcnt vmcnt(19) lgkmcnt(3)
	v_mul_f32_e32 v80, v41, v59
	s_waitcnt vmcnt(18)
	v_mul_f32_e32 v81, v43, v60
	s_waitcnt vmcnt(17) lgkmcnt(2)
	v_mul_f32_e32 v82, v45, v61
	s_waitcnt vmcnt(16)
	;; [unrolled: 4-line block ×3, first 2 shown]
	v_mul_f32_e32 v85, v51, v64
	s_waitcnt vmcnt(11)
	v_fma_f32 v37, v37, v67, -v57
	v_fmac_f32_e32 v36, v38, v67
	v_mul_f32_e32 v38, v42, v59
	s_waitcnt vmcnt(10)
	v_fma_f32 v39, v39, v68, -v58
	v_fmac_f32_e32 v79, v40, v68
	v_add_f32_e32 v37, 0, v37
	v_add_f32_e32 v36, 0, v36
	v_mul_f32_e32 v40, v44, v60
	s_waitcnt vmcnt(9)
	v_fma_f32 v38, v41, v69, -v38
	v_fmac_f32_e32 v80, v42, v69
	v_add_f32_e32 v37, v37, v39
	v_add_f32_e32 v36, v36, v79
	;; [unrolled: 6-line block ×6, first 2 shown]
	s_waitcnt lgkmcnt(0)
	v_mul_f32_e32 v38, v54, v65
	s_waitcnt vmcnt(4)
	v_fma_f32 v39, v51, v74, -v39
	v_mul_f32_e32 v86, v53, v65
	v_add_f32_e32 v37, v37, v40
	v_fmac_f32_e32 v85, v52, v74
	v_add_f32_e32 v36, v36, v84
	v_mul_f32_e32 v40, v56, v66
	s_waitcnt vmcnt(3)
	v_fma_f32 v38, v53, v75, -v38
	v_add_f32_e32 v37, v37, v39
	v_mul_f32_e32 v87, v55, v66
	v_fmac_f32_e32 v86, v54, v75
	v_add_f32_e32 v36, v36, v85
	s_waitcnt vmcnt(2)
	v_fma_f32 v39, v55, v76, -v40
	v_add_f32_e32 v37, v37, v38
	v_fmac_f32_e32 v87, v56, v76
	v_add_f32_e32 v36, v36, v86
	v_add_f32_e32 v37, v37, v39
	;; [unrolled: 1-line block ×3, first 2 shown]
	s_waitcnt vmcnt(1)
	v_sub_f32_e32 v37, v77, v37
	s_waitcnt vmcnt(0)
	v_sub_f32_e32 v36, v78, v36
	buffer_store_dword v37, off, s[0:3], 0 offset:48
	buffer_store_dword v36, off, s[0:3], 0 offset:52
	v_cmpx_lt_u32_e32 5, v0
	s_cbranch_execz .LBB16_105
; %bb.104:
	s_clause 0x1
	buffer_load_dword v36, off, s[0:3], 0 offset:40
	buffer_load_dword v37, off, s[0:3], 0 offset:44
	v_mov_b32_e32 v38, 0
	buffer_store_dword v38, off, s[0:3], 0 offset:40
	buffer_store_dword v38, off, s[0:3], 0 offset:44
	s_waitcnt vmcnt(0)
	ds_write_b64 v35, v[36:37]
.LBB16_105:
	s_or_b32 exec_lo, exec_lo, s4
	s_waitcnt lgkmcnt(0)
	s_waitcnt_vscnt null, 0x0
	s_barrier
	buffer_gl0_inv
	s_clause 0x17
	buffer_load_dword v59, off, s[0:3], 0 offset:52
	buffer_load_dword v60, off, s[0:3], 0 offset:60
	;; [unrolled: 1-line block ×24, first 2 shown]
	v_mov_b32_e32 v36, 0
	ds_read_b128 v[37:40], v36 offset:192
	ds_read_b128 v[41:44], v36 offset:208
	;; [unrolled: 1-line block ×5, first 2 shown]
	ds_read_b64 v[57:58], v36 offset:272
	s_mov_b32 s4, exec_lo
	s_waitcnt vmcnt(23) lgkmcnt(5)
	v_mul_f32_e32 v83, v37, v59
	v_mul_f32_e32 v59, v38, v59
	s_waitcnt vmcnt(22)
	v_mul_f32_e32 v84, v39, v60
	v_mul_f32_e32 v60, v40, v60
	s_waitcnt vmcnt(21) lgkmcnt(4)
	v_mul_f32_e32 v85, v41, v61
	s_waitcnt vmcnt(20)
	v_mul_f32_e32 v86, v43, v62
	s_waitcnt vmcnt(19) lgkmcnt(3)
	v_mul_f32_e32 v87, v45, v63
	s_waitcnt vmcnt(18)
	;; [unrolled: 4-line block ×4, first 2 shown]
	v_fma_f32 v37, v37, v70, -v59
	v_fmac_f32_e32 v83, v38, v70
	v_mul_f32_e32 v38, v42, v61
	s_waitcnt vmcnt(11)
	v_fma_f32 v39, v39, v71, -v60
	v_fmac_f32_e32 v84, v40, v71
	v_add_f32_e32 v37, 0, v37
	v_add_f32_e32 v40, 0, v83
	v_mul_f32_e32 v59, v44, v62
	s_waitcnt vmcnt(10)
	v_fma_f32 v38, v41, v72, -v38
	v_fmac_f32_e32 v85, v42, v72
	v_add_f32_e32 v37, v37, v39
	v_add_f32_e32 v39, v40, v84
	;; [unrolled: 6-line block ×7, first 2 shown]
	v_mul_f32_e32 v41, v56, v68
	s_waitcnt vmcnt(4)
	v_fma_f32 v39, v53, v78, -v39
	v_mul_f32_e32 v92, v55, v68
	v_add_f32_e32 v37, v37, v40
	v_fmac_f32_e32 v91, v54, v78
	v_add_f32_e32 v38, v38, v90
	s_waitcnt lgkmcnt(0)
	v_mul_f32_e32 v40, v58, v69
	s_waitcnt vmcnt(3)
	v_fma_f32 v41, v55, v79, -v41
	v_add_f32_e32 v37, v37, v39
	v_mul_f32_e32 v93, v57, v69
	v_fmac_f32_e32 v92, v56, v79
	v_add_f32_e32 v38, v38, v91
	s_waitcnt vmcnt(2)
	v_fma_f32 v39, v57, v80, -v40
	v_add_f32_e32 v37, v37, v41
	v_fmac_f32_e32 v93, v58, v80
	v_add_f32_e32 v38, v38, v92
	v_add_f32_e32 v37, v37, v39
	;; [unrolled: 1-line block ×3, first 2 shown]
	s_waitcnt vmcnt(1)
	v_sub_f32_e32 v37, v81, v37
	s_waitcnt vmcnt(0)
	v_sub_f32_e32 v38, v82, v38
	buffer_store_dword v37, off, s[0:3], 0 offset:40
	buffer_store_dword v38, off, s[0:3], 0 offset:44
	v_cmpx_lt_u32_e32 4, v0
	s_cbranch_execz .LBB16_107
; %bb.106:
	s_clause 0x1
	buffer_load_dword v37, off, s[0:3], 0 offset:32
	buffer_load_dword v38, off, s[0:3], 0 offset:36
	buffer_store_dword v36, off, s[0:3], 0 offset:32
	buffer_store_dword v36, off, s[0:3], 0 offset:36
	s_waitcnt vmcnt(0)
	ds_write_b64 v35, v[37:38]
.LBB16_107:
	s_or_b32 exec_lo, exec_lo, s4
	s_waitcnt lgkmcnt(0)
	s_waitcnt_vscnt null, 0x0
	s_barrier
	buffer_gl0_inv
	s_clause 0x19
	buffer_load_dword v61, off, s[0:3], 0 offset:44
	buffer_load_dword v62, off, s[0:3], 0 offset:52
	buffer_load_dword v63, off, s[0:3], 0 offset:60
	buffer_load_dword v64, off, s[0:3], 0 offset:68
	buffer_load_dword v65, off, s[0:3], 0 offset:76
	buffer_load_dword v66, off, s[0:3], 0 offset:84
	buffer_load_dword v67, off, s[0:3], 0 offset:92
	buffer_load_dword v68, off, s[0:3], 0 offset:100
	buffer_load_dword v69, off, s[0:3], 0 offset:108
	buffer_load_dword v70, off, s[0:3], 0 offset:116
	buffer_load_dword v71, off, s[0:3], 0 offset:124
	buffer_load_dword v72, off, s[0:3], 0 offset:132
	buffer_load_dword v73, off, s[0:3], 0 offset:40
	buffer_load_dword v74, off, s[0:3], 0 offset:48
	buffer_load_dword v75, off, s[0:3], 0 offset:56
	buffer_load_dword v76, off, s[0:3], 0 offset:64
	buffer_load_dword v77, off, s[0:3], 0 offset:72
	buffer_load_dword v78, off, s[0:3], 0 offset:80
	buffer_load_dword v79, off, s[0:3], 0 offset:88
	buffer_load_dword v80, off, s[0:3], 0 offset:96
	buffer_load_dword v81, off, s[0:3], 0 offset:104
	buffer_load_dword v82, off, s[0:3], 0 offset:112
	buffer_load_dword v83, off, s[0:3], 0 offset:120
	buffer_load_dword v84, off, s[0:3], 0 offset:128
	buffer_load_dword v85, off, s[0:3], 0 offset:32
	buffer_load_dword v86, off, s[0:3], 0 offset:36
	ds_read2_b64 v[37:40], v36 offset0:23 offset1:24
	ds_read2_b64 v[41:44], v36 offset0:25 offset1:26
	;; [unrolled: 1-line block ×6, first 2 shown]
	s_mov_b32 s4, exec_lo
	s_waitcnt vmcnt(25) lgkmcnt(5)
	v_mul_f32_e32 v36, v37, v61
	v_mul_f32_e32 v61, v38, v61
	s_waitcnt vmcnt(24)
	v_mul_f32_e32 v87, v39, v62
	v_mul_f32_e32 v62, v40, v62
	s_waitcnt vmcnt(23) lgkmcnt(4)
	v_mul_f32_e32 v88, v41, v63
	s_waitcnt vmcnt(22)
	v_mul_f32_e32 v89, v43, v64
	s_waitcnt vmcnt(21) lgkmcnt(3)
	v_mul_f32_e32 v90, v45, v65
	s_waitcnt vmcnt(20)
	;; [unrolled: 4-line block ×4, first 2 shown]
	v_mul_f32_e32 v95, v55, v70
	s_waitcnt vmcnt(13)
	v_fma_f32 v37, v37, v73, -v61
	v_fmac_f32_e32 v36, v38, v73
	v_mul_f32_e32 v38, v42, v63
	s_waitcnt vmcnt(12)
	v_fma_f32 v39, v39, v74, -v62
	v_fmac_f32_e32 v87, v40, v74
	v_add_f32_e32 v37, 0, v37
	v_add_f32_e32 v36, 0, v36
	v_mul_f32_e32 v40, v44, v64
	s_waitcnt vmcnt(11)
	v_fma_f32 v38, v41, v75, -v38
	v_fmac_f32_e32 v88, v42, v75
	v_add_f32_e32 v37, v37, v39
	v_add_f32_e32 v36, v36, v87
	;; [unrolled: 6-line block ×8, first 2 shown]
	s_waitcnt lgkmcnt(0)
	v_mul_f32_e32 v39, v58, v71
	s_waitcnt vmcnt(4)
	v_fma_f32 v40, v55, v82, -v40
	v_mul_f32_e32 v96, v57, v71
	v_add_f32_e32 v37, v37, v38
	v_fmac_f32_e32 v95, v56, v82
	v_add_f32_e32 v36, v36, v94
	v_mul_f32_e32 v38, v60, v72
	s_waitcnt vmcnt(3)
	v_fma_f32 v39, v57, v83, -v39
	v_add_f32_e32 v37, v37, v40
	v_mul_f32_e32 v97, v59, v72
	v_fmac_f32_e32 v96, v58, v83
	v_add_f32_e32 v36, v36, v95
	s_waitcnt vmcnt(2)
	v_fma_f32 v38, v59, v84, -v38
	v_add_f32_e32 v37, v37, v39
	v_fmac_f32_e32 v97, v60, v84
	v_add_f32_e32 v36, v36, v96
	v_add_f32_e32 v37, v37, v38
	;; [unrolled: 1-line block ×3, first 2 shown]
	s_waitcnt vmcnt(1)
	v_sub_f32_e32 v37, v85, v37
	s_waitcnt vmcnt(0)
	v_sub_f32_e32 v36, v86, v36
	buffer_store_dword v37, off, s[0:3], 0 offset:32
	buffer_store_dword v36, off, s[0:3], 0 offset:36
	v_cmpx_lt_u32_e32 3, v0
	s_cbranch_execz .LBB16_109
; %bb.108:
	s_clause 0x1
	buffer_load_dword v36, off, s[0:3], 0 offset:24
	buffer_load_dword v37, off, s[0:3], 0 offset:28
	v_mov_b32_e32 v38, 0
	buffer_store_dword v38, off, s[0:3], 0 offset:24
	buffer_store_dword v38, off, s[0:3], 0 offset:28
	s_waitcnt vmcnt(0)
	ds_write_b64 v35, v[36:37]
.LBB16_109:
	s_or_b32 exec_lo, exec_lo, s4
	s_waitcnt lgkmcnt(0)
	s_waitcnt_vscnt null, 0x0
	s_barrier
	buffer_gl0_inv
	s_clause 0x1b
	buffer_load_dword v63, off, s[0:3], 0 offset:36
	buffer_load_dword v64, off, s[0:3], 0 offset:44
	;; [unrolled: 1-line block ×28, first 2 shown]
	v_mov_b32_e32 v36, 0
	ds_read_b128 v[37:40], v36 offset:176
	ds_read_b128 v[41:44], v36 offset:192
	;; [unrolled: 1-line block ×6, first 2 shown]
	ds_read_b64 v[61:62], v36 offset:272
	s_mov_b32 s4, exec_lo
	s_waitcnt vmcnt(27) lgkmcnt(6)
	v_mul_f32_e32 v91, v37, v63
	v_mul_f32_e32 v63, v38, v63
	s_waitcnt vmcnt(26)
	v_mul_f32_e32 v92, v39, v64
	v_mul_f32_e32 v64, v40, v64
	s_waitcnt vmcnt(25) lgkmcnt(5)
	v_mul_f32_e32 v93, v41, v65
	s_waitcnt vmcnt(24)
	v_mul_f32_e32 v94, v43, v66
	s_waitcnt vmcnt(23) lgkmcnt(4)
	v_mul_f32_e32 v95, v45, v67
	s_waitcnt vmcnt(22)
	;; [unrolled: 4-line block ×5, first 2 shown]
	v_fma_f32 v37, v37, v76, -v63
	v_fmac_f32_e32 v91, v38, v76
	v_mul_f32_e32 v38, v42, v65
	s_waitcnt vmcnt(13)
	v_fma_f32 v39, v39, v77, -v64
	v_fmac_f32_e32 v92, v40, v77
	v_add_f32_e32 v37, 0, v37
	v_add_f32_e32 v40, 0, v91
	v_mul_f32_e32 v63, v44, v66
	s_waitcnt vmcnt(12)
	v_fma_f32 v38, v41, v78, -v38
	v_fmac_f32_e32 v93, v42, v78
	v_add_f32_e32 v37, v37, v39
	v_add_f32_e32 v39, v40, v92
	;; [unrolled: 6-line block ×9, first 2 shown]
	v_mul_f32_e32 v39, v60, v74
	s_waitcnt vmcnt(4)
	v_fma_f32 v40, v57, v86, -v40
	v_mul_f32_e32 v102, v59, v74
	v_add_f32_e32 v37, v37, v41
	v_fmac_f32_e32 v101, v58, v86
	v_add_f32_e32 v38, v38, v100
	s_waitcnt lgkmcnt(0)
	v_mul_f32_e32 v41, v62, v75
	s_waitcnt vmcnt(3)
	v_fma_f32 v39, v59, v87, -v39
	v_add_f32_e32 v37, v37, v40
	v_mul_f32_e32 v103, v61, v75
	v_fmac_f32_e32 v102, v60, v87
	v_add_f32_e32 v38, v38, v101
	s_waitcnt vmcnt(2)
	v_fma_f32 v40, v61, v88, -v41
	v_add_f32_e32 v37, v37, v39
	v_fmac_f32_e32 v103, v62, v88
	v_add_f32_e32 v38, v38, v102
	v_add_f32_e32 v37, v37, v40
	;; [unrolled: 1-line block ×3, first 2 shown]
	s_waitcnt vmcnt(1)
	v_sub_f32_e32 v37, v89, v37
	s_waitcnt vmcnt(0)
	v_sub_f32_e32 v38, v90, v38
	buffer_store_dword v37, off, s[0:3], 0 offset:24
	buffer_store_dword v38, off, s[0:3], 0 offset:28
	v_cmpx_lt_u32_e32 2, v0
	s_cbranch_execz .LBB16_111
; %bb.110:
	s_clause 0x1
	buffer_load_dword v37, off, s[0:3], 0 offset:16
	buffer_load_dword v38, off, s[0:3], 0 offset:20
	buffer_store_dword v36, off, s[0:3], 0 offset:16
	buffer_store_dword v36, off, s[0:3], 0 offset:20
	s_waitcnt vmcnt(0)
	ds_write_b64 v35, v[37:38]
.LBB16_111:
	s_or_b32 exec_lo, exec_lo, s4
	s_waitcnt lgkmcnt(0)
	s_waitcnt_vscnt null, 0x0
	s_barrier
	buffer_gl0_inv
	s_clause 0x1d
	buffer_load_dword v65, off, s[0:3], 0 offset:28
	buffer_load_dword v66, off, s[0:3], 0 offset:36
	;; [unrolled: 1-line block ×30, first 2 shown]
	ds_read2_b64 v[37:40], v36 offset0:21 offset1:22
	ds_read2_b64 v[41:44], v36 offset0:23 offset1:24
	;; [unrolled: 1-line block ×7, first 2 shown]
	s_mov_b32 s4, exec_lo
	s_waitcnt vmcnt(29) lgkmcnt(6)
	v_mul_f32_e32 v36, v37, v65
	v_mul_f32_e32 v65, v38, v65
	s_waitcnt vmcnt(28)
	v_mul_f32_e32 v95, v39, v66
	v_mul_f32_e32 v66, v40, v66
	s_waitcnt vmcnt(27) lgkmcnt(5)
	v_mul_f32_e32 v96, v41, v67
	s_waitcnt vmcnt(26)
	v_mul_f32_e32 v97, v43, v68
	s_waitcnt vmcnt(25) lgkmcnt(4)
	v_mul_f32_e32 v98, v45, v69
	s_waitcnt vmcnt(24)
	;; [unrolled: 4-line block ×5, first 2 shown]
	v_mul_f32_e32 v105, v59, v76
	s_waitcnt vmcnt(15)
	v_fma_f32 v37, v37, v79, -v65
	v_fmac_f32_e32 v36, v38, v79
	v_mul_f32_e32 v38, v42, v67
	s_waitcnt vmcnt(14)
	v_fma_f32 v39, v39, v80, -v66
	v_fmac_f32_e32 v95, v40, v80
	v_add_f32_e32 v37, 0, v37
	v_add_f32_e32 v36, 0, v36
	v_mul_f32_e32 v40, v44, v68
	s_waitcnt vmcnt(13)
	v_fma_f32 v38, v41, v81, -v38
	v_fmac_f32_e32 v96, v42, v81
	v_add_f32_e32 v37, v37, v39
	v_add_f32_e32 v36, v36, v95
	;; [unrolled: 6-line block ×10, first 2 shown]
	s_waitcnt lgkmcnt(0)
	v_mul_f32_e32 v40, v62, v77
	s_waitcnt vmcnt(4)
	v_fma_f32 v38, v59, v90, -v38
	v_mul_f32_e32 v106, v61, v77
	v_add_f32_e32 v37, v37, v39
	v_fmac_f32_e32 v105, v60, v90
	v_add_f32_e32 v36, v36, v104
	v_mul_f32_e32 v39, v64, v78
	s_waitcnt vmcnt(3)
	v_fma_f32 v40, v61, v91, -v40
	v_add_f32_e32 v37, v37, v38
	v_mul_f32_e32 v107, v63, v78
	v_fmac_f32_e32 v106, v62, v91
	v_add_f32_e32 v36, v36, v105
	s_waitcnt vmcnt(2)
	v_fma_f32 v38, v63, v92, -v39
	v_add_f32_e32 v37, v37, v40
	v_fmac_f32_e32 v107, v64, v92
	v_add_f32_e32 v36, v36, v106
	v_add_f32_e32 v37, v37, v38
	;; [unrolled: 1-line block ×3, first 2 shown]
	s_waitcnt vmcnt(1)
	v_sub_f32_e32 v37, v93, v37
	s_waitcnt vmcnt(0)
	v_sub_f32_e32 v36, v94, v36
	buffer_store_dword v37, off, s[0:3], 0 offset:16
	buffer_store_dword v36, off, s[0:3], 0 offset:20
	v_cmpx_lt_u32_e32 1, v0
	s_cbranch_execz .LBB16_113
; %bb.112:
	s_clause 0x1
	buffer_load_dword v36, off, s[0:3], 0 offset:8
	buffer_load_dword v37, off, s[0:3], 0 offset:12
	v_mov_b32_e32 v38, 0
	buffer_store_dword v38, off, s[0:3], 0 offset:8
	buffer_store_dword v38, off, s[0:3], 0 offset:12
	s_waitcnt vmcnt(0)
	ds_write_b64 v35, v[36:37]
.LBB16_113:
	s_or_b32 exec_lo, exec_lo, s4
	s_waitcnt lgkmcnt(0)
	s_waitcnt_vscnt null, 0x0
	s_barrier
	buffer_gl0_inv
	s_clause 0x1f
	buffer_load_dword v67, off, s[0:3], 0 offset:20
	buffer_load_dword v68, off, s[0:3], 0 offset:28
	;; [unrolled: 1-line block ×32, first 2 shown]
	v_mov_b32_e32 v36, 0
	ds_read_b128 v[37:40], v36 offset:160
	ds_read_b128 v[41:44], v36 offset:176
	;; [unrolled: 1-line block ×7, first 2 shown]
	ds_read_b64 v[65:66], v36 offset:272
	s_mov_b32 s4, exec_lo
	s_waitcnt vmcnt(31) lgkmcnt(7)
	v_mul_f32_e32 v99, v37, v67
	v_mul_f32_e32 v67, v38, v67
	s_waitcnt vmcnt(30)
	v_mul_f32_e32 v100, v39, v68
	v_mul_f32_e32 v68, v40, v68
	s_waitcnt vmcnt(29) lgkmcnt(6)
	v_mul_f32_e32 v101, v41, v69
	s_waitcnt vmcnt(28)
	v_mul_f32_e32 v102, v43, v70
	s_waitcnt vmcnt(27) lgkmcnt(5)
	v_mul_f32_e32 v103, v45, v71
	s_waitcnt vmcnt(26)
	;; [unrolled: 4-line block ×6, first 2 shown]
	v_fma_f32 v37, v37, v82, -v67
	v_fmac_f32_e32 v99, v38, v82
	v_mul_f32_e32 v38, v42, v69
	s_waitcnt vmcnt(15)
	v_fma_f32 v39, v39, v83, -v68
	v_fmac_f32_e32 v100, v40, v83
	v_add_f32_e32 v37, 0, v37
	v_add_f32_e32 v40, 0, v99
	v_mul_f32_e32 v67, v44, v70
	s_waitcnt vmcnt(14)
	v_fma_f32 v38, v41, v84, -v38
	v_fmac_f32_e32 v101, v42, v84
	v_add_f32_e32 v37, v37, v39
	v_add_f32_e32 v39, v40, v100
	;; [unrolled: 6-line block ×11, first 2 shown]
	v_mul_f32_e32 v40, v64, v80
	s_waitcnt vmcnt(4)
	v_fma_f32 v41, v61, v94, -v41
	v_mul_f32_e32 v112, v63, v80
	v_add_f32_e32 v37, v37, v39
	v_fmac_f32_e32 v111, v62, v94
	v_add_f32_e32 v38, v38, v110
	s_waitcnt lgkmcnt(0)
	v_mul_f32_e32 v39, v66, v81
	s_waitcnt vmcnt(3)
	v_fma_f32 v40, v63, v95, -v40
	v_add_f32_e32 v37, v37, v41
	v_mul_f32_e32 v113, v65, v81
	v_fmac_f32_e32 v112, v64, v95
	v_add_f32_e32 v38, v38, v111
	s_waitcnt vmcnt(2)
	v_fma_f32 v39, v65, v96, -v39
	v_add_f32_e32 v37, v37, v40
	v_fmac_f32_e32 v113, v66, v96
	v_add_f32_e32 v38, v38, v112
	v_add_f32_e32 v37, v37, v39
	v_add_f32_e32 v38, v38, v113
	s_waitcnt vmcnt(1)
	v_sub_f32_e32 v37, v97, v37
	s_waitcnt vmcnt(0)
	v_sub_f32_e32 v38, v98, v38
	buffer_store_dword v37, off, s[0:3], 0 offset:8
	buffer_store_dword v38, off, s[0:3], 0 offset:12
	v_cmpx_ne_u32_e32 0, v0
	s_cbranch_execz .LBB16_115
; %bb.114:
	s_clause 0x1
	buffer_load_dword v37, off, s[0:3], 0
	buffer_load_dword v38, off, s[0:3], 0 offset:4
	buffer_store_dword v36, off, s[0:3], 0
	buffer_store_dword v36, off, s[0:3], 0 offset:4
	s_waitcnt vmcnt(0)
	ds_write_b64 v35, v[37:38]
.LBB16_115:
	s_or_b32 exec_lo, exec_lo, s4
	s_waitcnt lgkmcnt(0)
	s_waitcnt_vscnt null, 0x0
	s_barrier
	buffer_gl0_inv
	s_clause 0x21
	buffer_load_dword v69, off, s[0:3], 0 offset:12
	buffer_load_dword v70, off, s[0:3], 0 offset:20
	;; [unrolled: 1-line block ×32, first 2 shown]
	buffer_load_dword v99, off, s[0:3], 0
	buffer_load_dword v100, off, s[0:3], 0 offset:4
	ds_read2_b64 v[37:40], v36 offset0:19 offset1:20
	ds_read2_b64 v[41:44], v36 offset0:21 offset1:22
	;; [unrolled: 1-line block ×8, first 2 shown]
	s_and_b32 vcc_lo, exec_lo, s22
	s_waitcnt vmcnt(33) lgkmcnt(7)
	v_mul_f32_e32 v36, v37, v69
	v_mul_f32_e32 v69, v38, v69
	s_waitcnt vmcnt(32)
	v_mul_f32_e32 v101, v39, v70
	v_mul_f32_e32 v70, v40, v70
	s_waitcnt vmcnt(31) lgkmcnt(6)
	v_mul_f32_e32 v102, v41, v71
	s_waitcnt vmcnt(30)
	v_mul_f32_e32 v103, v43, v72
	s_waitcnt vmcnt(29) lgkmcnt(5)
	v_mul_f32_e32 v104, v45, v73
	s_waitcnt vmcnt(28)
	;; [unrolled: 4-line block ×6, first 2 shown]
	v_mul_f32_e32 v113, v63, v82
	s_waitcnt vmcnt(17)
	v_fma_f32 v37, v37, v84, -v69
	v_fmac_f32_e32 v36, v38, v84
	v_mul_f32_e32 v38, v42, v71
	s_waitcnt vmcnt(16)
	v_fma_f32 v39, v39, v85, -v70
	v_fmac_f32_e32 v101, v40, v85
	v_add_f32_e32 v37, 0, v37
	v_add_f32_e32 v36, 0, v36
	v_mul_f32_e32 v40, v44, v72
	s_waitcnt vmcnt(15)
	v_fma_f32 v38, v41, v86, -v38
	v_fmac_f32_e32 v102, v42, v86
	v_add_f32_e32 v37, v37, v39
	v_add_f32_e32 v36, v36, v101
	;; [unrolled: 6-line block ×12, first 2 shown]
	s_waitcnt lgkmcnt(0)
	v_mul_f32_e32 v38, v66, v0
	s_waitcnt vmcnt(4)
	v_fma_f32 v39, v63, v97, -v39
	v_mul_f32_e32 v114, v65, v0
	v_add_f32_e32 v37, v37, v40
	v_fmac_f32_e32 v113, v64, v97
	v_add_f32_e32 v36, v36, v112
	v_mul_f32_e32 v40, v68, v83
	s_waitcnt vmcnt(3)
	v_fma_f32 v38, v65, v35, -v38
	v_add_f32_e32 v37, v37, v39
	v_mul_f32_e32 v115, v67, v83
	v_fmac_f32_e32 v114, v66, v35
	v_add_f32_e32 v36, v36, v113
	s_waitcnt vmcnt(2)
	v_fma_f32 v39, v67, v98, -v40
	v_add_f32_e32 v37, v37, v38
	v_fmac_f32_e32 v115, v68, v98
	v_add_f32_e32 v36, v36, v114
	v_add_f32_e32 v37, v37, v39
	;; [unrolled: 1-line block ×3, first 2 shown]
	s_waitcnt vmcnt(1)
	v_sub_f32_e32 v37, v99, v37
	s_waitcnt vmcnt(0)
	v_sub_f32_e32 v36, v100, v36
	buffer_store_dword v37, off, s[0:3], 0
	buffer_store_dword v36, off, s[0:3], 0 offset:4
	s_cbranch_vccz .LBB16_148
; %bb.116:
	v_mov_b32_e32 v36, 0
	global_load_dword v37, v36, s[20:21] offset:60
	s_waitcnt vmcnt(0)
	v_add_nc_u32_e32 v37, -1, v37
	v_cmp_ne_u32_e32 vcc_lo, 15, v37
	s_cbranch_vccz .LBB16_118
; %bb.117:
	v_lshlrev_b32_e32 v37, 3, v37
	s_clause 0x1
	buffer_load_dword v38, v37, s[0:3], 0 offen
	buffer_load_dword v39, v37, s[0:3], 0 offen offset:4
	s_waitcnt vmcnt(1)
	buffer_store_dword v38, off, s[0:3], 0 offset:120
	s_waitcnt vmcnt(0)
	buffer_store_dword v39, off, s[0:3], 0 offset:124
	buffer_store_dword v35, v37, s[0:3], 0 offen
	buffer_store_dword v0, v37, s[0:3], 0 offen offset:4
.LBB16_118:
	global_load_dword v0, v36, s[20:21] offset:56
	s_waitcnt vmcnt(0)
	v_add_nc_u32_e32 v0, -1, v0
	v_cmp_eq_u32_e32 vcc_lo, 14, v0
	s_cbranch_vccnz .LBB16_120
; %bb.119:
	v_lshlrev_b32_e32 v0, 3, v0
	s_clause 0x3
	buffer_load_dword v35, v0, s[0:3], 0 offen
	buffer_load_dword v36, v0, s[0:3], 0 offen offset:4
	buffer_load_dword v37, off, s[0:3], 0 offset:116
	buffer_load_dword v38, off, s[0:3], 0 offset:112
	s_waitcnt vmcnt(3)
	buffer_store_dword v35, off, s[0:3], 0 offset:112
	s_waitcnt vmcnt(2)
	buffer_store_dword v36, off, s[0:3], 0 offset:116
	s_waitcnt vmcnt(1)
	buffer_store_dword v37, v0, s[0:3], 0 offen offset:4
	s_waitcnt vmcnt(0)
	buffer_store_dword v38, v0, s[0:3], 0 offen
.LBB16_120:
	v_mov_b32_e32 v0, 0
	global_load_dword v35, v0, s[20:21] offset:52
	s_waitcnt vmcnt(0)
	v_add_nc_u32_e32 v35, -1, v35
	v_cmp_eq_u32_e32 vcc_lo, 13, v35
	s_cbranch_vccnz .LBB16_122
; %bb.121:
	v_lshlrev_b32_e32 v35, 3, v35
	s_clause 0x3
	buffer_load_dword v36, v35, s[0:3], 0 offen
	buffer_load_dword v37, v35, s[0:3], 0 offen offset:4
	buffer_load_dword v38, off, s[0:3], 0 offset:104
	buffer_load_dword v39, off, s[0:3], 0 offset:108
	s_waitcnt vmcnt(3)
	buffer_store_dword v36, off, s[0:3], 0 offset:104
	s_waitcnt vmcnt(2)
	buffer_store_dword v37, off, s[0:3], 0 offset:108
	s_waitcnt vmcnt(1)
	buffer_store_dword v38, v35, s[0:3], 0 offen
	s_waitcnt vmcnt(0)
	buffer_store_dword v39, v35, s[0:3], 0 offen offset:4
.LBB16_122:
	global_load_dword v0, v0, s[20:21] offset:48
	s_waitcnt vmcnt(0)
	v_add_nc_u32_e32 v0, -1, v0
	v_cmp_eq_u32_e32 vcc_lo, 12, v0
	s_cbranch_vccnz .LBB16_124
; %bb.123:
	v_lshlrev_b32_e32 v0, 3, v0
	s_clause 0x3
	buffer_load_dword v35, v0, s[0:3], 0 offen
	buffer_load_dword v36, v0, s[0:3], 0 offen offset:4
	buffer_load_dword v37, off, s[0:3], 0 offset:100
	buffer_load_dword v38, off, s[0:3], 0 offset:96
	s_waitcnt vmcnt(3)
	buffer_store_dword v35, off, s[0:3], 0 offset:96
	s_waitcnt vmcnt(2)
	buffer_store_dword v36, off, s[0:3], 0 offset:100
	s_waitcnt vmcnt(1)
	buffer_store_dword v37, v0, s[0:3], 0 offen offset:4
	s_waitcnt vmcnt(0)
	buffer_store_dword v38, v0, s[0:3], 0 offen
.LBB16_124:
	v_mov_b32_e32 v0, 0
	global_load_dword v35, v0, s[20:21] offset:44
	s_waitcnt vmcnt(0)
	v_add_nc_u32_e32 v35, -1, v35
	v_cmp_eq_u32_e32 vcc_lo, 11, v35
	s_cbranch_vccnz .LBB16_126
; %bb.125:
	v_lshlrev_b32_e32 v35, 3, v35
	s_clause 0x3
	buffer_load_dword v36, v35, s[0:3], 0 offen
	buffer_load_dword v37, v35, s[0:3], 0 offen offset:4
	buffer_load_dword v38, off, s[0:3], 0 offset:88
	buffer_load_dword v39, off, s[0:3], 0 offset:92
	s_waitcnt vmcnt(3)
	buffer_store_dword v36, off, s[0:3], 0 offset:88
	s_waitcnt vmcnt(2)
	buffer_store_dword v37, off, s[0:3], 0 offset:92
	s_waitcnt vmcnt(1)
	buffer_store_dword v38, v35, s[0:3], 0 offen
	s_waitcnt vmcnt(0)
	buffer_store_dword v39, v35, s[0:3], 0 offen offset:4
.LBB16_126:
	;; [unrolled: 43-line block ×7, first 2 shown]
	global_load_dword v0, v0, s[20:21]
	s_waitcnt vmcnt(0)
	v_add_nc_u32_e32 v0, -1, v0
	v_cmp_eq_u32_e32 vcc_lo, 0, v0
	s_cbranch_vccnz .LBB16_148
; %bb.147:
	v_lshlrev_b32_e32 v0, 3, v0
	s_clause 0x3
	buffer_load_dword v35, v0, s[0:3], 0 offen
	buffer_load_dword v36, v0, s[0:3], 0 offen offset:4
	buffer_load_dword v37, off, s[0:3], 0 offset:4
	buffer_load_dword v38, off, s[0:3], 0
	s_waitcnt vmcnt(3)
	buffer_store_dword v35, off, s[0:3], 0
	s_waitcnt vmcnt(2)
	buffer_store_dword v36, off, s[0:3], 0 offset:4
	s_waitcnt vmcnt(1)
	buffer_store_dword v37, v0, s[0:3], 0 offen offset:4
	s_waitcnt vmcnt(0)
	buffer_store_dword v38, v0, s[0:3], 0 offen
.LBB16_148:
	s_clause 0x21
	buffer_load_dword v35, off, s[0:3], 0
	buffer_load_dword v36, off, s[0:3], 0 offset:4
	buffer_load_dword v37, off, s[0:3], 0 offset:8
	;; [unrolled: 1-line block ×33, first 2 shown]
	s_waitcnt vmcnt(32)
	global_store_dwordx2 v[1:2], v[35:36], off
	s_waitcnt vmcnt(30)
	global_store_dwordx2 v[3:4], v[37:38], off
	;; [unrolled: 2-line block ×9, first 2 shown]
	global_store_dwordx2 v[19:20], v[53:54], off
	global_store_dwordx2 v[21:22], v[55:56], off
	global_store_dwordx2 v[23:24], v[57:58], off
	s_waitcnt vmcnt(8)
	global_store_dwordx2 v[25:26], v[59:60], off
	s_waitcnt vmcnt(6)
	global_store_dwordx2 v[27:28], v[61:62], off
	;; [unrolled: 2-line block ×5, first 2 shown]
	s_endpgm
	.section	.rodata,"a",@progbits
	.p2align	6, 0x0
	.amdhsa_kernel _ZN9rocsolver6v33100L18getri_kernel_smallILi17E19rocblas_complex_numIfEPS3_EEvT1_iilPiilS6_bb
		.amdhsa_group_segment_fixed_size 280
		.amdhsa_private_segment_fixed_size 144
		.amdhsa_kernarg_size 60
		.amdhsa_user_sgpr_count 6
		.amdhsa_user_sgpr_private_segment_buffer 1
		.amdhsa_user_sgpr_dispatch_ptr 0
		.amdhsa_user_sgpr_queue_ptr 0
		.amdhsa_user_sgpr_kernarg_segment_ptr 1
		.amdhsa_user_sgpr_dispatch_id 0
		.amdhsa_user_sgpr_flat_scratch_init 0
		.amdhsa_user_sgpr_private_segment_size 0
		.amdhsa_wavefront_size32 1
		.amdhsa_uses_dynamic_stack 0
		.amdhsa_system_sgpr_private_segment_wavefront_offset 1
		.amdhsa_system_sgpr_workgroup_id_x 1
		.amdhsa_system_sgpr_workgroup_id_y 0
		.amdhsa_system_sgpr_workgroup_id_z 0
		.amdhsa_system_sgpr_workgroup_info 0
		.amdhsa_system_vgpr_workitem_id 0
		.amdhsa_next_free_vgpr 116
		.amdhsa_next_free_sgpr 23
		.amdhsa_reserve_vcc 1
		.amdhsa_reserve_flat_scratch 0
		.amdhsa_float_round_mode_32 0
		.amdhsa_float_round_mode_16_64 0
		.amdhsa_float_denorm_mode_32 3
		.amdhsa_float_denorm_mode_16_64 3
		.amdhsa_dx10_clamp 1
		.amdhsa_ieee_mode 1
		.amdhsa_fp16_overflow 0
		.amdhsa_workgroup_processor_mode 1
		.amdhsa_memory_ordered 1
		.amdhsa_forward_progress 1
		.amdhsa_shared_vgpr_count 0
		.amdhsa_exception_fp_ieee_invalid_op 0
		.amdhsa_exception_fp_denorm_src 0
		.amdhsa_exception_fp_ieee_div_zero 0
		.amdhsa_exception_fp_ieee_overflow 0
		.amdhsa_exception_fp_ieee_underflow 0
		.amdhsa_exception_fp_ieee_inexact 0
		.amdhsa_exception_int_div_zero 0
	.end_amdhsa_kernel
	.section	.text._ZN9rocsolver6v33100L18getri_kernel_smallILi17E19rocblas_complex_numIfEPS3_EEvT1_iilPiilS6_bb,"axG",@progbits,_ZN9rocsolver6v33100L18getri_kernel_smallILi17E19rocblas_complex_numIfEPS3_EEvT1_iilPiilS6_bb,comdat
.Lfunc_end16:
	.size	_ZN9rocsolver6v33100L18getri_kernel_smallILi17E19rocblas_complex_numIfEPS3_EEvT1_iilPiilS6_bb, .Lfunc_end16-_ZN9rocsolver6v33100L18getri_kernel_smallILi17E19rocblas_complex_numIfEPS3_EEvT1_iilPiilS6_bb
                                        ; -- End function
	.set _ZN9rocsolver6v33100L18getri_kernel_smallILi17E19rocblas_complex_numIfEPS3_EEvT1_iilPiilS6_bb.num_vgpr, 116
	.set _ZN9rocsolver6v33100L18getri_kernel_smallILi17E19rocblas_complex_numIfEPS3_EEvT1_iilPiilS6_bb.num_agpr, 0
	.set _ZN9rocsolver6v33100L18getri_kernel_smallILi17E19rocblas_complex_numIfEPS3_EEvT1_iilPiilS6_bb.numbered_sgpr, 23
	.set _ZN9rocsolver6v33100L18getri_kernel_smallILi17E19rocblas_complex_numIfEPS3_EEvT1_iilPiilS6_bb.num_named_barrier, 0
	.set _ZN9rocsolver6v33100L18getri_kernel_smallILi17E19rocblas_complex_numIfEPS3_EEvT1_iilPiilS6_bb.private_seg_size, 144
	.set _ZN9rocsolver6v33100L18getri_kernel_smallILi17E19rocblas_complex_numIfEPS3_EEvT1_iilPiilS6_bb.uses_vcc, 1
	.set _ZN9rocsolver6v33100L18getri_kernel_smallILi17E19rocblas_complex_numIfEPS3_EEvT1_iilPiilS6_bb.uses_flat_scratch, 0
	.set _ZN9rocsolver6v33100L18getri_kernel_smallILi17E19rocblas_complex_numIfEPS3_EEvT1_iilPiilS6_bb.has_dyn_sized_stack, 0
	.set _ZN9rocsolver6v33100L18getri_kernel_smallILi17E19rocblas_complex_numIfEPS3_EEvT1_iilPiilS6_bb.has_recursion, 0
	.set _ZN9rocsolver6v33100L18getri_kernel_smallILi17E19rocblas_complex_numIfEPS3_EEvT1_iilPiilS6_bb.has_indirect_call, 0
	.section	.AMDGPU.csdata,"",@progbits
; Kernel info:
; codeLenInByte = 18236
; TotalNumSgprs: 25
; NumVgprs: 116
; ScratchSize: 144
; MemoryBound: 0
; FloatMode: 240
; IeeeMode: 1
; LDSByteSize: 280 bytes/workgroup (compile time only)
; SGPRBlocks: 0
; VGPRBlocks: 14
; NumSGPRsForWavesPerEU: 25
; NumVGPRsForWavesPerEU: 116
; Occupancy: 8
; WaveLimiterHint : 1
; COMPUTE_PGM_RSRC2:SCRATCH_EN: 1
; COMPUTE_PGM_RSRC2:USER_SGPR: 6
; COMPUTE_PGM_RSRC2:TRAP_HANDLER: 0
; COMPUTE_PGM_RSRC2:TGID_X_EN: 1
; COMPUTE_PGM_RSRC2:TGID_Y_EN: 0
; COMPUTE_PGM_RSRC2:TGID_Z_EN: 0
; COMPUTE_PGM_RSRC2:TIDIG_COMP_CNT: 0
	.section	.text._ZN9rocsolver6v33100L18getri_kernel_smallILi18E19rocblas_complex_numIfEPS3_EEvT1_iilPiilS6_bb,"axG",@progbits,_ZN9rocsolver6v33100L18getri_kernel_smallILi18E19rocblas_complex_numIfEPS3_EEvT1_iilPiilS6_bb,comdat
	.globl	_ZN9rocsolver6v33100L18getri_kernel_smallILi18E19rocblas_complex_numIfEPS3_EEvT1_iilPiilS6_bb ; -- Begin function _ZN9rocsolver6v33100L18getri_kernel_smallILi18E19rocblas_complex_numIfEPS3_EEvT1_iilPiilS6_bb
	.p2align	8
	.type	_ZN9rocsolver6v33100L18getri_kernel_smallILi18E19rocblas_complex_numIfEPS3_EEvT1_iilPiilS6_bb,@function
_ZN9rocsolver6v33100L18getri_kernel_smallILi18E19rocblas_complex_numIfEPS3_EEvT1_iilPiilS6_bb: ; @_ZN9rocsolver6v33100L18getri_kernel_smallILi18E19rocblas_complex_numIfEPS3_EEvT1_iilPiilS6_bb
; %bb.0:
	s_add_u32 s0, s0, s7
	s_addc_u32 s1, s1, 0
	s_mov_b32 s7, exec_lo
	v_cmpx_gt_u32_e32 18, v0
	s_cbranch_execz .LBB17_86
; %bb.1:
	s_clause 0x2
	s_load_dword s7, s[4:5], 0x38
	s_load_dwordx4 s[16:19], s[4:5], 0x10
	s_load_dwordx4 s[8:11], s[4:5], 0x28
                                        ; implicit-def: $sgpr20_sgpr21
	s_waitcnt lgkmcnt(0)
	s_bitcmp1_b32 s7, 8
	s_cselect_b32 s22, -1, 0
	s_bfe_u32 s12, s7, 0x10008
	s_ashr_i32 s7, s6, 31
	s_cmp_eq_u32 s12, 0
	s_cbranch_scc1 .LBB17_3
; %bb.2:
	s_load_dword s12, s[4:5], 0x20
	s_mul_i32 s13, s8, s7
	s_mul_hi_u32 s14, s8, s6
	s_mul_i32 s9, s9, s6
	s_add_i32 s13, s14, s13
	s_mul_i32 s8, s8, s6
	s_add_i32 s9, s13, s9
	s_lshl_b64 s[8:9], s[8:9], 2
	s_waitcnt lgkmcnt(0)
	s_ashr_i32 s13, s12, 31
	s_add_u32 s14, s18, s8
	s_addc_u32 s15, s19, s9
	s_lshl_b64 s[8:9], s[12:13], 2
	s_add_u32 s20, s14, s8
	s_addc_u32 s21, s15, s9
.LBB17_3:
	s_clause 0x1
	s_load_dwordx4 s[12:15], s[4:5], 0x0
	s_load_dword s8, s[4:5], 0x38
	s_mul_i32 s4, s16, s7
	s_mul_hi_u32 s5, s16, s6
	s_mul_i32 s9, s17, s6
	s_add_i32 s5, s5, s4
	s_mul_i32 s4, s16, s6
	s_add_i32 s5, s5, s9
	v_lshlrev_b32_e32 v39, 3, v0
	s_lshl_b64 s[4:5], s[4:5], 3
	s_waitcnt lgkmcnt(0)
	v_add3_u32 v3, s15, s15, v0
	s_ashr_i32 s17, s14, 31
	s_mov_b32 s16, s14
	s_add_u32 s9, s12, s4
	s_addc_u32 s13, s13, s5
	v_add_nc_u32_e32 v5, s15, v3
	s_lshl_b64 s[4:5], s[16:17], 3
	v_ashrrev_i32_e32 v4, 31, v3
	s_add_u32 s4, s9, s4
	s_addc_u32 s5, s13, s5
	v_ashrrev_i32_e32 v6, 31, v5
	v_add_nc_u32_e32 v7, s15, v5
	v_add_co_u32 v1, s9, s4, v39
	s_mov_b32 s12, s15
	s_ashr_i32 s13, s15, 31
	v_lshlrev_b64 v[9:10], 3, v[3:4]
	v_add_co_ci_u32_e64 v2, null, s5, 0, s9
	s_lshl_b64 s[12:13], s[12:13], 3
	v_lshlrev_b64 v[11:12], 3, v[5:6]
	v_ashrrev_i32_e32 v8, 31, v7
	v_add_nc_u32_e32 v13, s15, v7
	v_add_co_u32 v3, vcc_lo, v1, s12
	v_add_co_ci_u32_e64 v4, null, s13, v2, vcc_lo
	v_add_co_u32 v5, vcc_lo, s4, v9
	v_add_co_ci_u32_e64 v6, null, s5, v10, vcc_lo
	v_lshlrev_b64 v[9:10], 3, v[7:8]
	v_add_co_u32 v7, vcc_lo, s4, v11
	v_add_nc_u32_e32 v11, s15, v13
	v_ashrrev_i32_e32 v14, 31, v13
	v_add_co_ci_u32_e64 v8, null, s5, v12, vcc_lo
	v_add_co_u32 v9, vcc_lo, s4, v9
	v_add_nc_u32_e32 v15, s15, v11
	v_ashrrev_i32_e32 v12, 31, v11
	v_lshlrev_b64 v[13:14], 3, v[13:14]
	v_add_co_ci_u32_e64 v10, null, s5, v10, vcc_lo
	v_add_nc_u32_e32 v19, s15, v15
	v_lshlrev_b64 v[17:18], 3, v[11:12]
	v_ashrrev_i32_e32 v16, 31, v15
	v_add_co_u32 v11, vcc_lo, s4, v13
	v_ashrrev_i32_e32 v20, 31, v19
	v_add_nc_u32_e32 v21, s15, v19
	v_add_co_ci_u32_e64 v12, null, s5, v14, vcc_lo
	v_add_co_u32 v13, vcc_lo, s4, v17
	v_add_co_ci_u32_e64 v14, null, s5, v18, vcc_lo
	v_lshlrev_b64 v[17:18], 3, v[19:20]
	v_add_nc_u32_e32 v19, s15, v21
	v_ashrrev_i32_e32 v22, 31, v21
	v_lshlrev_b64 v[15:16], 3, v[15:16]
	s_clause 0x4
	global_load_dwordx2 v[37:38], v39, s[4:5]
	global_load_dwordx2 v[40:41], v[3:4], off
	global_load_dwordx2 v[42:43], v[5:6], off
	global_load_dwordx2 v[44:45], v[7:8], off
	global_load_dwordx2 v[46:47], v[9:10], off
	v_add_nc_u32_e32 v23, s15, v19
	v_ashrrev_i32_e32 v20, 31, v19
	v_lshlrev_b64 v[21:22], 3, v[21:22]
	v_add_co_u32 v15, vcc_lo, s4, v15
	v_add_nc_u32_e32 v27, s15, v23
	v_lshlrev_b64 v[25:26], 3, v[19:20]
	v_add_co_ci_u32_e64 v16, null, s5, v16, vcc_lo
	v_add_co_u32 v17, vcc_lo, s4, v17
	v_ashrrev_i32_e32 v28, 31, v27
	v_add_nc_u32_e32 v29, s15, v27
	v_add_co_ci_u32_e64 v18, null, s5, v18, vcc_lo
	v_add_co_u32 v19, vcc_lo, s4, v21
	v_add_co_ci_u32_e64 v20, null, s5, v22, vcc_lo
	v_add_co_u32 v21, vcc_lo, s4, v25
	v_add_co_ci_u32_e64 v22, null, s5, v26, vcc_lo
	v_lshlrev_b64 v[25:26], 3, v[27:28]
	v_add_nc_u32_e32 v27, s15, v29
	v_ashrrev_i32_e32 v24, 31, v23
	v_ashrrev_i32_e32 v30, 31, v29
	s_clause 0x3
	global_load_dwordx2 v[48:49], v[11:12], off
	global_load_dwordx2 v[50:51], v[13:14], off
	;; [unrolled: 1-line block ×4, first 2 shown]
	s_bitcmp0_b32 s8, 0
	v_add_nc_u32_e32 v31, s15, v27
	v_lshlrev_b64 v[23:24], 3, v[23:24]
	v_ashrrev_i32_e32 v28, 31, v27
	v_lshlrev_b64 v[29:30], 3, v[29:30]
	v_add_nc_u32_e32 v35, s15, v31
	v_ashrrev_i32_e32 v32, 31, v31
	v_add_co_u32 v23, vcc_lo, s4, v23
	v_lshlrev_b64 v[33:34], 3, v[27:28]
	v_add_nc_u32_e32 v56, s15, v35
	v_add_co_ci_u32_e64 v24, null, s5, v24, vcc_lo
	v_add_co_u32 v25, vcc_lo, s4, v25
	v_ashrrev_i32_e32 v36, 31, v35
	v_add_co_ci_u32_e64 v26, null, s5, v26, vcc_lo
	v_add_co_u32 v27, vcc_lo, s4, v29
	v_ashrrev_i32_e32 v57, 31, v56
	v_add_co_ci_u32_e64 v28, null, s5, v30, vcc_lo
	v_lshlrev_b64 v[31:32], 3, v[31:32]
	v_add_co_u32 v29, vcc_lo, s4, v33
	v_add_co_ci_u32_e64 v30, null, s5, v34, vcc_lo
	v_lshlrev_b64 v[33:34], 3, v[35:36]
	v_lshlrev_b64 v[35:36], 3, v[56:57]
	v_add_co_u32 v31, vcc_lo, s4, v31
	v_add_co_ci_u32_e64 v32, null, s5, v32, vcc_lo
	v_add_co_u32 v33, vcc_lo, s4, v33
	v_add_co_ci_u32_e64 v34, null, s5, v34, vcc_lo
	;; [unrolled: 2-line block ×3, first 2 shown]
	s_clause 0x8
	global_load_dwordx2 v[56:57], v[19:20], off
	global_load_dwordx2 v[58:59], v[21:22], off
	;; [unrolled: 1-line block ×9, first 2 shown]
	s_mov_b32 s5, -1
	s_waitcnt vmcnt(17)
	buffer_store_dword v38, off, s[0:3], 0 offset:4
	buffer_store_dword v37, off, s[0:3], 0
	s_waitcnt vmcnt(16)
	buffer_store_dword v41, off, s[0:3], 0 offset:12
	buffer_store_dword v40, off, s[0:3], 0 offset:8
	s_waitcnt vmcnt(15)
	buffer_store_dword v43, off, s[0:3], 0 offset:20
	buffer_store_dword v42, off, s[0:3], 0 offset:16
	;; [unrolled: 3-line block ×17, first 2 shown]
	s_cbranch_scc1 .LBB17_84
; %bb.4:
	v_cmp_eq_u32_e64 s4, 0, v0
	s_and_saveexec_b32 s5, s4
; %bb.5:
	v_mov_b32_e32 v37, 0
	ds_write_b32 v37, v37 offset:288
; %bb.6:
	s_or_b32 exec_lo, exec_lo, s5
	v_lshl_add_u32 v41, v0, 3, 0
	s_waitcnt lgkmcnt(0)
	s_waitcnt_vscnt null, 0x0
	s_barrier
	buffer_gl0_inv
	s_clause 0x1
	buffer_load_dword v37, v41, s[0:3], 0 offen
	buffer_load_dword v38, v41, s[0:3], 0 offen offset:4
	s_waitcnt vmcnt(1)
	v_cmp_eq_f32_e32 vcc_lo, 0, v37
	s_waitcnt vmcnt(0)
	v_cmp_eq_f32_e64 s5, 0, v38
	s_and_b32 s5, vcc_lo, s5
	s_and_saveexec_b32 s8, s5
	s_cbranch_execz .LBB17_10
; %bb.7:
	v_mov_b32_e32 v37, 0
	s_mov_b32 s9, 0
	ds_read_b32 v38, v37 offset:288
	s_waitcnt lgkmcnt(0)
	v_readfirstlane_b32 s5, v38
	v_add_nc_u32_e32 v38, 1, v0
	s_cmp_eq_u32 s5, 0
	v_cmp_gt_i32_e32 vcc_lo, s5, v38
	s_cselect_b32 s12, -1, 0
	s_or_b32 s12, s12, vcc_lo
	s_and_b32 exec_lo, exec_lo, s12
	s_cbranch_execz .LBB17_10
; %bb.8:
	v_mov_b32_e32 v40, s5
.LBB17_9:                               ; =>This Inner Loop Header: Depth=1
	ds_cmpst_rtn_b32 v40, v37, v40, v38 offset:288
	s_waitcnt lgkmcnt(0)
	v_cmp_ne_u32_e32 vcc_lo, 0, v40
	v_cmp_le_i32_e64 s5, v40, v38
	s_and_b32 s5, vcc_lo, s5
	s_and_b32 s5, exec_lo, s5
	s_or_b32 s9, s5, s9
	s_andn2_b32 exec_lo, exec_lo, s9
	s_cbranch_execnz .LBB17_9
.LBB17_10:
	s_or_b32 exec_lo, exec_lo, s8
	v_mov_b32_e32 v37, 0
	s_barrier
	buffer_gl0_inv
	ds_read_b32 v38, v37 offset:288
	s_and_saveexec_b32 s5, s4
	s_cbranch_execz .LBB17_12
; %bb.11:
	s_lshl_b64 s[8:9], s[6:7], 2
	s_add_u32 s8, s10, s8
	s_addc_u32 s9, s11, s9
	s_waitcnt lgkmcnt(0)
	global_store_dword v37, v38, s[8:9]
.LBB17_12:
	s_or_b32 exec_lo, exec_lo, s5
	s_waitcnt lgkmcnt(0)
	v_cmp_ne_u32_e32 vcc_lo, 0, v38
	s_mov_b32 s5, 0
	s_cbranch_vccnz .LBB17_84
; %bb.13:
	s_clause 0x1
	buffer_load_dword v38, v41, s[0:3], 0 offen
	buffer_load_dword v40, v41, s[0:3], 0 offen offset:4
                                        ; implicit-def: $vgpr43
                                        ; implicit-def: $vgpr42
                                        ; implicit-def: $vgpr37
	s_waitcnt vmcnt(0)
	v_cmp_ngt_f32_e64 s5, |v38|, |v40|
	s_and_saveexec_b32 s8, s5
	s_xor_b32 s5, exec_lo, s8
	s_cbranch_execz .LBB17_15
; %bb.14:
	v_div_scale_f32 v37, null, v40, v40, v38
	v_div_scale_f32 v44, vcc_lo, v38, v40, v38
	v_rcp_f32_e32 v42, v37
	v_fma_f32 v43, -v37, v42, 1.0
	v_fmac_f32_e32 v42, v43, v42
	v_mul_f32_e32 v43, v44, v42
	v_fma_f32 v45, -v37, v43, v44
	v_fmac_f32_e32 v43, v45, v42
	v_fma_f32 v37, -v37, v43, v44
	v_div_fmas_f32 v37, v37, v42, v43
	v_div_fixup_f32 v37, v37, v40, v38
	v_fmac_f32_e32 v40, v38, v37
	v_div_scale_f32 v38, null, v40, v40, 1.0
	v_rcp_f32_e32 v42, v38
	v_fma_f32 v43, -v38, v42, 1.0
	v_fmac_f32_e32 v42, v43, v42
	v_div_scale_f32 v43, vcc_lo, 1.0, v40, 1.0
	v_mul_f32_e32 v44, v43, v42
	v_fma_f32 v45, -v38, v44, v43
	v_fmac_f32_e32 v44, v45, v42
	v_fma_f32 v38, -v38, v44, v43
	v_div_fmas_f32 v38, v38, v42, v44
	v_div_fixup_f32 v38, v38, v40, 1.0
                                        ; implicit-def: $vgpr40
	v_mul_f32_e32 v43, v37, v38
	v_xor_b32_e32 v42, 0x80000000, v38
                                        ; implicit-def: $vgpr38
	v_xor_b32_e32 v37, 0x80000000, v43
.LBB17_15:
	s_andn2_saveexec_b32 s5, s5
	s_cbranch_execz .LBB17_17
; %bb.16:
	v_div_scale_f32 v37, null, v38, v38, v40
	v_div_scale_f32 v44, vcc_lo, v40, v38, v40
	v_rcp_f32_e32 v42, v37
	v_fma_f32 v43, -v37, v42, 1.0
	v_fmac_f32_e32 v42, v43, v42
	v_mul_f32_e32 v43, v44, v42
	v_fma_f32 v45, -v37, v43, v44
	v_fmac_f32_e32 v43, v45, v42
	v_fma_f32 v37, -v37, v43, v44
	v_div_fmas_f32 v37, v37, v42, v43
	v_div_fixup_f32 v42, v37, v38, v40
	v_fmac_f32_e32 v38, v40, v42
	v_div_scale_f32 v37, null, v38, v38, 1.0
	v_div_scale_f32 v44, vcc_lo, 1.0, v38, 1.0
	v_rcp_f32_e32 v40, v37
	v_fma_f32 v43, -v37, v40, 1.0
	v_fmac_f32_e32 v40, v43, v40
	v_mul_f32_e32 v43, v44, v40
	v_fma_f32 v45, -v37, v43, v44
	v_fmac_f32_e32 v43, v45, v40
	v_fma_f32 v37, -v37, v43, v44
	v_div_fmas_f32 v37, v37, v40, v43
	v_div_fixup_f32 v43, v37, v38, 1.0
	v_xor_b32_e32 v37, 0x80000000, v43
	v_mul_f32_e64 v42, v42, -v43
.LBB17_17:
	s_or_b32 exec_lo, exec_lo, s5
	buffer_store_dword v43, v41, s[0:3], 0 offen
	buffer_store_dword v42, v41, s[0:3], 0 offen offset:4
	s_clause 0x1
	buffer_load_dword v44, off, s[0:3], 0 offset:12
	buffer_load_dword v43, off, s[0:3], 0 offset:8
	v_xor_b32_e32 v38, 0x80000000, v42
	v_add_nc_u32_e32 v40, 0x90, v39
	s_waitcnt vmcnt(0)
	ds_write2_b64 v39, v[37:38], v[43:44] offset1:18
	s_waitcnt lgkmcnt(0)
	s_waitcnt_vscnt null, 0x0
	s_barrier
	buffer_gl0_inv
	s_and_saveexec_b32 s5, s4
	s_cbranch_execz .LBB17_19
; %bb.18:
	s_clause 0x1
	buffer_load_dword v44, v41, s[0:3], 0 offen offset:4
	buffer_load_dword v45, v41, s[0:3], 0 offen
	ds_read_b64 v[37:38], v40
	v_mov_b32_e32 v42, 0
	ds_read_b64 v[42:43], v42 offset:8
	s_waitcnt vmcnt(1) lgkmcnt(1)
	v_mul_f32_e32 v46, v37, v44
	v_mul_f32_e32 v44, v38, v44
	s_waitcnt vmcnt(0)
	v_fmac_f32_e32 v46, v38, v45
	v_fma_f32 v37, v37, v45, -v44
	v_add_f32_e32 v38, 0, v46
	v_add_f32_e32 v37, 0, v37
	s_waitcnt lgkmcnt(0)
	v_mul_f32_e32 v44, v38, v43
	v_mul_f32_e32 v43, v37, v43
	v_fma_f32 v37, v37, v42, -v44
	v_fmac_f32_e32 v43, v38, v42
	buffer_store_dword v37, off, s[0:3], 0 offset:8
	buffer_store_dword v43, off, s[0:3], 0 offset:12
.LBB17_19:
	s_or_b32 exec_lo, exec_lo, s5
	s_waitcnt_vscnt null, 0x0
	s_barrier
	buffer_gl0_inv
	s_clause 0x1
	buffer_load_dword v37, off, s[0:3], 0 offset:16
	buffer_load_dword v38, off, s[0:3], 0 offset:20
	s_mov_b32 s5, exec_lo
	s_waitcnt vmcnt(0)
	ds_write_b64 v40, v[37:38]
	s_waitcnt lgkmcnt(0)
	s_barrier
	buffer_gl0_inv
	v_cmpx_gt_u32_e32 2, v0
	s_cbranch_execz .LBB17_23
; %bb.20:
	s_clause 0x1
	buffer_load_dword v42, v41, s[0:3], 0 offen offset:4
	buffer_load_dword v41, v41, s[0:3], 0 offen
	ds_read_b64 v[37:38], v40
	s_waitcnt vmcnt(1) lgkmcnt(0)
	v_mul_f32_e32 v43, v38, v42
	v_mul_f32_e32 v42, v37, v42
	s_waitcnt vmcnt(0)
	v_fma_f32 v37, v37, v41, -v43
	v_fmac_f32_e32 v42, v38, v41
	v_add_f32_e32 v38, 0, v37
	v_add_f32_e32 v37, 0, v42
	s_and_saveexec_b32 s8, s4
	s_cbranch_execz .LBB17_22
; %bb.21:
	s_clause 0x1
	buffer_load_dword v43, off, s[0:3], 0 offset:12
	buffer_load_dword v44, off, s[0:3], 0 offset:8
	v_mov_b32_e32 v41, 0
	ds_read_b64 v[41:42], v41 offset:152
	s_waitcnt vmcnt(1) lgkmcnt(0)
	v_mul_f32_e32 v45, v41, v43
	v_mul_f32_e32 v43, v42, v43
	s_waitcnt vmcnt(0)
	v_fmac_f32_e32 v45, v42, v44
	v_fma_f32 v41, v41, v44, -v43
	v_add_f32_e32 v37, v37, v45
	v_add_f32_e32 v38, v38, v41
.LBB17_22:
	s_or_b32 exec_lo, exec_lo, s8
	v_mov_b32_e32 v41, 0
	ds_read_b64 v[41:42], v41 offset:16
	s_waitcnt lgkmcnt(0)
	v_mul_f32_e32 v43, v37, v42
	v_mul_f32_e32 v42, v38, v42
	v_fma_f32 v38, v38, v41, -v43
	v_fmac_f32_e32 v42, v37, v41
	buffer_store_dword v38, off, s[0:3], 0 offset:16
	buffer_store_dword v42, off, s[0:3], 0 offset:20
.LBB17_23:
	s_or_b32 exec_lo, exec_lo, s5
	s_waitcnt_vscnt null, 0x0
	s_barrier
	buffer_gl0_inv
	s_clause 0x1
	buffer_load_dword v41, off, s[0:3], 0 offset:24
	buffer_load_dword v42, off, s[0:3], 0 offset:28
	v_add_nc_u32_e32 v37, -1, v0
	s_mov_b32 s4, exec_lo
	s_waitcnt vmcnt(0)
	ds_write_b64 v40, v[41:42]
	s_waitcnt lgkmcnt(0)
	s_barrier
	buffer_gl0_inv
	v_cmpx_gt_u32_e32 3, v0
	s_cbranch_execz .LBB17_27
; %bb.24:
	v_add_nc_u32_e32 v41, -1, v0
	v_add_nc_u32_e32 v42, 0x90, v39
	v_mov_b32_e32 v43, v39
	v_mov_b32_e32 v38, 0
	;; [unrolled: 1-line block ×3, first 2 shown]
	s_mov_b32 s5, 0
	.p2align	6
.LBB17_25:                              ; =>This Inner Loop Header: Depth=1
	s_clause 0x1
	buffer_load_dword v47, v43, s[0:3], 0 offen offset:4
	buffer_load_dword v48, v43, s[0:3], 0 offen
	ds_read_b64 v[45:46], v42
	v_add_nc_u32_e32 v41, 1, v41
	v_add_nc_u32_e32 v42, 8, v42
	;; [unrolled: 1-line block ×3, first 2 shown]
	v_cmp_lt_u32_e32 vcc_lo, 1, v41
	s_or_b32 s5, vcc_lo, s5
	s_waitcnt vmcnt(1) lgkmcnt(0)
	v_mul_f32_e32 v49, v46, v47
	v_mul_f32_e32 v47, v45, v47
	s_waitcnt vmcnt(0)
	v_fma_f32 v45, v45, v48, -v49
	v_fmac_f32_e32 v47, v46, v48
	v_add_f32_e32 v44, v44, v45
	v_add_f32_e32 v38, v38, v47
	s_andn2_b32 exec_lo, exec_lo, s5
	s_cbranch_execnz .LBB17_25
; %bb.26:
	s_or_b32 exec_lo, exec_lo, s5
	v_mov_b32_e32 v41, 0
	ds_read_b64 v[41:42], v41 offset:24
	s_waitcnt lgkmcnt(0)
	v_mul_f32_e32 v43, v38, v42
	v_mul_f32_e32 v42, v44, v42
	v_fma_f32 v43, v44, v41, -v43
	v_fmac_f32_e32 v42, v38, v41
	buffer_store_dword v43, off, s[0:3], 0 offset:24
	buffer_store_dword v42, off, s[0:3], 0 offset:28
.LBB17_27:
	s_or_b32 exec_lo, exec_lo, s4
	s_waitcnt_vscnt null, 0x0
	s_barrier
	buffer_gl0_inv
	s_clause 0x1
	buffer_load_dword v41, off, s[0:3], 0 offset:32
	buffer_load_dword v42, off, s[0:3], 0 offset:36
	s_mov_b32 s4, exec_lo
	s_waitcnt vmcnt(0)
	ds_write_b64 v40, v[41:42]
	s_waitcnt lgkmcnt(0)
	s_barrier
	buffer_gl0_inv
	v_cmpx_gt_u32_e32 4, v0
	s_cbranch_execz .LBB17_31
; %bb.28:
	v_add_nc_u32_e32 v41, -1, v0
	v_add_nc_u32_e32 v42, 0x90, v39
	v_mov_b32_e32 v43, v39
	v_mov_b32_e32 v38, 0
	;; [unrolled: 1-line block ×3, first 2 shown]
	s_mov_b32 s5, 0
	.p2align	6
.LBB17_29:                              ; =>This Inner Loop Header: Depth=1
	s_clause 0x1
	buffer_load_dword v47, v43, s[0:3], 0 offen offset:4
	buffer_load_dword v48, v43, s[0:3], 0 offen
	ds_read_b64 v[45:46], v42
	v_add_nc_u32_e32 v41, 1, v41
	v_add_nc_u32_e32 v42, 8, v42
	;; [unrolled: 1-line block ×3, first 2 shown]
	v_cmp_lt_u32_e32 vcc_lo, 2, v41
	s_or_b32 s5, vcc_lo, s5
	s_waitcnt vmcnt(1) lgkmcnt(0)
	v_mul_f32_e32 v49, v46, v47
	v_mul_f32_e32 v47, v45, v47
	s_waitcnt vmcnt(0)
	v_fma_f32 v45, v45, v48, -v49
	v_fmac_f32_e32 v47, v46, v48
	v_add_f32_e32 v44, v44, v45
	v_add_f32_e32 v38, v38, v47
	s_andn2_b32 exec_lo, exec_lo, s5
	s_cbranch_execnz .LBB17_29
; %bb.30:
	s_or_b32 exec_lo, exec_lo, s5
	v_mov_b32_e32 v41, 0
	ds_read_b64 v[41:42], v41 offset:32
	s_waitcnt lgkmcnt(0)
	v_mul_f32_e32 v43, v38, v42
	v_mul_f32_e32 v42, v44, v42
	v_fma_f32 v43, v44, v41, -v43
	v_fmac_f32_e32 v42, v38, v41
	buffer_store_dword v43, off, s[0:3], 0 offset:32
	buffer_store_dword v42, off, s[0:3], 0 offset:36
.LBB17_31:
	s_or_b32 exec_lo, exec_lo, s4
	s_waitcnt_vscnt null, 0x0
	s_barrier
	buffer_gl0_inv
	s_clause 0x1
	buffer_load_dword v41, off, s[0:3], 0 offset:40
	buffer_load_dword v42, off, s[0:3], 0 offset:44
	s_mov_b32 s4, exec_lo
	s_waitcnt vmcnt(0)
	ds_write_b64 v40, v[41:42]
	s_waitcnt lgkmcnt(0)
	s_barrier
	buffer_gl0_inv
	v_cmpx_gt_u32_e32 5, v0
	s_cbranch_execz .LBB17_35
; %bb.32:
	v_add_nc_u32_e32 v41, -1, v0
	v_add_nc_u32_e32 v42, 0x90, v39
	v_mov_b32_e32 v43, v39
	v_mov_b32_e32 v38, 0
	;; [unrolled: 1-line block ×3, first 2 shown]
	s_mov_b32 s5, 0
	.p2align	6
.LBB17_33:                              ; =>This Inner Loop Header: Depth=1
	s_clause 0x1
	buffer_load_dword v47, v43, s[0:3], 0 offen offset:4
	buffer_load_dword v48, v43, s[0:3], 0 offen
	ds_read_b64 v[45:46], v42
	v_add_nc_u32_e32 v41, 1, v41
	v_add_nc_u32_e32 v42, 8, v42
	;; [unrolled: 1-line block ×3, first 2 shown]
	v_cmp_lt_u32_e32 vcc_lo, 3, v41
	s_or_b32 s5, vcc_lo, s5
	s_waitcnt vmcnt(1) lgkmcnt(0)
	v_mul_f32_e32 v49, v46, v47
	v_mul_f32_e32 v47, v45, v47
	s_waitcnt vmcnt(0)
	v_fma_f32 v45, v45, v48, -v49
	v_fmac_f32_e32 v47, v46, v48
	v_add_f32_e32 v44, v44, v45
	v_add_f32_e32 v38, v38, v47
	s_andn2_b32 exec_lo, exec_lo, s5
	s_cbranch_execnz .LBB17_33
; %bb.34:
	s_or_b32 exec_lo, exec_lo, s5
	v_mov_b32_e32 v41, 0
	ds_read_b64 v[41:42], v41 offset:40
	s_waitcnt lgkmcnt(0)
	v_mul_f32_e32 v43, v38, v42
	v_mul_f32_e32 v42, v44, v42
	v_fma_f32 v43, v44, v41, -v43
	v_fmac_f32_e32 v42, v38, v41
	buffer_store_dword v43, off, s[0:3], 0 offset:40
	buffer_store_dword v42, off, s[0:3], 0 offset:44
.LBB17_35:
	s_or_b32 exec_lo, exec_lo, s4
	s_waitcnt_vscnt null, 0x0
	s_barrier
	buffer_gl0_inv
	s_clause 0x1
	buffer_load_dword v41, off, s[0:3], 0 offset:48
	buffer_load_dword v42, off, s[0:3], 0 offset:52
	s_mov_b32 s4, exec_lo
	s_waitcnt vmcnt(0)
	ds_write_b64 v40, v[41:42]
	s_waitcnt lgkmcnt(0)
	s_barrier
	buffer_gl0_inv
	v_cmpx_gt_u32_e32 6, v0
	s_cbranch_execz .LBB17_39
; %bb.36:
	v_add_nc_u32_e32 v41, -1, v0
	v_add_nc_u32_e32 v42, 0x90, v39
	v_mov_b32_e32 v43, v39
	v_mov_b32_e32 v38, 0
	;; [unrolled: 1-line block ×3, first 2 shown]
	s_mov_b32 s5, 0
	.p2align	6
.LBB17_37:                              ; =>This Inner Loop Header: Depth=1
	s_clause 0x1
	buffer_load_dword v47, v43, s[0:3], 0 offen offset:4
	buffer_load_dword v48, v43, s[0:3], 0 offen
	ds_read_b64 v[45:46], v42
	v_add_nc_u32_e32 v41, 1, v41
	v_add_nc_u32_e32 v42, 8, v42
	;; [unrolled: 1-line block ×3, first 2 shown]
	v_cmp_lt_u32_e32 vcc_lo, 4, v41
	s_or_b32 s5, vcc_lo, s5
	s_waitcnt vmcnt(1) lgkmcnt(0)
	v_mul_f32_e32 v49, v46, v47
	v_mul_f32_e32 v47, v45, v47
	s_waitcnt vmcnt(0)
	v_fma_f32 v45, v45, v48, -v49
	v_fmac_f32_e32 v47, v46, v48
	v_add_f32_e32 v44, v44, v45
	v_add_f32_e32 v38, v38, v47
	s_andn2_b32 exec_lo, exec_lo, s5
	s_cbranch_execnz .LBB17_37
; %bb.38:
	s_or_b32 exec_lo, exec_lo, s5
	v_mov_b32_e32 v41, 0
	ds_read_b64 v[41:42], v41 offset:48
	s_waitcnt lgkmcnt(0)
	v_mul_f32_e32 v43, v38, v42
	v_mul_f32_e32 v42, v44, v42
	v_fma_f32 v43, v44, v41, -v43
	v_fmac_f32_e32 v42, v38, v41
	buffer_store_dword v43, off, s[0:3], 0 offset:48
	buffer_store_dword v42, off, s[0:3], 0 offset:52
.LBB17_39:
	s_or_b32 exec_lo, exec_lo, s4
	s_waitcnt_vscnt null, 0x0
	s_barrier
	buffer_gl0_inv
	s_clause 0x1
	buffer_load_dword v41, off, s[0:3], 0 offset:56
	buffer_load_dword v42, off, s[0:3], 0 offset:60
	s_mov_b32 s4, exec_lo
	s_waitcnt vmcnt(0)
	ds_write_b64 v40, v[41:42]
	s_waitcnt lgkmcnt(0)
	s_barrier
	buffer_gl0_inv
	v_cmpx_gt_u32_e32 7, v0
	s_cbranch_execz .LBB17_43
; %bb.40:
	v_add_nc_u32_e32 v41, -1, v0
	v_add_nc_u32_e32 v42, 0x90, v39
	v_mov_b32_e32 v43, v39
	v_mov_b32_e32 v38, 0
	;; [unrolled: 1-line block ×3, first 2 shown]
	s_mov_b32 s5, 0
	.p2align	6
.LBB17_41:                              ; =>This Inner Loop Header: Depth=1
	s_clause 0x1
	buffer_load_dword v47, v43, s[0:3], 0 offen offset:4
	buffer_load_dword v48, v43, s[0:3], 0 offen
	ds_read_b64 v[45:46], v42
	v_add_nc_u32_e32 v41, 1, v41
	v_add_nc_u32_e32 v42, 8, v42
	;; [unrolled: 1-line block ×3, first 2 shown]
	v_cmp_lt_u32_e32 vcc_lo, 5, v41
	s_or_b32 s5, vcc_lo, s5
	s_waitcnt vmcnt(1) lgkmcnt(0)
	v_mul_f32_e32 v49, v46, v47
	v_mul_f32_e32 v47, v45, v47
	s_waitcnt vmcnt(0)
	v_fma_f32 v45, v45, v48, -v49
	v_fmac_f32_e32 v47, v46, v48
	v_add_f32_e32 v44, v44, v45
	v_add_f32_e32 v38, v38, v47
	s_andn2_b32 exec_lo, exec_lo, s5
	s_cbranch_execnz .LBB17_41
; %bb.42:
	s_or_b32 exec_lo, exec_lo, s5
	v_mov_b32_e32 v41, 0
	ds_read_b64 v[41:42], v41 offset:56
	s_waitcnt lgkmcnt(0)
	v_mul_f32_e32 v43, v38, v42
	v_mul_f32_e32 v42, v44, v42
	v_fma_f32 v43, v44, v41, -v43
	v_fmac_f32_e32 v42, v38, v41
	buffer_store_dword v43, off, s[0:3], 0 offset:56
	buffer_store_dword v42, off, s[0:3], 0 offset:60
.LBB17_43:
	s_or_b32 exec_lo, exec_lo, s4
	s_waitcnt_vscnt null, 0x0
	s_barrier
	buffer_gl0_inv
	s_clause 0x1
	buffer_load_dword v41, off, s[0:3], 0 offset:64
	buffer_load_dword v42, off, s[0:3], 0 offset:68
	s_mov_b32 s4, exec_lo
	s_waitcnt vmcnt(0)
	ds_write_b64 v40, v[41:42]
	s_waitcnt lgkmcnt(0)
	s_barrier
	buffer_gl0_inv
	v_cmpx_gt_u32_e32 8, v0
	s_cbranch_execz .LBB17_47
; %bb.44:
	v_add_nc_u32_e32 v41, -1, v0
	v_add_nc_u32_e32 v42, 0x90, v39
	v_mov_b32_e32 v43, v39
	v_mov_b32_e32 v38, 0
	;; [unrolled: 1-line block ×3, first 2 shown]
	s_mov_b32 s5, 0
	.p2align	6
.LBB17_45:                              ; =>This Inner Loop Header: Depth=1
	s_clause 0x1
	buffer_load_dword v47, v43, s[0:3], 0 offen offset:4
	buffer_load_dword v48, v43, s[0:3], 0 offen
	ds_read_b64 v[45:46], v42
	v_add_nc_u32_e32 v41, 1, v41
	v_add_nc_u32_e32 v42, 8, v42
	;; [unrolled: 1-line block ×3, first 2 shown]
	v_cmp_lt_u32_e32 vcc_lo, 6, v41
	s_or_b32 s5, vcc_lo, s5
	s_waitcnt vmcnt(1) lgkmcnt(0)
	v_mul_f32_e32 v49, v46, v47
	v_mul_f32_e32 v47, v45, v47
	s_waitcnt vmcnt(0)
	v_fma_f32 v45, v45, v48, -v49
	v_fmac_f32_e32 v47, v46, v48
	v_add_f32_e32 v44, v44, v45
	v_add_f32_e32 v38, v38, v47
	s_andn2_b32 exec_lo, exec_lo, s5
	s_cbranch_execnz .LBB17_45
; %bb.46:
	s_or_b32 exec_lo, exec_lo, s5
	v_mov_b32_e32 v41, 0
	ds_read_b64 v[41:42], v41 offset:64
	s_waitcnt lgkmcnt(0)
	v_mul_f32_e32 v43, v38, v42
	v_mul_f32_e32 v42, v44, v42
	v_fma_f32 v43, v44, v41, -v43
	v_fmac_f32_e32 v42, v38, v41
	buffer_store_dword v43, off, s[0:3], 0 offset:64
	buffer_store_dword v42, off, s[0:3], 0 offset:68
.LBB17_47:
	s_or_b32 exec_lo, exec_lo, s4
	s_waitcnt_vscnt null, 0x0
	s_barrier
	buffer_gl0_inv
	s_clause 0x1
	buffer_load_dword v41, off, s[0:3], 0 offset:72
	buffer_load_dword v42, off, s[0:3], 0 offset:76
	s_mov_b32 s4, exec_lo
	s_waitcnt vmcnt(0)
	ds_write_b64 v40, v[41:42]
	s_waitcnt lgkmcnt(0)
	s_barrier
	buffer_gl0_inv
	v_cmpx_gt_u32_e32 9, v0
	s_cbranch_execz .LBB17_51
; %bb.48:
	v_add_nc_u32_e32 v41, -1, v0
	v_add_nc_u32_e32 v42, 0x90, v39
	v_mov_b32_e32 v43, v39
	v_mov_b32_e32 v38, 0
	;; [unrolled: 1-line block ×3, first 2 shown]
	s_mov_b32 s5, 0
	.p2align	6
.LBB17_49:                              ; =>This Inner Loop Header: Depth=1
	s_clause 0x1
	buffer_load_dword v47, v43, s[0:3], 0 offen offset:4
	buffer_load_dword v48, v43, s[0:3], 0 offen
	ds_read_b64 v[45:46], v42
	v_add_nc_u32_e32 v41, 1, v41
	v_add_nc_u32_e32 v42, 8, v42
	;; [unrolled: 1-line block ×3, first 2 shown]
	v_cmp_lt_u32_e32 vcc_lo, 7, v41
	s_or_b32 s5, vcc_lo, s5
	s_waitcnt vmcnt(1) lgkmcnt(0)
	v_mul_f32_e32 v49, v46, v47
	v_mul_f32_e32 v47, v45, v47
	s_waitcnt vmcnt(0)
	v_fma_f32 v45, v45, v48, -v49
	v_fmac_f32_e32 v47, v46, v48
	v_add_f32_e32 v44, v44, v45
	v_add_f32_e32 v38, v38, v47
	s_andn2_b32 exec_lo, exec_lo, s5
	s_cbranch_execnz .LBB17_49
; %bb.50:
	s_or_b32 exec_lo, exec_lo, s5
	v_mov_b32_e32 v41, 0
	ds_read_b64 v[41:42], v41 offset:72
	s_waitcnt lgkmcnt(0)
	v_mul_f32_e32 v43, v38, v42
	v_mul_f32_e32 v42, v44, v42
	v_fma_f32 v43, v44, v41, -v43
	v_fmac_f32_e32 v42, v38, v41
	buffer_store_dword v43, off, s[0:3], 0 offset:72
	buffer_store_dword v42, off, s[0:3], 0 offset:76
.LBB17_51:
	s_or_b32 exec_lo, exec_lo, s4
	s_waitcnt_vscnt null, 0x0
	s_barrier
	buffer_gl0_inv
	s_clause 0x1
	buffer_load_dword v41, off, s[0:3], 0 offset:80
	buffer_load_dword v42, off, s[0:3], 0 offset:84
	s_mov_b32 s4, exec_lo
	s_waitcnt vmcnt(0)
	ds_write_b64 v40, v[41:42]
	s_waitcnt lgkmcnt(0)
	s_barrier
	buffer_gl0_inv
	v_cmpx_gt_u32_e32 10, v0
	s_cbranch_execz .LBB17_55
; %bb.52:
	v_add_nc_u32_e32 v41, -1, v0
	v_add_nc_u32_e32 v42, 0x90, v39
	v_mov_b32_e32 v43, v39
	v_mov_b32_e32 v38, 0
	;; [unrolled: 1-line block ×3, first 2 shown]
	s_mov_b32 s5, 0
	.p2align	6
.LBB17_53:                              ; =>This Inner Loop Header: Depth=1
	s_clause 0x1
	buffer_load_dword v47, v43, s[0:3], 0 offen offset:4
	buffer_load_dword v48, v43, s[0:3], 0 offen
	ds_read_b64 v[45:46], v42
	v_add_nc_u32_e32 v41, 1, v41
	v_add_nc_u32_e32 v42, 8, v42
	;; [unrolled: 1-line block ×3, first 2 shown]
	v_cmp_lt_u32_e32 vcc_lo, 8, v41
	s_or_b32 s5, vcc_lo, s5
	s_waitcnt vmcnt(1) lgkmcnt(0)
	v_mul_f32_e32 v49, v46, v47
	v_mul_f32_e32 v47, v45, v47
	s_waitcnt vmcnt(0)
	v_fma_f32 v45, v45, v48, -v49
	v_fmac_f32_e32 v47, v46, v48
	v_add_f32_e32 v44, v44, v45
	v_add_f32_e32 v38, v38, v47
	s_andn2_b32 exec_lo, exec_lo, s5
	s_cbranch_execnz .LBB17_53
; %bb.54:
	s_or_b32 exec_lo, exec_lo, s5
	v_mov_b32_e32 v41, 0
	ds_read_b64 v[41:42], v41 offset:80
	s_waitcnt lgkmcnt(0)
	v_mul_f32_e32 v43, v38, v42
	v_mul_f32_e32 v42, v44, v42
	v_fma_f32 v43, v44, v41, -v43
	v_fmac_f32_e32 v42, v38, v41
	buffer_store_dword v43, off, s[0:3], 0 offset:80
	buffer_store_dword v42, off, s[0:3], 0 offset:84
.LBB17_55:
	s_or_b32 exec_lo, exec_lo, s4
	s_waitcnt_vscnt null, 0x0
	s_barrier
	buffer_gl0_inv
	s_clause 0x1
	buffer_load_dword v41, off, s[0:3], 0 offset:88
	buffer_load_dword v42, off, s[0:3], 0 offset:92
	s_mov_b32 s4, exec_lo
	s_waitcnt vmcnt(0)
	ds_write_b64 v40, v[41:42]
	s_waitcnt lgkmcnt(0)
	s_barrier
	buffer_gl0_inv
	v_cmpx_gt_u32_e32 11, v0
	s_cbranch_execz .LBB17_59
; %bb.56:
	v_add_nc_u32_e32 v41, -1, v0
	v_add_nc_u32_e32 v42, 0x90, v39
	v_mov_b32_e32 v43, v39
	v_mov_b32_e32 v38, 0
	;; [unrolled: 1-line block ×3, first 2 shown]
	s_mov_b32 s5, 0
	.p2align	6
.LBB17_57:                              ; =>This Inner Loop Header: Depth=1
	s_clause 0x1
	buffer_load_dword v47, v43, s[0:3], 0 offen offset:4
	buffer_load_dword v48, v43, s[0:3], 0 offen
	ds_read_b64 v[45:46], v42
	v_add_nc_u32_e32 v41, 1, v41
	v_add_nc_u32_e32 v42, 8, v42
	;; [unrolled: 1-line block ×3, first 2 shown]
	v_cmp_lt_u32_e32 vcc_lo, 9, v41
	s_or_b32 s5, vcc_lo, s5
	s_waitcnt vmcnt(1) lgkmcnt(0)
	v_mul_f32_e32 v49, v46, v47
	v_mul_f32_e32 v47, v45, v47
	s_waitcnt vmcnt(0)
	v_fma_f32 v45, v45, v48, -v49
	v_fmac_f32_e32 v47, v46, v48
	v_add_f32_e32 v44, v44, v45
	v_add_f32_e32 v38, v38, v47
	s_andn2_b32 exec_lo, exec_lo, s5
	s_cbranch_execnz .LBB17_57
; %bb.58:
	s_or_b32 exec_lo, exec_lo, s5
	v_mov_b32_e32 v41, 0
	ds_read_b64 v[41:42], v41 offset:88
	s_waitcnt lgkmcnt(0)
	v_mul_f32_e32 v43, v38, v42
	v_mul_f32_e32 v42, v44, v42
	v_fma_f32 v43, v44, v41, -v43
	v_fmac_f32_e32 v42, v38, v41
	buffer_store_dword v43, off, s[0:3], 0 offset:88
	buffer_store_dword v42, off, s[0:3], 0 offset:92
.LBB17_59:
	s_or_b32 exec_lo, exec_lo, s4
	s_waitcnt_vscnt null, 0x0
	s_barrier
	buffer_gl0_inv
	s_clause 0x1
	buffer_load_dword v41, off, s[0:3], 0 offset:96
	buffer_load_dword v42, off, s[0:3], 0 offset:100
	s_mov_b32 s4, exec_lo
	s_waitcnt vmcnt(0)
	ds_write_b64 v40, v[41:42]
	s_waitcnt lgkmcnt(0)
	s_barrier
	buffer_gl0_inv
	v_cmpx_gt_u32_e32 12, v0
	s_cbranch_execz .LBB17_63
; %bb.60:
	v_add_nc_u32_e32 v41, -1, v0
	v_add_nc_u32_e32 v42, 0x90, v39
	v_mov_b32_e32 v43, v39
	v_mov_b32_e32 v38, 0
	;; [unrolled: 1-line block ×3, first 2 shown]
	s_mov_b32 s5, 0
	.p2align	6
.LBB17_61:                              ; =>This Inner Loop Header: Depth=1
	s_clause 0x1
	buffer_load_dword v47, v43, s[0:3], 0 offen offset:4
	buffer_load_dword v48, v43, s[0:3], 0 offen
	ds_read_b64 v[45:46], v42
	v_add_nc_u32_e32 v41, 1, v41
	v_add_nc_u32_e32 v42, 8, v42
	;; [unrolled: 1-line block ×3, first 2 shown]
	v_cmp_lt_u32_e32 vcc_lo, 10, v41
	s_or_b32 s5, vcc_lo, s5
	s_waitcnt vmcnt(1) lgkmcnt(0)
	v_mul_f32_e32 v49, v46, v47
	v_mul_f32_e32 v47, v45, v47
	s_waitcnt vmcnt(0)
	v_fma_f32 v45, v45, v48, -v49
	v_fmac_f32_e32 v47, v46, v48
	v_add_f32_e32 v44, v44, v45
	v_add_f32_e32 v38, v38, v47
	s_andn2_b32 exec_lo, exec_lo, s5
	s_cbranch_execnz .LBB17_61
; %bb.62:
	s_or_b32 exec_lo, exec_lo, s5
	v_mov_b32_e32 v41, 0
	ds_read_b64 v[41:42], v41 offset:96
	s_waitcnt lgkmcnt(0)
	v_mul_f32_e32 v43, v38, v42
	v_mul_f32_e32 v42, v44, v42
	v_fma_f32 v43, v44, v41, -v43
	v_fmac_f32_e32 v42, v38, v41
	buffer_store_dword v43, off, s[0:3], 0 offset:96
	buffer_store_dword v42, off, s[0:3], 0 offset:100
.LBB17_63:
	s_or_b32 exec_lo, exec_lo, s4
	s_waitcnt_vscnt null, 0x0
	s_barrier
	buffer_gl0_inv
	s_clause 0x1
	buffer_load_dword v41, off, s[0:3], 0 offset:104
	buffer_load_dword v42, off, s[0:3], 0 offset:108
	s_mov_b32 s4, exec_lo
	s_waitcnt vmcnt(0)
	ds_write_b64 v40, v[41:42]
	s_waitcnt lgkmcnt(0)
	s_barrier
	buffer_gl0_inv
	v_cmpx_gt_u32_e32 13, v0
	s_cbranch_execz .LBB17_67
; %bb.64:
	v_add_nc_u32_e32 v41, -1, v0
	v_add_nc_u32_e32 v42, 0x90, v39
	v_mov_b32_e32 v43, v39
	v_mov_b32_e32 v38, 0
	;; [unrolled: 1-line block ×3, first 2 shown]
	s_mov_b32 s5, 0
	.p2align	6
.LBB17_65:                              ; =>This Inner Loop Header: Depth=1
	s_clause 0x1
	buffer_load_dword v47, v43, s[0:3], 0 offen offset:4
	buffer_load_dword v48, v43, s[0:3], 0 offen
	ds_read_b64 v[45:46], v42
	v_add_nc_u32_e32 v41, 1, v41
	v_add_nc_u32_e32 v42, 8, v42
	;; [unrolled: 1-line block ×3, first 2 shown]
	v_cmp_lt_u32_e32 vcc_lo, 11, v41
	s_or_b32 s5, vcc_lo, s5
	s_waitcnt vmcnt(1) lgkmcnt(0)
	v_mul_f32_e32 v49, v46, v47
	v_mul_f32_e32 v47, v45, v47
	s_waitcnt vmcnt(0)
	v_fma_f32 v45, v45, v48, -v49
	v_fmac_f32_e32 v47, v46, v48
	v_add_f32_e32 v44, v44, v45
	v_add_f32_e32 v38, v38, v47
	s_andn2_b32 exec_lo, exec_lo, s5
	s_cbranch_execnz .LBB17_65
; %bb.66:
	s_or_b32 exec_lo, exec_lo, s5
	v_mov_b32_e32 v41, 0
	ds_read_b64 v[41:42], v41 offset:104
	s_waitcnt lgkmcnt(0)
	v_mul_f32_e32 v43, v38, v42
	v_mul_f32_e32 v42, v44, v42
	v_fma_f32 v43, v44, v41, -v43
	v_fmac_f32_e32 v42, v38, v41
	buffer_store_dword v43, off, s[0:3], 0 offset:104
	buffer_store_dword v42, off, s[0:3], 0 offset:108
.LBB17_67:
	s_or_b32 exec_lo, exec_lo, s4
	s_waitcnt_vscnt null, 0x0
	s_barrier
	buffer_gl0_inv
	s_clause 0x1
	buffer_load_dword v41, off, s[0:3], 0 offset:112
	buffer_load_dword v42, off, s[0:3], 0 offset:116
	s_mov_b32 s4, exec_lo
	s_waitcnt vmcnt(0)
	ds_write_b64 v40, v[41:42]
	s_waitcnt lgkmcnt(0)
	s_barrier
	buffer_gl0_inv
	v_cmpx_gt_u32_e32 14, v0
	s_cbranch_execz .LBB17_71
; %bb.68:
	v_add_nc_u32_e32 v41, -1, v0
	v_add_nc_u32_e32 v42, 0x90, v39
	v_mov_b32_e32 v43, v39
	v_mov_b32_e32 v38, 0
	;; [unrolled: 1-line block ×3, first 2 shown]
	s_mov_b32 s5, 0
	.p2align	6
.LBB17_69:                              ; =>This Inner Loop Header: Depth=1
	s_clause 0x1
	buffer_load_dword v47, v43, s[0:3], 0 offen offset:4
	buffer_load_dword v48, v43, s[0:3], 0 offen
	ds_read_b64 v[45:46], v42
	v_add_nc_u32_e32 v41, 1, v41
	v_add_nc_u32_e32 v42, 8, v42
	;; [unrolled: 1-line block ×3, first 2 shown]
	v_cmp_lt_u32_e32 vcc_lo, 12, v41
	s_or_b32 s5, vcc_lo, s5
	s_waitcnt vmcnt(1) lgkmcnt(0)
	v_mul_f32_e32 v49, v46, v47
	v_mul_f32_e32 v47, v45, v47
	s_waitcnt vmcnt(0)
	v_fma_f32 v45, v45, v48, -v49
	v_fmac_f32_e32 v47, v46, v48
	v_add_f32_e32 v44, v44, v45
	v_add_f32_e32 v38, v38, v47
	s_andn2_b32 exec_lo, exec_lo, s5
	s_cbranch_execnz .LBB17_69
; %bb.70:
	s_or_b32 exec_lo, exec_lo, s5
	v_mov_b32_e32 v41, 0
	ds_read_b64 v[41:42], v41 offset:112
	s_waitcnt lgkmcnt(0)
	v_mul_f32_e32 v43, v38, v42
	v_mul_f32_e32 v42, v44, v42
	v_fma_f32 v43, v44, v41, -v43
	v_fmac_f32_e32 v42, v38, v41
	buffer_store_dword v43, off, s[0:3], 0 offset:112
	buffer_store_dword v42, off, s[0:3], 0 offset:116
.LBB17_71:
	s_or_b32 exec_lo, exec_lo, s4
	s_waitcnt_vscnt null, 0x0
	s_barrier
	buffer_gl0_inv
	s_clause 0x1
	buffer_load_dword v41, off, s[0:3], 0 offset:120
	buffer_load_dword v42, off, s[0:3], 0 offset:124
	s_mov_b32 s4, exec_lo
	s_waitcnt vmcnt(0)
	ds_write_b64 v40, v[41:42]
	s_waitcnt lgkmcnt(0)
	s_barrier
	buffer_gl0_inv
	v_cmpx_gt_u32_e32 15, v0
	s_cbranch_execz .LBB17_75
; %bb.72:
	v_add_nc_u32_e32 v41, -1, v0
	v_add_nc_u32_e32 v42, 0x90, v39
	v_mov_b32_e32 v43, v39
	v_mov_b32_e32 v38, 0
	;; [unrolled: 1-line block ×3, first 2 shown]
	s_mov_b32 s5, 0
	.p2align	6
.LBB17_73:                              ; =>This Inner Loop Header: Depth=1
	s_clause 0x1
	buffer_load_dword v47, v43, s[0:3], 0 offen offset:4
	buffer_load_dword v48, v43, s[0:3], 0 offen
	ds_read_b64 v[45:46], v42
	v_add_nc_u32_e32 v41, 1, v41
	v_add_nc_u32_e32 v42, 8, v42
	;; [unrolled: 1-line block ×3, first 2 shown]
	v_cmp_lt_u32_e32 vcc_lo, 13, v41
	s_or_b32 s5, vcc_lo, s5
	s_waitcnt vmcnt(1) lgkmcnt(0)
	v_mul_f32_e32 v49, v46, v47
	v_mul_f32_e32 v47, v45, v47
	s_waitcnt vmcnt(0)
	v_fma_f32 v45, v45, v48, -v49
	v_fmac_f32_e32 v47, v46, v48
	v_add_f32_e32 v44, v44, v45
	v_add_f32_e32 v38, v38, v47
	s_andn2_b32 exec_lo, exec_lo, s5
	s_cbranch_execnz .LBB17_73
; %bb.74:
	s_or_b32 exec_lo, exec_lo, s5
	v_mov_b32_e32 v41, 0
	ds_read_b64 v[41:42], v41 offset:120
	s_waitcnt lgkmcnt(0)
	v_mul_f32_e32 v43, v38, v42
	v_mul_f32_e32 v42, v44, v42
	v_fma_f32 v43, v44, v41, -v43
	v_fmac_f32_e32 v42, v38, v41
	buffer_store_dword v43, off, s[0:3], 0 offset:120
	buffer_store_dword v42, off, s[0:3], 0 offset:124
.LBB17_75:
	s_or_b32 exec_lo, exec_lo, s4
	s_waitcnt_vscnt null, 0x0
	s_barrier
	buffer_gl0_inv
	s_clause 0x1
	buffer_load_dword v41, off, s[0:3], 0 offset:128
	buffer_load_dword v42, off, s[0:3], 0 offset:132
	s_mov_b32 s4, exec_lo
	s_waitcnt vmcnt(0)
	ds_write_b64 v40, v[41:42]
	s_waitcnt lgkmcnt(0)
	s_barrier
	buffer_gl0_inv
	v_cmpx_gt_u32_e32 16, v0
	s_cbranch_execz .LBB17_79
; %bb.76:
	v_add_nc_u32_e32 v41, -1, v0
	v_add_nc_u32_e32 v42, 0x90, v39
	v_mov_b32_e32 v43, v39
	v_mov_b32_e32 v38, 0
	;; [unrolled: 1-line block ×3, first 2 shown]
	s_mov_b32 s5, 0
	.p2align	6
.LBB17_77:                              ; =>This Inner Loop Header: Depth=1
	s_clause 0x1
	buffer_load_dword v47, v43, s[0:3], 0 offen offset:4
	buffer_load_dword v48, v43, s[0:3], 0 offen
	ds_read_b64 v[45:46], v42
	v_add_nc_u32_e32 v41, 1, v41
	v_add_nc_u32_e32 v42, 8, v42
	;; [unrolled: 1-line block ×3, first 2 shown]
	v_cmp_lt_u32_e32 vcc_lo, 14, v41
	s_or_b32 s5, vcc_lo, s5
	s_waitcnt vmcnt(1) lgkmcnt(0)
	v_mul_f32_e32 v49, v46, v47
	v_mul_f32_e32 v47, v45, v47
	s_waitcnt vmcnt(0)
	v_fma_f32 v45, v45, v48, -v49
	v_fmac_f32_e32 v47, v46, v48
	v_add_f32_e32 v44, v44, v45
	v_add_f32_e32 v38, v38, v47
	s_andn2_b32 exec_lo, exec_lo, s5
	s_cbranch_execnz .LBB17_77
; %bb.78:
	s_or_b32 exec_lo, exec_lo, s5
	v_mov_b32_e32 v41, 0
	ds_read_b64 v[41:42], v41 offset:128
	s_waitcnt lgkmcnt(0)
	v_mul_f32_e32 v43, v38, v42
	v_mul_f32_e32 v42, v44, v42
	v_fma_f32 v43, v44, v41, -v43
	v_fmac_f32_e32 v42, v38, v41
	buffer_store_dword v43, off, s[0:3], 0 offset:128
	buffer_store_dword v42, off, s[0:3], 0 offset:132
.LBB17_79:
	s_or_b32 exec_lo, exec_lo, s4
	s_waitcnt_vscnt null, 0x0
	s_barrier
	buffer_gl0_inv
	s_clause 0x1
	buffer_load_dword v41, off, s[0:3], 0 offset:136
	buffer_load_dword v42, off, s[0:3], 0 offset:140
	s_mov_b32 s4, exec_lo
	s_waitcnt vmcnt(0)
	ds_write_b64 v40, v[41:42]
	s_waitcnt lgkmcnt(0)
	s_barrier
	buffer_gl0_inv
	v_cmpx_ne_u32_e32 17, v0
	s_cbranch_execz .LBB17_83
; %bb.80:
	v_mov_b32_e32 v38, 0
	v_mov_b32_e32 v41, 0
	s_mov_b32 s5, 0
	.p2align	6
.LBB17_81:                              ; =>This Inner Loop Header: Depth=1
	s_clause 0x1
	buffer_load_dword v44, v39, s[0:3], 0 offen offset:4
	buffer_load_dword v45, v39, s[0:3], 0 offen
	ds_read_b64 v[42:43], v40
	v_add_nc_u32_e32 v37, 1, v37
	v_add_nc_u32_e32 v40, 8, v40
	;; [unrolled: 1-line block ×3, first 2 shown]
	v_cmp_lt_u32_e32 vcc_lo, 15, v37
	s_or_b32 s5, vcc_lo, s5
	s_waitcnt vmcnt(1) lgkmcnt(0)
	v_mul_f32_e32 v46, v43, v44
	v_mul_f32_e32 v44, v42, v44
	s_waitcnt vmcnt(0)
	v_fma_f32 v42, v42, v45, -v46
	v_fmac_f32_e32 v44, v43, v45
	v_add_f32_e32 v41, v41, v42
	v_add_f32_e32 v38, v38, v44
	s_andn2_b32 exec_lo, exec_lo, s5
	s_cbranch_execnz .LBB17_81
; %bb.82:
	s_or_b32 exec_lo, exec_lo, s5
	v_mov_b32_e32 v37, 0
	ds_read_b64 v[39:40], v37 offset:136
	s_waitcnt lgkmcnt(0)
	v_mul_f32_e32 v37, v38, v40
	v_mul_f32_e32 v40, v41, v40
	v_fma_f32 v37, v41, v39, -v37
	v_fmac_f32_e32 v40, v38, v39
	buffer_store_dword v37, off, s[0:3], 0 offset:136
	buffer_store_dword v40, off, s[0:3], 0 offset:140
.LBB17_83:
	s_or_b32 exec_lo, exec_lo, s4
	s_mov_b32 s5, -1
	s_waitcnt_vscnt null, 0x0
	s_barrier
	buffer_gl0_inv
.LBB17_84:
	s_and_b32 vcc_lo, exec_lo, s5
	s_cbranch_vccz .LBB17_86
; %bb.85:
	s_lshl_b64 s[4:5], s[6:7], 2
	v_mov_b32_e32 v37, 0
	s_add_u32 s4, s10, s4
	s_addc_u32 s5, s11, s5
	global_load_dword v37, v37, s[4:5]
	s_waitcnt vmcnt(0)
	v_cmp_ne_u32_e32 vcc_lo, 0, v37
	s_cbranch_vccz .LBB17_87
.LBB17_86:
	s_endpgm
.LBB17_87:
	v_lshl_add_u32 v37, v0, 3, 0x90
	s_mov_b32 s4, exec_lo
	v_cmpx_eq_u32_e32 17, v0
	s_cbranch_execz .LBB17_89
; %bb.88:
	s_clause 0x1
	buffer_load_dword v38, off, s[0:3], 0 offset:128
	buffer_load_dword v39, off, s[0:3], 0 offset:132
	v_mov_b32_e32 v40, 0
	buffer_store_dword v40, off, s[0:3], 0 offset:128
	buffer_store_dword v40, off, s[0:3], 0 offset:132
	s_waitcnt vmcnt(0)
	ds_write_b64 v37, v[38:39]
.LBB17_89:
	s_or_b32 exec_lo, exec_lo, s4
	s_waitcnt lgkmcnt(0)
	s_waitcnt_vscnt null, 0x0
	s_barrier
	buffer_gl0_inv
	s_clause 0x3
	buffer_load_dword v41, off, s[0:3], 0 offset:140
	buffer_load_dword v42, off, s[0:3], 0 offset:136
	;; [unrolled: 1-line block ×4, first 2 shown]
	v_mov_b32_e32 v38, 0
	s_mov_b32 s4, exec_lo
	ds_read_b64 v[39:40], v38 offset:280
	s_waitcnt vmcnt(3) lgkmcnt(0)
	v_mul_f32_e32 v45, v40, v41
	v_mul_f32_e32 v41, v39, v41
	s_waitcnt vmcnt(2)
	v_fma_f32 v39, v39, v42, -v45
	v_fmac_f32_e32 v41, v40, v42
	v_add_f32_e32 v39, 0, v39
	v_add_f32_e32 v40, 0, v41
	s_waitcnt vmcnt(1)
	v_sub_f32_e32 v39, v43, v39
	s_waitcnt vmcnt(0)
	v_sub_f32_e32 v40, v44, v40
	buffer_store_dword v39, off, s[0:3], 0 offset:128
	buffer_store_dword v40, off, s[0:3], 0 offset:132
	v_cmpx_lt_u32_e32 15, v0
	s_cbranch_execz .LBB17_91
; %bb.90:
	s_clause 0x1
	buffer_load_dword v39, off, s[0:3], 0 offset:120
	buffer_load_dword v40, off, s[0:3], 0 offset:124
	buffer_store_dword v38, off, s[0:3], 0 offset:120
	buffer_store_dword v38, off, s[0:3], 0 offset:124
	s_waitcnt vmcnt(0)
	ds_write_b64 v37, v[39:40]
.LBB17_91:
	s_or_b32 exec_lo, exec_lo, s4
	s_waitcnt lgkmcnt(0)
	s_waitcnt_vscnt null, 0x0
	s_barrier
	buffer_gl0_inv
	s_clause 0x5
	buffer_load_dword v42, off, s[0:3], 0 offset:132
	buffer_load_dword v43, off, s[0:3], 0 offset:140
	;; [unrolled: 1-line block ×6, first 2 shown]
	ds_read_b128 v[38:41], v38 offset:272
	s_mov_b32 s4, exec_lo
	s_waitcnt vmcnt(5) lgkmcnt(0)
	v_mul_f32_e32 v48, v39, v42
	v_mul_f32_e32 v42, v38, v42
	s_waitcnt vmcnt(4)
	v_mul_f32_e32 v49, v40, v43
	v_mul_f32_e32 v43, v41, v43
	s_waitcnt vmcnt(3)
	v_fma_f32 v38, v38, v44, -v48
	v_fmac_f32_e32 v42, v39, v44
	s_waitcnt vmcnt(2)
	v_fmac_f32_e32 v49, v41, v45
	v_fma_f32 v39, v40, v45, -v43
	v_add_f32_e32 v38, 0, v38
	v_add_f32_e32 v40, 0, v42
	;; [unrolled: 1-line block ×4, first 2 shown]
	s_waitcnt vmcnt(1)
	v_sub_f32_e32 v38, v46, v38
	s_waitcnt vmcnt(0)
	v_sub_f32_e32 v39, v47, v39
	buffer_store_dword v38, off, s[0:3], 0 offset:120
	buffer_store_dword v39, off, s[0:3], 0 offset:124
	v_cmpx_lt_u32_e32 14, v0
	s_cbranch_execz .LBB17_93
; %bb.92:
	s_clause 0x1
	buffer_load_dword v38, off, s[0:3], 0 offset:112
	buffer_load_dword v39, off, s[0:3], 0 offset:116
	v_mov_b32_e32 v40, 0
	buffer_store_dword v40, off, s[0:3], 0 offset:112
	buffer_store_dword v40, off, s[0:3], 0 offset:116
	s_waitcnt vmcnt(0)
	ds_write_b64 v37, v[38:39]
.LBB17_93:
	s_or_b32 exec_lo, exec_lo, s4
	s_waitcnt lgkmcnt(0)
	s_waitcnt_vscnt null, 0x0
	s_barrier
	buffer_gl0_inv
	s_clause 0x7
	buffer_load_dword v45, off, s[0:3], 0 offset:124
	buffer_load_dword v46, off, s[0:3], 0 offset:132
	;; [unrolled: 1-line block ×8, first 2 shown]
	v_mov_b32_e32 v38, 0
	ds_read2_b64 v[39:42], v38 offset0:33 offset1:34
	ds_read_b64 v[43:44], v38 offset:280
	s_mov_b32 s4, exec_lo
	s_waitcnt vmcnt(7) lgkmcnt(1)
	v_mul_f32_e32 v53, v40, v45
	v_mul_f32_e32 v45, v39, v45
	s_waitcnt vmcnt(6)
	v_mul_f32_e32 v54, v41, v46
	v_mul_f32_e32 v46, v42, v46
	s_waitcnt vmcnt(5) lgkmcnt(0)
	v_mul_f32_e32 v55, v43, v47
	s_waitcnt vmcnt(4)
	v_fma_f32 v39, v39, v48, -v53
	v_fmac_f32_e32 v45, v40, v48
	v_mul_f32_e32 v40, v44, v47
	s_waitcnt vmcnt(3)
	v_fma_f32 v41, v41, v49, -v46
	v_fmac_f32_e32 v54, v42, v49
	v_add_f32_e32 v39, 0, v39
	v_add_f32_e32 v42, 0, v45
	s_waitcnt vmcnt(2)
	v_fma_f32 v40, v43, v50, -v40
	v_fmac_f32_e32 v55, v44, v50
	v_add_f32_e32 v39, v39, v41
	v_add_f32_e32 v41, v42, v54
	;; [unrolled: 1-line block ×4, first 2 shown]
	s_waitcnt vmcnt(1)
	v_sub_f32_e32 v39, v51, v39
	s_waitcnt vmcnt(0)
	v_sub_f32_e32 v40, v52, v40
	buffer_store_dword v39, off, s[0:3], 0 offset:112
	buffer_store_dword v40, off, s[0:3], 0 offset:116
	v_cmpx_lt_u32_e32 13, v0
	s_cbranch_execz .LBB17_95
; %bb.94:
	s_clause 0x1
	buffer_load_dword v39, off, s[0:3], 0 offset:104
	buffer_load_dword v40, off, s[0:3], 0 offset:108
	buffer_store_dword v38, off, s[0:3], 0 offset:104
	buffer_store_dword v38, off, s[0:3], 0 offset:108
	s_waitcnt vmcnt(0)
	ds_write_b64 v37, v[39:40]
.LBB17_95:
	s_or_b32 exec_lo, exec_lo, s4
	s_waitcnt lgkmcnt(0)
	s_waitcnt_vscnt null, 0x0
	s_barrier
	buffer_gl0_inv
	s_clause 0x9
	buffer_load_dword v47, off, s[0:3], 0 offset:116
	buffer_load_dword v48, off, s[0:3], 0 offset:124
	buffer_load_dword v49, off, s[0:3], 0 offset:132
	buffer_load_dword v50, off, s[0:3], 0 offset:140
	buffer_load_dword v51, off, s[0:3], 0 offset:112
	buffer_load_dword v52, off, s[0:3], 0 offset:120
	buffer_load_dword v53, off, s[0:3], 0 offset:128
	buffer_load_dword v54, off, s[0:3], 0 offset:136
	buffer_load_dword v55, off, s[0:3], 0 offset:104
	buffer_load_dword v56, off, s[0:3], 0 offset:108
	ds_read_b128 v[39:42], v38 offset:256
	ds_read_b128 v[43:46], v38 offset:272
	s_mov_b32 s4, exec_lo
	s_waitcnt vmcnt(9) lgkmcnt(1)
	v_mul_f32_e32 v38, v39, v47
	v_mul_f32_e32 v47, v40, v47
	s_waitcnt vmcnt(8)
	v_mul_f32_e32 v57, v41, v48
	v_mul_f32_e32 v48, v42, v48
	s_waitcnt vmcnt(7) lgkmcnt(0)
	v_mul_f32_e32 v58, v43, v49
	s_waitcnt vmcnt(5)
	v_fmac_f32_e32 v38, v40, v51
	v_fma_f32 v39, v39, v51, -v47
	v_mul_f32_e32 v40, v44, v49
	s_waitcnt vmcnt(4)
	v_fma_f32 v41, v41, v52, -v48
	v_fmac_f32_e32 v57, v42, v52
	v_add_f32_e32 v38, 0, v38
	v_add_f32_e32 v39, 0, v39
	v_mul_f32_e32 v42, v46, v50
	s_waitcnt vmcnt(3)
	v_fma_f32 v40, v43, v53, -v40
	v_mul_f32_e32 v59, v45, v50
	v_fmac_f32_e32 v58, v44, v53
	v_add_f32_e32 v39, v39, v41
	v_add_f32_e32 v38, v38, v57
	s_waitcnt vmcnt(2)
	v_fma_f32 v41, v45, v54, -v42
	v_fmac_f32_e32 v59, v46, v54
	v_add_f32_e32 v39, v39, v40
	v_add_f32_e32 v38, v38, v58
	v_add_f32_e32 v39, v39, v41
	v_add_f32_e32 v38, v38, v59
	s_waitcnt vmcnt(1)
	v_sub_f32_e32 v39, v55, v39
	s_waitcnt vmcnt(0)
	v_sub_f32_e32 v38, v56, v38
	buffer_store_dword v39, off, s[0:3], 0 offset:104
	buffer_store_dword v38, off, s[0:3], 0 offset:108
	v_cmpx_lt_u32_e32 12, v0
	s_cbranch_execz .LBB17_97
; %bb.96:
	s_clause 0x1
	buffer_load_dword v38, off, s[0:3], 0 offset:96
	buffer_load_dword v39, off, s[0:3], 0 offset:100
	v_mov_b32_e32 v40, 0
	buffer_store_dword v40, off, s[0:3], 0 offset:96
	buffer_store_dword v40, off, s[0:3], 0 offset:100
	s_waitcnt vmcnt(0)
	ds_write_b64 v37, v[38:39]
.LBB17_97:
	s_or_b32 exec_lo, exec_lo, s4
	s_waitcnt lgkmcnt(0)
	s_waitcnt_vscnt null, 0x0
	s_barrier
	buffer_gl0_inv
	s_clause 0xb
	buffer_load_dword v49, off, s[0:3], 0 offset:108
	buffer_load_dword v50, off, s[0:3], 0 offset:116
	;; [unrolled: 1-line block ×12, first 2 shown]
	v_mov_b32_e32 v38, 0
	ds_read2_b64 v[39:42], v38 offset0:31 offset1:32
	ds_read2_b64 v[43:46], v38 offset0:33 offset1:34
	ds_read_b64 v[47:48], v38 offset:280
	s_mov_b32 s4, exec_lo
	s_waitcnt vmcnt(11) lgkmcnt(2)
	v_mul_f32_e32 v61, v39, v49
	v_mul_f32_e32 v49, v40, v49
	s_waitcnt vmcnt(10)
	v_mul_f32_e32 v62, v41, v50
	v_mul_f32_e32 v50, v42, v50
	s_waitcnt vmcnt(9) lgkmcnt(1)
	v_mul_f32_e32 v63, v43, v51
	s_waitcnt vmcnt(6)
	v_fmac_f32_e32 v61, v40, v54
	v_fma_f32 v39, v39, v54, -v49
	v_mul_f32_e32 v40, v44, v51
	s_waitcnt vmcnt(5)
	v_fma_f32 v41, v41, v55, -v50
	v_fmac_f32_e32 v62, v42, v55
	v_add_f32_e32 v42, 0, v61
	v_add_f32_e32 v39, 0, v39
	v_mul_f32_e32 v49, v46, v52
	s_waitcnt vmcnt(4)
	v_fma_f32 v40, v43, v56, -v40
	v_mul_f32_e32 v64, v45, v52
	v_fmac_f32_e32 v63, v44, v56
	v_add_f32_e32 v39, v39, v41
	v_add_f32_e32 v41, v42, v62
	s_waitcnt lgkmcnt(0)
	v_mul_f32_e32 v42, v48, v53
	s_waitcnt vmcnt(3)
	v_fma_f32 v43, v45, v57, -v49
	v_mul_f32_e32 v65, v47, v53
	v_add_f32_e32 v39, v39, v40
	v_fmac_f32_e32 v64, v46, v57
	v_add_f32_e32 v40, v41, v63
	s_waitcnt vmcnt(2)
	v_fma_f32 v41, v47, v58, -v42
	v_fmac_f32_e32 v65, v48, v58
	v_add_f32_e32 v39, v39, v43
	v_add_f32_e32 v40, v40, v64
	;; [unrolled: 1-line block ×4, first 2 shown]
	s_waitcnt vmcnt(1)
	v_sub_f32_e32 v39, v59, v39
	s_waitcnt vmcnt(0)
	v_sub_f32_e32 v40, v60, v40
	buffer_store_dword v39, off, s[0:3], 0 offset:96
	buffer_store_dword v40, off, s[0:3], 0 offset:100
	v_cmpx_lt_u32_e32 11, v0
	s_cbranch_execz .LBB17_99
; %bb.98:
	s_clause 0x1
	buffer_load_dword v39, off, s[0:3], 0 offset:88
	buffer_load_dword v40, off, s[0:3], 0 offset:92
	buffer_store_dword v38, off, s[0:3], 0 offset:88
	buffer_store_dword v38, off, s[0:3], 0 offset:92
	s_waitcnt vmcnt(0)
	ds_write_b64 v37, v[39:40]
.LBB17_99:
	s_or_b32 exec_lo, exec_lo, s4
	s_waitcnt lgkmcnt(0)
	s_waitcnt_vscnt null, 0x0
	s_barrier
	buffer_gl0_inv
	s_clause 0xd
	buffer_load_dword v51, off, s[0:3], 0 offset:100
	buffer_load_dword v52, off, s[0:3], 0 offset:108
	;; [unrolled: 1-line block ×14, first 2 shown]
	ds_read_b128 v[39:42], v38 offset:240
	ds_read_b128 v[43:46], v38 offset:256
	;; [unrolled: 1-line block ×3, first 2 shown]
	s_mov_b32 s4, exec_lo
	s_waitcnt vmcnt(13) lgkmcnt(2)
	v_mul_f32_e32 v38, v39, v51
	v_mul_f32_e32 v51, v40, v51
	s_waitcnt vmcnt(12)
	v_mul_f32_e32 v65, v41, v52
	v_mul_f32_e32 v52, v42, v52
	s_waitcnt vmcnt(11) lgkmcnt(1)
	v_mul_f32_e32 v66, v43, v53
	s_waitcnt vmcnt(10)
	v_mul_f32_e32 v67, v45, v54
	s_waitcnt vmcnt(7)
	v_fma_f32 v39, v39, v57, -v51
	v_fmac_f32_e32 v38, v40, v57
	v_mul_f32_e32 v40, v44, v53
	s_waitcnt vmcnt(6)
	v_fma_f32 v41, v41, v58, -v52
	v_fmac_f32_e32 v65, v42, v58
	v_add_f32_e32 v39, 0, v39
	v_add_f32_e32 v38, 0, v38
	v_mul_f32_e32 v42, v46, v54
	s_waitcnt vmcnt(5)
	v_fma_f32 v40, v43, v59, -v40
	v_fmac_f32_e32 v66, v44, v59
	v_add_f32_e32 v39, v39, v41
	v_add_f32_e32 v38, v38, v65
	s_waitcnt lgkmcnt(0)
	v_mul_f32_e32 v41, v48, v55
	s_waitcnt vmcnt(4)
	v_fma_f32 v42, v45, v60, -v42
	v_mul_f32_e32 v68, v47, v55
	v_add_f32_e32 v39, v39, v40
	v_fmac_f32_e32 v67, v46, v60
	v_add_f32_e32 v38, v38, v66
	v_mul_f32_e32 v40, v50, v56
	s_waitcnt vmcnt(3)
	v_fma_f32 v41, v47, v61, -v41
	v_add_f32_e32 v39, v39, v42
	v_mul_f32_e32 v69, v49, v56
	v_fmac_f32_e32 v68, v48, v61
	v_add_f32_e32 v38, v38, v67
	s_waitcnt vmcnt(2)
	v_fma_f32 v40, v49, v62, -v40
	v_add_f32_e32 v39, v39, v41
	v_fmac_f32_e32 v69, v50, v62
	v_add_f32_e32 v38, v38, v68
	v_add_f32_e32 v39, v39, v40
	;; [unrolled: 1-line block ×3, first 2 shown]
	s_waitcnt vmcnt(1)
	v_sub_f32_e32 v39, v63, v39
	s_waitcnt vmcnt(0)
	v_sub_f32_e32 v38, v64, v38
	buffer_store_dword v39, off, s[0:3], 0 offset:88
	buffer_store_dword v38, off, s[0:3], 0 offset:92
	v_cmpx_lt_u32_e32 10, v0
	s_cbranch_execz .LBB17_101
; %bb.100:
	s_clause 0x1
	buffer_load_dword v38, off, s[0:3], 0 offset:80
	buffer_load_dword v39, off, s[0:3], 0 offset:84
	v_mov_b32_e32 v40, 0
	buffer_store_dword v40, off, s[0:3], 0 offset:80
	buffer_store_dword v40, off, s[0:3], 0 offset:84
	s_waitcnt vmcnt(0)
	ds_write_b64 v37, v[38:39]
.LBB17_101:
	s_or_b32 exec_lo, exec_lo, s4
	s_waitcnt lgkmcnt(0)
	s_waitcnt_vscnt null, 0x0
	s_barrier
	buffer_gl0_inv
	s_clause 0xf
	buffer_load_dword v53, off, s[0:3], 0 offset:92
	buffer_load_dword v54, off, s[0:3], 0 offset:100
	;; [unrolled: 1-line block ×16, first 2 shown]
	v_mov_b32_e32 v38, 0
	ds_read2_b64 v[39:42], v38 offset0:29 offset1:30
	ds_read2_b64 v[43:46], v38 offset0:31 offset1:32
	;; [unrolled: 1-line block ×3, first 2 shown]
	ds_read_b64 v[51:52], v38 offset:280
	s_mov_b32 s4, exec_lo
	s_waitcnt vmcnt(15) lgkmcnt(3)
	v_mul_f32_e32 v69, v39, v53
	v_mul_f32_e32 v53, v40, v53
	s_waitcnt vmcnt(14)
	v_mul_f32_e32 v70, v41, v54
	v_mul_f32_e32 v54, v42, v54
	s_waitcnt vmcnt(13) lgkmcnt(2)
	v_mul_f32_e32 v71, v43, v55
	s_waitcnt vmcnt(12)
	v_mul_f32_e32 v72, v45, v56
	s_waitcnt vmcnt(11) lgkmcnt(1)
	v_mul_f32_e32 v73, v47, v57
	s_waitcnt vmcnt(8)
	v_fma_f32 v39, v39, v60, -v53
	v_fmac_f32_e32 v69, v40, v60
	v_mul_f32_e32 v40, v44, v55
	s_waitcnt vmcnt(7)
	v_fma_f32 v41, v41, v61, -v54
	v_fmac_f32_e32 v70, v42, v61
	v_add_f32_e32 v39, 0, v39
	v_add_f32_e32 v42, 0, v69
	v_mul_f32_e32 v53, v46, v56
	s_waitcnt vmcnt(6)
	v_fma_f32 v40, v43, v62, -v40
	v_fmac_f32_e32 v71, v44, v62
	v_add_f32_e32 v39, v39, v41
	v_add_f32_e32 v41, v42, v70
	;; [unrolled: 6-line block ×3, first 2 shown]
	v_mul_f32_e32 v41, v50, v58
	s_waitcnt vmcnt(4)
	v_fma_f32 v42, v47, v64, -v42
	v_mul_f32_e32 v74, v49, v58
	v_add_f32_e32 v39, v39, v43
	v_fmac_f32_e32 v73, v48, v64
	v_add_f32_e32 v40, v40, v72
	s_waitcnt lgkmcnt(0)
	v_mul_f32_e32 v43, v52, v59
	s_waitcnt vmcnt(3)
	v_fma_f32 v41, v49, v65, -v41
	v_add_f32_e32 v39, v39, v42
	v_mul_f32_e32 v75, v51, v59
	v_fmac_f32_e32 v74, v50, v65
	v_add_f32_e32 v40, v40, v73
	s_waitcnt vmcnt(2)
	v_fma_f32 v42, v51, v66, -v43
	v_add_f32_e32 v39, v39, v41
	v_fmac_f32_e32 v75, v52, v66
	v_add_f32_e32 v40, v40, v74
	v_add_f32_e32 v39, v39, v42
	;; [unrolled: 1-line block ×3, first 2 shown]
	s_waitcnt vmcnt(1)
	v_sub_f32_e32 v39, v67, v39
	s_waitcnt vmcnt(0)
	v_sub_f32_e32 v40, v68, v40
	buffer_store_dword v39, off, s[0:3], 0 offset:80
	buffer_store_dword v40, off, s[0:3], 0 offset:84
	v_cmpx_lt_u32_e32 9, v0
	s_cbranch_execz .LBB17_103
; %bb.102:
	s_clause 0x1
	buffer_load_dword v39, off, s[0:3], 0 offset:72
	buffer_load_dword v40, off, s[0:3], 0 offset:76
	buffer_store_dword v38, off, s[0:3], 0 offset:72
	buffer_store_dword v38, off, s[0:3], 0 offset:76
	s_waitcnt vmcnt(0)
	ds_write_b64 v37, v[39:40]
.LBB17_103:
	s_or_b32 exec_lo, exec_lo, s4
	s_waitcnt lgkmcnt(0)
	s_waitcnt_vscnt null, 0x0
	s_barrier
	buffer_gl0_inv
	s_clause 0x11
	buffer_load_dword v55, off, s[0:3], 0 offset:84
	buffer_load_dword v56, off, s[0:3], 0 offset:92
	;; [unrolled: 1-line block ×18, first 2 shown]
	ds_read_b128 v[39:42], v38 offset:224
	ds_read_b128 v[43:46], v38 offset:240
	;; [unrolled: 1-line block ×4, first 2 shown]
	s_mov_b32 s4, exec_lo
	s_waitcnt vmcnt(17) lgkmcnt(3)
	v_mul_f32_e32 v38, v39, v55
	v_mul_f32_e32 v55, v40, v55
	s_waitcnt vmcnt(16)
	v_mul_f32_e32 v73, v41, v56
	v_mul_f32_e32 v56, v42, v56
	s_waitcnt vmcnt(15) lgkmcnt(2)
	v_mul_f32_e32 v74, v43, v57
	s_waitcnt vmcnt(14)
	v_mul_f32_e32 v75, v45, v58
	s_waitcnt vmcnt(13) lgkmcnt(1)
	v_mul_f32_e32 v76, v47, v59
	s_waitcnt vmcnt(12)
	v_mul_f32_e32 v77, v49, v60
	s_waitcnt vmcnt(9)
	v_fma_f32 v39, v39, v63, -v55
	v_fmac_f32_e32 v38, v40, v63
	v_mul_f32_e32 v40, v44, v57
	s_waitcnt vmcnt(8)
	v_fma_f32 v41, v41, v64, -v56
	v_fmac_f32_e32 v73, v42, v64
	v_add_f32_e32 v39, 0, v39
	v_add_f32_e32 v38, 0, v38
	v_mul_f32_e32 v42, v46, v58
	s_waitcnt vmcnt(7)
	v_fma_f32 v40, v43, v65, -v40
	v_fmac_f32_e32 v74, v44, v65
	v_add_f32_e32 v39, v39, v41
	v_add_f32_e32 v38, v38, v73
	;; [unrolled: 6-line block ×4, first 2 shown]
	s_waitcnt lgkmcnt(0)
	v_mul_f32_e32 v42, v52, v61
	s_waitcnt vmcnt(4)
	v_fma_f32 v40, v49, v68, -v40
	v_mul_f32_e32 v78, v51, v61
	v_add_f32_e32 v39, v39, v41
	v_fmac_f32_e32 v77, v50, v68
	v_add_f32_e32 v38, v38, v76
	v_mul_f32_e32 v41, v54, v62
	s_waitcnt vmcnt(3)
	v_fma_f32 v42, v51, v69, -v42
	v_add_f32_e32 v39, v39, v40
	v_mul_f32_e32 v79, v53, v62
	v_fmac_f32_e32 v78, v52, v69
	v_add_f32_e32 v38, v38, v77
	s_waitcnt vmcnt(2)
	v_fma_f32 v40, v53, v70, -v41
	v_add_f32_e32 v39, v39, v42
	v_fmac_f32_e32 v79, v54, v70
	v_add_f32_e32 v38, v38, v78
	v_add_f32_e32 v39, v39, v40
	v_add_f32_e32 v38, v38, v79
	s_waitcnt vmcnt(1)
	v_sub_f32_e32 v39, v71, v39
	s_waitcnt vmcnt(0)
	v_sub_f32_e32 v38, v72, v38
	buffer_store_dword v39, off, s[0:3], 0 offset:72
	buffer_store_dword v38, off, s[0:3], 0 offset:76
	v_cmpx_lt_u32_e32 8, v0
	s_cbranch_execz .LBB17_105
; %bb.104:
	s_clause 0x1
	buffer_load_dword v38, off, s[0:3], 0 offset:64
	buffer_load_dword v39, off, s[0:3], 0 offset:68
	v_mov_b32_e32 v40, 0
	buffer_store_dword v40, off, s[0:3], 0 offset:64
	buffer_store_dword v40, off, s[0:3], 0 offset:68
	s_waitcnt vmcnt(0)
	ds_write_b64 v37, v[38:39]
.LBB17_105:
	s_or_b32 exec_lo, exec_lo, s4
	s_waitcnt lgkmcnt(0)
	s_waitcnt_vscnt null, 0x0
	s_barrier
	buffer_gl0_inv
	s_clause 0x13
	buffer_load_dword v57, off, s[0:3], 0 offset:76
	buffer_load_dword v58, off, s[0:3], 0 offset:84
	;; [unrolled: 1-line block ×20, first 2 shown]
	v_mov_b32_e32 v38, 0
	ds_read2_b64 v[39:42], v38 offset0:27 offset1:28
	ds_read2_b64 v[43:46], v38 offset0:29 offset1:30
	;; [unrolled: 1-line block ×4, first 2 shown]
	ds_read_b64 v[55:56], v38 offset:280
	s_mov_b32 s4, exec_lo
	s_waitcnt vmcnt(19) lgkmcnt(4)
	v_mul_f32_e32 v77, v39, v57
	v_mul_f32_e32 v57, v40, v57
	s_waitcnt vmcnt(18)
	v_mul_f32_e32 v78, v41, v58
	v_mul_f32_e32 v58, v42, v58
	s_waitcnt vmcnt(17) lgkmcnt(3)
	v_mul_f32_e32 v79, v43, v59
	s_waitcnt vmcnt(16)
	v_mul_f32_e32 v80, v45, v60
	s_waitcnt vmcnt(15) lgkmcnt(2)
	v_mul_f32_e32 v81, v47, v61
	s_waitcnt vmcnt(14)
	;; [unrolled: 4-line block ×3, first 2 shown]
	v_fma_f32 v39, v39, v66, -v57
	v_fmac_f32_e32 v77, v40, v66
	v_mul_f32_e32 v40, v44, v59
	s_waitcnt vmcnt(9)
	v_fma_f32 v41, v41, v67, -v58
	v_fmac_f32_e32 v78, v42, v67
	v_add_f32_e32 v39, 0, v39
	v_add_f32_e32 v42, 0, v77
	v_mul_f32_e32 v57, v46, v60
	s_waitcnt vmcnt(8)
	v_fma_f32 v40, v43, v68, -v40
	v_fmac_f32_e32 v79, v44, v68
	v_add_f32_e32 v39, v39, v41
	v_add_f32_e32 v41, v42, v78
	;; [unrolled: 6-line block ×5, first 2 shown]
	v_mul_f32_e32 v42, v54, v64
	s_waitcnt vmcnt(4)
	v_fma_f32 v43, v51, v72, -v43
	v_mul_f32_e32 v84, v53, v64
	v_add_f32_e32 v39, v39, v41
	v_fmac_f32_e32 v83, v52, v72
	v_add_f32_e32 v40, v40, v82
	s_waitcnt lgkmcnt(0)
	v_mul_f32_e32 v41, v56, v65
	s_waitcnt vmcnt(3)
	v_fma_f32 v42, v53, v73, -v42
	v_add_f32_e32 v39, v39, v43
	v_mul_f32_e32 v85, v55, v65
	v_fmac_f32_e32 v84, v54, v73
	v_add_f32_e32 v40, v40, v83
	s_waitcnt vmcnt(2)
	v_fma_f32 v41, v55, v74, -v41
	v_add_f32_e32 v39, v39, v42
	v_fmac_f32_e32 v85, v56, v74
	v_add_f32_e32 v40, v40, v84
	v_add_f32_e32 v39, v39, v41
	;; [unrolled: 1-line block ×3, first 2 shown]
	s_waitcnt vmcnt(1)
	v_sub_f32_e32 v39, v75, v39
	s_waitcnt vmcnt(0)
	v_sub_f32_e32 v40, v76, v40
	buffer_store_dword v39, off, s[0:3], 0 offset:64
	buffer_store_dword v40, off, s[0:3], 0 offset:68
	v_cmpx_lt_u32_e32 7, v0
	s_cbranch_execz .LBB17_107
; %bb.106:
	s_clause 0x1
	buffer_load_dword v39, off, s[0:3], 0 offset:56
	buffer_load_dword v40, off, s[0:3], 0 offset:60
	buffer_store_dword v38, off, s[0:3], 0 offset:56
	buffer_store_dword v38, off, s[0:3], 0 offset:60
	s_waitcnt vmcnt(0)
	ds_write_b64 v37, v[39:40]
.LBB17_107:
	s_or_b32 exec_lo, exec_lo, s4
	s_waitcnt lgkmcnt(0)
	s_waitcnt_vscnt null, 0x0
	s_barrier
	buffer_gl0_inv
	s_clause 0x15
	buffer_load_dword v59, off, s[0:3], 0 offset:68
	buffer_load_dword v60, off, s[0:3], 0 offset:76
	;; [unrolled: 1-line block ×22, first 2 shown]
	ds_read_b128 v[39:42], v38 offset:208
	ds_read_b128 v[43:46], v38 offset:224
	;; [unrolled: 1-line block ×5, first 2 shown]
	s_mov_b32 s4, exec_lo
	s_waitcnt vmcnt(21) lgkmcnt(4)
	v_mul_f32_e32 v38, v39, v59
	v_mul_f32_e32 v59, v40, v59
	s_waitcnt vmcnt(20)
	v_mul_f32_e32 v81, v41, v60
	v_mul_f32_e32 v60, v42, v60
	s_waitcnt vmcnt(19) lgkmcnt(3)
	v_mul_f32_e32 v82, v43, v61
	s_waitcnt vmcnt(18)
	v_mul_f32_e32 v83, v45, v62
	s_waitcnt vmcnt(17) lgkmcnt(2)
	v_mul_f32_e32 v84, v47, v63
	s_waitcnt vmcnt(16)
	;; [unrolled: 4-line block ×3, first 2 shown]
	v_mul_f32_e32 v87, v53, v66
	s_waitcnt vmcnt(11)
	v_fma_f32 v39, v39, v69, -v59
	v_fmac_f32_e32 v38, v40, v69
	v_mul_f32_e32 v40, v44, v61
	s_waitcnt vmcnt(10)
	v_fma_f32 v41, v41, v70, -v60
	v_fmac_f32_e32 v81, v42, v70
	v_add_f32_e32 v39, 0, v39
	v_add_f32_e32 v38, 0, v38
	v_mul_f32_e32 v42, v46, v62
	s_waitcnt vmcnt(9)
	v_fma_f32 v40, v43, v71, -v40
	v_fmac_f32_e32 v82, v44, v71
	v_add_f32_e32 v39, v39, v41
	v_add_f32_e32 v38, v38, v81
	;; [unrolled: 6-line block ×6, first 2 shown]
	s_waitcnt lgkmcnt(0)
	v_mul_f32_e32 v40, v56, v67
	s_waitcnt vmcnt(4)
	v_fma_f32 v41, v53, v76, -v41
	v_mul_f32_e32 v88, v55, v67
	v_add_f32_e32 v39, v39, v42
	v_fmac_f32_e32 v87, v54, v76
	v_add_f32_e32 v38, v38, v86
	v_mul_f32_e32 v42, v58, v68
	s_waitcnt vmcnt(3)
	v_fma_f32 v40, v55, v77, -v40
	v_add_f32_e32 v39, v39, v41
	v_mul_f32_e32 v89, v57, v68
	v_fmac_f32_e32 v88, v56, v77
	v_add_f32_e32 v38, v38, v87
	s_waitcnt vmcnt(2)
	v_fma_f32 v41, v57, v78, -v42
	v_add_f32_e32 v39, v39, v40
	v_fmac_f32_e32 v89, v58, v78
	v_add_f32_e32 v38, v38, v88
	v_add_f32_e32 v39, v39, v41
	;; [unrolled: 1-line block ×3, first 2 shown]
	s_waitcnt vmcnt(1)
	v_sub_f32_e32 v39, v79, v39
	s_waitcnt vmcnt(0)
	v_sub_f32_e32 v38, v80, v38
	buffer_store_dword v39, off, s[0:3], 0 offset:56
	buffer_store_dword v38, off, s[0:3], 0 offset:60
	v_cmpx_lt_u32_e32 6, v0
	s_cbranch_execz .LBB17_109
; %bb.108:
	s_clause 0x1
	buffer_load_dword v38, off, s[0:3], 0 offset:48
	buffer_load_dword v39, off, s[0:3], 0 offset:52
	v_mov_b32_e32 v40, 0
	buffer_store_dword v40, off, s[0:3], 0 offset:48
	buffer_store_dword v40, off, s[0:3], 0 offset:52
	s_waitcnt vmcnt(0)
	ds_write_b64 v37, v[38:39]
.LBB17_109:
	s_or_b32 exec_lo, exec_lo, s4
	s_waitcnt lgkmcnt(0)
	s_waitcnt_vscnt null, 0x0
	s_barrier
	buffer_gl0_inv
	s_clause 0x17
	buffer_load_dword v61, off, s[0:3], 0 offset:60
	buffer_load_dword v62, off, s[0:3], 0 offset:68
	;; [unrolled: 1-line block ×24, first 2 shown]
	v_mov_b32_e32 v38, 0
	ds_read2_b64 v[39:42], v38 offset0:25 offset1:26
	ds_read2_b64 v[43:46], v38 offset0:27 offset1:28
	;; [unrolled: 1-line block ×5, first 2 shown]
	ds_read_b64 v[59:60], v38 offset:280
	s_mov_b32 s4, exec_lo
	s_waitcnt vmcnt(23) lgkmcnt(5)
	v_mul_f32_e32 v85, v39, v61
	v_mul_f32_e32 v61, v40, v61
	s_waitcnt vmcnt(22)
	v_mul_f32_e32 v86, v41, v62
	v_mul_f32_e32 v62, v42, v62
	s_waitcnt vmcnt(21) lgkmcnt(4)
	v_mul_f32_e32 v87, v43, v63
	s_waitcnt vmcnt(20)
	v_mul_f32_e32 v88, v45, v64
	s_waitcnt vmcnt(19) lgkmcnt(3)
	v_mul_f32_e32 v89, v47, v65
	s_waitcnt vmcnt(18)
	;; [unrolled: 4-line block ×4, first 2 shown]
	v_fma_f32 v39, v39, v72, -v61
	v_fmac_f32_e32 v85, v40, v72
	v_mul_f32_e32 v40, v44, v63
	s_waitcnt vmcnt(11)
	v_fma_f32 v41, v41, v73, -v62
	v_fmac_f32_e32 v86, v42, v73
	v_add_f32_e32 v39, 0, v39
	v_add_f32_e32 v42, 0, v85
	v_mul_f32_e32 v61, v46, v64
	s_waitcnt vmcnt(10)
	v_fma_f32 v40, v43, v74, -v40
	v_fmac_f32_e32 v87, v44, v74
	v_add_f32_e32 v39, v39, v41
	v_add_f32_e32 v41, v42, v86
	;; [unrolled: 6-line block ×7, first 2 shown]
	v_mul_f32_e32 v43, v58, v70
	s_waitcnt vmcnt(4)
	v_fma_f32 v41, v55, v80, -v41
	v_mul_f32_e32 v94, v57, v70
	v_add_f32_e32 v39, v39, v42
	v_fmac_f32_e32 v93, v56, v80
	v_add_f32_e32 v40, v40, v92
	s_waitcnt lgkmcnt(0)
	v_mul_f32_e32 v42, v60, v71
	s_waitcnt vmcnt(3)
	v_fma_f32 v43, v57, v81, -v43
	v_add_f32_e32 v39, v39, v41
	v_mul_f32_e32 v95, v59, v71
	v_fmac_f32_e32 v94, v58, v81
	v_add_f32_e32 v40, v40, v93
	s_waitcnt vmcnt(2)
	v_fma_f32 v41, v59, v82, -v42
	v_add_f32_e32 v39, v39, v43
	v_fmac_f32_e32 v95, v60, v82
	v_add_f32_e32 v40, v40, v94
	v_add_f32_e32 v39, v39, v41
	;; [unrolled: 1-line block ×3, first 2 shown]
	s_waitcnt vmcnt(1)
	v_sub_f32_e32 v39, v83, v39
	s_waitcnt vmcnt(0)
	v_sub_f32_e32 v40, v84, v40
	buffer_store_dword v39, off, s[0:3], 0 offset:48
	buffer_store_dword v40, off, s[0:3], 0 offset:52
	v_cmpx_lt_u32_e32 5, v0
	s_cbranch_execz .LBB17_111
; %bb.110:
	s_clause 0x1
	buffer_load_dword v39, off, s[0:3], 0 offset:40
	buffer_load_dword v40, off, s[0:3], 0 offset:44
	buffer_store_dword v38, off, s[0:3], 0 offset:40
	buffer_store_dword v38, off, s[0:3], 0 offset:44
	s_waitcnt vmcnt(0)
	ds_write_b64 v37, v[39:40]
.LBB17_111:
	s_or_b32 exec_lo, exec_lo, s4
	s_waitcnt lgkmcnt(0)
	s_waitcnt_vscnt null, 0x0
	s_barrier
	buffer_gl0_inv
	s_clause 0x19
	buffer_load_dword v63, off, s[0:3], 0 offset:52
	buffer_load_dword v64, off, s[0:3], 0 offset:60
	;; [unrolled: 1-line block ×26, first 2 shown]
	ds_read_b128 v[39:42], v38 offset:192
	ds_read_b128 v[43:46], v38 offset:208
	;; [unrolled: 1-line block ×6, first 2 shown]
	s_mov_b32 s4, exec_lo
	s_waitcnt vmcnt(25) lgkmcnt(5)
	v_mul_f32_e32 v38, v39, v63
	v_mul_f32_e32 v63, v40, v63
	s_waitcnt vmcnt(24)
	v_mul_f32_e32 v89, v41, v64
	v_mul_f32_e32 v64, v42, v64
	s_waitcnt vmcnt(23) lgkmcnt(4)
	v_mul_f32_e32 v90, v43, v65
	s_waitcnt vmcnt(22)
	v_mul_f32_e32 v91, v45, v66
	s_waitcnt vmcnt(21) lgkmcnt(3)
	v_mul_f32_e32 v92, v47, v67
	s_waitcnt vmcnt(20)
	;; [unrolled: 4-line block ×4, first 2 shown]
	v_mul_f32_e32 v97, v57, v72
	s_waitcnt vmcnt(13)
	v_fma_f32 v39, v39, v75, -v63
	v_fmac_f32_e32 v38, v40, v75
	v_mul_f32_e32 v40, v44, v65
	s_waitcnt vmcnt(12)
	v_fma_f32 v41, v41, v76, -v64
	v_fmac_f32_e32 v89, v42, v76
	v_add_f32_e32 v39, 0, v39
	v_add_f32_e32 v38, 0, v38
	v_mul_f32_e32 v42, v46, v66
	s_waitcnt vmcnt(11)
	v_fma_f32 v40, v43, v77, -v40
	v_fmac_f32_e32 v90, v44, v77
	v_add_f32_e32 v39, v39, v41
	v_add_f32_e32 v38, v38, v89
	;; [unrolled: 6-line block ×8, first 2 shown]
	s_waitcnt lgkmcnt(0)
	v_mul_f32_e32 v41, v60, v73
	s_waitcnt vmcnt(4)
	v_fma_f32 v42, v57, v84, -v42
	v_mul_f32_e32 v98, v59, v73
	v_add_f32_e32 v39, v39, v40
	v_fmac_f32_e32 v97, v58, v84
	v_add_f32_e32 v38, v38, v96
	v_mul_f32_e32 v40, v62, v74
	s_waitcnt vmcnt(3)
	v_fma_f32 v41, v59, v85, -v41
	v_add_f32_e32 v39, v39, v42
	v_mul_f32_e32 v99, v61, v74
	v_fmac_f32_e32 v98, v60, v85
	v_add_f32_e32 v38, v38, v97
	s_waitcnt vmcnt(2)
	v_fma_f32 v40, v61, v86, -v40
	v_add_f32_e32 v39, v39, v41
	v_fmac_f32_e32 v99, v62, v86
	v_add_f32_e32 v38, v38, v98
	v_add_f32_e32 v39, v39, v40
	v_add_f32_e32 v38, v38, v99
	s_waitcnt vmcnt(1)
	v_sub_f32_e32 v39, v87, v39
	s_waitcnt vmcnt(0)
	v_sub_f32_e32 v38, v88, v38
	buffer_store_dword v39, off, s[0:3], 0 offset:40
	buffer_store_dword v38, off, s[0:3], 0 offset:44
	v_cmpx_lt_u32_e32 4, v0
	s_cbranch_execz .LBB17_113
; %bb.112:
	s_clause 0x1
	buffer_load_dword v38, off, s[0:3], 0 offset:32
	buffer_load_dword v39, off, s[0:3], 0 offset:36
	v_mov_b32_e32 v40, 0
	buffer_store_dword v40, off, s[0:3], 0 offset:32
	buffer_store_dword v40, off, s[0:3], 0 offset:36
	s_waitcnt vmcnt(0)
	ds_write_b64 v37, v[38:39]
.LBB17_113:
	s_or_b32 exec_lo, exec_lo, s4
	s_waitcnt lgkmcnt(0)
	s_waitcnt_vscnt null, 0x0
	s_barrier
	buffer_gl0_inv
	s_clause 0x1b
	buffer_load_dword v65, off, s[0:3], 0 offset:44
	buffer_load_dword v66, off, s[0:3], 0 offset:52
	buffer_load_dword v67, off, s[0:3], 0 offset:60
	buffer_load_dword v68, off, s[0:3], 0 offset:68
	buffer_load_dword v69, off, s[0:3], 0 offset:76
	buffer_load_dword v70, off, s[0:3], 0 offset:84
	buffer_load_dword v71, off, s[0:3], 0 offset:92
	buffer_load_dword v72, off, s[0:3], 0 offset:100
	buffer_load_dword v73, off, s[0:3], 0 offset:108
	buffer_load_dword v74, off, s[0:3], 0 offset:116
	buffer_load_dword v75, off, s[0:3], 0 offset:124
	buffer_load_dword v76, off, s[0:3], 0 offset:132
	buffer_load_dword v77, off, s[0:3], 0 offset:140
	buffer_load_dword v78, off, s[0:3], 0 offset:40
	buffer_load_dword v79, off, s[0:3], 0 offset:48
	buffer_load_dword v80, off, s[0:3], 0 offset:56
	buffer_load_dword v81, off, s[0:3], 0 offset:64
	buffer_load_dword v82, off, s[0:3], 0 offset:72
	buffer_load_dword v83, off, s[0:3], 0 offset:80
	buffer_load_dword v84, off, s[0:3], 0 offset:88
	buffer_load_dword v85, off, s[0:3], 0 offset:96
	buffer_load_dword v86, off, s[0:3], 0 offset:104
	buffer_load_dword v87, off, s[0:3], 0 offset:112
	buffer_load_dword v88, off, s[0:3], 0 offset:120
	buffer_load_dword v89, off, s[0:3], 0 offset:128
	buffer_load_dword v90, off, s[0:3], 0 offset:136
	buffer_load_dword v91, off, s[0:3], 0 offset:32
	buffer_load_dword v92, off, s[0:3], 0 offset:36
	v_mov_b32_e32 v38, 0
	ds_read2_b64 v[39:42], v38 offset0:23 offset1:24
	ds_read2_b64 v[43:46], v38 offset0:25 offset1:26
	;; [unrolled: 1-line block ×6, first 2 shown]
	ds_read_b64 v[63:64], v38 offset:280
	s_mov_b32 s4, exec_lo
	s_waitcnt vmcnt(27) lgkmcnt(6)
	v_mul_f32_e32 v93, v39, v65
	v_mul_f32_e32 v65, v40, v65
	s_waitcnt vmcnt(26)
	v_mul_f32_e32 v94, v41, v66
	v_mul_f32_e32 v66, v42, v66
	s_waitcnt vmcnt(25) lgkmcnt(5)
	v_mul_f32_e32 v95, v43, v67
	s_waitcnt vmcnt(24)
	v_mul_f32_e32 v96, v45, v68
	s_waitcnt vmcnt(23) lgkmcnt(4)
	v_mul_f32_e32 v97, v47, v69
	s_waitcnt vmcnt(22)
	;; [unrolled: 4-line block ×5, first 2 shown]
	v_fma_f32 v39, v39, v78, -v65
	v_fmac_f32_e32 v93, v40, v78
	v_mul_f32_e32 v40, v44, v67
	s_waitcnt vmcnt(13)
	v_fma_f32 v41, v41, v79, -v66
	v_fmac_f32_e32 v94, v42, v79
	v_add_f32_e32 v39, 0, v39
	v_add_f32_e32 v42, 0, v93
	v_mul_f32_e32 v65, v46, v68
	s_waitcnt vmcnt(12)
	v_fma_f32 v40, v43, v80, -v40
	v_fmac_f32_e32 v95, v44, v80
	v_add_f32_e32 v39, v39, v41
	v_add_f32_e32 v41, v42, v94
	;; [unrolled: 6-line block ×9, first 2 shown]
	v_mul_f32_e32 v41, v62, v76
	s_waitcnt vmcnt(4)
	v_fma_f32 v42, v59, v88, -v42
	v_mul_f32_e32 v104, v61, v76
	v_add_f32_e32 v39, v39, v43
	v_fmac_f32_e32 v103, v60, v88
	v_add_f32_e32 v40, v40, v102
	s_waitcnt lgkmcnt(0)
	v_mul_f32_e32 v43, v64, v77
	s_waitcnt vmcnt(3)
	v_fma_f32 v41, v61, v89, -v41
	v_add_f32_e32 v39, v39, v42
	v_mul_f32_e32 v105, v63, v77
	v_fmac_f32_e32 v104, v62, v89
	v_add_f32_e32 v40, v40, v103
	s_waitcnt vmcnt(2)
	v_fma_f32 v42, v63, v90, -v43
	v_add_f32_e32 v39, v39, v41
	v_fmac_f32_e32 v105, v64, v90
	v_add_f32_e32 v40, v40, v104
	v_add_f32_e32 v39, v39, v42
	;; [unrolled: 1-line block ×3, first 2 shown]
	s_waitcnt vmcnt(1)
	v_sub_f32_e32 v39, v91, v39
	s_waitcnt vmcnt(0)
	v_sub_f32_e32 v40, v92, v40
	buffer_store_dword v39, off, s[0:3], 0 offset:32
	buffer_store_dword v40, off, s[0:3], 0 offset:36
	v_cmpx_lt_u32_e32 3, v0
	s_cbranch_execz .LBB17_115
; %bb.114:
	s_clause 0x1
	buffer_load_dword v39, off, s[0:3], 0 offset:24
	buffer_load_dword v40, off, s[0:3], 0 offset:28
	buffer_store_dword v38, off, s[0:3], 0 offset:24
	buffer_store_dword v38, off, s[0:3], 0 offset:28
	s_waitcnt vmcnt(0)
	ds_write_b64 v37, v[39:40]
.LBB17_115:
	s_or_b32 exec_lo, exec_lo, s4
	s_waitcnt lgkmcnt(0)
	s_waitcnt_vscnt null, 0x0
	s_barrier
	buffer_gl0_inv
	s_clause 0x1d
	buffer_load_dword v67, off, s[0:3], 0 offset:36
	buffer_load_dword v68, off, s[0:3], 0 offset:44
	buffer_load_dword v69, off, s[0:3], 0 offset:52
	buffer_load_dword v70, off, s[0:3], 0 offset:60
	buffer_load_dword v71, off, s[0:3], 0 offset:68
	buffer_load_dword v72, off, s[0:3], 0 offset:76
	buffer_load_dword v73, off, s[0:3], 0 offset:84
	buffer_load_dword v74, off, s[0:3], 0 offset:92
	buffer_load_dword v75, off, s[0:3], 0 offset:100
	buffer_load_dword v76, off, s[0:3], 0 offset:108
	buffer_load_dword v77, off, s[0:3], 0 offset:116
	buffer_load_dword v78, off, s[0:3], 0 offset:124
	buffer_load_dword v79, off, s[0:3], 0 offset:132
	buffer_load_dword v80, off, s[0:3], 0 offset:140
	buffer_load_dword v81, off, s[0:3], 0 offset:32
	buffer_load_dword v82, off, s[0:3], 0 offset:40
	buffer_load_dword v83, off, s[0:3], 0 offset:48
	buffer_load_dword v84, off, s[0:3], 0 offset:56
	buffer_load_dword v85, off, s[0:3], 0 offset:64
	buffer_load_dword v86, off, s[0:3], 0 offset:72
	buffer_load_dword v87, off, s[0:3], 0 offset:80
	buffer_load_dword v88, off, s[0:3], 0 offset:88
	buffer_load_dword v89, off, s[0:3], 0 offset:96
	buffer_load_dword v90, off, s[0:3], 0 offset:104
	buffer_load_dword v91, off, s[0:3], 0 offset:112
	buffer_load_dword v92, off, s[0:3], 0 offset:120
	buffer_load_dword v93, off, s[0:3], 0 offset:128
	buffer_load_dword v94, off, s[0:3], 0 offset:136
	buffer_load_dword v95, off, s[0:3], 0 offset:24
	buffer_load_dword v96, off, s[0:3], 0 offset:28
	ds_read_b128 v[39:42], v38 offset:176
	ds_read_b128 v[43:46], v38 offset:192
	;; [unrolled: 1-line block ×7, first 2 shown]
	s_mov_b32 s4, exec_lo
	s_waitcnt vmcnt(29) lgkmcnt(6)
	v_mul_f32_e32 v38, v39, v67
	v_mul_f32_e32 v67, v40, v67
	s_waitcnt vmcnt(28)
	v_mul_f32_e32 v97, v41, v68
	v_mul_f32_e32 v68, v42, v68
	s_waitcnt vmcnt(27) lgkmcnt(5)
	v_mul_f32_e32 v98, v43, v69
	s_waitcnt vmcnt(26)
	v_mul_f32_e32 v99, v45, v70
	s_waitcnt vmcnt(25) lgkmcnt(4)
	v_mul_f32_e32 v100, v47, v71
	s_waitcnt vmcnt(24)
	;; [unrolled: 4-line block ×5, first 2 shown]
	v_mul_f32_e32 v107, v61, v78
	s_waitcnt vmcnt(15)
	v_fma_f32 v39, v39, v81, -v67
	v_fmac_f32_e32 v38, v40, v81
	v_mul_f32_e32 v40, v44, v69
	s_waitcnt vmcnt(14)
	v_fma_f32 v41, v41, v82, -v68
	v_fmac_f32_e32 v97, v42, v82
	v_add_f32_e32 v39, 0, v39
	v_add_f32_e32 v38, 0, v38
	v_mul_f32_e32 v42, v46, v70
	s_waitcnt vmcnt(13)
	v_fma_f32 v40, v43, v83, -v40
	v_fmac_f32_e32 v98, v44, v83
	v_add_f32_e32 v39, v39, v41
	v_add_f32_e32 v38, v38, v97
	;; [unrolled: 6-line block ×10, first 2 shown]
	s_waitcnt lgkmcnt(0)
	v_mul_f32_e32 v42, v64, v79
	s_waitcnt vmcnt(4)
	v_fma_f32 v40, v61, v92, -v40
	v_mul_f32_e32 v108, v63, v79
	v_add_f32_e32 v39, v39, v41
	v_fmac_f32_e32 v107, v62, v92
	v_add_f32_e32 v38, v38, v106
	v_mul_f32_e32 v41, v66, v80
	s_waitcnt vmcnt(3)
	v_fma_f32 v42, v63, v93, -v42
	v_add_f32_e32 v39, v39, v40
	v_mul_f32_e32 v109, v65, v80
	v_fmac_f32_e32 v108, v64, v93
	v_add_f32_e32 v38, v38, v107
	s_waitcnt vmcnt(2)
	v_fma_f32 v40, v65, v94, -v41
	v_add_f32_e32 v39, v39, v42
	v_fmac_f32_e32 v109, v66, v94
	v_add_f32_e32 v38, v38, v108
	v_add_f32_e32 v39, v39, v40
	;; [unrolled: 1-line block ×3, first 2 shown]
	s_waitcnt vmcnt(1)
	v_sub_f32_e32 v39, v95, v39
	s_waitcnt vmcnt(0)
	v_sub_f32_e32 v38, v96, v38
	buffer_store_dword v39, off, s[0:3], 0 offset:24
	buffer_store_dword v38, off, s[0:3], 0 offset:28
	v_cmpx_lt_u32_e32 2, v0
	s_cbranch_execz .LBB17_117
; %bb.116:
	s_clause 0x1
	buffer_load_dword v38, off, s[0:3], 0 offset:16
	buffer_load_dword v39, off, s[0:3], 0 offset:20
	v_mov_b32_e32 v40, 0
	buffer_store_dword v40, off, s[0:3], 0 offset:16
	buffer_store_dword v40, off, s[0:3], 0 offset:20
	s_waitcnt vmcnt(0)
	ds_write_b64 v37, v[38:39]
.LBB17_117:
	s_or_b32 exec_lo, exec_lo, s4
	s_waitcnt lgkmcnt(0)
	s_waitcnt_vscnt null, 0x0
	s_barrier
	buffer_gl0_inv
	s_clause 0x1f
	buffer_load_dword v69, off, s[0:3], 0 offset:28
	buffer_load_dword v70, off, s[0:3], 0 offset:36
	;; [unrolled: 1-line block ×32, first 2 shown]
	v_mov_b32_e32 v38, 0
	ds_read2_b64 v[39:42], v38 offset0:21 offset1:22
	ds_read2_b64 v[43:46], v38 offset0:23 offset1:24
	;; [unrolled: 1-line block ×7, first 2 shown]
	ds_read_b64 v[67:68], v38 offset:280
	s_mov_b32 s4, exec_lo
	s_waitcnt vmcnt(31) lgkmcnt(7)
	v_mul_f32_e32 v101, v39, v69
	v_mul_f32_e32 v69, v40, v69
	s_waitcnt vmcnt(30)
	v_mul_f32_e32 v102, v41, v70
	v_mul_f32_e32 v70, v42, v70
	s_waitcnt vmcnt(29) lgkmcnt(6)
	v_mul_f32_e32 v103, v43, v71
	s_waitcnt vmcnt(28)
	v_mul_f32_e32 v104, v45, v72
	s_waitcnt vmcnt(27) lgkmcnt(5)
	v_mul_f32_e32 v105, v47, v73
	s_waitcnt vmcnt(26)
	;; [unrolled: 4-line block ×6, first 2 shown]
	v_fma_f32 v39, v39, v84, -v69
	v_fmac_f32_e32 v101, v40, v84
	v_mul_f32_e32 v40, v44, v71
	s_waitcnt vmcnt(15)
	v_fma_f32 v41, v41, v85, -v70
	v_fmac_f32_e32 v102, v42, v85
	v_add_f32_e32 v39, 0, v39
	v_add_f32_e32 v42, 0, v101
	v_mul_f32_e32 v69, v46, v72
	s_waitcnt vmcnt(14)
	v_fma_f32 v40, v43, v86, -v40
	v_fmac_f32_e32 v103, v44, v86
	v_add_f32_e32 v39, v39, v41
	v_add_f32_e32 v41, v42, v102
	;; [unrolled: 6-line block ×11, first 2 shown]
	v_mul_f32_e32 v42, v66, v82
	s_waitcnt vmcnt(4)
	v_fma_f32 v43, v63, v96, -v43
	v_mul_f32_e32 v114, v65, v82
	v_add_f32_e32 v39, v39, v41
	v_fmac_f32_e32 v113, v64, v96
	v_add_f32_e32 v40, v40, v112
	s_waitcnt lgkmcnt(0)
	v_mul_f32_e32 v41, v68, v83
	s_waitcnt vmcnt(3)
	v_fma_f32 v42, v65, v97, -v42
	v_add_f32_e32 v39, v39, v43
	v_mul_f32_e32 v115, v67, v83
	v_fmac_f32_e32 v114, v66, v97
	v_add_f32_e32 v40, v40, v113
	s_waitcnt vmcnt(2)
	v_fma_f32 v41, v67, v98, -v41
	v_add_f32_e32 v39, v39, v42
	v_fmac_f32_e32 v115, v68, v98
	v_add_f32_e32 v40, v40, v114
	v_add_f32_e32 v39, v39, v41
	;; [unrolled: 1-line block ×3, first 2 shown]
	s_waitcnt vmcnt(1)
	v_sub_f32_e32 v39, v99, v39
	s_waitcnt vmcnt(0)
	v_sub_f32_e32 v40, v100, v40
	buffer_store_dword v39, off, s[0:3], 0 offset:16
	buffer_store_dword v40, off, s[0:3], 0 offset:20
	v_cmpx_lt_u32_e32 1, v0
	s_cbranch_execz .LBB17_119
; %bb.118:
	s_clause 0x1
	buffer_load_dword v39, off, s[0:3], 0 offset:8
	buffer_load_dword v40, off, s[0:3], 0 offset:12
	buffer_store_dword v38, off, s[0:3], 0 offset:8
	buffer_store_dword v38, off, s[0:3], 0 offset:12
	s_waitcnt vmcnt(0)
	ds_write_b64 v37, v[39:40]
.LBB17_119:
	s_or_b32 exec_lo, exec_lo, s4
	s_waitcnt lgkmcnt(0)
	s_waitcnt_vscnt null, 0x0
	s_barrier
	buffer_gl0_inv
	s_clause 0x21
	buffer_load_dword v71, off, s[0:3], 0 offset:20
	buffer_load_dword v72, off, s[0:3], 0 offset:28
	;; [unrolled: 1-line block ×34, first 2 shown]
	ds_read_b128 v[39:42], v38 offset:160
	ds_read_b128 v[43:46], v38 offset:176
	;; [unrolled: 1-line block ×8, first 2 shown]
	s_mov_b32 s4, exec_lo
	s_waitcnt vmcnt(33) lgkmcnt(7)
	v_mul_f32_e32 v38, v39, v71
	v_mul_f32_e32 v71, v40, v71
	s_waitcnt vmcnt(32)
	v_mul_f32_e32 v105, v41, v72
	v_mul_f32_e32 v72, v42, v72
	s_waitcnt vmcnt(31) lgkmcnt(6)
	v_mul_f32_e32 v106, v43, v73
	s_waitcnt vmcnt(30)
	v_mul_f32_e32 v107, v45, v74
	s_waitcnt vmcnt(29) lgkmcnt(5)
	v_mul_f32_e32 v108, v47, v75
	s_waitcnt vmcnt(28)
	;; [unrolled: 4-line block ×6, first 2 shown]
	v_mul_f32_e32 v117, v65, v84
	s_waitcnt vmcnt(17)
	v_fma_f32 v39, v39, v87, -v71
	v_fmac_f32_e32 v38, v40, v87
	v_mul_f32_e32 v40, v44, v73
	s_waitcnt vmcnt(16)
	v_fma_f32 v41, v41, v88, -v72
	v_fmac_f32_e32 v105, v42, v88
	v_add_f32_e32 v39, 0, v39
	v_add_f32_e32 v38, 0, v38
	v_mul_f32_e32 v42, v46, v74
	s_waitcnt vmcnt(15)
	v_fma_f32 v40, v43, v89, -v40
	v_fmac_f32_e32 v106, v44, v89
	v_add_f32_e32 v39, v39, v41
	v_add_f32_e32 v38, v38, v105
	;; [unrolled: 6-line block ×12, first 2 shown]
	s_waitcnt lgkmcnt(0)
	v_mul_f32_e32 v40, v68, v85
	s_waitcnt vmcnt(4)
	v_fma_f32 v41, v65, v100, -v41
	v_mul_f32_e32 v118, v67, v85
	v_add_f32_e32 v39, v39, v42
	v_fmac_f32_e32 v117, v66, v100
	v_add_f32_e32 v38, v38, v116
	v_mul_f32_e32 v42, v70, v86
	s_waitcnt vmcnt(3)
	v_fma_f32 v40, v67, v101, -v40
	v_add_f32_e32 v39, v39, v41
	v_mul_f32_e32 v119, v69, v86
	v_fmac_f32_e32 v118, v68, v101
	v_add_f32_e32 v38, v38, v117
	s_waitcnt vmcnt(2)
	v_fma_f32 v41, v69, v102, -v42
	v_add_f32_e32 v39, v39, v40
	v_fmac_f32_e32 v119, v70, v102
	v_add_f32_e32 v38, v38, v118
	v_add_f32_e32 v39, v39, v41
	;; [unrolled: 1-line block ×3, first 2 shown]
	s_waitcnt vmcnt(1)
	v_sub_f32_e32 v39, v103, v39
	s_waitcnt vmcnt(0)
	v_sub_f32_e32 v38, v104, v38
	buffer_store_dword v39, off, s[0:3], 0 offset:8
	buffer_store_dword v38, off, s[0:3], 0 offset:12
	v_cmpx_ne_u32_e32 0, v0
	s_cbranch_execz .LBB17_121
; %bb.120:
	s_clause 0x1
	buffer_load_dword v38, off, s[0:3], 0
	buffer_load_dword v39, off, s[0:3], 0 offset:4
	v_mov_b32_e32 v0, 0
	buffer_store_dword v0, off, s[0:3], 0
	buffer_store_dword v0, off, s[0:3], 0 offset:4
	s_waitcnt vmcnt(0)
	ds_write_b64 v37, v[38:39]
.LBB17_121:
	s_or_b32 exec_lo, exec_lo, s4
	s_waitcnt lgkmcnt(0)
	s_waitcnt_vscnt null, 0x0
	s_barrier
	buffer_gl0_inv
	s_clause 0x23
	buffer_load_dword v73, off, s[0:3], 0 offset:12
	buffer_load_dword v74, off, s[0:3], 0 offset:20
	;; [unrolled: 1-line block ×34, first 2 shown]
	buffer_load_dword v105, off, s[0:3], 0
	buffer_load_dword v106, off, s[0:3], 0 offset:4
	v_mov_b32_e32 v38, 0
	ds_read2_b64 v[39:42], v38 offset0:19 offset1:20
	ds_read2_b64 v[43:46], v38 offset0:21 offset1:22
	;; [unrolled: 1-line block ×8, first 2 shown]
	ds_read_b64 v[71:72], v38 offset:280
	s_and_b32 vcc_lo, exec_lo, s22
	s_waitcnt vmcnt(35) lgkmcnt(8)
	v_mul_f32_e32 v107, v39, v73
	v_mul_f32_e32 v73, v40, v73
	s_waitcnt vmcnt(34)
	v_mul_f32_e32 v108, v41, v74
	v_mul_f32_e32 v74, v42, v74
	s_waitcnt vmcnt(33) lgkmcnt(7)
	v_mul_f32_e32 v109, v43, v75
	s_waitcnt vmcnt(32)
	v_mul_f32_e32 v110, v45, v76
	s_waitcnt vmcnt(31) lgkmcnt(6)
	v_mul_f32_e32 v111, v47, v77
	s_waitcnt vmcnt(30)
	;; [unrolled: 4-line block ×7, first 2 shown]
	v_fma_f32 v39, v39, v89, -v73
	v_fmac_f32_e32 v107, v40, v89
	v_mul_f32_e32 v40, v44, v75
	s_waitcnt vmcnt(17)
	v_fma_f32 v41, v41, v90, -v74
	v_fmac_f32_e32 v108, v42, v90
	v_add_f32_e32 v39, 0, v39
	v_add_f32_e32 v42, 0, v107
	v_mul_f32_e32 v73, v46, v76
	s_waitcnt vmcnt(16)
	v_fma_f32 v40, v43, v91, -v40
	v_fmac_f32_e32 v109, v44, v91
	v_add_f32_e32 v39, v39, v41
	v_add_f32_e32 v41, v42, v108
	;; [unrolled: 6-line block ×13, first 2 shown]
	v_mul_f32_e32 v43, v70, v0
	s_waitcnt vmcnt(4)
	v_fma_f32 v41, v67, v103, -v41
	v_mul_f32_e32 v122, v69, v0
	v_add_f32_e32 v39, v39, v42
	v_fmac_f32_e32 v121, v68, v103
	v_add_f32_e32 v40, v40, v120
	s_waitcnt lgkmcnt(0)
	v_mul_f32_e32 v42, v72, v88
	s_waitcnt vmcnt(2)
	v_fma_f32 v43, v69, v37, -v43
	v_add_f32_e32 v39, v39, v41
	v_mul_f32_e32 v123, v71, v88
	v_fmac_f32_e32 v122, v70, v37
	v_add_f32_e32 v40, v40, v121
	v_fma_f32 v41, v71, v104, -v42
	v_add_f32_e32 v39, v39, v43
	v_fmac_f32_e32 v123, v72, v104
	v_add_f32_e32 v40, v40, v122
	v_add_f32_e32 v39, v39, v41
	;; [unrolled: 1-line block ×3, first 2 shown]
	s_waitcnt vmcnt(1)
	v_sub_f32_e32 v39, v105, v39
	s_waitcnt vmcnt(0)
	v_sub_f32_e32 v40, v106, v40
	buffer_store_dword v39, off, s[0:3], 0
	buffer_store_dword v40, off, s[0:3], 0 offset:4
	s_cbranch_vccz .LBB17_156
; %bb.122:
	global_load_dword v38, v38, s[20:21] offset:64
	s_waitcnt vmcnt(0)
	v_add_nc_u32_e32 v38, -1, v38
	v_cmp_ne_u32_e32 vcc_lo, 16, v38
	s_cbranch_vccz .LBB17_124
; %bb.123:
	v_lshlrev_b32_e32 v38, 3, v38
	s_clause 0x1
	buffer_load_dword v39, v38, s[0:3], 0 offen offset:4
	buffer_load_dword v40, v38, s[0:3], 0 offen
	s_waitcnt vmcnt(1)
	buffer_store_dword v39, off, s[0:3], 0 offset:132
	s_waitcnt vmcnt(0)
	buffer_store_dword v40, off, s[0:3], 0 offset:128
	buffer_store_dword v0, v38, s[0:3], 0 offen offset:4
	buffer_store_dword v37, v38, s[0:3], 0 offen
.LBB17_124:
	v_mov_b32_e32 v0, 0
	global_load_dword v37, v0, s[20:21] offset:60
	s_waitcnt vmcnt(0)
	v_add_nc_u32_e32 v37, -1, v37
	v_cmp_eq_u32_e32 vcc_lo, 15, v37
	s_cbranch_vccnz .LBB17_126
; %bb.125:
	v_lshlrev_b32_e32 v37, 3, v37
	s_clause 0x3
	buffer_load_dword v38, v37, s[0:3], 0 offen
	buffer_load_dword v39, v37, s[0:3], 0 offen offset:4
	buffer_load_dword v40, off, s[0:3], 0 offset:120
	buffer_load_dword v41, off, s[0:3], 0 offset:124
	s_waitcnt vmcnt(3)
	buffer_store_dword v38, off, s[0:3], 0 offset:120
	s_waitcnt vmcnt(2)
	buffer_store_dword v39, off, s[0:3], 0 offset:124
	s_waitcnt vmcnt(1)
	buffer_store_dword v40, v37, s[0:3], 0 offen
	s_waitcnt vmcnt(0)
	buffer_store_dword v41, v37, s[0:3], 0 offen offset:4
.LBB17_126:
	global_load_dword v0, v0, s[20:21] offset:56
	s_waitcnt vmcnt(0)
	v_add_nc_u32_e32 v0, -1, v0
	v_cmp_eq_u32_e32 vcc_lo, 14, v0
	s_cbranch_vccnz .LBB17_128
; %bb.127:
	v_lshlrev_b32_e32 v0, 3, v0
	s_clause 0x3
	buffer_load_dword v37, v0, s[0:3], 0 offen
	buffer_load_dword v38, v0, s[0:3], 0 offen offset:4
	buffer_load_dword v39, off, s[0:3], 0 offset:116
	buffer_load_dword v40, off, s[0:3], 0 offset:112
	s_waitcnt vmcnt(3)
	buffer_store_dword v37, off, s[0:3], 0 offset:112
	s_waitcnt vmcnt(2)
	buffer_store_dword v38, off, s[0:3], 0 offset:116
	s_waitcnt vmcnt(1)
	buffer_store_dword v39, v0, s[0:3], 0 offen offset:4
	s_waitcnt vmcnt(0)
	buffer_store_dword v40, v0, s[0:3], 0 offen
.LBB17_128:
	v_mov_b32_e32 v0, 0
	global_load_dword v37, v0, s[20:21] offset:52
	s_waitcnt vmcnt(0)
	v_add_nc_u32_e32 v37, -1, v37
	v_cmp_eq_u32_e32 vcc_lo, 13, v37
	s_cbranch_vccnz .LBB17_130
; %bb.129:
	v_lshlrev_b32_e32 v37, 3, v37
	s_clause 0x3
	buffer_load_dword v38, v37, s[0:3], 0 offen
	buffer_load_dword v39, v37, s[0:3], 0 offen offset:4
	buffer_load_dword v40, off, s[0:3], 0 offset:104
	buffer_load_dword v41, off, s[0:3], 0 offset:108
	s_waitcnt vmcnt(3)
	buffer_store_dword v38, off, s[0:3], 0 offset:104
	s_waitcnt vmcnt(2)
	buffer_store_dword v39, off, s[0:3], 0 offset:108
	s_waitcnt vmcnt(1)
	buffer_store_dword v40, v37, s[0:3], 0 offen
	s_waitcnt vmcnt(0)
	buffer_store_dword v41, v37, s[0:3], 0 offen offset:4
.LBB17_130:
	global_load_dword v0, v0, s[20:21] offset:48
	s_waitcnt vmcnt(0)
	v_add_nc_u32_e32 v0, -1, v0
	v_cmp_eq_u32_e32 vcc_lo, 12, v0
	s_cbranch_vccnz .LBB17_132
; %bb.131:
	v_lshlrev_b32_e32 v0, 3, v0
	s_clause 0x3
	buffer_load_dword v37, v0, s[0:3], 0 offen
	buffer_load_dword v38, v0, s[0:3], 0 offen offset:4
	buffer_load_dword v39, off, s[0:3], 0 offset:100
	buffer_load_dword v40, off, s[0:3], 0 offset:96
	s_waitcnt vmcnt(3)
	buffer_store_dword v37, off, s[0:3], 0 offset:96
	s_waitcnt vmcnt(2)
	buffer_store_dword v38, off, s[0:3], 0 offset:100
	s_waitcnt vmcnt(1)
	buffer_store_dword v39, v0, s[0:3], 0 offen offset:4
	s_waitcnt vmcnt(0)
	buffer_store_dword v40, v0, s[0:3], 0 offen
.LBB17_132:
	;; [unrolled: 43-line block ×7, first 2 shown]
	v_mov_b32_e32 v0, 0
	global_load_dword v37, v0, s[20:21] offset:4
	s_waitcnt vmcnt(0)
	v_add_nc_u32_e32 v37, -1, v37
	v_cmp_eq_u32_e32 vcc_lo, 1, v37
	s_cbranch_vccnz .LBB17_154
; %bb.153:
	v_lshlrev_b32_e32 v37, 3, v37
	s_clause 0x3
	buffer_load_dword v38, v37, s[0:3], 0 offen
	buffer_load_dword v39, v37, s[0:3], 0 offen offset:4
	buffer_load_dword v40, off, s[0:3], 0 offset:8
	buffer_load_dword v41, off, s[0:3], 0 offset:12
	s_waitcnt vmcnt(3)
	buffer_store_dword v38, off, s[0:3], 0 offset:8
	s_waitcnt vmcnt(2)
	buffer_store_dword v39, off, s[0:3], 0 offset:12
	s_waitcnt vmcnt(1)
	buffer_store_dword v40, v37, s[0:3], 0 offen
	s_waitcnt vmcnt(0)
	buffer_store_dword v41, v37, s[0:3], 0 offen offset:4
.LBB17_154:
	global_load_dword v0, v0, s[20:21]
	s_waitcnt vmcnt(0)
	v_add_nc_u32_e32 v0, -1, v0
	v_cmp_eq_u32_e32 vcc_lo, 0, v0
	s_cbranch_vccnz .LBB17_156
; %bb.155:
	v_lshlrev_b32_e32 v0, 3, v0
	s_clause 0x3
	buffer_load_dword v37, v0, s[0:3], 0 offen
	buffer_load_dword v38, v0, s[0:3], 0 offen offset:4
	buffer_load_dword v39, off, s[0:3], 0 offset:4
	buffer_load_dword v40, off, s[0:3], 0
	s_waitcnt vmcnt(3)
	buffer_store_dword v37, off, s[0:3], 0
	s_waitcnt vmcnt(2)
	buffer_store_dword v38, off, s[0:3], 0 offset:4
	s_waitcnt vmcnt(1)
	buffer_store_dword v39, v0, s[0:3], 0 offen offset:4
	s_waitcnt vmcnt(0)
	buffer_store_dword v40, v0, s[0:3], 0 offen
.LBB17_156:
	s_clause 0x23
	buffer_load_dword v37, off, s[0:3], 0
	buffer_load_dword v38, off, s[0:3], 0 offset:4
	buffer_load_dword v39, off, s[0:3], 0 offset:8
	;; [unrolled: 1-line block ×35, first 2 shown]
	s_waitcnt vmcnt(34)
	global_store_dwordx2 v[1:2], v[37:38], off
	s_waitcnt vmcnt(32)
	global_store_dwordx2 v[3:4], v[39:40], off
	;; [unrolled: 2-line block ×9, first 2 shown]
	global_store_dwordx2 v[19:20], v[55:56], off
	global_store_dwordx2 v[21:22], v[57:58], off
	;; [unrolled: 1-line block ×3, first 2 shown]
	s_waitcnt vmcnt(10)
	global_store_dwordx2 v[25:26], v[61:62], off
	s_waitcnt vmcnt(8)
	global_store_dwordx2 v[27:28], v[63:64], off
	;; [unrolled: 2-line block ×6, first 2 shown]
	s_endpgm
	.section	.rodata,"a",@progbits
	.p2align	6, 0x0
	.amdhsa_kernel _ZN9rocsolver6v33100L18getri_kernel_smallILi18E19rocblas_complex_numIfEPS3_EEvT1_iilPiilS6_bb
		.amdhsa_group_segment_fixed_size 292
		.amdhsa_private_segment_fixed_size 160
		.amdhsa_kernarg_size 60
		.amdhsa_user_sgpr_count 6
		.amdhsa_user_sgpr_private_segment_buffer 1
		.amdhsa_user_sgpr_dispatch_ptr 0
		.amdhsa_user_sgpr_queue_ptr 0
		.amdhsa_user_sgpr_kernarg_segment_ptr 1
		.amdhsa_user_sgpr_dispatch_id 0
		.amdhsa_user_sgpr_flat_scratch_init 0
		.amdhsa_user_sgpr_private_segment_size 0
		.amdhsa_wavefront_size32 1
		.amdhsa_uses_dynamic_stack 0
		.amdhsa_system_sgpr_private_segment_wavefront_offset 1
		.amdhsa_system_sgpr_workgroup_id_x 1
		.amdhsa_system_sgpr_workgroup_id_y 0
		.amdhsa_system_sgpr_workgroup_id_z 0
		.amdhsa_system_sgpr_workgroup_info 0
		.amdhsa_system_vgpr_workitem_id 0
		.amdhsa_next_free_vgpr 124
		.amdhsa_next_free_sgpr 23
		.amdhsa_reserve_vcc 1
		.amdhsa_reserve_flat_scratch 0
		.amdhsa_float_round_mode_32 0
		.amdhsa_float_round_mode_16_64 0
		.amdhsa_float_denorm_mode_32 3
		.amdhsa_float_denorm_mode_16_64 3
		.amdhsa_dx10_clamp 1
		.amdhsa_ieee_mode 1
		.amdhsa_fp16_overflow 0
		.amdhsa_workgroup_processor_mode 1
		.amdhsa_memory_ordered 1
		.amdhsa_forward_progress 1
		.amdhsa_shared_vgpr_count 0
		.amdhsa_exception_fp_ieee_invalid_op 0
		.amdhsa_exception_fp_denorm_src 0
		.amdhsa_exception_fp_ieee_div_zero 0
		.amdhsa_exception_fp_ieee_overflow 0
		.amdhsa_exception_fp_ieee_underflow 0
		.amdhsa_exception_fp_ieee_inexact 0
		.amdhsa_exception_int_div_zero 0
	.end_amdhsa_kernel
	.section	.text._ZN9rocsolver6v33100L18getri_kernel_smallILi18E19rocblas_complex_numIfEPS3_EEvT1_iilPiilS6_bb,"axG",@progbits,_ZN9rocsolver6v33100L18getri_kernel_smallILi18E19rocblas_complex_numIfEPS3_EEvT1_iilPiilS6_bb,comdat
.Lfunc_end17:
	.size	_ZN9rocsolver6v33100L18getri_kernel_smallILi18E19rocblas_complex_numIfEPS3_EEvT1_iilPiilS6_bb, .Lfunc_end17-_ZN9rocsolver6v33100L18getri_kernel_smallILi18E19rocblas_complex_numIfEPS3_EEvT1_iilPiilS6_bb
                                        ; -- End function
	.set _ZN9rocsolver6v33100L18getri_kernel_smallILi18E19rocblas_complex_numIfEPS3_EEvT1_iilPiilS6_bb.num_vgpr, 124
	.set _ZN9rocsolver6v33100L18getri_kernel_smallILi18E19rocblas_complex_numIfEPS3_EEvT1_iilPiilS6_bb.num_agpr, 0
	.set _ZN9rocsolver6v33100L18getri_kernel_smallILi18E19rocblas_complex_numIfEPS3_EEvT1_iilPiilS6_bb.numbered_sgpr, 23
	.set _ZN9rocsolver6v33100L18getri_kernel_smallILi18E19rocblas_complex_numIfEPS3_EEvT1_iilPiilS6_bb.num_named_barrier, 0
	.set _ZN9rocsolver6v33100L18getri_kernel_smallILi18E19rocblas_complex_numIfEPS3_EEvT1_iilPiilS6_bb.private_seg_size, 160
	.set _ZN9rocsolver6v33100L18getri_kernel_smallILi18E19rocblas_complex_numIfEPS3_EEvT1_iilPiilS6_bb.uses_vcc, 1
	.set _ZN9rocsolver6v33100L18getri_kernel_smallILi18E19rocblas_complex_numIfEPS3_EEvT1_iilPiilS6_bb.uses_flat_scratch, 0
	.set _ZN9rocsolver6v33100L18getri_kernel_smallILi18E19rocblas_complex_numIfEPS3_EEvT1_iilPiilS6_bb.has_dyn_sized_stack, 0
	.set _ZN9rocsolver6v33100L18getri_kernel_smallILi18E19rocblas_complex_numIfEPS3_EEvT1_iilPiilS6_bb.has_recursion, 0
	.set _ZN9rocsolver6v33100L18getri_kernel_smallILi18E19rocblas_complex_numIfEPS3_EEvT1_iilPiilS6_bb.has_indirect_call, 0
	.section	.AMDGPU.csdata,"",@progbits
; Kernel info:
; codeLenInByte = 19788
; TotalNumSgprs: 25
; NumVgprs: 124
; ScratchSize: 160
; MemoryBound: 0
; FloatMode: 240
; IeeeMode: 1
; LDSByteSize: 292 bytes/workgroup (compile time only)
; SGPRBlocks: 0
; VGPRBlocks: 15
; NumSGPRsForWavesPerEU: 25
; NumVGPRsForWavesPerEU: 124
; Occupancy: 8
; WaveLimiterHint : 1
; COMPUTE_PGM_RSRC2:SCRATCH_EN: 1
; COMPUTE_PGM_RSRC2:USER_SGPR: 6
; COMPUTE_PGM_RSRC2:TRAP_HANDLER: 0
; COMPUTE_PGM_RSRC2:TGID_X_EN: 1
; COMPUTE_PGM_RSRC2:TGID_Y_EN: 0
; COMPUTE_PGM_RSRC2:TGID_Z_EN: 0
; COMPUTE_PGM_RSRC2:TIDIG_COMP_CNT: 0
	.section	.text._ZN9rocsolver6v33100L18getri_kernel_smallILi19E19rocblas_complex_numIfEPS3_EEvT1_iilPiilS6_bb,"axG",@progbits,_ZN9rocsolver6v33100L18getri_kernel_smallILi19E19rocblas_complex_numIfEPS3_EEvT1_iilPiilS6_bb,comdat
	.globl	_ZN9rocsolver6v33100L18getri_kernel_smallILi19E19rocblas_complex_numIfEPS3_EEvT1_iilPiilS6_bb ; -- Begin function _ZN9rocsolver6v33100L18getri_kernel_smallILi19E19rocblas_complex_numIfEPS3_EEvT1_iilPiilS6_bb
	.p2align	8
	.type	_ZN9rocsolver6v33100L18getri_kernel_smallILi19E19rocblas_complex_numIfEPS3_EEvT1_iilPiilS6_bb,@function
_ZN9rocsolver6v33100L18getri_kernel_smallILi19E19rocblas_complex_numIfEPS3_EEvT1_iilPiilS6_bb: ; @_ZN9rocsolver6v33100L18getri_kernel_smallILi19E19rocblas_complex_numIfEPS3_EEvT1_iilPiilS6_bb
; %bb.0:
	s_add_u32 s0, s0, s7
	s_addc_u32 s1, s1, 0
	s_mov_b32 s7, exec_lo
	v_cmpx_gt_u32_e32 19, v0
	s_cbranch_execz .LBB18_90
; %bb.1:
	s_clause 0x2
	s_load_dword s7, s[4:5], 0x38
	s_load_dwordx4 s[16:19], s[4:5], 0x10
	s_load_dwordx4 s[8:11], s[4:5], 0x28
                                        ; implicit-def: $sgpr20_sgpr21
	s_waitcnt lgkmcnt(0)
	s_bitcmp1_b32 s7, 8
	s_cselect_b32 s22, -1, 0
	s_bfe_u32 s12, s7, 0x10008
	s_ashr_i32 s7, s6, 31
	s_cmp_eq_u32 s12, 0
	s_cbranch_scc1 .LBB18_3
; %bb.2:
	s_load_dword s12, s[4:5], 0x20
	s_mul_i32 s13, s8, s7
	s_mul_hi_u32 s14, s8, s6
	s_mul_i32 s9, s9, s6
	s_add_i32 s13, s14, s13
	s_mul_i32 s8, s8, s6
	s_add_i32 s9, s13, s9
	s_lshl_b64 s[8:9], s[8:9], 2
	s_waitcnt lgkmcnt(0)
	s_ashr_i32 s13, s12, 31
	s_add_u32 s14, s18, s8
	s_addc_u32 s15, s19, s9
	s_lshl_b64 s[8:9], s[12:13], 2
	s_add_u32 s20, s14, s8
	s_addc_u32 s21, s15, s9
.LBB18_3:
	s_clause 0x1
	s_load_dwordx4 s[12:15], s[4:5], 0x0
	s_load_dword s8, s[4:5], 0x38
	s_mul_i32 s4, s16, s7
	s_mul_hi_u32 s5, s16, s6
	s_mul_i32 s9, s17, s6
	s_add_i32 s5, s5, s4
	s_mul_i32 s4, s16, s6
	s_add_i32 s5, s5, s9
	v_lshlrev_b32_e32 v41, 3, v0
	s_lshl_b64 s[4:5], s[4:5], 3
	s_waitcnt lgkmcnt(0)
	v_add3_u32 v3, s15, s15, v0
	s_ashr_i32 s17, s14, 31
	s_mov_b32 s16, s14
	s_add_u32 s9, s12, s4
	s_addc_u32 s13, s13, s5
	v_add_nc_u32_e32 v5, s15, v3
	s_lshl_b64 s[4:5], s[16:17], 3
	v_ashrrev_i32_e32 v4, 31, v3
	s_add_u32 s4, s9, s4
	s_addc_u32 s5, s13, s5
	v_add_nc_u32_e32 v9, s15, v5
	v_ashrrev_i32_e32 v6, 31, v5
	v_add_co_u32 v1, s9, s4, v41
	s_mov_b32 s12, s15
	v_add_nc_u32_e32 v11, s15, v9
	s_ashr_i32 s13, s15, 31
	v_lshlrev_b64 v[7:8], 3, v[3:4]
	v_add_co_ci_u32_e64 v2, null, s5, 0, s9
	v_add_nc_u32_e32 v15, s15, v11
	s_lshl_b64 s[12:13], s[12:13], 3
	v_lshlrev_b64 v[13:14], 3, v[5:6]
	v_add_co_u32 v3, vcc_lo, v1, s12
	v_ashrrev_i32_e32 v16, 31, v15
	v_add_co_ci_u32_e64 v4, null, s13, v2, vcc_lo
	v_add_co_u32 v5, vcc_lo, s4, v7
	v_add_co_ci_u32_e64 v6, null, s5, v8, vcc_lo
	v_add_co_u32 v7, vcc_lo, s4, v13
	v_add_co_ci_u32_e64 v8, null, s5, v14, vcc_lo
	v_lshlrev_b64 v[13:14], 3, v[15:16]
	v_add_nc_u32_e32 v15, s15, v15
	v_ashrrev_i32_e32 v10, 31, v9
	v_ashrrev_i32_e32 v12, 31, v11
	global_load_dwordx2 v[39:40], v41, s[4:5]
	s_bitcmp0_b32 s8, 0
	v_add_nc_u32_e32 v17, s15, v15
	v_lshlrev_b64 v[9:10], 3, v[9:10]
	v_ashrrev_i32_e32 v16, 31, v15
	v_lshlrev_b64 v[11:12], 3, v[11:12]
	v_add_nc_u32_e32 v20, s15, v17
	v_ashrrev_i32_e32 v18, 31, v17
	v_add_co_u32 v9, vcc_lo, s4, v9
	v_lshlrev_b64 v[15:16], 3, v[15:16]
	v_add_nc_u32_e32 v22, s15, v20
	v_add_co_ci_u32_e64 v10, null, s5, v10, vcc_lo
	v_add_co_u32 v11, vcc_lo, s4, v11
	v_lshlrev_b64 v[18:19], 3, v[17:18]
	v_add_co_ci_u32_e64 v12, null, s5, v12, vcc_lo
	v_add_co_u32 v13, vcc_lo, s4, v13
	v_ashrrev_i32_e32 v21, 31, v20
	v_ashrrev_i32_e32 v23, 31, v22
	v_add_nc_u32_e32 v24, s15, v22
	v_add_co_ci_u32_e64 v14, null, s5, v14, vcc_lo
	v_add_co_u32 v15, vcc_lo, s4, v15
	v_add_co_ci_u32_e64 v16, null, s5, v16, vcc_lo
	v_add_co_u32 v17, vcc_lo, s4, v18
	v_add_co_ci_u32_e64 v18, null, s5, v19, vcc_lo
	v_lshlrev_b64 v[19:20], 3, v[20:21]
	v_lshlrev_b64 v[21:22], 3, v[22:23]
	v_add_nc_u32_e32 v23, s15, v24
	v_ashrrev_i32_e32 v25, 31, v24
	s_clause 0x7
	global_load_dwordx2 v[42:43], v[3:4], off
	global_load_dwordx2 v[44:45], v[5:6], off
	;; [unrolled: 1-line block ×8, first 2 shown]
	v_add_co_u32 v19, vcc_lo, s4, v19
	v_add_nc_u32_e32 v27, s15, v23
	v_lshlrev_b64 v[25:26], 3, v[24:25]
	v_ashrrev_i32_e32 v24, 31, v23
	v_add_co_ci_u32_e64 v20, null, s5, v20, vcc_lo
	v_add_nc_u32_e32 v31, s15, v27
	v_add_co_u32 v21, vcc_lo, s4, v21
	v_lshlrev_b64 v[29:30], 3, v[23:24]
	v_add_co_ci_u32_e64 v22, null, s5, v22, vcc_lo
	v_ashrrev_i32_e32 v32, 31, v31
	v_add_nc_u32_e32 v33, s15, v31
	v_add_co_u32 v23, vcc_lo, s4, v25
	v_add_co_ci_u32_e64 v24, null, s5, v26, vcc_lo
	v_add_co_u32 v25, vcc_lo, s4, v29
	v_add_co_ci_u32_e64 v26, null, s5, v30, vcc_lo
	v_lshlrev_b64 v[29:30], 3, v[31:32]
	v_add_nc_u32_e32 v31, s15, v33
	v_ashrrev_i32_e32 v28, 31, v27
	v_ashrrev_i32_e32 v34, 31, v33
	v_add_nc_u32_e32 v35, s15, v31
	v_lshlrev_b64 v[27:28], 3, v[27:28]
	v_ashrrev_i32_e32 v32, 31, v31
	v_lshlrev_b64 v[33:34], 3, v[33:34]
	v_add_nc_u32_e32 v58, s15, v35
	v_ashrrev_i32_e32 v36, 31, v35
	v_add_co_u32 v27, vcc_lo, s4, v27
	v_lshlrev_b64 v[37:38], 3, v[31:32]
	v_add_co_ci_u32_e64 v28, null, s5, v28, vcc_lo
	v_add_co_u32 v29, vcc_lo, s4, v29
	v_ashrrev_i32_e32 v59, 31, v58
	v_add_co_ci_u32_e64 v30, null, s5, v30, vcc_lo
	v_add_co_u32 v31, vcc_lo, s4, v33
	v_add_co_ci_u32_e64 v32, null, s5, v34, vcc_lo
	v_lshlrev_b64 v[35:36], 3, v[35:36]
	v_add_co_u32 v33, vcc_lo, s4, v37
	v_add_co_ci_u32_e64 v34, null, s5, v38, vcc_lo
	v_lshlrev_b64 v[37:38], 3, v[58:59]
	v_add_co_u32 v35, vcc_lo, s4, v35
	v_add_co_ci_u32_e64 v36, null, s5, v36, vcc_lo
	s_clause 0x2
	global_load_dwordx2 v[58:59], v[19:20], off
	global_load_dwordx2 v[60:61], v[21:22], off
	;; [unrolled: 1-line block ×3, first 2 shown]
	v_add_co_u32 v37, vcc_lo, s4, v37
	v_add_co_ci_u32_e64 v38, null, s5, v38, vcc_lo
	s_clause 0x6
	global_load_dwordx2 v[64:65], v[25:26], off
	global_load_dwordx2 v[66:67], v[27:28], off
	;; [unrolled: 1-line block ×7, first 2 shown]
	s_mov_b32 s5, -1
	s_waitcnt vmcnt(18)
	buffer_store_dword v40, off, s[0:3], 0 offset:4
	buffer_store_dword v39, off, s[0:3], 0
	s_waitcnt vmcnt(17)
	buffer_store_dword v43, off, s[0:3], 0 offset:12
	buffer_store_dword v42, off, s[0:3], 0 offset:8
	s_waitcnt vmcnt(16)
	buffer_store_dword v45, off, s[0:3], 0 offset:20
	buffer_store_dword v44, off, s[0:3], 0 offset:16
	;; [unrolled: 3-line block ×18, first 2 shown]
	s_cbranch_scc1 .LBB18_88
; %bb.4:
	v_cmp_eq_u32_e64 s4, 0, v0
	s_and_saveexec_b32 s5, s4
; %bb.5:
	v_mov_b32_e32 v39, 0
	ds_write_b32 v39, v39 offset:152
; %bb.6:
	s_or_b32 exec_lo, exec_lo, s5
	v_lshl_add_u32 v43, v0, 3, 0
	s_waitcnt lgkmcnt(0)
	s_waitcnt_vscnt null, 0x0
	s_barrier
	buffer_gl0_inv
	s_clause 0x1
	buffer_load_dword v39, v43, s[0:3], 0 offen
	buffer_load_dword v40, v43, s[0:3], 0 offen offset:4
	s_waitcnt vmcnt(1)
	v_cmp_eq_f32_e32 vcc_lo, 0, v39
	s_waitcnt vmcnt(0)
	v_cmp_eq_f32_e64 s5, 0, v40
	s_and_b32 s5, vcc_lo, s5
	s_and_saveexec_b32 s8, s5
	s_cbranch_execz .LBB18_10
; %bb.7:
	v_mov_b32_e32 v39, 0
	s_mov_b32 s9, 0
	ds_read_b32 v40, v39 offset:152
	s_waitcnt lgkmcnt(0)
	v_readfirstlane_b32 s5, v40
	v_add_nc_u32_e32 v40, 1, v0
	s_cmp_eq_u32 s5, 0
	v_cmp_gt_i32_e32 vcc_lo, s5, v40
	s_cselect_b32 s12, -1, 0
	s_or_b32 s12, s12, vcc_lo
	s_and_b32 exec_lo, exec_lo, s12
	s_cbranch_execz .LBB18_10
; %bb.8:
	v_mov_b32_e32 v42, s5
.LBB18_9:                               ; =>This Inner Loop Header: Depth=1
	ds_cmpst_rtn_b32 v42, v39, v42, v40 offset:152
	s_waitcnt lgkmcnt(0)
	v_cmp_ne_u32_e32 vcc_lo, 0, v42
	v_cmp_le_i32_e64 s5, v42, v40
	s_and_b32 s5, vcc_lo, s5
	s_and_b32 s5, exec_lo, s5
	s_or_b32 s9, s5, s9
	s_andn2_b32 exec_lo, exec_lo, s9
	s_cbranch_execnz .LBB18_9
.LBB18_10:
	s_or_b32 exec_lo, exec_lo, s8
	v_mov_b32_e32 v39, 0
	s_barrier
	buffer_gl0_inv
	ds_read_b32 v40, v39 offset:152
	s_and_saveexec_b32 s5, s4
	s_cbranch_execz .LBB18_12
; %bb.11:
	s_lshl_b64 s[8:9], s[6:7], 2
	s_add_u32 s8, s10, s8
	s_addc_u32 s9, s11, s9
	s_waitcnt lgkmcnt(0)
	global_store_dword v39, v40, s[8:9]
.LBB18_12:
	s_or_b32 exec_lo, exec_lo, s5
	s_waitcnt lgkmcnt(0)
	v_cmp_ne_u32_e32 vcc_lo, 0, v40
	s_mov_b32 s5, 0
	s_cbranch_vccnz .LBB18_88
; %bb.13:
	s_clause 0x1
	buffer_load_dword v40, v43, s[0:3], 0 offen
	buffer_load_dword v42, v43, s[0:3], 0 offen offset:4
                                        ; implicit-def: $vgpr45
                                        ; implicit-def: $vgpr44
                                        ; implicit-def: $vgpr39
	s_waitcnt vmcnt(0)
	v_cmp_ngt_f32_e64 s5, |v40|, |v42|
	s_and_saveexec_b32 s8, s5
	s_xor_b32 s5, exec_lo, s8
	s_cbranch_execz .LBB18_15
; %bb.14:
	v_div_scale_f32 v39, null, v42, v42, v40
	v_div_scale_f32 v46, vcc_lo, v40, v42, v40
	v_rcp_f32_e32 v44, v39
	v_fma_f32 v45, -v39, v44, 1.0
	v_fmac_f32_e32 v44, v45, v44
	v_mul_f32_e32 v45, v46, v44
	v_fma_f32 v47, -v39, v45, v46
	v_fmac_f32_e32 v45, v47, v44
	v_fma_f32 v39, -v39, v45, v46
	v_div_fmas_f32 v39, v39, v44, v45
	v_div_fixup_f32 v39, v39, v42, v40
	v_fmac_f32_e32 v42, v40, v39
	v_div_scale_f32 v40, null, v42, v42, 1.0
	v_rcp_f32_e32 v44, v40
	v_fma_f32 v45, -v40, v44, 1.0
	v_fmac_f32_e32 v44, v45, v44
	v_div_scale_f32 v45, vcc_lo, 1.0, v42, 1.0
	v_mul_f32_e32 v46, v45, v44
	v_fma_f32 v47, -v40, v46, v45
	v_fmac_f32_e32 v46, v47, v44
	v_fma_f32 v40, -v40, v46, v45
	v_div_fmas_f32 v40, v40, v44, v46
	v_div_fixup_f32 v40, v40, v42, 1.0
                                        ; implicit-def: $vgpr42
	v_mul_f32_e32 v45, v39, v40
	v_xor_b32_e32 v44, 0x80000000, v40
                                        ; implicit-def: $vgpr40
	v_xor_b32_e32 v39, 0x80000000, v45
.LBB18_15:
	s_andn2_saveexec_b32 s5, s5
	s_cbranch_execz .LBB18_17
; %bb.16:
	v_div_scale_f32 v39, null, v40, v40, v42
	v_div_scale_f32 v46, vcc_lo, v42, v40, v42
	v_rcp_f32_e32 v44, v39
	v_fma_f32 v45, -v39, v44, 1.0
	v_fmac_f32_e32 v44, v45, v44
	v_mul_f32_e32 v45, v46, v44
	v_fma_f32 v47, -v39, v45, v46
	v_fmac_f32_e32 v45, v47, v44
	v_fma_f32 v39, -v39, v45, v46
	v_div_fmas_f32 v39, v39, v44, v45
	v_div_fixup_f32 v44, v39, v40, v42
	v_fmac_f32_e32 v40, v42, v44
	v_div_scale_f32 v39, null, v40, v40, 1.0
	v_div_scale_f32 v46, vcc_lo, 1.0, v40, 1.0
	v_rcp_f32_e32 v42, v39
	v_fma_f32 v45, -v39, v42, 1.0
	v_fmac_f32_e32 v42, v45, v42
	v_mul_f32_e32 v45, v46, v42
	v_fma_f32 v47, -v39, v45, v46
	v_fmac_f32_e32 v45, v47, v42
	v_fma_f32 v39, -v39, v45, v46
	v_div_fmas_f32 v39, v39, v42, v45
	v_div_fixup_f32 v45, v39, v40, 1.0
	v_xor_b32_e32 v39, 0x80000000, v45
	v_mul_f32_e64 v44, v44, -v45
.LBB18_17:
	s_or_b32 exec_lo, exec_lo, s5
	buffer_store_dword v45, v43, s[0:3], 0 offen
	buffer_store_dword v44, v43, s[0:3], 0 offen offset:4
	s_clause 0x1
	buffer_load_dword v46, off, s[0:3], 0 offset:12
	buffer_load_dword v45, off, s[0:3], 0 offset:8
	v_xor_b32_e32 v40, 0x80000000, v44
	v_add_nc_u32_e32 v42, 0xa0, v41
	s_waitcnt vmcnt(0)
	ds_write2_b64 v41, v[39:40], v[45:46] offset1:20
	s_waitcnt lgkmcnt(0)
	s_waitcnt_vscnt null, 0x0
	s_barrier
	buffer_gl0_inv
	s_and_saveexec_b32 s5, s4
	s_cbranch_execz .LBB18_19
; %bb.18:
	s_clause 0x1
	buffer_load_dword v46, v43, s[0:3], 0 offen offset:4
	buffer_load_dword v47, v43, s[0:3], 0 offen
	ds_read_b64 v[39:40], v42
	v_mov_b32_e32 v44, 0
	ds_read_b64 v[44:45], v44 offset:8
	s_waitcnt vmcnt(1) lgkmcnt(1)
	v_mul_f32_e32 v48, v39, v46
	v_mul_f32_e32 v46, v40, v46
	s_waitcnt vmcnt(0)
	v_fmac_f32_e32 v48, v40, v47
	v_fma_f32 v39, v39, v47, -v46
	v_add_f32_e32 v40, 0, v48
	v_add_f32_e32 v39, 0, v39
	s_waitcnt lgkmcnt(0)
	v_mul_f32_e32 v46, v40, v45
	v_mul_f32_e32 v45, v39, v45
	v_fma_f32 v39, v39, v44, -v46
	v_fmac_f32_e32 v45, v40, v44
	buffer_store_dword v39, off, s[0:3], 0 offset:8
	buffer_store_dword v45, off, s[0:3], 0 offset:12
.LBB18_19:
	s_or_b32 exec_lo, exec_lo, s5
	s_waitcnt_vscnt null, 0x0
	s_barrier
	buffer_gl0_inv
	s_clause 0x1
	buffer_load_dword v39, off, s[0:3], 0 offset:16
	buffer_load_dword v40, off, s[0:3], 0 offset:20
	s_mov_b32 s5, exec_lo
	s_waitcnt vmcnt(0)
	ds_write_b64 v42, v[39:40]
	s_waitcnt lgkmcnt(0)
	s_barrier
	buffer_gl0_inv
	v_cmpx_gt_u32_e32 2, v0
	s_cbranch_execz .LBB18_23
; %bb.20:
	s_clause 0x1
	buffer_load_dword v44, v43, s[0:3], 0 offen offset:4
	buffer_load_dword v43, v43, s[0:3], 0 offen
	ds_read_b64 v[39:40], v42
	s_waitcnt vmcnt(1) lgkmcnt(0)
	v_mul_f32_e32 v45, v40, v44
	v_mul_f32_e32 v44, v39, v44
	s_waitcnt vmcnt(0)
	v_fma_f32 v39, v39, v43, -v45
	v_fmac_f32_e32 v44, v40, v43
	v_add_f32_e32 v40, 0, v39
	v_add_f32_e32 v39, 0, v44
	s_and_saveexec_b32 s8, s4
	s_cbranch_execz .LBB18_22
; %bb.21:
	s_clause 0x1
	buffer_load_dword v45, off, s[0:3], 0 offset:12
	buffer_load_dword v46, off, s[0:3], 0 offset:8
	v_mov_b32_e32 v43, 0
	ds_read_b64 v[43:44], v43 offset:168
	s_waitcnt vmcnt(1) lgkmcnt(0)
	v_mul_f32_e32 v47, v43, v45
	v_mul_f32_e32 v45, v44, v45
	s_waitcnt vmcnt(0)
	v_fmac_f32_e32 v47, v44, v46
	v_fma_f32 v43, v43, v46, -v45
	v_add_f32_e32 v39, v39, v47
	v_add_f32_e32 v40, v40, v43
.LBB18_22:
	s_or_b32 exec_lo, exec_lo, s8
	v_mov_b32_e32 v43, 0
	ds_read_b64 v[43:44], v43 offset:16
	s_waitcnt lgkmcnt(0)
	v_mul_f32_e32 v45, v39, v44
	v_mul_f32_e32 v44, v40, v44
	v_fma_f32 v40, v40, v43, -v45
	v_fmac_f32_e32 v44, v39, v43
	buffer_store_dword v40, off, s[0:3], 0 offset:16
	buffer_store_dword v44, off, s[0:3], 0 offset:20
.LBB18_23:
	s_or_b32 exec_lo, exec_lo, s5
	s_waitcnt_vscnt null, 0x0
	s_barrier
	buffer_gl0_inv
	s_clause 0x1
	buffer_load_dword v43, off, s[0:3], 0 offset:24
	buffer_load_dword v44, off, s[0:3], 0 offset:28
	v_add_nc_u32_e32 v39, -1, v0
	s_mov_b32 s4, exec_lo
	s_waitcnt vmcnt(0)
	ds_write_b64 v42, v[43:44]
	s_waitcnt lgkmcnt(0)
	s_barrier
	buffer_gl0_inv
	v_cmpx_gt_u32_e32 3, v0
	s_cbranch_execz .LBB18_27
; %bb.24:
	v_add_nc_u32_e32 v43, -1, v0
	v_add_nc_u32_e32 v44, 0xa0, v41
	v_mov_b32_e32 v45, v41
	v_mov_b32_e32 v40, 0
	;; [unrolled: 1-line block ×3, first 2 shown]
	s_mov_b32 s5, 0
	.p2align	6
.LBB18_25:                              ; =>This Inner Loop Header: Depth=1
	s_clause 0x1
	buffer_load_dword v49, v45, s[0:3], 0 offen offset:4
	buffer_load_dword v50, v45, s[0:3], 0 offen
	ds_read_b64 v[47:48], v44
	v_add_nc_u32_e32 v43, 1, v43
	v_add_nc_u32_e32 v44, 8, v44
	;; [unrolled: 1-line block ×3, first 2 shown]
	v_cmp_lt_u32_e32 vcc_lo, 1, v43
	s_or_b32 s5, vcc_lo, s5
	s_waitcnt vmcnt(1) lgkmcnt(0)
	v_mul_f32_e32 v51, v48, v49
	v_mul_f32_e32 v49, v47, v49
	s_waitcnt vmcnt(0)
	v_fma_f32 v47, v47, v50, -v51
	v_fmac_f32_e32 v49, v48, v50
	v_add_f32_e32 v46, v46, v47
	v_add_f32_e32 v40, v40, v49
	s_andn2_b32 exec_lo, exec_lo, s5
	s_cbranch_execnz .LBB18_25
; %bb.26:
	s_or_b32 exec_lo, exec_lo, s5
	v_mov_b32_e32 v43, 0
	ds_read_b64 v[43:44], v43 offset:24
	s_waitcnt lgkmcnt(0)
	v_mul_f32_e32 v45, v40, v44
	v_mul_f32_e32 v44, v46, v44
	v_fma_f32 v45, v46, v43, -v45
	v_fmac_f32_e32 v44, v40, v43
	buffer_store_dword v45, off, s[0:3], 0 offset:24
	buffer_store_dword v44, off, s[0:3], 0 offset:28
.LBB18_27:
	s_or_b32 exec_lo, exec_lo, s4
	s_waitcnt_vscnt null, 0x0
	s_barrier
	buffer_gl0_inv
	s_clause 0x1
	buffer_load_dword v43, off, s[0:3], 0 offset:32
	buffer_load_dword v44, off, s[0:3], 0 offset:36
	s_mov_b32 s4, exec_lo
	s_waitcnt vmcnt(0)
	ds_write_b64 v42, v[43:44]
	s_waitcnt lgkmcnt(0)
	s_barrier
	buffer_gl0_inv
	v_cmpx_gt_u32_e32 4, v0
	s_cbranch_execz .LBB18_31
; %bb.28:
	v_add_nc_u32_e32 v43, -1, v0
	v_add_nc_u32_e32 v44, 0xa0, v41
	v_mov_b32_e32 v45, v41
	v_mov_b32_e32 v40, 0
	;; [unrolled: 1-line block ×3, first 2 shown]
	s_mov_b32 s5, 0
	.p2align	6
.LBB18_29:                              ; =>This Inner Loop Header: Depth=1
	s_clause 0x1
	buffer_load_dword v49, v45, s[0:3], 0 offen offset:4
	buffer_load_dword v50, v45, s[0:3], 0 offen
	ds_read_b64 v[47:48], v44
	v_add_nc_u32_e32 v43, 1, v43
	v_add_nc_u32_e32 v44, 8, v44
	;; [unrolled: 1-line block ×3, first 2 shown]
	v_cmp_lt_u32_e32 vcc_lo, 2, v43
	s_or_b32 s5, vcc_lo, s5
	s_waitcnt vmcnt(1) lgkmcnt(0)
	v_mul_f32_e32 v51, v48, v49
	v_mul_f32_e32 v49, v47, v49
	s_waitcnt vmcnt(0)
	v_fma_f32 v47, v47, v50, -v51
	v_fmac_f32_e32 v49, v48, v50
	v_add_f32_e32 v46, v46, v47
	v_add_f32_e32 v40, v40, v49
	s_andn2_b32 exec_lo, exec_lo, s5
	s_cbranch_execnz .LBB18_29
; %bb.30:
	s_or_b32 exec_lo, exec_lo, s5
	v_mov_b32_e32 v43, 0
	ds_read_b64 v[43:44], v43 offset:32
	s_waitcnt lgkmcnt(0)
	v_mul_f32_e32 v45, v40, v44
	v_mul_f32_e32 v44, v46, v44
	v_fma_f32 v45, v46, v43, -v45
	v_fmac_f32_e32 v44, v40, v43
	buffer_store_dword v45, off, s[0:3], 0 offset:32
	buffer_store_dword v44, off, s[0:3], 0 offset:36
.LBB18_31:
	s_or_b32 exec_lo, exec_lo, s4
	s_waitcnt_vscnt null, 0x0
	s_barrier
	buffer_gl0_inv
	s_clause 0x1
	buffer_load_dword v43, off, s[0:3], 0 offset:40
	buffer_load_dword v44, off, s[0:3], 0 offset:44
	s_mov_b32 s4, exec_lo
	s_waitcnt vmcnt(0)
	ds_write_b64 v42, v[43:44]
	s_waitcnt lgkmcnt(0)
	s_barrier
	buffer_gl0_inv
	v_cmpx_gt_u32_e32 5, v0
	s_cbranch_execz .LBB18_35
; %bb.32:
	v_add_nc_u32_e32 v43, -1, v0
	v_add_nc_u32_e32 v44, 0xa0, v41
	v_mov_b32_e32 v45, v41
	v_mov_b32_e32 v40, 0
	;; [unrolled: 1-line block ×3, first 2 shown]
	s_mov_b32 s5, 0
	.p2align	6
.LBB18_33:                              ; =>This Inner Loop Header: Depth=1
	s_clause 0x1
	buffer_load_dword v49, v45, s[0:3], 0 offen offset:4
	buffer_load_dword v50, v45, s[0:3], 0 offen
	ds_read_b64 v[47:48], v44
	v_add_nc_u32_e32 v43, 1, v43
	v_add_nc_u32_e32 v44, 8, v44
	;; [unrolled: 1-line block ×3, first 2 shown]
	v_cmp_lt_u32_e32 vcc_lo, 3, v43
	s_or_b32 s5, vcc_lo, s5
	s_waitcnt vmcnt(1) lgkmcnt(0)
	v_mul_f32_e32 v51, v48, v49
	v_mul_f32_e32 v49, v47, v49
	s_waitcnt vmcnt(0)
	v_fma_f32 v47, v47, v50, -v51
	v_fmac_f32_e32 v49, v48, v50
	v_add_f32_e32 v46, v46, v47
	v_add_f32_e32 v40, v40, v49
	s_andn2_b32 exec_lo, exec_lo, s5
	s_cbranch_execnz .LBB18_33
; %bb.34:
	s_or_b32 exec_lo, exec_lo, s5
	v_mov_b32_e32 v43, 0
	ds_read_b64 v[43:44], v43 offset:40
	s_waitcnt lgkmcnt(0)
	v_mul_f32_e32 v45, v40, v44
	v_mul_f32_e32 v44, v46, v44
	v_fma_f32 v45, v46, v43, -v45
	v_fmac_f32_e32 v44, v40, v43
	buffer_store_dword v45, off, s[0:3], 0 offset:40
	buffer_store_dword v44, off, s[0:3], 0 offset:44
.LBB18_35:
	s_or_b32 exec_lo, exec_lo, s4
	s_waitcnt_vscnt null, 0x0
	s_barrier
	buffer_gl0_inv
	s_clause 0x1
	buffer_load_dword v43, off, s[0:3], 0 offset:48
	buffer_load_dword v44, off, s[0:3], 0 offset:52
	s_mov_b32 s4, exec_lo
	s_waitcnt vmcnt(0)
	ds_write_b64 v42, v[43:44]
	s_waitcnt lgkmcnt(0)
	s_barrier
	buffer_gl0_inv
	v_cmpx_gt_u32_e32 6, v0
	s_cbranch_execz .LBB18_39
; %bb.36:
	v_add_nc_u32_e32 v43, -1, v0
	v_add_nc_u32_e32 v44, 0xa0, v41
	v_mov_b32_e32 v45, v41
	v_mov_b32_e32 v40, 0
	;; [unrolled: 1-line block ×3, first 2 shown]
	s_mov_b32 s5, 0
	.p2align	6
.LBB18_37:                              ; =>This Inner Loop Header: Depth=1
	s_clause 0x1
	buffer_load_dword v49, v45, s[0:3], 0 offen offset:4
	buffer_load_dword v50, v45, s[0:3], 0 offen
	ds_read_b64 v[47:48], v44
	v_add_nc_u32_e32 v43, 1, v43
	v_add_nc_u32_e32 v44, 8, v44
	;; [unrolled: 1-line block ×3, first 2 shown]
	v_cmp_lt_u32_e32 vcc_lo, 4, v43
	s_or_b32 s5, vcc_lo, s5
	s_waitcnt vmcnt(1) lgkmcnt(0)
	v_mul_f32_e32 v51, v48, v49
	v_mul_f32_e32 v49, v47, v49
	s_waitcnt vmcnt(0)
	v_fma_f32 v47, v47, v50, -v51
	v_fmac_f32_e32 v49, v48, v50
	v_add_f32_e32 v46, v46, v47
	v_add_f32_e32 v40, v40, v49
	s_andn2_b32 exec_lo, exec_lo, s5
	s_cbranch_execnz .LBB18_37
; %bb.38:
	s_or_b32 exec_lo, exec_lo, s5
	v_mov_b32_e32 v43, 0
	ds_read_b64 v[43:44], v43 offset:48
	s_waitcnt lgkmcnt(0)
	v_mul_f32_e32 v45, v40, v44
	v_mul_f32_e32 v44, v46, v44
	v_fma_f32 v45, v46, v43, -v45
	v_fmac_f32_e32 v44, v40, v43
	buffer_store_dword v45, off, s[0:3], 0 offset:48
	buffer_store_dword v44, off, s[0:3], 0 offset:52
.LBB18_39:
	s_or_b32 exec_lo, exec_lo, s4
	s_waitcnt_vscnt null, 0x0
	s_barrier
	buffer_gl0_inv
	s_clause 0x1
	buffer_load_dword v43, off, s[0:3], 0 offset:56
	buffer_load_dword v44, off, s[0:3], 0 offset:60
	s_mov_b32 s4, exec_lo
	s_waitcnt vmcnt(0)
	ds_write_b64 v42, v[43:44]
	s_waitcnt lgkmcnt(0)
	s_barrier
	buffer_gl0_inv
	v_cmpx_gt_u32_e32 7, v0
	s_cbranch_execz .LBB18_43
; %bb.40:
	v_add_nc_u32_e32 v43, -1, v0
	v_add_nc_u32_e32 v44, 0xa0, v41
	v_mov_b32_e32 v45, v41
	v_mov_b32_e32 v40, 0
	;; [unrolled: 1-line block ×3, first 2 shown]
	s_mov_b32 s5, 0
	.p2align	6
.LBB18_41:                              ; =>This Inner Loop Header: Depth=1
	s_clause 0x1
	buffer_load_dword v49, v45, s[0:3], 0 offen offset:4
	buffer_load_dword v50, v45, s[0:3], 0 offen
	ds_read_b64 v[47:48], v44
	v_add_nc_u32_e32 v43, 1, v43
	v_add_nc_u32_e32 v44, 8, v44
	v_add_nc_u32_e32 v45, 8, v45
	v_cmp_lt_u32_e32 vcc_lo, 5, v43
	s_or_b32 s5, vcc_lo, s5
	s_waitcnt vmcnt(1) lgkmcnt(0)
	v_mul_f32_e32 v51, v48, v49
	v_mul_f32_e32 v49, v47, v49
	s_waitcnt vmcnt(0)
	v_fma_f32 v47, v47, v50, -v51
	v_fmac_f32_e32 v49, v48, v50
	v_add_f32_e32 v46, v46, v47
	v_add_f32_e32 v40, v40, v49
	s_andn2_b32 exec_lo, exec_lo, s5
	s_cbranch_execnz .LBB18_41
; %bb.42:
	s_or_b32 exec_lo, exec_lo, s5
	v_mov_b32_e32 v43, 0
	ds_read_b64 v[43:44], v43 offset:56
	s_waitcnt lgkmcnt(0)
	v_mul_f32_e32 v45, v40, v44
	v_mul_f32_e32 v44, v46, v44
	v_fma_f32 v45, v46, v43, -v45
	v_fmac_f32_e32 v44, v40, v43
	buffer_store_dword v45, off, s[0:3], 0 offset:56
	buffer_store_dword v44, off, s[0:3], 0 offset:60
.LBB18_43:
	s_or_b32 exec_lo, exec_lo, s4
	s_waitcnt_vscnt null, 0x0
	s_barrier
	buffer_gl0_inv
	s_clause 0x1
	buffer_load_dword v43, off, s[0:3], 0 offset:64
	buffer_load_dword v44, off, s[0:3], 0 offset:68
	s_mov_b32 s4, exec_lo
	s_waitcnt vmcnt(0)
	ds_write_b64 v42, v[43:44]
	s_waitcnt lgkmcnt(0)
	s_barrier
	buffer_gl0_inv
	v_cmpx_gt_u32_e32 8, v0
	s_cbranch_execz .LBB18_47
; %bb.44:
	v_add_nc_u32_e32 v43, -1, v0
	v_add_nc_u32_e32 v44, 0xa0, v41
	v_mov_b32_e32 v45, v41
	v_mov_b32_e32 v40, 0
	;; [unrolled: 1-line block ×3, first 2 shown]
	s_mov_b32 s5, 0
	.p2align	6
.LBB18_45:                              ; =>This Inner Loop Header: Depth=1
	s_clause 0x1
	buffer_load_dword v49, v45, s[0:3], 0 offen offset:4
	buffer_load_dword v50, v45, s[0:3], 0 offen
	ds_read_b64 v[47:48], v44
	v_add_nc_u32_e32 v43, 1, v43
	v_add_nc_u32_e32 v44, 8, v44
	;; [unrolled: 1-line block ×3, first 2 shown]
	v_cmp_lt_u32_e32 vcc_lo, 6, v43
	s_or_b32 s5, vcc_lo, s5
	s_waitcnt vmcnt(1) lgkmcnt(0)
	v_mul_f32_e32 v51, v48, v49
	v_mul_f32_e32 v49, v47, v49
	s_waitcnt vmcnt(0)
	v_fma_f32 v47, v47, v50, -v51
	v_fmac_f32_e32 v49, v48, v50
	v_add_f32_e32 v46, v46, v47
	v_add_f32_e32 v40, v40, v49
	s_andn2_b32 exec_lo, exec_lo, s5
	s_cbranch_execnz .LBB18_45
; %bb.46:
	s_or_b32 exec_lo, exec_lo, s5
	v_mov_b32_e32 v43, 0
	ds_read_b64 v[43:44], v43 offset:64
	s_waitcnt lgkmcnt(0)
	v_mul_f32_e32 v45, v40, v44
	v_mul_f32_e32 v44, v46, v44
	v_fma_f32 v45, v46, v43, -v45
	v_fmac_f32_e32 v44, v40, v43
	buffer_store_dword v45, off, s[0:3], 0 offset:64
	buffer_store_dword v44, off, s[0:3], 0 offset:68
.LBB18_47:
	s_or_b32 exec_lo, exec_lo, s4
	s_waitcnt_vscnt null, 0x0
	s_barrier
	buffer_gl0_inv
	s_clause 0x1
	buffer_load_dword v43, off, s[0:3], 0 offset:72
	buffer_load_dword v44, off, s[0:3], 0 offset:76
	s_mov_b32 s4, exec_lo
	s_waitcnt vmcnt(0)
	ds_write_b64 v42, v[43:44]
	s_waitcnt lgkmcnt(0)
	s_barrier
	buffer_gl0_inv
	v_cmpx_gt_u32_e32 9, v0
	s_cbranch_execz .LBB18_51
; %bb.48:
	v_add_nc_u32_e32 v43, -1, v0
	v_add_nc_u32_e32 v44, 0xa0, v41
	v_mov_b32_e32 v45, v41
	v_mov_b32_e32 v40, 0
	;; [unrolled: 1-line block ×3, first 2 shown]
	s_mov_b32 s5, 0
	.p2align	6
.LBB18_49:                              ; =>This Inner Loop Header: Depth=1
	s_clause 0x1
	buffer_load_dword v49, v45, s[0:3], 0 offen offset:4
	buffer_load_dword v50, v45, s[0:3], 0 offen
	ds_read_b64 v[47:48], v44
	v_add_nc_u32_e32 v43, 1, v43
	v_add_nc_u32_e32 v44, 8, v44
	;; [unrolled: 1-line block ×3, first 2 shown]
	v_cmp_lt_u32_e32 vcc_lo, 7, v43
	s_or_b32 s5, vcc_lo, s5
	s_waitcnt vmcnt(1) lgkmcnt(0)
	v_mul_f32_e32 v51, v48, v49
	v_mul_f32_e32 v49, v47, v49
	s_waitcnt vmcnt(0)
	v_fma_f32 v47, v47, v50, -v51
	v_fmac_f32_e32 v49, v48, v50
	v_add_f32_e32 v46, v46, v47
	v_add_f32_e32 v40, v40, v49
	s_andn2_b32 exec_lo, exec_lo, s5
	s_cbranch_execnz .LBB18_49
; %bb.50:
	s_or_b32 exec_lo, exec_lo, s5
	v_mov_b32_e32 v43, 0
	ds_read_b64 v[43:44], v43 offset:72
	s_waitcnt lgkmcnt(0)
	v_mul_f32_e32 v45, v40, v44
	v_mul_f32_e32 v44, v46, v44
	v_fma_f32 v45, v46, v43, -v45
	v_fmac_f32_e32 v44, v40, v43
	buffer_store_dword v45, off, s[0:3], 0 offset:72
	buffer_store_dword v44, off, s[0:3], 0 offset:76
.LBB18_51:
	s_or_b32 exec_lo, exec_lo, s4
	s_waitcnt_vscnt null, 0x0
	s_barrier
	buffer_gl0_inv
	s_clause 0x1
	buffer_load_dword v43, off, s[0:3], 0 offset:80
	buffer_load_dword v44, off, s[0:3], 0 offset:84
	s_mov_b32 s4, exec_lo
	s_waitcnt vmcnt(0)
	ds_write_b64 v42, v[43:44]
	s_waitcnt lgkmcnt(0)
	s_barrier
	buffer_gl0_inv
	v_cmpx_gt_u32_e32 10, v0
	s_cbranch_execz .LBB18_55
; %bb.52:
	v_add_nc_u32_e32 v43, -1, v0
	v_add_nc_u32_e32 v44, 0xa0, v41
	v_mov_b32_e32 v45, v41
	v_mov_b32_e32 v40, 0
	;; [unrolled: 1-line block ×3, first 2 shown]
	s_mov_b32 s5, 0
	.p2align	6
.LBB18_53:                              ; =>This Inner Loop Header: Depth=1
	s_clause 0x1
	buffer_load_dword v49, v45, s[0:3], 0 offen offset:4
	buffer_load_dword v50, v45, s[0:3], 0 offen
	ds_read_b64 v[47:48], v44
	v_add_nc_u32_e32 v43, 1, v43
	v_add_nc_u32_e32 v44, 8, v44
	;; [unrolled: 1-line block ×3, first 2 shown]
	v_cmp_lt_u32_e32 vcc_lo, 8, v43
	s_or_b32 s5, vcc_lo, s5
	s_waitcnt vmcnt(1) lgkmcnt(0)
	v_mul_f32_e32 v51, v48, v49
	v_mul_f32_e32 v49, v47, v49
	s_waitcnt vmcnt(0)
	v_fma_f32 v47, v47, v50, -v51
	v_fmac_f32_e32 v49, v48, v50
	v_add_f32_e32 v46, v46, v47
	v_add_f32_e32 v40, v40, v49
	s_andn2_b32 exec_lo, exec_lo, s5
	s_cbranch_execnz .LBB18_53
; %bb.54:
	s_or_b32 exec_lo, exec_lo, s5
	v_mov_b32_e32 v43, 0
	ds_read_b64 v[43:44], v43 offset:80
	s_waitcnt lgkmcnt(0)
	v_mul_f32_e32 v45, v40, v44
	v_mul_f32_e32 v44, v46, v44
	v_fma_f32 v45, v46, v43, -v45
	v_fmac_f32_e32 v44, v40, v43
	buffer_store_dword v45, off, s[0:3], 0 offset:80
	buffer_store_dword v44, off, s[0:3], 0 offset:84
.LBB18_55:
	s_or_b32 exec_lo, exec_lo, s4
	s_waitcnt_vscnt null, 0x0
	s_barrier
	buffer_gl0_inv
	s_clause 0x1
	buffer_load_dword v43, off, s[0:3], 0 offset:88
	buffer_load_dword v44, off, s[0:3], 0 offset:92
	s_mov_b32 s4, exec_lo
	s_waitcnt vmcnt(0)
	ds_write_b64 v42, v[43:44]
	s_waitcnt lgkmcnt(0)
	s_barrier
	buffer_gl0_inv
	v_cmpx_gt_u32_e32 11, v0
	s_cbranch_execz .LBB18_59
; %bb.56:
	v_add_nc_u32_e32 v43, -1, v0
	v_add_nc_u32_e32 v44, 0xa0, v41
	v_mov_b32_e32 v45, v41
	v_mov_b32_e32 v40, 0
	;; [unrolled: 1-line block ×3, first 2 shown]
	s_mov_b32 s5, 0
	.p2align	6
.LBB18_57:                              ; =>This Inner Loop Header: Depth=1
	s_clause 0x1
	buffer_load_dword v49, v45, s[0:3], 0 offen offset:4
	buffer_load_dword v50, v45, s[0:3], 0 offen
	ds_read_b64 v[47:48], v44
	v_add_nc_u32_e32 v43, 1, v43
	v_add_nc_u32_e32 v44, 8, v44
	;; [unrolled: 1-line block ×3, first 2 shown]
	v_cmp_lt_u32_e32 vcc_lo, 9, v43
	s_or_b32 s5, vcc_lo, s5
	s_waitcnt vmcnt(1) lgkmcnt(0)
	v_mul_f32_e32 v51, v48, v49
	v_mul_f32_e32 v49, v47, v49
	s_waitcnt vmcnt(0)
	v_fma_f32 v47, v47, v50, -v51
	v_fmac_f32_e32 v49, v48, v50
	v_add_f32_e32 v46, v46, v47
	v_add_f32_e32 v40, v40, v49
	s_andn2_b32 exec_lo, exec_lo, s5
	s_cbranch_execnz .LBB18_57
; %bb.58:
	s_or_b32 exec_lo, exec_lo, s5
	v_mov_b32_e32 v43, 0
	ds_read_b64 v[43:44], v43 offset:88
	s_waitcnt lgkmcnt(0)
	v_mul_f32_e32 v45, v40, v44
	v_mul_f32_e32 v44, v46, v44
	v_fma_f32 v45, v46, v43, -v45
	v_fmac_f32_e32 v44, v40, v43
	buffer_store_dword v45, off, s[0:3], 0 offset:88
	buffer_store_dword v44, off, s[0:3], 0 offset:92
.LBB18_59:
	s_or_b32 exec_lo, exec_lo, s4
	s_waitcnt_vscnt null, 0x0
	s_barrier
	buffer_gl0_inv
	s_clause 0x1
	buffer_load_dword v43, off, s[0:3], 0 offset:96
	buffer_load_dword v44, off, s[0:3], 0 offset:100
	s_mov_b32 s4, exec_lo
	s_waitcnt vmcnt(0)
	ds_write_b64 v42, v[43:44]
	s_waitcnt lgkmcnt(0)
	s_barrier
	buffer_gl0_inv
	v_cmpx_gt_u32_e32 12, v0
	s_cbranch_execz .LBB18_63
; %bb.60:
	v_add_nc_u32_e32 v43, -1, v0
	v_add_nc_u32_e32 v44, 0xa0, v41
	v_mov_b32_e32 v45, v41
	v_mov_b32_e32 v40, 0
	;; [unrolled: 1-line block ×3, first 2 shown]
	s_mov_b32 s5, 0
	.p2align	6
.LBB18_61:                              ; =>This Inner Loop Header: Depth=1
	s_clause 0x1
	buffer_load_dword v49, v45, s[0:3], 0 offen offset:4
	buffer_load_dword v50, v45, s[0:3], 0 offen
	ds_read_b64 v[47:48], v44
	v_add_nc_u32_e32 v43, 1, v43
	v_add_nc_u32_e32 v44, 8, v44
	;; [unrolled: 1-line block ×3, first 2 shown]
	v_cmp_lt_u32_e32 vcc_lo, 10, v43
	s_or_b32 s5, vcc_lo, s5
	s_waitcnt vmcnt(1) lgkmcnt(0)
	v_mul_f32_e32 v51, v48, v49
	v_mul_f32_e32 v49, v47, v49
	s_waitcnt vmcnt(0)
	v_fma_f32 v47, v47, v50, -v51
	v_fmac_f32_e32 v49, v48, v50
	v_add_f32_e32 v46, v46, v47
	v_add_f32_e32 v40, v40, v49
	s_andn2_b32 exec_lo, exec_lo, s5
	s_cbranch_execnz .LBB18_61
; %bb.62:
	s_or_b32 exec_lo, exec_lo, s5
	v_mov_b32_e32 v43, 0
	ds_read_b64 v[43:44], v43 offset:96
	s_waitcnt lgkmcnt(0)
	v_mul_f32_e32 v45, v40, v44
	v_mul_f32_e32 v44, v46, v44
	v_fma_f32 v45, v46, v43, -v45
	v_fmac_f32_e32 v44, v40, v43
	buffer_store_dword v45, off, s[0:3], 0 offset:96
	buffer_store_dword v44, off, s[0:3], 0 offset:100
.LBB18_63:
	s_or_b32 exec_lo, exec_lo, s4
	s_waitcnt_vscnt null, 0x0
	s_barrier
	buffer_gl0_inv
	s_clause 0x1
	buffer_load_dword v43, off, s[0:3], 0 offset:104
	buffer_load_dword v44, off, s[0:3], 0 offset:108
	s_mov_b32 s4, exec_lo
	s_waitcnt vmcnt(0)
	ds_write_b64 v42, v[43:44]
	s_waitcnt lgkmcnt(0)
	s_barrier
	buffer_gl0_inv
	v_cmpx_gt_u32_e32 13, v0
	s_cbranch_execz .LBB18_67
; %bb.64:
	v_add_nc_u32_e32 v43, -1, v0
	v_add_nc_u32_e32 v44, 0xa0, v41
	v_mov_b32_e32 v45, v41
	v_mov_b32_e32 v40, 0
	;; [unrolled: 1-line block ×3, first 2 shown]
	s_mov_b32 s5, 0
	.p2align	6
.LBB18_65:                              ; =>This Inner Loop Header: Depth=1
	s_clause 0x1
	buffer_load_dword v49, v45, s[0:3], 0 offen offset:4
	buffer_load_dword v50, v45, s[0:3], 0 offen
	ds_read_b64 v[47:48], v44
	v_add_nc_u32_e32 v43, 1, v43
	v_add_nc_u32_e32 v44, 8, v44
	;; [unrolled: 1-line block ×3, first 2 shown]
	v_cmp_lt_u32_e32 vcc_lo, 11, v43
	s_or_b32 s5, vcc_lo, s5
	s_waitcnt vmcnt(1) lgkmcnt(0)
	v_mul_f32_e32 v51, v48, v49
	v_mul_f32_e32 v49, v47, v49
	s_waitcnt vmcnt(0)
	v_fma_f32 v47, v47, v50, -v51
	v_fmac_f32_e32 v49, v48, v50
	v_add_f32_e32 v46, v46, v47
	v_add_f32_e32 v40, v40, v49
	s_andn2_b32 exec_lo, exec_lo, s5
	s_cbranch_execnz .LBB18_65
; %bb.66:
	s_or_b32 exec_lo, exec_lo, s5
	v_mov_b32_e32 v43, 0
	ds_read_b64 v[43:44], v43 offset:104
	s_waitcnt lgkmcnt(0)
	v_mul_f32_e32 v45, v40, v44
	v_mul_f32_e32 v44, v46, v44
	v_fma_f32 v45, v46, v43, -v45
	v_fmac_f32_e32 v44, v40, v43
	buffer_store_dword v45, off, s[0:3], 0 offset:104
	buffer_store_dword v44, off, s[0:3], 0 offset:108
.LBB18_67:
	s_or_b32 exec_lo, exec_lo, s4
	s_waitcnt_vscnt null, 0x0
	s_barrier
	buffer_gl0_inv
	s_clause 0x1
	buffer_load_dword v43, off, s[0:3], 0 offset:112
	buffer_load_dword v44, off, s[0:3], 0 offset:116
	s_mov_b32 s4, exec_lo
	s_waitcnt vmcnt(0)
	ds_write_b64 v42, v[43:44]
	s_waitcnt lgkmcnt(0)
	s_barrier
	buffer_gl0_inv
	v_cmpx_gt_u32_e32 14, v0
	s_cbranch_execz .LBB18_71
; %bb.68:
	v_add_nc_u32_e32 v43, -1, v0
	v_add_nc_u32_e32 v44, 0xa0, v41
	v_mov_b32_e32 v45, v41
	v_mov_b32_e32 v40, 0
	;; [unrolled: 1-line block ×3, first 2 shown]
	s_mov_b32 s5, 0
	.p2align	6
.LBB18_69:                              ; =>This Inner Loop Header: Depth=1
	s_clause 0x1
	buffer_load_dword v49, v45, s[0:3], 0 offen offset:4
	buffer_load_dword v50, v45, s[0:3], 0 offen
	ds_read_b64 v[47:48], v44
	v_add_nc_u32_e32 v43, 1, v43
	v_add_nc_u32_e32 v44, 8, v44
	;; [unrolled: 1-line block ×3, first 2 shown]
	v_cmp_lt_u32_e32 vcc_lo, 12, v43
	s_or_b32 s5, vcc_lo, s5
	s_waitcnt vmcnt(1) lgkmcnt(0)
	v_mul_f32_e32 v51, v48, v49
	v_mul_f32_e32 v49, v47, v49
	s_waitcnt vmcnt(0)
	v_fma_f32 v47, v47, v50, -v51
	v_fmac_f32_e32 v49, v48, v50
	v_add_f32_e32 v46, v46, v47
	v_add_f32_e32 v40, v40, v49
	s_andn2_b32 exec_lo, exec_lo, s5
	s_cbranch_execnz .LBB18_69
; %bb.70:
	s_or_b32 exec_lo, exec_lo, s5
	v_mov_b32_e32 v43, 0
	ds_read_b64 v[43:44], v43 offset:112
	s_waitcnt lgkmcnt(0)
	v_mul_f32_e32 v45, v40, v44
	v_mul_f32_e32 v44, v46, v44
	v_fma_f32 v45, v46, v43, -v45
	v_fmac_f32_e32 v44, v40, v43
	buffer_store_dword v45, off, s[0:3], 0 offset:112
	buffer_store_dword v44, off, s[0:3], 0 offset:116
.LBB18_71:
	s_or_b32 exec_lo, exec_lo, s4
	s_waitcnt_vscnt null, 0x0
	s_barrier
	buffer_gl0_inv
	s_clause 0x1
	buffer_load_dword v43, off, s[0:3], 0 offset:120
	buffer_load_dword v44, off, s[0:3], 0 offset:124
	s_mov_b32 s4, exec_lo
	s_waitcnt vmcnt(0)
	ds_write_b64 v42, v[43:44]
	s_waitcnt lgkmcnt(0)
	s_barrier
	buffer_gl0_inv
	v_cmpx_gt_u32_e32 15, v0
	s_cbranch_execz .LBB18_75
; %bb.72:
	v_add_nc_u32_e32 v43, -1, v0
	v_add_nc_u32_e32 v44, 0xa0, v41
	v_mov_b32_e32 v45, v41
	v_mov_b32_e32 v40, 0
	;; [unrolled: 1-line block ×3, first 2 shown]
	s_mov_b32 s5, 0
	.p2align	6
.LBB18_73:                              ; =>This Inner Loop Header: Depth=1
	s_clause 0x1
	buffer_load_dword v49, v45, s[0:3], 0 offen offset:4
	buffer_load_dword v50, v45, s[0:3], 0 offen
	ds_read_b64 v[47:48], v44
	v_add_nc_u32_e32 v43, 1, v43
	v_add_nc_u32_e32 v44, 8, v44
	;; [unrolled: 1-line block ×3, first 2 shown]
	v_cmp_lt_u32_e32 vcc_lo, 13, v43
	s_or_b32 s5, vcc_lo, s5
	s_waitcnt vmcnt(1) lgkmcnt(0)
	v_mul_f32_e32 v51, v48, v49
	v_mul_f32_e32 v49, v47, v49
	s_waitcnt vmcnt(0)
	v_fma_f32 v47, v47, v50, -v51
	v_fmac_f32_e32 v49, v48, v50
	v_add_f32_e32 v46, v46, v47
	v_add_f32_e32 v40, v40, v49
	s_andn2_b32 exec_lo, exec_lo, s5
	s_cbranch_execnz .LBB18_73
; %bb.74:
	s_or_b32 exec_lo, exec_lo, s5
	v_mov_b32_e32 v43, 0
	ds_read_b64 v[43:44], v43 offset:120
	s_waitcnt lgkmcnt(0)
	v_mul_f32_e32 v45, v40, v44
	v_mul_f32_e32 v44, v46, v44
	v_fma_f32 v45, v46, v43, -v45
	v_fmac_f32_e32 v44, v40, v43
	buffer_store_dword v45, off, s[0:3], 0 offset:120
	buffer_store_dword v44, off, s[0:3], 0 offset:124
.LBB18_75:
	s_or_b32 exec_lo, exec_lo, s4
	s_waitcnt_vscnt null, 0x0
	s_barrier
	buffer_gl0_inv
	s_clause 0x1
	buffer_load_dword v43, off, s[0:3], 0 offset:128
	buffer_load_dword v44, off, s[0:3], 0 offset:132
	s_mov_b32 s4, exec_lo
	s_waitcnt vmcnt(0)
	ds_write_b64 v42, v[43:44]
	s_waitcnt lgkmcnt(0)
	s_barrier
	buffer_gl0_inv
	v_cmpx_gt_u32_e32 16, v0
	s_cbranch_execz .LBB18_79
; %bb.76:
	v_add_nc_u32_e32 v43, -1, v0
	v_add_nc_u32_e32 v44, 0xa0, v41
	v_mov_b32_e32 v45, v41
	v_mov_b32_e32 v40, 0
	;; [unrolled: 1-line block ×3, first 2 shown]
	s_mov_b32 s5, 0
	.p2align	6
.LBB18_77:                              ; =>This Inner Loop Header: Depth=1
	s_clause 0x1
	buffer_load_dword v49, v45, s[0:3], 0 offen offset:4
	buffer_load_dword v50, v45, s[0:3], 0 offen
	ds_read_b64 v[47:48], v44
	v_add_nc_u32_e32 v43, 1, v43
	v_add_nc_u32_e32 v44, 8, v44
	;; [unrolled: 1-line block ×3, first 2 shown]
	v_cmp_lt_u32_e32 vcc_lo, 14, v43
	s_or_b32 s5, vcc_lo, s5
	s_waitcnt vmcnt(1) lgkmcnt(0)
	v_mul_f32_e32 v51, v48, v49
	v_mul_f32_e32 v49, v47, v49
	s_waitcnt vmcnt(0)
	v_fma_f32 v47, v47, v50, -v51
	v_fmac_f32_e32 v49, v48, v50
	v_add_f32_e32 v46, v46, v47
	v_add_f32_e32 v40, v40, v49
	s_andn2_b32 exec_lo, exec_lo, s5
	s_cbranch_execnz .LBB18_77
; %bb.78:
	s_or_b32 exec_lo, exec_lo, s5
	v_mov_b32_e32 v43, 0
	ds_read_b64 v[43:44], v43 offset:128
	s_waitcnt lgkmcnt(0)
	v_mul_f32_e32 v45, v40, v44
	v_mul_f32_e32 v44, v46, v44
	v_fma_f32 v45, v46, v43, -v45
	v_fmac_f32_e32 v44, v40, v43
	buffer_store_dword v45, off, s[0:3], 0 offset:128
	buffer_store_dword v44, off, s[0:3], 0 offset:132
.LBB18_79:
	s_or_b32 exec_lo, exec_lo, s4
	s_waitcnt_vscnt null, 0x0
	s_barrier
	buffer_gl0_inv
	s_clause 0x1
	buffer_load_dword v43, off, s[0:3], 0 offset:136
	buffer_load_dword v44, off, s[0:3], 0 offset:140
	s_mov_b32 s4, exec_lo
	s_waitcnt vmcnt(0)
	ds_write_b64 v42, v[43:44]
	s_waitcnt lgkmcnt(0)
	s_barrier
	buffer_gl0_inv
	v_cmpx_gt_u32_e32 17, v0
	s_cbranch_execz .LBB18_83
; %bb.80:
	v_add_nc_u32_e32 v43, -1, v0
	v_add_nc_u32_e32 v44, 0xa0, v41
	v_mov_b32_e32 v45, v41
	v_mov_b32_e32 v40, 0
	;; [unrolled: 1-line block ×3, first 2 shown]
	s_mov_b32 s5, 0
	.p2align	6
.LBB18_81:                              ; =>This Inner Loop Header: Depth=1
	s_clause 0x1
	buffer_load_dword v49, v45, s[0:3], 0 offen offset:4
	buffer_load_dword v50, v45, s[0:3], 0 offen
	ds_read_b64 v[47:48], v44
	v_add_nc_u32_e32 v43, 1, v43
	v_add_nc_u32_e32 v44, 8, v44
	;; [unrolled: 1-line block ×3, first 2 shown]
	v_cmp_lt_u32_e32 vcc_lo, 15, v43
	s_or_b32 s5, vcc_lo, s5
	s_waitcnt vmcnt(1) lgkmcnt(0)
	v_mul_f32_e32 v51, v48, v49
	v_mul_f32_e32 v49, v47, v49
	s_waitcnt vmcnt(0)
	v_fma_f32 v47, v47, v50, -v51
	v_fmac_f32_e32 v49, v48, v50
	v_add_f32_e32 v46, v46, v47
	v_add_f32_e32 v40, v40, v49
	s_andn2_b32 exec_lo, exec_lo, s5
	s_cbranch_execnz .LBB18_81
; %bb.82:
	s_or_b32 exec_lo, exec_lo, s5
	v_mov_b32_e32 v43, 0
	ds_read_b64 v[43:44], v43 offset:136
	s_waitcnt lgkmcnt(0)
	v_mul_f32_e32 v45, v40, v44
	v_mul_f32_e32 v44, v46, v44
	v_fma_f32 v45, v46, v43, -v45
	v_fmac_f32_e32 v44, v40, v43
	buffer_store_dword v45, off, s[0:3], 0 offset:136
	buffer_store_dword v44, off, s[0:3], 0 offset:140
.LBB18_83:
	s_or_b32 exec_lo, exec_lo, s4
	s_waitcnt_vscnt null, 0x0
	s_barrier
	buffer_gl0_inv
	s_clause 0x1
	buffer_load_dword v43, off, s[0:3], 0 offset:144
	buffer_load_dword v44, off, s[0:3], 0 offset:148
	s_mov_b32 s4, exec_lo
	s_waitcnt vmcnt(0)
	ds_write_b64 v42, v[43:44]
	s_waitcnt lgkmcnt(0)
	s_barrier
	buffer_gl0_inv
	v_cmpx_ne_u32_e32 18, v0
	s_cbranch_execz .LBB18_87
; %bb.84:
	v_mov_b32_e32 v40, 0
	v_mov_b32_e32 v43, 0
	s_mov_b32 s5, 0
	.p2align	6
.LBB18_85:                              ; =>This Inner Loop Header: Depth=1
	s_clause 0x1
	buffer_load_dword v46, v41, s[0:3], 0 offen offset:4
	buffer_load_dword v47, v41, s[0:3], 0 offen
	ds_read_b64 v[44:45], v42
	v_add_nc_u32_e32 v39, 1, v39
	v_add_nc_u32_e32 v42, 8, v42
	;; [unrolled: 1-line block ×3, first 2 shown]
	v_cmp_lt_u32_e32 vcc_lo, 16, v39
	s_or_b32 s5, vcc_lo, s5
	s_waitcnt vmcnt(1) lgkmcnt(0)
	v_mul_f32_e32 v48, v45, v46
	v_mul_f32_e32 v46, v44, v46
	s_waitcnt vmcnt(0)
	v_fma_f32 v44, v44, v47, -v48
	v_fmac_f32_e32 v46, v45, v47
	v_add_f32_e32 v43, v43, v44
	v_add_f32_e32 v40, v40, v46
	s_andn2_b32 exec_lo, exec_lo, s5
	s_cbranch_execnz .LBB18_85
; %bb.86:
	s_or_b32 exec_lo, exec_lo, s5
	v_mov_b32_e32 v39, 0
	ds_read_b64 v[41:42], v39 offset:144
	s_waitcnt lgkmcnt(0)
	v_mul_f32_e32 v39, v40, v42
	v_mul_f32_e32 v42, v43, v42
	v_fma_f32 v39, v43, v41, -v39
	v_fmac_f32_e32 v42, v40, v41
	buffer_store_dword v39, off, s[0:3], 0 offset:144
	buffer_store_dword v42, off, s[0:3], 0 offset:148
.LBB18_87:
	s_or_b32 exec_lo, exec_lo, s4
	s_mov_b32 s5, -1
	s_waitcnt_vscnt null, 0x0
	s_barrier
	buffer_gl0_inv
.LBB18_88:
	s_and_b32 vcc_lo, exec_lo, s5
	s_cbranch_vccz .LBB18_90
; %bb.89:
	s_lshl_b64 s[4:5], s[6:7], 2
	v_mov_b32_e32 v39, 0
	s_add_u32 s4, s10, s4
	s_addc_u32 s5, s11, s5
	global_load_dword v39, v39, s[4:5]
	s_waitcnt vmcnt(0)
	v_cmp_ne_u32_e32 vcc_lo, 0, v39
	s_cbranch_vccz .LBB18_91
.LBB18_90:
	s_endpgm
.LBB18_91:
	v_lshl_add_u32 v39, v0, 3, 0xa0
	s_mov_b32 s4, exec_lo
	v_cmpx_eq_u32_e32 18, v0
	s_cbranch_execz .LBB18_93
; %bb.92:
	s_clause 0x1
	buffer_load_dword v40, off, s[0:3], 0 offset:136
	buffer_load_dword v41, off, s[0:3], 0 offset:140
	v_mov_b32_e32 v42, 0
	buffer_store_dword v42, off, s[0:3], 0 offset:136
	buffer_store_dword v42, off, s[0:3], 0 offset:140
	s_waitcnt vmcnt(0)
	ds_write_b64 v39, v[40:41]
.LBB18_93:
	s_or_b32 exec_lo, exec_lo, s4
	s_waitcnt lgkmcnt(0)
	s_waitcnt_vscnt null, 0x0
	s_barrier
	buffer_gl0_inv
	s_clause 0x3
	buffer_load_dword v43, off, s[0:3], 0 offset:148
	buffer_load_dword v44, off, s[0:3], 0 offset:144
	;; [unrolled: 1-line block ×4, first 2 shown]
	v_mov_b32_e32 v40, 0
	s_mov_b32 s4, exec_lo
	ds_read_b64 v[41:42], v40 offset:304
	s_waitcnt vmcnt(3) lgkmcnt(0)
	v_mul_f32_e32 v47, v42, v43
	v_mul_f32_e32 v43, v41, v43
	s_waitcnt vmcnt(2)
	v_fma_f32 v41, v41, v44, -v47
	v_fmac_f32_e32 v43, v42, v44
	v_add_f32_e32 v41, 0, v41
	v_add_f32_e32 v42, 0, v43
	s_waitcnt vmcnt(1)
	v_sub_f32_e32 v41, v45, v41
	s_waitcnt vmcnt(0)
	v_sub_f32_e32 v42, v46, v42
	buffer_store_dword v41, off, s[0:3], 0 offset:136
	buffer_store_dword v42, off, s[0:3], 0 offset:140
	v_cmpx_lt_u32_e32 16, v0
	s_cbranch_execz .LBB18_95
; %bb.94:
	s_clause 0x1
	buffer_load_dword v41, off, s[0:3], 0 offset:128
	buffer_load_dword v42, off, s[0:3], 0 offset:132
	buffer_store_dword v40, off, s[0:3], 0 offset:128
	buffer_store_dword v40, off, s[0:3], 0 offset:132
	s_waitcnt vmcnt(0)
	ds_write_b64 v39, v[41:42]
.LBB18_95:
	s_or_b32 exec_lo, exec_lo, s4
	s_waitcnt lgkmcnt(0)
	s_waitcnt_vscnt null, 0x0
	s_barrier
	buffer_gl0_inv
	s_clause 0x5
	buffer_load_dword v44, off, s[0:3], 0 offset:140
	buffer_load_dword v45, off, s[0:3], 0 offset:148
	;; [unrolled: 1-line block ×6, first 2 shown]
	ds_read2_b64 v[40:43], v40 offset0:37 offset1:38
	s_mov_b32 s4, exec_lo
	s_waitcnt vmcnt(5) lgkmcnt(0)
	v_mul_f32_e32 v50, v41, v44
	v_mul_f32_e32 v44, v40, v44
	s_waitcnt vmcnt(4)
	v_mul_f32_e32 v51, v42, v45
	v_mul_f32_e32 v45, v43, v45
	s_waitcnt vmcnt(3)
	v_fma_f32 v40, v40, v46, -v50
	v_fmac_f32_e32 v44, v41, v46
	s_waitcnt vmcnt(2)
	v_fmac_f32_e32 v51, v43, v47
	v_fma_f32 v41, v42, v47, -v45
	v_add_f32_e32 v40, 0, v40
	v_add_f32_e32 v42, 0, v44
	;; [unrolled: 1-line block ×4, first 2 shown]
	s_waitcnt vmcnt(1)
	v_sub_f32_e32 v40, v48, v40
	s_waitcnt vmcnt(0)
	v_sub_f32_e32 v41, v49, v41
	buffer_store_dword v40, off, s[0:3], 0 offset:128
	buffer_store_dword v41, off, s[0:3], 0 offset:132
	v_cmpx_lt_u32_e32 15, v0
	s_cbranch_execz .LBB18_97
; %bb.96:
	s_clause 0x1
	buffer_load_dword v40, off, s[0:3], 0 offset:120
	buffer_load_dword v41, off, s[0:3], 0 offset:124
	v_mov_b32_e32 v42, 0
	buffer_store_dword v42, off, s[0:3], 0 offset:120
	buffer_store_dword v42, off, s[0:3], 0 offset:124
	s_waitcnt vmcnt(0)
	ds_write_b64 v39, v[40:41]
.LBB18_97:
	s_or_b32 exec_lo, exec_lo, s4
	s_waitcnt lgkmcnt(0)
	s_waitcnt_vscnt null, 0x0
	s_barrier
	buffer_gl0_inv
	s_clause 0x7
	buffer_load_dword v47, off, s[0:3], 0 offset:132
	buffer_load_dword v48, off, s[0:3], 0 offset:140
	;; [unrolled: 1-line block ×8, first 2 shown]
	v_mov_b32_e32 v40, 0
	ds_read_b128 v[41:44], v40 offset:288
	ds_read_b64 v[45:46], v40 offset:304
	s_mov_b32 s4, exec_lo
	s_waitcnt vmcnt(7) lgkmcnt(1)
	v_mul_f32_e32 v55, v42, v47
	v_mul_f32_e32 v47, v41, v47
	s_waitcnt vmcnt(6)
	v_mul_f32_e32 v56, v43, v48
	v_mul_f32_e32 v48, v44, v48
	s_waitcnt vmcnt(5) lgkmcnt(0)
	v_mul_f32_e32 v57, v45, v49
	s_waitcnt vmcnt(4)
	v_fma_f32 v41, v41, v50, -v55
	v_fmac_f32_e32 v47, v42, v50
	v_mul_f32_e32 v42, v46, v49
	s_waitcnt vmcnt(3)
	v_fma_f32 v43, v43, v51, -v48
	v_fmac_f32_e32 v56, v44, v51
	v_add_f32_e32 v41, 0, v41
	v_add_f32_e32 v44, 0, v47
	s_waitcnt vmcnt(2)
	v_fma_f32 v42, v45, v52, -v42
	v_fmac_f32_e32 v57, v46, v52
	v_add_f32_e32 v41, v41, v43
	v_add_f32_e32 v43, v44, v56
	;; [unrolled: 1-line block ×4, first 2 shown]
	s_waitcnt vmcnt(1)
	v_sub_f32_e32 v41, v53, v41
	s_waitcnt vmcnt(0)
	v_sub_f32_e32 v42, v54, v42
	buffer_store_dword v41, off, s[0:3], 0 offset:120
	buffer_store_dword v42, off, s[0:3], 0 offset:124
	v_cmpx_lt_u32_e32 14, v0
	s_cbranch_execz .LBB18_99
; %bb.98:
	s_clause 0x1
	buffer_load_dword v41, off, s[0:3], 0 offset:112
	buffer_load_dword v42, off, s[0:3], 0 offset:116
	buffer_store_dword v40, off, s[0:3], 0 offset:112
	buffer_store_dword v40, off, s[0:3], 0 offset:116
	s_waitcnt vmcnt(0)
	ds_write_b64 v39, v[41:42]
.LBB18_99:
	s_or_b32 exec_lo, exec_lo, s4
	s_waitcnt lgkmcnt(0)
	s_waitcnt_vscnt null, 0x0
	s_barrier
	buffer_gl0_inv
	s_clause 0x9
	buffer_load_dword v49, off, s[0:3], 0 offset:124
	buffer_load_dword v50, off, s[0:3], 0 offset:132
	;; [unrolled: 1-line block ×10, first 2 shown]
	ds_read2_b64 v[41:44], v40 offset0:35 offset1:36
	ds_read2_b64 v[45:48], v40 offset0:37 offset1:38
	s_mov_b32 s4, exec_lo
	s_waitcnt vmcnt(9) lgkmcnt(1)
	v_mul_f32_e32 v40, v41, v49
	v_mul_f32_e32 v49, v42, v49
	s_waitcnt vmcnt(8)
	v_mul_f32_e32 v59, v43, v50
	v_mul_f32_e32 v50, v44, v50
	s_waitcnt vmcnt(7) lgkmcnt(0)
	v_mul_f32_e32 v60, v45, v51
	s_waitcnt vmcnt(5)
	v_fmac_f32_e32 v40, v42, v53
	v_fma_f32 v41, v41, v53, -v49
	v_mul_f32_e32 v42, v46, v51
	s_waitcnt vmcnt(4)
	v_fma_f32 v43, v43, v54, -v50
	v_fmac_f32_e32 v59, v44, v54
	v_add_f32_e32 v40, 0, v40
	v_add_f32_e32 v41, 0, v41
	v_mul_f32_e32 v44, v48, v52
	s_waitcnt vmcnt(3)
	v_fma_f32 v42, v45, v55, -v42
	v_mul_f32_e32 v61, v47, v52
	v_fmac_f32_e32 v60, v46, v55
	v_add_f32_e32 v41, v41, v43
	v_add_f32_e32 v40, v40, v59
	s_waitcnt vmcnt(2)
	v_fma_f32 v43, v47, v56, -v44
	v_fmac_f32_e32 v61, v48, v56
	v_add_f32_e32 v41, v41, v42
	v_add_f32_e32 v40, v40, v60
	;; [unrolled: 1-line block ×4, first 2 shown]
	s_waitcnt vmcnt(1)
	v_sub_f32_e32 v41, v57, v41
	s_waitcnt vmcnt(0)
	v_sub_f32_e32 v40, v58, v40
	buffer_store_dword v41, off, s[0:3], 0 offset:112
	buffer_store_dword v40, off, s[0:3], 0 offset:116
	v_cmpx_lt_u32_e32 13, v0
	s_cbranch_execz .LBB18_101
; %bb.100:
	s_clause 0x1
	buffer_load_dword v40, off, s[0:3], 0 offset:104
	buffer_load_dword v41, off, s[0:3], 0 offset:108
	v_mov_b32_e32 v42, 0
	buffer_store_dword v42, off, s[0:3], 0 offset:104
	buffer_store_dword v42, off, s[0:3], 0 offset:108
	s_waitcnt vmcnt(0)
	ds_write_b64 v39, v[40:41]
.LBB18_101:
	s_or_b32 exec_lo, exec_lo, s4
	s_waitcnt lgkmcnt(0)
	s_waitcnt_vscnt null, 0x0
	s_barrier
	buffer_gl0_inv
	s_clause 0xb
	buffer_load_dword v51, off, s[0:3], 0 offset:116
	buffer_load_dword v52, off, s[0:3], 0 offset:124
	;; [unrolled: 1-line block ×12, first 2 shown]
	v_mov_b32_e32 v40, 0
	ds_read_b128 v[41:44], v40 offset:272
	ds_read_b128 v[45:48], v40 offset:288
	ds_read_b64 v[49:50], v40 offset:304
	s_mov_b32 s4, exec_lo
	s_waitcnt vmcnt(11) lgkmcnt(2)
	v_mul_f32_e32 v63, v41, v51
	v_mul_f32_e32 v51, v42, v51
	s_waitcnt vmcnt(10)
	v_mul_f32_e32 v64, v43, v52
	v_mul_f32_e32 v52, v44, v52
	s_waitcnt vmcnt(9) lgkmcnt(1)
	v_mul_f32_e32 v65, v45, v53
	s_waitcnt vmcnt(6)
	v_fmac_f32_e32 v63, v42, v56
	v_fma_f32 v41, v41, v56, -v51
	v_mul_f32_e32 v42, v46, v53
	s_waitcnt vmcnt(5)
	v_fma_f32 v43, v43, v57, -v52
	v_fmac_f32_e32 v64, v44, v57
	v_add_f32_e32 v44, 0, v63
	v_add_f32_e32 v41, 0, v41
	v_mul_f32_e32 v51, v48, v54
	s_waitcnt vmcnt(4)
	v_fma_f32 v42, v45, v58, -v42
	v_mul_f32_e32 v66, v47, v54
	v_fmac_f32_e32 v65, v46, v58
	v_add_f32_e32 v41, v41, v43
	v_add_f32_e32 v43, v44, v64
	s_waitcnt lgkmcnt(0)
	v_mul_f32_e32 v44, v50, v55
	s_waitcnt vmcnt(3)
	v_fma_f32 v45, v47, v59, -v51
	v_mul_f32_e32 v67, v49, v55
	v_add_f32_e32 v41, v41, v42
	v_fmac_f32_e32 v66, v48, v59
	v_add_f32_e32 v42, v43, v65
	s_waitcnt vmcnt(2)
	v_fma_f32 v43, v49, v60, -v44
	v_fmac_f32_e32 v67, v50, v60
	v_add_f32_e32 v41, v41, v45
	v_add_f32_e32 v42, v42, v66
	;; [unrolled: 1-line block ×4, first 2 shown]
	s_waitcnt vmcnt(1)
	v_sub_f32_e32 v41, v61, v41
	s_waitcnt vmcnt(0)
	v_sub_f32_e32 v42, v62, v42
	buffer_store_dword v41, off, s[0:3], 0 offset:104
	buffer_store_dword v42, off, s[0:3], 0 offset:108
	v_cmpx_lt_u32_e32 12, v0
	s_cbranch_execz .LBB18_103
; %bb.102:
	s_clause 0x1
	buffer_load_dword v41, off, s[0:3], 0 offset:96
	buffer_load_dword v42, off, s[0:3], 0 offset:100
	buffer_store_dword v40, off, s[0:3], 0 offset:96
	buffer_store_dword v40, off, s[0:3], 0 offset:100
	s_waitcnt vmcnt(0)
	ds_write_b64 v39, v[41:42]
.LBB18_103:
	s_or_b32 exec_lo, exec_lo, s4
	s_waitcnt lgkmcnt(0)
	s_waitcnt_vscnt null, 0x0
	s_barrier
	buffer_gl0_inv
	s_clause 0xd
	buffer_load_dword v53, off, s[0:3], 0 offset:108
	buffer_load_dword v54, off, s[0:3], 0 offset:116
	;; [unrolled: 1-line block ×14, first 2 shown]
	ds_read2_b64 v[41:44], v40 offset0:33 offset1:34
	ds_read2_b64 v[45:48], v40 offset0:35 offset1:36
	;; [unrolled: 1-line block ×3, first 2 shown]
	s_mov_b32 s4, exec_lo
	s_waitcnt vmcnt(13) lgkmcnt(2)
	v_mul_f32_e32 v40, v41, v53
	v_mul_f32_e32 v53, v42, v53
	s_waitcnt vmcnt(12)
	v_mul_f32_e32 v67, v43, v54
	v_mul_f32_e32 v54, v44, v54
	s_waitcnt vmcnt(11) lgkmcnt(1)
	v_mul_f32_e32 v68, v45, v55
	s_waitcnt vmcnt(10)
	v_mul_f32_e32 v69, v47, v56
	s_waitcnt vmcnt(7)
	v_fma_f32 v41, v41, v59, -v53
	v_fmac_f32_e32 v40, v42, v59
	v_mul_f32_e32 v42, v46, v55
	s_waitcnt vmcnt(6)
	v_fma_f32 v43, v43, v60, -v54
	v_fmac_f32_e32 v67, v44, v60
	v_add_f32_e32 v41, 0, v41
	v_add_f32_e32 v40, 0, v40
	v_mul_f32_e32 v44, v48, v56
	s_waitcnt vmcnt(5)
	v_fma_f32 v42, v45, v61, -v42
	v_fmac_f32_e32 v68, v46, v61
	v_add_f32_e32 v41, v41, v43
	v_add_f32_e32 v40, v40, v67
	s_waitcnt lgkmcnt(0)
	v_mul_f32_e32 v43, v50, v57
	s_waitcnt vmcnt(4)
	v_fma_f32 v44, v47, v62, -v44
	v_mul_f32_e32 v70, v49, v57
	v_add_f32_e32 v41, v41, v42
	v_fmac_f32_e32 v69, v48, v62
	v_add_f32_e32 v40, v40, v68
	v_mul_f32_e32 v42, v52, v58
	s_waitcnt vmcnt(3)
	v_fma_f32 v43, v49, v63, -v43
	v_add_f32_e32 v41, v41, v44
	v_mul_f32_e32 v71, v51, v58
	v_fmac_f32_e32 v70, v50, v63
	v_add_f32_e32 v40, v40, v69
	s_waitcnt vmcnt(2)
	v_fma_f32 v42, v51, v64, -v42
	v_add_f32_e32 v41, v41, v43
	v_fmac_f32_e32 v71, v52, v64
	v_add_f32_e32 v40, v40, v70
	v_add_f32_e32 v41, v41, v42
	;; [unrolled: 1-line block ×3, first 2 shown]
	s_waitcnt vmcnt(1)
	v_sub_f32_e32 v41, v65, v41
	s_waitcnt vmcnt(0)
	v_sub_f32_e32 v40, v66, v40
	buffer_store_dword v41, off, s[0:3], 0 offset:96
	buffer_store_dword v40, off, s[0:3], 0 offset:100
	v_cmpx_lt_u32_e32 11, v0
	s_cbranch_execz .LBB18_105
; %bb.104:
	s_clause 0x1
	buffer_load_dword v40, off, s[0:3], 0 offset:88
	buffer_load_dword v41, off, s[0:3], 0 offset:92
	v_mov_b32_e32 v42, 0
	buffer_store_dword v42, off, s[0:3], 0 offset:88
	buffer_store_dword v42, off, s[0:3], 0 offset:92
	s_waitcnt vmcnt(0)
	ds_write_b64 v39, v[40:41]
.LBB18_105:
	s_or_b32 exec_lo, exec_lo, s4
	s_waitcnt lgkmcnt(0)
	s_waitcnt_vscnt null, 0x0
	s_barrier
	buffer_gl0_inv
	s_clause 0xf
	buffer_load_dword v55, off, s[0:3], 0 offset:100
	buffer_load_dword v56, off, s[0:3], 0 offset:108
	;; [unrolled: 1-line block ×16, first 2 shown]
	v_mov_b32_e32 v40, 0
	ds_read_b128 v[41:44], v40 offset:256
	ds_read_b128 v[45:48], v40 offset:272
	;; [unrolled: 1-line block ×3, first 2 shown]
	ds_read_b64 v[53:54], v40 offset:304
	s_mov_b32 s4, exec_lo
	s_waitcnt vmcnt(15) lgkmcnt(3)
	v_mul_f32_e32 v71, v41, v55
	v_mul_f32_e32 v55, v42, v55
	s_waitcnt vmcnt(14)
	v_mul_f32_e32 v72, v43, v56
	v_mul_f32_e32 v56, v44, v56
	s_waitcnt vmcnt(13) lgkmcnt(2)
	v_mul_f32_e32 v73, v45, v57
	s_waitcnt vmcnt(12)
	v_mul_f32_e32 v74, v47, v58
	s_waitcnt vmcnt(11) lgkmcnt(1)
	v_mul_f32_e32 v75, v49, v59
	s_waitcnt vmcnt(8)
	v_fma_f32 v41, v41, v62, -v55
	v_fmac_f32_e32 v71, v42, v62
	v_mul_f32_e32 v42, v46, v57
	s_waitcnt vmcnt(7)
	v_fma_f32 v43, v43, v63, -v56
	v_fmac_f32_e32 v72, v44, v63
	v_add_f32_e32 v41, 0, v41
	v_add_f32_e32 v44, 0, v71
	v_mul_f32_e32 v55, v48, v58
	s_waitcnt vmcnt(6)
	v_fma_f32 v42, v45, v64, -v42
	v_fmac_f32_e32 v73, v46, v64
	v_add_f32_e32 v41, v41, v43
	v_add_f32_e32 v43, v44, v72
	v_mul_f32_e32 v44, v50, v59
	s_waitcnt vmcnt(5)
	v_fma_f32 v45, v47, v65, -v55
	v_fmac_f32_e32 v74, v48, v65
	v_add_f32_e32 v41, v41, v42
	v_add_f32_e32 v42, v43, v73
	v_mul_f32_e32 v43, v52, v60
	s_waitcnt vmcnt(4)
	v_fma_f32 v44, v49, v66, -v44
	v_mul_f32_e32 v76, v51, v60
	v_add_f32_e32 v41, v41, v45
	v_fmac_f32_e32 v75, v50, v66
	v_add_f32_e32 v42, v42, v74
	s_waitcnt lgkmcnt(0)
	v_mul_f32_e32 v45, v54, v61
	s_waitcnt vmcnt(3)
	v_fma_f32 v43, v51, v67, -v43
	v_add_f32_e32 v41, v41, v44
	v_mul_f32_e32 v77, v53, v61
	v_fmac_f32_e32 v76, v52, v67
	v_add_f32_e32 v42, v42, v75
	s_waitcnt vmcnt(2)
	v_fma_f32 v44, v53, v68, -v45
	v_add_f32_e32 v41, v41, v43
	v_fmac_f32_e32 v77, v54, v68
	v_add_f32_e32 v42, v42, v76
	v_add_f32_e32 v41, v41, v44
	;; [unrolled: 1-line block ×3, first 2 shown]
	s_waitcnt vmcnt(1)
	v_sub_f32_e32 v41, v69, v41
	s_waitcnt vmcnt(0)
	v_sub_f32_e32 v42, v70, v42
	buffer_store_dword v41, off, s[0:3], 0 offset:88
	buffer_store_dword v42, off, s[0:3], 0 offset:92
	v_cmpx_lt_u32_e32 10, v0
	s_cbranch_execz .LBB18_107
; %bb.106:
	s_clause 0x1
	buffer_load_dword v41, off, s[0:3], 0 offset:80
	buffer_load_dword v42, off, s[0:3], 0 offset:84
	buffer_store_dword v40, off, s[0:3], 0 offset:80
	buffer_store_dword v40, off, s[0:3], 0 offset:84
	s_waitcnt vmcnt(0)
	ds_write_b64 v39, v[41:42]
.LBB18_107:
	s_or_b32 exec_lo, exec_lo, s4
	s_waitcnt lgkmcnt(0)
	s_waitcnt_vscnt null, 0x0
	s_barrier
	buffer_gl0_inv
	s_clause 0x11
	buffer_load_dword v57, off, s[0:3], 0 offset:92
	buffer_load_dword v58, off, s[0:3], 0 offset:100
	;; [unrolled: 1-line block ×18, first 2 shown]
	ds_read2_b64 v[41:44], v40 offset0:31 offset1:32
	ds_read2_b64 v[45:48], v40 offset0:33 offset1:34
	;; [unrolled: 1-line block ×4, first 2 shown]
	s_mov_b32 s4, exec_lo
	s_waitcnt vmcnt(17) lgkmcnt(3)
	v_mul_f32_e32 v40, v41, v57
	v_mul_f32_e32 v57, v42, v57
	s_waitcnt vmcnt(16)
	v_mul_f32_e32 v75, v43, v58
	v_mul_f32_e32 v58, v44, v58
	s_waitcnt vmcnt(15) lgkmcnt(2)
	v_mul_f32_e32 v76, v45, v59
	s_waitcnt vmcnt(14)
	v_mul_f32_e32 v77, v47, v60
	s_waitcnt vmcnt(13) lgkmcnt(1)
	v_mul_f32_e32 v78, v49, v61
	s_waitcnt vmcnt(12)
	v_mul_f32_e32 v79, v51, v62
	s_waitcnt vmcnt(9)
	v_fma_f32 v41, v41, v65, -v57
	v_fmac_f32_e32 v40, v42, v65
	v_mul_f32_e32 v42, v46, v59
	s_waitcnt vmcnt(8)
	v_fma_f32 v43, v43, v66, -v58
	v_fmac_f32_e32 v75, v44, v66
	v_add_f32_e32 v41, 0, v41
	v_add_f32_e32 v40, 0, v40
	v_mul_f32_e32 v44, v48, v60
	s_waitcnt vmcnt(7)
	v_fma_f32 v42, v45, v67, -v42
	v_fmac_f32_e32 v76, v46, v67
	v_add_f32_e32 v41, v41, v43
	v_add_f32_e32 v40, v40, v75
	;; [unrolled: 6-line block ×4, first 2 shown]
	s_waitcnt lgkmcnt(0)
	v_mul_f32_e32 v44, v54, v63
	s_waitcnt vmcnt(4)
	v_fma_f32 v42, v51, v70, -v42
	v_mul_f32_e32 v80, v53, v63
	v_add_f32_e32 v41, v41, v43
	v_fmac_f32_e32 v79, v52, v70
	v_add_f32_e32 v40, v40, v78
	v_mul_f32_e32 v43, v56, v64
	s_waitcnt vmcnt(3)
	v_fma_f32 v44, v53, v71, -v44
	v_add_f32_e32 v41, v41, v42
	v_mul_f32_e32 v81, v55, v64
	v_fmac_f32_e32 v80, v54, v71
	v_add_f32_e32 v40, v40, v79
	s_waitcnt vmcnt(2)
	v_fma_f32 v42, v55, v72, -v43
	v_add_f32_e32 v41, v41, v44
	v_fmac_f32_e32 v81, v56, v72
	v_add_f32_e32 v40, v40, v80
	v_add_f32_e32 v41, v41, v42
	;; [unrolled: 1-line block ×3, first 2 shown]
	s_waitcnt vmcnt(1)
	v_sub_f32_e32 v41, v73, v41
	s_waitcnt vmcnt(0)
	v_sub_f32_e32 v40, v74, v40
	buffer_store_dword v41, off, s[0:3], 0 offset:80
	buffer_store_dword v40, off, s[0:3], 0 offset:84
	v_cmpx_lt_u32_e32 9, v0
	s_cbranch_execz .LBB18_109
; %bb.108:
	s_clause 0x1
	buffer_load_dword v40, off, s[0:3], 0 offset:72
	buffer_load_dword v41, off, s[0:3], 0 offset:76
	v_mov_b32_e32 v42, 0
	buffer_store_dword v42, off, s[0:3], 0 offset:72
	buffer_store_dword v42, off, s[0:3], 0 offset:76
	s_waitcnt vmcnt(0)
	ds_write_b64 v39, v[40:41]
.LBB18_109:
	s_or_b32 exec_lo, exec_lo, s4
	s_waitcnt lgkmcnt(0)
	s_waitcnt_vscnt null, 0x0
	s_barrier
	buffer_gl0_inv
	s_clause 0x13
	buffer_load_dword v59, off, s[0:3], 0 offset:84
	buffer_load_dword v60, off, s[0:3], 0 offset:92
	buffer_load_dword v61, off, s[0:3], 0 offset:100
	buffer_load_dword v62, off, s[0:3], 0 offset:108
	buffer_load_dword v63, off, s[0:3], 0 offset:116
	buffer_load_dword v64, off, s[0:3], 0 offset:124
	buffer_load_dword v65, off, s[0:3], 0 offset:132
	buffer_load_dword v66, off, s[0:3], 0 offset:140
	buffer_load_dword v67, off, s[0:3], 0 offset:148
	buffer_load_dword v68, off, s[0:3], 0 offset:80
	buffer_load_dword v69, off, s[0:3], 0 offset:88
	buffer_load_dword v70, off, s[0:3], 0 offset:96
	buffer_load_dword v71, off, s[0:3], 0 offset:104
	buffer_load_dword v72, off, s[0:3], 0 offset:112
	buffer_load_dword v73, off, s[0:3], 0 offset:120
	buffer_load_dword v74, off, s[0:3], 0 offset:128
	buffer_load_dword v75, off, s[0:3], 0 offset:136
	buffer_load_dword v76, off, s[0:3], 0 offset:144
	buffer_load_dword v77, off, s[0:3], 0 offset:72
	buffer_load_dword v78, off, s[0:3], 0 offset:76
	v_mov_b32_e32 v40, 0
	ds_read_b128 v[41:44], v40 offset:240
	ds_read_b128 v[45:48], v40 offset:256
	;; [unrolled: 1-line block ×4, first 2 shown]
	ds_read_b64 v[57:58], v40 offset:304
	s_mov_b32 s4, exec_lo
	s_waitcnt vmcnt(19) lgkmcnt(4)
	v_mul_f32_e32 v79, v41, v59
	v_mul_f32_e32 v59, v42, v59
	s_waitcnt vmcnt(18)
	v_mul_f32_e32 v80, v43, v60
	v_mul_f32_e32 v60, v44, v60
	s_waitcnt vmcnt(17) lgkmcnt(3)
	v_mul_f32_e32 v81, v45, v61
	s_waitcnt vmcnt(16)
	v_mul_f32_e32 v82, v47, v62
	s_waitcnt vmcnt(15) lgkmcnt(2)
	v_mul_f32_e32 v83, v49, v63
	s_waitcnt vmcnt(14)
	;; [unrolled: 4-line block ×3, first 2 shown]
	v_fma_f32 v41, v41, v68, -v59
	v_fmac_f32_e32 v79, v42, v68
	v_mul_f32_e32 v42, v46, v61
	s_waitcnt vmcnt(9)
	v_fma_f32 v43, v43, v69, -v60
	v_fmac_f32_e32 v80, v44, v69
	v_add_f32_e32 v41, 0, v41
	v_add_f32_e32 v44, 0, v79
	v_mul_f32_e32 v59, v48, v62
	s_waitcnt vmcnt(8)
	v_fma_f32 v42, v45, v70, -v42
	v_fmac_f32_e32 v81, v46, v70
	v_add_f32_e32 v41, v41, v43
	v_add_f32_e32 v43, v44, v80
	v_mul_f32_e32 v44, v50, v63
	s_waitcnt vmcnt(7)
	v_fma_f32 v45, v47, v71, -v59
	v_fmac_f32_e32 v82, v48, v71
	v_add_f32_e32 v41, v41, v42
	v_add_f32_e32 v42, v43, v81
	v_mul_f32_e32 v43, v52, v64
	s_waitcnt vmcnt(6)
	v_fma_f32 v44, v49, v72, -v44
	v_fmac_f32_e32 v83, v50, v72
	v_add_f32_e32 v41, v41, v45
	v_add_f32_e32 v42, v42, v82
	v_mul_f32_e32 v45, v54, v65
	s_waitcnt vmcnt(5)
	v_fma_f32 v43, v51, v73, -v43
	v_fmac_f32_e32 v84, v52, v73
	v_add_f32_e32 v41, v41, v44
	v_add_f32_e32 v42, v42, v83
	v_mul_f32_e32 v44, v56, v66
	s_waitcnt vmcnt(4)
	v_fma_f32 v45, v53, v74, -v45
	v_mul_f32_e32 v86, v55, v66
	v_add_f32_e32 v41, v41, v43
	v_fmac_f32_e32 v85, v54, v74
	v_add_f32_e32 v42, v42, v84
	s_waitcnt lgkmcnt(0)
	v_mul_f32_e32 v43, v58, v67
	s_waitcnt vmcnt(3)
	v_fma_f32 v44, v55, v75, -v44
	v_add_f32_e32 v41, v41, v45
	v_mul_f32_e32 v87, v57, v67
	v_fmac_f32_e32 v86, v56, v75
	v_add_f32_e32 v42, v42, v85
	s_waitcnt vmcnt(2)
	v_fma_f32 v43, v57, v76, -v43
	v_add_f32_e32 v41, v41, v44
	v_fmac_f32_e32 v87, v58, v76
	v_add_f32_e32 v42, v42, v86
	v_add_f32_e32 v41, v41, v43
	v_add_f32_e32 v42, v42, v87
	s_waitcnt vmcnt(1)
	v_sub_f32_e32 v41, v77, v41
	s_waitcnt vmcnt(0)
	v_sub_f32_e32 v42, v78, v42
	buffer_store_dword v41, off, s[0:3], 0 offset:72
	buffer_store_dword v42, off, s[0:3], 0 offset:76
	v_cmpx_lt_u32_e32 8, v0
	s_cbranch_execz .LBB18_111
; %bb.110:
	s_clause 0x1
	buffer_load_dword v41, off, s[0:3], 0 offset:64
	buffer_load_dword v42, off, s[0:3], 0 offset:68
	buffer_store_dword v40, off, s[0:3], 0 offset:64
	buffer_store_dword v40, off, s[0:3], 0 offset:68
	s_waitcnt vmcnt(0)
	ds_write_b64 v39, v[41:42]
.LBB18_111:
	s_or_b32 exec_lo, exec_lo, s4
	s_waitcnt lgkmcnt(0)
	s_waitcnt_vscnt null, 0x0
	s_barrier
	buffer_gl0_inv
	s_clause 0x15
	buffer_load_dword v61, off, s[0:3], 0 offset:76
	buffer_load_dword v62, off, s[0:3], 0 offset:84
	;; [unrolled: 1-line block ×22, first 2 shown]
	ds_read2_b64 v[41:44], v40 offset0:29 offset1:30
	ds_read2_b64 v[45:48], v40 offset0:31 offset1:32
	;; [unrolled: 1-line block ×5, first 2 shown]
	s_mov_b32 s4, exec_lo
	s_waitcnt vmcnt(21) lgkmcnt(4)
	v_mul_f32_e32 v40, v41, v61
	v_mul_f32_e32 v61, v42, v61
	s_waitcnt vmcnt(20)
	v_mul_f32_e32 v83, v43, v62
	v_mul_f32_e32 v62, v44, v62
	s_waitcnt vmcnt(19) lgkmcnt(3)
	v_mul_f32_e32 v84, v45, v63
	s_waitcnt vmcnt(18)
	v_mul_f32_e32 v85, v47, v64
	s_waitcnt vmcnt(17) lgkmcnt(2)
	v_mul_f32_e32 v86, v49, v65
	s_waitcnt vmcnt(16)
	;; [unrolled: 4-line block ×3, first 2 shown]
	v_mul_f32_e32 v89, v55, v68
	s_waitcnt vmcnt(11)
	v_fma_f32 v41, v41, v71, -v61
	v_fmac_f32_e32 v40, v42, v71
	v_mul_f32_e32 v42, v46, v63
	s_waitcnt vmcnt(10)
	v_fma_f32 v43, v43, v72, -v62
	v_fmac_f32_e32 v83, v44, v72
	v_add_f32_e32 v41, 0, v41
	v_add_f32_e32 v40, 0, v40
	v_mul_f32_e32 v44, v48, v64
	s_waitcnt vmcnt(9)
	v_fma_f32 v42, v45, v73, -v42
	v_fmac_f32_e32 v84, v46, v73
	v_add_f32_e32 v41, v41, v43
	v_add_f32_e32 v40, v40, v83
	;; [unrolled: 6-line block ×6, first 2 shown]
	s_waitcnt lgkmcnt(0)
	v_mul_f32_e32 v42, v58, v69
	s_waitcnt vmcnt(4)
	v_fma_f32 v43, v55, v78, -v43
	v_mul_f32_e32 v90, v57, v69
	v_add_f32_e32 v41, v41, v44
	v_fmac_f32_e32 v89, v56, v78
	v_add_f32_e32 v40, v40, v88
	v_mul_f32_e32 v44, v60, v70
	s_waitcnt vmcnt(3)
	v_fma_f32 v42, v57, v79, -v42
	v_add_f32_e32 v41, v41, v43
	v_mul_f32_e32 v91, v59, v70
	v_fmac_f32_e32 v90, v58, v79
	v_add_f32_e32 v40, v40, v89
	s_waitcnt vmcnt(2)
	v_fma_f32 v43, v59, v80, -v44
	v_add_f32_e32 v41, v41, v42
	v_fmac_f32_e32 v91, v60, v80
	v_add_f32_e32 v40, v40, v90
	v_add_f32_e32 v41, v41, v43
	;; [unrolled: 1-line block ×3, first 2 shown]
	s_waitcnt vmcnt(1)
	v_sub_f32_e32 v41, v81, v41
	s_waitcnt vmcnt(0)
	v_sub_f32_e32 v40, v82, v40
	buffer_store_dword v41, off, s[0:3], 0 offset:64
	buffer_store_dword v40, off, s[0:3], 0 offset:68
	v_cmpx_lt_u32_e32 7, v0
	s_cbranch_execz .LBB18_113
; %bb.112:
	s_clause 0x1
	buffer_load_dword v40, off, s[0:3], 0 offset:56
	buffer_load_dword v41, off, s[0:3], 0 offset:60
	v_mov_b32_e32 v42, 0
	buffer_store_dword v42, off, s[0:3], 0 offset:56
	buffer_store_dword v42, off, s[0:3], 0 offset:60
	s_waitcnt vmcnt(0)
	ds_write_b64 v39, v[40:41]
.LBB18_113:
	s_or_b32 exec_lo, exec_lo, s4
	s_waitcnt lgkmcnt(0)
	s_waitcnt_vscnt null, 0x0
	s_barrier
	buffer_gl0_inv
	s_clause 0x17
	buffer_load_dword v63, off, s[0:3], 0 offset:68
	buffer_load_dword v64, off, s[0:3], 0 offset:76
	buffer_load_dword v65, off, s[0:3], 0 offset:84
	buffer_load_dword v66, off, s[0:3], 0 offset:92
	buffer_load_dword v67, off, s[0:3], 0 offset:100
	buffer_load_dword v68, off, s[0:3], 0 offset:108
	buffer_load_dword v69, off, s[0:3], 0 offset:116
	buffer_load_dword v70, off, s[0:3], 0 offset:124
	buffer_load_dword v71, off, s[0:3], 0 offset:132
	buffer_load_dword v72, off, s[0:3], 0 offset:140
	buffer_load_dword v73, off, s[0:3], 0 offset:148
	buffer_load_dword v74, off, s[0:3], 0 offset:64
	buffer_load_dword v75, off, s[0:3], 0 offset:72
	buffer_load_dword v76, off, s[0:3], 0 offset:80
	buffer_load_dword v77, off, s[0:3], 0 offset:88
	buffer_load_dword v78, off, s[0:3], 0 offset:96
	buffer_load_dword v79, off, s[0:3], 0 offset:104
	buffer_load_dword v80, off, s[0:3], 0 offset:112
	buffer_load_dword v81, off, s[0:3], 0 offset:120
	buffer_load_dword v82, off, s[0:3], 0 offset:128
	buffer_load_dword v83, off, s[0:3], 0 offset:136
	buffer_load_dword v84, off, s[0:3], 0 offset:144
	buffer_load_dword v85, off, s[0:3], 0 offset:56
	buffer_load_dword v86, off, s[0:3], 0 offset:60
	v_mov_b32_e32 v40, 0
	ds_read_b128 v[41:44], v40 offset:224
	ds_read_b128 v[45:48], v40 offset:240
	;; [unrolled: 1-line block ×5, first 2 shown]
	ds_read_b64 v[61:62], v40 offset:304
	s_mov_b32 s4, exec_lo
	s_waitcnt vmcnt(23) lgkmcnt(5)
	v_mul_f32_e32 v87, v41, v63
	v_mul_f32_e32 v63, v42, v63
	s_waitcnt vmcnt(22)
	v_mul_f32_e32 v88, v43, v64
	v_mul_f32_e32 v64, v44, v64
	s_waitcnt vmcnt(21) lgkmcnt(4)
	v_mul_f32_e32 v89, v45, v65
	s_waitcnt vmcnt(20)
	v_mul_f32_e32 v90, v47, v66
	s_waitcnt vmcnt(19) lgkmcnt(3)
	v_mul_f32_e32 v91, v49, v67
	s_waitcnt vmcnt(18)
	;; [unrolled: 4-line block ×4, first 2 shown]
	v_fma_f32 v41, v41, v74, -v63
	v_fmac_f32_e32 v87, v42, v74
	v_mul_f32_e32 v42, v46, v65
	s_waitcnt vmcnt(11)
	v_fma_f32 v43, v43, v75, -v64
	v_fmac_f32_e32 v88, v44, v75
	v_add_f32_e32 v41, 0, v41
	v_add_f32_e32 v44, 0, v87
	v_mul_f32_e32 v63, v48, v66
	s_waitcnt vmcnt(10)
	v_fma_f32 v42, v45, v76, -v42
	v_fmac_f32_e32 v89, v46, v76
	v_add_f32_e32 v41, v41, v43
	v_add_f32_e32 v43, v44, v88
	;; [unrolled: 6-line block ×7, first 2 shown]
	v_mul_f32_e32 v45, v60, v72
	s_waitcnt vmcnt(4)
	v_fma_f32 v43, v57, v82, -v43
	v_mul_f32_e32 v96, v59, v72
	v_add_f32_e32 v41, v41, v44
	v_fmac_f32_e32 v95, v58, v82
	v_add_f32_e32 v42, v42, v94
	s_waitcnt lgkmcnt(0)
	v_mul_f32_e32 v44, v62, v73
	s_waitcnt vmcnt(3)
	v_fma_f32 v45, v59, v83, -v45
	v_add_f32_e32 v41, v41, v43
	v_mul_f32_e32 v97, v61, v73
	v_fmac_f32_e32 v96, v60, v83
	v_add_f32_e32 v42, v42, v95
	s_waitcnt vmcnt(2)
	v_fma_f32 v43, v61, v84, -v44
	v_add_f32_e32 v41, v41, v45
	v_fmac_f32_e32 v97, v62, v84
	v_add_f32_e32 v42, v42, v96
	v_add_f32_e32 v41, v41, v43
	;; [unrolled: 1-line block ×3, first 2 shown]
	s_waitcnt vmcnt(1)
	v_sub_f32_e32 v41, v85, v41
	s_waitcnt vmcnt(0)
	v_sub_f32_e32 v42, v86, v42
	buffer_store_dword v41, off, s[0:3], 0 offset:56
	buffer_store_dword v42, off, s[0:3], 0 offset:60
	v_cmpx_lt_u32_e32 6, v0
	s_cbranch_execz .LBB18_115
; %bb.114:
	s_clause 0x1
	buffer_load_dword v41, off, s[0:3], 0 offset:48
	buffer_load_dword v42, off, s[0:3], 0 offset:52
	buffer_store_dword v40, off, s[0:3], 0 offset:48
	buffer_store_dword v40, off, s[0:3], 0 offset:52
	s_waitcnt vmcnt(0)
	ds_write_b64 v39, v[41:42]
.LBB18_115:
	s_or_b32 exec_lo, exec_lo, s4
	s_waitcnt lgkmcnt(0)
	s_waitcnt_vscnt null, 0x0
	s_barrier
	buffer_gl0_inv
	s_clause 0x19
	buffer_load_dword v65, off, s[0:3], 0 offset:60
	buffer_load_dword v66, off, s[0:3], 0 offset:68
	;; [unrolled: 1-line block ×26, first 2 shown]
	ds_read2_b64 v[41:44], v40 offset0:27 offset1:28
	ds_read2_b64 v[45:48], v40 offset0:29 offset1:30
	;; [unrolled: 1-line block ×6, first 2 shown]
	s_mov_b32 s4, exec_lo
	s_waitcnt vmcnt(25) lgkmcnt(5)
	v_mul_f32_e32 v40, v41, v65
	v_mul_f32_e32 v65, v42, v65
	s_waitcnt vmcnt(24)
	v_mul_f32_e32 v91, v43, v66
	v_mul_f32_e32 v66, v44, v66
	s_waitcnt vmcnt(23) lgkmcnt(4)
	v_mul_f32_e32 v92, v45, v67
	s_waitcnt vmcnt(22)
	v_mul_f32_e32 v93, v47, v68
	s_waitcnt vmcnt(21) lgkmcnt(3)
	v_mul_f32_e32 v94, v49, v69
	s_waitcnt vmcnt(20)
	;; [unrolled: 4-line block ×4, first 2 shown]
	v_mul_f32_e32 v99, v59, v74
	s_waitcnt vmcnt(13)
	v_fma_f32 v41, v41, v77, -v65
	v_fmac_f32_e32 v40, v42, v77
	v_mul_f32_e32 v42, v46, v67
	s_waitcnt vmcnt(12)
	v_fma_f32 v43, v43, v78, -v66
	v_fmac_f32_e32 v91, v44, v78
	v_add_f32_e32 v41, 0, v41
	v_add_f32_e32 v40, 0, v40
	v_mul_f32_e32 v44, v48, v68
	s_waitcnt vmcnt(11)
	v_fma_f32 v42, v45, v79, -v42
	v_fmac_f32_e32 v92, v46, v79
	v_add_f32_e32 v41, v41, v43
	v_add_f32_e32 v40, v40, v91
	;; [unrolled: 6-line block ×8, first 2 shown]
	s_waitcnt lgkmcnt(0)
	v_mul_f32_e32 v43, v62, v75
	s_waitcnt vmcnt(4)
	v_fma_f32 v44, v59, v86, -v44
	v_mul_f32_e32 v100, v61, v75
	v_add_f32_e32 v41, v41, v42
	v_fmac_f32_e32 v99, v60, v86
	v_add_f32_e32 v40, v40, v98
	v_mul_f32_e32 v42, v64, v76
	s_waitcnt vmcnt(3)
	v_fma_f32 v43, v61, v87, -v43
	v_add_f32_e32 v41, v41, v44
	v_mul_f32_e32 v101, v63, v76
	v_fmac_f32_e32 v100, v62, v87
	v_add_f32_e32 v40, v40, v99
	s_waitcnt vmcnt(2)
	v_fma_f32 v42, v63, v88, -v42
	v_add_f32_e32 v41, v41, v43
	v_fmac_f32_e32 v101, v64, v88
	v_add_f32_e32 v40, v40, v100
	v_add_f32_e32 v41, v41, v42
	;; [unrolled: 1-line block ×3, first 2 shown]
	s_waitcnt vmcnt(1)
	v_sub_f32_e32 v41, v89, v41
	s_waitcnt vmcnt(0)
	v_sub_f32_e32 v40, v90, v40
	buffer_store_dword v41, off, s[0:3], 0 offset:48
	buffer_store_dword v40, off, s[0:3], 0 offset:52
	v_cmpx_lt_u32_e32 5, v0
	s_cbranch_execz .LBB18_117
; %bb.116:
	s_clause 0x1
	buffer_load_dword v40, off, s[0:3], 0 offset:40
	buffer_load_dword v41, off, s[0:3], 0 offset:44
	v_mov_b32_e32 v42, 0
	buffer_store_dword v42, off, s[0:3], 0 offset:40
	buffer_store_dword v42, off, s[0:3], 0 offset:44
	s_waitcnt vmcnt(0)
	ds_write_b64 v39, v[40:41]
.LBB18_117:
	s_or_b32 exec_lo, exec_lo, s4
	s_waitcnt lgkmcnt(0)
	s_waitcnt_vscnt null, 0x0
	s_barrier
	buffer_gl0_inv
	s_clause 0x1b
	buffer_load_dword v67, off, s[0:3], 0 offset:52
	buffer_load_dword v68, off, s[0:3], 0 offset:60
	;; [unrolled: 1-line block ×28, first 2 shown]
	v_mov_b32_e32 v40, 0
	ds_read_b128 v[41:44], v40 offset:208
	ds_read_b128 v[45:48], v40 offset:224
	;; [unrolled: 1-line block ×6, first 2 shown]
	ds_read_b64 v[65:66], v40 offset:304
	s_mov_b32 s4, exec_lo
	s_waitcnt vmcnt(27) lgkmcnt(6)
	v_mul_f32_e32 v95, v41, v67
	v_mul_f32_e32 v67, v42, v67
	s_waitcnt vmcnt(26)
	v_mul_f32_e32 v96, v43, v68
	v_mul_f32_e32 v68, v44, v68
	s_waitcnt vmcnt(25) lgkmcnt(5)
	v_mul_f32_e32 v97, v45, v69
	s_waitcnt vmcnt(24)
	v_mul_f32_e32 v98, v47, v70
	s_waitcnt vmcnt(23) lgkmcnt(4)
	v_mul_f32_e32 v99, v49, v71
	s_waitcnt vmcnt(22)
	;; [unrolled: 4-line block ×5, first 2 shown]
	v_fma_f32 v41, v41, v80, -v67
	v_fmac_f32_e32 v95, v42, v80
	v_mul_f32_e32 v42, v46, v69
	s_waitcnt vmcnt(13)
	v_fma_f32 v43, v43, v81, -v68
	v_fmac_f32_e32 v96, v44, v81
	v_add_f32_e32 v41, 0, v41
	v_add_f32_e32 v44, 0, v95
	v_mul_f32_e32 v67, v48, v70
	s_waitcnt vmcnt(12)
	v_fma_f32 v42, v45, v82, -v42
	v_fmac_f32_e32 v97, v46, v82
	v_add_f32_e32 v41, v41, v43
	v_add_f32_e32 v43, v44, v96
	;; [unrolled: 6-line block ×9, first 2 shown]
	v_mul_f32_e32 v43, v64, v78
	s_waitcnt vmcnt(4)
	v_fma_f32 v44, v61, v90, -v44
	v_mul_f32_e32 v106, v63, v78
	v_add_f32_e32 v41, v41, v45
	v_fmac_f32_e32 v105, v62, v90
	v_add_f32_e32 v42, v42, v104
	s_waitcnt lgkmcnt(0)
	v_mul_f32_e32 v45, v66, v79
	s_waitcnt vmcnt(3)
	v_fma_f32 v43, v63, v91, -v43
	v_add_f32_e32 v41, v41, v44
	v_mul_f32_e32 v107, v65, v79
	v_fmac_f32_e32 v106, v64, v91
	v_add_f32_e32 v42, v42, v105
	s_waitcnt vmcnt(2)
	v_fma_f32 v44, v65, v92, -v45
	v_add_f32_e32 v41, v41, v43
	v_fmac_f32_e32 v107, v66, v92
	v_add_f32_e32 v42, v42, v106
	v_add_f32_e32 v41, v41, v44
	v_add_f32_e32 v42, v42, v107
	s_waitcnt vmcnt(1)
	v_sub_f32_e32 v41, v93, v41
	s_waitcnt vmcnt(0)
	v_sub_f32_e32 v42, v94, v42
	buffer_store_dword v41, off, s[0:3], 0 offset:40
	buffer_store_dword v42, off, s[0:3], 0 offset:44
	v_cmpx_lt_u32_e32 4, v0
	s_cbranch_execz .LBB18_119
; %bb.118:
	s_clause 0x1
	buffer_load_dword v41, off, s[0:3], 0 offset:32
	buffer_load_dword v42, off, s[0:3], 0 offset:36
	buffer_store_dword v40, off, s[0:3], 0 offset:32
	buffer_store_dword v40, off, s[0:3], 0 offset:36
	s_waitcnt vmcnt(0)
	ds_write_b64 v39, v[41:42]
.LBB18_119:
	s_or_b32 exec_lo, exec_lo, s4
	s_waitcnt lgkmcnt(0)
	s_waitcnt_vscnt null, 0x0
	s_barrier
	buffer_gl0_inv
	s_clause 0x1d
	buffer_load_dword v69, off, s[0:3], 0 offset:44
	buffer_load_dword v70, off, s[0:3], 0 offset:52
	;; [unrolled: 1-line block ×30, first 2 shown]
	ds_read2_b64 v[41:44], v40 offset0:25 offset1:26
	ds_read2_b64 v[45:48], v40 offset0:27 offset1:28
	;; [unrolled: 1-line block ×7, first 2 shown]
	s_mov_b32 s4, exec_lo
	s_waitcnt vmcnt(29) lgkmcnt(6)
	v_mul_f32_e32 v40, v41, v69
	v_mul_f32_e32 v69, v42, v69
	s_waitcnt vmcnt(28)
	v_mul_f32_e32 v99, v43, v70
	v_mul_f32_e32 v70, v44, v70
	s_waitcnt vmcnt(27) lgkmcnt(5)
	v_mul_f32_e32 v100, v45, v71
	s_waitcnt vmcnt(26)
	v_mul_f32_e32 v101, v47, v72
	s_waitcnt vmcnt(25) lgkmcnt(4)
	v_mul_f32_e32 v102, v49, v73
	s_waitcnt vmcnt(24)
	;; [unrolled: 4-line block ×5, first 2 shown]
	v_mul_f32_e32 v109, v63, v80
	s_waitcnt vmcnt(15)
	v_fma_f32 v41, v41, v83, -v69
	v_fmac_f32_e32 v40, v42, v83
	v_mul_f32_e32 v42, v46, v71
	s_waitcnt vmcnt(14)
	v_fma_f32 v43, v43, v84, -v70
	v_fmac_f32_e32 v99, v44, v84
	v_add_f32_e32 v41, 0, v41
	v_add_f32_e32 v40, 0, v40
	v_mul_f32_e32 v44, v48, v72
	s_waitcnt vmcnt(13)
	v_fma_f32 v42, v45, v85, -v42
	v_fmac_f32_e32 v100, v46, v85
	v_add_f32_e32 v41, v41, v43
	v_add_f32_e32 v40, v40, v99
	;; [unrolled: 6-line block ×10, first 2 shown]
	s_waitcnt lgkmcnt(0)
	v_mul_f32_e32 v44, v66, v81
	s_waitcnt vmcnt(4)
	v_fma_f32 v42, v63, v94, -v42
	v_mul_f32_e32 v110, v65, v81
	v_add_f32_e32 v41, v41, v43
	v_fmac_f32_e32 v109, v64, v94
	v_add_f32_e32 v40, v40, v108
	v_mul_f32_e32 v43, v68, v82
	s_waitcnt vmcnt(3)
	v_fma_f32 v44, v65, v95, -v44
	v_add_f32_e32 v41, v41, v42
	v_mul_f32_e32 v111, v67, v82
	v_fmac_f32_e32 v110, v66, v95
	v_add_f32_e32 v40, v40, v109
	s_waitcnt vmcnt(2)
	v_fma_f32 v42, v67, v96, -v43
	v_add_f32_e32 v41, v41, v44
	v_fmac_f32_e32 v111, v68, v96
	v_add_f32_e32 v40, v40, v110
	v_add_f32_e32 v41, v41, v42
	;; [unrolled: 1-line block ×3, first 2 shown]
	s_waitcnt vmcnt(1)
	v_sub_f32_e32 v41, v97, v41
	s_waitcnt vmcnt(0)
	v_sub_f32_e32 v40, v98, v40
	buffer_store_dword v41, off, s[0:3], 0 offset:32
	buffer_store_dword v40, off, s[0:3], 0 offset:36
	v_cmpx_lt_u32_e32 3, v0
	s_cbranch_execz .LBB18_121
; %bb.120:
	s_clause 0x1
	buffer_load_dword v40, off, s[0:3], 0 offset:24
	buffer_load_dword v41, off, s[0:3], 0 offset:28
	v_mov_b32_e32 v42, 0
	buffer_store_dword v42, off, s[0:3], 0 offset:24
	buffer_store_dword v42, off, s[0:3], 0 offset:28
	s_waitcnt vmcnt(0)
	ds_write_b64 v39, v[40:41]
.LBB18_121:
	s_or_b32 exec_lo, exec_lo, s4
	s_waitcnt lgkmcnt(0)
	s_waitcnt_vscnt null, 0x0
	s_barrier
	buffer_gl0_inv
	s_clause 0x1f
	buffer_load_dword v71, off, s[0:3], 0 offset:36
	buffer_load_dword v72, off, s[0:3], 0 offset:44
	;; [unrolled: 1-line block ×32, first 2 shown]
	v_mov_b32_e32 v40, 0
	ds_read_b128 v[41:44], v40 offset:192
	ds_read_b128 v[45:48], v40 offset:208
	;; [unrolled: 1-line block ×7, first 2 shown]
	ds_read_b64 v[69:70], v40 offset:304
	s_mov_b32 s4, exec_lo
	s_waitcnt vmcnt(31) lgkmcnt(7)
	v_mul_f32_e32 v103, v41, v71
	v_mul_f32_e32 v71, v42, v71
	s_waitcnt vmcnt(30)
	v_mul_f32_e32 v104, v43, v72
	v_mul_f32_e32 v72, v44, v72
	s_waitcnt vmcnt(29) lgkmcnt(6)
	v_mul_f32_e32 v105, v45, v73
	s_waitcnt vmcnt(28)
	v_mul_f32_e32 v106, v47, v74
	s_waitcnt vmcnt(27) lgkmcnt(5)
	v_mul_f32_e32 v107, v49, v75
	s_waitcnt vmcnt(26)
	;; [unrolled: 4-line block ×6, first 2 shown]
	v_fma_f32 v41, v41, v86, -v71
	v_fmac_f32_e32 v103, v42, v86
	v_mul_f32_e32 v42, v46, v73
	s_waitcnt vmcnt(15)
	v_fma_f32 v43, v43, v87, -v72
	v_fmac_f32_e32 v104, v44, v87
	v_add_f32_e32 v41, 0, v41
	v_add_f32_e32 v44, 0, v103
	v_mul_f32_e32 v71, v48, v74
	s_waitcnt vmcnt(14)
	v_fma_f32 v42, v45, v88, -v42
	v_fmac_f32_e32 v105, v46, v88
	v_add_f32_e32 v41, v41, v43
	v_add_f32_e32 v43, v44, v104
	;; [unrolled: 6-line block ×11, first 2 shown]
	v_mul_f32_e32 v44, v68, v84
	s_waitcnt vmcnt(4)
	v_fma_f32 v45, v65, v98, -v45
	v_mul_f32_e32 v116, v67, v84
	v_add_f32_e32 v41, v41, v43
	v_fmac_f32_e32 v115, v66, v98
	v_add_f32_e32 v42, v42, v114
	s_waitcnt lgkmcnt(0)
	v_mul_f32_e32 v43, v70, v85
	s_waitcnt vmcnt(3)
	v_fma_f32 v44, v67, v99, -v44
	v_add_f32_e32 v41, v41, v45
	v_mul_f32_e32 v117, v69, v85
	v_fmac_f32_e32 v116, v68, v99
	v_add_f32_e32 v42, v42, v115
	s_waitcnt vmcnt(2)
	v_fma_f32 v43, v69, v100, -v43
	v_add_f32_e32 v41, v41, v44
	v_fmac_f32_e32 v117, v70, v100
	v_add_f32_e32 v42, v42, v116
	v_add_f32_e32 v41, v41, v43
	;; [unrolled: 1-line block ×3, first 2 shown]
	s_waitcnt vmcnt(1)
	v_sub_f32_e32 v41, v101, v41
	s_waitcnt vmcnt(0)
	v_sub_f32_e32 v42, v102, v42
	buffer_store_dword v41, off, s[0:3], 0 offset:24
	buffer_store_dword v42, off, s[0:3], 0 offset:28
	v_cmpx_lt_u32_e32 2, v0
	s_cbranch_execz .LBB18_123
; %bb.122:
	s_clause 0x1
	buffer_load_dword v41, off, s[0:3], 0 offset:16
	buffer_load_dword v42, off, s[0:3], 0 offset:20
	buffer_store_dword v40, off, s[0:3], 0 offset:16
	buffer_store_dword v40, off, s[0:3], 0 offset:20
	s_waitcnt vmcnt(0)
	ds_write_b64 v39, v[41:42]
.LBB18_123:
	s_or_b32 exec_lo, exec_lo, s4
	s_waitcnt lgkmcnt(0)
	s_waitcnt_vscnt null, 0x0
	s_barrier
	buffer_gl0_inv
	s_clause 0x21
	buffer_load_dword v73, off, s[0:3], 0 offset:28
	buffer_load_dword v74, off, s[0:3], 0 offset:36
	;; [unrolled: 1-line block ×34, first 2 shown]
	ds_read2_b64 v[41:44], v40 offset0:23 offset1:24
	ds_read2_b64 v[45:48], v40 offset0:25 offset1:26
	;; [unrolled: 1-line block ×8, first 2 shown]
	s_mov_b32 s4, exec_lo
	s_waitcnt vmcnt(33) lgkmcnt(7)
	v_mul_f32_e32 v40, v41, v73
	v_mul_f32_e32 v73, v42, v73
	s_waitcnt vmcnt(32)
	v_mul_f32_e32 v107, v43, v74
	v_mul_f32_e32 v74, v44, v74
	s_waitcnt vmcnt(31) lgkmcnt(6)
	v_mul_f32_e32 v108, v45, v75
	s_waitcnt vmcnt(30)
	v_mul_f32_e32 v109, v47, v76
	s_waitcnt vmcnt(29) lgkmcnt(5)
	v_mul_f32_e32 v110, v49, v77
	s_waitcnt vmcnt(28)
	;; [unrolled: 4-line block ×6, first 2 shown]
	v_mul_f32_e32 v119, v67, v86
	s_waitcnt vmcnt(17)
	v_fma_f32 v41, v41, v89, -v73
	v_fmac_f32_e32 v40, v42, v89
	v_mul_f32_e32 v42, v46, v75
	s_waitcnt vmcnt(16)
	v_fma_f32 v43, v43, v90, -v74
	v_fmac_f32_e32 v107, v44, v90
	v_add_f32_e32 v41, 0, v41
	v_add_f32_e32 v40, 0, v40
	v_mul_f32_e32 v44, v48, v76
	s_waitcnt vmcnt(15)
	v_fma_f32 v42, v45, v91, -v42
	v_fmac_f32_e32 v108, v46, v91
	v_add_f32_e32 v41, v41, v43
	v_add_f32_e32 v40, v40, v107
	;; [unrolled: 6-line block ×12, first 2 shown]
	s_waitcnt lgkmcnt(0)
	v_mul_f32_e32 v42, v70, v87
	s_waitcnt vmcnt(4)
	v_fma_f32 v43, v67, v102, -v43
	v_mul_f32_e32 v120, v69, v87
	v_add_f32_e32 v41, v41, v44
	v_fmac_f32_e32 v119, v68, v102
	v_add_f32_e32 v40, v40, v118
	v_mul_f32_e32 v44, v72, v88
	s_waitcnt vmcnt(3)
	v_fma_f32 v42, v69, v103, -v42
	v_add_f32_e32 v41, v41, v43
	v_mul_f32_e32 v121, v71, v88
	v_fmac_f32_e32 v120, v70, v103
	v_add_f32_e32 v40, v40, v119
	s_waitcnt vmcnt(2)
	v_fma_f32 v43, v71, v104, -v44
	v_add_f32_e32 v41, v41, v42
	v_fmac_f32_e32 v121, v72, v104
	v_add_f32_e32 v40, v40, v120
	v_add_f32_e32 v41, v41, v43
	;; [unrolled: 1-line block ×3, first 2 shown]
	s_waitcnt vmcnt(1)
	v_sub_f32_e32 v41, v105, v41
	s_waitcnt vmcnt(0)
	v_sub_f32_e32 v40, v106, v40
	buffer_store_dword v41, off, s[0:3], 0 offset:16
	buffer_store_dword v40, off, s[0:3], 0 offset:20
	v_cmpx_lt_u32_e32 1, v0
	s_cbranch_execz .LBB18_125
; %bb.124:
	s_clause 0x1
	buffer_load_dword v40, off, s[0:3], 0 offset:8
	buffer_load_dword v41, off, s[0:3], 0 offset:12
	v_mov_b32_e32 v42, 0
	buffer_store_dword v42, off, s[0:3], 0 offset:8
	buffer_store_dword v42, off, s[0:3], 0 offset:12
	s_waitcnt vmcnt(0)
	ds_write_b64 v39, v[40:41]
.LBB18_125:
	s_or_b32 exec_lo, exec_lo, s4
	s_waitcnt lgkmcnt(0)
	s_waitcnt_vscnt null, 0x0
	s_barrier
	buffer_gl0_inv
	s_clause 0x23
	buffer_load_dword v75, off, s[0:3], 0 offset:20
	buffer_load_dword v76, off, s[0:3], 0 offset:28
	;; [unrolled: 1-line block ×36, first 2 shown]
	v_mov_b32_e32 v40, 0
	ds_read_b128 v[41:44], v40 offset:176
	ds_read_b128 v[45:48], v40 offset:192
	ds_read_b128 v[49:52], v40 offset:208
	ds_read_b128 v[53:56], v40 offset:224
	ds_read_b128 v[57:60], v40 offset:240
	ds_read_b128 v[61:64], v40 offset:256
	ds_read_b128 v[65:68], v40 offset:272
	ds_read_b128 v[69:72], v40 offset:288
	ds_read_b64 v[73:74], v40 offset:304
	s_mov_b32 s4, exec_lo
	s_waitcnt vmcnt(35) lgkmcnt(8)
	v_mul_f32_e32 v111, v41, v75
	v_mul_f32_e32 v75, v42, v75
	s_waitcnt vmcnt(34)
	v_mul_f32_e32 v112, v43, v76
	v_mul_f32_e32 v76, v44, v76
	s_waitcnt vmcnt(33) lgkmcnt(7)
	v_mul_f32_e32 v113, v45, v77
	s_waitcnt vmcnt(32)
	v_mul_f32_e32 v114, v47, v78
	s_waitcnt vmcnt(31) lgkmcnt(6)
	v_mul_f32_e32 v115, v49, v79
	s_waitcnt vmcnt(30)
	;; [unrolled: 4-line block ×7, first 2 shown]
	v_fma_f32 v41, v41, v92, -v75
	v_fmac_f32_e32 v111, v42, v92
	v_mul_f32_e32 v42, v46, v77
	s_waitcnt vmcnt(17)
	v_fma_f32 v43, v43, v93, -v76
	v_fmac_f32_e32 v112, v44, v93
	v_add_f32_e32 v41, 0, v41
	v_add_f32_e32 v44, 0, v111
	v_mul_f32_e32 v75, v48, v78
	s_waitcnt vmcnt(16)
	v_fma_f32 v42, v45, v94, -v42
	v_fmac_f32_e32 v113, v46, v94
	v_add_f32_e32 v41, v41, v43
	v_add_f32_e32 v43, v44, v112
	;; [unrolled: 6-line block ×13, first 2 shown]
	v_mul_f32_e32 v45, v72, v90
	s_waitcnt vmcnt(4)
	v_fma_f32 v43, v69, v106, -v43
	v_mul_f32_e32 v126, v71, v90
	v_add_f32_e32 v41, v41, v44
	v_fmac_f32_e32 v125, v70, v106
	v_add_f32_e32 v42, v42, v124
	s_waitcnt lgkmcnt(0)
	v_mul_f32_e32 v44, v74, v91
	s_waitcnt vmcnt(3)
	v_fma_f32 v45, v71, v107, -v45
	v_add_f32_e32 v41, v41, v43
	v_mul_f32_e32 v127, v73, v91
	v_fmac_f32_e32 v126, v72, v107
	v_add_f32_e32 v42, v42, v125
	s_waitcnt vmcnt(2)
	v_fma_f32 v43, v73, v108, -v44
	v_add_f32_e32 v41, v41, v45
	v_fmac_f32_e32 v127, v74, v108
	v_add_f32_e32 v42, v42, v126
	v_add_f32_e32 v41, v41, v43
	v_add_f32_e32 v42, v42, v127
	s_waitcnt vmcnt(1)
	v_sub_f32_e32 v41, v109, v41
	s_waitcnt vmcnt(0)
	v_sub_f32_e32 v42, v110, v42
	buffer_store_dword v41, off, s[0:3], 0 offset:8
	buffer_store_dword v42, off, s[0:3], 0 offset:12
	v_cmpx_ne_u32_e32 0, v0
	s_cbranch_execz .LBB18_127
; %bb.126:
	s_clause 0x1
	buffer_load_dword v41, off, s[0:3], 0
	buffer_load_dword v42, off, s[0:3], 0 offset:4
	buffer_store_dword v40, off, s[0:3], 0
	buffer_store_dword v40, off, s[0:3], 0 offset:4
	s_waitcnt vmcnt(0)
	ds_write_b64 v39, v[41:42]
.LBB18_127:
	s_or_b32 exec_lo, exec_lo, s4
	s_waitcnt lgkmcnt(0)
	s_waitcnt_vscnt null, 0x0
	s_barrier
	buffer_gl0_inv
	s_clause 0x25
	buffer_load_dword v0, off, s[0:3], 0 offset:12
	buffer_load_dword v39, off, s[0:3], 0 offset:20
	;; [unrolled: 1-line block ×36, first 2 shown]
	buffer_load_dword v111, off, s[0:3], 0
	buffer_load_dword v112, off, s[0:3], 0 offset:4
	ds_read2_b64 v[41:44], v40 offset0:21 offset1:22
	ds_read2_b64 v[45:48], v40 offset0:23 offset1:24
	;; [unrolled: 1-line block ×9, first 2 shown]
	s_and_b32 vcc_lo, exec_lo, s22
	s_waitcnt vmcnt(37) lgkmcnt(8)
	v_mul_f32_e32 v40, v41, v0
	v_mul_f32_e32 v0, v42, v0
	s_waitcnt vmcnt(36)
	v_mul_f32_e32 v113, v43, v39
	v_mul_f32_e32 v39, v44, v39
	s_waitcnt vmcnt(35) lgkmcnt(7)
	v_mul_f32_e32 v114, v45, v77
	s_waitcnt vmcnt(34)
	v_mul_f32_e32 v115, v47, v78
	s_waitcnt vmcnt(33) lgkmcnt(6)
	v_mul_f32_e32 v116, v49, v79
	s_waitcnt vmcnt(32)
	v_mul_f32_e32 v117, v51, v80
	s_waitcnt vmcnt(31) lgkmcnt(5)
	v_mul_f32_e32 v118, v53, v81
	s_waitcnt vmcnt(30)
	v_mul_f32_e32 v119, v55, v82
	s_waitcnt vmcnt(29) lgkmcnt(4)
	v_mul_f32_e32 v120, v57, v83
	s_waitcnt vmcnt(28)
	v_mul_f32_e32 v121, v59, v84
	s_waitcnt vmcnt(27) lgkmcnt(3)
	v_mul_f32_e32 v122, v61, v85
	s_waitcnt vmcnt(26)
	v_mul_f32_e32 v123, v63, v86
	s_waitcnt vmcnt(25) lgkmcnt(2)
	v_mul_f32_e32 v124, v65, v87
	s_waitcnt vmcnt(24)
	v_mul_f32_e32 v125, v67, v88
	s_waitcnt vmcnt(23) lgkmcnt(1)
	v_mul_f32_e32 v126, v69, v89
	s_waitcnt vmcnt(22)
	v_mul_f32_e32 v127, v71, v90
	s_waitcnt vmcnt(19)
	v_fma_f32 v0, v41, v93, -v0
	v_fmac_f32_e32 v40, v42, v93
	v_mul_f32_e32 v41, v46, v77
	s_waitcnt vmcnt(18)
	v_fma_f32 v39, v43, v94, -v39
	v_fmac_f32_e32 v113, v44, v94
	v_add_f32_e32 v0, 0, v0
	v_add_f32_e32 v40, 0, v40
	v_mul_f32_e32 v42, v48, v78
	s_waitcnt vmcnt(17)
	v_fma_f32 v41, v45, v95, -v41
	v_fmac_f32_e32 v114, v46, v95
	v_add_f32_e32 v0, v0, v39
	v_add_f32_e32 v39, v40, v113
	;; [unrolled: 6-line block ×14, first 2 shown]
	s_waitcnt lgkmcnt(0)
	v_mul_f32_e32 v40, v74, v91
	s_waitcnt vmcnt(4)
	v_fma_f32 v42, v71, v108, -v42
	v_mul_f32_e32 v128, v73, v91
	v_add_f32_e32 v0, v0, v41
	v_fmac_f32_e32 v127, v72, v108
	v_add_f32_e32 v39, v39, v126
	v_mul_f32_e32 v41, v76, v92
	s_waitcnt vmcnt(3)
	v_fma_f32 v40, v73, v109, -v40
	v_add_f32_e32 v0, v0, v42
	v_mul_f32_e32 v129, v75, v92
	v_fmac_f32_e32 v128, v74, v109
	v_add_f32_e32 v39, v39, v127
	s_waitcnt vmcnt(2)
	v_fma_f32 v41, v75, v110, -v41
	v_add_f32_e32 v0, v0, v40
	v_fmac_f32_e32 v129, v76, v110
	v_add_f32_e32 v39, v39, v128
	v_add_f32_e32 v0, v0, v41
	;; [unrolled: 1-line block ×3, first 2 shown]
	s_waitcnt vmcnt(1)
	v_sub_f32_e32 v0, v111, v0
	s_waitcnt vmcnt(0)
	v_sub_f32_e32 v39, v112, v39
	buffer_store_dword v0, off, s[0:3], 0
	buffer_store_dword v39, off, s[0:3], 0 offset:4
	s_cbranch_vccz .LBB18_164
; %bb.128:
	v_mov_b32_e32 v0, 0
	global_load_dword v39, v0, s[20:21] offset:68
	s_waitcnt vmcnt(0)
	v_add_nc_u32_e32 v39, -1, v39
	v_cmp_ne_u32_e32 vcc_lo, 17, v39
	s_cbranch_vccz .LBB18_130
; %bb.129:
	v_lshlrev_b32_e32 v39, 3, v39
	s_clause 0x3
	buffer_load_dword v40, v39, s[0:3], 0 offen
	buffer_load_dword v41, v39, s[0:3], 0 offen offset:4
	buffer_load_dword v42, off, s[0:3], 0 offset:136
	buffer_load_dword v43, off, s[0:3], 0 offset:140
	s_waitcnt vmcnt(3)
	buffer_store_dword v40, off, s[0:3], 0 offset:136
	s_waitcnt vmcnt(2)
	buffer_store_dword v41, off, s[0:3], 0 offset:140
	s_waitcnt vmcnt(1)
	buffer_store_dword v42, v39, s[0:3], 0 offen
	s_waitcnt vmcnt(0)
	buffer_store_dword v43, v39, s[0:3], 0 offen offset:4
.LBB18_130:
	global_load_dword v0, v0, s[20:21] offset:64
	s_waitcnt vmcnt(0)
	v_add_nc_u32_e32 v0, -1, v0
	v_cmp_eq_u32_e32 vcc_lo, 16, v0
	s_cbranch_vccnz .LBB18_132
; %bb.131:
	v_lshlrev_b32_e32 v0, 3, v0
	s_clause 0x3
	buffer_load_dword v39, v0, s[0:3], 0 offen
	buffer_load_dword v40, v0, s[0:3], 0 offen offset:4
	buffer_load_dword v41, off, s[0:3], 0 offset:132
	buffer_load_dword v42, off, s[0:3], 0 offset:128
	s_waitcnt vmcnt(3)
	buffer_store_dword v39, off, s[0:3], 0 offset:128
	s_waitcnt vmcnt(2)
	buffer_store_dword v40, off, s[0:3], 0 offset:132
	s_waitcnt vmcnt(1)
	buffer_store_dword v41, v0, s[0:3], 0 offen offset:4
	s_waitcnt vmcnt(0)
	buffer_store_dword v42, v0, s[0:3], 0 offen
.LBB18_132:
	v_mov_b32_e32 v0, 0
	global_load_dword v39, v0, s[20:21] offset:60
	s_waitcnt vmcnt(0)
	v_add_nc_u32_e32 v39, -1, v39
	v_cmp_eq_u32_e32 vcc_lo, 15, v39
	s_cbranch_vccnz .LBB18_134
; %bb.133:
	v_lshlrev_b32_e32 v39, 3, v39
	s_clause 0x3
	buffer_load_dword v40, v39, s[0:3], 0 offen
	buffer_load_dword v41, v39, s[0:3], 0 offen offset:4
	buffer_load_dword v42, off, s[0:3], 0 offset:120
	buffer_load_dword v43, off, s[0:3], 0 offset:124
	s_waitcnt vmcnt(3)
	buffer_store_dword v40, off, s[0:3], 0 offset:120
	s_waitcnt vmcnt(2)
	buffer_store_dword v41, off, s[0:3], 0 offset:124
	s_waitcnt vmcnt(1)
	buffer_store_dword v42, v39, s[0:3], 0 offen
	s_waitcnt vmcnt(0)
	buffer_store_dword v43, v39, s[0:3], 0 offen offset:4
.LBB18_134:
	global_load_dword v0, v0, s[20:21] offset:56
	s_waitcnt vmcnt(0)
	v_add_nc_u32_e32 v0, -1, v0
	v_cmp_eq_u32_e32 vcc_lo, 14, v0
	s_cbranch_vccnz .LBB18_136
; %bb.135:
	v_lshlrev_b32_e32 v0, 3, v0
	s_clause 0x3
	buffer_load_dword v39, v0, s[0:3], 0 offen
	buffer_load_dword v40, v0, s[0:3], 0 offen offset:4
	buffer_load_dword v41, off, s[0:3], 0 offset:116
	buffer_load_dword v42, off, s[0:3], 0 offset:112
	s_waitcnt vmcnt(3)
	buffer_store_dword v39, off, s[0:3], 0 offset:112
	s_waitcnt vmcnt(2)
	buffer_store_dword v40, off, s[0:3], 0 offset:116
	s_waitcnt vmcnt(1)
	buffer_store_dword v41, v0, s[0:3], 0 offen offset:4
	s_waitcnt vmcnt(0)
	buffer_store_dword v42, v0, s[0:3], 0 offen
.LBB18_136:
	v_mov_b32_e32 v0, 0
	global_load_dword v39, v0, s[20:21] offset:52
	s_waitcnt vmcnt(0)
	v_add_nc_u32_e32 v39, -1, v39
	v_cmp_eq_u32_e32 vcc_lo, 13, v39
	s_cbranch_vccnz .LBB18_138
; %bb.137:
	v_lshlrev_b32_e32 v39, 3, v39
	s_clause 0x3
	buffer_load_dword v40, v39, s[0:3], 0 offen
	buffer_load_dword v41, v39, s[0:3], 0 offen offset:4
	buffer_load_dword v42, off, s[0:3], 0 offset:104
	buffer_load_dword v43, off, s[0:3], 0 offset:108
	s_waitcnt vmcnt(3)
	buffer_store_dword v40, off, s[0:3], 0 offset:104
	s_waitcnt vmcnt(2)
	buffer_store_dword v41, off, s[0:3], 0 offset:108
	s_waitcnt vmcnt(1)
	buffer_store_dword v42, v39, s[0:3], 0 offen
	s_waitcnt vmcnt(0)
	buffer_store_dword v43, v39, s[0:3], 0 offen offset:4
.LBB18_138:
	;; [unrolled: 43-line block ×8, first 2 shown]
	global_load_dword v0, v0, s[20:21]
	s_waitcnt vmcnt(0)
	v_add_nc_u32_e32 v0, -1, v0
	v_cmp_eq_u32_e32 vcc_lo, 0, v0
	s_cbranch_vccnz .LBB18_164
; %bb.163:
	v_lshlrev_b32_e32 v0, 3, v0
	s_clause 0x3
	buffer_load_dword v39, v0, s[0:3], 0 offen
	buffer_load_dword v40, v0, s[0:3], 0 offen offset:4
	buffer_load_dword v41, off, s[0:3], 0 offset:4
	buffer_load_dword v42, off, s[0:3], 0
	s_waitcnt vmcnt(3)
	buffer_store_dword v39, off, s[0:3], 0
	s_waitcnt vmcnt(2)
	buffer_store_dword v40, off, s[0:3], 0 offset:4
	s_waitcnt vmcnt(1)
	buffer_store_dword v41, v0, s[0:3], 0 offen offset:4
	s_waitcnt vmcnt(0)
	buffer_store_dword v42, v0, s[0:3], 0 offen
.LBB18_164:
	s_clause 0x25
	buffer_load_dword v39, off, s[0:3], 0
	buffer_load_dword v40, off, s[0:3], 0 offset:4
	buffer_load_dword v41, off, s[0:3], 0 offset:8
	;; [unrolled: 1-line block ×37, first 2 shown]
	s_waitcnt vmcnt(36)
	global_store_dwordx2 v[1:2], v[39:40], off
	s_waitcnt vmcnt(34)
	global_store_dwordx2 v[3:4], v[41:42], off
	;; [unrolled: 2-line block ×9, first 2 shown]
	global_store_dwordx2 v[19:20], v[57:58], off
	global_store_dwordx2 v[21:22], v[59:60], off
	;; [unrolled: 1-line block ×3, first 2 shown]
	s_waitcnt vmcnt(12)
	global_store_dwordx2 v[25:26], v[63:64], off
	s_waitcnt vmcnt(10)
	global_store_dwordx2 v[27:28], v[65:66], off
	;; [unrolled: 2-line block ×7, first 2 shown]
	s_endpgm
	.section	.rodata,"a",@progbits
	.p2align	6, 0x0
	.amdhsa_kernel _ZN9rocsolver6v33100L18getri_kernel_smallILi19E19rocblas_complex_numIfEPS3_EEvT1_iilPiilS6_bb
		.amdhsa_group_segment_fixed_size 312
		.amdhsa_private_segment_fixed_size 160
		.amdhsa_kernarg_size 60
		.amdhsa_user_sgpr_count 6
		.amdhsa_user_sgpr_private_segment_buffer 1
		.amdhsa_user_sgpr_dispatch_ptr 0
		.amdhsa_user_sgpr_queue_ptr 0
		.amdhsa_user_sgpr_kernarg_segment_ptr 1
		.amdhsa_user_sgpr_dispatch_id 0
		.amdhsa_user_sgpr_flat_scratch_init 0
		.amdhsa_user_sgpr_private_segment_size 0
		.amdhsa_wavefront_size32 1
		.amdhsa_uses_dynamic_stack 0
		.amdhsa_system_sgpr_private_segment_wavefront_offset 1
		.amdhsa_system_sgpr_workgroup_id_x 1
		.amdhsa_system_sgpr_workgroup_id_y 0
		.amdhsa_system_sgpr_workgroup_id_z 0
		.amdhsa_system_sgpr_workgroup_info 0
		.amdhsa_system_vgpr_workitem_id 0
		.amdhsa_next_free_vgpr 130
		.amdhsa_next_free_sgpr 23
		.amdhsa_reserve_vcc 1
		.amdhsa_reserve_flat_scratch 0
		.amdhsa_float_round_mode_32 0
		.amdhsa_float_round_mode_16_64 0
		.amdhsa_float_denorm_mode_32 3
		.amdhsa_float_denorm_mode_16_64 3
		.amdhsa_dx10_clamp 1
		.amdhsa_ieee_mode 1
		.amdhsa_fp16_overflow 0
		.amdhsa_workgroup_processor_mode 1
		.amdhsa_memory_ordered 1
		.amdhsa_forward_progress 1
		.amdhsa_shared_vgpr_count 0
		.amdhsa_exception_fp_ieee_invalid_op 0
		.amdhsa_exception_fp_denorm_src 0
		.amdhsa_exception_fp_ieee_div_zero 0
		.amdhsa_exception_fp_ieee_overflow 0
		.amdhsa_exception_fp_ieee_underflow 0
		.amdhsa_exception_fp_ieee_inexact 0
		.amdhsa_exception_int_div_zero 0
	.end_amdhsa_kernel
	.section	.text._ZN9rocsolver6v33100L18getri_kernel_smallILi19E19rocblas_complex_numIfEPS3_EEvT1_iilPiilS6_bb,"axG",@progbits,_ZN9rocsolver6v33100L18getri_kernel_smallILi19E19rocblas_complex_numIfEPS3_EEvT1_iilPiilS6_bb,comdat
.Lfunc_end18:
	.size	_ZN9rocsolver6v33100L18getri_kernel_smallILi19E19rocblas_complex_numIfEPS3_EEvT1_iilPiilS6_bb, .Lfunc_end18-_ZN9rocsolver6v33100L18getri_kernel_smallILi19E19rocblas_complex_numIfEPS3_EEvT1_iilPiilS6_bb
                                        ; -- End function
	.set _ZN9rocsolver6v33100L18getri_kernel_smallILi19E19rocblas_complex_numIfEPS3_EEvT1_iilPiilS6_bb.num_vgpr, 130
	.set _ZN9rocsolver6v33100L18getri_kernel_smallILi19E19rocblas_complex_numIfEPS3_EEvT1_iilPiilS6_bb.num_agpr, 0
	.set _ZN9rocsolver6v33100L18getri_kernel_smallILi19E19rocblas_complex_numIfEPS3_EEvT1_iilPiilS6_bb.numbered_sgpr, 23
	.set _ZN9rocsolver6v33100L18getri_kernel_smallILi19E19rocblas_complex_numIfEPS3_EEvT1_iilPiilS6_bb.num_named_barrier, 0
	.set _ZN9rocsolver6v33100L18getri_kernel_smallILi19E19rocblas_complex_numIfEPS3_EEvT1_iilPiilS6_bb.private_seg_size, 160
	.set _ZN9rocsolver6v33100L18getri_kernel_smallILi19E19rocblas_complex_numIfEPS3_EEvT1_iilPiilS6_bb.uses_vcc, 1
	.set _ZN9rocsolver6v33100L18getri_kernel_smallILi19E19rocblas_complex_numIfEPS3_EEvT1_iilPiilS6_bb.uses_flat_scratch, 0
	.set _ZN9rocsolver6v33100L18getri_kernel_smallILi19E19rocblas_complex_numIfEPS3_EEvT1_iilPiilS6_bb.has_dyn_sized_stack, 0
	.set _ZN9rocsolver6v33100L18getri_kernel_smallILi19E19rocblas_complex_numIfEPS3_EEvT1_iilPiilS6_bb.has_recursion, 0
	.set _ZN9rocsolver6v33100L18getri_kernel_smallILi19E19rocblas_complex_numIfEPS3_EEvT1_iilPiilS6_bb.has_indirect_call, 0
	.section	.AMDGPU.csdata,"",@progbits
; Kernel info:
; codeLenInByte = 21420
; TotalNumSgprs: 25
; NumVgprs: 130
; ScratchSize: 160
; MemoryBound: 0
; FloatMode: 240
; IeeeMode: 1
; LDSByteSize: 312 bytes/workgroup (compile time only)
; SGPRBlocks: 0
; VGPRBlocks: 16
; NumSGPRsForWavesPerEU: 25
; NumVGPRsForWavesPerEU: 130
; Occupancy: 7
; WaveLimiterHint : 1
; COMPUTE_PGM_RSRC2:SCRATCH_EN: 1
; COMPUTE_PGM_RSRC2:USER_SGPR: 6
; COMPUTE_PGM_RSRC2:TRAP_HANDLER: 0
; COMPUTE_PGM_RSRC2:TGID_X_EN: 1
; COMPUTE_PGM_RSRC2:TGID_Y_EN: 0
; COMPUTE_PGM_RSRC2:TGID_Z_EN: 0
; COMPUTE_PGM_RSRC2:TIDIG_COMP_CNT: 0
	.section	.text._ZN9rocsolver6v33100L18getri_kernel_smallILi20E19rocblas_complex_numIfEPS3_EEvT1_iilPiilS6_bb,"axG",@progbits,_ZN9rocsolver6v33100L18getri_kernel_smallILi20E19rocblas_complex_numIfEPS3_EEvT1_iilPiilS6_bb,comdat
	.globl	_ZN9rocsolver6v33100L18getri_kernel_smallILi20E19rocblas_complex_numIfEPS3_EEvT1_iilPiilS6_bb ; -- Begin function _ZN9rocsolver6v33100L18getri_kernel_smallILi20E19rocblas_complex_numIfEPS3_EEvT1_iilPiilS6_bb
	.p2align	8
	.type	_ZN9rocsolver6v33100L18getri_kernel_smallILi20E19rocblas_complex_numIfEPS3_EEvT1_iilPiilS6_bb,@function
_ZN9rocsolver6v33100L18getri_kernel_smallILi20E19rocblas_complex_numIfEPS3_EEvT1_iilPiilS6_bb: ; @_ZN9rocsolver6v33100L18getri_kernel_smallILi20E19rocblas_complex_numIfEPS3_EEvT1_iilPiilS6_bb
; %bb.0:
	s_add_u32 s0, s0, s7
	s_addc_u32 s1, s1, 0
	s_mov_b32 s7, exec_lo
	v_cmpx_gt_u32_e32 20, v0
	s_cbranch_execz .LBB19_94
; %bb.1:
	s_clause 0x2
	s_load_dword s7, s[4:5], 0x38
	s_load_dwordx4 s[16:19], s[4:5], 0x10
	s_load_dwordx4 s[8:11], s[4:5], 0x28
                                        ; implicit-def: $sgpr20_sgpr21
	s_waitcnt lgkmcnt(0)
	s_bitcmp1_b32 s7, 8
	s_cselect_b32 s22, -1, 0
	s_bfe_u32 s12, s7, 0x10008
	s_ashr_i32 s7, s6, 31
	s_cmp_eq_u32 s12, 0
	s_cbranch_scc1 .LBB19_3
; %bb.2:
	s_load_dword s12, s[4:5], 0x20
	s_mul_i32 s13, s8, s7
	s_mul_hi_u32 s14, s8, s6
	s_mul_i32 s9, s9, s6
	s_add_i32 s13, s14, s13
	s_mul_i32 s8, s8, s6
	s_add_i32 s9, s13, s9
	s_lshl_b64 s[8:9], s[8:9], 2
	s_waitcnt lgkmcnt(0)
	s_ashr_i32 s13, s12, 31
	s_add_u32 s14, s18, s8
	s_addc_u32 s15, s19, s9
	s_lshl_b64 s[8:9], s[12:13], 2
	s_add_u32 s20, s14, s8
	s_addc_u32 s21, s15, s9
.LBB19_3:
	s_clause 0x1
	s_load_dwordx4 s[12:15], s[4:5], 0x0
	s_load_dword s8, s[4:5], 0x38
	s_mul_i32 s4, s16, s7
	s_mul_hi_u32 s5, s16, s6
	s_mul_i32 s9, s17, s6
	s_add_i32 s5, s5, s4
	s_mul_i32 s4, s16, s6
	s_add_i32 s5, s5, s9
	v_lshlrev_b32_e32 v43, 3, v0
	s_lshl_b64 s[4:5], s[4:5], 3
	s_waitcnt lgkmcnt(0)
	v_add3_u32 v3, s15, s15, v0
	s_ashr_i32 s17, s14, 31
	s_mov_b32 s16, s14
	s_add_u32 s9, s12, s4
	s_addc_u32 s13, s13, s5
	v_add_nc_u32_e32 v5, s15, v3
	s_lshl_b64 s[4:5], s[16:17], 3
	v_ashrrev_i32_e32 v4, 31, v3
	s_add_u32 s4, s9, s4
	s_addc_u32 s5, s13, s5
	v_add_nc_u32_e32 v7, s15, v5
	v_ashrrev_i32_e32 v6, 31, v5
	v_add_co_u32 v1, s9, s4, v43
	s_mov_b32 s12, s15
	s_ashr_i32 s13, s15, 31
	v_lshlrev_b64 v[9:10], 3, v[3:4]
	v_add_nc_u32_e32 v13, s15, v7
	v_add_co_ci_u32_e64 v2, null, s5, 0, s9
	s_lshl_b64 s[12:13], s[12:13], 3
	v_lshlrev_b64 v[11:12], 3, v[5:6]
	v_ashrrev_i32_e32 v8, 31, v7
	v_add_co_u32 v3, vcc_lo, v1, s12
	v_ashrrev_i32_e32 v14, 31, v13
	v_add_nc_u32_e32 v15, s15, v13
	v_add_co_ci_u32_e64 v4, null, s13, v2, vcc_lo
	v_add_co_u32 v5, vcc_lo, s4, v9
	v_add_co_ci_u32_e64 v6, null, s5, v10, vcc_lo
	v_lshlrev_b64 v[9:10], 3, v[7:8]
	v_add_co_u32 v7, vcc_lo, s4, v11
	v_add_co_ci_u32_e64 v8, null, s5, v12, vcc_lo
	v_lshlrev_b64 v[11:12], 3, v[13:14]
	v_add_nc_u32_e32 v13, s15, v15
	v_ashrrev_i32_e32 v16, 31, v15
	v_add_co_u32 v9, vcc_lo, s4, v9
	v_add_co_ci_u32_e64 v10, null, s5, v10, vcc_lo
	v_add_nc_u32_e32 v17, s15, v13
	v_ashrrev_i32_e32 v14, 31, v13
	v_lshlrev_b64 v[15:16], 3, v[15:16]
	v_add_co_u32 v11, vcc_lo, s4, v11
	v_add_nc_u32_e32 v21, s15, v17
	v_lshlrev_b64 v[19:20], 3, v[13:14]
	v_add_co_ci_u32_e64 v12, null, s5, v12, vcc_lo
	v_add_co_u32 v13, vcc_lo, s4, v15
	v_ashrrev_i32_e32 v22, 31, v21
	v_add_nc_u32_e32 v23, s15, v21
	v_add_co_ci_u32_e64 v14, null, s5, v16, vcc_lo
	v_add_co_u32 v15, vcc_lo, s4, v19
	v_add_co_ci_u32_e64 v16, null, s5, v20, vcc_lo
	v_lshlrev_b64 v[19:20], 3, v[21:22]
	v_add_nc_u32_e32 v21, s15, v23
	v_ashrrev_i32_e32 v18, 31, v17
	v_ashrrev_i32_e32 v24, 31, v23
	s_clause 0x4
	global_load_dwordx2 v[41:42], v43, s[4:5]
	global_load_dwordx2 v[44:45], v[3:4], off
	global_load_dwordx2 v[46:47], v[5:6], off
	;; [unrolled: 1-line block ×4, first 2 shown]
	v_add_nc_u32_e32 v25, s15, v21
	v_lshlrev_b64 v[17:18], 3, v[17:18]
	v_ashrrev_i32_e32 v22, 31, v21
	v_lshlrev_b64 v[23:24], 3, v[23:24]
	s_clause 0x2
	global_load_dwordx2 v[52:53], v[11:12], off
	global_load_dwordx2 v[54:55], v[13:14], off
	;; [unrolled: 1-line block ×3, first 2 shown]
	v_add_nc_u32_e32 v29, s15, v25
	v_ashrrev_i32_e32 v26, 31, v25
	v_add_co_u32 v17, vcc_lo, s4, v17
	v_lshlrev_b64 v[27:28], 3, v[21:22]
	v_add_co_ci_u32_e64 v18, null, s5, v18, vcc_lo
	v_add_co_u32 v19, vcc_lo, s4, v19
	v_ashrrev_i32_e32 v30, 31, v29
	v_add_nc_u32_e32 v31, s15, v29
	v_add_co_ci_u32_e64 v20, null, s5, v20, vcc_lo
	v_add_co_u32 v21, vcc_lo, s4, v23
	v_add_co_ci_u32_e64 v22, null, s5, v24, vcc_lo
	v_add_co_u32 v23, vcc_lo, s4, v27
	v_add_co_ci_u32_e64 v24, null, s5, v28, vcc_lo
	v_lshlrev_b64 v[27:28], 3, v[29:30]
	v_add_nc_u32_e32 v29, s15, v31
	v_ashrrev_i32_e32 v32, 31, v31
	v_lshlrev_b64 v[25:26], 3, v[25:26]
	global_load_dwordx2 v[58:59], v[17:18], off
	s_bitcmp0_b32 s8, 0
	v_add_nc_u32_e32 v33, s15, v29
	v_ashrrev_i32_e32 v30, 31, v29
	v_lshlrev_b64 v[31:32], 3, v[31:32]
	v_add_co_u32 v25, vcc_lo, s4, v25
	v_add_nc_u32_e32 v37, s15, v33
	v_lshlrev_b64 v[35:36], 3, v[29:30]
	v_add_co_ci_u32_e64 v26, null, s5, v26, vcc_lo
	v_add_co_u32 v27, vcc_lo, s4, v27
	v_ashrrev_i32_e32 v38, 31, v37
	v_add_nc_u32_e32 v39, s15, v37
	v_add_co_ci_u32_e64 v28, null, s5, v28, vcc_lo
	v_add_co_u32 v29, vcc_lo, s4, v31
	v_add_co_ci_u32_e64 v30, null, s5, v32, vcc_lo
	v_add_co_u32 v31, vcc_lo, s4, v35
	v_ashrrev_i32_e32 v34, 31, v33
	v_add_co_ci_u32_e64 v32, null, s5, v36, vcc_lo
	v_lshlrev_b64 v[35:36], 3, v[37:38]
	v_add_nc_u32_e32 v37, s15, v39
	v_ashrrev_i32_e32 v40, 31, v39
	v_lshlrev_b64 v[33:34], 3, v[33:34]
	s_clause 0x3
	global_load_dwordx2 v[62:63], v[19:20], off
	global_load_dwordx2 v[64:65], v[21:22], off
	;; [unrolled: 1-line block ×4, first 2 shown]
	v_ashrrev_i32_e32 v38, 31, v37
	v_lshlrev_b64 v[39:40], 3, v[39:40]
	v_add_co_u32 v33, vcc_lo, s4, v33
	v_lshlrev_b64 v[60:61], 3, v[37:38]
	v_add_co_ci_u32_e64 v34, null, s5, v34, vcc_lo
	v_add_co_u32 v35, vcc_lo, s4, v35
	v_add_co_ci_u32_e64 v36, null, s5, v36, vcc_lo
	v_add_co_u32 v37, vcc_lo, s4, v39
	;; [unrolled: 2-line block ×3, first 2 shown]
	v_add_co_ci_u32_e64 v40, null, s5, v61, vcc_lo
	s_clause 0x6
	global_load_dwordx2 v[70:71], v[27:28], off
	global_load_dwordx2 v[72:73], v[29:30], off
	;; [unrolled: 1-line block ×7, first 2 shown]
	s_mov_b32 s5, -1
	s_waitcnt vmcnt(19)
	buffer_store_dword v42, off, s[0:3], 0 offset:4
	buffer_store_dword v41, off, s[0:3], 0
	s_waitcnt vmcnt(18)
	buffer_store_dword v45, off, s[0:3], 0 offset:12
	buffer_store_dword v44, off, s[0:3], 0 offset:8
	s_waitcnt vmcnt(17)
	buffer_store_dword v47, off, s[0:3], 0 offset:20
	buffer_store_dword v46, off, s[0:3], 0 offset:16
	s_waitcnt vmcnt(16)
	buffer_store_dword v49, off, s[0:3], 0 offset:28
	buffer_store_dword v48, off, s[0:3], 0 offset:24
	s_waitcnt vmcnt(15)
	buffer_store_dword v51, off, s[0:3], 0 offset:36
	buffer_store_dword v50, off, s[0:3], 0 offset:32
	s_waitcnt vmcnt(14)
	buffer_store_dword v53, off, s[0:3], 0 offset:44
	buffer_store_dword v52, off, s[0:3], 0 offset:40
	s_waitcnt vmcnt(13)
	buffer_store_dword v55, off, s[0:3], 0 offset:52
	buffer_store_dword v54, off, s[0:3], 0 offset:48
	s_waitcnt vmcnt(12)
	buffer_store_dword v57, off, s[0:3], 0 offset:60
	buffer_store_dword v56, off, s[0:3], 0 offset:56
	s_waitcnt vmcnt(11)
	buffer_store_dword v59, off, s[0:3], 0 offset:68
	buffer_store_dword v58, off, s[0:3], 0 offset:64
	s_waitcnt vmcnt(10)
	buffer_store_dword v62, off, s[0:3], 0 offset:72
	buffer_store_dword v63, off, s[0:3], 0 offset:76
	s_waitcnt vmcnt(9)
	buffer_store_dword v64, off, s[0:3], 0 offset:80
	buffer_store_dword v65, off, s[0:3], 0 offset:84
	s_waitcnt vmcnt(8)
	buffer_store_dword v66, off, s[0:3], 0 offset:88
	buffer_store_dword v67, off, s[0:3], 0 offset:92
	s_waitcnt vmcnt(7)
	buffer_store_dword v68, off, s[0:3], 0 offset:96
	buffer_store_dword v69, off, s[0:3], 0 offset:100
	s_waitcnt vmcnt(6)
	buffer_store_dword v70, off, s[0:3], 0 offset:104
	buffer_store_dword v71, off, s[0:3], 0 offset:108
	s_waitcnt vmcnt(5)
	buffer_store_dword v73, off, s[0:3], 0 offset:116
	buffer_store_dword v72, off, s[0:3], 0 offset:112
	s_waitcnt vmcnt(4)
	buffer_store_dword v74, off, s[0:3], 0 offset:120
	buffer_store_dword v75, off, s[0:3], 0 offset:124
	s_waitcnt vmcnt(3)
	buffer_store_dword v76, off, s[0:3], 0 offset:128
	buffer_store_dword v77, off, s[0:3], 0 offset:132
	s_waitcnt vmcnt(2)
	buffer_store_dword v60, off, s[0:3], 0 offset:136
	buffer_store_dword v61, off, s[0:3], 0 offset:140
	s_waitcnt vmcnt(1)
	buffer_store_dword v78, off, s[0:3], 0 offset:144
	buffer_store_dword v79, off, s[0:3], 0 offset:148
	s_waitcnt vmcnt(0)
	buffer_store_dword v81, off, s[0:3], 0 offset:156
	buffer_store_dword v80, off, s[0:3], 0 offset:152
	s_cbranch_scc1 .LBB19_92
; %bb.4:
	v_cmp_eq_u32_e64 s4, 0, v0
	s_and_saveexec_b32 s5, s4
; %bb.5:
	v_mov_b32_e32 v41, 0
	ds_write_b32 v41, v41 offset:320
; %bb.6:
	s_or_b32 exec_lo, exec_lo, s5
	v_lshl_add_u32 v45, v0, 3, 0
	s_waitcnt lgkmcnt(0)
	s_waitcnt_vscnt null, 0x0
	s_barrier
	buffer_gl0_inv
	s_clause 0x1
	buffer_load_dword v41, v45, s[0:3], 0 offen
	buffer_load_dword v42, v45, s[0:3], 0 offen offset:4
	s_waitcnt vmcnt(1)
	v_cmp_eq_f32_e32 vcc_lo, 0, v41
	s_waitcnt vmcnt(0)
	v_cmp_eq_f32_e64 s5, 0, v42
	s_and_b32 s5, vcc_lo, s5
	s_and_saveexec_b32 s8, s5
	s_cbranch_execz .LBB19_10
; %bb.7:
	v_mov_b32_e32 v41, 0
	s_mov_b32 s9, 0
	ds_read_b32 v42, v41 offset:320
	s_waitcnt lgkmcnt(0)
	v_readfirstlane_b32 s5, v42
	v_add_nc_u32_e32 v42, 1, v0
	s_cmp_eq_u32 s5, 0
	v_cmp_gt_i32_e32 vcc_lo, s5, v42
	s_cselect_b32 s12, -1, 0
	s_or_b32 s12, s12, vcc_lo
	s_and_b32 exec_lo, exec_lo, s12
	s_cbranch_execz .LBB19_10
; %bb.8:
	v_mov_b32_e32 v44, s5
.LBB19_9:                               ; =>This Inner Loop Header: Depth=1
	ds_cmpst_rtn_b32 v44, v41, v44, v42 offset:320
	s_waitcnt lgkmcnt(0)
	v_cmp_ne_u32_e32 vcc_lo, 0, v44
	v_cmp_le_i32_e64 s5, v44, v42
	s_and_b32 s5, vcc_lo, s5
	s_and_b32 s5, exec_lo, s5
	s_or_b32 s9, s5, s9
	s_andn2_b32 exec_lo, exec_lo, s9
	s_cbranch_execnz .LBB19_9
.LBB19_10:
	s_or_b32 exec_lo, exec_lo, s8
	v_mov_b32_e32 v41, 0
	s_barrier
	buffer_gl0_inv
	ds_read_b32 v42, v41 offset:320
	s_and_saveexec_b32 s5, s4
	s_cbranch_execz .LBB19_12
; %bb.11:
	s_lshl_b64 s[8:9], s[6:7], 2
	s_add_u32 s8, s10, s8
	s_addc_u32 s9, s11, s9
	s_waitcnt lgkmcnt(0)
	global_store_dword v41, v42, s[8:9]
.LBB19_12:
	s_or_b32 exec_lo, exec_lo, s5
	s_waitcnt lgkmcnt(0)
	v_cmp_ne_u32_e32 vcc_lo, 0, v42
	s_mov_b32 s5, 0
	s_cbranch_vccnz .LBB19_92
; %bb.13:
	s_clause 0x1
	buffer_load_dword v42, v45, s[0:3], 0 offen
	buffer_load_dword v44, v45, s[0:3], 0 offen offset:4
                                        ; implicit-def: $vgpr47
                                        ; implicit-def: $vgpr46
                                        ; implicit-def: $vgpr41
	s_waitcnt vmcnt(0)
	v_cmp_ngt_f32_e64 s5, |v42|, |v44|
	s_and_saveexec_b32 s8, s5
	s_xor_b32 s5, exec_lo, s8
	s_cbranch_execz .LBB19_15
; %bb.14:
	v_div_scale_f32 v41, null, v44, v44, v42
	v_div_scale_f32 v48, vcc_lo, v42, v44, v42
	v_rcp_f32_e32 v46, v41
	v_fma_f32 v47, -v41, v46, 1.0
	v_fmac_f32_e32 v46, v47, v46
	v_mul_f32_e32 v47, v48, v46
	v_fma_f32 v49, -v41, v47, v48
	v_fmac_f32_e32 v47, v49, v46
	v_fma_f32 v41, -v41, v47, v48
	v_div_fmas_f32 v41, v41, v46, v47
	v_div_fixup_f32 v41, v41, v44, v42
	v_fmac_f32_e32 v44, v42, v41
	v_div_scale_f32 v42, null, v44, v44, 1.0
	v_rcp_f32_e32 v46, v42
	v_fma_f32 v47, -v42, v46, 1.0
	v_fmac_f32_e32 v46, v47, v46
	v_div_scale_f32 v47, vcc_lo, 1.0, v44, 1.0
	v_mul_f32_e32 v48, v47, v46
	v_fma_f32 v49, -v42, v48, v47
	v_fmac_f32_e32 v48, v49, v46
	v_fma_f32 v42, -v42, v48, v47
	v_div_fmas_f32 v42, v42, v46, v48
	v_div_fixup_f32 v42, v42, v44, 1.0
                                        ; implicit-def: $vgpr44
	v_mul_f32_e32 v47, v41, v42
	v_xor_b32_e32 v46, 0x80000000, v42
                                        ; implicit-def: $vgpr42
	v_xor_b32_e32 v41, 0x80000000, v47
.LBB19_15:
	s_andn2_saveexec_b32 s5, s5
	s_cbranch_execz .LBB19_17
; %bb.16:
	v_div_scale_f32 v41, null, v42, v42, v44
	v_div_scale_f32 v48, vcc_lo, v44, v42, v44
	v_rcp_f32_e32 v46, v41
	v_fma_f32 v47, -v41, v46, 1.0
	v_fmac_f32_e32 v46, v47, v46
	v_mul_f32_e32 v47, v48, v46
	v_fma_f32 v49, -v41, v47, v48
	v_fmac_f32_e32 v47, v49, v46
	v_fma_f32 v41, -v41, v47, v48
	v_div_fmas_f32 v41, v41, v46, v47
	v_div_fixup_f32 v46, v41, v42, v44
	v_fmac_f32_e32 v42, v44, v46
	v_div_scale_f32 v41, null, v42, v42, 1.0
	v_div_scale_f32 v48, vcc_lo, 1.0, v42, 1.0
	v_rcp_f32_e32 v44, v41
	v_fma_f32 v47, -v41, v44, 1.0
	v_fmac_f32_e32 v44, v47, v44
	v_mul_f32_e32 v47, v48, v44
	v_fma_f32 v49, -v41, v47, v48
	v_fmac_f32_e32 v47, v49, v44
	v_fma_f32 v41, -v41, v47, v48
	v_div_fmas_f32 v41, v41, v44, v47
	v_div_fixup_f32 v47, v41, v42, 1.0
	v_xor_b32_e32 v41, 0x80000000, v47
	v_mul_f32_e64 v46, v46, -v47
.LBB19_17:
	s_or_b32 exec_lo, exec_lo, s5
	buffer_store_dword v47, v45, s[0:3], 0 offen
	buffer_store_dword v46, v45, s[0:3], 0 offen offset:4
	s_clause 0x1
	buffer_load_dword v48, off, s[0:3], 0 offset:12
	buffer_load_dword v47, off, s[0:3], 0 offset:8
	v_xor_b32_e32 v42, 0x80000000, v46
	v_add_nc_u32_e32 v44, 0xa0, v43
	s_waitcnt vmcnt(0)
	ds_write2_b64 v43, v[41:42], v[47:48] offset1:20
	s_waitcnt lgkmcnt(0)
	s_waitcnt_vscnt null, 0x0
	s_barrier
	buffer_gl0_inv
	s_and_saveexec_b32 s5, s4
	s_cbranch_execz .LBB19_19
; %bb.18:
	s_clause 0x1
	buffer_load_dword v48, v45, s[0:3], 0 offen offset:4
	buffer_load_dword v49, v45, s[0:3], 0 offen
	ds_read_b64 v[41:42], v44
	v_mov_b32_e32 v46, 0
	ds_read_b64 v[46:47], v46 offset:8
	s_waitcnt vmcnt(1) lgkmcnt(1)
	v_mul_f32_e32 v50, v41, v48
	v_mul_f32_e32 v48, v42, v48
	s_waitcnt vmcnt(0)
	v_fmac_f32_e32 v50, v42, v49
	v_fma_f32 v41, v41, v49, -v48
	v_add_f32_e32 v42, 0, v50
	v_add_f32_e32 v41, 0, v41
	s_waitcnt lgkmcnt(0)
	v_mul_f32_e32 v48, v42, v47
	v_mul_f32_e32 v47, v41, v47
	v_fma_f32 v41, v41, v46, -v48
	v_fmac_f32_e32 v47, v42, v46
	buffer_store_dword v41, off, s[0:3], 0 offset:8
	buffer_store_dword v47, off, s[0:3], 0 offset:12
.LBB19_19:
	s_or_b32 exec_lo, exec_lo, s5
	s_waitcnt_vscnt null, 0x0
	s_barrier
	buffer_gl0_inv
	s_clause 0x1
	buffer_load_dword v41, off, s[0:3], 0 offset:16
	buffer_load_dword v42, off, s[0:3], 0 offset:20
	s_mov_b32 s5, exec_lo
	s_waitcnt vmcnt(0)
	ds_write_b64 v44, v[41:42]
	s_waitcnt lgkmcnt(0)
	s_barrier
	buffer_gl0_inv
	v_cmpx_gt_u32_e32 2, v0
	s_cbranch_execz .LBB19_23
; %bb.20:
	s_clause 0x1
	buffer_load_dword v46, v45, s[0:3], 0 offen offset:4
	buffer_load_dword v45, v45, s[0:3], 0 offen
	ds_read_b64 v[41:42], v44
	s_waitcnt vmcnt(1) lgkmcnt(0)
	v_mul_f32_e32 v47, v42, v46
	v_mul_f32_e32 v46, v41, v46
	s_waitcnt vmcnt(0)
	v_fma_f32 v41, v41, v45, -v47
	v_fmac_f32_e32 v46, v42, v45
	v_add_f32_e32 v42, 0, v41
	v_add_f32_e32 v41, 0, v46
	s_and_saveexec_b32 s8, s4
	s_cbranch_execz .LBB19_22
; %bb.21:
	s_clause 0x1
	buffer_load_dword v47, off, s[0:3], 0 offset:12
	buffer_load_dword v48, off, s[0:3], 0 offset:8
	v_mov_b32_e32 v45, 0
	ds_read_b64 v[45:46], v45 offset:168
	s_waitcnt vmcnt(1) lgkmcnt(0)
	v_mul_f32_e32 v49, v45, v47
	v_mul_f32_e32 v47, v46, v47
	s_waitcnt vmcnt(0)
	v_fmac_f32_e32 v49, v46, v48
	v_fma_f32 v45, v45, v48, -v47
	v_add_f32_e32 v41, v41, v49
	v_add_f32_e32 v42, v42, v45
.LBB19_22:
	s_or_b32 exec_lo, exec_lo, s8
	v_mov_b32_e32 v45, 0
	ds_read_b64 v[45:46], v45 offset:16
	s_waitcnt lgkmcnt(0)
	v_mul_f32_e32 v47, v41, v46
	v_mul_f32_e32 v46, v42, v46
	v_fma_f32 v42, v42, v45, -v47
	v_fmac_f32_e32 v46, v41, v45
	buffer_store_dword v42, off, s[0:3], 0 offset:16
	buffer_store_dword v46, off, s[0:3], 0 offset:20
.LBB19_23:
	s_or_b32 exec_lo, exec_lo, s5
	s_waitcnt_vscnt null, 0x0
	s_barrier
	buffer_gl0_inv
	s_clause 0x1
	buffer_load_dword v45, off, s[0:3], 0 offset:24
	buffer_load_dword v46, off, s[0:3], 0 offset:28
	v_add_nc_u32_e32 v41, -1, v0
	s_mov_b32 s4, exec_lo
	s_waitcnt vmcnt(0)
	ds_write_b64 v44, v[45:46]
	s_waitcnt lgkmcnt(0)
	s_barrier
	buffer_gl0_inv
	v_cmpx_gt_u32_e32 3, v0
	s_cbranch_execz .LBB19_27
; %bb.24:
	v_add_nc_u32_e32 v45, -1, v0
	v_add_nc_u32_e32 v46, 0xa0, v43
	v_mov_b32_e32 v47, v43
	v_mov_b32_e32 v42, 0
	;; [unrolled: 1-line block ×3, first 2 shown]
	s_mov_b32 s5, 0
	.p2align	6
.LBB19_25:                              ; =>This Inner Loop Header: Depth=1
	s_clause 0x1
	buffer_load_dword v51, v47, s[0:3], 0 offen offset:4
	buffer_load_dword v52, v47, s[0:3], 0 offen
	ds_read_b64 v[49:50], v46
	v_add_nc_u32_e32 v45, 1, v45
	v_add_nc_u32_e32 v46, 8, v46
	;; [unrolled: 1-line block ×3, first 2 shown]
	v_cmp_lt_u32_e32 vcc_lo, 1, v45
	s_or_b32 s5, vcc_lo, s5
	s_waitcnt vmcnt(1) lgkmcnt(0)
	v_mul_f32_e32 v53, v50, v51
	v_mul_f32_e32 v51, v49, v51
	s_waitcnt vmcnt(0)
	v_fma_f32 v49, v49, v52, -v53
	v_fmac_f32_e32 v51, v50, v52
	v_add_f32_e32 v48, v48, v49
	v_add_f32_e32 v42, v42, v51
	s_andn2_b32 exec_lo, exec_lo, s5
	s_cbranch_execnz .LBB19_25
; %bb.26:
	s_or_b32 exec_lo, exec_lo, s5
	v_mov_b32_e32 v45, 0
	ds_read_b64 v[45:46], v45 offset:24
	s_waitcnt lgkmcnt(0)
	v_mul_f32_e32 v47, v42, v46
	v_mul_f32_e32 v46, v48, v46
	v_fma_f32 v47, v48, v45, -v47
	v_fmac_f32_e32 v46, v42, v45
	buffer_store_dword v47, off, s[0:3], 0 offset:24
	buffer_store_dword v46, off, s[0:3], 0 offset:28
.LBB19_27:
	s_or_b32 exec_lo, exec_lo, s4
	s_waitcnt_vscnt null, 0x0
	s_barrier
	buffer_gl0_inv
	s_clause 0x1
	buffer_load_dword v45, off, s[0:3], 0 offset:32
	buffer_load_dword v46, off, s[0:3], 0 offset:36
	s_mov_b32 s4, exec_lo
	s_waitcnt vmcnt(0)
	ds_write_b64 v44, v[45:46]
	s_waitcnt lgkmcnt(0)
	s_barrier
	buffer_gl0_inv
	v_cmpx_gt_u32_e32 4, v0
	s_cbranch_execz .LBB19_31
; %bb.28:
	v_add_nc_u32_e32 v45, -1, v0
	v_add_nc_u32_e32 v46, 0xa0, v43
	v_mov_b32_e32 v47, v43
	v_mov_b32_e32 v42, 0
	;; [unrolled: 1-line block ×3, first 2 shown]
	s_mov_b32 s5, 0
	.p2align	6
.LBB19_29:                              ; =>This Inner Loop Header: Depth=1
	s_clause 0x1
	buffer_load_dword v51, v47, s[0:3], 0 offen offset:4
	buffer_load_dword v52, v47, s[0:3], 0 offen
	ds_read_b64 v[49:50], v46
	v_add_nc_u32_e32 v45, 1, v45
	v_add_nc_u32_e32 v46, 8, v46
	;; [unrolled: 1-line block ×3, first 2 shown]
	v_cmp_lt_u32_e32 vcc_lo, 2, v45
	s_or_b32 s5, vcc_lo, s5
	s_waitcnt vmcnt(1) lgkmcnt(0)
	v_mul_f32_e32 v53, v50, v51
	v_mul_f32_e32 v51, v49, v51
	s_waitcnt vmcnt(0)
	v_fma_f32 v49, v49, v52, -v53
	v_fmac_f32_e32 v51, v50, v52
	v_add_f32_e32 v48, v48, v49
	v_add_f32_e32 v42, v42, v51
	s_andn2_b32 exec_lo, exec_lo, s5
	s_cbranch_execnz .LBB19_29
; %bb.30:
	s_or_b32 exec_lo, exec_lo, s5
	v_mov_b32_e32 v45, 0
	ds_read_b64 v[45:46], v45 offset:32
	s_waitcnt lgkmcnt(0)
	v_mul_f32_e32 v47, v42, v46
	v_mul_f32_e32 v46, v48, v46
	v_fma_f32 v47, v48, v45, -v47
	v_fmac_f32_e32 v46, v42, v45
	buffer_store_dword v47, off, s[0:3], 0 offset:32
	buffer_store_dword v46, off, s[0:3], 0 offset:36
.LBB19_31:
	s_or_b32 exec_lo, exec_lo, s4
	s_waitcnt_vscnt null, 0x0
	s_barrier
	buffer_gl0_inv
	s_clause 0x1
	buffer_load_dword v45, off, s[0:3], 0 offset:40
	buffer_load_dword v46, off, s[0:3], 0 offset:44
	s_mov_b32 s4, exec_lo
	s_waitcnt vmcnt(0)
	ds_write_b64 v44, v[45:46]
	s_waitcnt lgkmcnt(0)
	s_barrier
	buffer_gl0_inv
	v_cmpx_gt_u32_e32 5, v0
	s_cbranch_execz .LBB19_35
; %bb.32:
	v_add_nc_u32_e32 v45, -1, v0
	v_add_nc_u32_e32 v46, 0xa0, v43
	v_mov_b32_e32 v47, v43
	v_mov_b32_e32 v42, 0
	;; [unrolled: 1-line block ×3, first 2 shown]
	s_mov_b32 s5, 0
	.p2align	6
.LBB19_33:                              ; =>This Inner Loop Header: Depth=1
	s_clause 0x1
	buffer_load_dword v51, v47, s[0:3], 0 offen offset:4
	buffer_load_dword v52, v47, s[0:3], 0 offen
	ds_read_b64 v[49:50], v46
	v_add_nc_u32_e32 v45, 1, v45
	v_add_nc_u32_e32 v46, 8, v46
	;; [unrolled: 1-line block ×3, first 2 shown]
	v_cmp_lt_u32_e32 vcc_lo, 3, v45
	s_or_b32 s5, vcc_lo, s5
	s_waitcnt vmcnt(1) lgkmcnt(0)
	v_mul_f32_e32 v53, v50, v51
	v_mul_f32_e32 v51, v49, v51
	s_waitcnt vmcnt(0)
	v_fma_f32 v49, v49, v52, -v53
	v_fmac_f32_e32 v51, v50, v52
	v_add_f32_e32 v48, v48, v49
	v_add_f32_e32 v42, v42, v51
	s_andn2_b32 exec_lo, exec_lo, s5
	s_cbranch_execnz .LBB19_33
; %bb.34:
	s_or_b32 exec_lo, exec_lo, s5
	v_mov_b32_e32 v45, 0
	ds_read_b64 v[45:46], v45 offset:40
	s_waitcnt lgkmcnt(0)
	v_mul_f32_e32 v47, v42, v46
	v_mul_f32_e32 v46, v48, v46
	v_fma_f32 v47, v48, v45, -v47
	v_fmac_f32_e32 v46, v42, v45
	buffer_store_dword v47, off, s[0:3], 0 offset:40
	buffer_store_dword v46, off, s[0:3], 0 offset:44
.LBB19_35:
	s_or_b32 exec_lo, exec_lo, s4
	s_waitcnt_vscnt null, 0x0
	s_barrier
	buffer_gl0_inv
	s_clause 0x1
	buffer_load_dword v45, off, s[0:3], 0 offset:48
	buffer_load_dword v46, off, s[0:3], 0 offset:52
	s_mov_b32 s4, exec_lo
	s_waitcnt vmcnt(0)
	ds_write_b64 v44, v[45:46]
	s_waitcnt lgkmcnt(0)
	s_barrier
	buffer_gl0_inv
	v_cmpx_gt_u32_e32 6, v0
	s_cbranch_execz .LBB19_39
; %bb.36:
	v_add_nc_u32_e32 v45, -1, v0
	v_add_nc_u32_e32 v46, 0xa0, v43
	v_mov_b32_e32 v47, v43
	v_mov_b32_e32 v42, 0
	;; [unrolled: 1-line block ×3, first 2 shown]
	s_mov_b32 s5, 0
	.p2align	6
.LBB19_37:                              ; =>This Inner Loop Header: Depth=1
	s_clause 0x1
	buffer_load_dword v51, v47, s[0:3], 0 offen offset:4
	buffer_load_dword v52, v47, s[0:3], 0 offen
	ds_read_b64 v[49:50], v46
	v_add_nc_u32_e32 v45, 1, v45
	v_add_nc_u32_e32 v46, 8, v46
	;; [unrolled: 1-line block ×3, first 2 shown]
	v_cmp_lt_u32_e32 vcc_lo, 4, v45
	s_or_b32 s5, vcc_lo, s5
	s_waitcnt vmcnt(1) lgkmcnt(0)
	v_mul_f32_e32 v53, v50, v51
	v_mul_f32_e32 v51, v49, v51
	s_waitcnt vmcnt(0)
	v_fma_f32 v49, v49, v52, -v53
	v_fmac_f32_e32 v51, v50, v52
	v_add_f32_e32 v48, v48, v49
	v_add_f32_e32 v42, v42, v51
	s_andn2_b32 exec_lo, exec_lo, s5
	s_cbranch_execnz .LBB19_37
; %bb.38:
	s_or_b32 exec_lo, exec_lo, s5
	v_mov_b32_e32 v45, 0
	ds_read_b64 v[45:46], v45 offset:48
	s_waitcnt lgkmcnt(0)
	v_mul_f32_e32 v47, v42, v46
	v_mul_f32_e32 v46, v48, v46
	v_fma_f32 v47, v48, v45, -v47
	v_fmac_f32_e32 v46, v42, v45
	buffer_store_dword v47, off, s[0:3], 0 offset:48
	buffer_store_dword v46, off, s[0:3], 0 offset:52
.LBB19_39:
	s_or_b32 exec_lo, exec_lo, s4
	s_waitcnt_vscnt null, 0x0
	s_barrier
	buffer_gl0_inv
	s_clause 0x1
	buffer_load_dword v45, off, s[0:3], 0 offset:56
	buffer_load_dword v46, off, s[0:3], 0 offset:60
	s_mov_b32 s4, exec_lo
	s_waitcnt vmcnt(0)
	ds_write_b64 v44, v[45:46]
	s_waitcnt lgkmcnt(0)
	s_barrier
	buffer_gl0_inv
	v_cmpx_gt_u32_e32 7, v0
	s_cbranch_execz .LBB19_43
; %bb.40:
	v_add_nc_u32_e32 v45, -1, v0
	v_add_nc_u32_e32 v46, 0xa0, v43
	v_mov_b32_e32 v47, v43
	v_mov_b32_e32 v42, 0
	;; [unrolled: 1-line block ×3, first 2 shown]
	s_mov_b32 s5, 0
	.p2align	6
.LBB19_41:                              ; =>This Inner Loop Header: Depth=1
	s_clause 0x1
	buffer_load_dword v51, v47, s[0:3], 0 offen offset:4
	buffer_load_dword v52, v47, s[0:3], 0 offen
	ds_read_b64 v[49:50], v46
	v_add_nc_u32_e32 v45, 1, v45
	v_add_nc_u32_e32 v46, 8, v46
	;; [unrolled: 1-line block ×3, first 2 shown]
	v_cmp_lt_u32_e32 vcc_lo, 5, v45
	s_or_b32 s5, vcc_lo, s5
	s_waitcnt vmcnt(1) lgkmcnt(0)
	v_mul_f32_e32 v53, v50, v51
	v_mul_f32_e32 v51, v49, v51
	s_waitcnt vmcnt(0)
	v_fma_f32 v49, v49, v52, -v53
	v_fmac_f32_e32 v51, v50, v52
	v_add_f32_e32 v48, v48, v49
	v_add_f32_e32 v42, v42, v51
	s_andn2_b32 exec_lo, exec_lo, s5
	s_cbranch_execnz .LBB19_41
; %bb.42:
	s_or_b32 exec_lo, exec_lo, s5
	v_mov_b32_e32 v45, 0
	ds_read_b64 v[45:46], v45 offset:56
	s_waitcnt lgkmcnt(0)
	v_mul_f32_e32 v47, v42, v46
	v_mul_f32_e32 v46, v48, v46
	v_fma_f32 v47, v48, v45, -v47
	v_fmac_f32_e32 v46, v42, v45
	buffer_store_dword v47, off, s[0:3], 0 offset:56
	buffer_store_dword v46, off, s[0:3], 0 offset:60
.LBB19_43:
	s_or_b32 exec_lo, exec_lo, s4
	s_waitcnt_vscnt null, 0x0
	s_barrier
	buffer_gl0_inv
	s_clause 0x1
	buffer_load_dword v45, off, s[0:3], 0 offset:64
	buffer_load_dword v46, off, s[0:3], 0 offset:68
	s_mov_b32 s4, exec_lo
	s_waitcnt vmcnt(0)
	ds_write_b64 v44, v[45:46]
	s_waitcnt lgkmcnt(0)
	s_barrier
	buffer_gl0_inv
	v_cmpx_gt_u32_e32 8, v0
	s_cbranch_execz .LBB19_47
; %bb.44:
	v_add_nc_u32_e32 v45, -1, v0
	v_add_nc_u32_e32 v46, 0xa0, v43
	v_mov_b32_e32 v47, v43
	v_mov_b32_e32 v42, 0
	;; [unrolled: 1-line block ×3, first 2 shown]
	s_mov_b32 s5, 0
	.p2align	6
.LBB19_45:                              ; =>This Inner Loop Header: Depth=1
	s_clause 0x1
	buffer_load_dword v51, v47, s[0:3], 0 offen offset:4
	buffer_load_dword v52, v47, s[0:3], 0 offen
	ds_read_b64 v[49:50], v46
	v_add_nc_u32_e32 v45, 1, v45
	v_add_nc_u32_e32 v46, 8, v46
	;; [unrolled: 1-line block ×3, first 2 shown]
	v_cmp_lt_u32_e32 vcc_lo, 6, v45
	s_or_b32 s5, vcc_lo, s5
	s_waitcnt vmcnt(1) lgkmcnt(0)
	v_mul_f32_e32 v53, v50, v51
	v_mul_f32_e32 v51, v49, v51
	s_waitcnt vmcnt(0)
	v_fma_f32 v49, v49, v52, -v53
	v_fmac_f32_e32 v51, v50, v52
	v_add_f32_e32 v48, v48, v49
	v_add_f32_e32 v42, v42, v51
	s_andn2_b32 exec_lo, exec_lo, s5
	s_cbranch_execnz .LBB19_45
; %bb.46:
	s_or_b32 exec_lo, exec_lo, s5
	v_mov_b32_e32 v45, 0
	ds_read_b64 v[45:46], v45 offset:64
	s_waitcnt lgkmcnt(0)
	v_mul_f32_e32 v47, v42, v46
	v_mul_f32_e32 v46, v48, v46
	v_fma_f32 v47, v48, v45, -v47
	v_fmac_f32_e32 v46, v42, v45
	buffer_store_dword v47, off, s[0:3], 0 offset:64
	buffer_store_dword v46, off, s[0:3], 0 offset:68
.LBB19_47:
	s_or_b32 exec_lo, exec_lo, s4
	s_waitcnt_vscnt null, 0x0
	s_barrier
	buffer_gl0_inv
	s_clause 0x1
	buffer_load_dword v45, off, s[0:3], 0 offset:72
	buffer_load_dword v46, off, s[0:3], 0 offset:76
	s_mov_b32 s4, exec_lo
	s_waitcnt vmcnt(0)
	ds_write_b64 v44, v[45:46]
	s_waitcnt lgkmcnt(0)
	s_barrier
	buffer_gl0_inv
	v_cmpx_gt_u32_e32 9, v0
	s_cbranch_execz .LBB19_51
; %bb.48:
	v_add_nc_u32_e32 v45, -1, v0
	v_add_nc_u32_e32 v46, 0xa0, v43
	v_mov_b32_e32 v47, v43
	v_mov_b32_e32 v42, 0
	;; [unrolled: 1-line block ×3, first 2 shown]
	s_mov_b32 s5, 0
	.p2align	6
.LBB19_49:                              ; =>This Inner Loop Header: Depth=1
	s_clause 0x1
	buffer_load_dword v51, v47, s[0:3], 0 offen offset:4
	buffer_load_dword v52, v47, s[0:3], 0 offen
	ds_read_b64 v[49:50], v46
	v_add_nc_u32_e32 v45, 1, v45
	v_add_nc_u32_e32 v46, 8, v46
	;; [unrolled: 1-line block ×3, first 2 shown]
	v_cmp_lt_u32_e32 vcc_lo, 7, v45
	s_or_b32 s5, vcc_lo, s5
	s_waitcnt vmcnt(1) lgkmcnt(0)
	v_mul_f32_e32 v53, v50, v51
	v_mul_f32_e32 v51, v49, v51
	s_waitcnt vmcnt(0)
	v_fma_f32 v49, v49, v52, -v53
	v_fmac_f32_e32 v51, v50, v52
	v_add_f32_e32 v48, v48, v49
	v_add_f32_e32 v42, v42, v51
	s_andn2_b32 exec_lo, exec_lo, s5
	s_cbranch_execnz .LBB19_49
; %bb.50:
	s_or_b32 exec_lo, exec_lo, s5
	v_mov_b32_e32 v45, 0
	ds_read_b64 v[45:46], v45 offset:72
	s_waitcnt lgkmcnt(0)
	v_mul_f32_e32 v47, v42, v46
	v_mul_f32_e32 v46, v48, v46
	v_fma_f32 v47, v48, v45, -v47
	v_fmac_f32_e32 v46, v42, v45
	buffer_store_dword v47, off, s[0:3], 0 offset:72
	buffer_store_dword v46, off, s[0:3], 0 offset:76
.LBB19_51:
	s_or_b32 exec_lo, exec_lo, s4
	s_waitcnt_vscnt null, 0x0
	s_barrier
	buffer_gl0_inv
	s_clause 0x1
	buffer_load_dword v45, off, s[0:3], 0 offset:80
	buffer_load_dword v46, off, s[0:3], 0 offset:84
	s_mov_b32 s4, exec_lo
	s_waitcnt vmcnt(0)
	ds_write_b64 v44, v[45:46]
	s_waitcnt lgkmcnt(0)
	s_barrier
	buffer_gl0_inv
	v_cmpx_gt_u32_e32 10, v0
	s_cbranch_execz .LBB19_55
; %bb.52:
	v_add_nc_u32_e32 v45, -1, v0
	v_add_nc_u32_e32 v46, 0xa0, v43
	v_mov_b32_e32 v47, v43
	v_mov_b32_e32 v42, 0
	v_mov_b32_e32 v48, 0
	s_mov_b32 s5, 0
	.p2align	6
.LBB19_53:                              ; =>This Inner Loop Header: Depth=1
	s_clause 0x1
	buffer_load_dword v51, v47, s[0:3], 0 offen offset:4
	buffer_load_dword v52, v47, s[0:3], 0 offen
	ds_read_b64 v[49:50], v46
	v_add_nc_u32_e32 v45, 1, v45
	v_add_nc_u32_e32 v46, 8, v46
	;; [unrolled: 1-line block ×3, first 2 shown]
	v_cmp_lt_u32_e32 vcc_lo, 8, v45
	s_or_b32 s5, vcc_lo, s5
	s_waitcnt vmcnt(1) lgkmcnt(0)
	v_mul_f32_e32 v53, v50, v51
	v_mul_f32_e32 v51, v49, v51
	s_waitcnt vmcnt(0)
	v_fma_f32 v49, v49, v52, -v53
	v_fmac_f32_e32 v51, v50, v52
	v_add_f32_e32 v48, v48, v49
	v_add_f32_e32 v42, v42, v51
	s_andn2_b32 exec_lo, exec_lo, s5
	s_cbranch_execnz .LBB19_53
; %bb.54:
	s_or_b32 exec_lo, exec_lo, s5
	v_mov_b32_e32 v45, 0
	ds_read_b64 v[45:46], v45 offset:80
	s_waitcnt lgkmcnt(0)
	v_mul_f32_e32 v47, v42, v46
	v_mul_f32_e32 v46, v48, v46
	v_fma_f32 v47, v48, v45, -v47
	v_fmac_f32_e32 v46, v42, v45
	buffer_store_dword v47, off, s[0:3], 0 offset:80
	buffer_store_dword v46, off, s[0:3], 0 offset:84
.LBB19_55:
	s_or_b32 exec_lo, exec_lo, s4
	s_waitcnt_vscnt null, 0x0
	s_barrier
	buffer_gl0_inv
	s_clause 0x1
	buffer_load_dword v45, off, s[0:3], 0 offset:88
	buffer_load_dword v46, off, s[0:3], 0 offset:92
	s_mov_b32 s4, exec_lo
	s_waitcnt vmcnt(0)
	ds_write_b64 v44, v[45:46]
	s_waitcnt lgkmcnt(0)
	s_barrier
	buffer_gl0_inv
	v_cmpx_gt_u32_e32 11, v0
	s_cbranch_execz .LBB19_59
; %bb.56:
	v_add_nc_u32_e32 v45, -1, v0
	v_add_nc_u32_e32 v46, 0xa0, v43
	v_mov_b32_e32 v47, v43
	v_mov_b32_e32 v42, 0
	;; [unrolled: 1-line block ×3, first 2 shown]
	s_mov_b32 s5, 0
	.p2align	6
.LBB19_57:                              ; =>This Inner Loop Header: Depth=1
	s_clause 0x1
	buffer_load_dword v51, v47, s[0:3], 0 offen offset:4
	buffer_load_dword v52, v47, s[0:3], 0 offen
	ds_read_b64 v[49:50], v46
	v_add_nc_u32_e32 v45, 1, v45
	v_add_nc_u32_e32 v46, 8, v46
	;; [unrolled: 1-line block ×3, first 2 shown]
	v_cmp_lt_u32_e32 vcc_lo, 9, v45
	s_or_b32 s5, vcc_lo, s5
	s_waitcnt vmcnt(1) lgkmcnt(0)
	v_mul_f32_e32 v53, v50, v51
	v_mul_f32_e32 v51, v49, v51
	s_waitcnt vmcnt(0)
	v_fma_f32 v49, v49, v52, -v53
	v_fmac_f32_e32 v51, v50, v52
	v_add_f32_e32 v48, v48, v49
	v_add_f32_e32 v42, v42, v51
	s_andn2_b32 exec_lo, exec_lo, s5
	s_cbranch_execnz .LBB19_57
; %bb.58:
	s_or_b32 exec_lo, exec_lo, s5
	v_mov_b32_e32 v45, 0
	ds_read_b64 v[45:46], v45 offset:88
	s_waitcnt lgkmcnt(0)
	v_mul_f32_e32 v47, v42, v46
	v_mul_f32_e32 v46, v48, v46
	v_fma_f32 v47, v48, v45, -v47
	v_fmac_f32_e32 v46, v42, v45
	buffer_store_dword v47, off, s[0:3], 0 offset:88
	buffer_store_dword v46, off, s[0:3], 0 offset:92
.LBB19_59:
	s_or_b32 exec_lo, exec_lo, s4
	s_waitcnt_vscnt null, 0x0
	s_barrier
	buffer_gl0_inv
	s_clause 0x1
	buffer_load_dword v45, off, s[0:3], 0 offset:96
	buffer_load_dword v46, off, s[0:3], 0 offset:100
	s_mov_b32 s4, exec_lo
	s_waitcnt vmcnt(0)
	ds_write_b64 v44, v[45:46]
	s_waitcnt lgkmcnt(0)
	s_barrier
	buffer_gl0_inv
	v_cmpx_gt_u32_e32 12, v0
	s_cbranch_execz .LBB19_63
; %bb.60:
	v_add_nc_u32_e32 v45, -1, v0
	v_add_nc_u32_e32 v46, 0xa0, v43
	v_mov_b32_e32 v47, v43
	v_mov_b32_e32 v42, 0
	;; [unrolled: 1-line block ×3, first 2 shown]
	s_mov_b32 s5, 0
	.p2align	6
.LBB19_61:                              ; =>This Inner Loop Header: Depth=1
	s_clause 0x1
	buffer_load_dword v51, v47, s[0:3], 0 offen offset:4
	buffer_load_dword v52, v47, s[0:3], 0 offen
	ds_read_b64 v[49:50], v46
	v_add_nc_u32_e32 v45, 1, v45
	v_add_nc_u32_e32 v46, 8, v46
	;; [unrolled: 1-line block ×3, first 2 shown]
	v_cmp_lt_u32_e32 vcc_lo, 10, v45
	s_or_b32 s5, vcc_lo, s5
	s_waitcnt vmcnt(1) lgkmcnt(0)
	v_mul_f32_e32 v53, v50, v51
	v_mul_f32_e32 v51, v49, v51
	s_waitcnt vmcnt(0)
	v_fma_f32 v49, v49, v52, -v53
	v_fmac_f32_e32 v51, v50, v52
	v_add_f32_e32 v48, v48, v49
	v_add_f32_e32 v42, v42, v51
	s_andn2_b32 exec_lo, exec_lo, s5
	s_cbranch_execnz .LBB19_61
; %bb.62:
	s_or_b32 exec_lo, exec_lo, s5
	v_mov_b32_e32 v45, 0
	ds_read_b64 v[45:46], v45 offset:96
	s_waitcnt lgkmcnt(0)
	v_mul_f32_e32 v47, v42, v46
	v_mul_f32_e32 v46, v48, v46
	v_fma_f32 v47, v48, v45, -v47
	v_fmac_f32_e32 v46, v42, v45
	buffer_store_dword v47, off, s[0:3], 0 offset:96
	buffer_store_dword v46, off, s[0:3], 0 offset:100
.LBB19_63:
	s_or_b32 exec_lo, exec_lo, s4
	s_waitcnt_vscnt null, 0x0
	s_barrier
	buffer_gl0_inv
	s_clause 0x1
	buffer_load_dword v45, off, s[0:3], 0 offset:104
	buffer_load_dword v46, off, s[0:3], 0 offset:108
	s_mov_b32 s4, exec_lo
	s_waitcnt vmcnt(0)
	ds_write_b64 v44, v[45:46]
	s_waitcnt lgkmcnt(0)
	s_barrier
	buffer_gl0_inv
	v_cmpx_gt_u32_e32 13, v0
	s_cbranch_execz .LBB19_67
; %bb.64:
	v_add_nc_u32_e32 v45, -1, v0
	v_add_nc_u32_e32 v46, 0xa0, v43
	v_mov_b32_e32 v47, v43
	v_mov_b32_e32 v42, 0
	;; [unrolled: 1-line block ×3, first 2 shown]
	s_mov_b32 s5, 0
	.p2align	6
.LBB19_65:                              ; =>This Inner Loop Header: Depth=1
	s_clause 0x1
	buffer_load_dword v51, v47, s[0:3], 0 offen offset:4
	buffer_load_dword v52, v47, s[0:3], 0 offen
	ds_read_b64 v[49:50], v46
	v_add_nc_u32_e32 v45, 1, v45
	v_add_nc_u32_e32 v46, 8, v46
	;; [unrolled: 1-line block ×3, first 2 shown]
	v_cmp_lt_u32_e32 vcc_lo, 11, v45
	s_or_b32 s5, vcc_lo, s5
	s_waitcnt vmcnt(1) lgkmcnt(0)
	v_mul_f32_e32 v53, v50, v51
	v_mul_f32_e32 v51, v49, v51
	s_waitcnt vmcnt(0)
	v_fma_f32 v49, v49, v52, -v53
	v_fmac_f32_e32 v51, v50, v52
	v_add_f32_e32 v48, v48, v49
	v_add_f32_e32 v42, v42, v51
	s_andn2_b32 exec_lo, exec_lo, s5
	s_cbranch_execnz .LBB19_65
; %bb.66:
	s_or_b32 exec_lo, exec_lo, s5
	v_mov_b32_e32 v45, 0
	ds_read_b64 v[45:46], v45 offset:104
	s_waitcnt lgkmcnt(0)
	v_mul_f32_e32 v47, v42, v46
	v_mul_f32_e32 v46, v48, v46
	v_fma_f32 v47, v48, v45, -v47
	v_fmac_f32_e32 v46, v42, v45
	buffer_store_dword v47, off, s[0:3], 0 offset:104
	buffer_store_dword v46, off, s[0:3], 0 offset:108
.LBB19_67:
	s_or_b32 exec_lo, exec_lo, s4
	s_waitcnt_vscnt null, 0x0
	s_barrier
	buffer_gl0_inv
	s_clause 0x1
	buffer_load_dword v45, off, s[0:3], 0 offset:112
	buffer_load_dword v46, off, s[0:3], 0 offset:116
	s_mov_b32 s4, exec_lo
	s_waitcnt vmcnt(0)
	ds_write_b64 v44, v[45:46]
	s_waitcnt lgkmcnt(0)
	s_barrier
	buffer_gl0_inv
	v_cmpx_gt_u32_e32 14, v0
	s_cbranch_execz .LBB19_71
; %bb.68:
	v_add_nc_u32_e32 v45, -1, v0
	v_add_nc_u32_e32 v46, 0xa0, v43
	v_mov_b32_e32 v47, v43
	v_mov_b32_e32 v42, 0
	;; [unrolled: 1-line block ×3, first 2 shown]
	s_mov_b32 s5, 0
	.p2align	6
.LBB19_69:                              ; =>This Inner Loop Header: Depth=1
	s_clause 0x1
	buffer_load_dword v51, v47, s[0:3], 0 offen offset:4
	buffer_load_dword v52, v47, s[0:3], 0 offen
	ds_read_b64 v[49:50], v46
	v_add_nc_u32_e32 v45, 1, v45
	v_add_nc_u32_e32 v46, 8, v46
	;; [unrolled: 1-line block ×3, first 2 shown]
	v_cmp_lt_u32_e32 vcc_lo, 12, v45
	s_or_b32 s5, vcc_lo, s5
	s_waitcnt vmcnt(1) lgkmcnt(0)
	v_mul_f32_e32 v53, v50, v51
	v_mul_f32_e32 v51, v49, v51
	s_waitcnt vmcnt(0)
	v_fma_f32 v49, v49, v52, -v53
	v_fmac_f32_e32 v51, v50, v52
	v_add_f32_e32 v48, v48, v49
	v_add_f32_e32 v42, v42, v51
	s_andn2_b32 exec_lo, exec_lo, s5
	s_cbranch_execnz .LBB19_69
; %bb.70:
	s_or_b32 exec_lo, exec_lo, s5
	v_mov_b32_e32 v45, 0
	ds_read_b64 v[45:46], v45 offset:112
	s_waitcnt lgkmcnt(0)
	v_mul_f32_e32 v47, v42, v46
	v_mul_f32_e32 v46, v48, v46
	v_fma_f32 v47, v48, v45, -v47
	v_fmac_f32_e32 v46, v42, v45
	buffer_store_dword v47, off, s[0:3], 0 offset:112
	buffer_store_dword v46, off, s[0:3], 0 offset:116
.LBB19_71:
	s_or_b32 exec_lo, exec_lo, s4
	s_waitcnt_vscnt null, 0x0
	s_barrier
	buffer_gl0_inv
	s_clause 0x1
	buffer_load_dword v45, off, s[0:3], 0 offset:120
	buffer_load_dword v46, off, s[0:3], 0 offset:124
	s_mov_b32 s4, exec_lo
	s_waitcnt vmcnt(0)
	ds_write_b64 v44, v[45:46]
	s_waitcnt lgkmcnt(0)
	s_barrier
	buffer_gl0_inv
	v_cmpx_gt_u32_e32 15, v0
	s_cbranch_execz .LBB19_75
; %bb.72:
	v_add_nc_u32_e32 v45, -1, v0
	v_add_nc_u32_e32 v46, 0xa0, v43
	v_mov_b32_e32 v47, v43
	v_mov_b32_e32 v42, 0
	v_mov_b32_e32 v48, 0
	s_mov_b32 s5, 0
	.p2align	6
.LBB19_73:                              ; =>This Inner Loop Header: Depth=1
	s_clause 0x1
	buffer_load_dword v51, v47, s[0:3], 0 offen offset:4
	buffer_load_dword v52, v47, s[0:3], 0 offen
	ds_read_b64 v[49:50], v46
	v_add_nc_u32_e32 v45, 1, v45
	v_add_nc_u32_e32 v46, 8, v46
	;; [unrolled: 1-line block ×3, first 2 shown]
	v_cmp_lt_u32_e32 vcc_lo, 13, v45
	s_or_b32 s5, vcc_lo, s5
	s_waitcnt vmcnt(1) lgkmcnt(0)
	v_mul_f32_e32 v53, v50, v51
	v_mul_f32_e32 v51, v49, v51
	s_waitcnt vmcnt(0)
	v_fma_f32 v49, v49, v52, -v53
	v_fmac_f32_e32 v51, v50, v52
	v_add_f32_e32 v48, v48, v49
	v_add_f32_e32 v42, v42, v51
	s_andn2_b32 exec_lo, exec_lo, s5
	s_cbranch_execnz .LBB19_73
; %bb.74:
	s_or_b32 exec_lo, exec_lo, s5
	v_mov_b32_e32 v45, 0
	ds_read_b64 v[45:46], v45 offset:120
	s_waitcnt lgkmcnt(0)
	v_mul_f32_e32 v47, v42, v46
	v_mul_f32_e32 v46, v48, v46
	v_fma_f32 v47, v48, v45, -v47
	v_fmac_f32_e32 v46, v42, v45
	buffer_store_dword v47, off, s[0:3], 0 offset:120
	buffer_store_dword v46, off, s[0:3], 0 offset:124
.LBB19_75:
	s_or_b32 exec_lo, exec_lo, s4
	s_waitcnt_vscnt null, 0x0
	s_barrier
	buffer_gl0_inv
	s_clause 0x1
	buffer_load_dword v45, off, s[0:3], 0 offset:128
	buffer_load_dword v46, off, s[0:3], 0 offset:132
	s_mov_b32 s4, exec_lo
	s_waitcnt vmcnt(0)
	ds_write_b64 v44, v[45:46]
	s_waitcnt lgkmcnt(0)
	s_barrier
	buffer_gl0_inv
	v_cmpx_gt_u32_e32 16, v0
	s_cbranch_execz .LBB19_79
; %bb.76:
	v_add_nc_u32_e32 v45, -1, v0
	v_add_nc_u32_e32 v46, 0xa0, v43
	v_mov_b32_e32 v47, v43
	v_mov_b32_e32 v42, 0
	;; [unrolled: 1-line block ×3, first 2 shown]
	s_mov_b32 s5, 0
	.p2align	6
.LBB19_77:                              ; =>This Inner Loop Header: Depth=1
	s_clause 0x1
	buffer_load_dword v51, v47, s[0:3], 0 offen offset:4
	buffer_load_dword v52, v47, s[0:3], 0 offen
	ds_read_b64 v[49:50], v46
	v_add_nc_u32_e32 v45, 1, v45
	v_add_nc_u32_e32 v46, 8, v46
	;; [unrolled: 1-line block ×3, first 2 shown]
	v_cmp_lt_u32_e32 vcc_lo, 14, v45
	s_or_b32 s5, vcc_lo, s5
	s_waitcnt vmcnt(1) lgkmcnt(0)
	v_mul_f32_e32 v53, v50, v51
	v_mul_f32_e32 v51, v49, v51
	s_waitcnt vmcnt(0)
	v_fma_f32 v49, v49, v52, -v53
	v_fmac_f32_e32 v51, v50, v52
	v_add_f32_e32 v48, v48, v49
	v_add_f32_e32 v42, v42, v51
	s_andn2_b32 exec_lo, exec_lo, s5
	s_cbranch_execnz .LBB19_77
; %bb.78:
	s_or_b32 exec_lo, exec_lo, s5
	v_mov_b32_e32 v45, 0
	ds_read_b64 v[45:46], v45 offset:128
	s_waitcnt lgkmcnt(0)
	v_mul_f32_e32 v47, v42, v46
	v_mul_f32_e32 v46, v48, v46
	v_fma_f32 v47, v48, v45, -v47
	v_fmac_f32_e32 v46, v42, v45
	buffer_store_dword v47, off, s[0:3], 0 offset:128
	buffer_store_dword v46, off, s[0:3], 0 offset:132
.LBB19_79:
	s_or_b32 exec_lo, exec_lo, s4
	s_waitcnt_vscnt null, 0x0
	s_barrier
	buffer_gl0_inv
	s_clause 0x1
	buffer_load_dword v45, off, s[0:3], 0 offset:136
	buffer_load_dword v46, off, s[0:3], 0 offset:140
	s_mov_b32 s4, exec_lo
	s_waitcnt vmcnt(0)
	ds_write_b64 v44, v[45:46]
	s_waitcnt lgkmcnt(0)
	s_barrier
	buffer_gl0_inv
	v_cmpx_gt_u32_e32 17, v0
	s_cbranch_execz .LBB19_83
; %bb.80:
	v_add_nc_u32_e32 v45, -1, v0
	v_add_nc_u32_e32 v46, 0xa0, v43
	v_mov_b32_e32 v47, v43
	v_mov_b32_e32 v42, 0
	;; [unrolled: 1-line block ×3, first 2 shown]
	s_mov_b32 s5, 0
	.p2align	6
.LBB19_81:                              ; =>This Inner Loop Header: Depth=1
	s_clause 0x1
	buffer_load_dword v51, v47, s[0:3], 0 offen offset:4
	buffer_load_dword v52, v47, s[0:3], 0 offen
	ds_read_b64 v[49:50], v46
	v_add_nc_u32_e32 v45, 1, v45
	v_add_nc_u32_e32 v46, 8, v46
	;; [unrolled: 1-line block ×3, first 2 shown]
	v_cmp_lt_u32_e32 vcc_lo, 15, v45
	s_or_b32 s5, vcc_lo, s5
	s_waitcnt vmcnt(1) lgkmcnt(0)
	v_mul_f32_e32 v53, v50, v51
	v_mul_f32_e32 v51, v49, v51
	s_waitcnt vmcnt(0)
	v_fma_f32 v49, v49, v52, -v53
	v_fmac_f32_e32 v51, v50, v52
	v_add_f32_e32 v48, v48, v49
	v_add_f32_e32 v42, v42, v51
	s_andn2_b32 exec_lo, exec_lo, s5
	s_cbranch_execnz .LBB19_81
; %bb.82:
	s_or_b32 exec_lo, exec_lo, s5
	v_mov_b32_e32 v45, 0
	ds_read_b64 v[45:46], v45 offset:136
	s_waitcnt lgkmcnt(0)
	v_mul_f32_e32 v47, v42, v46
	v_mul_f32_e32 v46, v48, v46
	v_fma_f32 v47, v48, v45, -v47
	v_fmac_f32_e32 v46, v42, v45
	buffer_store_dword v47, off, s[0:3], 0 offset:136
	buffer_store_dword v46, off, s[0:3], 0 offset:140
.LBB19_83:
	s_or_b32 exec_lo, exec_lo, s4
	s_waitcnt_vscnt null, 0x0
	s_barrier
	buffer_gl0_inv
	s_clause 0x1
	buffer_load_dword v45, off, s[0:3], 0 offset:144
	buffer_load_dword v46, off, s[0:3], 0 offset:148
	s_mov_b32 s4, exec_lo
	s_waitcnt vmcnt(0)
	ds_write_b64 v44, v[45:46]
	s_waitcnt lgkmcnt(0)
	s_barrier
	buffer_gl0_inv
	v_cmpx_gt_u32_e32 18, v0
	s_cbranch_execz .LBB19_87
; %bb.84:
	v_add_nc_u32_e32 v45, -1, v0
	v_add_nc_u32_e32 v46, 0xa0, v43
	v_mov_b32_e32 v47, v43
	v_mov_b32_e32 v42, 0
	;; [unrolled: 1-line block ×3, first 2 shown]
	s_mov_b32 s5, 0
	.p2align	6
.LBB19_85:                              ; =>This Inner Loop Header: Depth=1
	s_clause 0x1
	buffer_load_dword v51, v47, s[0:3], 0 offen offset:4
	buffer_load_dword v52, v47, s[0:3], 0 offen
	ds_read_b64 v[49:50], v46
	v_add_nc_u32_e32 v45, 1, v45
	v_add_nc_u32_e32 v46, 8, v46
	;; [unrolled: 1-line block ×3, first 2 shown]
	v_cmp_lt_u32_e32 vcc_lo, 16, v45
	s_or_b32 s5, vcc_lo, s5
	s_waitcnt vmcnt(1) lgkmcnt(0)
	v_mul_f32_e32 v53, v50, v51
	v_mul_f32_e32 v51, v49, v51
	s_waitcnt vmcnt(0)
	v_fma_f32 v49, v49, v52, -v53
	v_fmac_f32_e32 v51, v50, v52
	v_add_f32_e32 v48, v48, v49
	v_add_f32_e32 v42, v42, v51
	s_andn2_b32 exec_lo, exec_lo, s5
	s_cbranch_execnz .LBB19_85
; %bb.86:
	s_or_b32 exec_lo, exec_lo, s5
	v_mov_b32_e32 v45, 0
	ds_read_b64 v[45:46], v45 offset:144
	s_waitcnt lgkmcnt(0)
	v_mul_f32_e32 v47, v42, v46
	v_mul_f32_e32 v46, v48, v46
	v_fma_f32 v47, v48, v45, -v47
	v_fmac_f32_e32 v46, v42, v45
	buffer_store_dword v47, off, s[0:3], 0 offset:144
	buffer_store_dword v46, off, s[0:3], 0 offset:148
.LBB19_87:
	s_or_b32 exec_lo, exec_lo, s4
	s_waitcnt_vscnt null, 0x0
	s_barrier
	buffer_gl0_inv
	s_clause 0x1
	buffer_load_dword v45, off, s[0:3], 0 offset:152
	buffer_load_dword v46, off, s[0:3], 0 offset:156
	s_mov_b32 s4, exec_lo
	s_waitcnt vmcnt(0)
	ds_write_b64 v44, v[45:46]
	s_waitcnt lgkmcnt(0)
	s_barrier
	buffer_gl0_inv
	v_cmpx_ne_u32_e32 19, v0
	s_cbranch_execz .LBB19_91
; %bb.88:
	v_mov_b32_e32 v42, 0
	v_mov_b32_e32 v45, 0
	s_mov_b32 s5, 0
	.p2align	6
.LBB19_89:                              ; =>This Inner Loop Header: Depth=1
	s_clause 0x1
	buffer_load_dword v48, v43, s[0:3], 0 offen offset:4
	buffer_load_dword v49, v43, s[0:3], 0 offen
	ds_read_b64 v[46:47], v44
	v_add_nc_u32_e32 v41, 1, v41
	v_add_nc_u32_e32 v44, 8, v44
	;; [unrolled: 1-line block ×3, first 2 shown]
	v_cmp_lt_u32_e32 vcc_lo, 17, v41
	s_or_b32 s5, vcc_lo, s5
	s_waitcnt vmcnt(1) lgkmcnt(0)
	v_mul_f32_e32 v50, v47, v48
	v_mul_f32_e32 v48, v46, v48
	s_waitcnt vmcnt(0)
	v_fma_f32 v46, v46, v49, -v50
	v_fmac_f32_e32 v48, v47, v49
	v_add_f32_e32 v45, v45, v46
	v_add_f32_e32 v42, v42, v48
	s_andn2_b32 exec_lo, exec_lo, s5
	s_cbranch_execnz .LBB19_89
; %bb.90:
	s_or_b32 exec_lo, exec_lo, s5
	v_mov_b32_e32 v41, 0
	ds_read_b64 v[43:44], v41 offset:152
	s_waitcnt lgkmcnt(0)
	v_mul_f32_e32 v41, v42, v44
	v_mul_f32_e32 v44, v45, v44
	v_fma_f32 v41, v45, v43, -v41
	v_fmac_f32_e32 v44, v42, v43
	buffer_store_dword v41, off, s[0:3], 0 offset:152
	buffer_store_dword v44, off, s[0:3], 0 offset:156
.LBB19_91:
	s_or_b32 exec_lo, exec_lo, s4
	s_mov_b32 s5, -1
	s_waitcnt_vscnt null, 0x0
	s_barrier
	buffer_gl0_inv
.LBB19_92:
	s_and_b32 vcc_lo, exec_lo, s5
	s_cbranch_vccz .LBB19_94
; %bb.93:
	s_lshl_b64 s[4:5], s[6:7], 2
	v_mov_b32_e32 v41, 0
	s_add_u32 s4, s10, s4
	s_addc_u32 s5, s11, s5
	global_load_dword v41, v41, s[4:5]
	s_waitcnt vmcnt(0)
	v_cmp_ne_u32_e32 vcc_lo, 0, v41
	s_cbranch_vccz .LBB19_95
.LBB19_94:
	s_endpgm
.LBB19_95:
	v_lshl_add_u32 v41, v0, 3, 0xa0
	s_mov_b32 s4, exec_lo
	v_cmpx_eq_u32_e32 19, v0
	s_cbranch_execz .LBB19_97
; %bb.96:
	s_clause 0x1
	buffer_load_dword v42, off, s[0:3], 0 offset:144
	buffer_load_dword v43, off, s[0:3], 0 offset:148
	v_mov_b32_e32 v44, 0
	buffer_store_dword v44, off, s[0:3], 0 offset:144
	buffer_store_dword v44, off, s[0:3], 0 offset:148
	s_waitcnt vmcnt(0)
	ds_write_b64 v41, v[42:43]
.LBB19_97:
	s_or_b32 exec_lo, exec_lo, s4
	s_waitcnt lgkmcnt(0)
	s_waitcnt_vscnt null, 0x0
	s_barrier
	buffer_gl0_inv
	s_clause 0x3
	buffer_load_dword v45, off, s[0:3], 0 offset:156
	buffer_load_dword v46, off, s[0:3], 0 offset:152
	buffer_load_dword v47, off, s[0:3], 0 offset:144
	buffer_load_dword v48, off, s[0:3], 0 offset:148
	v_mov_b32_e32 v42, 0
	s_mov_b32 s4, exec_lo
	ds_read_b64 v[43:44], v42 offset:312
	s_waitcnt vmcnt(3) lgkmcnt(0)
	v_mul_f32_e32 v49, v44, v45
	v_mul_f32_e32 v45, v43, v45
	s_waitcnt vmcnt(2)
	v_fma_f32 v43, v43, v46, -v49
	v_fmac_f32_e32 v45, v44, v46
	v_add_f32_e32 v43, 0, v43
	v_add_f32_e32 v44, 0, v45
	s_waitcnt vmcnt(1)
	v_sub_f32_e32 v43, v47, v43
	s_waitcnt vmcnt(0)
	v_sub_f32_e32 v44, v48, v44
	buffer_store_dword v43, off, s[0:3], 0 offset:144
	buffer_store_dword v44, off, s[0:3], 0 offset:148
	v_cmpx_lt_u32_e32 17, v0
	s_cbranch_execz .LBB19_99
; %bb.98:
	s_clause 0x1
	buffer_load_dword v43, off, s[0:3], 0 offset:136
	buffer_load_dword v44, off, s[0:3], 0 offset:140
	buffer_store_dword v42, off, s[0:3], 0 offset:136
	buffer_store_dword v42, off, s[0:3], 0 offset:140
	s_waitcnt vmcnt(0)
	ds_write_b64 v41, v[43:44]
.LBB19_99:
	s_or_b32 exec_lo, exec_lo, s4
	s_waitcnt lgkmcnt(0)
	s_waitcnt_vscnt null, 0x0
	s_barrier
	buffer_gl0_inv
	s_clause 0x5
	buffer_load_dword v46, off, s[0:3], 0 offset:148
	buffer_load_dword v47, off, s[0:3], 0 offset:156
	;; [unrolled: 1-line block ×6, first 2 shown]
	ds_read_b128 v[42:45], v42 offset:304
	s_mov_b32 s4, exec_lo
	s_waitcnt vmcnt(5) lgkmcnt(0)
	v_mul_f32_e32 v52, v43, v46
	v_mul_f32_e32 v46, v42, v46
	s_waitcnt vmcnt(4)
	v_mul_f32_e32 v53, v44, v47
	v_mul_f32_e32 v47, v45, v47
	s_waitcnt vmcnt(3)
	v_fma_f32 v42, v42, v48, -v52
	v_fmac_f32_e32 v46, v43, v48
	s_waitcnt vmcnt(2)
	v_fmac_f32_e32 v53, v45, v49
	v_fma_f32 v43, v44, v49, -v47
	v_add_f32_e32 v42, 0, v42
	v_add_f32_e32 v44, 0, v46
	;; [unrolled: 1-line block ×4, first 2 shown]
	s_waitcnt vmcnt(1)
	v_sub_f32_e32 v42, v50, v42
	s_waitcnt vmcnt(0)
	v_sub_f32_e32 v43, v51, v43
	buffer_store_dword v42, off, s[0:3], 0 offset:136
	buffer_store_dword v43, off, s[0:3], 0 offset:140
	v_cmpx_lt_u32_e32 16, v0
	s_cbranch_execz .LBB19_101
; %bb.100:
	s_clause 0x1
	buffer_load_dword v42, off, s[0:3], 0 offset:128
	buffer_load_dword v43, off, s[0:3], 0 offset:132
	v_mov_b32_e32 v44, 0
	buffer_store_dword v44, off, s[0:3], 0 offset:128
	buffer_store_dword v44, off, s[0:3], 0 offset:132
	s_waitcnt vmcnt(0)
	ds_write_b64 v41, v[42:43]
.LBB19_101:
	s_or_b32 exec_lo, exec_lo, s4
	s_waitcnt lgkmcnt(0)
	s_waitcnt_vscnt null, 0x0
	s_barrier
	buffer_gl0_inv
	s_clause 0x7
	buffer_load_dword v49, off, s[0:3], 0 offset:140
	buffer_load_dword v50, off, s[0:3], 0 offset:148
	;; [unrolled: 1-line block ×8, first 2 shown]
	v_mov_b32_e32 v42, 0
	ds_read2_b64 v[43:46], v42 offset0:37 offset1:38
	ds_read_b64 v[47:48], v42 offset:312
	s_mov_b32 s4, exec_lo
	s_waitcnt vmcnt(7) lgkmcnt(1)
	v_mul_f32_e32 v57, v44, v49
	v_mul_f32_e32 v49, v43, v49
	s_waitcnt vmcnt(6)
	v_mul_f32_e32 v58, v45, v50
	v_mul_f32_e32 v50, v46, v50
	s_waitcnt vmcnt(5) lgkmcnt(0)
	v_mul_f32_e32 v59, v47, v51
	s_waitcnt vmcnt(4)
	v_fma_f32 v43, v43, v52, -v57
	v_fmac_f32_e32 v49, v44, v52
	v_mul_f32_e32 v44, v48, v51
	s_waitcnt vmcnt(3)
	v_fma_f32 v45, v45, v53, -v50
	v_fmac_f32_e32 v58, v46, v53
	v_add_f32_e32 v43, 0, v43
	v_add_f32_e32 v46, 0, v49
	s_waitcnt vmcnt(2)
	v_fma_f32 v44, v47, v54, -v44
	v_fmac_f32_e32 v59, v48, v54
	v_add_f32_e32 v43, v43, v45
	v_add_f32_e32 v45, v46, v58
	;; [unrolled: 1-line block ×4, first 2 shown]
	s_waitcnt vmcnt(1)
	v_sub_f32_e32 v43, v55, v43
	s_waitcnt vmcnt(0)
	v_sub_f32_e32 v44, v56, v44
	buffer_store_dword v43, off, s[0:3], 0 offset:128
	buffer_store_dword v44, off, s[0:3], 0 offset:132
	v_cmpx_lt_u32_e32 15, v0
	s_cbranch_execz .LBB19_103
; %bb.102:
	s_clause 0x1
	buffer_load_dword v43, off, s[0:3], 0 offset:120
	buffer_load_dword v44, off, s[0:3], 0 offset:124
	buffer_store_dword v42, off, s[0:3], 0 offset:120
	buffer_store_dword v42, off, s[0:3], 0 offset:124
	s_waitcnt vmcnt(0)
	ds_write_b64 v41, v[43:44]
.LBB19_103:
	s_or_b32 exec_lo, exec_lo, s4
	s_waitcnt lgkmcnt(0)
	s_waitcnt_vscnt null, 0x0
	s_barrier
	buffer_gl0_inv
	s_clause 0x9
	buffer_load_dword v51, off, s[0:3], 0 offset:132
	buffer_load_dword v52, off, s[0:3], 0 offset:140
	;; [unrolled: 1-line block ×10, first 2 shown]
	ds_read_b128 v[43:46], v42 offset:288
	ds_read_b128 v[47:50], v42 offset:304
	s_mov_b32 s4, exec_lo
	s_waitcnt vmcnt(9) lgkmcnt(1)
	v_mul_f32_e32 v42, v43, v51
	v_mul_f32_e32 v51, v44, v51
	s_waitcnt vmcnt(8)
	v_mul_f32_e32 v61, v45, v52
	v_mul_f32_e32 v52, v46, v52
	s_waitcnt vmcnt(7) lgkmcnt(0)
	v_mul_f32_e32 v62, v47, v53
	s_waitcnt vmcnt(5)
	v_fmac_f32_e32 v42, v44, v55
	v_fma_f32 v43, v43, v55, -v51
	v_mul_f32_e32 v44, v48, v53
	s_waitcnt vmcnt(4)
	v_fma_f32 v45, v45, v56, -v52
	v_fmac_f32_e32 v61, v46, v56
	v_add_f32_e32 v42, 0, v42
	v_add_f32_e32 v43, 0, v43
	v_mul_f32_e32 v46, v50, v54
	s_waitcnt vmcnt(3)
	v_fma_f32 v44, v47, v57, -v44
	v_mul_f32_e32 v63, v49, v54
	v_fmac_f32_e32 v62, v48, v57
	v_add_f32_e32 v43, v43, v45
	v_add_f32_e32 v42, v42, v61
	s_waitcnt vmcnt(2)
	v_fma_f32 v45, v49, v58, -v46
	v_fmac_f32_e32 v63, v50, v58
	v_add_f32_e32 v43, v43, v44
	v_add_f32_e32 v42, v42, v62
	;; [unrolled: 1-line block ×4, first 2 shown]
	s_waitcnt vmcnt(1)
	v_sub_f32_e32 v43, v59, v43
	s_waitcnt vmcnt(0)
	v_sub_f32_e32 v42, v60, v42
	buffer_store_dword v43, off, s[0:3], 0 offset:120
	buffer_store_dword v42, off, s[0:3], 0 offset:124
	v_cmpx_lt_u32_e32 14, v0
	s_cbranch_execz .LBB19_105
; %bb.104:
	s_clause 0x1
	buffer_load_dword v42, off, s[0:3], 0 offset:112
	buffer_load_dword v43, off, s[0:3], 0 offset:116
	v_mov_b32_e32 v44, 0
	buffer_store_dword v44, off, s[0:3], 0 offset:112
	buffer_store_dword v44, off, s[0:3], 0 offset:116
	s_waitcnt vmcnt(0)
	ds_write_b64 v41, v[42:43]
.LBB19_105:
	s_or_b32 exec_lo, exec_lo, s4
	s_waitcnt lgkmcnt(0)
	s_waitcnt_vscnt null, 0x0
	s_barrier
	buffer_gl0_inv
	s_clause 0xb
	buffer_load_dword v53, off, s[0:3], 0 offset:124
	buffer_load_dword v54, off, s[0:3], 0 offset:132
	;; [unrolled: 1-line block ×12, first 2 shown]
	v_mov_b32_e32 v42, 0
	ds_read2_b64 v[43:46], v42 offset0:35 offset1:36
	ds_read2_b64 v[47:50], v42 offset0:37 offset1:38
	ds_read_b64 v[51:52], v42 offset:312
	s_mov_b32 s4, exec_lo
	s_waitcnt vmcnt(11) lgkmcnt(2)
	v_mul_f32_e32 v65, v43, v53
	v_mul_f32_e32 v53, v44, v53
	s_waitcnt vmcnt(10)
	v_mul_f32_e32 v66, v45, v54
	v_mul_f32_e32 v54, v46, v54
	s_waitcnt vmcnt(9) lgkmcnt(1)
	v_mul_f32_e32 v67, v47, v55
	s_waitcnt vmcnt(6)
	v_fmac_f32_e32 v65, v44, v58
	v_fma_f32 v43, v43, v58, -v53
	v_mul_f32_e32 v44, v48, v55
	s_waitcnt vmcnt(5)
	v_fma_f32 v45, v45, v59, -v54
	v_fmac_f32_e32 v66, v46, v59
	v_add_f32_e32 v46, 0, v65
	v_add_f32_e32 v43, 0, v43
	v_mul_f32_e32 v53, v50, v56
	s_waitcnt vmcnt(4)
	v_fma_f32 v44, v47, v60, -v44
	v_mul_f32_e32 v68, v49, v56
	v_fmac_f32_e32 v67, v48, v60
	v_add_f32_e32 v43, v43, v45
	v_add_f32_e32 v45, v46, v66
	s_waitcnt lgkmcnt(0)
	v_mul_f32_e32 v46, v52, v57
	s_waitcnt vmcnt(3)
	v_fma_f32 v47, v49, v61, -v53
	v_mul_f32_e32 v69, v51, v57
	v_add_f32_e32 v43, v43, v44
	v_fmac_f32_e32 v68, v50, v61
	v_add_f32_e32 v44, v45, v67
	s_waitcnt vmcnt(2)
	v_fma_f32 v45, v51, v62, -v46
	v_fmac_f32_e32 v69, v52, v62
	v_add_f32_e32 v43, v43, v47
	v_add_f32_e32 v44, v44, v68
	;; [unrolled: 1-line block ×4, first 2 shown]
	s_waitcnt vmcnt(1)
	v_sub_f32_e32 v43, v63, v43
	s_waitcnt vmcnt(0)
	v_sub_f32_e32 v44, v64, v44
	buffer_store_dword v43, off, s[0:3], 0 offset:112
	buffer_store_dword v44, off, s[0:3], 0 offset:116
	v_cmpx_lt_u32_e32 13, v0
	s_cbranch_execz .LBB19_107
; %bb.106:
	s_clause 0x1
	buffer_load_dword v43, off, s[0:3], 0 offset:104
	buffer_load_dword v44, off, s[0:3], 0 offset:108
	buffer_store_dword v42, off, s[0:3], 0 offset:104
	buffer_store_dword v42, off, s[0:3], 0 offset:108
	s_waitcnt vmcnt(0)
	ds_write_b64 v41, v[43:44]
.LBB19_107:
	s_or_b32 exec_lo, exec_lo, s4
	s_waitcnt lgkmcnt(0)
	s_waitcnt_vscnt null, 0x0
	s_barrier
	buffer_gl0_inv
	s_clause 0xd
	buffer_load_dword v55, off, s[0:3], 0 offset:116
	buffer_load_dword v56, off, s[0:3], 0 offset:124
	;; [unrolled: 1-line block ×14, first 2 shown]
	ds_read_b128 v[43:46], v42 offset:272
	ds_read_b128 v[47:50], v42 offset:288
	;; [unrolled: 1-line block ×3, first 2 shown]
	s_mov_b32 s4, exec_lo
	s_waitcnt vmcnt(13) lgkmcnt(2)
	v_mul_f32_e32 v42, v43, v55
	v_mul_f32_e32 v55, v44, v55
	s_waitcnt vmcnt(12)
	v_mul_f32_e32 v69, v45, v56
	v_mul_f32_e32 v56, v46, v56
	s_waitcnt vmcnt(11) lgkmcnt(1)
	v_mul_f32_e32 v70, v47, v57
	s_waitcnt vmcnt(10)
	v_mul_f32_e32 v71, v49, v58
	s_waitcnt vmcnt(7)
	v_fma_f32 v43, v43, v61, -v55
	v_fmac_f32_e32 v42, v44, v61
	v_mul_f32_e32 v44, v48, v57
	s_waitcnt vmcnt(6)
	v_fma_f32 v45, v45, v62, -v56
	v_fmac_f32_e32 v69, v46, v62
	v_add_f32_e32 v43, 0, v43
	v_add_f32_e32 v42, 0, v42
	v_mul_f32_e32 v46, v50, v58
	s_waitcnt vmcnt(5)
	v_fma_f32 v44, v47, v63, -v44
	v_fmac_f32_e32 v70, v48, v63
	v_add_f32_e32 v43, v43, v45
	v_add_f32_e32 v42, v42, v69
	s_waitcnt lgkmcnt(0)
	v_mul_f32_e32 v45, v52, v59
	s_waitcnt vmcnt(4)
	v_fma_f32 v46, v49, v64, -v46
	v_mul_f32_e32 v72, v51, v59
	v_add_f32_e32 v43, v43, v44
	v_fmac_f32_e32 v71, v50, v64
	v_add_f32_e32 v42, v42, v70
	v_mul_f32_e32 v44, v54, v60
	s_waitcnt vmcnt(3)
	v_fma_f32 v45, v51, v65, -v45
	v_add_f32_e32 v43, v43, v46
	v_mul_f32_e32 v73, v53, v60
	v_fmac_f32_e32 v72, v52, v65
	v_add_f32_e32 v42, v42, v71
	s_waitcnt vmcnt(2)
	v_fma_f32 v44, v53, v66, -v44
	v_add_f32_e32 v43, v43, v45
	v_fmac_f32_e32 v73, v54, v66
	v_add_f32_e32 v42, v42, v72
	v_add_f32_e32 v43, v43, v44
	;; [unrolled: 1-line block ×3, first 2 shown]
	s_waitcnt vmcnt(1)
	v_sub_f32_e32 v43, v67, v43
	s_waitcnt vmcnt(0)
	v_sub_f32_e32 v42, v68, v42
	buffer_store_dword v43, off, s[0:3], 0 offset:104
	buffer_store_dword v42, off, s[0:3], 0 offset:108
	v_cmpx_lt_u32_e32 12, v0
	s_cbranch_execz .LBB19_109
; %bb.108:
	s_clause 0x1
	buffer_load_dword v42, off, s[0:3], 0 offset:96
	buffer_load_dword v43, off, s[0:3], 0 offset:100
	v_mov_b32_e32 v44, 0
	buffer_store_dword v44, off, s[0:3], 0 offset:96
	buffer_store_dword v44, off, s[0:3], 0 offset:100
	s_waitcnt vmcnt(0)
	ds_write_b64 v41, v[42:43]
.LBB19_109:
	s_or_b32 exec_lo, exec_lo, s4
	s_waitcnt lgkmcnt(0)
	s_waitcnt_vscnt null, 0x0
	s_barrier
	buffer_gl0_inv
	s_clause 0xf
	buffer_load_dword v57, off, s[0:3], 0 offset:108
	buffer_load_dword v58, off, s[0:3], 0 offset:116
	;; [unrolled: 1-line block ×16, first 2 shown]
	v_mov_b32_e32 v42, 0
	ds_read2_b64 v[43:46], v42 offset0:33 offset1:34
	ds_read2_b64 v[47:50], v42 offset0:35 offset1:36
	;; [unrolled: 1-line block ×3, first 2 shown]
	ds_read_b64 v[55:56], v42 offset:312
	s_mov_b32 s4, exec_lo
	s_waitcnt vmcnt(15) lgkmcnt(3)
	v_mul_f32_e32 v73, v43, v57
	v_mul_f32_e32 v57, v44, v57
	s_waitcnt vmcnt(14)
	v_mul_f32_e32 v74, v45, v58
	v_mul_f32_e32 v58, v46, v58
	s_waitcnt vmcnt(13) lgkmcnt(2)
	v_mul_f32_e32 v75, v47, v59
	s_waitcnt vmcnt(12)
	v_mul_f32_e32 v76, v49, v60
	s_waitcnt vmcnt(11) lgkmcnt(1)
	v_mul_f32_e32 v77, v51, v61
	s_waitcnt vmcnt(8)
	v_fma_f32 v43, v43, v64, -v57
	v_fmac_f32_e32 v73, v44, v64
	v_mul_f32_e32 v44, v48, v59
	s_waitcnt vmcnt(7)
	v_fma_f32 v45, v45, v65, -v58
	v_fmac_f32_e32 v74, v46, v65
	v_add_f32_e32 v43, 0, v43
	v_add_f32_e32 v46, 0, v73
	v_mul_f32_e32 v57, v50, v60
	s_waitcnt vmcnt(6)
	v_fma_f32 v44, v47, v66, -v44
	v_fmac_f32_e32 v75, v48, v66
	v_add_f32_e32 v43, v43, v45
	v_add_f32_e32 v45, v46, v74
	;; [unrolled: 6-line block ×3, first 2 shown]
	v_mul_f32_e32 v45, v54, v62
	s_waitcnt vmcnt(4)
	v_fma_f32 v46, v51, v68, -v46
	v_mul_f32_e32 v78, v53, v62
	v_add_f32_e32 v43, v43, v47
	v_fmac_f32_e32 v77, v52, v68
	v_add_f32_e32 v44, v44, v76
	s_waitcnt lgkmcnt(0)
	v_mul_f32_e32 v47, v56, v63
	s_waitcnt vmcnt(3)
	v_fma_f32 v45, v53, v69, -v45
	v_add_f32_e32 v43, v43, v46
	v_mul_f32_e32 v79, v55, v63
	v_fmac_f32_e32 v78, v54, v69
	v_add_f32_e32 v44, v44, v77
	s_waitcnt vmcnt(2)
	v_fma_f32 v46, v55, v70, -v47
	v_add_f32_e32 v43, v43, v45
	v_fmac_f32_e32 v79, v56, v70
	v_add_f32_e32 v44, v44, v78
	v_add_f32_e32 v43, v43, v46
	;; [unrolled: 1-line block ×3, first 2 shown]
	s_waitcnt vmcnt(1)
	v_sub_f32_e32 v43, v71, v43
	s_waitcnt vmcnt(0)
	v_sub_f32_e32 v44, v72, v44
	buffer_store_dword v43, off, s[0:3], 0 offset:96
	buffer_store_dword v44, off, s[0:3], 0 offset:100
	v_cmpx_lt_u32_e32 11, v0
	s_cbranch_execz .LBB19_111
; %bb.110:
	s_clause 0x1
	buffer_load_dword v43, off, s[0:3], 0 offset:88
	buffer_load_dword v44, off, s[0:3], 0 offset:92
	buffer_store_dword v42, off, s[0:3], 0 offset:88
	buffer_store_dword v42, off, s[0:3], 0 offset:92
	s_waitcnt vmcnt(0)
	ds_write_b64 v41, v[43:44]
.LBB19_111:
	s_or_b32 exec_lo, exec_lo, s4
	s_waitcnt lgkmcnt(0)
	s_waitcnt_vscnt null, 0x0
	s_barrier
	buffer_gl0_inv
	s_clause 0x11
	buffer_load_dword v59, off, s[0:3], 0 offset:100
	buffer_load_dword v60, off, s[0:3], 0 offset:108
	;; [unrolled: 1-line block ×18, first 2 shown]
	ds_read_b128 v[43:46], v42 offset:256
	ds_read_b128 v[47:50], v42 offset:272
	;; [unrolled: 1-line block ×4, first 2 shown]
	s_mov_b32 s4, exec_lo
	s_waitcnt vmcnt(17) lgkmcnt(3)
	v_mul_f32_e32 v42, v43, v59
	v_mul_f32_e32 v59, v44, v59
	s_waitcnt vmcnt(16)
	v_mul_f32_e32 v77, v45, v60
	v_mul_f32_e32 v60, v46, v60
	s_waitcnt vmcnt(15) lgkmcnt(2)
	v_mul_f32_e32 v78, v47, v61
	s_waitcnt vmcnt(14)
	v_mul_f32_e32 v79, v49, v62
	s_waitcnt vmcnt(13) lgkmcnt(1)
	v_mul_f32_e32 v80, v51, v63
	s_waitcnt vmcnt(12)
	v_mul_f32_e32 v81, v53, v64
	s_waitcnt vmcnt(9)
	v_fma_f32 v43, v43, v67, -v59
	v_fmac_f32_e32 v42, v44, v67
	v_mul_f32_e32 v44, v48, v61
	s_waitcnt vmcnt(8)
	v_fma_f32 v45, v45, v68, -v60
	v_fmac_f32_e32 v77, v46, v68
	v_add_f32_e32 v43, 0, v43
	v_add_f32_e32 v42, 0, v42
	v_mul_f32_e32 v46, v50, v62
	s_waitcnt vmcnt(7)
	v_fma_f32 v44, v47, v69, -v44
	v_fmac_f32_e32 v78, v48, v69
	v_add_f32_e32 v43, v43, v45
	v_add_f32_e32 v42, v42, v77
	;; [unrolled: 6-line block ×4, first 2 shown]
	s_waitcnt lgkmcnt(0)
	v_mul_f32_e32 v46, v56, v65
	s_waitcnt vmcnt(4)
	v_fma_f32 v44, v53, v72, -v44
	v_mul_f32_e32 v82, v55, v65
	v_add_f32_e32 v43, v43, v45
	v_fmac_f32_e32 v81, v54, v72
	v_add_f32_e32 v42, v42, v80
	v_mul_f32_e32 v45, v58, v66
	s_waitcnt vmcnt(3)
	v_fma_f32 v46, v55, v73, -v46
	v_add_f32_e32 v43, v43, v44
	v_mul_f32_e32 v83, v57, v66
	v_fmac_f32_e32 v82, v56, v73
	v_add_f32_e32 v42, v42, v81
	s_waitcnt vmcnt(2)
	v_fma_f32 v44, v57, v74, -v45
	v_add_f32_e32 v43, v43, v46
	v_fmac_f32_e32 v83, v58, v74
	v_add_f32_e32 v42, v42, v82
	v_add_f32_e32 v43, v43, v44
	;; [unrolled: 1-line block ×3, first 2 shown]
	s_waitcnt vmcnt(1)
	v_sub_f32_e32 v43, v75, v43
	s_waitcnt vmcnt(0)
	v_sub_f32_e32 v42, v76, v42
	buffer_store_dword v43, off, s[0:3], 0 offset:88
	buffer_store_dword v42, off, s[0:3], 0 offset:92
	v_cmpx_lt_u32_e32 10, v0
	s_cbranch_execz .LBB19_113
; %bb.112:
	s_clause 0x1
	buffer_load_dword v42, off, s[0:3], 0 offset:80
	buffer_load_dword v43, off, s[0:3], 0 offset:84
	v_mov_b32_e32 v44, 0
	buffer_store_dword v44, off, s[0:3], 0 offset:80
	buffer_store_dword v44, off, s[0:3], 0 offset:84
	s_waitcnt vmcnt(0)
	ds_write_b64 v41, v[42:43]
.LBB19_113:
	s_or_b32 exec_lo, exec_lo, s4
	s_waitcnt lgkmcnt(0)
	s_waitcnt_vscnt null, 0x0
	s_barrier
	buffer_gl0_inv
	s_clause 0x13
	buffer_load_dword v61, off, s[0:3], 0 offset:92
	buffer_load_dword v62, off, s[0:3], 0 offset:100
	;; [unrolled: 1-line block ×20, first 2 shown]
	v_mov_b32_e32 v42, 0
	ds_read2_b64 v[43:46], v42 offset0:31 offset1:32
	ds_read2_b64 v[47:50], v42 offset0:33 offset1:34
	;; [unrolled: 1-line block ×4, first 2 shown]
	ds_read_b64 v[59:60], v42 offset:312
	s_mov_b32 s4, exec_lo
	s_waitcnt vmcnt(19) lgkmcnt(4)
	v_mul_f32_e32 v81, v43, v61
	v_mul_f32_e32 v61, v44, v61
	s_waitcnt vmcnt(18)
	v_mul_f32_e32 v82, v45, v62
	v_mul_f32_e32 v62, v46, v62
	s_waitcnt vmcnt(17) lgkmcnt(3)
	v_mul_f32_e32 v83, v47, v63
	s_waitcnt vmcnt(16)
	v_mul_f32_e32 v84, v49, v64
	s_waitcnt vmcnt(15) lgkmcnt(2)
	v_mul_f32_e32 v85, v51, v65
	s_waitcnt vmcnt(14)
	;; [unrolled: 4-line block ×3, first 2 shown]
	v_fma_f32 v43, v43, v70, -v61
	v_fmac_f32_e32 v81, v44, v70
	v_mul_f32_e32 v44, v48, v63
	s_waitcnt vmcnt(9)
	v_fma_f32 v45, v45, v71, -v62
	v_fmac_f32_e32 v82, v46, v71
	v_add_f32_e32 v43, 0, v43
	v_add_f32_e32 v46, 0, v81
	v_mul_f32_e32 v61, v50, v64
	s_waitcnt vmcnt(8)
	v_fma_f32 v44, v47, v72, -v44
	v_fmac_f32_e32 v83, v48, v72
	v_add_f32_e32 v43, v43, v45
	v_add_f32_e32 v45, v46, v82
	;; [unrolled: 6-line block ×5, first 2 shown]
	v_mul_f32_e32 v46, v58, v68
	s_waitcnt vmcnt(4)
	v_fma_f32 v47, v55, v76, -v47
	v_mul_f32_e32 v88, v57, v68
	v_add_f32_e32 v43, v43, v45
	v_fmac_f32_e32 v87, v56, v76
	v_add_f32_e32 v44, v44, v86
	s_waitcnt lgkmcnt(0)
	v_mul_f32_e32 v45, v60, v69
	s_waitcnt vmcnt(3)
	v_fma_f32 v46, v57, v77, -v46
	v_add_f32_e32 v43, v43, v47
	v_mul_f32_e32 v89, v59, v69
	v_fmac_f32_e32 v88, v58, v77
	v_add_f32_e32 v44, v44, v87
	s_waitcnt vmcnt(2)
	v_fma_f32 v45, v59, v78, -v45
	v_add_f32_e32 v43, v43, v46
	v_fmac_f32_e32 v89, v60, v78
	v_add_f32_e32 v44, v44, v88
	v_add_f32_e32 v43, v43, v45
	;; [unrolled: 1-line block ×3, first 2 shown]
	s_waitcnt vmcnt(1)
	v_sub_f32_e32 v43, v79, v43
	s_waitcnt vmcnt(0)
	v_sub_f32_e32 v44, v80, v44
	buffer_store_dword v43, off, s[0:3], 0 offset:80
	buffer_store_dword v44, off, s[0:3], 0 offset:84
	v_cmpx_lt_u32_e32 9, v0
	s_cbranch_execz .LBB19_115
; %bb.114:
	s_clause 0x1
	buffer_load_dword v43, off, s[0:3], 0 offset:72
	buffer_load_dword v44, off, s[0:3], 0 offset:76
	buffer_store_dword v42, off, s[0:3], 0 offset:72
	buffer_store_dword v42, off, s[0:3], 0 offset:76
	s_waitcnt vmcnt(0)
	ds_write_b64 v41, v[43:44]
.LBB19_115:
	s_or_b32 exec_lo, exec_lo, s4
	s_waitcnt lgkmcnt(0)
	s_waitcnt_vscnt null, 0x0
	s_barrier
	buffer_gl0_inv
	s_clause 0x15
	buffer_load_dword v63, off, s[0:3], 0 offset:84
	buffer_load_dword v64, off, s[0:3], 0 offset:92
	;; [unrolled: 1-line block ×22, first 2 shown]
	ds_read_b128 v[43:46], v42 offset:240
	ds_read_b128 v[47:50], v42 offset:256
	;; [unrolled: 1-line block ×5, first 2 shown]
	s_mov_b32 s4, exec_lo
	s_waitcnt vmcnt(21) lgkmcnt(4)
	v_mul_f32_e32 v42, v43, v63
	v_mul_f32_e32 v63, v44, v63
	s_waitcnt vmcnt(20)
	v_mul_f32_e32 v85, v45, v64
	v_mul_f32_e32 v64, v46, v64
	s_waitcnt vmcnt(19) lgkmcnt(3)
	v_mul_f32_e32 v86, v47, v65
	s_waitcnt vmcnt(18)
	v_mul_f32_e32 v87, v49, v66
	s_waitcnt vmcnt(17) lgkmcnt(2)
	v_mul_f32_e32 v88, v51, v67
	s_waitcnt vmcnt(16)
	;; [unrolled: 4-line block ×3, first 2 shown]
	v_mul_f32_e32 v91, v57, v70
	s_waitcnt vmcnt(11)
	v_fma_f32 v43, v43, v73, -v63
	v_fmac_f32_e32 v42, v44, v73
	v_mul_f32_e32 v44, v48, v65
	s_waitcnt vmcnt(10)
	v_fma_f32 v45, v45, v74, -v64
	v_fmac_f32_e32 v85, v46, v74
	v_add_f32_e32 v43, 0, v43
	v_add_f32_e32 v42, 0, v42
	v_mul_f32_e32 v46, v50, v66
	s_waitcnt vmcnt(9)
	v_fma_f32 v44, v47, v75, -v44
	v_fmac_f32_e32 v86, v48, v75
	v_add_f32_e32 v43, v43, v45
	v_add_f32_e32 v42, v42, v85
	;; [unrolled: 6-line block ×6, first 2 shown]
	s_waitcnt lgkmcnt(0)
	v_mul_f32_e32 v44, v60, v71
	s_waitcnt vmcnt(4)
	v_fma_f32 v45, v57, v80, -v45
	v_mul_f32_e32 v92, v59, v71
	v_add_f32_e32 v43, v43, v46
	v_fmac_f32_e32 v91, v58, v80
	v_add_f32_e32 v42, v42, v90
	v_mul_f32_e32 v46, v62, v72
	s_waitcnt vmcnt(3)
	v_fma_f32 v44, v59, v81, -v44
	v_add_f32_e32 v43, v43, v45
	v_mul_f32_e32 v93, v61, v72
	v_fmac_f32_e32 v92, v60, v81
	v_add_f32_e32 v42, v42, v91
	s_waitcnt vmcnt(2)
	v_fma_f32 v45, v61, v82, -v46
	v_add_f32_e32 v43, v43, v44
	v_fmac_f32_e32 v93, v62, v82
	v_add_f32_e32 v42, v42, v92
	v_add_f32_e32 v43, v43, v45
	;; [unrolled: 1-line block ×3, first 2 shown]
	s_waitcnt vmcnt(1)
	v_sub_f32_e32 v43, v83, v43
	s_waitcnt vmcnt(0)
	v_sub_f32_e32 v42, v84, v42
	buffer_store_dword v43, off, s[0:3], 0 offset:72
	buffer_store_dword v42, off, s[0:3], 0 offset:76
	v_cmpx_lt_u32_e32 8, v0
	s_cbranch_execz .LBB19_117
; %bb.116:
	s_clause 0x1
	buffer_load_dword v42, off, s[0:3], 0 offset:64
	buffer_load_dword v43, off, s[0:3], 0 offset:68
	v_mov_b32_e32 v44, 0
	buffer_store_dword v44, off, s[0:3], 0 offset:64
	buffer_store_dword v44, off, s[0:3], 0 offset:68
	s_waitcnt vmcnt(0)
	ds_write_b64 v41, v[42:43]
.LBB19_117:
	s_or_b32 exec_lo, exec_lo, s4
	s_waitcnt lgkmcnt(0)
	s_waitcnt_vscnt null, 0x0
	s_barrier
	buffer_gl0_inv
	s_clause 0x17
	buffer_load_dword v65, off, s[0:3], 0 offset:76
	buffer_load_dword v66, off, s[0:3], 0 offset:84
	;; [unrolled: 1-line block ×24, first 2 shown]
	v_mov_b32_e32 v42, 0
	ds_read2_b64 v[43:46], v42 offset0:29 offset1:30
	ds_read2_b64 v[47:50], v42 offset0:31 offset1:32
	;; [unrolled: 1-line block ×5, first 2 shown]
	ds_read_b64 v[63:64], v42 offset:312
	s_mov_b32 s4, exec_lo
	s_waitcnt vmcnt(23) lgkmcnt(5)
	v_mul_f32_e32 v89, v43, v65
	v_mul_f32_e32 v65, v44, v65
	s_waitcnt vmcnt(22)
	v_mul_f32_e32 v90, v45, v66
	v_mul_f32_e32 v66, v46, v66
	s_waitcnt vmcnt(21) lgkmcnt(4)
	v_mul_f32_e32 v91, v47, v67
	s_waitcnt vmcnt(20)
	v_mul_f32_e32 v92, v49, v68
	s_waitcnt vmcnt(19) lgkmcnt(3)
	v_mul_f32_e32 v93, v51, v69
	s_waitcnt vmcnt(18)
	;; [unrolled: 4-line block ×4, first 2 shown]
	v_fma_f32 v43, v43, v76, -v65
	v_fmac_f32_e32 v89, v44, v76
	v_mul_f32_e32 v44, v48, v67
	s_waitcnt vmcnt(11)
	v_fma_f32 v45, v45, v77, -v66
	v_fmac_f32_e32 v90, v46, v77
	v_add_f32_e32 v43, 0, v43
	v_add_f32_e32 v46, 0, v89
	v_mul_f32_e32 v65, v50, v68
	s_waitcnt vmcnt(10)
	v_fma_f32 v44, v47, v78, -v44
	v_fmac_f32_e32 v91, v48, v78
	v_add_f32_e32 v43, v43, v45
	v_add_f32_e32 v45, v46, v90
	;; [unrolled: 6-line block ×7, first 2 shown]
	v_mul_f32_e32 v47, v62, v74
	s_waitcnt vmcnt(4)
	v_fma_f32 v45, v59, v84, -v45
	v_mul_f32_e32 v98, v61, v74
	v_add_f32_e32 v43, v43, v46
	v_fmac_f32_e32 v97, v60, v84
	v_add_f32_e32 v44, v44, v96
	s_waitcnt lgkmcnt(0)
	v_mul_f32_e32 v46, v64, v75
	s_waitcnt vmcnt(3)
	v_fma_f32 v47, v61, v85, -v47
	v_add_f32_e32 v43, v43, v45
	v_mul_f32_e32 v99, v63, v75
	v_fmac_f32_e32 v98, v62, v85
	v_add_f32_e32 v44, v44, v97
	s_waitcnt vmcnt(2)
	v_fma_f32 v45, v63, v86, -v46
	v_add_f32_e32 v43, v43, v47
	v_fmac_f32_e32 v99, v64, v86
	v_add_f32_e32 v44, v44, v98
	v_add_f32_e32 v43, v43, v45
	;; [unrolled: 1-line block ×3, first 2 shown]
	s_waitcnt vmcnt(1)
	v_sub_f32_e32 v43, v87, v43
	s_waitcnt vmcnt(0)
	v_sub_f32_e32 v44, v88, v44
	buffer_store_dword v43, off, s[0:3], 0 offset:64
	buffer_store_dword v44, off, s[0:3], 0 offset:68
	v_cmpx_lt_u32_e32 7, v0
	s_cbranch_execz .LBB19_119
; %bb.118:
	s_clause 0x1
	buffer_load_dword v43, off, s[0:3], 0 offset:56
	buffer_load_dword v44, off, s[0:3], 0 offset:60
	buffer_store_dword v42, off, s[0:3], 0 offset:56
	buffer_store_dword v42, off, s[0:3], 0 offset:60
	s_waitcnt vmcnt(0)
	ds_write_b64 v41, v[43:44]
.LBB19_119:
	s_or_b32 exec_lo, exec_lo, s4
	s_waitcnt lgkmcnt(0)
	s_waitcnt_vscnt null, 0x0
	s_barrier
	buffer_gl0_inv
	s_clause 0x19
	buffer_load_dword v67, off, s[0:3], 0 offset:68
	buffer_load_dword v68, off, s[0:3], 0 offset:76
	;; [unrolled: 1-line block ×26, first 2 shown]
	ds_read_b128 v[43:46], v42 offset:224
	ds_read_b128 v[47:50], v42 offset:240
	;; [unrolled: 1-line block ×6, first 2 shown]
	s_mov_b32 s4, exec_lo
	s_waitcnt vmcnt(25) lgkmcnt(5)
	v_mul_f32_e32 v42, v43, v67
	v_mul_f32_e32 v67, v44, v67
	s_waitcnt vmcnt(24)
	v_mul_f32_e32 v93, v45, v68
	v_mul_f32_e32 v68, v46, v68
	s_waitcnt vmcnt(23) lgkmcnt(4)
	v_mul_f32_e32 v94, v47, v69
	s_waitcnt vmcnt(22)
	v_mul_f32_e32 v95, v49, v70
	s_waitcnt vmcnt(21) lgkmcnt(3)
	v_mul_f32_e32 v96, v51, v71
	s_waitcnt vmcnt(20)
	;; [unrolled: 4-line block ×4, first 2 shown]
	v_mul_f32_e32 v101, v61, v76
	s_waitcnt vmcnt(13)
	v_fma_f32 v43, v43, v79, -v67
	v_fmac_f32_e32 v42, v44, v79
	v_mul_f32_e32 v44, v48, v69
	s_waitcnt vmcnt(12)
	v_fma_f32 v45, v45, v80, -v68
	v_fmac_f32_e32 v93, v46, v80
	v_add_f32_e32 v43, 0, v43
	v_add_f32_e32 v42, 0, v42
	v_mul_f32_e32 v46, v50, v70
	s_waitcnt vmcnt(11)
	v_fma_f32 v44, v47, v81, -v44
	v_fmac_f32_e32 v94, v48, v81
	v_add_f32_e32 v43, v43, v45
	v_add_f32_e32 v42, v42, v93
	;; [unrolled: 6-line block ×8, first 2 shown]
	s_waitcnt lgkmcnt(0)
	v_mul_f32_e32 v45, v64, v77
	s_waitcnt vmcnt(4)
	v_fma_f32 v46, v61, v88, -v46
	v_mul_f32_e32 v102, v63, v77
	v_add_f32_e32 v43, v43, v44
	v_fmac_f32_e32 v101, v62, v88
	v_add_f32_e32 v42, v42, v100
	v_mul_f32_e32 v44, v66, v78
	s_waitcnt vmcnt(3)
	v_fma_f32 v45, v63, v89, -v45
	v_add_f32_e32 v43, v43, v46
	v_mul_f32_e32 v103, v65, v78
	v_fmac_f32_e32 v102, v64, v89
	v_add_f32_e32 v42, v42, v101
	s_waitcnt vmcnt(2)
	v_fma_f32 v44, v65, v90, -v44
	v_add_f32_e32 v43, v43, v45
	v_fmac_f32_e32 v103, v66, v90
	v_add_f32_e32 v42, v42, v102
	v_add_f32_e32 v43, v43, v44
	;; [unrolled: 1-line block ×3, first 2 shown]
	s_waitcnt vmcnt(1)
	v_sub_f32_e32 v43, v91, v43
	s_waitcnt vmcnt(0)
	v_sub_f32_e32 v42, v92, v42
	buffer_store_dword v43, off, s[0:3], 0 offset:56
	buffer_store_dword v42, off, s[0:3], 0 offset:60
	v_cmpx_lt_u32_e32 6, v0
	s_cbranch_execz .LBB19_121
; %bb.120:
	s_clause 0x1
	buffer_load_dword v42, off, s[0:3], 0 offset:48
	buffer_load_dword v43, off, s[0:3], 0 offset:52
	v_mov_b32_e32 v44, 0
	buffer_store_dword v44, off, s[0:3], 0 offset:48
	buffer_store_dword v44, off, s[0:3], 0 offset:52
	s_waitcnt vmcnt(0)
	ds_write_b64 v41, v[42:43]
.LBB19_121:
	s_or_b32 exec_lo, exec_lo, s4
	s_waitcnt lgkmcnt(0)
	s_waitcnt_vscnt null, 0x0
	s_barrier
	buffer_gl0_inv
	s_clause 0x1b
	buffer_load_dword v69, off, s[0:3], 0 offset:60
	buffer_load_dword v70, off, s[0:3], 0 offset:68
	;; [unrolled: 1-line block ×28, first 2 shown]
	v_mov_b32_e32 v42, 0
	ds_read2_b64 v[43:46], v42 offset0:27 offset1:28
	ds_read2_b64 v[47:50], v42 offset0:29 offset1:30
	;; [unrolled: 1-line block ×6, first 2 shown]
	ds_read_b64 v[67:68], v42 offset:312
	s_mov_b32 s4, exec_lo
	s_waitcnt vmcnt(27) lgkmcnt(6)
	v_mul_f32_e32 v97, v43, v69
	v_mul_f32_e32 v69, v44, v69
	s_waitcnt vmcnt(26)
	v_mul_f32_e32 v98, v45, v70
	v_mul_f32_e32 v70, v46, v70
	s_waitcnt vmcnt(25) lgkmcnt(5)
	v_mul_f32_e32 v99, v47, v71
	s_waitcnt vmcnt(24)
	v_mul_f32_e32 v100, v49, v72
	s_waitcnt vmcnt(23) lgkmcnt(4)
	v_mul_f32_e32 v101, v51, v73
	s_waitcnt vmcnt(22)
	;; [unrolled: 4-line block ×5, first 2 shown]
	v_fma_f32 v43, v43, v82, -v69
	v_fmac_f32_e32 v97, v44, v82
	v_mul_f32_e32 v44, v48, v71
	s_waitcnt vmcnt(13)
	v_fma_f32 v45, v45, v83, -v70
	v_fmac_f32_e32 v98, v46, v83
	v_add_f32_e32 v43, 0, v43
	v_add_f32_e32 v46, 0, v97
	v_mul_f32_e32 v69, v50, v72
	s_waitcnt vmcnt(12)
	v_fma_f32 v44, v47, v84, -v44
	v_fmac_f32_e32 v99, v48, v84
	v_add_f32_e32 v43, v43, v45
	v_add_f32_e32 v45, v46, v98
	;; [unrolled: 6-line block ×9, first 2 shown]
	v_mul_f32_e32 v45, v66, v80
	s_waitcnt vmcnt(4)
	v_fma_f32 v46, v63, v92, -v46
	v_mul_f32_e32 v108, v65, v80
	v_add_f32_e32 v43, v43, v47
	v_fmac_f32_e32 v107, v64, v92
	v_add_f32_e32 v44, v44, v106
	s_waitcnt lgkmcnt(0)
	v_mul_f32_e32 v47, v68, v81
	s_waitcnt vmcnt(3)
	v_fma_f32 v45, v65, v93, -v45
	v_add_f32_e32 v43, v43, v46
	v_mul_f32_e32 v109, v67, v81
	v_fmac_f32_e32 v108, v66, v93
	v_add_f32_e32 v44, v44, v107
	s_waitcnt vmcnt(2)
	v_fma_f32 v46, v67, v94, -v47
	v_add_f32_e32 v43, v43, v45
	v_fmac_f32_e32 v109, v68, v94
	v_add_f32_e32 v44, v44, v108
	v_add_f32_e32 v43, v43, v46
	;; [unrolled: 1-line block ×3, first 2 shown]
	s_waitcnt vmcnt(1)
	v_sub_f32_e32 v43, v95, v43
	s_waitcnt vmcnt(0)
	v_sub_f32_e32 v44, v96, v44
	buffer_store_dword v43, off, s[0:3], 0 offset:48
	buffer_store_dword v44, off, s[0:3], 0 offset:52
	v_cmpx_lt_u32_e32 5, v0
	s_cbranch_execz .LBB19_123
; %bb.122:
	s_clause 0x1
	buffer_load_dword v43, off, s[0:3], 0 offset:40
	buffer_load_dword v44, off, s[0:3], 0 offset:44
	buffer_store_dword v42, off, s[0:3], 0 offset:40
	buffer_store_dword v42, off, s[0:3], 0 offset:44
	s_waitcnt vmcnt(0)
	ds_write_b64 v41, v[43:44]
.LBB19_123:
	s_or_b32 exec_lo, exec_lo, s4
	s_waitcnt lgkmcnt(0)
	s_waitcnt_vscnt null, 0x0
	s_barrier
	buffer_gl0_inv
	s_clause 0x1d
	buffer_load_dword v71, off, s[0:3], 0 offset:52
	buffer_load_dword v72, off, s[0:3], 0 offset:60
	;; [unrolled: 1-line block ×30, first 2 shown]
	ds_read_b128 v[43:46], v42 offset:208
	ds_read_b128 v[47:50], v42 offset:224
	;; [unrolled: 1-line block ×7, first 2 shown]
	s_mov_b32 s4, exec_lo
	s_waitcnt vmcnt(29) lgkmcnt(6)
	v_mul_f32_e32 v42, v43, v71
	v_mul_f32_e32 v71, v44, v71
	s_waitcnt vmcnt(28)
	v_mul_f32_e32 v101, v45, v72
	v_mul_f32_e32 v72, v46, v72
	s_waitcnt vmcnt(27) lgkmcnt(5)
	v_mul_f32_e32 v102, v47, v73
	s_waitcnt vmcnt(26)
	v_mul_f32_e32 v103, v49, v74
	s_waitcnt vmcnt(25) lgkmcnt(4)
	v_mul_f32_e32 v104, v51, v75
	s_waitcnt vmcnt(24)
	;; [unrolled: 4-line block ×5, first 2 shown]
	v_mul_f32_e32 v111, v65, v82
	s_waitcnt vmcnt(15)
	v_fma_f32 v43, v43, v85, -v71
	v_fmac_f32_e32 v42, v44, v85
	v_mul_f32_e32 v44, v48, v73
	s_waitcnt vmcnt(14)
	v_fma_f32 v45, v45, v86, -v72
	v_fmac_f32_e32 v101, v46, v86
	v_add_f32_e32 v43, 0, v43
	v_add_f32_e32 v42, 0, v42
	v_mul_f32_e32 v46, v50, v74
	s_waitcnt vmcnt(13)
	v_fma_f32 v44, v47, v87, -v44
	v_fmac_f32_e32 v102, v48, v87
	v_add_f32_e32 v43, v43, v45
	v_add_f32_e32 v42, v42, v101
	;; [unrolled: 6-line block ×10, first 2 shown]
	s_waitcnt lgkmcnt(0)
	v_mul_f32_e32 v46, v68, v83
	s_waitcnt vmcnt(4)
	v_fma_f32 v44, v65, v96, -v44
	v_mul_f32_e32 v112, v67, v83
	v_add_f32_e32 v43, v43, v45
	v_fmac_f32_e32 v111, v66, v96
	v_add_f32_e32 v42, v42, v110
	v_mul_f32_e32 v45, v70, v84
	s_waitcnt vmcnt(3)
	v_fma_f32 v46, v67, v97, -v46
	v_add_f32_e32 v43, v43, v44
	v_mul_f32_e32 v113, v69, v84
	v_fmac_f32_e32 v112, v68, v97
	v_add_f32_e32 v42, v42, v111
	s_waitcnt vmcnt(2)
	v_fma_f32 v44, v69, v98, -v45
	v_add_f32_e32 v43, v43, v46
	v_fmac_f32_e32 v113, v70, v98
	v_add_f32_e32 v42, v42, v112
	v_add_f32_e32 v43, v43, v44
	;; [unrolled: 1-line block ×3, first 2 shown]
	s_waitcnt vmcnt(1)
	v_sub_f32_e32 v43, v99, v43
	s_waitcnt vmcnt(0)
	v_sub_f32_e32 v42, v100, v42
	buffer_store_dword v43, off, s[0:3], 0 offset:40
	buffer_store_dword v42, off, s[0:3], 0 offset:44
	v_cmpx_lt_u32_e32 4, v0
	s_cbranch_execz .LBB19_125
; %bb.124:
	s_clause 0x1
	buffer_load_dword v42, off, s[0:3], 0 offset:32
	buffer_load_dword v43, off, s[0:3], 0 offset:36
	v_mov_b32_e32 v44, 0
	buffer_store_dword v44, off, s[0:3], 0 offset:32
	buffer_store_dword v44, off, s[0:3], 0 offset:36
	s_waitcnt vmcnt(0)
	ds_write_b64 v41, v[42:43]
.LBB19_125:
	s_or_b32 exec_lo, exec_lo, s4
	s_waitcnt lgkmcnt(0)
	s_waitcnt_vscnt null, 0x0
	s_barrier
	buffer_gl0_inv
	s_clause 0x1f
	buffer_load_dword v73, off, s[0:3], 0 offset:44
	buffer_load_dword v74, off, s[0:3], 0 offset:52
	;; [unrolled: 1-line block ×32, first 2 shown]
	v_mov_b32_e32 v42, 0
	ds_read2_b64 v[43:46], v42 offset0:25 offset1:26
	ds_read2_b64 v[47:50], v42 offset0:27 offset1:28
	;; [unrolled: 1-line block ×7, first 2 shown]
	ds_read_b64 v[71:72], v42 offset:312
	s_mov_b32 s4, exec_lo
	s_waitcnt vmcnt(31) lgkmcnt(7)
	v_mul_f32_e32 v105, v43, v73
	v_mul_f32_e32 v73, v44, v73
	s_waitcnt vmcnt(30)
	v_mul_f32_e32 v106, v45, v74
	v_mul_f32_e32 v74, v46, v74
	s_waitcnt vmcnt(29) lgkmcnt(6)
	v_mul_f32_e32 v107, v47, v75
	s_waitcnt vmcnt(28)
	v_mul_f32_e32 v108, v49, v76
	s_waitcnt vmcnt(27) lgkmcnt(5)
	v_mul_f32_e32 v109, v51, v77
	s_waitcnt vmcnt(26)
	;; [unrolled: 4-line block ×6, first 2 shown]
	v_fma_f32 v43, v43, v88, -v73
	v_fmac_f32_e32 v105, v44, v88
	v_mul_f32_e32 v44, v48, v75
	s_waitcnt vmcnt(15)
	v_fma_f32 v45, v45, v89, -v74
	v_fmac_f32_e32 v106, v46, v89
	v_add_f32_e32 v43, 0, v43
	v_add_f32_e32 v46, 0, v105
	v_mul_f32_e32 v73, v50, v76
	s_waitcnt vmcnt(14)
	v_fma_f32 v44, v47, v90, -v44
	v_fmac_f32_e32 v107, v48, v90
	v_add_f32_e32 v43, v43, v45
	v_add_f32_e32 v45, v46, v106
	;; [unrolled: 6-line block ×11, first 2 shown]
	v_mul_f32_e32 v46, v70, v86
	s_waitcnt vmcnt(4)
	v_fma_f32 v47, v67, v100, -v47
	v_mul_f32_e32 v118, v69, v86
	v_add_f32_e32 v43, v43, v45
	v_fmac_f32_e32 v117, v68, v100
	v_add_f32_e32 v44, v44, v116
	s_waitcnt lgkmcnt(0)
	v_mul_f32_e32 v45, v72, v87
	s_waitcnt vmcnt(3)
	v_fma_f32 v46, v69, v101, -v46
	v_add_f32_e32 v43, v43, v47
	v_mul_f32_e32 v119, v71, v87
	v_fmac_f32_e32 v118, v70, v101
	v_add_f32_e32 v44, v44, v117
	s_waitcnt vmcnt(2)
	v_fma_f32 v45, v71, v102, -v45
	v_add_f32_e32 v43, v43, v46
	v_fmac_f32_e32 v119, v72, v102
	v_add_f32_e32 v44, v44, v118
	v_add_f32_e32 v43, v43, v45
	;; [unrolled: 1-line block ×3, first 2 shown]
	s_waitcnt vmcnt(1)
	v_sub_f32_e32 v43, v103, v43
	s_waitcnt vmcnt(0)
	v_sub_f32_e32 v44, v104, v44
	buffer_store_dword v43, off, s[0:3], 0 offset:32
	buffer_store_dword v44, off, s[0:3], 0 offset:36
	v_cmpx_lt_u32_e32 3, v0
	s_cbranch_execz .LBB19_127
; %bb.126:
	s_clause 0x1
	buffer_load_dword v43, off, s[0:3], 0 offset:24
	buffer_load_dword v44, off, s[0:3], 0 offset:28
	buffer_store_dword v42, off, s[0:3], 0 offset:24
	buffer_store_dword v42, off, s[0:3], 0 offset:28
	s_waitcnt vmcnt(0)
	ds_write_b64 v41, v[43:44]
.LBB19_127:
	s_or_b32 exec_lo, exec_lo, s4
	s_waitcnt lgkmcnt(0)
	s_waitcnt_vscnt null, 0x0
	s_barrier
	buffer_gl0_inv
	s_clause 0x21
	buffer_load_dword v75, off, s[0:3], 0 offset:36
	buffer_load_dword v76, off, s[0:3], 0 offset:44
	;; [unrolled: 1-line block ×34, first 2 shown]
	ds_read_b128 v[43:46], v42 offset:192
	ds_read_b128 v[47:50], v42 offset:208
	ds_read_b128 v[51:54], v42 offset:224
	ds_read_b128 v[55:58], v42 offset:240
	ds_read_b128 v[59:62], v42 offset:256
	ds_read_b128 v[63:66], v42 offset:272
	ds_read_b128 v[67:70], v42 offset:288
	ds_read_b128 v[71:74], v42 offset:304
	s_mov_b32 s4, exec_lo
	s_waitcnt vmcnt(33) lgkmcnt(7)
	v_mul_f32_e32 v42, v43, v75
	v_mul_f32_e32 v75, v44, v75
	s_waitcnt vmcnt(32)
	v_mul_f32_e32 v109, v45, v76
	v_mul_f32_e32 v76, v46, v76
	s_waitcnt vmcnt(31) lgkmcnt(6)
	v_mul_f32_e32 v110, v47, v77
	s_waitcnt vmcnt(30)
	v_mul_f32_e32 v111, v49, v78
	s_waitcnt vmcnt(29) lgkmcnt(5)
	v_mul_f32_e32 v112, v51, v79
	s_waitcnt vmcnt(28)
	;; [unrolled: 4-line block ×6, first 2 shown]
	v_mul_f32_e32 v121, v69, v88
	s_waitcnt vmcnt(17)
	v_fma_f32 v43, v43, v91, -v75
	v_fmac_f32_e32 v42, v44, v91
	v_mul_f32_e32 v44, v48, v77
	s_waitcnt vmcnt(16)
	v_fma_f32 v45, v45, v92, -v76
	v_fmac_f32_e32 v109, v46, v92
	v_add_f32_e32 v43, 0, v43
	v_add_f32_e32 v42, 0, v42
	v_mul_f32_e32 v46, v50, v78
	s_waitcnt vmcnt(15)
	v_fma_f32 v44, v47, v93, -v44
	v_fmac_f32_e32 v110, v48, v93
	v_add_f32_e32 v43, v43, v45
	v_add_f32_e32 v42, v42, v109
	;; [unrolled: 6-line block ×12, first 2 shown]
	s_waitcnt lgkmcnt(0)
	v_mul_f32_e32 v44, v72, v89
	s_waitcnt vmcnt(4)
	v_fma_f32 v45, v69, v104, -v45
	v_mul_f32_e32 v122, v71, v89
	v_add_f32_e32 v43, v43, v46
	v_fmac_f32_e32 v121, v70, v104
	v_add_f32_e32 v42, v42, v120
	v_mul_f32_e32 v46, v74, v90
	s_waitcnt vmcnt(3)
	v_fma_f32 v44, v71, v105, -v44
	v_add_f32_e32 v43, v43, v45
	v_mul_f32_e32 v123, v73, v90
	v_fmac_f32_e32 v122, v72, v105
	v_add_f32_e32 v42, v42, v121
	s_waitcnt vmcnt(2)
	v_fma_f32 v45, v73, v106, -v46
	v_add_f32_e32 v43, v43, v44
	v_fmac_f32_e32 v123, v74, v106
	v_add_f32_e32 v42, v42, v122
	v_add_f32_e32 v43, v43, v45
	;; [unrolled: 1-line block ×3, first 2 shown]
	s_waitcnt vmcnt(1)
	v_sub_f32_e32 v43, v107, v43
	s_waitcnt vmcnt(0)
	v_sub_f32_e32 v42, v108, v42
	buffer_store_dword v43, off, s[0:3], 0 offset:24
	buffer_store_dword v42, off, s[0:3], 0 offset:28
	v_cmpx_lt_u32_e32 2, v0
	s_cbranch_execz .LBB19_129
; %bb.128:
	s_clause 0x1
	buffer_load_dword v42, off, s[0:3], 0 offset:16
	buffer_load_dword v43, off, s[0:3], 0 offset:20
	v_mov_b32_e32 v44, 0
	buffer_store_dword v44, off, s[0:3], 0 offset:16
	buffer_store_dword v44, off, s[0:3], 0 offset:20
	s_waitcnt vmcnt(0)
	ds_write_b64 v41, v[42:43]
.LBB19_129:
	s_or_b32 exec_lo, exec_lo, s4
	s_waitcnt lgkmcnt(0)
	s_waitcnt_vscnt null, 0x0
	s_barrier
	buffer_gl0_inv
	s_clause 0x23
	buffer_load_dword v77, off, s[0:3], 0 offset:28
	buffer_load_dword v78, off, s[0:3], 0 offset:36
	;; [unrolled: 1-line block ×36, first 2 shown]
	v_mov_b32_e32 v42, 0
	ds_read2_b64 v[43:46], v42 offset0:23 offset1:24
	ds_read2_b64 v[47:50], v42 offset0:25 offset1:26
	;; [unrolled: 1-line block ×8, first 2 shown]
	ds_read_b64 v[75:76], v42 offset:312
	s_mov_b32 s4, exec_lo
	s_waitcnt vmcnt(35) lgkmcnt(8)
	v_mul_f32_e32 v113, v43, v77
	v_mul_f32_e32 v77, v44, v77
	s_waitcnt vmcnt(34)
	v_mul_f32_e32 v114, v45, v78
	v_mul_f32_e32 v78, v46, v78
	s_waitcnt vmcnt(33) lgkmcnt(7)
	v_mul_f32_e32 v115, v47, v79
	s_waitcnt vmcnt(32)
	v_mul_f32_e32 v116, v49, v80
	s_waitcnt vmcnt(31) lgkmcnt(6)
	v_mul_f32_e32 v117, v51, v81
	s_waitcnt vmcnt(30)
	;; [unrolled: 4-line block ×7, first 2 shown]
	v_fma_f32 v43, v43, v94, -v77
	v_fmac_f32_e32 v113, v44, v94
	v_mul_f32_e32 v44, v48, v79
	s_waitcnt vmcnt(17)
	v_fma_f32 v45, v45, v95, -v78
	v_fmac_f32_e32 v114, v46, v95
	v_add_f32_e32 v43, 0, v43
	v_add_f32_e32 v46, 0, v113
	v_mul_f32_e32 v77, v50, v80
	s_waitcnt vmcnt(16)
	v_fma_f32 v44, v47, v96, -v44
	v_fmac_f32_e32 v115, v48, v96
	v_add_f32_e32 v43, v43, v45
	v_add_f32_e32 v45, v46, v114
	;; [unrolled: 6-line block ×13, first 2 shown]
	v_mul_f32_e32 v47, v74, v92
	s_waitcnt vmcnt(4)
	v_fma_f32 v45, v71, v108, -v45
	v_mul_f32_e32 v128, v73, v92
	v_add_f32_e32 v43, v43, v46
	v_fmac_f32_e32 v127, v72, v108
	v_add_f32_e32 v44, v44, v126
	s_waitcnt lgkmcnt(0)
	v_mul_f32_e32 v46, v76, v93
	s_waitcnt vmcnt(3)
	v_fma_f32 v47, v73, v109, -v47
	v_add_f32_e32 v43, v43, v45
	v_mul_f32_e32 v129, v75, v93
	v_fmac_f32_e32 v128, v74, v109
	v_add_f32_e32 v44, v44, v127
	s_waitcnt vmcnt(2)
	v_fma_f32 v45, v75, v110, -v46
	v_add_f32_e32 v43, v43, v47
	v_fmac_f32_e32 v129, v76, v110
	v_add_f32_e32 v44, v44, v128
	v_add_f32_e32 v43, v43, v45
	;; [unrolled: 1-line block ×3, first 2 shown]
	s_waitcnt vmcnt(1)
	v_sub_f32_e32 v43, v111, v43
	s_waitcnt vmcnt(0)
	v_sub_f32_e32 v44, v112, v44
	buffer_store_dword v43, off, s[0:3], 0 offset:16
	buffer_store_dword v44, off, s[0:3], 0 offset:20
	v_cmpx_lt_u32_e32 1, v0
	s_cbranch_execz .LBB19_131
; %bb.130:
	s_clause 0x1
	buffer_load_dword v43, off, s[0:3], 0 offset:8
	buffer_load_dword v44, off, s[0:3], 0 offset:12
	buffer_store_dword v42, off, s[0:3], 0 offset:8
	buffer_store_dword v42, off, s[0:3], 0 offset:12
	s_waitcnt vmcnt(0)
	ds_write_b64 v41, v[43:44]
.LBB19_131:
	s_or_b32 exec_lo, exec_lo, s4
	s_waitcnt lgkmcnt(0)
	s_waitcnt_vscnt null, 0x0
	s_barrier
	buffer_gl0_inv
	s_clause 0x25
	buffer_load_dword v79, off, s[0:3], 0 offset:20
	buffer_load_dword v80, off, s[0:3], 0 offset:28
	;; [unrolled: 1-line block ×38, first 2 shown]
	ds_read_b128 v[43:46], v42 offset:176
	ds_read_b128 v[47:50], v42 offset:192
	;; [unrolled: 1-line block ×9, first 2 shown]
	s_mov_b32 s4, exec_lo
	s_waitcnt vmcnt(37) lgkmcnt(8)
	v_mul_f32_e32 v42, v43, v79
	v_mul_f32_e32 v79, v44, v79
	s_waitcnt vmcnt(36)
	v_mul_f32_e32 v117, v45, v80
	v_mul_f32_e32 v80, v46, v80
	s_waitcnt vmcnt(35) lgkmcnt(7)
	v_mul_f32_e32 v118, v47, v81
	s_waitcnt vmcnt(34)
	v_mul_f32_e32 v119, v49, v82
	s_waitcnt vmcnt(33) lgkmcnt(6)
	v_mul_f32_e32 v120, v51, v83
	s_waitcnt vmcnt(32)
	;; [unrolled: 4-line block ×7, first 2 shown]
	v_mul_f32_e32 v131, v73, v94
	s_waitcnt vmcnt(19)
	v_fma_f32 v43, v43, v97, -v79
	v_fmac_f32_e32 v42, v44, v97
	v_mul_f32_e32 v44, v48, v81
	s_waitcnt vmcnt(18)
	v_fma_f32 v45, v45, v98, -v80
	v_fmac_f32_e32 v117, v46, v98
	v_add_f32_e32 v43, 0, v43
	v_add_f32_e32 v42, 0, v42
	v_mul_f32_e32 v46, v50, v82
	s_waitcnt vmcnt(17)
	v_fma_f32 v44, v47, v99, -v44
	v_fmac_f32_e32 v118, v48, v99
	v_add_f32_e32 v43, v43, v45
	v_add_f32_e32 v42, v42, v117
	;; [unrolled: 6-line block ×14, first 2 shown]
	s_waitcnt lgkmcnt(0)
	v_mul_f32_e32 v45, v76, v95
	s_waitcnt vmcnt(4)
	v_fma_f32 v46, v73, v112, -v46
	v_mul_f32_e32 v132, v75, v95
	v_add_f32_e32 v43, v43, v44
	v_fmac_f32_e32 v131, v74, v112
	v_add_f32_e32 v42, v42, v130
	v_mul_f32_e32 v44, v78, v96
	s_waitcnt vmcnt(3)
	v_fma_f32 v45, v75, v113, -v45
	v_add_f32_e32 v43, v43, v46
	v_mul_f32_e32 v133, v77, v96
	v_fmac_f32_e32 v132, v76, v113
	v_add_f32_e32 v42, v42, v131
	s_waitcnt vmcnt(2)
	v_fma_f32 v44, v77, v114, -v44
	v_add_f32_e32 v43, v43, v45
	v_fmac_f32_e32 v133, v78, v114
	v_add_f32_e32 v42, v42, v132
	v_add_f32_e32 v43, v43, v44
	;; [unrolled: 1-line block ×3, first 2 shown]
	s_waitcnt vmcnt(1)
	v_sub_f32_e32 v43, v115, v43
	s_waitcnt vmcnt(0)
	v_sub_f32_e32 v42, v116, v42
	buffer_store_dword v43, off, s[0:3], 0 offset:8
	buffer_store_dword v42, off, s[0:3], 0 offset:12
	v_cmpx_ne_u32_e32 0, v0
	s_cbranch_execz .LBB19_133
; %bb.132:
	s_clause 0x1
	buffer_load_dword v42, off, s[0:3], 0
	buffer_load_dword v43, off, s[0:3], 0 offset:4
	v_mov_b32_e32 v0, 0
	buffer_store_dword v0, off, s[0:3], 0
	buffer_store_dword v0, off, s[0:3], 0 offset:4
	s_waitcnt vmcnt(0)
	ds_write_b64 v41, v[42:43]
.LBB19_133:
	s_or_b32 exec_lo, exec_lo, s4
	s_waitcnt lgkmcnt(0)
	s_waitcnt_vscnt null, 0x0
	s_barrier
	buffer_gl0_inv
	s_clause 0x27
	buffer_load_dword v79, off, s[0:3], 0 offset:12
	buffer_load_dword v80, off, s[0:3], 0 offset:20
	;; [unrolled: 1-line block ×38, first 2 shown]
	buffer_load_dword v117, off, s[0:3], 0
	buffer_load_dword v118, off, s[0:3], 0 offset:4
	v_mov_b32_e32 v0, 0
	ds_read2_b64 v[41:44], v0 offset0:21 offset1:22
	ds_read2_b64 v[45:48], v0 offset0:23 offset1:24
	;; [unrolled: 1-line block ×9, first 2 shown]
	ds_read_b64 v[77:78], v0 offset:312
	s_and_b32 vcc_lo, exec_lo, s22
	s_waitcnt vmcnt(39) lgkmcnt(9)
	v_mul_f32_e32 v119, v41, v79
	v_mul_f32_e32 v79, v42, v79
	s_waitcnt vmcnt(38)
	v_mul_f32_e32 v120, v43, v80
	v_mul_f32_e32 v80, v44, v80
	s_waitcnt vmcnt(37) lgkmcnt(8)
	v_mul_f32_e32 v121, v45, v81
	s_waitcnt vmcnt(36)
	v_mul_f32_e32 v122, v47, v82
	s_waitcnt vmcnt(35) lgkmcnt(7)
	v_mul_f32_e32 v123, v49, v83
	s_waitcnt vmcnt(34)
	;; [unrolled: 4-line block ×8, first 2 shown]
	v_fma_f32 v41, v41, v98, -v79
	v_fmac_f32_e32 v119, v42, v98
	v_mul_f32_e32 v42, v46, v81
	s_waitcnt vmcnt(19)
	v_fma_f32 v43, v43, v99, -v80
	v_fmac_f32_e32 v120, v44, v99
	v_add_f32_e32 v41, 0, v41
	v_add_f32_e32 v44, 0, v119
	v_mul_f32_e32 v79, v48, v82
	s_waitcnt vmcnt(18)
	v_fma_f32 v42, v45, v100, -v42
	v_fmac_f32_e32 v121, v46, v100
	v_add_f32_e32 v41, v41, v43
	v_add_f32_e32 v43, v44, v120
	;; [unrolled: 6-line block ×15, first 2 shown]
	v_mul_f32_e32 v43, v76, v96
	s_waitcnt vmcnt(4)
	v_fma_f32 v44, v73, v114, -v44
	v_mul_f32_e32 v136, v75, v96
	v_add_f32_e32 v41, v41, v45
	v_fmac_f32_e32 v135, v74, v114
	v_add_f32_e32 v42, v42, v134
	s_waitcnt lgkmcnt(0)
	v_mul_f32_e32 v45, v78, v97
	s_waitcnt vmcnt(3)
	v_fma_f32 v43, v75, v115, -v43
	v_add_f32_e32 v41, v41, v44
	v_mul_f32_e32 v137, v77, v97
	v_fmac_f32_e32 v136, v76, v115
	v_add_f32_e32 v42, v42, v135
	s_waitcnt vmcnt(2)
	v_fma_f32 v44, v77, v116, -v45
	v_add_f32_e32 v41, v41, v43
	v_fmac_f32_e32 v137, v78, v116
	v_add_f32_e32 v42, v42, v136
	v_add_f32_e32 v41, v41, v44
	;; [unrolled: 1-line block ×3, first 2 shown]
	s_waitcnt vmcnt(1)
	v_sub_f32_e32 v41, v117, v41
	s_waitcnt vmcnt(0)
	v_sub_f32_e32 v42, v118, v42
	buffer_store_dword v41, off, s[0:3], 0
	buffer_store_dword v42, off, s[0:3], 0 offset:4
	s_cbranch_vccz .LBB19_172
; %bb.134:
	global_load_dword v0, v0, s[20:21] offset:72
	s_waitcnt vmcnt(0)
	v_add_nc_u32_e32 v0, -1, v0
	v_cmp_ne_u32_e32 vcc_lo, 18, v0
	s_cbranch_vccz .LBB19_136
; %bb.135:
	v_lshlrev_b32_e32 v0, 3, v0
	s_clause 0x3
	buffer_load_dword v41, v0, s[0:3], 0 offen
	buffer_load_dword v42, v0, s[0:3], 0 offen offset:4
	buffer_load_dword v43, off, s[0:3], 0 offset:148
	buffer_load_dword v44, off, s[0:3], 0 offset:144
	s_waitcnt vmcnt(3)
	buffer_store_dword v41, off, s[0:3], 0 offset:144
	s_waitcnt vmcnt(2)
	buffer_store_dword v42, off, s[0:3], 0 offset:148
	s_waitcnt vmcnt(1)
	buffer_store_dword v43, v0, s[0:3], 0 offen offset:4
	s_waitcnt vmcnt(0)
	buffer_store_dword v44, v0, s[0:3], 0 offen
.LBB19_136:
	v_mov_b32_e32 v0, 0
	global_load_dword v41, v0, s[20:21] offset:68
	s_waitcnt vmcnt(0)
	v_add_nc_u32_e32 v41, -1, v41
	v_cmp_eq_u32_e32 vcc_lo, 17, v41
	s_cbranch_vccnz .LBB19_138
; %bb.137:
	v_lshlrev_b32_e32 v41, 3, v41
	s_clause 0x3
	buffer_load_dword v42, v41, s[0:3], 0 offen
	buffer_load_dword v43, v41, s[0:3], 0 offen offset:4
	buffer_load_dword v44, off, s[0:3], 0 offset:136
	buffer_load_dword v45, off, s[0:3], 0 offset:140
	s_waitcnt vmcnt(3)
	buffer_store_dword v42, off, s[0:3], 0 offset:136
	s_waitcnt vmcnt(2)
	buffer_store_dword v43, off, s[0:3], 0 offset:140
	s_waitcnt vmcnt(1)
	buffer_store_dword v44, v41, s[0:3], 0 offen
	s_waitcnt vmcnt(0)
	buffer_store_dword v45, v41, s[0:3], 0 offen offset:4
.LBB19_138:
	global_load_dword v0, v0, s[20:21] offset:64
	s_waitcnt vmcnt(0)
	v_add_nc_u32_e32 v0, -1, v0
	v_cmp_eq_u32_e32 vcc_lo, 16, v0
	s_cbranch_vccnz .LBB19_140
; %bb.139:
	v_lshlrev_b32_e32 v0, 3, v0
	s_clause 0x3
	buffer_load_dword v41, v0, s[0:3], 0 offen
	buffer_load_dword v42, v0, s[0:3], 0 offen offset:4
	buffer_load_dword v43, off, s[0:3], 0 offset:132
	buffer_load_dword v44, off, s[0:3], 0 offset:128
	s_waitcnt vmcnt(3)
	buffer_store_dword v41, off, s[0:3], 0 offset:128
	s_waitcnt vmcnt(2)
	buffer_store_dword v42, off, s[0:3], 0 offset:132
	s_waitcnt vmcnt(1)
	buffer_store_dword v43, v0, s[0:3], 0 offen offset:4
	s_waitcnt vmcnt(0)
	buffer_store_dword v44, v0, s[0:3], 0 offen
.LBB19_140:
	v_mov_b32_e32 v0, 0
	global_load_dword v41, v0, s[20:21] offset:60
	s_waitcnt vmcnt(0)
	v_add_nc_u32_e32 v41, -1, v41
	v_cmp_eq_u32_e32 vcc_lo, 15, v41
	s_cbranch_vccnz .LBB19_142
; %bb.141:
	v_lshlrev_b32_e32 v41, 3, v41
	s_clause 0x3
	buffer_load_dword v42, v41, s[0:3], 0 offen
	buffer_load_dword v43, v41, s[0:3], 0 offen offset:4
	buffer_load_dword v44, off, s[0:3], 0 offset:120
	buffer_load_dword v45, off, s[0:3], 0 offset:124
	s_waitcnt vmcnt(3)
	buffer_store_dword v42, off, s[0:3], 0 offset:120
	s_waitcnt vmcnt(2)
	buffer_store_dword v43, off, s[0:3], 0 offset:124
	s_waitcnt vmcnt(1)
	buffer_store_dword v44, v41, s[0:3], 0 offen
	s_waitcnt vmcnt(0)
	buffer_store_dword v45, v41, s[0:3], 0 offen offset:4
.LBB19_142:
	global_load_dword v0, v0, s[20:21] offset:56
	s_waitcnt vmcnt(0)
	v_add_nc_u32_e32 v0, -1, v0
	v_cmp_eq_u32_e32 vcc_lo, 14, v0
	s_cbranch_vccnz .LBB19_144
; %bb.143:
	v_lshlrev_b32_e32 v0, 3, v0
	s_clause 0x3
	buffer_load_dword v41, v0, s[0:3], 0 offen
	buffer_load_dword v42, v0, s[0:3], 0 offen offset:4
	buffer_load_dword v43, off, s[0:3], 0 offset:116
	buffer_load_dword v44, off, s[0:3], 0 offset:112
	s_waitcnt vmcnt(3)
	buffer_store_dword v41, off, s[0:3], 0 offset:112
	s_waitcnt vmcnt(2)
	buffer_store_dword v42, off, s[0:3], 0 offset:116
	s_waitcnt vmcnt(1)
	buffer_store_dword v43, v0, s[0:3], 0 offen offset:4
	s_waitcnt vmcnt(0)
	buffer_store_dword v44, v0, s[0:3], 0 offen
.LBB19_144:
	;; [unrolled: 43-line block ×8, first 2 shown]
	v_mov_b32_e32 v0, 0
	global_load_dword v41, v0, s[20:21] offset:4
	s_waitcnt vmcnt(0)
	v_add_nc_u32_e32 v41, -1, v41
	v_cmp_eq_u32_e32 vcc_lo, 1, v41
	s_cbranch_vccnz .LBB19_170
; %bb.169:
	v_lshlrev_b32_e32 v41, 3, v41
	s_clause 0x3
	buffer_load_dword v42, v41, s[0:3], 0 offen
	buffer_load_dword v43, v41, s[0:3], 0 offen offset:4
	buffer_load_dword v44, off, s[0:3], 0 offset:8
	buffer_load_dword v45, off, s[0:3], 0 offset:12
	s_waitcnt vmcnt(3)
	buffer_store_dword v42, off, s[0:3], 0 offset:8
	s_waitcnt vmcnt(2)
	buffer_store_dword v43, off, s[0:3], 0 offset:12
	s_waitcnt vmcnt(1)
	buffer_store_dword v44, v41, s[0:3], 0 offen
	s_waitcnt vmcnt(0)
	buffer_store_dword v45, v41, s[0:3], 0 offen offset:4
.LBB19_170:
	global_load_dword v0, v0, s[20:21]
	s_waitcnt vmcnt(0)
	v_add_nc_u32_e32 v0, -1, v0
	v_cmp_eq_u32_e32 vcc_lo, 0, v0
	s_cbranch_vccnz .LBB19_172
; %bb.171:
	v_lshlrev_b32_e32 v0, 3, v0
	s_clause 0x3
	buffer_load_dword v41, v0, s[0:3], 0 offen
	buffer_load_dword v42, v0, s[0:3], 0 offen offset:4
	buffer_load_dword v43, off, s[0:3], 0 offset:4
	buffer_load_dword v44, off, s[0:3], 0
	s_waitcnt vmcnt(3)
	buffer_store_dword v41, off, s[0:3], 0
	s_waitcnt vmcnt(2)
	buffer_store_dword v42, off, s[0:3], 0 offset:4
	s_waitcnt vmcnt(1)
	buffer_store_dword v43, v0, s[0:3], 0 offen offset:4
	s_waitcnt vmcnt(0)
	buffer_store_dword v44, v0, s[0:3], 0 offen
.LBB19_172:
	s_clause 0x27
	buffer_load_dword v41, off, s[0:3], 0
	buffer_load_dword v42, off, s[0:3], 0 offset:4
	buffer_load_dword v43, off, s[0:3], 0 offset:8
	;; [unrolled: 1-line block ×39, first 2 shown]
	s_waitcnt vmcnt(38)
	global_store_dwordx2 v[1:2], v[41:42], off
	s_waitcnt vmcnt(36)
	global_store_dwordx2 v[3:4], v[43:44], off
	;; [unrolled: 2-line block ×9, first 2 shown]
	global_store_dwordx2 v[19:20], v[59:60], off
	global_store_dwordx2 v[21:22], v[61:62], off
	;; [unrolled: 1-line block ×3, first 2 shown]
	s_waitcnt vmcnt(14)
	global_store_dwordx2 v[25:26], v[65:66], off
	s_waitcnt vmcnt(12)
	global_store_dwordx2 v[27:28], v[67:68], off
	;; [unrolled: 2-line block ×8, first 2 shown]
	s_endpgm
	.section	.rodata,"a",@progbits
	.p2align	6, 0x0
	.amdhsa_kernel _ZN9rocsolver6v33100L18getri_kernel_smallILi20E19rocblas_complex_numIfEPS3_EEvT1_iilPiilS6_bb
		.amdhsa_group_segment_fixed_size 324
		.amdhsa_private_segment_fixed_size 176
		.amdhsa_kernarg_size 60
		.amdhsa_user_sgpr_count 6
		.amdhsa_user_sgpr_private_segment_buffer 1
		.amdhsa_user_sgpr_dispatch_ptr 0
		.amdhsa_user_sgpr_queue_ptr 0
		.amdhsa_user_sgpr_kernarg_segment_ptr 1
		.amdhsa_user_sgpr_dispatch_id 0
		.amdhsa_user_sgpr_flat_scratch_init 0
		.amdhsa_user_sgpr_private_segment_size 0
		.amdhsa_wavefront_size32 1
		.amdhsa_uses_dynamic_stack 0
		.amdhsa_system_sgpr_private_segment_wavefront_offset 1
		.amdhsa_system_sgpr_workgroup_id_x 1
		.amdhsa_system_sgpr_workgroup_id_y 0
		.amdhsa_system_sgpr_workgroup_id_z 0
		.amdhsa_system_sgpr_workgroup_info 0
		.amdhsa_system_vgpr_workitem_id 0
		.amdhsa_next_free_vgpr 138
		.amdhsa_next_free_sgpr 23
		.amdhsa_reserve_vcc 1
		.amdhsa_reserve_flat_scratch 0
		.amdhsa_float_round_mode_32 0
		.amdhsa_float_round_mode_16_64 0
		.amdhsa_float_denorm_mode_32 3
		.amdhsa_float_denorm_mode_16_64 3
		.amdhsa_dx10_clamp 1
		.amdhsa_ieee_mode 1
		.amdhsa_fp16_overflow 0
		.amdhsa_workgroup_processor_mode 1
		.amdhsa_memory_ordered 1
		.amdhsa_forward_progress 1
		.amdhsa_shared_vgpr_count 0
		.amdhsa_exception_fp_ieee_invalid_op 0
		.amdhsa_exception_fp_denorm_src 0
		.amdhsa_exception_fp_ieee_div_zero 0
		.amdhsa_exception_fp_ieee_overflow 0
		.amdhsa_exception_fp_ieee_underflow 0
		.amdhsa_exception_fp_ieee_inexact 0
		.amdhsa_exception_int_div_zero 0
	.end_amdhsa_kernel
	.section	.text._ZN9rocsolver6v33100L18getri_kernel_smallILi20E19rocblas_complex_numIfEPS3_EEvT1_iilPiilS6_bb,"axG",@progbits,_ZN9rocsolver6v33100L18getri_kernel_smallILi20E19rocblas_complex_numIfEPS3_EEvT1_iilPiilS6_bb,comdat
.Lfunc_end19:
	.size	_ZN9rocsolver6v33100L18getri_kernel_smallILi20E19rocblas_complex_numIfEPS3_EEvT1_iilPiilS6_bb, .Lfunc_end19-_ZN9rocsolver6v33100L18getri_kernel_smallILi20E19rocblas_complex_numIfEPS3_EEvT1_iilPiilS6_bb
                                        ; -- End function
	.set _ZN9rocsolver6v33100L18getri_kernel_smallILi20E19rocblas_complex_numIfEPS3_EEvT1_iilPiilS6_bb.num_vgpr, 138
	.set _ZN9rocsolver6v33100L18getri_kernel_smallILi20E19rocblas_complex_numIfEPS3_EEvT1_iilPiilS6_bb.num_agpr, 0
	.set _ZN9rocsolver6v33100L18getri_kernel_smallILi20E19rocblas_complex_numIfEPS3_EEvT1_iilPiilS6_bb.numbered_sgpr, 23
	.set _ZN9rocsolver6v33100L18getri_kernel_smallILi20E19rocblas_complex_numIfEPS3_EEvT1_iilPiilS6_bb.num_named_barrier, 0
	.set _ZN9rocsolver6v33100L18getri_kernel_smallILi20E19rocblas_complex_numIfEPS3_EEvT1_iilPiilS6_bb.private_seg_size, 176
	.set _ZN9rocsolver6v33100L18getri_kernel_smallILi20E19rocblas_complex_numIfEPS3_EEvT1_iilPiilS6_bb.uses_vcc, 1
	.set _ZN9rocsolver6v33100L18getri_kernel_smallILi20E19rocblas_complex_numIfEPS3_EEvT1_iilPiilS6_bb.uses_flat_scratch, 0
	.set _ZN9rocsolver6v33100L18getri_kernel_smallILi20E19rocblas_complex_numIfEPS3_EEvT1_iilPiilS6_bb.has_dyn_sized_stack, 0
	.set _ZN9rocsolver6v33100L18getri_kernel_smallILi20E19rocblas_complex_numIfEPS3_EEvT1_iilPiilS6_bb.has_recursion, 0
	.set _ZN9rocsolver6v33100L18getri_kernel_smallILi20E19rocblas_complex_numIfEPS3_EEvT1_iilPiilS6_bb.has_indirect_call, 0
	.section	.AMDGPU.csdata,"",@progbits
; Kernel info:
; codeLenInByte = 23088
; TotalNumSgprs: 25
; NumVgprs: 138
; ScratchSize: 176
; MemoryBound: 0
; FloatMode: 240
; IeeeMode: 1
; LDSByteSize: 324 bytes/workgroup (compile time only)
; SGPRBlocks: 0
; VGPRBlocks: 17
; NumSGPRsForWavesPerEU: 25
; NumVGPRsForWavesPerEU: 138
; Occupancy: 7
; WaveLimiterHint : 1
; COMPUTE_PGM_RSRC2:SCRATCH_EN: 1
; COMPUTE_PGM_RSRC2:USER_SGPR: 6
; COMPUTE_PGM_RSRC2:TRAP_HANDLER: 0
; COMPUTE_PGM_RSRC2:TGID_X_EN: 1
; COMPUTE_PGM_RSRC2:TGID_Y_EN: 0
; COMPUTE_PGM_RSRC2:TGID_Z_EN: 0
; COMPUTE_PGM_RSRC2:TIDIG_COMP_CNT: 0
	.section	.text._ZN9rocsolver6v33100L18getri_kernel_smallILi21E19rocblas_complex_numIfEPS3_EEvT1_iilPiilS6_bb,"axG",@progbits,_ZN9rocsolver6v33100L18getri_kernel_smallILi21E19rocblas_complex_numIfEPS3_EEvT1_iilPiilS6_bb,comdat
	.globl	_ZN9rocsolver6v33100L18getri_kernel_smallILi21E19rocblas_complex_numIfEPS3_EEvT1_iilPiilS6_bb ; -- Begin function _ZN9rocsolver6v33100L18getri_kernel_smallILi21E19rocblas_complex_numIfEPS3_EEvT1_iilPiilS6_bb
	.p2align	8
	.type	_ZN9rocsolver6v33100L18getri_kernel_smallILi21E19rocblas_complex_numIfEPS3_EEvT1_iilPiilS6_bb,@function
_ZN9rocsolver6v33100L18getri_kernel_smallILi21E19rocblas_complex_numIfEPS3_EEvT1_iilPiilS6_bb: ; @_ZN9rocsolver6v33100L18getri_kernel_smallILi21E19rocblas_complex_numIfEPS3_EEvT1_iilPiilS6_bb
; %bb.0:
	s_add_u32 s0, s0, s7
	s_addc_u32 s1, s1, 0
	s_mov_b32 s7, exec_lo
	v_cmpx_gt_u32_e32 21, v0
	s_cbranch_execz .LBB20_98
; %bb.1:
	s_clause 0x2
	s_load_dword s7, s[4:5], 0x38
	s_load_dwordx4 s[16:19], s[4:5], 0x10
	s_load_dwordx4 s[8:11], s[4:5], 0x28
                                        ; implicit-def: $sgpr20_sgpr21
	s_waitcnt lgkmcnt(0)
	s_bitcmp1_b32 s7, 8
	s_cselect_b32 s22, -1, 0
	s_bfe_u32 s12, s7, 0x10008
	s_ashr_i32 s7, s6, 31
	s_cmp_eq_u32 s12, 0
	s_cbranch_scc1 .LBB20_3
; %bb.2:
	s_load_dword s12, s[4:5], 0x20
	s_mul_i32 s13, s8, s7
	s_mul_hi_u32 s14, s8, s6
	s_mul_i32 s9, s9, s6
	s_add_i32 s13, s14, s13
	s_mul_i32 s8, s8, s6
	s_add_i32 s9, s13, s9
	s_lshl_b64 s[8:9], s[8:9], 2
	s_waitcnt lgkmcnt(0)
	s_ashr_i32 s13, s12, 31
	s_add_u32 s14, s18, s8
	s_addc_u32 s15, s19, s9
	s_lshl_b64 s[8:9], s[12:13], 2
	s_add_u32 s20, s14, s8
	s_addc_u32 s21, s15, s9
.LBB20_3:
	s_clause 0x1
	s_load_dwordx4 s[12:15], s[4:5], 0x0
	s_load_dword s8, s[4:5], 0x38
	s_mul_i32 s4, s16, s7
	s_mul_hi_u32 s5, s16, s6
	s_mul_i32 s9, s17, s6
	s_add_i32 s5, s5, s4
	s_mul_i32 s4, s16, s6
	s_add_i32 s5, s5, s9
	v_lshlrev_b32_e32 v45, 3, v0
	s_lshl_b64 s[4:5], s[4:5], 3
	s_waitcnt lgkmcnt(0)
	v_add3_u32 v3, s15, s15, v0
	s_ashr_i32 s17, s14, 31
	s_mov_b32 s16, s14
	s_add_u32 s9, s12, s4
	s_addc_u32 s13, s13, s5
	v_add_nc_u32_e32 v5, s15, v3
	s_lshl_b64 s[4:5], s[16:17], 3
	v_ashrrev_i32_e32 v4, 31, v3
	s_add_u32 s4, s9, s4
	s_addc_u32 s5, s13, s5
	v_ashrrev_i32_e32 v6, 31, v5
	v_add_nc_u32_e32 v9, s15, v5
	v_add_co_u32 v1, s9, s4, v45
	s_mov_b32 s12, s15
	s_ashr_i32 s13, s15, 31
	v_lshlrev_b64 v[7:8], 3, v[3:4]
	v_add_co_ci_u32_e64 v2, null, s5, 0, s9
	s_lshl_b64 s[12:13], s[12:13], 3
	v_ashrrev_i32_e32 v10, 31, v9
	v_lshlrev_b64 v[11:12], 3, v[5:6]
	v_add_nc_u32_e32 v15, s15, v9
	v_add_co_u32 v3, vcc_lo, v1, s12
	v_add_co_ci_u32_e64 v4, null, s13, v2, vcc_lo
	v_add_co_u32 v5, vcc_lo, s4, v7
	v_lshlrev_b64 v[13:14], 3, v[9:10]
	v_add_co_ci_u32_e64 v6, null, s5, v8, vcc_lo
	v_add_co_u32 v7, vcc_lo, s4, v11
	v_add_nc_u32_e32 v11, s15, v15
	v_add_co_ci_u32_e64 v8, null, s5, v12, vcc_lo
	v_add_co_u32 v9, vcc_lo, s4, v13
	v_add_nc_u32_e32 v13, s15, v11
	v_ashrrev_i32_e32 v16, 31, v15
	v_ashrrev_i32_e32 v12, 31, v11
	v_add_co_ci_u32_e64 v10, null, s5, v14, vcc_lo
	v_add_nc_u32_e32 v17, s15, v13
	v_lshlrev_b64 v[15:16], 3, v[15:16]
	v_lshlrev_b64 v[19:20], 3, v[11:12]
	v_ashrrev_i32_e32 v14, 31, v13
	global_load_dwordx2 v[43:44], v45, s[4:5]
	v_add_nc_u32_e32 v21, s15, v17
	v_ashrrev_i32_e32 v18, 31, v17
	v_add_co_u32 v11, vcc_lo, s4, v15
	v_add_co_ci_u32_e64 v12, null, s5, v16, vcc_lo
	v_lshlrev_b64 v[15:16], 3, v[13:14]
	v_add_co_u32 v13, vcc_lo, s4, v19
	v_add_nc_u32_e32 v19, s15, v21
	v_ashrrev_i32_e32 v22, 31, v21
	v_add_co_ci_u32_e64 v14, null, s5, v20, vcc_lo
	v_lshlrev_b64 v[17:18], 3, v[17:18]
	v_add_nc_u32_e32 v23, s15, v19
	v_ashrrev_i32_e32 v20, 31, v19
	v_lshlrev_b64 v[21:22], 3, v[21:22]
	v_add_co_u32 v15, vcc_lo, s4, v15
	v_add_nc_u32_e32 v27, s15, v23
	v_lshlrev_b64 v[25:26], 3, v[19:20]
	v_add_co_ci_u32_e64 v16, null, s5, v16, vcc_lo
	v_add_co_u32 v17, vcc_lo, s4, v17
	v_ashrrev_i32_e32 v28, 31, v27
	v_add_nc_u32_e32 v29, s15, v27
	v_add_co_ci_u32_e64 v18, null, s5, v18, vcc_lo
	v_add_co_u32 v19, vcc_lo, s4, v21
	v_add_co_ci_u32_e64 v20, null, s5, v22, vcc_lo
	v_add_co_u32 v21, vcc_lo, s4, v25
	v_add_co_ci_u32_e64 v22, null, s5, v26, vcc_lo
	v_lshlrev_b64 v[25:26], 3, v[27:28]
	v_add_nc_u32_e32 v27, s15, v29
	v_ashrrev_i32_e32 v24, 31, v23
	v_ashrrev_i32_e32 v30, 31, v29
	s_clause 0x7
	global_load_dwordx2 v[46:47], v[3:4], off
	global_load_dwordx2 v[48:49], v[5:6], off
	;; [unrolled: 1-line block ×8, first 2 shown]
	v_add_nc_u32_e32 v31, s15, v27
	v_lshlrev_b64 v[23:24], 3, v[23:24]
	v_ashrrev_i32_e32 v28, 31, v27
	v_lshlrev_b64 v[29:30], 3, v[29:30]
	global_load_dwordx2 v[64:65], v[19:20], off
	v_add_nc_u32_e32 v35, s15, v31
	v_ashrrev_i32_e32 v32, 31, v31
	v_add_co_u32 v23, vcc_lo, s4, v23
	v_lshlrev_b64 v[33:34], 3, v[27:28]
	v_add_co_ci_u32_e64 v24, null, s5, v24, vcc_lo
	v_add_co_u32 v25, vcc_lo, s4, v25
	v_ashrrev_i32_e32 v36, 31, v35
	v_add_nc_u32_e32 v37, s15, v35
	v_add_co_ci_u32_e64 v26, null, s5, v26, vcc_lo
	v_add_co_u32 v27, vcc_lo, s4, v29
	v_add_co_ci_u32_e64 v28, null, s5, v30, vcc_lo
	v_add_co_u32 v29, vcc_lo, s4, v33
	v_add_co_ci_u32_e64 v30, null, s5, v34, vcc_lo
	v_lshlrev_b64 v[33:34], 3, v[35:36]
	v_add_nc_u32_e32 v35, s15, v37
	v_ashrrev_i32_e32 v38, 31, v37
	v_lshlrev_b64 v[31:32], 3, v[31:32]
	s_bitcmp0_b32 s8, 0
	v_add_nc_u32_e32 v39, s15, v35
	v_ashrrev_i32_e32 v36, 31, v35
	v_lshlrev_b64 v[37:38], 3, v[37:38]
	v_add_co_u32 v31, vcc_lo, s4, v31
	v_add_nc_u32_e32 v54, s15, v39
	v_lshlrev_b64 v[41:42], 3, v[35:36]
	v_ashrrev_i32_e32 v40, 31, v39
	v_add_co_ci_u32_e64 v32, null, s5, v32, vcc_lo
	v_add_co_u32 v33, vcc_lo, s4, v33
	v_ashrrev_i32_e32 v55, 31, v54
	v_add_co_ci_u32_e64 v34, null, s5, v34, vcc_lo
	v_add_co_u32 v35, vcc_lo, s4, v37
	v_add_co_ci_u32_e64 v36, null, s5, v38, vcc_lo
	v_lshlrev_b64 v[39:40], 3, v[39:40]
	v_add_co_u32 v37, vcc_lo, s4, v41
	v_add_co_ci_u32_e64 v38, null, s5, v42, vcc_lo
	v_lshlrev_b64 v[41:42], 3, v[54:55]
	v_add_co_u32 v39, vcc_lo, s4, v39
	v_add_co_ci_u32_e64 v40, null, s5, v40, vcc_lo
	s_clause 0x3
	global_load_dwordx2 v[54:55], v[21:22], off
	global_load_dwordx2 v[66:67], v[23:24], off
	global_load_dwordx2 v[68:69], v[25:26], off
	global_load_dwordx2 v[70:71], v[27:28], off
	v_add_co_u32 v41, vcc_lo, s4, v41
	v_add_co_ci_u32_e64 v42, null, s5, v42, vcc_lo
	s_clause 0x6
	global_load_dwordx2 v[72:73], v[29:30], off
	global_load_dwordx2 v[74:75], v[31:32], off
	global_load_dwordx2 v[76:77], v[33:34], off
	global_load_dwordx2 v[78:79], v[35:36], off
	global_load_dwordx2 v[80:81], v[37:38], off
	global_load_dwordx2 v[82:83], v[39:40], off
	global_load_dwordx2 v[84:85], v[41:42], off
	s_mov_b32 s5, -1
	s_waitcnt vmcnt(20)
	buffer_store_dword v44, off, s[0:3], 0 offset:4
	buffer_store_dword v43, off, s[0:3], 0
	s_waitcnt vmcnt(19)
	buffer_store_dword v47, off, s[0:3], 0 offset:12
	buffer_store_dword v46, off, s[0:3], 0 offset:8
	s_waitcnt vmcnt(18)
	buffer_store_dword v49, off, s[0:3], 0 offset:20
	buffer_store_dword v48, off, s[0:3], 0 offset:16
	;; [unrolled: 3-line block ×20, first 2 shown]
	s_cbranch_scc1 .LBB20_96
; %bb.4:
	v_cmp_eq_u32_e64 s4, 0, v0
	s_and_saveexec_b32 s5, s4
; %bb.5:
	v_mov_b32_e32 v43, 0
	ds_write_b32 v43, v43 offset:168
; %bb.6:
	s_or_b32 exec_lo, exec_lo, s5
	v_lshl_add_u32 v47, v0, 3, 0
	s_waitcnt lgkmcnt(0)
	s_waitcnt_vscnt null, 0x0
	s_barrier
	buffer_gl0_inv
	s_clause 0x1
	buffer_load_dword v43, v47, s[0:3], 0 offen
	buffer_load_dword v44, v47, s[0:3], 0 offen offset:4
	s_waitcnt vmcnt(1)
	v_cmp_eq_f32_e32 vcc_lo, 0, v43
	s_waitcnt vmcnt(0)
	v_cmp_eq_f32_e64 s5, 0, v44
	s_and_b32 s5, vcc_lo, s5
	s_and_saveexec_b32 s8, s5
	s_cbranch_execz .LBB20_10
; %bb.7:
	v_mov_b32_e32 v43, 0
	s_mov_b32 s9, 0
	ds_read_b32 v44, v43 offset:168
	s_waitcnt lgkmcnt(0)
	v_readfirstlane_b32 s5, v44
	v_add_nc_u32_e32 v44, 1, v0
	s_cmp_eq_u32 s5, 0
	v_cmp_gt_i32_e32 vcc_lo, s5, v44
	s_cselect_b32 s12, -1, 0
	s_or_b32 s12, s12, vcc_lo
	s_and_b32 exec_lo, exec_lo, s12
	s_cbranch_execz .LBB20_10
; %bb.8:
	v_mov_b32_e32 v46, s5
.LBB20_9:                               ; =>This Inner Loop Header: Depth=1
	ds_cmpst_rtn_b32 v46, v43, v46, v44 offset:168
	s_waitcnt lgkmcnt(0)
	v_cmp_ne_u32_e32 vcc_lo, 0, v46
	v_cmp_le_i32_e64 s5, v46, v44
	s_and_b32 s5, vcc_lo, s5
	s_and_b32 s5, exec_lo, s5
	s_or_b32 s9, s5, s9
	s_andn2_b32 exec_lo, exec_lo, s9
	s_cbranch_execnz .LBB20_9
.LBB20_10:
	s_or_b32 exec_lo, exec_lo, s8
	v_mov_b32_e32 v43, 0
	s_barrier
	buffer_gl0_inv
	ds_read_b32 v44, v43 offset:168
	s_and_saveexec_b32 s5, s4
	s_cbranch_execz .LBB20_12
; %bb.11:
	s_lshl_b64 s[8:9], s[6:7], 2
	s_add_u32 s8, s10, s8
	s_addc_u32 s9, s11, s9
	s_waitcnt lgkmcnt(0)
	global_store_dword v43, v44, s[8:9]
.LBB20_12:
	s_or_b32 exec_lo, exec_lo, s5
	s_waitcnt lgkmcnt(0)
	v_cmp_ne_u32_e32 vcc_lo, 0, v44
	s_mov_b32 s5, 0
	s_cbranch_vccnz .LBB20_96
; %bb.13:
	s_clause 0x1
	buffer_load_dword v44, v47, s[0:3], 0 offen
	buffer_load_dword v46, v47, s[0:3], 0 offen offset:4
                                        ; implicit-def: $vgpr49
                                        ; implicit-def: $vgpr48
                                        ; implicit-def: $vgpr43
	s_waitcnt vmcnt(0)
	v_cmp_ngt_f32_e64 s5, |v44|, |v46|
	s_and_saveexec_b32 s8, s5
	s_xor_b32 s5, exec_lo, s8
	s_cbranch_execz .LBB20_15
; %bb.14:
	v_div_scale_f32 v43, null, v46, v46, v44
	v_div_scale_f32 v50, vcc_lo, v44, v46, v44
	v_rcp_f32_e32 v48, v43
	v_fma_f32 v49, -v43, v48, 1.0
	v_fmac_f32_e32 v48, v49, v48
	v_mul_f32_e32 v49, v50, v48
	v_fma_f32 v51, -v43, v49, v50
	v_fmac_f32_e32 v49, v51, v48
	v_fma_f32 v43, -v43, v49, v50
	v_div_fmas_f32 v43, v43, v48, v49
	v_div_fixup_f32 v43, v43, v46, v44
	v_fmac_f32_e32 v46, v44, v43
	v_div_scale_f32 v44, null, v46, v46, 1.0
	v_rcp_f32_e32 v48, v44
	v_fma_f32 v49, -v44, v48, 1.0
	v_fmac_f32_e32 v48, v49, v48
	v_div_scale_f32 v49, vcc_lo, 1.0, v46, 1.0
	v_mul_f32_e32 v50, v49, v48
	v_fma_f32 v51, -v44, v50, v49
	v_fmac_f32_e32 v50, v51, v48
	v_fma_f32 v44, -v44, v50, v49
	v_div_fmas_f32 v44, v44, v48, v50
	v_div_fixup_f32 v44, v44, v46, 1.0
                                        ; implicit-def: $vgpr46
	v_mul_f32_e32 v49, v43, v44
	v_xor_b32_e32 v48, 0x80000000, v44
                                        ; implicit-def: $vgpr44
	v_xor_b32_e32 v43, 0x80000000, v49
.LBB20_15:
	s_andn2_saveexec_b32 s5, s5
	s_cbranch_execz .LBB20_17
; %bb.16:
	v_div_scale_f32 v43, null, v44, v44, v46
	v_div_scale_f32 v50, vcc_lo, v46, v44, v46
	v_rcp_f32_e32 v48, v43
	v_fma_f32 v49, -v43, v48, 1.0
	v_fmac_f32_e32 v48, v49, v48
	v_mul_f32_e32 v49, v50, v48
	v_fma_f32 v51, -v43, v49, v50
	v_fmac_f32_e32 v49, v51, v48
	v_fma_f32 v43, -v43, v49, v50
	v_div_fmas_f32 v43, v43, v48, v49
	v_div_fixup_f32 v48, v43, v44, v46
	v_fmac_f32_e32 v44, v46, v48
	v_div_scale_f32 v43, null, v44, v44, 1.0
	v_div_scale_f32 v50, vcc_lo, 1.0, v44, 1.0
	v_rcp_f32_e32 v46, v43
	v_fma_f32 v49, -v43, v46, 1.0
	v_fmac_f32_e32 v46, v49, v46
	v_mul_f32_e32 v49, v50, v46
	v_fma_f32 v51, -v43, v49, v50
	v_fmac_f32_e32 v49, v51, v46
	v_fma_f32 v43, -v43, v49, v50
	v_div_fmas_f32 v43, v43, v46, v49
	v_div_fixup_f32 v49, v43, v44, 1.0
	v_xor_b32_e32 v43, 0x80000000, v49
	v_mul_f32_e64 v48, v48, -v49
.LBB20_17:
	s_or_b32 exec_lo, exec_lo, s5
	buffer_store_dword v49, v47, s[0:3], 0 offen
	buffer_store_dword v48, v47, s[0:3], 0 offen offset:4
	s_clause 0x1
	buffer_load_dword v50, off, s[0:3], 0 offset:12
	buffer_load_dword v49, off, s[0:3], 0 offset:8
	v_xor_b32_e32 v44, 0x80000000, v48
	v_add_nc_u32_e32 v46, 0xb0, v45
	s_waitcnt vmcnt(0)
	ds_write2_b64 v45, v[43:44], v[49:50] offset1:22
	s_waitcnt lgkmcnt(0)
	s_waitcnt_vscnt null, 0x0
	s_barrier
	buffer_gl0_inv
	s_and_saveexec_b32 s5, s4
	s_cbranch_execz .LBB20_19
; %bb.18:
	s_clause 0x1
	buffer_load_dword v50, v47, s[0:3], 0 offen offset:4
	buffer_load_dword v51, v47, s[0:3], 0 offen
	ds_read_b64 v[43:44], v46
	v_mov_b32_e32 v48, 0
	ds_read_b64 v[48:49], v48 offset:8
	s_waitcnt vmcnt(1) lgkmcnt(1)
	v_mul_f32_e32 v52, v43, v50
	v_mul_f32_e32 v50, v44, v50
	s_waitcnt vmcnt(0)
	v_fmac_f32_e32 v52, v44, v51
	v_fma_f32 v43, v43, v51, -v50
	v_add_f32_e32 v44, 0, v52
	v_add_f32_e32 v43, 0, v43
	s_waitcnt lgkmcnt(0)
	v_mul_f32_e32 v50, v44, v49
	v_mul_f32_e32 v49, v43, v49
	v_fma_f32 v43, v43, v48, -v50
	v_fmac_f32_e32 v49, v44, v48
	buffer_store_dword v43, off, s[0:3], 0 offset:8
	buffer_store_dword v49, off, s[0:3], 0 offset:12
.LBB20_19:
	s_or_b32 exec_lo, exec_lo, s5
	s_waitcnt_vscnt null, 0x0
	s_barrier
	buffer_gl0_inv
	s_clause 0x1
	buffer_load_dword v43, off, s[0:3], 0 offset:16
	buffer_load_dword v44, off, s[0:3], 0 offset:20
	s_mov_b32 s5, exec_lo
	s_waitcnt vmcnt(0)
	ds_write_b64 v46, v[43:44]
	s_waitcnt lgkmcnt(0)
	s_barrier
	buffer_gl0_inv
	v_cmpx_gt_u32_e32 2, v0
	s_cbranch_execz .LBB20_23
; %bb.20:
	s_clause 0x1
	buffer_load_dword v48, v47, s[0:3], 0 offen offset:4
	buffer_load_dword v47, v47, s[0:3], 0 offen
	ds_read_b64 v[43:44], v46
	s_waitcnt vmcnt(1) lgkmcnt(0)
	v_mul_f32_e32 v49, v44, v48
	v_mul_f32_e32 v48, v43, v48
	s_waitcnt vmcnt(0)
	v_fma_f32 v43, v43, v47, -v49
	v_fmac_f32_e32 v48, v44, v47
	v_add_f32_e32 v44, 0, v43
	v_add_f32_e32 v43, 0, v48
	s_and_saveexec_b32 s8, s4
	s_cbranch_execz .LBB20_22
; %bb.21:
	s_clause 0x1
	buffer_load_dword v49, off, s[0:3], 0 offset:12
	buffer_load_dword v50, off, s[0:3], 0 offset:8
	v_mov_b32_e32 v47, 0
	ds_read_b64 v[47:48], v47 offset:184
	s_waitcnt vmcnt(1) lgkmcnt(0)
	v_mul_f32_e32 v51, v47, v49
	v_mul_f32_e32 v49, v48, v49
	s_waitcnt vmcnt(0)
	v_fmac_f32_e32 v51, v48, v50
	v_fma_f32 v47, v47, v50, -v49
	v_add_f32_e32 v43, v43, v51
	v_add_f32_e32 v44, v44, v47
.LBB20_22:
	s_or_b32 exec_lo, exec_lo, s8
	v_mov_b32_e32 v47, 0
	ds_read_b64 v[47:48], v47 offset:16
	s_waitcnt lgkmcnt(0)
	v_mul_f32_e32 v49, v43, v48
	v_mul_f32_e32 v48, v44, v48
	v_fma_f32 v44, v44, v47, -v49
	v_fmac_f32_e32 v48, v43, v47
	buffer_store_dword v44, off, s[0:3], 0 offset:16
	buffer_store_dword v48, off, s[0:3], 0 offset:20
.LBB20_23:
	s_or_b32 exec_lo, exec_lo, s5
	s_waitcnt_vscnt null, 0x0
	s_barrier
	buffer_gl0_inv
	s_clause 0x1
	buffer_load_dword v47, off, s[0:3], 0 offset:24
	buffer_load_dword v48, off, s[0:3], 0 offset:28
	v_add_nc_u32_e32 v43, -1, v0
	s_mov_b32 s4, exec_lo
	s_waitcnt vmcnt(0)
	ds_write_b64 v46, v[47:48]
	s_waitcnt lgkmcnt(0)
	s_barrier
	buffer_gl0_inv
	v_cmpx_gt_u32_e32 3, v0
	s_cbranch_execz .LBB20_27
; %bb.24:
	v_add_nc_u32_e32 v47, -1, v0
	v_add_nc_u32_e32 v48, 0xb0, v45
	v_mov_b32_e32 v49, v45
	v_mov_b32_e32 v44, 0
	;; [unrolled: 1-line block ×3, first 2 shown]
	s_mov_b32 s5, 0
	.p2align	6
.LBB20_25:                              ; =>This Inner Loop Header: Depth=1
	s_clause 0x1
	buffer_load_dword v53, v49, s[0:3], 0 offen offset:4
	buffer_load_dword v54, v49, s[0:3], 0 offen
	ds_read_b64 v[51:52], v48
	v_add_nc_u32_e32 v47, 1, v47
	v_add_nc_u32_e32 v48, 8, v48
	v_add_nc_u32_e32 v49, 8, v49
	v_cmp_lt_u32_e32 vcc_lo, 1, v47
	s_or_b32 s5, vcc_lo, s5
	s_waitcnt vmcnt(1) lgkmcnt(0)
	v_mul_f32_e32 v55, v52, v53
	v_mul_f32_e32 v53, v51, v53
	s_waitcnt vmcnt(0)
	v_fma_f32 v51, v51, v54, -v55
	v_fmac_f32_e32 v53, v52, v54
	v_add_f32_e32 v50, v50, v51
	v_add_f32_e32 v44, v44, v53
	s_andn2_b32 exec_lo, exec_lo, s5
	s_cbranch_execnz .LBB20_25
; %bb.26:
	s_or_b32 exec_lo, exec_lo, s5
	v_mov_b32_e32 v47, 0
	ds_read_b64 v[47:48], v47 offset:24
	s_waitcnt lgkmcnt(0)
	v_mul_f32_e32 v49, v44, v48
	v_mul_f32_e32 v48, v50, v48
	v_fma_f32 v49, v50, v47, -v49
	v_fmac_f32_e32 v48, v44, v47
	buffer_store_dword v49, off, s[0:3], 0 offset:24
	buffer_store_dword v48, off, s[0:3], 0 offset:28
.LBB20_27:
	s_or_b32 exec_lo, exec_lo, s4
	s_waitcnt_vscnt null, 0x0
	s_barrier
	buffer_gl0_inv
	s_clause 0x1
	buffer_load_dword v47, off, s[0:3], 0 offset:32
	buffer_load_dword v48, off, s[0:3], 0 offset:36
	s_mov_b32 s4, exec_lo
	s_waitcnt vmcnt(0)
	ds_write_b64 v46, v[47:48]
	s_waitcnt lgkmcnt(0)
	s_barrier
	buffer_gl0_inv
	v_cmpx_gt_u32_e32 4, v0
	s_cbranch_execz .LBB20_31
; %bb.28:
	v_add_nc_u32_e32 v47, -1, v0
	v_add_nc_u32_e32 v48, 0xb0, v45
	v_mov_b32_e32 v49, v45
	v_mov_b32_e32 v44, 0
	;; [unrolled: 1-line block ×3, first 2 shown]
	s_mov_b32 s5, 0
	.p2align	6
.LBB20_29:                              ; =>This Inner Loop Header: Depth=1
	s_clause 0x1
	buffer_load_dword v53, v49, s[0:3], 0 offen offset:4
	buffer_load_dword v54, v49, s[0:3], 0 offen
	ds_read_b64 v[51:52], v48
	v_add_nc_u32_e32 v47, 1, v47
	v_add_nc_u32_e32 v48, 8, v48
	v_add_nc_u32_e32 v49, 8, v49
	v_cmp_lt_u32_e32 vcc_lo, 2, v47
	s_or_b32 s5, vcc_lo, s5
	s_waitcnt vmcnt(1) lgkmcnt(0)
	v_mul_f32_e32 v55, v52, v53
	v_mul_f32_e32 v53, v51, v53
	s_waitcnt vmcnt(0)
	v_fma_f32 v51, v51, v54, -v55
	v_fmac_f32_e32 v53, v52, v54
	v_add_f32_e32 v50, v50, v51
	v_add_f32_e32 v44, v44, v53
	s_andn2_b32 exec_lo, exec_lo, s5
	s_cbranch_execnz .LBB20_29
; %bb.30:
	s_or_b32 exec_lo, exec_lo, s5
	v_mov_b32_e32 v47, 0
	ds_read_b64 v[47:48], v47 offset:32
	s_waitcnt lgkmcnt(0)
	v_mul_f32_e32 v49, v44, v48
	v_mul_f32_e32 v48, v50, v48
	v_fma_f32 v49, v50, v47, -v49
	v_fmac_f32_e32 v48, v44, v47
	buffer_store_dword v49, off, s[0:3], 0 offset:32
	buffer_store_dword v48, off, s[0:3], 0 offset:36
.LBB20_31:
	s_or_b32 exec_lo, exec_lo, s4
	s_waitcnt_vscnt null, 0x0
	s_barrier
	buffer_gl0_inv
	s_clause 0x1
	buffer_load_dword v47, off, s[0:3], 0 offset:40
	buffer_load_dword v48, off, s[0:3], 0 offset:44
	s_mov_b32 s4, exec_lo
	s_waitcnt vmcnt(0)
	ds_write_b64 v46, v[47:48]
	s_waitcnt lgkmcnt(0)
	s_barrier
	buffer_gl0_inv
	v_cmpx_gt_u32_e32 5, v0
	s_cbranch_execz .LBB20_35
; %bb.32:
	v_add_nc_u32_e32 v47, -1, v0
	v_add_nc_u32_e32 v48, 0xb0, v45
	v_mov_b32_e32 v49, v45
	v_mov_b32_e32 v44, 0
	;; [unrolled: 1-line block ×3, first 2 shown]
	s_mov_b32 s5, 0
	.p2align	6
.LBB20_33:                              ; =>This Inner Loop Header: Depth=1
	s_clause 0x1
	buffer_load_dword v53, v49, s[0:3], 0 offen offset:4
	buffer_load_dword v54, v49, s[0:3], 0 offen
	ds_read_b64 v[51:52], v48
	v_add_nc_u32_e32 v47, 1, v47
	v_add_nc_u32_e32 v48, 8, v48
	;; [unrolled: 1-line block ×3, first 2 shown]
	v_cmp_lt_u32_e32 vcc_lo, 3, v47
	s_or_b32 s5, vcc_lo, s5
	s_waitcnt vmcnt(1) lgkmcnt(0)
	v_mul_f32_e32 v55, v52, v53
	v_mul_f32_e32 v53, v51, v53
	s_waitcnt vmcnt(0)
	v_fma_f32 v51, v51, v54, -v55
	v_fmac_f32_e32 v53, v52, v54
	v_add_f32_e32 v50, v50, v51
	v_add_f32_e32 v44, v44, v53
	s_andn2_b32 exec_lo, exec_lo, s5
	s_cbranch_execnz .LBB20_33
; %bb.34:
	s_or_b32 exec_lo, exec_lo, s5
	v_mov_b32_e32 v47, 0
	ds_read_b64 v[47:48], v47 offset:40
	s_waitcnt lgkmcnt(0)
	v_mul_f32_e32 v49, v44, v48
	v_mul_f32_e32 v48, v50, v48
	v_fma_f32 v49, v50, v47, -v49
	v_fmac_f32_e32 v48, v44, v47
	buffer_store_dword v49, off, s[0:3], 0 offset:40
	buffer_store_dword v48, off, s[0:3], 0 offset:44
.LBB20_35:
	s_or_b32 exec_lo, exec_lo, s4
	s_waitcnt_vscnt null, 0x0
	s_barrier
	buffer_gl0_inv
	s_clause 0x1
	buffer_load_dword v47, off, s[0:3], 0 offset:48
	buffer_load_dword v48, off, s[0:3], 0 offset:52
	s_mov_b32 s4, exec_lo
	s_waitcnt vmcnt(0)
	ds_write_b64 v46, v[47:48]
	s_waitcnt lgkmcnt(0)
	s_barrier
	buffer_gl0_inv
	v_cmpx_gt_u32_e32 6, v0
	s_cbranch_execz .LBB20_39
; %bb.36:
	v_add_nc_u32_e32 v47, -1, v0
	v_add_nc_u32_e32 v48, 0xb0, v45
	v_mov_b32_e32 v49, v45
	v_mov_b32_e32 v44, 0
	;; [unrolled: 1-line block ×3, first 2 shown]
	s_mov_b32 s5, 0
	.p2align	6
.LBB20_37:                              ; =>This Inner Loop Header: Depth=1
	s_clause 0x1
	buffer_load_dword v53, v49, s[0:3], 0 offen offset:4
	buffer_load_dword v54, v49, s[0:3], 0 offen
	ds_read_b64 v[51:52], v48
	v_add_nc_u32_e32 v47, 1, v47
	v_add_nc_u32_e32 v48, 8, v48
	;; [unrolled: 1-line block ×3, first 2 shown]
	v_cmp_lt_u32_e32 vcc_lo, 4, v47
	s_or_b32 s5, vcc_lo, s5
	s_waitcnt vmcnt(1) lgkmcnt(0)
	v_mul_f32_e32 v55, v52, v53
	v_mul_f32_e32 v53, v51, v53
	s_waitcnt vmcnt(0)
	v_fma_f32 v51, v51, v54, -v55
	v_fmac_f32_e32 v53, v52, v54
	v_add_f32_e32 v50, v50, v51
	v_add_f32_e32 v44, v44, v53
	s_andn2_b32 exec_lo, exec_lo, s5
	s_cbranch_execnz .LBB20_37
; %bb.38:
	s_or_b32 exec_lo, exec_lo, s5
	v_mov_b32_e32 v47, 0
	ds_read_b64 v[47:48], v47 offset:48
	s_waitcnt lgkmcnt(0)
	v_mul_f32_e32 v49, v44, v48
	v_mul_f32_e32 v48, v50, v48
	v_fma_f32 v49, v50, v47, -v49
	v_fmac_f32_e32 v48, v44, v47
	buffer_store_dword v49, off, s[0:3], 0 offset:48
	buffer_store_dword v48, off, s[0:3], 0 offset:52
.LBB20_39:
	s_or_b32 exec_lo, exec_lo, s4
	s_waitcnt_vscnt null, 0x0
	s_barrier
	buffer_gl0_inv
	s_clause 0x1
	buffer_load_dword v47, off, s[0:3], 0 offset:56
	buffer_load_dword v48, off, s[0:3], 0 offset:60
	s_mov_b32 s4, exec_lo
	s_waitcnt vmcnt(0)
	ds_write_b64 v46, v[47:48]
	s_waitcnt lgkmcnt(0)
	s_barrier
	buffer_gl0_inv
	v_cmpx_gt_u32_e32 7, v0
	s_cbranch_execz .LBB20_43
; %bb.40:
	v_add_nc_u32_e32 v47, -1, v0
	v_add_nc_u32_e32 v48, 0xb0, v45
	v_mov_b32_e32 v49, v45
	v_mov_b32_e32 v44, 0
	v_mov_b32_e32 v50, 0
	s_mov_b32 s5, 0
	.p2align	6
.LBB20_41:                              ; =>This Inner Loop Header: Depth=1
	s_clause 0x1
	buffer_load_dword v53, v49, s[0:3], 0 offen offset:4
	buffer_load_dword v54, v49, s[0:3], 0 offen
	ds_read_b64 v[51:52], v48
	v_add_nc_u32_e32 v47, 1, v47
	v_add_nc_u32_e32 v48, 8, v48
	;; [unrolled: 1-line block ×3, first 2 shown]
	v_cmp_lt_u32_e32 vcc_lo, 5, v47
	s_or_b32 s5, vcc_lo, s5
	s_waitcnt vmcnt(1) lgkmcnt(0)
	v_mul_f32_e32 v55, v52, v53
	v_mul_f32_e32 v53, v51, v53
	s_waitcnt vmcnt(0)
	v_fma_f32 v51, v51, v54, -v55
	v_fmac_f32_e32 v53, v52, v54
	v_add_f32_e32 v50, v50, v51
	v_add_f32_e32 v44, v44, v53
	s_andn2_b32 exec_lo, exec_lo, s5
	s_cbranch_execnz .LBB20_41
; %bb.42:
	s_or_b32 exec_lo, exec_lo, s5
	v_mov_b32_e32 v47, 0
	ds_read_b64 v[47:48], v47 offset:56
	s_waitcnt lgkmcnt(0)
	v_mul_f32_e32 v49, v44, v48
	v_mul_f32_e32 v48, v50, v48
	v_fma_f32 v49, v50, v47, -v49
	v_fmac_f32_e32 v48, v44, v47
	buffer_store_dword v49, off, s[0:3], 0 offset:56
	buffer_store_dword v48, off, s[0:3], 0 offset:60
.LBB20_43:
	s_or_b32 exec_lo, exec_lo, s4
	s_waitcnt_vscnt null, 0x0
	s_barrier
	buffer_gl0_inv
	s_clause 0x1
	buffer_load_dword v47, off, s[0:3], 0 offset:64
	buffer_load_dword v48, off, s[0:3], 0 offset:68
	s_mov_b32 s4, exec_lo
	s_waitcnt vmcnt(0)
	ds_write_b64 v46, v[47:48]
	s_waitcnt lgkmcnt(0)
	s_barrier
	buffer_gl0_inv
	v_cmpx_gt_u32_e32 8, v0
	s_cbranch_execz .LBB20_47
; %bb.44:
	v_add_nc_u32_e32 v47, -1, v0
	v_add_nc_u32_e32 v48, 0xb0, v45
	v_mov_b32_e32 v49, v45
	v_mov_b32_e32 v44, 0
	;; [unrolled: 1-line block ×3, first 2 shown]
	s_mov_b32 s5, 0
	.p2align	6
.LBB20_45:                              ; =>This Inner Loop Header: Depth=1
	s_clause 0x1
	buffer_load_dword v53, v49, s[0:3], 0 offen offset:4
	buffer_load_dword v54, v49, s[0:3], 0 offen
	ds_read_b64 v[51:52], v48
	v_add_nc_u32_e32 v47, 1, v47
	v_add_nc_u32_e32 v48, 8, v48
	;; [unrolled: 1-line block ×3, first 2 shown]
	v_cmp_lt_u32_e32 vcc_lo, 6, v47
	s_or_b32 s5, vcc_lo, s5
	s_waitcnt vmcnt(1) lgkmcnt(0)
	v_mul_f32_e32 v55, v52, v53
	v_mul_f32_e32 v53, v51, v53
	s_waitcnt vmcnt(0)
	v_fma_f32 v51, v51, v54, -v55
	v_fmac_f32_e32 v53, v52, v54
	v_add_f32_e32 v50, v50, v51
	v_add_f32_e32 v44, v44, v53
	s_andn2_b32 exec_lo, exec_lo, s5
	s_cbranch_execnz .LBB20_45
; %bb.46:
	s_or_b32 exec_lo, exec_lo, s5
	v_mov_b32_e32 v47, 0
	ds_read_b64 v[47:48], v47 offset:64
	s_waitcnt lgkmcnt(0)
	v_mul_f32_e32 v49, v44, v48
	v_mul_f32_e32 v48, v50, v48
	v_fma_f32 v49, v50, v47, -v49
	v_fmac_f32_e32 v48, v44, v47
	buffer_store_dword v49, off, s[0:3], 0 offset:64
	buffer_store_dword v48, off, s[0:3], 0 offset:68
.LBB20_47:
	s_or_b32 exec_lo, exec_lo, s4
	s_waitcnt_vscnt null, 0x0
	s_barrier
	buffer_gl0_inv
	s_clause 0x1
	buffer_load_dword v47, off, s[0:3], 0 offset:72
	buffer_load_dword v48, off, s[0:3], 0 offset:76
	s_mov_b32 s4, exec_lo
	s_waitcnt vmcnt(0)
	ds_write_b64 v46, v[47:48]
	s_waitcnt lgkmcnt(0)
	s_barrier
	buffer_gl0_inv
	v_cmpx_gt_u32_e32 9, v0
	s_cbranch_execz .LBB20_51
; %bb.48:
	v_add_nc_u32_e32 v47, -1, v0
	v_add_nc_u32_e32 v48, 0xb0, v45
	v_mov_b32_e32 v49, v45
	v_mov_b32_e32 v44, 0
	;; [unrolled: 1-line block ×3, first 2 shown]
	s_mov_b32 s5, 0
	.p2align	6
.LBB20_49:                              ; =>This Inner Loop Header: Depth=1
	s_clause 0x1
	buffer_load_dword v53, v49, s[0:3], 0 offen offset:4
	buffer_load_dword v54, v49, s[0:3], 0 offen
	ds_read_b64 v[51:52], v48
	v_add_nc_u32_e32 v47, 1, v47
	v_add_nc_u32_e32 v48, 8, v48
	v_add_nc_u32_e32 v49, 8, v49
	v_cmp_lt_u32_e32 vcc_lo, 7, v47
	s_or_b32 s5, vcc_lo, s5
	s_waitcnt vmcnt(1) lgkmcnt(0)
	v_mul_f32_e32 v55, v52, v53
	v_mul_f32_e32 v53, v51, v53
	s_waitcnt vmcnt(0)
	v_fma_f32 v51, v51, v54, -v55
	v_fmac_f32_e32 v53, v52, v54
	v_add_f32_e32 v50, v50, v51
	v_add_f32_e32 v44, v44, v53
	s_andn2_b32 exec_lo, exec_lo, s5
	s_cbranch_execnz .LBB20_49
; %bb.50:
	s_or_b32 exec_lo, exec_lo, s5
	v_mov_b32_e32 v47, 0
	ds_read_b64 v[47:48], v47 offset:72
	s_waitcnt lgkmcnt(0)
	v_mul_f32_e32 v49, v44, v48
	v_mul_f32_e32 v48, v50, v48
	v_fma_f32 v49, v50, v47, -v49
	v_fmac_f32_e32 v48, v44, v47
	buffer_store_dword v49, off, s[0:3], 0 offset:72
	buffer_store_dword v48, off, s[0:3], 0 offset:76
.LBB20_51:
	s_or_b32 exec_lo, exec_lo, s4
	s_waitcnt_vscnt null, 0x0
	s_barrier
	buffer_gl0_inv
	s_clause 0x1
	buffer_load_dword v47, off, s[0:3], 0 offset:80
	buffer_load_dword v48, off, s[0:3], 0 offset:84
	s_mov_b32 s4, exec_lo
	s_waitcnt vmcnt(0)
	ds_write_b64 v46, v[47:48]
	s_waitcnt lgkmcnt(0)
	s_barrier
	buffer_gl0_inv
	v_cmpx_gt_u32_e32 10, v0
	s_cbranch_execz .LBB20_55
; %bb.52:
	v_add_nc_u32_e32 v47, -1, v0
	v_add_nc_u32_e32 v48, 0xb0, v45
	v_mov_b32_e32 v49, v45
	v_mov_b32_e32 v44, 0
	;; [unrolled: 1-line block ×3, first 2 shown]
	s_mov_b32 s5, 0
	.p2align	6
.LBB20_53:                              ; =>This Inner Loop Header: Depth=1
	s_clause 0x1
	buffer_load_dword v53, v49, s[0:3], 0 offen offset:4
	buffer_load_dword v54, v49, s[0:3], 0 offen
	ds_read_b64 v[51:52], v48
	v_add_nc_u32_e32 v47, 1, v47
	v_add_nc_u32_e32 v48, 8, v48
	v_add_nc_u32_e32 v49, 8, v49
	v_cmp_lt_u32_e32 vcc_lo, 8, v47
	s_or_b32 s5, vcc_lo, s5
	s_waitcnt vmcnt(1) lgkmcnt(0)
	v_mul_f32_e32 v55, v52, v53
	v_mul_f32_e32 v53, v51, v53
	s_waitcnt vmcnt(0)
	v_fma_f32 v51, v51, v54, -v55
	v_fmac_f32_e32 v53, v52, v54
	v_add_f32_e32 v50, v50, v51
	v_add_f32_e32 v44, v44, v53
	s_andn2_b32 exec_lo, exec_lo, s5
	s_cbranch_execnz .LBB20_53
; %bb.54:
	s_or_b32 exec_lo, exec_lo, s5
	v_mov_b32_e32 v47, 0
	ds_read_b64 v[47:48], v47 offset:80
	s_waitcnt lgkmcnt(0)
	v_mul_f32_e32 v49, v44, v48
	v_mul_f32_e32 v48, v50, v48
	v_fma_f32 v49, v50, v47, -v49
	v_fmac_f32_e32 v48, v44, v47
	buffer_store_dword v49, off, s[0:3], 0 offset:80
	buffer_store_dword v48, off, s[0:3], 0 offset:84
.LBB20_55:
	s_or_b32 exec_lo, exec_lo, s4
	s_waitcnt_vscnt null, 0x0
	s_barrier
	buffer_gl0_inv
	s_clause 0x1
	buffer_load_dword v47, off, s[0:3], 0 offset:88
	buffer_load_dword v48, off, s[0:3], 0 offset:92
	s_mov_b32 s4, exec_lo
	s_waitcnt vmcnt(0)
	ds_write_b64 v46, v[47:48]
	s_waitcnt lgkmcnt(0)
	s_barrier
	buffer_gl0_inv
	v_cmpx_gt_u32_e32 11, v0
	s_cbranch_execz .LBB20_59
; %bb.56:
	v_add_nc_u32_e32 v47, -1, v0
	v_add_nc_u32_e32 v48, 0xb0, v45
	v_mov_b32_e32 v49, v45
	v_mov_b32_e32 v44, 0
	;; [unrolled: 1-line block ×3, first 2 shown]
	s_mov_b32 s5, 0
	.p2align	6
.LBB20_57:                              ; =>This Inner Loop Header: Depth=1
	s_clause 0x1
	buffer_load_dword v53, v49, s[0:3], 0 offen offset:4
	buffer_load_dword v54, v49, s[0:3], 0 offen
	ds_read_b64 v[51:52], v48
	v_add_nc_u32_e32 v47, 1, v47
	v_add_nc_u32_e32 v48, 8, v48
	;; [unrolled: 1-line block ×3, first 2 shown]
	v_cmp_lt_u32_e32 vcc_lo, 9, v47
	s_or_b32 s5, vcc_lo, s5
	s_waitcnt vmcnt(1) lgkmcnt(0)
	v_mul_f32_e32 v55, v52, v53
	v_mul_f32_e32 v53, v51, v53
	s_waitcnt vmcnt(0)
	v_fma_f32 v51, v51, v54, -v55
	v_fmac_f32_e32 v53, v52, v54
	v_add_f32_e32 v50, v50, v51
	v_add_f32_e32 v44, v44, v53
	s_andn2_b32 exec_lo, exec_lo, s5
	s_cbranch_execnz .LBB20_57
; %bb.58:
	s_or_b32 exec_lo, exec_lo, s5
	v_mov_b32_e32 v47, 0
	ds_read_b64 v[47:48], v47 offset:88
	s_waitcnt lgkmcnt(0)
	v_mul_f32_e32 v49, v44, v48
	v_mul_f32_e32 v48, v50, v48
	v_fma_f32 v49, v50, v47, -v49
	v_fmac_f32_e32 v48, v44, v47
	buffer_store_dword v49, off, s[0:3], 0 offset:88
	buffer_store_dword v48, off, s[0:3], 0 offset:92
.LBB20_59:
	s_or_b32 exec_lo, exec_lo, s4
	s_waitcnt_vscnt null, 0x0
	s_barrier
	buffer_gl0_inv
	s_clause 0x1
	buffer_load_dword v47, off, s[0:3], 0 offset:96
	buffer_load_dword v48, off, s[0:3], 0 offset:100
	s_mov_b32 s4, exec_lo
	s_waitcnt vmcnt(0)
	ds_write_b64 v46, v[47:48]
	s_waitcnt lgkmcnt(0)
	s_barrier
	buffer_gl0_inv
	v_cmpx_gt_u32_e32 12, v0
	s_cbranch_execz .LBB20_63
; %bb.60:
	v_add_nc_u32_e32 v47, -1, v0
	v_add_nc_u32_e32 v48, 0xb0, v45
	v_mov_b32_e32 v49, v45
	v_mov_b32_e32 v44, 0
	;; [unrolled: 1-line block ×3, first 2 shown]
	s_mov_b32 s5, 0
	.p2align	6
.LBB20_61:                              ; =>This Inner Loop Header: Depth=1
	s_clause 0x1
	buffer_load_dword v53, v49, s[0:3], 0 offen offset:4
	buffer_load_dword v54, v49, s[0:3], 0 offen
	ds_read_b64 v[51:52], v48
	v_add_nc_u32_e32 v47, 1, v47
	v_add_nc_u32_e32 v48, 8, v48
	v_add_nc_u32_e32 v49, 8, v49
	v_cmp_lt_u32_e32 vcc_lo, 10, v47
	s_or_b32 s5, vcc_lo, s5
	s_waitcnt vmcnt(1) lgkmcnt(0)
	v_mul_f32_e32 v55, v52, v53
	v_mul_f32_e32 v53, v51, v53
	s_waitcnt vmcnt(0)
	v_fma_f32 v51, v51, v54, -v55
	v_fmac_f32_e32 v53, v52, v54
	v_add_f32_e32 v50, v50, v51
	v_add_f32_e32 v44, v44, v53
	s_andn2_b32 exec_lo, exec_lo, s5
	s_cbranch_execnz .LBB20_61
; %bb.62:
	s_or_b32 exec_lo, exec_lo, s5
	v_mov_b32_e32 v47, 0
	ds_read_b64 v[47:48], v47 offset:96
	s_waitcnt lgkmcnt(0)
	v_mul_f32_e32 v49, v44, v48
	v_mul_f32_e32 v48, v50, v48
	v_fma_f32 v49, v50, v47, -v49
	v_fmac_f32_e32 v48, v44, v47
	buffer_store_dword v49, off, s[0:3], 0 offset:96
	buffer_store_dword v48, off, s[0:3], 0 offset:100
.LBB20_63:
	s_or_b32 exec_lo, exec_lo, s4
	s_waitcnt_vscnt null, 0x0
	s_barrier
	buffer_gl0_inv
	s_clause 0x1
	buffer_load_dword v47, off, s[0:3], 0 offset:104
	buffer_load_dword v48, off, s[0:3], 0 offset:108
	s_mov_b32 s4, exec_lo
	s_waitcnt vmcnt(0)
	ds_write_b64 v46, v[47:48]
	s_waitcnt lgkmcnt(0)
	s_barrier
	buffer_gl0_inv
	v_cmpx_gt_u32_e32 13, v0
	s_cbranch_execz .LBB20_67
; %bb.64:
	v_add_nc_u32_e32 v47, -1, v0
	v_add_nc_u32_e32 v48, 0xb0, v45
	v_mov_b32_e32 v49, v45
	v_mov_b32_e32 v44, 0
	;; [unrolled: 1-line block ×3, first 2 shown]
	s_mov_b32 s5, 0
	.p2align	6
.LBB20_65:                              ; =>This Inner Loop Header: Depth=1
	s_clause 0x1
	buffer_load_dword v53, v49, s[0:3], 0 offen offset:4
	buffer_load_dword v54, v49, s[0:3], 0 offen
	ds_read_b64 v[51:52], v48
	v_add_nc_u32_e32 v47, 1, v47
	v_add_nc_u32_e32 v48, 8, v48
	;; [unrolled: 1-line block ×3, first 2 shown]
	v_cmp_lt_u32_e32 vcc_lo, 11, v47
	s_or_b32 s5, vcc_lo, s5
	s_waitcnt vmcnt(1) lgkmcnt(0)
	v_mul_f32_e32 v55, v52, v53
	v_mul_f32_e32 v53, v51, v53
	s_waitcnt vmcnt(0)
	v_fma_f32 v51, v51, v54, -v55
	v_fmac_f32_e32 v53, v52, v54
	v_add_f32_e32 v50, v50, v51
	v_add_f32_e32 v44, v44, v53
	s_andn2_b32 exec_lo, exec_lo, s5
	s_cbranch_execnz .LBB20_65
; %bb.66:
	s_or_b32 exec_lo, exec_lo, s5
	v_mov_b32_e32 v47, 0
	ds_read_b64 v[47:48], v47 offset:104
	s_waitcnt lgkmcnt(0)
	v_mul_f32_e32 v49, v44, v48
	v_mul_f32_e32 v48, v50, v48
	v_fma_f32 v49, v50, v47, -v49
	v_fmac_f32_e32 v48, v44, v47
	buffer_store_dword v49, off, s[0:3], 0 offset:104
	buffer_store_dword v48, off, s[0:3], 0 offset:108
.LBB20_67:
	s_or_b32 exec_lo, exec_lo, s4
	s_waitcnt_vscnt null, 0x0
	s_barrier
	buffer_gl0_inv
	s_clause 0x1
	buffer_load_dword v47, off, s[0:3], 0 offset:112
	buffer_load_dword v48, off, s[0:3], 0 offset:116
	s_mov_b32 s4, exec_lo
	s_waitcnt vmcnt(0)
	ds_write_b64 v46, v[47:48]
	s_waitcnt lgkmcnt(0)
	s_barrier
	buffer_gl0_inv
	v_cmpx_gt_u32_e32 14, v0
	s_cbranch_execz .LBB20_71
; %bb.68:
	v_add_nc_u32_e32 v47, -1, v0
	v_add_nc_u32_e32 v48, 0xb0, v45
	v_mov_b32_e32 v49, v45
	v_mov_b32_e32 v44, 0
	;; [unrolled: 1-line block ×3, first 2 shown]
	s_mov_b32 s5, 0
	.p2align	6
.LBB20_69:                              ; =>This Inner Loop Header: Depth=1
	s_clause 0x1
	buffer_load_dword v53, v49, s[0:3], 0 offen offset:4
	buffer_load_dword v54, v49, s[0:3], 0 offen
	ds_read_b64 v[51:52], v48
	v_add_nc_u32_e32 v47, 1, v47
	v_add_nc_u32_e32 v48, 8, v48
	;; [unrolled: 1-line block ×3, first 2 shown]
	v_cmp_lt_u32_e32 vcc_lo, 12, v47
	s_or_b32 s5, vcc_lo, s5
	s_waitcnt vmcnt(1) lgkmcnt(0)
	v_mul_f32_e32 v55, v52, v53
	v_mul_f32_e32 v53, v51, v53
	s_waitcnt vmcnt(0)
	v_fma_f32 v51, v51, v54, -v55
	v_fmac_f32_e32 v53, v52, v54
	v_add_f32_e32 v50, v50, v51
	v_add_f32_e32 v44, v44, v53
	s_andn2_b32 exec_lo, exec_lo, s5
	s_cbranch_execnz .LBB20_69
; %bb.70:
	s_or_b32 exec_lo, exec_lo, s5
	v_mov_b32_e32 v47, 0
	ds_read_b64 v[47:48], v47 offset:112
	s_waitcnt lgkmcnt(0)
	v_mul_f32_e32 v49, v44, v48
	v_mul_f32_e32 v48, v50, v48
	v_fma_f32 v49, v50, v47, -v49
	v_fmac_f32_e32 v48, v44, v47
	buffer_store_dword v49, off, s[0:3], 0 offset:112
	buffer_store_dword v48, off, s[0:3], 0 offset:116
.LBB20_71:
	s_or_b32 exec_lo, exec_lo, s4
	s_waitcnt_vscnt null, 0x0
	s_barrier
	buffer_gl0_inv
	s_clause 0x1
	buffer_load_dword v47, off, s[0:3], 0 offset:120
	buffer_load_dword v48, off, s[0:3], 0 offset:124
	s_mov_b32 s4, exec_lo
	s_waitcnt vmcnt(0)
	ds_write_b64 v46, v[47:48]
	s_waitcnt lgkmcnt(0)
	s_barrier
	buffer_gl0_inv
	v_cmpx_gt_u32_e32 15, v0
	s_cbranch_execz .LBB20_75
; %bb.72:
	v_add_nc_u32_e32 v47, -1, v0
	v_add_nc_u32_e32 v48, 0xb0, v45
	v_mov_b32_e32 v49, v45
	v_mov_b32_e32 v44, 0
	;; [unrolled: 1-line block ×3, first 2 shown]
	s_mov_b32 s5, 0
	.p2align	6
.LBB20_73:                              ; =>This Inner Loop Header: Depth=1
	s_clause 0x1
	buffer_load_dword v53, v49, s[0:3], 0 offen offset:4
	buffer_load_dword v54, v49, s[0:3], 0 offen
	ds_read_b64 v[51:52], v48
	v_add_nc_u32_e32 v47, 1, v47
	v_add_nc_u32_e32 v48, 8, v48
	;; [unrolled: 1-line block ×3, first 2 shown]
	v_cmp_lt_u32_e32 vcc_lo, 13, v47
	s_or_b32 s5, vcc_lo, s5
	s_waitcnt vmcnt(1) lgkmcnt(0)
	v_mul_f32_e32 v55, v52, v53
	v_mul_f32_e32 v53, v51, v53
	s_waitcnt vmcnt(0)
	v_fma_f32 v51, v51, v54, -v55
	v_fmac_f32_e32 v53, v52, v54
	v_add_f32_e32 v50, v50, v51
	v_add_f32_e32 v44, v44, v53
	s_andn2_b32 exec_lo, exec_lo, s5
	s_cbranch_execnz .LBB20_73
; %bb.74:
	s_or_b32 exec_lo, exec_lo, s5
	v_mov_b32_e32 v47, 0
	ds_read_b64 v[47:48], v47 offset:120
	s_waitcnt lgkmcnt(0)
	v_mul_f32_e32 v49, v44, v48
	v_mul_f32_e32 v48, v50, v48
	v_fma_f32 v49, v50, v47, -v49
	v_fmac_f32_e32 v48, v44, v47
	buffer_store_dword v49, off, s[0:3], 0 offset:120
	buffer_store_dword v48, off, s[0:3], 0 offset:124
.LBB20_75:
	s_or_b32 exec_lo, exec_lo, s4
	s_waitcnt_vscnt null, 0x0
	s_barrier
	buffer_gl0_inv
	s_clause 0x1
	buffer_load_dword v47, off, s[0:3], 0 offset:128
	buffer_load_dword v48, off, s[0:3], 0 offset:132
	s_mov_b32 s4, exec_lo
	s_waitcnt vmcnt(0)
	ds_write_b64 v46, v[47:48]
	s_waitcnt lgkmcnt(0)
	s_barrier
	buffer_gl0_inv
	v_cmpx_gt_u32_e32 16, v0
	s_cbranch_execz .LBB20_79
; %bb.76:
	v_add_nc_u32_e32 v47, -1, v0
	v_add_nc_u32_e32 v48, 0xb0, v45
	v_mov_b32_e32 v49, v45
	v_mov_b32_e32 v44, 0
	;; [unrolled: 1-line block ×3, first 2 shown]
	s_mov_b32 s5, 0
	.p2align	6
.LBB20_77:                              ; =>This Inner Loop Header: Depth=1
	s_clause 0x1
	buffer_load_dword v53, v49, s[0:3], 0 offen offset:4
	buffer_load_dword v54, v49, s[0:3], 0 offen
	ds_read_b64 v[51:52], v48
	v_add_nc_u32_e32 v47, 1, v47
	v_add_nc_u32_e32 v48, 8, v48
	;; [unrolled: 1-line block ×3, first 2 shown]
	v_cmp_lt_u32_e32 vcc_lo, 14, v47
	s_or_b32 s5, vcc_lo, s5
	s_waitcnt vmcnt(1) lgkmcnt(0)
	v_mul_f32_e32 v55, v52, v53
	v_mul_f32_e32 v53, v51, v53
	s_waitcnt vmcnt(0)
	v_fma_f32 v51, v51, v54, -v55
	v_fmac_f32_e32 v53, v52, v54
	v_add_f32_e32 v50, v50, v51
	v_add_f32_e32 v44, v44, v53
	s_andn2_b32 exec_lo, exec_lo, s5
	s_cbranch_execnz .LBB20_77
; %bb.78:
	s_or_b32 exec_lo, exec_lo, s5
	v_mov_b32_e32 v47, 0
	ds_read_b64 v[47:48], v47 offset:128
	s_waitcnt lgkmcnt(0)
	v_mul_f32_e32 v49, v44, v48
	v_mul_f32_e32 v48, v50, v48
	v_fma_f32 v49, v50, v47, -v49
	v_fmac_f32_e32 v48, v44, v47
	buffer_store_dword v49, off, s[0:3], 0 offset:128
	buffer_store_dword v48, off, s[0:3], 0 offset:132
.LBB20_79:
	s_or_b32 exec_lo, exec_lo, s4
	s_waitcnt_vscnt null, 0x0
	s_barrier
	buffer_gl0_inv
	s_clause 0x1
	buffer_load_dword v47, off, s[0:3], 0 offset:136
	buffer_load_dword v48, off, s[0:3], 0 offset:140
	s_mov_b32 s4, exec_lo
	s_waitcnt vmcnt(0)
	ds_write_b64 v46, v[47:48]
	s_waitcnt lgkmcnt(0)
	s_barrier
	buffer_gl0_inv
	v_cmpx_gt_u32_e32 17, v0
	s_cbranch_execz .LBB20_83
; %bb.80:
	v_add_nc_u32_e32 v47, -1, v0
	v_add_nc_u32_e32 v48, 0xb0, v45
	v_mov_b32_e32 v49, v45
	v_mov_b32_e32 v44, 0
	v_mov_b32_e32 v50, 0
	s_mov_b32 s5, 0
	.p2align	6
.LBB20_81:                              ; =>This Inner Loop Header: Depth=1
	s_clause 0x1
	buffer_load_dword v53, v49, s[0:3], 0 offen offset:4
	buffer_load_dword v54, v49, s[0:3], 0 offen
	ds_read_b64 v[51:52], v48
	v_add_nc_u32_e32 v47, 1, v47
	v_add_nc_u32_e32 v48, 8, v48
	;; [unrolled: 1-line block ×3, first 2 shown]
	v_cmp_lt_u32_e32 vcc_lo, 15, v47
	s_or_b32 s5, vcc_lo, s5
	s_waitcnt vmcnt(1) lgkmcnt(0)
	v_mul_f32_e32 v55, v52, v53
	v_mul_f32_e32 v53, v51, v53
	s_waitcnt vmcnt(0)
	v_fma_f32 v51, v51, v54, -v55
	v_fmac_f32_e32 v53, v52, v54
	v_add_f32_e32 v50, v50, v51
	v_add_f32_e32 v44, v44, v53
	s_andn2_b32 exec_lo, exec_lo, s5
	s_cbranch_execnz .LBB20_81
; %bb.82:
	s_or_b32 exec_lo, exec_lo, s5
	v_mov_b32_e32 v47, 0
	ds_read_b64 v[47:48], v47 offset:136
	s_waitcnt lgkmcnt(0)
	v_mul_f32_e32 v49, v44, v48
	v_mul_f32_e32 v48, v50, v48
	v_fma_f32 v49, v50, v47, -v49
	v_fmac_f32_e32 v48, v44, v47
	buffer_store_dword v49, off, s[0:3], 0 offset:136
	buffer_store_dword v48, off, s[0:3], 0 offset:140
.LBB20_83:
	s_or_b32 exec_lo, exec_lo, s4
	s_waitcnt_vscnt null, 0x0
	s_barrier
	buffer_gl0_inv
	s_clause 0x1
	buffer_load_dword v47, off, s[0:3], 0 offset:144
	buffer_load_dword v48, off, s[0:3], 0 offset:148
	s_mov_b32 s4, exec_lo
	s_waitcnt vmcnt(0)
	ds_write_b64 v46, v[47:48]
	s_waitcnt lgkmcnt(0)
	s_barrier
	buffer_gl0_inv
	v_cmpx_gt_u32_e32 18, v0
	s_cbranch_execz .LBB20_87
; %bb.84:
	v_add_nc_u32_e32 v47, -1, v0
	v_add_nc_u32_e32 v48, 0xb0, v45
	v_mov_b32_e32 v49, v45
	v_mov_b32_e32 v44, 0
	;; [unrolled: 1-line block ×3, first 2 shown]
	s_mov_b32 s5, 0
	.p2align	6
.LBB20_85:                              ; =>This Inner Loop Header: Depth=1
	s_clause 0x1
	buffer_load_dword v53, v49, s[0:3], 0 offen offset:4
	buffer_load_dword v54, v49, s[0:3], 0 offen
	ds_read_b64 v[51:52], v48
	v_add_nc_u32_e32 v47, 1, v47
	v_add_nc_u32_e32 v48, 8, v48
	;; [unrolled: 1-line block ×3, first 2 shown]
	v_cmp_lt_u32_e32 vcc_lo, 16, v47
	s_or_b32 s5, vcc_lo, s5
	s_waitcnt vmcnt(1) lgkmcnt(0)
	v_mul_f32_e32 v55, v52, v53
	v_mul_f32_e32 v53, v51, v53
	s_waitcnt vmcnt(0)
	v_fma_f32 v51, v51, v54, -v55
	v_fmac_f32_e32 v53, v52, v54
	v_add_f32_e32 v50, v50, v51
	v_add_f32_e32 v44, v44, v53
	s_andn2_b32 exec_lo, exec_lo, s5
	s_cbranch_execnz .LBB20_85
; %bb.86:
	s_or_b32 exec_lo, exec_lo, s5
	v_mov_b32_e32 v47, 0
	ds_read_b64 v[47:48], v47 offset:144
	s_waitcnt lgkmcnt(0)
	v_mul_f32_e32 v49, v44, v48
	v_mul_f32_e32 v48, v50, v48
	v_fma_f32 v49, v50, v47, -v49
	v_fmac_f32_e32 v48, v44, v47
	buffer_store_dword v49, off, s[0:3], 0 offset:144
	buffer_store_dword v48, off, s[0:3], 0 offset:148
.LBB20_87:
	s_or_b32 exec_lo, exec_lo, s4
	s_waitcnt_vscnt null, 0x0
	s_barrier
	buffer_gl0_inv
	s_clause 0x1
	buffer_load_dword v47, off, s[0:3], 0 offset:152
	buffer_load_dword v48, off, s[0:3], 0 offset:156
	s_mov_b32 s4, exec_lo
	s_waitcnt vmcnt(0)
	ds_write_b64 v46, v[47:48]
	s_waitcnt lgkmcnt(0)
	s_barrier
	buffer_gl0_inv
	v_cmpx_gt_u32_e32 19, v0
	s_cbranch_execz .LBB20_91
; %bb.88:
	v_add_nc_u32_e32 v47, -1, v0
	v_add_nc_u32_e32 v48, 0xb0, v45
	v_mov_b32_e32 v49, v45
	v_mov_b32_e32 v44, 0
	;; [unrolled: 1-line block ×3, first 2 shown]
	s_mov_b32 s5, 0
	.p2align	6
.LBB20_89:                              ; =>This Inner Loop Header: Depth=1
	s_clause 0x1
	buffer_load_dword v53, v49, s[0:3], 0 offen offset:4
	buffer_load_dword v54, v49, s[0:3], 0 offen
	ds_read_b64 v[51:52], v48
	v_add_nc_u32_e32 v47, 1, v47
	v_add_nc_u32_e32 v48, 8, v48
	;; [unrolled: 1-line block ×3, first 2 shown]
	v_cmp_lt_u32_e32 vcc_lo, 17, v47
	s_or_b32 s5, vcc_lo, s5
	s_waitcnt vmcnt(1) lgkmcnt(0)
	v_mul_f32_e32 v55, v52, v53
	v_mul_f32_e32 v53, v51, v53
	s_waitcnt vmcnt(0)
	v_fma_f32 v51, v51, v54, -v55
	v_fmac_f32_e32 v53, v52, v54
	v_add_f32_e32 v50, v50, v51
	v_add_f32_e32 v44, v44, v53
	s_andn2_b32 exec_lo, exec_lo, s5
	s_cbranch_execnz .LBB20_89
; %bb.90:
	s_or_b32 exec_lo, exec_lo, s5
	v_mov_b32_e32 v47, 0
	ds_read_b64 v[47:48], v47 offset:152
	s_waitcnt lgkmcnt(0)
	v_mul_f32_e32 v49, v44, v48
	v_mul_f32_e32 v48, v50, v48
	v_fma_f32 v49, v50, v47, -v49
	v_fmac_f32_e32 v48, v44, v47
	buffer_store_dword v49, off, s[0:3], 0 offset:152
	buffer_store_dword v48, off, s[0:3], 0 offset:156
.LBB20_91:
	s_or_b32 exec_lo, exec_lo, s4
	s_waitcnt_vscnt null, 0x0
	s_barrier
	buffer_gl0_inv
	s_clause 0x1
	buffer_load_dword v47, off, s[0:3], 0 offset:160
	buffer_load_dword v48, off, s[0:3], 0 offset:164
	s_mov_b32 s4, exec_lo
	s_waitcnt vmcnt(0)
	ds_write_b64 v46, v[47:48]
	s_waitcnt lgkmcnt(0)
	s_barrier
	buffer_gl0_inv
	v_cmpx_ne_u32_e32 20, v0
	s_cbranch_execz .LBB20_95
; %bb.92:
	v_mov_b32_e32 v44, 0
	v_mov_b32_e32 v47, 0
	s_mov_b32 s5, 0
	.p2align	6
.LBB20_93:                              ; =>This Inner Loop Header: Depth=1
	s_clause 0x1
	buffer_load_dword v50, v45, s[0:3], 0 offen offset:4
	buffer_load_dword v51, v45, s[0:3], 0 offen
	ds_read_b64 v[48:49], v46
	v_add_nc_u32_e32 v43, 1, v43
	v_add_nc_u32_e32 v46, 8, v46
	v_add_nc_u32_e32 v45, 8, v45
	v_cmp_lt_u32_e32 vcc_lo, 18, v43
	s_or_b32 s5, vcc_lo, s5
	s_waitcnt vmcnt(1) lgkmcnt(0)
	v_mul_f32_e32 v52, v49, v50
	v_mul_f32_e32 v50, v48, v50
	s_waitcnt vmcnt(0)
	v_fma_f32 v48, v48, v51, -v52
	v_fmac_f32_e32 v50, v49, v51
	v_add_f32_e32 v47, v47, v48
	v_add_f32_e32 v44, v44, v50
	s_andn2_b32 exec_lo, exec_lo, s5
	s_cbranch_execnz .LBB20_93
; %bb.94:
	s_or_b32 exec_lo, exec_lo, s5
	v_mov_b32_e32 v43, 0
	ds_read_b64 v[45:46], v43 offset:160
	s_waitcnt lgkmcnt(0)
	v_mul_f32_e32 v43, v44, v46
	v_mul_f32_e32 v46, v47, v46
	v_fma_f32 v43, v47, v45, -v43
	v_fmac_f32_e32 v46, v44, v45
	buffer_store_dword v43, off, s[0:3], 0 offset:160
	buffer_store_dword v46, off, s[0:3], 0 offset:164
.LBB20_95:
	s_or_b32 exec_lo, exec_lo, s4
	s_mov_b32 s5, -1
	s_waitcnt_vscnt null, 0x0
	s_barrier
	buffer_gl0_inv
.LBB20_96:
	s_and_b32 vcc_lo, exec_lo, s5
	s_cbranch_vccz .LBB20_98
; %bb.97:
	s_lshl_b64 s[4:5], s[6:7], 2
	v_mov_b32_e32 v43, 0
	s_add_u32 s4, s10, s4
	s_addc_u32 s5, s11, s5
	global_load_dword v43, v43, s[4:5]
	s_waitcnt vmcnt(0)
	v_cmp_ne_u32_e32 vcc_lo, 0, v43
	s_cbranch_vccz .LBB20_99
.LBB20_98:
	s_endpgm
.LBB20_99:
	v_lshl_add_u32 v43, v0, 3, 0xb0
	s_mov_b32 s4, exec_lo
	v_cmpx_eq_u32_e32 20, v0
	s_cbranch_execz .LBB20_101
; %bb.100:
	s_clause 0x1
	buffer_load_dword v44, off, s[0:3], 0 offset:152
	buffer_load_dword v45, off, s[0:3], 0 offset:156
	v_mov_b32_e32 v46, 0
	buffer_store_dword v46, off, s[0:3], 0 offset:152
	buffer_store_dword v46, off, s[0:3], 0 offset:156
	s_waitcnt vmcnt(0)
	ds_write_b64 v43, v[44:45]
.LBB20_101:
	s_or_b32 exec_lo, exec_lo, s4
	s_waitcnt lgkmcnt(0)
	s_waitcnt_vscnt null, 0x0
	s_barrier
	buffer_gl0_inv
	s_clause 0x3
	buffer_load_dword v47, off, s[0:3], 0 offset:164
	buffer_load_dword v48, off, s[0:3], 0 offset:160
	;; [unrolled: 1-line block ×4, first 2 shown]
	v_mov_b32_e32 v44, 0
	s_mov_b32 s4, exec_lo
	ds_read_b64 v[45:46], v44 offset:336
	s_waitcnt vmcnt(3) lgkmcnt(0)
	v_mul_f32_e32 v51, v46, v47
	v_mul_f32_e32 v47, v45, v47
	s_waitcnt vmcnt(2)
	v_fma_f32 v45, v45, v48, -v51
	v_fmac_f32_e32 v47, v46, v48
	v_add_f32_e32 v45, 0, v45
	v_add_f32_e32 v46, 0, v47
	s_waitcnt vmcnt(1)
	v_sub_f32_e32 v45, v49, v45
	s_waitcnt vmcnt(0)
	v_sub_f32_e32 v46, v50, v46
	buffer_store_dword v45, off, s[0:3], 0 offset:152
	buffer_store_dword v46, off, s[0:3], 0 offset:156
	v_cmpx_lt_u32_e32 18, v0
	s_cbranch_execz .LBB20_103
; %bb.102:
	s_clause 0x1
	buffer_load_dword v45, off, s[0:3], 0 offset:144
	buffer_load_dword v46, off, s[0:3], 0 offset:148
	buffer_store_dword v44, off, s[0:3], 0 offset:144
	buffer_store_dword v44, off, s[0:3], 0 offset:148
	s_waitcnt vmcnt(0)
	ds_write_b64 v43, v[45:46]
.LBB20_103:
	s_or_b32 exec_lo, exec_lo, s4
	s_waitcnt lgkmcnt(0)
	s_waitcnt_vscnt null, 0x0
	s_barrier
	buffer_gl0_inv
	s_clause 0x5
	buffer_load_dword v48, off, s[0:3], 0 offset:156
	buffer_load_dword v49, off, s[0:3], 0 offset:164
	buffer_load_dword v50, off, s[0:3], 0 offset:152
	buffer_load_dword v51, off, s[0:3], 0 offset:160
	buffer_load_dword v52, off, s[0:3], 0 offset:144
	buffer_load_dword v53, off, s[0:3], 0 offset:148
	ds_read2_b64 v[44:47], v44 offset0:41 offset1:42
	s_mov_b32 s4, exec_lo
	s_waitcnt vmcnt(5) lgkmcnt(0)
	v_mul_f32_e32 v54, v45, v48
	v_mul_f32_e32 v48, v44, v48
	s_waitcnt vmcnt(4)
	v_mul_f32_e32 v55, v46, v49
	v_mul_f32_e32 v49, v47, v49
	s_waitcnt vmcnt(3)
	v_fma_f32 v44, v44, v50, -v54
	v_fmac_f32_e32 v48, v45, v50
	s_waitcnt vmcnt(2)
	v_fmac_f32_e32 v55, v47, v51
	v_fma_f32 v45, v46, v51, -v49
	v_add_f32_e32 v44, 0, v44
	v_add_f32_e32 v46, 0, v48
	;; [unrolled: 1-line block ×4, first 2 shown]
	s_waitcnt vmcnt(1)
	v_sub_f32_e32 v44, v52, v44
	s_waitcnt vmcnt(0)
	v_sub_f32_e32 v45, v53, v45
	buffer_store_dword v44, off, s[0:3], 0 offset:144
	buffer_store_dword v45, off, s[0:3], 0 offset:148
	v_cmpx_lt_u32_e32 17, v0
	s_cbranch_execz .LBB20_105
; %bb.104:
	s_clause 0x1
	buffer_load_dword v44, off, s[0:3], 0 offset:136
	buffer_load_dword v45, off, s[0:3], 0 offset:140
	v_mov_b32_e32 v46, 0
	buffer_store_dword v46, off, s[0:3], 0 offset:136
	buffer_store_dword v46, off, s[0:3], 0 offset:140
	s_waitcnt vmcnt(0)
	ds_write_b64 v43, v[44:45]
.LBB20_105:
	s_or_b32 exec_lo, exec_lo, s4
	s_waitcnt lgkmcnt(0)
	s_waitcnt_vscnt null, 0x0
	s_barrier
	buffer_gl0_inv
	s_clause 0x7
	buffer_load_dword v51, off, s[0:3], 0 offset:148
	buffer_load_dword v52, off, s[0:3], 0 offset:156
	;; [unrolled: 1-line block ×8, first 2 shown]
	v_mov_b32_e32 v44, 0
	ds_read_b128 v[45:48], v44 offset:320
	ds_read_b64 v[49:50], v44 offset:336
	s_mov_b32 s4, exec_lo
	s_waitcnt vmcnt(7) lgkmcnt(1)
	v_mul_f32_e32 v59, v46, v51
	v_mul_f32_e32 v51, v45, v51
	s_waitcnt vmcnt(6)
	v_mul_f32_e32 v60, v47, v52
	v_mul_f32_e32 v52, v48, v52
	s_waitcnt vmcnt(5) lgkmcnt(0)
	v_mul_f32_e32 v61, v49, v53
	s_waitcnt vmcnt(4)
	v_fma_f32 v45, v45, v54, -v59
	v_fmac_f32_e32 v51, v46, v54
	v_mul_f32_e32 v46, v50, v53
	s_waitcnt vmcnt(3)
	v_fma_f32 v47, v47, v55, -v52
	v_fmac_f32_e32 v60, v48, v55
	v_add_f32_e32 v45, 0, v45
	v_add_f32_e32 v48, 0, v51
	s_waitcnt vmcnt(2)
	v_fma_f32 v46, v49, v56, -v46
	v_fmac_f32_e32 v61, v50, v56
	v_add_f32_e32 v45, v45, v47
	v_add_f32_e32 v47, v48, v60
	;; [unrolled: 1-line block ×4, first 2 shown]
	s_waitcnt vmcnt(1)
	v_sub_f32_e32 v45, v57, v45
	s_waitcnt vmcnt(0)
	v_sub_f32_e32 v46, v58, v46
	buffer_store_dword v45, off, s[0:3], 0 offset:136
	buffer_store_dword v46, off, s[0:3], 0 offset:140
	v_cmpx_lt_u32_e32 16, v0
	s_cbranch_execz .LBB20_107
; %bb.106:
	s_clause 0x1
	buffer_load_dword v45, off, s[0:3], 0 offset:128
	buffer_load_dword v46, off, s[0:3], 0 offset:132
	buffer_store_dword v44, off, s[0:3], 0 offset:128
	buffer_store_dword v44, off, s[0:3], 0 offset:132
	s_waitcnt vmcnt(0)
	ds_write_b64 v43, v[45:46]
.LBB20_107:
	s_or_b32 exec_lo, exec_lo, s4
	s_waitcnt lgkmcnt(0)
	s_waitcnt_vscnt null, 0x0
	s_barrier
	buffer_gl0_inv
	s_clause 0x9
	buffer_load_dword v53, off, s[0:3], 0 offset:140
	buffer_load_dword v54, off, s[0:3], 0 offset:148
	;; [unrolled: 1-line block ×10, first 2 shown]
	ds_read2_b64 v[45:48], v44 offset0:39 offset1:40
	ds_read2_b64 v[49:52], v44 offset0:41 offset1:42
	s_mov_b32 s4, exec_lo
	s_waitcnt vmcnt(9) lgkmcnt(1)
	v_mul_f32_e32 v44, v45, v53
	v_mul_f32_e32 v53, v46, v53
	s_waitcnt vmcnt(8)
	v_mul_f32_e32 v63, v47, v54
	v_mul_f32_e32 v54, v48, v54
	s_waitcnt vmcnt(7) lgkmcnt(0)
	v_mul_f32_e32 v64, v49, v55
	s_waitcnt vmcnt(5)
	v_fmac_f32_e32 v44, v46, v57
	v_fma_f32 v45, v45, v57, -v53
	v_mul_f32_e32 v46, v50, v55
	s_waitcnt vmcnt(4)
	v_fma_f32 v47, v47, v58, -v54
	v_fmac_f32_e32 v63, v48, v58
	v_add_f32_e32 v44, 0, v44
	v_add_f32_e32 v45, 0, v45
	v_mul_f32_e32 v48, v52, v56
	s_waitcnt vmcnt(3)
	v_fma_f32 v46, v49, v59, -v46
	v_mul_f32_e32 v65, v51, v56
	v_fmac_f32_e32 v64, v50, v59
	v_add_f32_e32 v45, v45, v47
	v_add_f32_e32 v44, v44, v63
	s_waitcnt vmcnt(2)
	v_fma_f32 v47, v51, v60, -v48
	v_fmac_f32_e32 v65, v52, v60
	v_add_f32_e32 v45, v45, v46
	v_add_f32_e32 v44, v44, v64
	;; [unrolled: 1-line block ×4, first 2 shown]
	s_waitcnt vmcnt(1)
	v_sub_f32_e32 v45, v61, v45
	s_waitcnt vmcnt(0)
	v_sub_f32_e32 v44, v62, v44
	buffer_store_dword v45, off, s[0:3], 0 offset:128
	buffer_store_dword v44, off, s[0:3], 0 offset:132
	v_cmpx_lt_u32_e32 15, v0
	s_cbranch_execz .LBB20_109
; %bb.108:
	s_clause 0x1
	buffer_load_dword v44, off, s[0:3], 0 offset:120
	buffer_load_dword v45, off, s[0:3], 0 offset:124
	v_mov_b32_e32 v46, 0
	buffer_store_dword v46, off, s[0:3], 0 offset:120
	buffer_store_dword v46, off, s[0:3], 0 offset:124
	s_waitcnt vmcnt(0)
	ds_write_b64 v43, v[44:45]
.LBB20_109:
	s_or_b32 exec_lo, exec_lo, s4
	s_waitcnt lgkmcnt(0)
	s_waitcnt_vscnt null, 0x0
	s_barrier
	buffer_gl0_inv
	s_clause 0xb
	buffer_load_dword v55, off, s[0:3], 0 offset:132
	buffer_load_dword v56, off, s[0:3], 0 offset:140
	;; [unrolled: 1-line block ×12, first 2 shown]
	v_mov_b32_e32 v44, 0
	ds_read_b128 v[45:48], v44 offset:304
	ds_read_b128 v[49:52], v44 offset:320
	ds_read_b64 v[53:54], v44 offset:336
	s_mov_b32 s4, exec_lo
	s_waitcnt vmcnt(11) lgkmcnt(2)
	v_mul_f32_e32 v67, v45, v55
	v_mul_f32_e32 v55, v46, v55
	s_waitcnt vmcnt(10)
	v_mul_f32_e32 v68, v47, v56
	v_mul_f32_e32 v56, v48, v56
	s_waitcnt vmcnt(9) lgkmcnt(1)
	v_mul_f32_e32 v69, v49, v57
	s_waitcnt vmcnt(6)
	v_fmac_f32_e32 v67, v46, v60
	v_fma_f32 v45, v45, v60, -v55
	v_mul_f32_e32 v46, v50, v57
	s_waitcnt vmcnt(5)
	v_fma_f32 v47, v47, v61, -v56
	v_fmac_f32_e32 v68, v48, v61
	v_add_f32_e32 v48, 0, v67
	v_add_f32_e32 v45, 0, v45
	v_mul_f32_e32 v55, v52, v58
	s_waitcnt vmcnt(4)
	v_fma_f32 v46, v49, v62, -v46
	v_mul_f32_e32 v70, v51, v58
	v_fmac_f32_e32 v69, v50, v62
	v_add_f32_e32 v45, v45, v47
	v_add_f32_e32 v47, v48, v68
	s_waitcnt lgkmcnt(0)
	v_mul_f32_e32 v48, v54, v59
	s_waitcnt vmcnt(3)
	v_fma_f32 v49, v51, v63, -v55
	v_mul_f32_e32 v71, v53, v59
	v_add_f32_e32 v45, v45, v46
	v_fmac_f32_e32 v70, v52, v63
	v_add_f32_e32 v46, v47, v69
	s_waitcnt vmcnt(2)
	v_fma_f32 v47, v53, v64, -v48
	v_fmac_f32_e32 v71, v54, v64
	v_add_f32_e32 v45, v45, v49
	v_add_f32_e32 v46, v46, v70
	;; [unrolled: 1-line block ×4, first 2 shown]
	s_waitcnt vmcnt(1)
	v_sub_f32_e32 v45, v65, v45
	s_waitcnt vmcnt(0)
	v_sub_f32_e32 v46, v66, v46
	buffer_store_dword v45, off, s[0:3], 0 offset:120
	buffer_store_dword v46, off, s[0:3], 0 offset:124
	v_cmpx_lt_u32_e32 14, v0
	s_cbranch_execz .LBB20_111
; %bb.110:
	s_clause 0x1
	buffer_load_dword v45, off, s[0:3], 0 offset:112
	buffer_load_dword v46, off, s[0:3], 0 offset:116
	buffer_store_dword v44, off, s[0:3], 0 offset:112
	buffer_store_dword v44, off, s[0:3], 0 offset:116
	s_waitcnt vmcnt(0)
	ds_write_b64 v43, v[45:46]
.LBB20_111:
	s_or_b32 exec_lo, exec_lo, s4
	s_waitcnt lgkmcnt(0)
	s_waitcnt_vscnt null, 0x0
	s_barrier
	buffer_gl0_inv
	s_clause 0xd
	buffer_load_dword v57, off, s[0:3], 0 offset:124
	buffer_load_dword v58, off, s[0:3], 0 offset:132
	;; [unrolled: 1-line block ×14, first 2 shown]
	ds_read2_b64 v[45:48], v44 offset0:37 offset1:38
	ds_read2_b64 v[49:52], v44 offset0:39 offset1:40
	;; [unrolled: 1-line block ×3, first 2 shown]
	s_mov_b32 s4, exec_lo
	s_waitcnt vmcnt(13) lgkmcnt(2)
	v_mul_f32_e32 v44, v45, v57
	v_mul_f32_e32 v57, v46, v57
	s_waitcnt vmcnt(12)
	v_mul_f32_e32 v71, v47, v58
	v_mul_f32_e32 v58, v48, v58
	s_waitcnt vmcnt(11) lgkmcnt(1)
	v_mul_f32_e32 v72, v49, v59
	s_waitcnt vmcnt(10)
	v_mul_f32_e32 v73, v51, v60
	s_waitcnt vmcnt(7)
	v_fma_f32 v45, v45, v63, -v57
	v_fmac_f32_e32 v44, v46, v63
	v_mul_f32_e32 v46, v50, v59
	s_waitcnt vmcnt(6)
	v_fma_f32 v47, v47, v64, -v58
	v_fmac_f32_e32 v71, v48, v64
	v_add_f32_e32 v45, 0, v45
	v_add_f32_e32 v44, 0, v44
	v_mul_f32_e32 v48, v52, v60
	s_waitcnt vmcnt(5)
	v_fma_f32 v46, v49, v65, -v46
	v_fmac_f32_e32 v72, v50, v65
	v_add_f32_e32 v45, v45, v47
	v_add_f32_e32 v44, v44, v71
	s_waitcnt lgkmcnt(0)
	v_mul_f32_e32 v47, v54, v61
	s_waitcnt vmcnt(4)
	v_fma_f32 v48, v51, v66, -v48
	v_mul_f32_e32 v74, v53, v61
	v_add_f32_e32 v45, v45, v46
	v_fmac_f32_e32 v73, v52, v66
	v_add_f32_e32 v44, v44, v72
	v_mul_f32_e32 v46, v56, v62
	s_waitcnt vmcnt(3)
	v_fma_f32 v47, v53, v67, -v47
	v_add_f32_e32 v45, v45, v48
	v_mul_f32_e32 v75, v55, v62
	v_fmac_f32_e32 v74, v54, v67
	v_add_f32_e32 v44, v44, v73
	s_waitcnt vmcnt(2)
	v_fma_f32 v46, v55, v68, -v46
	v_add_f32_e32 v45, v45, v47
	v_fmac_f32_e32 v75, v56, v68
	v_add_f32_e32 v44, v44, v74
	v_add_f32_e32 v45, v45, v46
	v_add_f32_e32 v44, v44, v75
	s_waitcnt vmcnt(1)
	v_sub_f32_e32 v45, v69, v45
	s_waitcnt vmcnt(0)
	v_sub_f32_e32 v44, v70, v44
	buffer_store_dword v45, off, s[0:3], 0 offset:112
	buffer_store_dword v44, off, s[0:3], 0 offset:116
	v_cmpx_lt_u32_e32 13, v0
	s_cbranch_execz .LBB20_113
; %bb.112:
	s_clause 0x1
	buffer_load_dword v44, off, s[0:3], 0 offset:104
	buffer_load_dword v45, off, s[0:3], 0 offset:108
	v_mov_b32_e32 v46, 0
	buffer_store_dword v46, off, s[0:3], 0 offset:104
	buffer_store_dword v46, off, s[0:3], 0 offset:108
	s_waitcnt vmcnt(0)
	ds_write_b64 v43, v[44:45]
.LBB20_113:
	s_or_b32 exec_lo, exec_lo, s4
	s_waitcnt lgkmcnt(0)
	s_waitcnt_vscnt null, 0x0
	s_barrier
	buffer_gl0_inv
	s_clause 0xf
	buffer_load_dword v59, off, s[0:3], 0 offset:116
	buffer_load_dword v60, off, s[0:3], 0 offset:124
	;; [unrolled: 1-line block ×16, first 2 shown]
	v_mov_b32_e32 v44, 0
	ds_read_b128 v[45:48], v44 offset:288
	ds_read_b128 v[49:52], v44 offset:304
	;; [unrolled: 1-line block ×3, first 2 shown]
	ds_read_b64 v[57:58], v44 offset:336
	s_mov_b32 s4, exec_lo
	s_waitcnt vmcnt(15) lgkmcnt(3)
	v_mul_f32_e32 v75, v45, v59
	v_mul_f32_e32 v59, v46, v59
	s_waitcnt vmcnt(14)
	v_mul_f32_e32 v76, v47, v60
	v_mul_f32_e32 v60, v48, v60
	s_waitcnt vmcnt(13) lgkmcnt(2)
	v_mul_f32_e32 v77, v49, v61
	s_waitcnt vmcnt(12)
	v_mul_f32_e32 v78, v51, v62
	s_waitcnt vmcnt(11) lgkmcnt(1)
	v_mul_f32_e32 v79, v53, v63
	s_waitcnt vmcnt(8)
	v_fma_f32 v45, v45, v66, -v59
	v_fmac_f32_e32 v75, v46, v66
	v_mul_f32_e32 v46, v50, v61
	s_waitcnt vmcnt(7)
	v_fma_f32 v47, v47, v67, -v60
	v_fmac_f32_e32 v76, v48, v67
	v_add_f32_e32 v45, 0, v45
	v_add_f32_e32 v48, 0, v75
	v_mul_f32_e32 v59, v52, v62
	s_waitcnt vmcnt(6)
	v_fma_f32 v46, v49, v68, -v46
	v_fmac_f32_e32 v77, v50, v68
	v_add_f32_e32 v45, v45, v47
	v_add_f32_e32 v47, v48, v76
	;; [unrolled: 6-line block ×3, first 2 shown]
	v_mul_f32_e32 v47, v56, v64
	s_waitcnt vmcnt(4)
	v_fma_f32 v48, v53, v70, -v48
	v_mul_f32_e32 v80, v55, v64
	v_add_f32_e32 v45, v45, v49
	v_fmac_f32_e32 v79, v54, v70
	v_add_f32_e32 v46, v46, v78
	s_waitcnt lgkmcnt(0)
	v_mul_f32_e32 v49, v58, v65
	s_waitcnt vmcnt(3)
	v_fma_f32 v47, v55, v71, -v47
	v_add_f32_e32 v45, v45, v48
	v_mul_f32_e32 v81, v57, v65
	v_fmac_f32_e32 v80, v56, v71
	v_add_f32_e32 v46, v46, v79
	s_waitcnt vmcnt(2)
	v_fma_f32 v48, v57, v72, -v49
	v_add_f32_e32 v45, v45, v47
	v_fmac_f32_e32 v81, v58, v72
	v_add_f32_e32 v46, v46, v80
	v_add_f32_e32 v45, v45, v48
	;; [unrolled: 1-line block ×3, first 2 shown]
	s_waitcnt vmcnt(1)
	v_sub_f32_e32 v45, v73, v45
	s_waitcnt vmcnt(0)
	v_sub_f32_e32 v46, v74, v46
	buffer_store_dword v45, off, s[0:3], 0 offset:104
	buffer_store_dword v46, off, s[0:3], 0 offset:108
	v_cmpx_lt_u32_e32 12, v0
	s_cbranch_execz .LBB20_115
; %bb.114:
	s_clause 0x1
	buffer_load_dword v45, off, s[0:3], 0 offset:96
	buffer_load_dword v46, off, s[0:3], 0 offset:100
	buffer_store_dword v44, off, s[0:3], 0 offset:96
	buffer_store_dword v44, off, s[0:3], 0 offset:100
	s_waitcnt vmcnt(0)
	ds_write_b64 v43, v[45:46]
.LBB20_115:
	s_or_b32 exec_lo, exec_lo, s4
	s_waitcnt lgkmcnt(0)
	s_waitcnt_vscnt null, 0x0
	s_barrier
	buffer_gl0_inv
	s_clause 0x11
	buffer_load_dword v61, off, s[0:3], 0 offset:108
	buffer_load_dword v62, off, s[0:3], 0 offset:116
	;; [unrolled: 1-line block ×18, first 2 shown]
	ds_read2_b64 v[45:48], v44 offset0:35 offset1:36
	ds_read2_b64 v[49:52], v44 offset0:37 offset1:38
	;; [unrolled: 1-line block ×4, first 2 shown]
	s_mov_b32 s4, exec_lo
	s_waitcnt vmcnt(17) lgkmcnt(3)
	v_mul_f32_e32 v44, v45, v61
	v_mul_f32_e32 v61, v46, v61
	s_waitcnt vmcnt(16)
	v_mul_f32_e32 v79, v47, v62
	v_mul_f32_e32 v62, v48, v62
	s_waitcnt vmcnt(15) lgkmcnt(2)
	v_mul_f32_e32 v80, v49, v63
	s_waitcnt vmcnt(14)
	v_mul_f32_e32 v81, v51, v64
	s_waitcnt vmcnt(13) lgkmcnt(1)
	v_mul_f32_e32 v82, v53, v65
	s_waitcnt vmcnt(12)
	v_mul_f32_e32 v83, v55, v66
	s_waitcnt vmcnt(9)
	v_fma_f32 v45, v45, v69, -v61
	v_fmac_f32_e32 v44, v46, v69
	v_mul_f32_e32 v46, v50, v63
	s_waitcnt vmcnt(8)
	v_fma_f32 v47, v47, v70, -v62
	v_fmac_f32_e32 v79, v48, v70
	v_add_f32_e32 v45, 0, v45
	v_add_f32_e32 v44, 0, v44
	v_mul_f32_e32 v48, v52, v64
	s_waitcnt vmcnt(7)
	v_fma_f32 v46, v49, v71, -v46
	v_fmac_f32_e32 v80, v50, v71
	v_add_f32_e32 v45, v45, v47
	v_add_f32_e32 v44, v44, v79
	;; [unrolled: 6-line block ×4, first 2 shown]
	s_waitcnt lgkmcnt(0)
	v_mul_f32_e32 v48, v58, v67
	s_waitcnt vmcnt(4)
	v_fma_f32 v46, v55, v74, -v46
	v_mul_f32_e32 v84, v57, v67
	v_add_f32_e32 v45, v45, v47
	v_fmac_f32_e32 v83, v56, v74
	v_add_f32_e32 v44, v44, v82
	v_mul_f32_e32 v47, v60, v68
	s_waitcnt vmcnt(3)
	v_fma_f32 v48, v57, v75, -v48
	v_add_f32_e32 v45, v45, v46
	v_mul_f32_e32 v85, v59, v68
	v_fmac_f32_e32 v84, v58, v75
	v_add_f32_e32 v44, v44, v83
	s_waitcnt vmcnt(2)
	v_fma_f32 v46, v59, v76, -v47
	v_add_f32_e32 v45, v45, v48
	v_fmac_f32_e32 v85, v60, v76
	v_add_f32_e32 v44, v44, v84
	v_add_f32_e32 v45, v45, v46
	;; [unrolled: 1-line block ×3, first 2 shown]
	s_waitcnt vmcnt(1)
	v_sub_f32_e32 v45, v77, v45
	s_waitcnt vmcnt(0)
	v_sub_f32_e32 v44, v78, v44
	buffer_store_dword v45, off, s[0:3], 0 offset:96
	buffer_store_dword v44, off, s[0:3], 0 offset:100
	v_cmpx_lt_u32_e32 11, v0
	s_cbranch_execz .LBB20_117
; %bb.116:
	s_clause 0x1
	buffer_load_dword v44, off, s[0:3], 0 offset:88
	buffer_load_dword v45, off, s[0:3], 0 offset:92
	v_mov_b32_e32 v46, 0
	buffer_store_dword v46, off, s[0:3], 0 offset:88
	buffer_store_dword v46, off, s[0:3], 0 offset:92
	s_waitcnt vmcnt(0)
	ds_write_b64 v43, v[44:45]
.LBB20_117:
	s_or_b32 exec_lo, exec_lo, s4
	s_waitcnt lgkmcnt(0)
	s_waitcnt_vscnt null, 0x0
	s_barrier
	buffer_gl0_inv
	s_clause 0x13
	buffer_load_dword v63, off, s[0:3], 0 offset:100
	buffer_load_dword v64, off, s[0:3], 0 offset:108
	;; [unrolled: 1-line block ×20, first 2 shown]
	v_mov_b32_e32 v44, 0
	ds_read_b128 v[45:48], v44 offset:272
	ds_read_b128 v[49:52], v44 offset:288
	;; [unrolled: 1-line block ×4, first 2 shown]
	ds_read_b64 v[61:62], v44 offset:336
	s_mov_b32 s4, exec_lo
	s_waitcnt vmcnt(19) lgkmcnt(4)
	v_mul_f32_e32 v83, v45, v63
	v_mul_f32_e32 v63, v46, v63
	s_waitcnt vmcnt(18)
	v_mul_f32_e32 v84, v47, v64
	v_mul_f32_e32 v64, v48, v64
	s_waitcnt vmcnt(17) lgkmcnt(3)
	v_mul_f32_e32 v85, v49, v65
	s_waitcnt vmcnt(16)
	v_mul_f32_e32 v86, v51, v66
	s_waitcnt vmcnt(15) lgkmcnt(2)
	v_mul_f32_e32 v87, v53, v67
	s_waitcnt vmcnt(14)
	;; [unrolled: 4-line block ×3, first 2 shown]
	v_fma_f32 v45, v45, v72, -v63
	v_fmac_f32_e32 v83, v46, v72
	v_mul_f32_e32 v46, v50, v65
	s_waitcnt vmcnt(9)
	v_fma_f32 v47, v47, v73, -v64
	v_fmac_f32_e32 v84, v48, v73
	v_add_f32_e32 v45, 0, v45
	v_add_f32_e32 v48, 0, v83
	v_mul_f32_e32 v63, v52, v66
	s_waitcnt vmcnt(8)
	v_fma_f32 v46, v49, v74, -v46
	v_fmac_f32_e32 v85, v50, v74
	v_add_f32_e32 v45, v45, v47
	v_add_f32_e32 v47, v48, v84
	;; [unrolled: 6-line block ×5, first 2 shown]
	v_mul_f32_e32 v48, v60, v70
	s_waitcnt vmcnt(4)
	v_fma_f32 v49, v57, v78, -v49
	v_mul_f32_e32 v90, v59, v70
	v_add_f32_e32 v45, v45, v47
	v_fmac_f32_e32 v89, v58, v78
	v_add_f32_e32 v46, v46, v88
	s_waitcnt lgkmcnt(0)
	v_mul_f32_e32 v47, v62, v71
	s_waitcnt vmcnt(3)
	v_fma_f32 v48, v59, v79, -v48
	v_add_f32_e32 v45, v45, v49
	v_mul_f32_e32 v91, v61, v71
	v_fmac_f32_e32 v90, v60, v79
	v_add_f32_e32 v46, v46, v89
	s_waitcnt vmcnt(2)
	v_fma_f32 v47, v61, v80, -v47
	v_add_f32_e32 v45, v45, v48
	v_fmac_f32_e32 v91, v62, v80
	v_add_f32_e32 v46, v46, v90
	v_add_f32_e32 v45, v45, v47
	;; [unrolled: 1-line block ×3, first 2 shown]
	s_waitcnt vmcnt(1)
	v_sub_f32_e32 v45, v81, v45
	s_waitcnt vmcnt(0)
	v_sub_f32_e32 v46, v82, v46
	buffer_store_dword v45, off, s[0:3], 0 offset:88
	buffer_store_dword v46, off, s[0:3], 0 offset:92
	v_cmpx_lt_u32_e32 10, v0
	s_cbranch_execz .LBB20_119
; %bb.118:
	s_clause 0x1
	buffer_load_dword v45, off, s[0:3], 0 offset:80
	buffer_load_dword v46, off, s[0:3], 0 offset:84
	buffer_store_dword v44, off, s[0:3], 0 offset:80
	buffer_store_dword v44, off, s[0:3], 0 offset:84
	s_waitcnt vmcnt(0)
	ds_write_b64 v43, v[45:46]
.LBB20_119:
	s_or_b32 exec_lo, exec_lo, s4
	s_waitcnt lgkmcnt(0)
	s_waitcnt_vscnt null, 0x0
	s_barrier
	buffer_gl0_inv
	s_clause 0x15
	buffer_load_dword v65, off, s[0:3], 0 offset:92
	buffer_load_dword v66, off, s[0:3], 0 offset:100
	;; [unrolled: 1-line block ×22, first 2 shown]
	ds_read2_b64 v[45:48], v44 offset0:33 offset1:34
	ds_read2_b64 v[49:52], v44 offset0:35 offset1:36
	;; [unrolled: 1-line block ×5, first 2 shown]
	s_mov_b32 s4, exec_lo
	s_waitcnt vmcnt(21) lgkmcnt(4)
	v_mul_f32_e32 v44, v45, v65
	v_mul_f32_e32 v65, v46, v65
	s_waitcnt vmcnt(20)
	v_mul_f32_e32 v87, v47, v66
	v_mul_f32_e32 v66, v48, v66
	s_waitcnt vmcnt(19) lgkmcnt(3)
	v_mul_f32_e32 v88, v49, v67
	s_waitcnt vmcnt(18)
	v_mul_f32_e32 v89, v51, v68
	s_waitcnt vmcnt(17) lgkmcnt(2)
	v_mul_f32_e32 v90, v53, v69
	s_waitcnt vmcnt(16)
	v_mul_f32_e32 v91, v55, v70
	s_waitcnt vmcnt(15) lgkmcnt(1)
	v_mul_f32_e32 v92, v57, v71
	s_waitcnt vmcnt(14)
	v_mul_f32_e32 v93, v59, v72
	s_waitcnt vmcnt(11)
	v_fma_f32 v45, v45, v75, -v65
	v_fmac_f32_e32 v44, v46, v75
	v_mul_f32_e32 v46, v50, v67
	s_waitcnt vmcnt(10)
	v_fma_f32 v47, v47, v76, -v66
	v_fmac_f32_e32 v87, v48, v76
	v_add_f32_e32 v45, 0, v45
	v_add_f32_e32 v44, 0, v44
	v_mul_f32_e32 v48, v52, v68
	s_waitcnt vmcnt(9)
	v_fma_f32 v46, v49, v77, -v46
	v_fmac_f32_e32 v88, v50, v77
	v_add_f32_e32 v45, v45, v47
	v_add_f32_e32 v44, v44, v87
	;; [unrolled: 6-line block ×6, first 2 shown]
	s_waitcnt lgkmcnt(0)
	v_mul_f32_e32 v46, v62, v73
	s_waitcnt vmcnt(4)
	v_fma_f32 v47, v59, v82, -v47
	v_mul_f32_e32 v94, v61, v73
	v_add_f32_e32 v45, v45, v48
	v_fmac_f32_e32 v93, v60, v82
	v_add_f32_e32 v44, v44, v92
	v_mul_f32_e32 v48, v64, v74
	s_waitcnt vmcnt(3)
	v_fma_f32 v46, v61, v83, -v46
	v_add_f32_e32 v45, v45, v47
	v_mul_f32_e32 v95, v63, v74
	v_fmac_f32_e32 v94, v62, v83
	v_add_f32_e32 v44, v44, v93
	s_waitcnt vmcnt(2)
	v_fma_f32 v47, v63, v84, -v48
	v_add_f32_e32 v45, v45, v46
	v_fmac_f32_e32 v95, v64, v84
	v_add_f32_e32 v44, v44, v94
	v_add_f32_e32 v45, v45, v47
	;; [unrolled: 1-line block ×3, first 2 shown]
	s_waitcnt vmcnt(1)
	v_sub_f32_e32 v45, v85, v45
	s_waitcnt vmcnt(0)
	v_sub_f32_e32 v44, v86, v44
	buffer_store_dword v45, off, s[0:3], 0 offset:80
	buffer_store_dword v44, off, s[0:3], 0 offset:84
	v_cmpx_lt_u32_e32 9, v0
	s_cbranch_execz .LBB20_121
; %bb.120:
	s_clause 0x1
	buffer_load_dword v44, off, s[0:3], 0 offset:72
	buffer_load_dword v45, off, s[0:3], 0 offset:76
	v_mov_b32_e32 v46, 0
	buffer_store_dword v46, off, s[0:3], 0 offset:72
	buffer_store_dword v46, off, s[0:3], 0 offset:76
	s_waitcnt vmcnt(0)
	ds_write_b64 v43, v[44:45]
.LBB20_121:
	s_or_b32 exec_lo, exec_lo, s4
	s_waitcnt lgkmcnt(0)
	s_waitcnt_vscnt null, 0x0
	s_barrier
	buffer_gl0_inv
	s_clause 0x17
	buffer_load_dword v67, off, s[0:3], 0 offset:84
	buffer_load_dword v68, off, s[0:3], 0 offset:92
	;; [unrolled: 1-line block ×24, first 2 shown]
	v_mov_b32_e32 v44, 0
	ds_read_b128 v[45:48], v44 offset:256
	ds_read_b128 v[49:52], v44 offset:272
	;; [unrolled: 1-line block ×5, first 2 shown]
	ds_read_b64 v[65:66], v44 offset:336
	s_mov_b32 s4, exec_lo
	s_waitcnt vmcnt(23) lgkmcnt(5)
	v_mul_f32_e32 v91, v45, v67
	v_mul_f32_e32 v67, v46, v67
	s_waitcnt vmcnt(22)
	v_mul_f32_e32 v92, v47, v68
	v_mul_f32_e32 v68, v48, v68
	s_waitcnt vmcnt(21) lgkmcnt(4)
	v_mul_f32_e32 v93, v49, v69
	s_waitcnt vmcnt(20)
	v_mul_f32_e32 v94, v51, v70
	s_waitcnt vmcnt(19) lgkmcnt(3)
	v_mul_f32_e32 v95, v53, v71
	s_waitcnt vmcnt(18)
	;; [unrolled: 4-line block ×4, first 2 shown]
	v_fma_f32 v45, v45, v78, -v67
	v_fmac_f32_e32 v91, v46, v78
	v_mul_f32_e32 v46, v50, v69
	s_waitcnt vmcnt(11)
	v_fma_f32 v47, v47, v79, -v68
	v_fmac_f32_e32 v92, v48, v79
	v_add_f32_e32 v45, 0, v45
	v_add_f32_e32 v48, 0, v91
	v_mul_f32_e32 v67, v52, v70
	s_waitcnt vmcnt(10)
	v_fma_f32 v46, v49, v80, -v46
	v_fmac_f32_e32 v93, v50, v80
	v_add_f32_e32 v45, v45, v47
	v_add_f32_e32 v47, v48, v92
	;; [unrolled: 6-line block ×7, first 2 shown]
	v_mul_f32_e32 v49, v64, v76
	s_waitcnt vmcnt(4)
	v_fma_f32 v47, v61, v86, -v47
	v_mul_f32_e32 v100, v63, v76
	v_add_f32_e32 v45, v45, v48
	v_fmac_f32_e32 v99, v62, v86
	v_add_f32_e32 v46, v46, v98
	s_waitcnt lgkmcnt(0)
	v_mul_f32_e32 v48, v66, v77
	s_waitcnt vmcnt(3)
	v_fma_f32 v49, v63, v87, -v49
	v_add_f32_e32 v45, v45, v47
	v_mul_f32_e32 v101, v65, v77
	v_fmac_f32_e32 v100, v64, v87
	v_add_f32_e32 v46, v46, v99
	s_waitcnt vmcnt(2)
	v_fma_f32 v47, v65, v88, -v48
	v_add_f32_e32 v45, v45, v49
	v_fmac_f32_e32 v101, v66, v88
	v_add_f32_e32 v46, v46, v100
	v_add_f32_e32 v45, v45, v47
	;; [unrolled: 1-line block ×3, first 2 shown]
	s_waitcnt vmcnt(1)
	v_sub_f32_e32 v45, v89, v45
	s_waitcnt vmcnt(0)
	v_sub_f32_e32 v46, v90, v46
	buffer_store_dword v45, off, s[0:3], 0 offset:72
	buffer_store_dword v46, off, s[0:3], 0 offset:76
	v_cmpx_lt_u32_e32 8, v0
	s_cbranch_execz .LBB20_123
; %bb.122:
	s_clause 0x1
	buffer_load_dword v45, off, s[0:3], 0 offset:64
	buffer_load_dword v46, off, s[0:3], 0 offset:68
	buffer_store_dword v44, off, s[0:3], 0 offset:64
	buffer_store_dword v44, off, s[0:3], 0 offset:68
	s_waitcnt vmcnt(0)
	ds_write_b64 v43, v[45:46]
.LBB20_123:
	s_or_b32 exec_lo, exec_lo, s4
	s_waitcnt lgkmcnt(0)
	s_waitcnt_vscnt null, 0x0
	s_barrier
	buffer_gl0_inv
	s_clause 0x19
	buffer_load_dword v69, off, s[0:3], 0 offset:76
	buffer_load_dword v70, off, s[0:3], 0 offset:84
	;; [unrolled: 1-line block ×26, first 2 shown]
	ds_read2_b64 v[45:48], v44 offset0:31 offset1:32
	ds_read2_b64 v[49:52], v44 offset0:33 offset1:34
	;; [unrolled: 1-line block ×6, first 2 shown]
	s_mov_b32 s4, exec_lo
	s_waitcnt vmcnt(25) lgkmcnt(5)
	v_mul_f32_e32 v44, v45, v69
	v_mul_f32_e32 v69, v46, v69
	s_waitcnt vmcnt(24)
	v_mul_f32_e32 v95, v47, v70
	v_mul_f32_e32 v70, v48, v70
	s_waitcnt vmcnt(23) lgkmcnt(4)
	v_mul_f32_e32 v96, v49, v71
	s_waitcnt vmcnt(22)
	v_mul_f32_e32 v97, v51, v72
	s_waitcnt vmcnt(21) lgkmcnt(3)
	v_mul_f32_e32 v98, v53, v73
	s_waitcnt vmcnt(20)
	;; [unrolled: 4-line block ×4, first 2 shown]
	v_mul_f32_e32 v103, v63, v78
	s_waitcnt vmcnt(13)
	v_fma_f32 v45, v45, v81, -v69
	v_fmac_f32_e32 v44, v46, v81
	v_mul_f32_e32 v46, v50, v71
	s_waitcnt vmcnt(12)
	v_fma_f32 v47, v47, v82, -v70
	v_fmac_f32_e32 v95, v48, v82
	v_add_f32_e32 v45, 0, v45
	v_add_f32_e32 v44, 0, v44
	v_mul_f32_e32 v48, v52, v72
	s_waitcnt vmcnt(11)
	v_fma_f32 v46, v49, v83, -v46
	v_fmac_f32_e32 v96, v50, v83
	v_add_f32_e32 v45, v45, v47
	v_add_f32_e32 v44, v44, v95
	;; [unrolled: 6-line block ×8, first 2 shown]
	s_waitcnt lgkmcnt(0)
	v_mul_f32_e32 v47, v66, v79
	s_waitcnt vmcnt(4)
	v_fma_f32 v48, v63, v90, -v48
	v_mul_f32_e32 v104, v65, v79
	v_add_f32_e32 v45, v45, v46
	v_fmac_f32_e32 v103, v64, v90
	v_add_f32_e32 v44, v44, v102
	v_mul_f32_e32 v46, v68, v80
	s_waitcnt vmcnt(3)
	v_fma_f32 v47, v65, v91, -v47
	v_add_f32_e32 v45, v45, v48
	v_mul_f32_e32 v105, v67, v80
	v_fmac_f32_e32 v104, v66, v91
	v_add_f32_e32 v44, v44, v103
	s_waitcnt vmcnt(2)
	v_fma_f32 v46, v67, v92, -v46
	v_add_f32_e32 v45, v45, v47
	v_fmac_f32_e32 v105, v68, v92
	v_add_f32_e32 v44, v44, v104
	v_add_f32_e32 v45, v45, v46
	;; [unrolled: 1-line block ×3, first 2 shown]
	s_waitcnt vmcnt(1)
	v_sub_f32_e32 v45, v93, v45
	s_waitcnt vmcnt(0)
	v_sub_f32_e32 v44, v94, v44
	buffer_store_dword v45, off, s[0:3], 0 offset:64
	buffer_store_dword v44, off, s[0:3], 0 offset:68
	v_cmpx_lt_u32_e32 7, v0
	s_cbranch_execz .LBB20_125
; %bb.124:
	s_clause 0x1
	buffer_load_dword v44, off, s[0:3], 0 offset:56
	buffer_load_dword v45, off, s[0:3], 0 offset:60
	v_mov_b32_e32 v46, 0
	buffer_store_dword v46, off, s[0:3], 0 offset:56
	buffer_store_dword v46, off, s[0:3], 0 offset:60
	s_waitcnt vmcnt(0)
	ds_write_b64 v43, v[44:45]
.LBB20_125:
	s_or_b32 exec_lo, exec_lo, s4
	s_waitcnt lgkmcnt(0)
	s_waitcnt_vscnt null, 0x0
	s_barrier
	buffer_gl0_inv
	s_clause 0x1b
	buffer_load_dword v71, off, s[0:3], 0 offset:68
	buffer_load_dword v72, off, s[0:3], 0 offset:76
	;; [unrolled: 1-line block ×28, first 2 shown]
	v_mov_b32_e32 v44, 0
	ds_read_b128 v[45:48], v44 offset:240
	ds_read_b128 v[49:52], v44 offset:256
	;; [unrolled: 1-line block ×6, first 2 shown]
	ds_read_b64 v[69:70], v44 offset:336
	s_mov_b32 s4, exec_lo
	s_waitcnt vmcnt(27) lgkmcnt(6)
	v_mul_f32_e32 v99, v45, v71
	v_mul_f32_e32 v71, v46, v71
	s_waitcnt vmcnt(26)
	v_mul_f32_e32 v100, v47, v72
	v_mul_f32_e32 v72, v48, v72
	s_waitcnt vmcnt(25) lgkmcnt(5)
	v_mul_f32_e32 v101, v49, v73
	s_waitcnt vmcnt(24)
	v_mul_f32_e32 v102, v51, v74
	s_waitcnt vmcnt(23) lgkmcnt(4)
	v_mul_f32_e32 v103, v53, v75
	s_waitcnt vmcnt(22)
	;; [unrolled: 4-line block ×5, first 2 shown]
	v_fma_f32 v45, v45, v84, -v71
	v_fmac_f32_e32 v99, v46, v84
	v_mul_f32_e32 v46, v50, v73
	s_waitcnt vmcnt(13)
	v_fma_f32 v47, v47, v85, -v72
	v_fmac_f32_e32 v100, v48, v85
	v_add_f32_e32 v45, 0, v45
	v_add_f32_e32 v48, 0, v99
	v_mul_f32_e32 v71, v52, v74
	s_waitcnt vmcnt(12)
	v_fma_f32 v46, v49, v86, -v46
	v_fmac_f32_e32 v101, v50, v86
	v_add_f32_e32 v45, v45, v47
	v_add_f32_e32 v47, v48, v100
	;; [unrolled: 6-line block ×9, first 2 shown]
	v_mul_f32_e32 v47, v68, v82
	s_waitcnt vmcnt(4)
	v_fma_f32 v48, v65, v94, -v48
	v_mul_f32_e32 v110, v67, v82
	v_add_f32_e32 v45, v45, v49
	v_fmac_f32_e32 v109, v66, v94
	v_add_f32_e32 v46, v46, v108
	s_waitcnt lgkmcnt(0)
	v_mul_f32_e32 v49, v70, v83
	s_waitcnt vmcnt(3)
	v_fma_f32 v47, v67, v95, -v47
	v_add_f32_e32 v45, v45, v48
	v_mul_f32_e32 v111, v69, v83
	v_fmac_f32_e32 v110, v68, v95
	v_add_f32_e32 v46, v46, v109
	s_waitcnt vmcnt(2)
	v_fma_f32 v48, v69, v96, -v49
	v_add_f32_e32 v45, v45, v47
	v_fmac_f32_e32 v111, v70, v96
	v_add_f32_e32 v46, v46, v110
	v_add_f32_e32 v45, v45, v48
	;; [unrolled: 1-line block ×3, first 2 shown]
	s_waitcnt vmcnt(1)
	v_sub_f32_e32 v45, v97, v45
	s_waitcnt vmcnt(0)
	v_sub_f32_e32 v46, v98, v46
	buffer_store_dword v45, off, s[0:3], 0 offset:56
	buffer_store_dword v46, off, s[0:3], 0 offset:60
	v_cmpx_lt_u32_e32 6, v0
	s_cbranch_execz .LBB20_127
; %bb.126:
	s_clause 0x1
	buffer_load_dword v45, off, s[0:3], 0 offset:48
	buffer_load_dword v46, off, s[0:3], 0 offset:52
	buffer_store_dword v44, off, s[0:3], 0 offset:48
	buffer_store_dword v44, off, s[0:3], 0 offset:52
	s_waitcnt vmcnt(0)
	ds_write_b64 v43, v[45:46]
.LBB20_127:
	s_or_b32 exec_lo, exec_lo, s4
	s_waitcnt lgkmcnt(0)
	s_waitcnt_vscnt null, 0x0
	s_barrier
	buffer_gl0_inv
	s_clause 0x1d
	buffer_load_dword v73, off, s[0:3], 0 offset:60
	buffer_load_dword v74, off, s[0:3], 0 offset:68
	;; [unrolled: 1-line block ×30, first 2 shown]
	ds_read2_b64 v[45:48], v44 offset0:29 offset1:30
	ds_read2_b64 v[49:52], v44 offset0:31 offset1:32
	ds_read2_b64 v[53:56], v44 offset0:33 offset1:34
	ds_read2_b64 v[57:60], v44 offset0:35 offset1:36
	ds_read2_b64 v[61:64], v44 offset0:37 offset1:38
	ds_read2_b64 v[65:68], v44 offset0:39 offset1:40
	ds_read2_b64 v[69:72], v44 offset0:41 offset1:42
	s_mov_b32 s4, exec_lo
	s_waitcnt vmcnt(29) lgkmcnt(6)
	v_mul_f32_e32 v44, v45, v73
	v_mul_f32_e32 v73, v46, v73
	s_waitcnt vmcnt(28)
	v_mul_f32_e32 v103, v47, v74
	v_mul_f32_e32 v74, v48, v74
	s_waitcnt vmcnt(27) lgkmcnt(5)
	v_mul_f32_e32 v104, v49, v75
	s_waitcnt vmcnt(26)
	v_mul_f32_e32 v105, v51, v76
	s_waitcnt vmcnt(25) lgkmcnt(4)
	v_mul_f32_e32 v106, v53, v77
	s_waitcnt vmcnt(24)
	;; [unrolled: 4-line block ×5, first 2 shown]
	v_mul_f32_e32 v113, v67, v84
	s_waitcnt vmcnt(15)
	v_fma_f32 v45, v45, v87, -v73
	v_fmac_f32_e32 v44, v46, v87
	v_mul_f32_e32 v46, v50, v75
	s_waitcnt vmcnt(14)
	v_fma_f32 v47, v47, v88, -v74
	v_fmac_f32_e32 v103, v48, v88
	v_add_f32_e32 v45, 0, v45
	v_add_f32_e32 v44, 0, v44
	v_mul_f32_e32 v48, v52, v76
	s_waitcnt vmcnt(13)
	v_fma_f32 v46, v49, v89, -v46
	v_fmac_f32_e32 v104, v50, v89
	v_add_f32_e32 v45, v45, v47
	v_add_f32_e32 v44, v44, v103
	;; [unrolled: 6-line block ×10, first 2 shown]
	s_waitcnt lgkmcnt(0)
	v_mul_f32_e32 v48, v70, v85
	s_waitcnt vmcnt(4)
	v_fma_f32 v46, v67, v98, -v46
	v_mul_f32_e32 v114, v69, v85
	v_add_f32_e32 v45, v45, v47
	v_fmac_f32_e32 v113, v68, v98
	v_add_f32_e32 v44, v44, v112
	v_mul_f32_e32 v47, v72, v86
	s_waitcnt vmcnt(3)
	v_fma_f32 v48, v69, v99, -v48
	v_add_f32_e32 v45, v45, v46
	v_mul_f32_e32 v115, v71, v86
	v_fmac_f32_e32 v114, v70, v99
	v_add_f32_e32 v44, v44, v113
	s_waitcnt vmcnt(2)
	v_fma_f32 v46, v71, v100, -v47
	v_add_f32_e32 v45, v45, v48
	v_fmac_f32_e32 v115, v72, v100
	v_add_f32_e32 v44, v44, v114
	v_add_f32_e32 v45, v45, v46
	;; [unrolled: 1-line block ×3, first 2 shown]
	s_waitcnt vmcnt(1)
	v_sub_f32_e32 v45, v101, v45
	s_waitcnt vmcnt(0)
	v_sub_f32_e32 v44, v102, v44
	buffer_store_dword v45, off, s[0:3], 0 offset:48
	buffer_store_dword v44, off, s[0:3], 0 offset:52
	v_cmpx_lt_u32_e32 5, v0
	s_cbranch_execz .LBB20_129
; %bb.128:
	s_clause 0x1
	buffer_load_dword v44, off, s[0:3], 0 offset:40
	buffer_load_dword v45, off, s[0:3], 0 offset:44
	v_mov_b32_e32 v46, 0
	buffer_store_dword v46, off, s[0:3], 0 offset:40
	buffer_store_dword v46, off, s[0:3], 0 offset:44
	s_waitcnt vmcnt(0)
	ds_write_b64 v43, v[44:45]
.LBB20_129:
	s_or_b32 exec_lo, exec_lo, s4
	s_waitcnt lgkmcnt(0)
	s_waitcnt_vscnt null, 0x0
	s_barrier
	buffer_gl0_inv
	s_clause 0x1f
	buffer_load_dword v75, off, s[0:3], 0 offset:52
	buffer_load_dword v76, off, s[0:3], 0 offset:60
	;; [unrolled: 1-line block ×32, first 2 shown]
	v_mov_b32_e32 v44, 0
	ds_read_b128 v[45:48], v44 offset:224
	ds_read_b128 v[49:52], v44 offset:240
	;; [unrolled: 1-line block ×7, first 2 shown]
	ds_read_b64 v[73:74], v44 offset:336
	s_mov_b32 s4, exec_lo
	s_waitcnt vmcnt(31) lgkmcnt(7)
	v_mul_f32_e32 v107, v45, v75
	v_mul_f32_e32 v75, v46, v75
	s_waitcnt vmcnt(30)
	v_mul_f32_e32 v108, v47, v76
	v_mul_f32_e32 v76, v48, v76
	s_waitcnt vmcnt(29) lgkmcnt(6)
	v_mul_f32_e32 v109, v49, v77
	s_waitcnt vmcnt(28)
	v_mul_f32_e32 v110, v51, v78
	s_waitcnt vmcnt(27) lgkmcnt(5)
	v_mul_f32_e32 v111, v53, v79
	s_waitcnt vmcnt(26)
	;; [unrolled: 4-line block ×6, first 2 shown]
	v_fma_f32 v45, v45, v90, -v75
	v_fmac_f32_e32 v107, v46, v90
	v_mul_f32_e32 v46, v50, v77
	s_waitcnt vmcnt(15)
	v_fma_f32 v47, v47, v91, -v76
	v_fmac_f32_e32 v108, v48, v91
	v_add_f32_e32 v45, 0, v45
	v_add_f32_e32 v48, 0, v107
	v_mul_f32_e32 v75, v52, v78
	s_waitcnt vmcnt(14)
	v_fma_f32 v46, v49, v92, -v46
	v_fmac_f32_e32 v109, v50, v92
	v_add_f32_e32 v45, v45, v47
	v_add_f32_e32 v47, v48, v108
	;; [unrolled: 6-line block ×11, first 2 shown]
	v_mul_f32_e32 v48, v72, v88
	s_waitcnt vmcnt(4)
	v_fma_f32 v49, v69, v102, -v49
	v_mul_f32_e32 v120, v71, v88
	v_add_f32_e32 v45, v45, v47
	v_fmac_f32_e32 v119, v70, v102
	v_add_f32_e32 v46, v46, v118
	s_waitcnt lgkmcnt(0)
	v_mul_f32_e32 v47, v74, v89
	s_waitcnt vmcnt(3)
	v_fma_f32 v48, v71, v103, -v48
	v_add_f32_e32 v45, v45, v49
	v_mul_f32_e32 v121, v73, v89
	v_fmac_f32_e32 v120, v72, v103
	v_add_f32_e32 v46, v46, v119
	s_waitcnt vmcnt(2)
	v_fma_f32 v47, v73, v104, -v47
	v_add_f32_e32 v45, v45, v48
	v_fmac_f32_e32 v121, v74, v104
	v_add_f32_e32 v46, v46, v120
	v_add_f32_e32 v45, v45, v47
	;; [unrolled: 1-line block ×3, first 2 shown]
	s_waitcnt vmcnt(1)
	v_sub_f32_e32 v45, v105, v45
	s_waitcnt vmcnt(0)
	v_sub_f32_e32 v46, v106, v46
	buffer_store_dword v45, off, s[0:3], 0 offset:40
	buffer_store_dword v46, off, s[0:3], 0 offset:44
	v_cmpx_lt_u32_e32 4, v0
	s_cbranch_execz .LBB20_131
; %bb.130:
	s_clause 0x1
	buffer_load_dword v45, off, s[0:3], 0 offset:32
	buffer_load_dword v46, off, s[0:3], 0 offset:36
	buffer_store_dword v44, off, s[0:3], 0 offset:32
	buffer_store_dword v44, off, s[0:3], 0 offset:36
	s_waitcnt vmcnt(0)
	ds_write_b64 v43, v[45:46]
.LBB20_131:
	s_or_b32 exec_lo, exec_lo, s4
	s_waitcnt lgkmcnt(0)
	s_waitcnt_vscnt null, 0x0
	s_barrier
	buffer_gl0_inv
	s_clause 0x21
	buffer_load_dword v77, off, s[0:3], 0 offset:44
	buffer_load_dword v78, off, s[0:3], 0 offset:52
	;; [unrolled: 1-line block ×34, first 2 shown]
	ds_read2_b64 v[45:48], v44 offset0:27 offset1:28
	ds_read2_b64 v[49:52], v44 offset0:29 offset1:30
	;; [unrolled: 1-line block ×8, first 2 shown]
	s_mov_b32 s4, exec_lo
	s_waitcnt vmcnt(33) lgkmcnt(7)
	v_mul_f32_e32 v44, v45, v77
	v_mul_f32_e32 v77, v46, v77
	s_waitcnt vmcnt(32)
	v_mul_f32_e32 v111, v47, v78
	v_mul_f32_e32 v78, v48, v78
	s_waitcnt vmcnt(31) lgkmcnt(6)
	v_mul_f32_e32 v112, v49, v79
	s_waitcnt vmcnt(30)
	v_mul_f32_e32 v113, v51, v80
	s_waitcnt vmcnt(29) lgkmcnt(5)
	v_mul_f32_e32 v114, v53, v81
	s_waitcnt vmcnt(28)
	;; [unrolled: 4-line block ×6, first 2 shown]
	v_mul_f32_e32 v123, v71, v90
	s_waitcnt vmcnt(17)
	v_fma_f32 v45, v45, v93, -v77
	v_fmac_f32_e32 v44, v46, v93
	v_mul_f32_e32 v46, v50, v79
	s_waitcnt vmcnt(16)
	v_fma_f32 v47, v47, v94, -v78
	v_fmac_f32_e32 v111, v48, v94
	v_add_f32_e32 v45, 0, v45
	v_add_f32_e32 v44, 0, v44
	v_mul_f32_e32 v48, v52, v80
	s_waitcnt vmcnt(15)
	v_fma_f32 v46, v49, v95, -v46
	v_fmac_f32_e32 v112, v50, v95
	v_add_f32_e32 v45, v45, v47
	v_add_f32_e32 v44, v44, v111
	;; [unrolled: 6-line block ×12, first 2 shown]
	s_waitcnt lgkmcnt(0)
	v_mul_f32_e32 v46, v74, v91
	s_waitcnt vmcnt(4)
	v_fma_f32 v47, v71, v106, -v47
	v_mul_f32_e32 v124, v73, v91
	v_add_f32_e32 v45, v45, v48
	v_fmac_f32_e32 v123, v72, v106
	v_add_f32_e32 v44, v44, v122
	v_mul_f32_e32 v48, v76, v92
	s_waitcnt vmcnt(3)
	v_fma_f32 v46, v73, v107, -v46
	v_add_f32_e32 v45, v45, v47
	v_mul_f32_e32 v125, v75, v92
	v_fmac_f32_e32 v124, v74, v107
	v_add_f32_e32 v44, v44, v123
	s_waitcnt vmcnt(2)
	v_fma_f32 v47, v75, v108, -v48
	v_add_f32_e32 v45, v45, v46
	v_fmac_f32_e32 v125, v76, v108
	v_add_f32_e32 v44, v44, v124
	v_add_f32_e32 v45, v45, v47
	;; [unrolled: 1-line block ×3, first 2 shown]
	s_waitcnt vmcnt(1)
	v_sub_f32_e32 v45, v109, v45
	s_waitcnt vmcnt(0)
	v_sub_f32_e32 v44, v110, v44
	buffer_store_dword v45, off, s[0:3], 0 offset:32
	buffer_store_dword v44, off, s[0:3], 0 offset:36
	v_cmpx_lt_u32_e32 3, v0
	s_cbranch_execz .LBB20_133
; %bb.132:
	s_clause 0x1
	buffer_load_dword v44, off, s[0:3], 0 offset:24
	buffer_load_dword v45, off, s[0:3], 0 offset:28
	v_mov_b32_e32 v46, 0
	buffer_store_dword v46, off, s[0:3], 0 offset:24
	buffer_store_dword v46, off, s[0:3], 0 offset:28
	s_waitcnt vmcnt(0)
	ds_write_b64 v43, v[44:45]
.LBB20_133:
	s_or_b32 exec_lo, exec_lo, s4
	s_waitcnt lgkmcnt(0)
	s_waitcnt_vscnt null, 0x0
	s_barrier
	buffer_gl0_inv
	s_clause 0x23
	buffer_load_dword v79, off, s[0:3], 0 offset:36
	buffer_load_dword v80, off, s[0:3], 0 offset:44
	;; [unrolled: 1-line block ×36, first 2 shown]
	v_mov_b32_e32 v44, 0
	ds_read_b128 v[45:48], v44 offset:208
	ds_read_b128 v[49:52], v44 offset:224
	;; [unrolled: 1-line block ×8, first 2 shown]
	ds_read_b64 v[77:78], v44 offset:336
	s_mov_b32 s4, exec_lo
	s_waitcnt vmcnt(35) lgkmcnt(8)
	v_mul_f32_e32 v115, v45, v79
	v_mul_f32_e32 v79, v46, v79
	s_waitcnt vmcnt(34)
	v_mul_f32_e32 v116, v47, v80
	v_mul_f32_e32 v80, v48, v80
	s_waitcnt vmcnt(33) lgkmcnt(7)
	v_mul_f32_e32 v117, v49, v81
	s_waitcnt vmcnt(32)
	v_mul_f32_e32 v118, v51, v82
	s_waitcnt vmcnt(31) lgkmcnt(6)
	v_mul_f32_e32 v119, v53, v83
	s_waitcnt vmcnt(30)
	;; [unrolled: 4-line block ×7, first 2 shown]
	v_fma_f32 v45, v45, v96, -v79
	v_fmac_f32_e32 v115, v46, v96
	v_mul_f32_e32 v46, v50, v81
	s_waitcnt vmcnt(17)
	v_fma_f32 v47, v47, v97, -v80
	v_fmac_f32_e32 v116, v48, v97
	v_add_f32_e32 v45, 0, v45
	v_add_f32_e32 v48, 0, v115
	v_mul_f32_e32 v79, v52, v82
	s_waitcnt vmcnt(16)
	v_fma_f32 v46, v49, v98, -v46
	v_fmac_f32_e32 v117, v50, v98
	v_add_f32_e32 v45, v45, v47
	v_add_f32_e32 v47, v48, v116
	;; [unrolled: 6-line block ×13, first 2 shown]
	v_mul_f32_e32 v49, v76, v94
	s_waitcnt vmcnt(4)
	v_fma_f32 v47, v73, v110, -v47
	v_mul_f32_e32 v130, v75, v94
	v_add_f32_e32 v45, v45, v48
	v_fmac_f32_e32 v129, v74, v110
	v_add_f32_e32 v46, v46, v128
	s_waitcnt lgkmcnt(0)
	v_mul_f32_e32 v48, v78, v95
	s_waitcnt vmcnt(3)
	v_fma_f32 v49, v75, v111, -v49
	v_add_f32_e32 v45, v45, v47
	v_mul_f32_e32 v131, v77, v95
	v_fmac_f32_e32 v130, v76, v111
	v_add_f32_e32 v46, v46, v129
	s_waitcnt vmcnt(2)
	v_fma_f32 v47, v77, v112, -v48
	v_add_f32_e32 v45, v45, v49
	v_fmac_f32_e32 v131, v78, v112
	v_add_f32_e32 v46, v46, v130
	v_add_f32_e32 v45, v45, v47
	;; [unrolled: 1-line block ×3, first 2 shown]
	s_waitcnt vmcnt(1)
	v_sub_f32_e32 v45, v113, v45
	s_waitcnt vmcnt(0)
	v_sub_f32_e32 v46, v114, v46
	buffer_store_dword v45, off, s[0:3], 0 offset:24
	buffer_store_dword v46, off, s[0:3], 0 offset:28
	v_cmpx_lt_u32_e32 2, v0
	s_cbranch_execz .LBB20_135
; %bb.134:
	s_clause 0x1
	buffer_load_dword v45, off, s[0:3], 0 offset:16
	buffer_load_dword v46, off, s[0:3], 0 offset:20
	buffer_store_dword v44, off, s[0:3], 0 offset:16
	buffer_store_dword v44, off, s[0:3], 0 offset:20
	s_waitcnt vmcnt(0)
	ds_write_b64 v43, v[45:46]
.LBB20_135:
	s_or_b32 exec_lo, exec_lo, s4
	s_waitcnt lgkmcnt(0)
	s_waitcnt_vscnt null, 0x0
	s_barrier
	buffer_gl0_inv
	s_clause 0x25
	buffer_load_dword v81, off, s[0:3], 0 offset:28
	buffer_load_dword v82, off, s[0:3], 0 offset:36
	;; [unrolled: 1-line block ×38, first 2 shown]
	ds_read2_b64 v[45:48], v44 offset0:25 offset1:26
	ds_read2_b64 v[49:52], v44 offset0:27 offset1:28
	;; [unrolled: 1-line block ×9, first 2 shown]
	s_mov_b32 s4, exec_lo
	s_waitcnt vmcnt(37) lgkmcnt(8)
	v_mul_f32_e32 v44, v45, v81
	v_mul_f32_e32 v81, v46, v81
	s_waitcnt vmcnt(36)
	v_mul_f32_e32 v119, v47, v82
	v_mul_f32_e32 v82, v48, v82
	s_waitcnt vmcnt(35) lgkmcnt(7)
	v_mul_f32_e32 v120, v49, v83
	s_waitcnt vmcnt(34)
	v_mul_f32_e32 v121, v51, v84
	s_waitcnt vmcnt(33) lgkmcnt(6)
	v_mul_f32_e32 v122, v53, v85
	s_waitcnt vmcnt(32)
	;; [unrolled: 4-line block ×7, first 2 shown]
	v_mul_f32_e32 v133, v75, v96
	s_waitcnt vmcnt(19)
	v_fma_f32 v45, v45, v99, -v81
	v_fmac_f32_e32 v44, v46, v99
	v_mul_f32_e32 v46, v50, v83
	s_waitcnt vmcnt(18)
	v_fma_f32 v47, v47, v100, -v82
	v_fmac_f32_e32 v119, v48, v100
	v_add_f32_e32 v45, 0, v45
	v_add_f32_e32 v44, 0, v44
	v_mul_f32_e32 v48, v52, v84
	s_waitcnt vmcnt(17)
	v_fma_f32 v46, v49, v101, -v46
	v_fmac_f32_e32 v120, v50, v101
	v_add_f32_e32 v45, v45, v47
	v_add_f32_e32 v44, v44, v119
	v_mul_f32_e32 v47, v54, v85
	s_waitcnt vmcnt(16)
	v_fma_f32 v48, v51, v102, -v48
	v_fmac_f32_e32 v121, v52, v102
	v_add_f32_e32 v45, v45, v46
	v_add_f32_e32 v44, v44, v120
	v_mul_f32_e32 v46, v56, v86
	s_waitcnt vmcnt(15)
	v_fma_f32 v47, v53, v103, -v47
	v_fmac_f32_e32 v122, v54, v103
	v_add_f32_e32 v45, v45, v48
	v_add_f32_e32 v44, v44, v121
	v_mul_f32_e32 v48, v58, v87
	s_waitcnt vmcnt(14)
	v_fma_f32 v46, v55, v104, -v46
	v_fmac_f32_e32 v123, v56, v104
	v_add_f32_e32 v45, v45, v47
	v_add_f32_e32 v44, v44, v122
	v_mul_f32_e32 v47, v60, v88
	s_waitcnt vmcnt(13)
	v_fma_f32 v48, v57, v105, -v48
	v_fmac_f32_e32 v124, v58, v105
	v_add_f32_e32 v45, v45, v46
	v_add_f32_e32 v44, v44, v123
	v_mul_f32_e32 v46, v62, v89
	s_waitcnt vmcnt(12)
	v_fma_f32 v47, v59, v106, -v47
	v_fmac_f32_e32 v125, v60, v106
	v_add_f32_e32 v45, v45, v48
	v_add_f32_e32 v44, v44, v124
	v_mul_f32_e32 v48, v64, v90
	s_waitcnt vmcnt(11)
	v_fma_f32 v46, v61, v107, -v46
	v_fmac_f32_e32 v126, v62, v107
	v_add_f32_e32 v45, v45, v47
	v_add_f32_e32 v44, v44, v125
	v_mul_f32_e32 v47, v66, v91
	s_waitcnt vmcnt(10)
	v_fma_f32 v48, v63, v108, -v48
	v_fmac_f32_e32 v127, v64, v108
	v_add_f32_e32 v45, v45, v46
	v_add_f32_e32 v44, v44, v126
	v_mul_f32_e32 v46, v68, v92
	s_waitcnt vmcnt(9)
	v_fma_f32 v47, v65, v109, -v47
	v_fmac_f32_e32 v128, v66, v109
	v_add_f32_e32 v45, v45, v48
	v_add_f32_e32 v44, v44, v127
	v_mul_f32_e32 v48, v70, v93
	s_waitcnt vmcnt(8)
	v_fma_f32 v46, v67, v110, -v46
	v_fmac_f32_e32 v129, v68, v110
	v_add_f32_e32 v45, v45, v47
	v_add_f32_e32 v44, v44, v128
	v_mul_f32_e32 v47, v72, v94
	s_waitcnt vmcnt(7)
	v_fma_f32 v48, v69, v111, -v48
	v_fmac_f32_e32 v130, v70, v111
	v_add_f32_e32 v45, v45, v46
	v_add_f32_e32 v44, v44, v129
	v_mul_f32_e32 v46, v74, v95
	s_waitcnt vmcnt(6)
	v_fma_f32 v47, v71, v112, -v47
	v_fmac_f32_e32 v131, v72, v112
	v_add_f32_e32 v45, v45, v48
	v_add_f32_e32 v44, v44, v130
	v_mul_f32_e32 v48, v76, v96
	s_waitcnt vmcnt(5)
	v_fma_f32 v46, v73, v113, -v46
	v_fmac_f32_e32 v132, v74, v113
	v_add_f32_e32 v45, v45, v47
	v_add_f32_e32 v44, v44, v131
	s_waitcnt lgkmcnt(0)
	v_mul_f32_e32 v47, v78, v97
	s_waitcnt vmcnt(4)
	v_fma_f32 v48, v75, v114, -v48
	v_mul_f32_e32 v134, v77, v97
	v_add_f32_e32 v45, v45, v46
	v_fmac_f32_e32 v133, v76, v114
	v_add_f32_e32 v44, v44, v132
	v_mul_f32_e32 v46, v80, v98
	s_waitcnt vmcnt(3)
	v_fma_f32 v47, v77, v115, -v47
	v_add_f32_e32 v45, v45, v48
	v_mul_f32_e32 v135, v79, v98
	v_fmac_f32_e32 v134, v78, v115
	v_add_f32_e32 v44, v44, v133
	s_waitcnt vmcnt(2)
	v_fma_f32 v46, v79, v116, -v46
	v_add_f32_e32 v45, v45, v47
	v_fmac_f32_e32 v135, v80, v116
	v_add_f32_e32 v44, v44, v134
	v_add_f32_e32 v45, v45, v46
	;; [unrolled: 1-line block ×3, first 2 shown]
	s_waitcnt vmcnt(1)
	v_sub_f32_e32 v45, v117, v45
	s_waitcnt vmcnt(0)
	v_sub_f32_e32 v44, v118, v44
	buffer_store_dword v45, off, s[0:3], 0 offset:16
	buffer_store_dword v44, off, s[0:3], 0 offset:20
	v_cmpx_lt_u32_e32 1, v0
	s_cbranch_execz .LBB20_137
; %bb.136:
	s_clause 0x1
	buffer_load_dword v44, off, s[0:3], 0 offset:8
	buffer_load_dword v45, off, s[0:3], 0 offset:12
	v_mov_b32_e32 v46, 0
	buffer_store_dword v46, off, s[0:3], 0 offset:8
	buffer_store_dword v46, off, s[0:3], 0 offset:12
	s_waitcnt vmcnt(0)
	ds_write_b64 v43, v[44:45]
.LBB20_137:
	s_or_b32 exec_lo, exec_lo, s4
	s_waitcnt lgkmcnt(0)
	s_waitcnt_vscnt null, 0x0
	s_barrier
	buffer_gl0_inv
	s_clause 0x27
	buffer_load_dword v83, off, s[0:3], 0 offset:20
	buffer_load_dword v84, off, s[0:3], 0 offset:28
	;; [unrolled: 1-line block ×40, first 2 shown]
	v_mov_b32_e32 v44, 0
	ds_read_b128 v[45:48], v44 offset:192
	ds_read_b128 v[49:52], v44 offset:208
	;; [unrolled: 1-line block ×9, first 2 shown]
	ds_read_b64 v[81:82], v44 offset:336
	s_mov_b32 s4, exec_lo
	s_waitcnt vmcnt(39) lgkmcnt(9)
	v_mul_f32_e32 v123, v45, v83
	v_mul_f32_e32 v83, v46, v83
	s_waitcnt vmcnt(38)
	v_mul_f32_e32 v124, v47, v84
	v_mul_f32_e32 v84, v48, v84
	s_waitcnt vmcnt(37) lgkmcnt(8)
	v_mul_f32_e32 v125, v49, v85
	s_waitcnt vmcnt(36)
	v_mul_f32_e32 v126, v51, v86
	s_waitcnt vmcnt(35) lgkmcnt(7)
	v_mul_f32_e32 v127, v53, v87
	s_waitcnt vmcnt(34)
	;; [unrolled: 4-line block ×8, first 2 shown]
	v_fma_f32 v45, v45, v102, -v83
	v_fmac_f32_e32 v123, v46, v102
	v_mul_f32_e32 v46, v50, v85
	s_waitcnt vmcnt(19)
	v_fma_f32 v47, v47, v103, -v84
	v_fmac_f32_e32 v124, v48, v103
	v_add_f32_e32 v45, 0, v45
	v_add_f32_e32 v48, 0, v123
	v_mul_f32_e32 v83, v52, v86
	s_waitcnt vmcnt(18)
	v_fma_f32 v46, v49, v104, -v46
	v_fmac_f32_e32 v125, v50, v104
	v_add_f32_e32 v45, v45, v47
	v_add_f32_e32 v47, v48, v124
	;; [unrolled: 6-line block ×15, first 2 shown]
	v_mul_f32_e32 v47, v80, v100
	s_waitcnt vmcnt(4)
	v_fma_f32 v48, v77, v118, -v48
	v_mul_f32_e32 v140, v79, v100
	v_add_f32_e32 v45, v45, v49
	v_fmac_f32_e32 v139, v78, v118
	v_add_f32_e32 v46, v46, v138
	s_waitcnt lgkmcnt(0)
	v_mul_f32_e32 v49, v82, v101
	s_waitcnt vmcnt(3)
	v_fma_f32 v47, v79, v119, -v47
	v_add_f32_e32 v45, v45, v48
	v_mul_f32_e32 v141, v81, v101
	v_fmac_f32_e32 v140, v80, v119
	v_add_f32_e32 v46, v46, v139
	s_waitcnt vmcnt(2)
	v_fma_f32 v48, v81, v120, -v49
	v_add_f32_e32 v45, v45, v47
	v_fmac_f32_e32 v141, v82, v120
	v_add_f32_e32 v46, v46, v140
	v_add_f32_e32 v45, v45, v48
	;; [unrolled: 1-line block ×3, first 2 shown]
	s_waitcnt vmcnt(1)
	v_sub_f32_e32 v45, v121, v45
	s_waitcnt vmcnt(0)
	v_sub_f32_e32 v46, v122, v46
	buffer_store_dword v45, off, s[0:3], 0 offset:8
	buffer_store_dword v46, off, s[0:3], 0 offset:12
	v_cmpx_ne_u32_e32 0, v0
	s_cbranch_execz .LBB20_139
; %bb.138:
	s_clause 0x1
	buffer_load_dword v45, off, s[0:3], 0
	buffer_load_dword v46, off, s[0:3], 0 offset:4
	buffer_store_dword v44, off, s[0:3], 0
	buffer_store_dword v44, off, s[0:3], 0 offset:4
	s_waitcnt vmcnt(0)
	ds_write_b64 v43, v[45:46]
.LBB20_139:
	s_or_b32 exec_lo, exec_lo, s4
	s_waitcnt lgkmcnt(0)
	s_waitcnt_vscnt null, 0x0
	s_barrier
	buffer_gl0_inv
	s_clause 0x29
	buffer_load_dword v0, off, s[0:3], 0 offset:12
	buffer_load_dword v43, off, s[0:3], 0 offset:20
	;; [unrolled: 1-line block ×40, first 2 shown]
	buffer_load_dword v123, off, s[0:3], 0
	buffer_load_dword v124, off, s[0:3], 0 offset:4
	ds_read2_b64 v[45:48], v44 offset0:23 offset1:24
	ds_read2_b64 v[49:52], v44 offset0:25 offset1:26
	;; [unrolled: 1-line block ×10, first 2 shown]
	s_and_b32 vcc_lo, exec_lo, s22
	s_waitcnt vmcnt(41) lgkmcnt(9)
	v_mul_f32_e32 v44, v45, v0
	v_mul_f32_e32 v0, v46, v0
	s_waitcnt vmcnt(40)
	v_mul_f32_e32 v125, v47, v43
	v_mul_f32_e32 v43, v48, v43
	s_waitcnt vmcnt(39) lgkmcnt(8)
	v_mul_f32_e32 v126, v49, v85
	s_waitcnt vmcnt(38)
	v_mul_f32_e32 v127, v51, v86
	s_waitcnt vmcnt(37) lgkmcnt(7)
	v_mul_f32_e32 v128, v53, v87
	s_waitcnt vmcnt(36)
	;; [unrolled: 4-line block ×8, first 2 shown]
	v_mul_f32_e32 v141, v79, v100
	s_waitcnt vmcnt(21)
	v_fma_f32 v0, v45, v103, -v0
	v_fmac_f32_e32 v44, v46, v103
	v_mul_f32_e32 v45, v50, v85
	s_waitcnt vmcnt(20)
	v_fma_f32 v43, v47, v104, -v43
	v_fmac_f32_e32 v125, v48, v104
	v_add_f32_e32 v0, 0, v0
	v_add_f32_e32 v44, 0, v44
	v_mul_f32_e32 v46, v52, v86
	s_waitcnt vmcnt(19)
	v_fma_f32 v45, v49, v105, -v45
	v_fmac_f32_e32 v126, v50, v105
	v_add_f32_e32 v0, v0, v43
	v_add_f32_e32 v43, v44, v125
	;; [unrolled: 6-line block ×16, first 2 shown]
	s_waitcnt lgkmcnt(0)
	v_mul_f32_e32 v46, v82, v101
	s_waitcnt vmcnt(4)
	v_fma_f32 v45, v79, v120, -v45
	v_mul_f32_e32 v142, v81, v101
	v_add_f32_e32 v0, v0, v44
	v_fmac_f32_e32 v141, v80, v120
	v_add_f32_e32 v43, v43, v140
	v_mul_f32_e32 v44, v84, v102
	s_waitcnt vmcnt(3)
	v_fma_f32 v46, v81, v121, -v46
	v_add_f32_e32 v0, v0, v45
	v_mul_f32_e32 v143, v83, v102
	v_fmac_f32_e32 v142, v82, v121
	v_add_f32_e32 v43, v43, v141
	s_waitcnt vmcnt(2)
	v_fma_f32 v44, v83, v122, -v44
	v_add_f32_e32 v0, v0, v46
	v_fmac_f32_e32 v143, v84, v122
	v_add_f32_e32 v43, v43, v142
	v_add_f32_e32 v0, v0, v44
	;; [unrolled: 1-line block ×3, first 2 shown]
	s_waitcnt vmcnt(1)
	v_sub_f32_e32 v0, v123, v0
	s_waitcnt vmcnt(0)
	v_sub_f32_e32 v43, v124, v43
	buffer_store_dword v0, off, s[0:3], 0
	buffer_store_dword v43, off, s[0:3], 0 offset:4
	s_cbranch_vccz .LBB20_180
; %bb.140:
	v_mov_b32_e32 v0, 0
	global_load_dword v43, v0, s[20:21] offset:76
	s_waitcnt vmcnt(0)
	v_add_nc_u32_e32 v43, -1, v43
	v_cmp_ne_u32_e32 vcc_lo, 19, v43
	s_cbranch_vccz .LBB20_142
; %bb.141:
	v_lshlrev_b32_e32 v43, 3, v43
	s_clause 0x3
	buffer_load_dword v44, v43, s[0:3], 0 offen
	buffer_load_dword v45, v43, s[0:3], 0 offen offset:4
	buffer_load_dword v46, off, s[0:3], 0 offset:152
	buffer_load_dword v47, off, s[0:3], 0 offset:156
	s_waitcnt vmcnt(3)
	buffer_store_dword v44, off, s[0:3], 0 offset:152
	s_waitcnt vmcnt(2)
	buffer_store_dword v45, off, s[0:3], 0 offset:156
	s_waitcnt vmcnt(1)
	buffer_store_dword v46, v43, s[0:3], 0 offen
	s_waitcnt vmcnt(0)
	buffer_store_dword v47, v43, s[0:3], 0 offen offset:4
.LBB20_142:
	global_load_dword v0, v0, s[20:21] offset:72
	s_waitcnt vmcnt(0)
	v_add_nc_u32_e32 v0, -1, v0
	v_cmp_eq_u32_e32 vcc_lo, 18, v0
	s_cbranch_vccnz .LBB20_144
; %bb.143:
	v_lshlrev_b32_e32 v0, 3, v0
	s_clause 0x3
	buffer_load_dword v43, v0, s[0:3], 0 offen
	buffer_load_dword v44, v0, s[0:3], 0 offen offset:4
	buffer_load_dword v45, off, s[0:3], 0 offset:148
	buffer_load_dword v46, off, s[0:3], 0 offset:144
	s_waitcnt vmcnt(3)
	buffer_store_dword v43, off, s[0:3], 0 offset:144
	s_waitcnt vmcnt(2)
	buffer_store_dword v44, off, s[0:3], 0 offset:148
	s_waitcnt vmcnt(1)
	buffer_store_dword v45, v0, s[0:3], 0 offen offset:4
	s_waitcnt vmcnt(0)
	buffer_store_dword v46, v0, s[0:3], 0 offen
.LBB20_144:
	v_mov_b32_e32 v0, 0
	global_load_dword v43, v0, s[20:21] offset:68
	s_waitcnt vmcnt(0)
	v_add_nc_u32_e32 v43, -1, v43
	v_cmp_eq_u32_e32 vcc_lo, 17, v43
	s_cbranch_vccnz .LBB20_146
; %bb.145:
	v_lshlrev_b32_e32 v43, 3, v43
	s_clause 0x3
	buffer_load_dword v44, v43, s[0:3], 0 offen
	buffer_load_dword v45, v43, s[0:3], 0 offen offset:4
	buffer_load_dword v46, off, s[0:3], 0 offset:136
	buffer_load_dword v47, off, s[0:3], 0 offset:140
	s_waitcnt vmcnt(3)
	buffer_store_dword v44, off, s[0:3], 0 offset:136
	s_waitcnt vmcnt(2)
	buffer_store_dword v45, off, s[0:3], 0 offset:140
	s_waitcnt vmcnt(1)
	buffer_store_dword v46, v43, s[0:3], 0 offen
	s_waitcnt vmcnt(0)
	buffer_store_dword v47, v43, s[0:3], 0 offen offset:4
.LBB20_146:
	global_load_dword v0, v0, s[20:21] offset:64
	s_waitcnt vmcnt(0)
	v_add_nc_u32_e32 v0, -1, v0
	v_cmp_eq_u32_e32 vcc_lo, 16, v0
	s_cbranch_vccnz .LBB20_148
; %bb.147:
	v_lshlrev_b32_e32 v0, 3, v0
	s_clause 0x3
	buffer_load_dword v43, v0, s[0:3], 0 offen
	buffer_load_dword v44, v0, s[0:3], 0 offen offset:4
	buffer_load_dword v45, off, s[0:3], 0 offset:132
	buffer_load_dword v46, off, s[0:3], 0 offset:128
	s_waitcnt vmcnt(3)
	buffer_store_dword v43, off, s[0:3], 0 offset:128
	s_waitcnt vmcnt(2)
	buffer_store_dword v44, off, s[0:3], 0 offset:132
	s_waitcnt vmcnt(1)
	buffer_store_dword v45, v0, s[0:3], 0 offen offset:4
	s_waitcnt vmcnt(0)
	buffer_store_dword v46, v0, s[0:3], 0 offen
.LBB20_148:
	v_mov_b32_e32 v0, 0
	global_load_dword v43, v0, s[20:21] offset:60
	s_waitcnt vmcnt(0)
	v_add_nc_u32_e32 v43, -1, v43
	v_cmp_eq_u32_e32 vcc_lo, 15, v43
	s_cbranch_vccnz .LBB20_150
; %bb.149:
	v_lshlrev_b32_e32 v43, 3, v43
	s_clause 0x3
	buffer_load_dword v44, v43, s[0:3], 0 offen
	buffer_load_dword v45, v43, s[0:3], 0 offen offset:4
	buffer_load_dword v46, off, s[0:3], 0 offset:120
	buffer_load_dword v47, off, s[0:3], 0 offset:124
	s_waitcnt vmcnt(3)
	buffer_store_dword v44, off, s[0:3], 0 offset:120
	s_waitcnt vmcnt(2)
	buffer_store_dword v45, off, s[0:3], 0 offset:124
	s_waitcnt vmcnt(1)
	buffer_store_dword v46, v43, s[0:3], 0 offen
	s_waitcnt vmcnt(0)
	buffer_store_dword v47, v43, s[0:3], 0 offen offset:4
.LBB20_150:
	;; [unrolled: 43-line block ×9, first 2 shown]
	global_load_dword v0, v0, s[20:21]
	s_waitcnt vmcnt(0)
	v_add_nc_u32_e32 v0, -1, v0
	v_cmp_eq_u32_e32 vcc_lo, 0, v0
	s_cbranch_vccnz .LBB20_180
; %bb.179:
	v_lshlrev_b32_e32 v0, 3, v0
	s_clause 0x3
	buffer_load_dword v43, v0, s[0:3], 0 offen
	buffer_load_dword v44, v0, s[0:3], 0 offen offset:4
	buffer_load_dword v45, off, s[0:3], 0 offset:4
	buffer_load_dword v46, off, s[0:3], 0
	s_waitcnt vmcnt(3)
	buffer_store_dword v43, off, s[0:3], 0
	s_waitcnt vmcnt(2)
	buffer_store_dword v44, off, s[0:3], 0 offset:4
	s_waitcnt vmcnt(1)
	buffer_store_dword v45, v0, s[0:3], 0 offen offset:4
	s_waitcnt vmcnt(0)
	buffer_store_dword v46, v0, s[0:3], 0 offen
.LBB20_180:
	s_clause 0x29
	buffer_load_dword v43, off, s[0:3], 0
	buffer_load_dword v44, off, s[0:3], 0 offset:4
	buffer_load_dword v45, off, s[0:3], 0 offset:8
	;; [unrolled: 1-line block ×41, first 2 shown]
	s_waitcnt vmcnt(40)
	global_store_dwordx2 v[1:2], v[43:44], off
	s_waitcnt vmcnt(38)
	global_store_dwordx2 v[3:4], v[45:46], off
	;; [unrolled: 2-line block ×9, first 2 shown]
	global_store_dwordx2 v[19:20], v[61:62], off
	global_store_dwordx2 v[21:22], v[63:64], off
	;; [unrolled: 1-line block ×3, first 2 shown]
	s_waitcnt vmcnt(16)
	global_store_dwordx2 v[25:26], v[67:68], off
	s_waitcnt vmcnt(14)
	global_store_dwordx2 v[27:28], v[69:70], off
	s_waitcnt vmcnt(12)
	global_store_dwordx2 v[29:30], v[71:72], off
	s_waitcnt vmcnt(10)
	global_store_dwordx2 v[31:32], v[73:74], off
	s_waitcnt vmcnt(8)
	global_store_dwordx2 v[33:34], v[75:76], off
	s_waitcnt vmcnt(6)
	global_store_dwordx2 v[35:36], v[77:78], off
	s_waitcnt vmcnt(4)
	global_store_dwordx2 v[37:38], v[79:80], off
	s_waitcnt vmcnt(2)
	global_store_dwordx2 v[39:40], v[81:82], off
	s_waitcnt vmcnt(0)
	global_store_dwordx2 v[41:42], v[83:84], off
	s_endpgm
	.section	.rodata,"a",@progbits
	.p2align	6, 0x0
	.amdhsa_kernel _ZN9rocsolver6v33100L18getri_kernel_smallILi21E19rocblas_complex_numIfEPS3_EEvT1_iilPiilS6_bb
		.amdhsa_group_segment_fixed_size 344
		.amdhsa_private_segment_fixed_size 176
		.amdhsa_kernarg_size 60
		.amdhsa_user_sgpr_count 6
		.amdhsa_user_sgpr_private_segment_buffer 1
		.amdhsa_user_sgpr_dispatch_ptr 0
		.amdhsa_user_sgpr_queue_ptr 0
		.amdhsa_user_sgpr_kernarg_segment_ptr 1
		.amdhsa_user_sgpr_dispatch_id 0
		.amdhsa_user_sgpr_flat_scratch_init 0
		.amdhsa_user_sgpr_private_segment_size 0
		.amdhsa_wavefront_size32 1
		.amdhsa_uses_dynamic_stack 0
		.amdhsa_system_sgpr_private_segment_wavefront_offset 1
		.amdhsa_system_sgpr_workgroup_id_x 1
		.amdhsa_system_sgpr_workgroup_id_y 0
		.amdhsa_system_sgpr_workgroup_id_z 0
		.amdhsa_system_sgpr_workgroup_info 0
		.amdhsa_system_vgpr_workitem_id 0
		.amdhsa_next_free_vgpr 144
		.amdhsa_next_free_sgpr 23
		.amdhsa_reserve_vcc 1
		.amdhsa_reserve_flat_scratch 0
		.amdhsa_float_round_mode_32 0
		.amdhsa_float_round_mode_16_64 0
		.amdhsa_float_denorm_mode_32 3
		.amdhsa_float_denorm_mode_16_64 3
		.amdhsa_dx10_clamp 1
		.amdhsa_ieee_mode 1
		.amdhsa_fp16_overflow 0
		.amdhsa_workgroup_processor_mode 1
		.amdhsa_memory_ordered 1
		.amdhsa_forward_progress 1
		.amdhsa_shared_vgpr_count 0
		.amdhsa_exception_fp_ieee_invalid_op 0
		.amdhsa_exception_fp_denorm_src 0
		.amdhsa_exception_fp_ieee_div_zero 0
		.amdhsa_exception_fp_ieee_overflow 0
		.amdhsa_exception_fp_ieee_underflow 0
		.amdhsa_exception_fp_ieee_inexact 0
		.amdhsa_exception_int_div_zero 0
	.end_amdhsa_kernel
	.section	.text._ZN9rocsolver6v33100L18getri_kernel_smallILi21E19rocblas_complex_numIfEPS3_EEvT1_iilPiilS6_bb,"axG",@progbits,_ZN9rocsolver6v33100L18getri_kernel_smallILi21E19rocblas_complex_numIfEPS3_EEvT1_iilPiilS6_bb,comdat
.Lfunc_end20:
	.size	_ZN9rocsolver6v33100L18getri_kernel_smallILi21E19rocblas_complex_numIfEPS3_EEvT1_iilPiilS6_bb, .Lfunc_end20-_ZN9rocsolver6v33100L18getri_kernel_smallILi21E19rocblas_complex_numIfEPS3_EEvT1_iilPiilS6_bb
                                        ; -- End function
	.set _ZN9rocsolver6v33100L18getri_kernel_smallILi21E19rocblas_complex_numIfEPS3_EEvT1_iilPiilS6_bb.num_vgpr, 144
	.set _ZN9rocsolver6v33100L18getri_kernel_smallILi21E19rocblas_complex_numIfEPS3_EEvT1_iilPiilS6_bb.num_agpr, 0
	.set _ZN9rocsolver6v33100L18getri_kernel_smallILi21E19rocblas_complex_numIfEPS3_EEvT1_iilPiilS6_bb.numbered_sgpr, 23
	.set _ZN9rocsolver6v33100L18getri_kernel_smallILi21E19rocblas_complex_numIfEPS3_EEvT1_iilPiilS6_bb.num_named_barrier, 0
	.set _ZN9rocsolver6v33100L18getri_kernel_smallILi21E19rocblas_complex_numIfEPS3_EEvT1_iilPiilS6_bb.private_seg_size, 176
	.set _ZN9rocsolver6v33100L18getri_kernel_smallILi21E19rocblas_complex_numIfEPS3_EEvT1_iilPiilS6_bb.uses_vcc, 1
	.set _ZN9rocsolver6v33100L18getri_kernel_smallILi21E19rocblas_complex_numIfEPS3_EEvT1_iilPiilS6_bb.uses_flat_scratch, 0
	.set _ZN9rocsolver6v33100L18getri_kernel_smallILi21E19rocblas_complex_numIfEPS3_EEvT1_iilPiilS6_bb.has_dyn_sized_stack, 0
	.set _ZN9rocsolver6v33100L18getri_kernel_smallILi21E19rocblas_complex_numIfEPS3_EEvT1_iilPiilS6_bb.has_recursion, 0
	.set _ZN9rocsolver6v33100L18getri_kernel_smallILi21E19rocblas_complex_numIfEPS3_EEvT1_iilPiilS6_bb.has_indirect_call, 0
	.section	.AMDGPU.csdata,"",@progbits
; Kernel info:
; codeLenInByte = 24804
; TotalNumSgprs: 25
; NumVgprs: 144
; ScratchSize: 176
; MemoryBound: 0
; FloatMode: 240
; IeeeMode: 1
; LDSByteSize: 344 bytes/workgroup (compile time only)
; SGPRBlocks: 0
; VGPRBlocks: 17
; NumSGPRsForWavesPerEU: 25
; NumVGPRsForWavesPerEU: 144
; Occupancy: 7
; WaveLimiterHint : 1
; COMPUTE_PGM_RSRC2:SCRATCH_EN: 1
; COMPUTE_PGM_RSRC2:USER_SGPR: 6
; COMPUTE_PGM_RSRC2:TRAP_HANDLER: 0
; COMPUTE_PGM_RSRC2:TGID_X_EN: 1
; COMPUTE_PGM_RSRC2:TGID_Y_EN: 0
; COMPUTE_PGM_RSRC2:TGID_Z_EN: 0
; COMPUTE_PGM_RSRC2:TIDIG_COMP_CNT: 0
	.section	.text._ZN9rocsolver6v33100L18getri_kernel_smallILi22E19rocblas_complex_numIfEPS3_EEvT1_iilPiilS6_bb,"axG",@progbits,_ZN9rocsolver6v33100L18getri_kernel_smallILi22E19rocblas_complex_numIfEPS3_EEvT1_iilPiilS6_bb,comdat
	.globl	_ZN9rocsolver6v33100L18getri_kernel_smallILi22E19rocblas_complex_numIfEPS3_EEvT1_iilPiilS6_bb ; -- Begin function _ZN9rocsolver6v33100L18getri_kernel_smallILi22E19rocblas_complex_numIfEPS3_EEvT1_iilPiilS6_bb
	.p2align	8
	.type	_ZN9rocsolver6v33100L18getri_kernel_smallILi22E19rocblas_complex_numIfEPS3_EEvT1_iilPiilS6_bb,@function
_ZN9rocsolver6v33100L18getri_kernel_smallILi22E19rocblas_complex_numIfEPS3_EEvT1_iilPiilS6_bb: ; @_ZN9rocsolver6v33100L18getri_kernel_smallILi22E19rocblas_complex_numIfEPS3_EEvT1_iilPiilS6_bb
; %bb.0:
	s_add_u32 s0, s0, s7
	s_addc_u32 s1, s1, 0
	s_mov_b32 s7, exec_lo
	v_cmpx_gt_u32_e32 22, v0
	s_cbranch_execz .LBB21_102
; %bb.1:
	s_clause 0x2
	s_load_dword s7, s[4:5], 0x38
	s_load_dwordx4 s[16:19], s[4:5], 0x10
	s_load_dwordx4 s[8:11], s[4:5], 0x28
                                        ; implicit-def: $sgpr20_sgpr21
	s_waitcnt lgkmcnt(0)
	s_bitcmp1_b32 s7, 8
	s_cselect_b32 s22, -1, 0
	s_bfe_u32 s12, s7, 0x10008
	s_ashr_i32 s7, s6, 31
	s_cmp_eq_u32 s12, 0
	s_cbranch_scc1 .LBB21_3
; %bb.2:
	s_load_dword s12, s[4:5], 0x20
	s_mul_i32 s13, s8, s7
	s_mul_hi_u32 s14, s8, s6
	s_mul_i32 s9, s9, s6
	s_add_i32 s13, s14, s13
	s_mul_i32 s8, s8, s6
	s_add_i32 s9, s13, s9
	s_lshl_b64 s[8:9], s[8:9], 2
	s_waitcnt lgkmcnt(0)
	s_ashr_i32 s13, s12, 31
	s_add_u32 s14, s18, s8
	s_addc_u32 s15, s19, s9
	s_lshl_b64 s[8:9], s[12:13], 2
	s_add_u32 s20, s14, s8
	s_addc_u32 s21, s15, s9
.LBB21_3:
	s_clause 0x1
	s_load_dwordx4 s[12:15], s[4:5], 0x0
	s_load_dword s8, s[4:5], 0x38
	s_mul_i32 s4, s16, s7
	s_mul_hi_u32 s5, s16, s6
	s_mul_i32 s9, s17, s6
	s_add_i32 s5, s5, s4
	s_mul_i32 s4, s16, s6
	s_add_i32 s5, s5, s9
	v_lshlrev_b32_e32 v47, 3, v0
	s_lshl_b64 s[4:5], s[4:5], 3
	s_waitcnt lgkmcnt(0)
	v_add3_u32 v3, s15, s15, v0
	s_ashr_i32 s17, s14, 31
	s_mov_b32 s16, s14
	s_add_u32 s9, s12, s4
	s_addc_u32 s13, s13, s5
	v_add_nc_u32_e32 v5, s15, v3
	s_lshl_b64 s[4:5], s[16:17], 3
	v_ashrrev_i32_e32 v4, 31, v3
	s_add_u32 s4, s9, s4
	s_addc_u32 s5, s13, s5
	v_add_nc_u32_e32 v9, s15, v5
	v_ashrrev_i32_e32 v6, 31, v5
	v_add_co_u32 v1, s9, s4, v47
	s_mov_b32 s12, s15
	s_ashr_i32 s13, s15, 31
	v_lshlrev_b64 v[7:8], 3, v[3:4]
	v_add_nc_u32_e32 v13, s15, v9
	v_add_co_ci_u32_e64 v2, null, s5, 0, s9
	s_lshl_b64 s[12:13], s[12:13], 3
	v_lshlrev_b64 v[11:12], 3, v[5:6]
	v_add_co_u32 v3, vcc_lo, v1, s12
	v_ashrrev_i32_e32 v14, 31, v13
	v_add_nc_u32_e32 v15, s15, v13
	v_add_co_ci_u32_e64 v4, null, s13, v2, vcc_lo
	v_add_co_u32 v5, vcc_lo, s4, v7
	v_add_co_ci_u32_e64 v6, null, s5, v8, vcc_lo
	v_add_co_u32 v7, vcc_lo, s4, v11
	v_add_co_ci_u32_e64 v8, null, s5, v12, vcc_lo
	v_lshlrev_b64 v[11:12], 3, v[13:14]
	v_add_nc_u32_e32 v13, s15, v15
	v_ashrrev_i32_e32 v10, 31, v9
	v_ashrrev_i32_e32 v16, 31, v15
	global_load_dwordx2 v[45:46], v47, s[4:5]
	s_bitcmp0_b32 s8, 0
	v_add_nc_u32_e32 v17, s15, v13
	v_lshlrev_b64 v[9:10], 3, v[9:10]
	v_ashrrev_i32_e32 v14, 31, v13
	v_lshlrev_b64 v[15:16], 3, v[15:16]
	v_add_nc_u32_e32 v21, s15, v17
	v_ashrrev_i32_e32 v18, 31, v17
	v_add_co_u32 v9, vcc_lo, s4, v9
	v_lshlrev_b64 v[19:20], 3, v[13:14]
	v_add_co_ci_u32_e64 v10, null, s5, v10, vcc_lo
	v_add_co_u32 v11, vcc_lo, s4, v11
	v_ashrrev_i32_e32 v22, 31, v21
	v_add_nc_u32_e32 v23, s15, v21
	v_add_co_ci_u32_e64 v12, null, s5, v12, vcc_lo
	v_add_co_u32 v13, vcc_lo, s4, v15
	v_add_co_ci_u32_e64 v14, null, s5, v16, vcc_lo
	v_add_co_u32 v15, vcc_lo, s4, v19
	v_add_co_ci_u32_e64 v16, null, s5, v20, vcc_lo
	v_lshlrev_b64 v[19:20], 3, v[21:22]
	v_add_nc_u32_e32 v21, s15, v23
	v_ashrrev_i32_e32 v24, 31, v23
	v_lshlrev_b64 v[17:18], 3, v[17:18]
	s_clause 0x4
	global_load_dwordx2 v[48:49], v[3:4], off
	global_load_dwordx2 v[50:51], v[5:6], off
	;; [unrolled: 1-line block ×5, first 2 shown]
	v_add_nc_u32_e32 v25, s15, v21
	v_ashrrev_i32_e32 v22, 31, v21
	v_lshlrev_b64 v[23:24], 3, v[23:24]
	v_add_co_u32 v17, vcc_lo, s4, v17
	v_add_nc_u32_e32 v29, s15, v25
	v_lshlrev_b64 v[27:28], 3, v[21:22]
	v_add_co_ci_u32_e64 v18, null, s5, v18, vcc_lo
	v_add_co_u32 v19, vcc_lo, s4, v19
	v_ashrrev_i32_e32 v30, 31, v29
	v_add_nc_u32_e32 v31, s15, v29
	v_add_co_ci_u32_e64 v20, null, s5, v20, vcc_lo
	v_add_co_u32 v21, vcc_lo, s4, v23
	v_add_co_ci_u32_e64 v22, null, s5, v24, vcc_lo
	v_add_co_u32 v23, vcc_lo, s4, v27
	v_add_co_ci_u32_e64 v24, null, s5, v28, vcc_lo
	v_lshlrev_b64 v[27:28], 3, v[29:30]
	v_add_nc_u32_e32 v29, s15, v31
	v_ashrrev_i32_e32 v26, 31, v25
	v_ashrrev_i32_e32 v32, 31, v31
	s_clause 0x4
	global_load_dwordx2 v[60:61], v[13:14], off
	global_load_dwordx2 v[62:63], v[15:16], off
	;; [unrolled: 1-line block ×5, first 2 shown]
	v_add_nc_u32_e32 v33, s15, v29
	v_lshlrev_b64 v[25:26], 3, v[25:26]
	v_ashrrev_i32_e32 v30, 31, v29
	v_lshlrev_b64 v[31:32], 3, v[31:32]
	v_add_nc_u32_e32 v37, s15, v33
	v_ashrrev_i32_e32 v34, 31, v33
	v_add_co_u32 v25, vcc_lo, s4, v25
	v_lshlrev_b64 v[35:36], 3, v[29:30]
	v_add_co_ci_u32_e64 v26, null, s5, v26, vcc_lo
	v_add_co_u32 v27, vcc_lo, s4, v27
	v_ashrrev_i32_e32 v38, 31, v37
	v_add_nc_u32_e32 v39, s15, v37
	v_add_co_ci_u32_e64 v28, null, s5, v28, vcc_lo
	v_add_co_u32 v29, vcc_lo, s4, v31
	v_add_co_ci_u32_e64 v30, null, s5, v32, vcc_lo
	v_add_co_u32 v31, vcc_lo, s4, v35
	v_add_co_ci_u32_e64 v32, null, s5, v36, vcc_lo
	v_lshlrev_b64 v[35:36], 3, v[37:38]
	v_add_nc_u32_e32 v37, s15, v39
	v_ashrrev_i32_e32 v40, 31, v39
	v_lshlrev_b64 v[33:34], 3, v[33:34]
	v_add_nc_u32_e32 v41, s15, v37
	v_ashrrev_i32_e32 v38, 31, v37
	v_lshlrev_b64 v[39:40], 3, v[39:40]
	v_add_co_u32 v33, vcc_lo, s4, v33
	v_add_nc_u32_e32 v58, s15, v41
	v_lshlrev_b64 v[43:44], 3, v[37:38]
	v_ashrrev_i32_e32 v42, 31, v41
	v_add_co_ci_u32_e64 v34, null, s5, v34, vcc_lo
	v_add_co_u32 v35, vcc_lo, s4, v35
	v_ashrrev_i32_e32 v59, 31, v58
	v_add_co_ci_u32_e64 v36, null, s5, v36, vcc_lo
	v_add_co_u32 v37, vcc_lo, s4, v39
	v_add_co_ci_u32_e64 v38, null, s5, v40, vcc_lo
	v_lshlrev_b64 v[41:42], 3, v[41:42]
	v_add_co_u32 v39, vcc_lo, s4, v43
	v_add_co_ci_u32_e64 v40, null, s5, v44, vcc_lo
	v_lshlrev_b64 v[43:44], 3, v[58:59]
	v_add_co_u32 v41, vcc_lo, s4, v41
	v_add_co_ci_u32_e64 v42, null, s5, v42, vcc_lo
	s_clause 0x3
	global_load_dwordx2 v[58:59], v[23:24], off
	global_load_dwordx2 v[70:71], v[25:26], off
	;; [unrolled: 1-line block ×4, first 2 shown]
	v_add_co_u32 v43, vcc_lo, s4, v43
	v_add_co_ci_u32_e64 v44, null, s5, v44, vcc_lo
	s_clause 0x6
	global_load_dwordx2 v[76:77], v[31:32], off
	global_load_dwordx2 v[78:79], v[33:34], off
	;; [unrolled: 1-line block ×7, first 2 shown]
	s_mov_b32 s5, -1
	s_waitcnt vmcnt(21)
	buffer_store_dword v46, off, s[0:3], 0 offset:4
	buffer_store_dword v45, off, s[0:3], 0
	s_waitcnt vmcnt(20)
	buffer_store_dword v49, off, s[0:3], 0 offset:12
	buffer_store_dword v48, off, s[0:3], 0 offset:8
	s_waitcnt vmcnt(19)
	buffer_store_dword v51, off, s[0:3], 0 offset:20
	buffer_store_dword v50, off, s[0:3], 0 offset:16
	;; [unrolled: 3-line block ×21, first 2 shown]
	s_cbranch_scc1 .LBB21_100
; %bb.4:
	v_cmp_eq_u32_e64 s4, 0, v0
	s_and_saveexec_b32 s5, s4
; %bb.5:
	v_mov_b32_e32 v45, 0
	ds_write_b32 v45, v45 offset:352
; %bb.6:
	s_or_b32 exec_lo, exec_lo, s5
	v_lshl_add_u32 v49, v0, 3, 0
	s_waitcnt lgkmcnt(0)
	s_waitcnt_vscnt null, 0x0
	s_barrier
	buffer_gl0_inv
	s_clause 0x1
	buffer_load_dword v45, v49, s[0:3], 0 offen
	buffer_load_dword v46, v49, s[0:3], 0 offen offset:4
	s_waitcnt vmcnt(1)
	v_cmp_eq_f32_e32 vcc_lo, 0, v45
	s_waitcnt vmcnt(0)
	v_cmp_eq_f32_e64 s5, 0, v46
	s_and_b32 s5, vcc_lo, s5
	s_and_saveexec_b32 s8, s5
	s_cbranch_execz .LBB21_10
; %bb.7:
	v_mov_b32_e32 v45, 0
	s_mov_b32 s9, 0
	ds_read_b32 v46, v45 offset:352
	s_waitcnt lgkmcnt(0)
	v_readfirstlane_b32 s5, v46
	v_add_nc_u32_e32 v46, 1, v0
	s_cmp_eq_u32 s5, 0
	v_cmp_gt_i32_e32 vcc_lo, s5, v46
	s_cselect_b32 s12, -1, 0
	s_or_b32 s12, s12, vcc_lo
	s_and_b32 exec_lo, exec_lo, s12
	s_cbranch_execz .LBB21_10
; %bb.8:
	v_mov_b32_e32 v48, s5
.LBB21_9:                               ; =>This Inner Loop Header: Depth=1
	ds_cmpst_rtn_b32 v48, v45, v48, v46 offset:352
	s_waitcnt lgkmcnt(0)
	v_cmp_ne_u32_e32 vcc_lo, 0, v48
	v_cmp_le_i32_e64 s5, v48, v46
	s_and_b32 s5, vcc_lo, s5
	s_and_b32 s5, exec_lo, s5
	s_or_b32 s9, s5, s9
	s_andn2_b32 exec_lo, exec_lo, s9
	s_cbranch_execnz .LBB21_9
.LBB21_10:
	s_or_b32 exec_lo, exec_lo, s8
	v_mov_b32_e32 v45, 0
	s_barrier
	buffer_gl0_inv
	ds_read_b32 v46, v45 offset:352
	s_and_saveexec_b32 s5, s4
	s_cbranch_execz .LBB21_12
; %bb.11:
	s_lshl_b64 s[8:9], s[6:7], 2
	s_add_u32 s8, s10, s8
	s_addc_u32 s9, s11, s9
	s_waitcnt lgkmcnt(0)
	global_store_dword v45, v46, s[8:9]
.LBB21_12:
	s_or_b32 exec_lo, exec_lo, s5
	s_waitcnt lgkmcnt(0)
	v_cmp_ne_u32_e32 vcc_lo, 0, v46
	s_mov_b32 s5, 0
	s_cbranch_vccnz .LBB21_100
; %bb.13:
	s_clause 0x1
	buffer_load_dword v46, v49, s[0:3], 0 offen
	buffer_load_dword v48, v49, s[0:3], 0 offen offset:4
                                        ; implicit-def: $vgpr51
                                        ; implicit-def: $vgpr50
                                        ; implicit-def: $vgpr45
	s_waitcnt vmcnt(0)
	v_cmp_ngt_f32_e64 s5, |v46|, |v48|
	s_and_saveexec_b32 s8, s5
	s_xor_b32 s5, exec_lo, s8
	s_cbranch_execz .LBB21_15
; %bb.14:
	v_div_scale_f32 v45, null, v48, v48, v46
	v_div_scale_f32 v52, vcc_lo, v46, v48, v46
	v_rcp_f32_e32 v50, v45
	v_fma_f32 v51, -v45, v50, 1.0
	v_fmac_f32_e32 v50, v51, v50
	v_mul_f32_e32 v51, v52, v50
	v_fma_f32 v53, -v45, v51, v52
	v_fmac_f32_e32 v51, v53, v50
	v_fma_f32 v45, -v45, v51, v52
	v_div_fmas_f32 v45, v45, v50, v51
	v_div_fixup_f32 v45, v45, v48, v46
	v_fmac_f32_e32 v48, v46, v45
	v_div_scale_f32 v46, null, v48, v48, 1.0
	v_rcp_f32_e32 v50, v46
	v_fma_f32 v51, -v46, v50, 1.0
	v_fmac_f32_e32 v50, v51, v50
	v_div_scale_f32 v51, vcc_lo, 1.0, v48, 1.0
	v_mul_f32_e32 v52, v51, v50
	v_fma_f32 v53, -v46, v52, v51
	v_fmac_f32_e32 v52, v53, v50
	v_fma_f32 v46, -v46, v52, v51
	v_div_fmas_f32 v46, v46, v50, v52
	v_div_fixup_f32 v46, v46, v48, 1.0
                                        ; implicit-def: $vgpr48
	v_mul_f32_e32 v51, v45, v46
	v_xor_b32_e32 v50, 0x80000000, v46
                                        ; implicit-def: $vgpr46
	v_xor_b32_e32 v45, 0x80000000, v51
.LBB21_15:
	s_andn2_saveexec_b32 s5, s5
	s_cbranch_execz .LBB21_17
; %bb.16:
	v_div_scale_f32 v45, null, v46, v46, v48
	v_div_scale_f32 v52, vcc_lo, v48, v46, v48
	v_rcp_f32_e32 v50, v45
	v_fma_f32 v51, -v45, v50, 1.0
	v_fmac_f32_e32 v50, v51, v50
	v_mul_f32_e32 v51, v52, v50
	v_fma_f32 v53, -v45, v51, v52
	v_fmac_f32_e32 v51, v53, v50
	v_fma_f32 v45, -v45, v51, v52
	v_div_fmas_f32 v45, v45, v50, v51
	v_div_fixup_f32 v50, v45, v46, v48
	v_fmac_f32_e32 v46, v48, v50
	v_div_scale_f32 v45, null, v46, v46, 1.0
	v_div_scale_f32 v52, vcc_lo, 1.0, v46, 1.0
	v_rcp_f32_e32 v48, v45
	v_fma_f32 v51, -v45, v48, 1.0
	v_fmac_f32_e32 v48, v51, v48
	v_mul_f32_e32 v51, v52, v48
	v_fma_f32 v53, -v45, v51, v52
	v_fmac_f32_e32 v51, v53, v48
	v_fma_f32 v45, -v45, v51, v52
	v_div_fmas_f32 v45, v45, v48, v51
	v_div_fixup_f32 v51, v45, v46, 1.0
	v_xor_b32_e32 v45, 0x80000000, v51
	v_mul_f32_e64 v50, v50, -v51
.LBB21_17:
	s_or_b32 exec_lo, exec_lo, s5
	buffer_store_dword v51, v49, s[0:3], 0 offen
	buffer_store_dword v50, v49, s[0:3], 0 offen offset:4
	s_clause 0x1
	buffer_load_dword v52, off, s[0:3], 0 offset:12
	buffer_load_dword v51, off, s[0:3], 0 offset:8
	v_xor_b32_e32 v46, 0x80000000, v50
	v_add_nc_u32_e32 v48, 0xb0, v47
	s_waitcnt vmcnt(0)
	ds_write2_b64 v47, v[45:46], v[51:52] offset1:22
	s_waitcnt lgkmcnt(0)
	s_waitcnt_vscnt null, 0x0
	s_barrier
	buffer_gl0_inv
	s_and_saveexec_b32 s5, s4
	s_cbranch_execz .LBB21_19
; %bb.18:
	s_clause 0x1
	buffer_load_dword v52, v49, s[0:3], 0 offen offset:4
	buffer_load_dword v53, v49, s[0:3], 0 offen
	ds_read_b64 v[45:46], v48
	v_mov_b32_e32 v50, 0
	ds_read_b64 v[50:51], v50 offset:8
	s_waitcnt vmcnt(1) lgkmcnt(1)
	v_mul_f32_e32 v54, v45, v52
	v_mul_f32_e32 v52, v46, v52
	s_waitcnt vmcnt(0)
	v_fmac_f32_e32 v54, v46, v53
	v_fma_f32 v45, v45, v53, -v52
	v_add_f32_e32 v46, 0, v54
	v_add_f32_e32 v45, 0, v45
	s_waitcnt lgkmcnt(0)
	v_mul_f32_e32 v52, v46, v51
	v_mul_f32_e32 v51, v45, v51
	v_fma_f32 v45, v45, v50, -v52
	v_fmac_f32_e32 v51, v46, v50
	buffer_store_dword v45, off, s[0:3], 0 offset:8
	buffer_store_dword v51, off, s[0:3], 0 offset:12
.LBB21_19:
	s_or_b32 exec_lo, exec_lo, s5
	s_waitcnt_vscnt null, 0x0
	s_barrier
	buffer_gl0_inv
	s_clause 0x1
	buffer_load_dword v45, off, s[0:3], 0 offset:16
	buffer_load_dword v46, off, s[0:3], 0 offset:20
	s_mov_b32 s5, exec_lo
	s_waitcnt vmcnt(0)
	ds_write_b64 v48, v[45:46]
	s_waitcnt lgkmcnt(0)
	s_barrier
	buffer_gl0_inv
	v_cmpx_gt_u32_e32 2, v0
	s_cbranch_execz .LBB21_23
; %bb.20:
	s_clause 0x1
	buffer_load_dword v50, v49, s[0:3], 0 offen offset:4
	buffer_load_dword v49, v49, s[0:3], 0 offen
	ds_read_b64 v[45:46], v48
	s_waitcnt vmcnt(1) lgkmcnt(0)
	v_mul_f32_e32 v51, v46, v50
	v_mul_f32_e32 v50, v45, v50
	s_waitcnt vmcnt(0)
	v_fma_f32 v45, v45, v49, -v51
	v_fmac_f32_e32 v50, v46, v49
	v_add_f32_e32 v46, 0, v45
	v_add_f32_e32 v45, 0, v50
	s_and_saveexec_b32 s8, s4
	s_cbranch_execz .LBB21_22
; %bb.21:
	s_clause 0x1
	buffer_load_dword v51, off, s[0:3], 0 offset:12
	buffer_load_dword v52, off, s[0:3], 0 offset:8
	v_mov_b32_e32 v49, 0
	ds_read_b64 v[49:50], v49 offset:184
	s_waitcnt vmcnt(1) lgkmcnt(0)
	v_mul_f32_e32 v53, v49, v51
	v_mul_f32_e32 v51, v50, v51
	s_waitcnt vmcnt(0)
	v_fmac_f32_e32 v53, v50, v52
	v_fma_f32 v49, v49, v52, -v51
	v_add_f32_e32 v45, v45, v53
	v_add_f32_e32 v46, v46, v49
.LBB21_22:
	s_or_b32 exec_lo, exec_lo, s8
	v_mov_b32_e32 v49, 0
	ds_read_b64 v[49:50], v49 offset:16
	s_waitcnt lgkmcnt(0)
	v_mul_f32_e32 v51, v45, v50
	v_mul_f32_e32 v50, v46, v50
	v_fma_f32 v46, v46, v49, -v51
	v_fmac_f32_e32 v50, v45, v49
	buffer_store_dword v46, off, s[0:3], 0 offset:16
	buffer_store_dword v50, off, s[0:3], 0 offset:20
.LBB21_23:
	s_or_b32 exec_lo, exec_lo, s5
	s_waitcnt_vscnt null, 0x0
	s_barrier
	buffer_gl0_inv
	s_clause 0x1
	buffer_load_dword v49, off, s[0:3], 0 offset:24
	buffer_load_dword v50, off, s[0:3], 0 offset:28
	v_add_nc_u32_e32 v45, -1, v0
	s_mov_b32 s4, exec_lo
	s_waitcnt vmcnt(0)
	ds_write_b64 v48, v[49:50]
	s_waitcnt lgkmcnt(0)
	s_barrier
	buffer_gl0_inv
	v_cmpx_gt_u32_e32 3, v0
	s_cbranch_execz .LBB21_27
; %bb.24:
	v_add_nc_u32_e32 v49, -1, v0
	v_add_nc_u32_e32 v50, 0xb0, v47
	v_mov_b32_e32 v51, v47
	v_mov_b32_e32 v46, 0
	;; [unrolled: 1-line block ×3, first 2 shown]
	s_mov_b32 s5, 0
	.p2align	6
.LBB21_25:                              ; =>This Inner Loop Header: Depth=1
	s_clause 0x1
	buffer_load_dword v55, v51, s[0:3], 0 offen offset:4
	buffer_load_dword v56, v51, s[0:3], 0 offen
	ds_read_b64 v[53:54], v50
	v_add_nc_u32_e32 v49, 1, v49
	v_add_nc_u32_e32 v50, 8, v50
	;; [unrolled: 1-line block ×3, first 2 shown]
	v_cmp_lt_u32_e32 vcc_lo, 1, v49
	s_or_b32 s5, vcc_lo, s5
	s_waitcnt vmcnt(1) lgkmcnt(0)
	v_mul_f32_e32 v57, v54, v55
	v_mul_f32_e32 v55, v53, v55
	s_waitcnt vmcnt(0)
	v_fma_f32 v53, v53, v56, -v57
	v_fmac_f32_e32 v55, v54, v56
	v_add_f32_e32 v52, v52, v53
	v_add_f32_e32 v46, v46, v55
	s_andn2_b32 exec_lo, exec_lo, s5
	s_cbranch_execnz .LBB21_25
; %bb.26:
	s_or_b32 exec_lo, exec_lo, s5
	v_mov_b32_e32 v49, 0
	ds_read_b64 v[49:50], v49 offset:24
	s_waitcnt lgkmcnt(0)
	v_mul_f32_e32 v51, v46, v50
	v_mul_f32_e32 v50, v52, v50
	v_fma_f32 v51, v52, v49, -v51
	v_fmac_f32_e32 v50, v46, v49
	buffer_store_dword v51, off, s[0:3], 0 offset:24
	buffer_store_dword v50, off, s[0:3], 0 offset:28
.LBB21_27:
	s_or_b32 exec_lo, exec_lo, s4
	s_waitcnt_vscnt null, 0x0
	s_barrier
	buffer_gl0_inv
	s_clause 0x1
	buffer_load_dword v49, off, s[0:3], 0 offset:32
	buffer_load_dword v50, off, s[0:3], 0 offset:36
	s_mov_b32 s4, exec_lo
	s_waitcnt vmcnt(0)
	ds_write_b64 v48, v[49:50]
	s_waitcnt lgkmcnt(0)
	s_barrier
	buffer_gl0_inv
	v_cmpx_gt_u32_e32 4, v0
	s_cbranch_execz .LBB21_31
; %bb.28:
	v_add_nc_u32_e32 v49, -1, v0
	v_add_nc_u32_e32 v50, 0xb0, v47
	v_mov_b32_e32 v51, v47
	v_mov_b32_e32 v46, 0
	;; [unrolled: 1-line block ×3, first 2 shown]
	s_mov_b32 s5, 0
	.p2align	6
.LBB21_29:                              ; =>This Inner Loop Header: Depth=1
	s_clause 0x1
	buffer_load_dword v55, v51, s[0:3], 0 offen offset:4
	buffer_load_dword v56, v51, s[0:3], 0 offen
	ds_read_b64 v[53:54], v50
	v_add_nc_u32_e32 v49, 1, v49
	v_add_nc_u32_e32 v50, 8, v50
	;; [unrolled: 1-line block ×3, first 2 shown]
	v_cmp_lt_u32_e32 vcc_lo, 2, v49
	s_or_b32 s5, vcc_lo, s5
	s_waitcnt vmcnt(1) lgkmcnt(0)
	v_mul_f32_e32 v57, v54, v55
	v_mul_f32_e32 v55, v53, v55
	s_waitcnt vmcnt(0)
	v_fma_f32 v53, v53, v56, -v57
	v_fmac_f32_e32 v55, v54, v56
	v_add_f32_e32 v52, v52, v53
	v_add_f32_e32 v46, v46, v55
	s_andn2_b32 exec_lo, exec_lo, s5
	s_cbranch_execnz .LBB21_29
; %bb.30:
	s_or_b32 exec_lo, exec_lo, s5
	v_mov_b32_e32 v49, 0
	ds_read_b64 v[49:50], v49 offset:32
	s_waitcnt lgkmcnt(0)
	v_mul_f32_e32 v51, v46, v50
	v_mul_f32_e32 v50, v52, v50
	v_fma_f32 v51, v52, v49, -v51
	v_fmac_f32_e32 v50, v46, v49
	buffer_store_dword v51, off, s[0:3], 0 offset:32
	buffer_store_dword v50, off, s[0:3], 0 offset:36
.LBB21_31:
	s_or_b32 exec_lo, exec_lo, s4
	s_waitcnt_vscnt null, 0x0
	s_barrier
	buffer_gl0_inv
	s_clause 0x1
	buffer_load_dword v49, off, s[0:3], 0 offset:40
	buffer_load_dword v50, off, s[0:3], 0 offset:44
	s_mov_b32 s4, exec_lo
	s_waitcnt vmcnt(0)
	ds_write_b64 v48, v[49:50]
	s_waitcnt lgkmcnt(0)
	s_barrier
	buffer_gl0_inv
	v_cmpx_gt_u32_e32 5, v0
	s_cbranch_execz .LBB21_35
; %bb.32:
	v_add_nc_u32_e32 v49, -1, v0
	v_add_nc_u32_e32 v50, 0xb0, v47
	v_mov_b32_e32 v51, v47
	v_mov_b32_e32 v46, 0
	;; [unrolled: 1-line block ×3, first 2 shown]
	s_mov_b32 s5, 0
	.p2align	6
.LBB21_33:                              ; =>This Inner Loop Header: Depth=1
	s_clause 0x1
	buffer_load_dword v55, v51, s[0:3], 0 offen offset:4
	buffer_load_dword v56, v51, s[0:3], 0 offen
	ds_read_b64 v[53:54], v50
	v_add_nc_u32_e32 v49, 1, v49
	v_add_nc_u32_e32 v50, 8, v50
	;; [unrolled: 1-line block ×3, first 2 shown]
	v_cmp_lt_u32_e32 vcc_lo, 3, v49
	s_or_b32 s5, vcc_lo, s5
	s_waitcnt vmcnt(1) lgkmcnt(0)
	v_mul_f32_e32 v57, v54, v55
	v_mul_f32_e32 v55, v53, v55
	s_waitcnt vmcnt(0)
	v_fma_f32 v53, v53, v56, -v57
	v_fmac_f32_e32 v55, v54, v56
	v_add_f32_e32 v52, v52, v53
	v_add_f32_e32 v46, v46, v55
	s_andn2_b32 exec_lo, exec_lo, s5
	s_cbranch_execnz .LBB21_33
; %bb.34:
	s_or_b32 exec_lo, exec_lo, s5
	v_mov_b32_e32 v49, 0
	ds_read_b64 v[49:50], v49 offset:40
	s_waitcnt lgkmcnt(0)
	v_mul_f32_e32 v51, v46, v50
	v_mul_f32_e32 v50, v52, v50
	v_fma_f32 v51, v52, v49, -v51
	v_fmac_f32_e32 v50, v46, v49
	buffer_store_dword v51, off, s[0:3], 0 offset:40
	buffer_store_dword v50, off, s[0:3], 0 offset:44
.LBB21_35:
	s_or_b32 exec_lo, exec_lo, s4
	s_waitcnt_vscnt null, 0x0
	s_barrier
	buffer_gl0_inv
	s_clause 0x1
	buffer_load_dword v49, off, s[0:3], 0 offset:48
	buffer_load_dword v50, off, s[0:3], 0 offset:52
	s_mov_b32 s4, exec_lo
	s_waitcnt vmcnt(0)
	ds_write_b64 v48, v[49:50]
	s_waitcnt lgkmcnt(0)
	s_barrier
	buffer_gl0_inv
	v_cmpx_gt_u32_e32 6, v0
	s_cbranch_execz .LBB21_39
; %bb.36:
	v_add_nc_u32_e32 v49, -1, v0
	v_add_nc_u32_e32 v50, 0xb0, v47
	v_mov_b32_e32 v51, v47
	v_mov_b32_e32 v46, 0
	;; [unrolled: 1-line block ×3, first 2 shown]
	s_mov_b32 s5, 0
	.p2align	6
.LBB21_37:                              ; =>This Inner Loop Header: Depth=1
	s_clause 0x1
	buffer_load_dword v55, v51, s[0:3], 0 offen offset:4
	buffer_load_dword v56, v51, s[0:3], 0 offen
	ds_read_b64 v[53:54], v50
	v_add_nc_u32_e32 v49, 1, v49
	v_add_nc_u32_e32 v50, 8, v50
	;; [unrolled: 1-line block ×3, first 2 shown]
	v_cmp_lt_u32_e32 vcc_lo, 4, v49
	s_or_b32 s5, vcc_lo, s5
	s_waitcnt vmcnt(1) lgkmcnt(0)
	v_mul_f32_e32 v57, v54, v55
	v_mul_f32_e32 v55, v53, v55
	s_waitcnt vmcnt(0)
	v_fma_f32 v53, v53, v56, -v57
	v_fmac_f32_e32 v55, v54, v56
	v_add_f32_e32 v52, v52, v53
	v_add_f32_e32 v46, v46, v55
	s_andn2_b32 exec_lo, exec_lo, s5
	s_cbranch_execnz .LBB21_37
; %bb.38:
	s_or_b32 exec_lo, exec_lo, s5
	v_mov_b32_e32 v49, 0
	ds_read_b64 v[49:50], v49 offset:48
	s_waitcnt lgkmcnt(0)
	v_mul_f32_e32 v51, v46, v50
	v_mul_f32_e32 v50, v52, v50
	v_fma_f32 v51, v52, v49, -v51
	v_fmac_f32_e32 v50, v46, v49
	buffer_store_dword v51, off, s[0:3], 0 offset:48
	buffer_store_dword v50, off, s[0:3], 0 offset:52
.LBB21_39:
	s_or_b32 exec_lo, exec_lo, s4
	s_waitcnt_vscnt null, 0x0
	s_barrier
	buffer_gl0_inv
	s_clause 0x1
	buffer_load_dword v49, off, s[0:3], 0 offset:56
	buffer_load_dword v50, off, s[0:3], 0 offset:60
	s_mov_b32 s4, exec_lo
	s_waitcnt vmcnt(0)
	ds_write_b64 v48, v[49:50]
	s_waitcnt lgkmcnt(0)
	s_barrier
	buffer_gl0_inv
	v_cmpx_gt_u32_e32 7, v0
	s_cbranch_execz .LBB21_43
; %bb.40:
	v_add_nc_u32_e32 v49, -1, v0
	v_add_nc_u32_e32 v50, 0xb0, v47
	v_mov_b32_e32 v51, v47
	v_mov_b32_e32 v46, 0
	;; [unrolled: 1-line block ×3, first 2 shown]
	s_mov_b32 s5, 0
	.p2align	6
.LBB21_41:                              ; =>This Inner Loop Header: Depth=1
	s_clause 0x1
	buffer_load_dword v55, v51, s[0:3], 0 offen offset:4
	buffer_load_dword v56, v51, s[0:3], 0 offen
	ds_read_b64 v[53:54], v50
	v_add_nc_u32_e32 v49, 1, v49
	v_add_nc_u32_e32 v50, 8, v50
	;; [unrolled: 1-line block ×3, first 2 shown]
	v_cmp_lt_u32_e32 vcc_lo, 5, v49
	s_or_b32 s5, vcc_lo, s5
	s_waitcnt vmcnt(1) lgkmcnt(0)
	v_mul_f32_e32 v57, v54, v55
	v_mul_f32_e32 v55, v53, v55
	s_waitcnt vmcnt(0)
	v_fma_f32 v53, v53, v56, -v57
	v_fmac_f32_e32 v55, v54, v56
	v_add_f32_e32 v52, v52, v53
	v_add_f32_e32 v46, v46, v55
	s_andn2_b32 exec_lo, exec_lo, s5
	s_cbranch_execnz .LBB21_41
; %bb.42:
	s_or_b32 exec_lo, exec_lo, s5
	v_mov_b32_e32 v49, 0
	ds_read_b64 v[49:50], v49 offset:56
	s_waitcnt lgkmcnt(0)
	v_mul_f32_e32 v51, v46, v50
	v_mul_f32_e32 v50, v52, v50
	v_fma_f32 v51, v52, v49, -v51
	v_fmac_f32_e32 v50, v46, v49
	buffer_store_dword v51, off, s[0:3], 0 offset:56
	buffer_store_dword v50, off, s[0:3], 0 offset:60
.LBB21_43:
	s_or_b32 exec_lo, exec_lo, s4
	s_waitcnt_vscnt null, 0x0
	s_barrier
	buffer_gl0_inv
	s_clause 0x1
	buffer_load_dword v49, off, s[0:3], 0 offset:64
	buffer_load_dword v50, off, s[0:3], 0 offset:68
	s_mov_b32 s4, exec_lo
	s_waitcnt vmcnt(0)
	ds_write_b64 v48, v[49:50]
	s_waitcnt lgkmcnt(0)
	s_barrier
	buffer_gl0_inv
	v_cmpx_gt_u32_e32 8, v0
	s_cbranch_execz .LBB21_47
; %bb.44:
	v_add_nc_u32_e32 v49, -1, v0
	v_add_nc_u32_e32 v50, 0xb0, v47
	v_mov_b32_e32 v51, v47
	v_mov_b32_e32 v46, 0
	;; [unrolled: 1-line block ×3, first 2 shown]
	s_mov_b32 s5, 0
	.p2align	6
.LBB21_45:                              ; =>This Inner Loop Header: Depth=1
	s_clause 0x1
	buffer_load_dword v55, v51, s[0:3], 0 offen offset:4
	buffer_load_dword v56, v51, s[0:3], 0 offen
	ds_read_b64 v[53:54], v50
	v_add_nc_u32_e32 v49, 1, v49
	v_add_nc_u32_e32 v50, 8, v50
	;; [unrolled: 1-line block ×3, first 2 shown]
	v_cmp_lt_u32_e32 vcc_lo, 6, v49
	s_or_b32 s5, vcc_lo, s5
	s_waitcnt vmcnt(1) lgkmcnt(0)
	v_mul_f32_e32 v57, v54, v55
	v_mul_f32_e32 v55, v53, v55
	s_waitcnt vmcnt(0)
	v_fma_f32 v53, v53, v56, -v57
	v_fmac_f32_e32 v55, v54, v56
	v_add_f32_e32 v52, v52, v53
	v_add_f32_e32 v46, v46, v55
	s_andn2_b32 exec_lo, exec_lo, s5
	s_cbranch_execnz .LBB21_45
; %bb.46:
	s_or_b32 exec_lo, exec_lo, s5
	v_mov_b32_e32 v49, 0
	ds_read_b64 v[49:50], v49 offset:64
	s_waitcnt lgkmcnt(0)
	v_mul_f32_e32 v51, v46, v50
	v_mul_f32_e32 v50, v52, v50
	v_fma_f32 v51, v52, v49, -v51
	v_fmac_f32_e32 v50, v46, v49
	buffer_store_dword v51, off, s[0:3], 0 offset:64
	buffer_store_dword v50, off, s[0:3], 0 offset:68
.LBB21_47:
	s_or_b32 exec_lo, exec_lo, s4
	s_waitcnt_vscnt null, 0x0
	s_barrier
	buffer_gl0_inv
	s_clause 0x1
	buffer_load_dword v49, off, s[0:3], 0 offset:72
	buffer_load_dword v50, off, s[0:3], 0 offset:76
	s_mov_b32 s4, exec_lo
	s_waitcnt vmcnt(0)
	ds_write_b64 v48, v[49:50]
	s_waitcnt lgkmcnt(0)
	s_barrier
	buffer_gl0_inv
	v_cmpx_gt_u32_e32 9, v0
	s_cbranch_execz .LBB21_51
; %bb.48:
	v_add_nc_u32_e32 v49, -1, v0
	v_add_nc_u32_e32 v50, 0xb0, v47
	v_mov_b32_e32 v51, v47
	v_mov_b32_e32 v46, 0
	;; [unrolled: 1-line block ×3, first 2 shown]
	s_mov_b32 s5, 0
	.p2align	6
.LBB21_49:                              ; =>This Inner Loop Header: Depth=1
	s_clause 0x1
	buffer_load_dword v55, v51, s[0:3], 0 offen offset:4
	buffer_load_dword v56, v51, s[0:3], 0 offen
	ds_read_b64 v[53:54], v50
	v_add_nc_u32_e32 v49, 1, v49
	v_add_nc_u32_e32 v50, 8, v50
	v_add_nc_u32_e32 v51, 8, v51
	v_cmp_lt_u32_e32 vcc_lo, 7, v49
	s_or_b32 s5, vcc_lo, s5
	s_waitcnt vmcnt(1) lgkmcnt(0)
	v_mul_f32_e32 v57, v54, v55
	v_mul_f32_e32 v55, v53, v55
	s_waitcnt vmcnt(0)
	v_fma_f32 v53, v53, v56, -v57
	v_fmac_f32_e32 v55, v54, v56
	v_add_f32_e32 v52, v52, v53
	v_add_f32_e32 v46, v46, v55
	s_andn2_b32 exec_lo, exec_lo, s5
	s_cbranch_execnz .LBB21_49
; %bb.50:
	s_or_b32 exec_lo, exec_lo, s5
	v_mov_b32_e32 v49, 0
	ds_read_b64 v[49:50], v49 offset:72
	s_waitcnt lgkmcnt(0)
	v_mul_f32_e32 v51, v46, v50
	v_mul_f32_e32 v50, v52, v50
	v_fma_f32 v51, v52, v49, -v51
	v_fmac_f32_e32 v50, v46, v49
	buffer_store_dword v51, off, s[0:3], 0 offset:72
	buffer_store_dword v50, off, s[0:3], 0 offset:76
.LBB21_51:
	s_or_b32 exec_lo, exec_lo, s4
	s_waitcnt_vscnt null, 0x0
	s_barrier
	buffer_gl0_inv
	s_clause 0x1
	buffer_load_dword v49, off, s[0:3], 0 offset:80
	buffer_load_dword v50, off, s[0:3], 0 offset:84
	s_mov_b32 s4, exec_lo
	s_waitcnt vmcnt(0)
	ds_write_b64 v48, v[49:50]
	s_waitcnt lgkmcnt(0)
	s_barrier
	buffer_gl0_inv
	v_cmpx_gt_u32_e32 10, v0
	s_cbranch_execz .LBB21_55
; %bb.52:
	v_add_nc_u32_e32 v49, -1, v0
	v_add_nc_u32_e32 v50, 0xb0, v47
	v_mov_b32_e32 v51, v47
	v_mov_b32_e32 v46, 0
	;; [unrolled: 1-line block ×3, first 2 shown]
	s_mov_b32 s5, 0
	.p2align	6
.LBB21_53:                              ; =>This Inner Loop Header: Depth=1
	s_clause 0x1
	buffer_load_dword v55, v51, s[0:3], 0 offen offset:4
	buffer_load_dword v56, v51, s[0:3], 0 offen
	ds_read_b64 v[53:54], v50
	v_add_nc_u32_e32 v49, 1, v49
	v_add_nc_u32_e32 v50, 8, v50
	;; [unrolled: 1-line block ×3, first 2 shown]
	v_cmp_lt_u32_e32 vcc_lo, 8, v49
	s_or_b32 s5, vcc_lo, s5
	s_waitcnt vmcnt(1) lgkmcnt(0)
	v_mul_f32_e32 v57, v54, v55
	v_mul_f32_e32 v55, v53, v55
	s_waitcnt vmcnt(0)
	v_fma_f32 v53, v53, v56, -v57
	v_fmac_f32_e32 v55, v54, v56
	v_add_f32_e32 v52, v52, v53
	v_add_f32_e32 v46, v46, v55
	s_andn2_b32 exec_lo, exec_lo, s5
	s_cbranch_execnz .LBB21_53
; %bb.54:
	s_or_b32 exec_lo, exec_lo, s5
	v_mov_b32_e32 v49, 0
	ds_read_b64 v[49:50], v49 offset:80
	s_waitcnt lgkmcnt(0)
	v_mul_f32_e32 v51, v46, v50
	v_mul_f32_e32 v50, v52, v50
	v_fma_f32 v51, v52, v49, -v51
	v_fmac_f32_e32 v50, v46, v49
	buffer_store_dword v51, off, s[0:3], 0 offset:80
	buffer_store_dword v50, off, s[0:3], 0 offset:84
.LBB21_55:
	s_or_b32 exec_lo, exec_lo, s4
	s_waitcnt_vscnt null, 0x0
	s_barrier
	buffer_gl0_inv
	s_clause 0x1
	buffer_load_dword v49, off, s[0:3], 0 offset:88
	buffer_load_dword v50, off, s[0:3], 0 offset:92
	s_mov_b32 s4, exec_lo
	s_waitcnt vmcnt(0)
	ds_write_b64 v48, v[49:50]
	s_waitcnt lgkmcnt(0)
	s_barrier
	buffer_gl0_inv
	v_cmpx_gt_u32_e32 11, v0
	s_cbranch_execz .LBB21_59
; %bb.56:
	v_add_nc_u32_e32 v49, -1, v0
	v_add_nc_u32_e32 v50, 0xb0, v47
	v_mov_b32_e32 v51, v47
	v_mov_b32_e32 v46, 0
	;; [unrolled: 1-line block ×3, first 2 shown]
	s_mov_b32 s5, 0
	.p2align	6
.LBB21_57:                              ; =>This Inner Loop Header: Depth=1
	s_clause 0x1
	buffer_load_dword v55, v51, s[0:3], 0 offen offset:4
	buffer_load_dword v56, v51, s[0:3], 0 offen
	ds_read_b64 v[53:54], v50
	v_add_nc_u32_e32 v49, 1, v49
	v_add_nc_u32_e32 v50, 8, v50
	;; [unrolled: 1-line block ×3, first 2 shown]
	v_cmp_lt_u32_e32 vcc_lo, 9, v49
	s_or_b32 s5, vcc_lo, s5
	s_waitcnt vmcnt(1) lgkmcnt(0)
	v_mul_f32_e32 v57, v54, v55
	v_mul_f32_e32 v55, v53, v55
	s_waitcnt vmcnt(0)
	v_fma_f32 v53, v53, v56, -v57
	v_fmac_f32_e32 v55, v54, v56
	v_add_f32_e32 v52, v52, v53
	v_add_f32_e32 v46, v46, v55
	s_andn2_b32 exec_lo, exec_lo, s5
	s_cbranch_execnz .LBB21_57
; %bb.58:
	s_or_b32 exec_lo, exec_lo, s5
	v_mov_b32_e32 v49, 0
	ds_read_b64 v[49:50], v49 offset:88
	s_waitcnt lgkmcnt(0)
	v_mul_f32_e32 v51, v46, v50
	v_mul_f32_e32 v50, v52, v50
	v_fma_f32 v51, v52, v49, -v51
	v_fmac_f32_e32 v50, v46, v49
	buffer_store_dword v51, off, s[0:3], 0 offset:88
	buffer_store_dword v50, off, s[0:3], 0 offset:92
.LBB21_59:
	s_or_b32 exec_lo, exec_lo, s4
	s_waitcnt_vscnt null, 0x0
	s_barrier
	buffer_gl0_inv
	s_clause 0x1
	buffer_load_dword v49, off, s[0:3], 0 offset:96
	buffer_load_dword v50, off, s[0:3], 0 offset:100
	s_mov_b32 s4, exec_lo
	s_waitcnt vmcnt(0)
	ds_write_b64 v48, v[49:50]
	s_waitcnt lgkmcnt(0)
	s_barrier
	buffer_gl0_inv
	v_cmpx_gt_u32_e32 12, v0
	s_cbranch_execz .LBB21_63
; %bb.60:
	v_add_nc_u32_e32 v49, -1, v0
	v_add_nc_u32_e32 v50, 0xb0, v47
	v_mov_b32_e32 v51, v47
	v_mov_b32_e32 v46, 0
	;; [unrolled: 1-line block ×3, first 2 shown]
	s_mov_b32 s5, 0
	.p2align	6
.LBB21_61:                              ; =>This Inner Loop Header: Depth=1
	s_clause 0x1
	buffer_load_dword v55, v51, s[0:3], 0 offen offset:4
	buffer_load_dword v56, v51, s[0:3], 0 offen
	ds_read_b64 v[53:54], v50
	v_add_nc_u32_e32 v49, 1, v49
	v_add_nc_u32_e32 v50, 8, v50
	;; [unrolled: 1-line block ×3, first 2 shown]
	v_cmp_lt_u32_e32 vcc_lo, 10, v49
	s_or_b32 s5, vcc_lo, s5
	s_waitcnt vmcnt(1) lgkmcnt(0)
	v_mul_f32_e32 v57, v54, v55
	v_mul_f32_e32 v55, v53, v55
	s_waitcnt vmcnt(0)
	v_fma_f32 v53, v53, v56, -v57
	v_fmac_f32_e32 v55, v54, v56
	v_add_f32_e32 v52, v52, v53
	v_add_f32_e32 v46, v46, v55
	s_andn2_b32 exec_lo, exec_lo, s5
	s_cbranch_execnz .LBB21_61
; %bb.62:
	s_or_b32 exec_lo, exec_lo, s5
	v_mov_b32_e32 v49, 0
	ds_read_b64 v[49:50], v49 offset:96
	s_waitcnt lgkmcnt(0)
	v_mul_f32_e32 v51, v46, v50
	v_mul_f32_e32 v50, v52, v50
	v_fma_f32 v51, v52, v49, -v51
	v_fmac_f32_e32 v50, v46, v49
	buffer_store_dword v51, off, s[0:3], 0 offset:96
	buffer_store_dword v50, off, s[0:3], 0 offset:100
.LBB21_63:
	s_or_b32 exec_lo, exec_lo, s4
	s_waitcnt_vscnt null, 0x0
	s_barrier
	buffer_gl0_inv
	s_clause 0x1
	buffer_load_dword v49, off, s[0:3], 0 offset:104
	buffer_load_dword v50, off, s[0:3], 0 offset:108
	s_mov_b32 s4, exec_lo
	s_waitcnt vmcnt(0)
	ds_write_b64 v48, v[49:50]
	s_waitcnt lgkmcnt(0)
	s_barrier
	buffer_gl0_inv
	v_cmpx_gt_u32_e32 13, v0
	s_cbranch_execz .LBB21_67
; %bb.64:
	v_add_nc_u32_e32 v49, -1, v0
	v_add_nc_u32_e32 v50, 0xb0, v47
	v_mov_b32_e32 v51, v47
	v_mov_b32_e32 v46, 0
	;; [unrolled: 1-line block ×3, first 2 shown]
	s_mov_b32 s5, 0
	.p2align	6
.LBB21_65:                              ; =>This Inner Loop Header: Depth=1
	s_clause 0x1
	buffer_load_dword v55, v51, s[0:3], 0 offen offset:4
	buffer_load_dword v56, v51, s[0:3], 0 offen
	ds_read_b64 v[53:54], v50
	v_add_nc_u32_e32 v49, 1, v49
	v_add_nc_u32_e32 v50, 8, v50
	;; [unrolled: 1-line block ×3, first 2 shown]
	v_cmp_lt_u32_e32 vcc_lo, 11, v49
	s_or_b32 s5, vcc_lo, s5
	s_waitcnt vmcnt(1) lgkmcnt(0)
	v_mul_f32_e32 v57, v54, v55
	v_mul_f32_e32 v55, v53, v55
	s_waitcnt vmcnt(0)
	v_fma_f32 v53, v53, v56, -v57
	v_fmac_f32_e32 v55, v54, v56
	v_add_f32_e32 v52, v52, v53
	v_add_f32_e32 v46, v46, v55
	s_andn2_b32 exec_lo, exec_lo, s5
	s_cbranch_execnz .LBB21_65
; %bb.66:
	s_or_b32 exec_lo, exec_lo, s5
	v_mov_b32_e32 v49, 0
	ds_read_b64 v[49:50], v49 offset:104
	s_waitcnt lgkmcnt(0)
	v_mul_f32_e32 v51, v46, v50
	v_mul_f32_e32 v50, v52, v50
	v_fma_f32 v51, v52, v49, -v51
	v_fmac_f32_e32 v50, v46, v49
	buffer_store_dword v51, off, s[0:3], 0 offset:104
	buffer_store_dword v50, off, s[0:3], 0 offset:108
.LBB21_67:
	s_or_b32 exec_lo, exec_lo, s4
	s_waitcnt_vscnt null, 0x0
	s_barrier
	buffer_gl0_inv
	s_clause 0x1
	buffer_load_dword v49, off, s[0:3], 0 offset:112
	buffer_load_dword v50, off, s[0:3], 0 offset:116
	s_mov_b32 s4, exec_lo
	s_waitcnt vmcnt(0)
	ds_write_b64 v48, v[49:50]
	s_waitcnt lgkmcnt(0)
	s_barrier
	buffer_gl0_inv
	v_cmpx_gt_u32_e32 14, v0
	s_cbranch_execz .LBB21_71
; %bb.68:
	v_add_nc_u32_e32 v49, -1, v0
	v_add_nc_u32_e32 v50, 0xb0, v47
	v_mov_b32_e32 v51, v47
	v_mov_b32_e32 v46, 0
	;; [unrolled: 1-line block ×3, first 2 shown]
	s_mov_b32 s5, 0
	.p2align	6
.LBB21_69:                              ; =>This Inner Loop Header: Depth=1
	s_clause 0x1
	buffer_load_dword v55, v51, s[0:3], 0 offen offset:4
	buffer_load_dword v56, v51, s[0:3], 0 offen
	ds_read_b64 v[53:54], v50
	v_add_nc_u32_e32 v49, 1, v49
	v_add_nc_u32_e32 v50, 8, v50
	;; [unrolled: 1-line block ×3, first 2 shown]
	v_cmp_lt_u32_e32 vcc_lo, 12, v49
	s_or_b32 s5, vcc_lo, s5
	s_waitcnt vmcnt(1) lgkmcnt(0)
	v_mul_f32_e32 v57, v54, v55
	v_mul_f32_e32 v55, v53, v55
	s_waitcnt vmcnt(0)
	v_fma_f32 v53, v53, v56, -v57
	v_fmac_f32_e32 v55, v54, v56
	v_add_f32_e32 v52, v52, v53
	v_add_f32_e32 v46, v46, v55
	s_andn2_b32 exec_lo, exec_lo, s5
	s_cbranch_execnz .LBB21_69
; %bb.70:
	s_or_b32 exec_lo, exec_lo, s5
	v_mov_b32_e32 v49, 0
	ds_read_b64 v[49:50], v49 offset:112
	s_waitcnt lgkmcnt(0)
	v_mul_f32_e32 v51, v46, v50
	v_mul_f32_e32 v50, v52, v50
	v_fma_f32 v51, v52, v49, -v51
	v_fmac_f32_e32 v50, v46, v49
	buffer_store_dword v51, off, s[0:3], 0 offset:112
	buffer_store_dword v50, off, s[0:3], 0 offset:116
.LBB21_71:
	s_or_b32 exec_lo, exec_lo, s4
	s_waitcnt_vscnt null, 0x0
	s_barrier
	buffer_gl0_inv
	s_clause 0x1
	buffer_load_dword v49, off, s[0:3], 0 offset:120
	buffer_load_dword v50, off, s[0:3], 0 offset:124
	s_mov_b32 s4, exec_lo
	s_waitcnt vmcnt(0)
	ds_write_b64 v48, v[49:50]
	s_waitcnt lgkmcnt(0)
	s_barrier
	buffer_gl0_inv
	v_cmpx_gt_u32_e32 15, v0
	s_cbranch_execz .LBB21_75
; %bb.72:
	v_add_nc_u32_e32 v49, -1, v0
	v_add_nc_u32_e32 v50, 0xb0, v47
	v_mov_b32_e32 v51, v47
	v_mov_b32_e32 v46, 0
	;; [unrolled: 1-line block ×3, first 2 shown]
	s_mov_b32 s5, 0
	.p2align	6
.LBB21_73:                              ; =>This Inner Loop Header: Depth=1
	s_clause 0x1
	buffer_load_dword v55, v51, s[0:3], 0 offen offset:4
	buffer_load_dword v56, v51, s[0:3], 0 offen
	ds_read_b64 v[53:54], v50
	v_add_nc_u32_e32 v49, 1, v49
	v_add_nc_u32_e32 v50, 8, v50
	v_add_nc_u32_e32 v51, 8, v51
	v_cmp_lt_u32_e32 vcc_lo, 13, v49
	s_or_b32 s5, vcc_lo, s5
	s_waitcnt vmcnt(1) lgkmcnt(0)
	v_mul_f32_e32 v57, v54, v55
	v_mul_f32_e32 v55, v53, v55
	s_waitcnt vmcnt(0)
	v_fma_f32 v53, v53, v56, -v57
	v_fmac_f32_e32 v55, v54, v56
	v_add_f32_e32 v52, v52, v53
	v_add_f32_e32 v46, v46, v55
	s_andn2_b32 exec_lo, exec_lo, s5
	s_cbranch_execnz .LBB21_73
; %bb.74:
	s_or_b32 exec_lo, exec_lo, s5
	v_mov_b32_e32 v49, 0
	ds_read_b64 v[49:50], v49 offset:120
	s_waitcnt lgkmcnt(0)
	v_mul_f32_e32 v51, v46, v50
	v_mul_f32_e32 v50, v52, v50
	v_fma_f32 v51, v52, v49, -v51
	v_fmac_f32_e32 v50, v46, v49
	buffer_store_dword v51, off, s[0:3], 0 offset:120
	buffer_store_dword v50, off, s[0:3], 0 offset:124
.LBB21_75:
	s_or_b32 exec_lo, exec_lo, s4
	s_waitcnt_vscnt null, 0x0
	s_barrier
	buffer_gl0_inv
	s_clause 0x1
	buffer_load_dword v49, off, s[0:3], 0 offset:128
	buffer_load_dword v50, off, s[0:3], 0 offset:132
	s_mov_b32 s4, exec_lo
	s_waitcnt vmcnt(0)
	ds_write_b64 v48, v[49:50]
	s_waitcnt lgkmcnt(0)
	s_barrier
	buffer_gl0_inv
	v_cmpx_gt_u32_e32 16, v0
	s_cbranch_execz .LBB21_79
; %bb.76:
	v_add_nc_u32_e32 v49, -1, v0
	v_add_nc_u32_e32 v50, 0xb0, v47
	v_mov_b32_e32 v51, v47
	v_mov_b32_e32 v46, 0
	;; [unrolled: 1-line block ×3, first 2 shown]
	s_mov_b32 s5, 0
	.p2align	6
.LBB21_77:                              ; =>This Inner Loop Header: Depth=1
	s_clause 0x1
	buffer_load_dword v55, v51, s[0:3], 0 offen offset:4
	buffer_load_dword v56, v51, s[0:3], 0 offen
	ds_read_b64 v[53:54], v50
	v_add_nc_u32_e32 v49, 1, v49
	v_add_nc_u32_e32 v50, 8, v50
	;; [unrolled: 1-line block ×3, first 2 shown]
	v_cmp_lt_u32_e32 vcc_lo, 14, v49
	s_or_b32 s5, vcc_lo, s5
	s_waitcnt vmcnt(1) lgkmcnt(0)
	v_mul_f32_e32 v57, v54, v55
	v_mul_f32_e32 v55, v53, v55
	s_waitcnt vmcnt(0)
	v_fma_f32 v53, v53, v56, -v57
	v_fmac_f32_e32 v55, v54, v56
	v_add_f32_e32 v52, v52, v53
	v_add_f32_e32 v46, v46, v55
	s_andn2_b32 exec_lo, exec_lo, s5
	s_cbranch_execnz .LBB21_77
; %bb.78:
	s_or_b32 exec_lo, exec_lo, s5
	v_mov_b32_e32 v49, 0
	ds_read_b64 v[49:50], v49 offset:128
	s_waitcnt lgkmcnt(0)
	v_mul_f32_e32 v51, v46, v50
	v_mul_f32_e32 v50, v52, v50
	v_fma_f32 v51, v52, v49, -v51
	v_fmac_f32_e32 v50, v46, v49
	buffer_store_dword v51, off, s[0:3], 0 offset:128
	buffer_store_dword v50, off, s[0:3], 0 offset:132
.LBB21_79:
	s_or_b32 exec_lo, exec_lo, s4
	s_waitcnt_vscnt null, 0x0
	s_barrier
	buffer_gl0_inv
	s_clause 0x1
	buffer_load_dword v49, off, s[0:3], 0 offset:136
	buffer_load_dword v50, off, s[0:3], 0 offset:140
	s_mov_b32 s4, exec_lo
	s_waitcnt vmcnt(0)
	ds_write_b64 v48, v[49:50]
	s_waitcnt lgkmcnt(0)
	s_barrier
	buffer_gl0_inv
	v_cmpx_gt_u32_e32 17, v0
	s_cbranch_execz .LBB21_83
; %bb.80:
	v_add_nc_u32_e32 v49, -1, v0
	v_add_nc_u32_e32 v50, 0xb0, v47
	v_mov_b32_e32 v51, v47
	v_mov_b32_e32 v46, 0
	;; [unrolled: 1-line block ×3, first 2 shown]
	s_mov_b32 s5, 0
	.p2align	6
.LBB21_81:                              ; =>This Inner Loop Header: Depth=1
	s_clause 0x1
	buffer_load_dword v55, v51, s[0:3], 0 offen offset:4
	buffer_load_dword v56, v51, s[0:3], 0 offen
	ds_read_b64 v[53:54], v50
	v_add_nc_u32_e32 v49, 1, v49
	v_add_nc_u32_e32 v50, 8, v50
	;; [unrolled: 1-line block ×3, first 2 shown]
	v_cmp_lt_u32_e32 vcc_lo, 15, v49
	s_or_b32 s5, vcc_lo, s5
	s_waitcnt vmcnt(1) lgkmcnt(0)
	v_mul_f32_e32 v57, v54, v55
	v_mul_f32_e32 v55, v53, v55
	s_waitcnt vmcnt(0)
	v_fma_f32 v53, v53, v56, -v57
	v_fmac_f32_e32 v55, v54, v56
	v_add_f32_e32 v52, v52, v53
	v_add_f32_e32 v46, v46, v55
	s_andn2_b32 exec_lo, exec_lo, s5
	s_cbranch_execnz .LBB21_81
; %bb.82:
	s_or_b32 exec_lo, exec_lo, s5
	v_mov_b32_e32 v49, 0
	ds_read_b64 v[49:50], v49 offset:136
	s_waitcnt lgkmcnt(0)
	v_mul_f32_e32 v51, v46, v50
	v_mul_f32_e32 v50, v52, v50
	v_fma_f32 v51, v52, v49, -v51
	v_fmac_f32_e32 v50, v46, v49
	buffer_store_dword v51, off, s[0:3], 0 offset:136
	buffer_store_dword v50, off, s[0:3], 0 offset:140
.LBB21_83:
	s_or_b32 exec_lo, exec_lo, s4
	s_waitcnt_vscnt null, 0x0
	s_barrier
	buffer_gl0_inv
	s_clause 0x1
	buffer_load_dword v49, off, s[0:3], 0 offset:144
	buffer_load_dword v50, off, s[0:3], 0 offset:148
	s_mov_b32 s4, exec_lo
	s_waitcnt vmcnt(0)
	ds_write_b64 v48, v[49:50]
	s_waitcnt lgkmcnt(0)
	s_barrier
	buffer_gl0_inv
	v_cmpx_gt_u32_e32 18, v0
	s_cbranch_execz .LBB21_87
; %bb.84:
	v_add_nc_u32_e32 v49, -1, v0
	v_add_nc_u32_e32 v50, 0xb0, v47
	v_mov_b32_e32 v51, v47
	v_mov_b32_e32 v46, 0
	;; [unrolled: 1-line block ×3, first 2 shown]
	s_mov_b32 s5, 0
	.p2align	6
.LBB21_85:                              ; =>This Inner Loop Header: Depth=1
	s_clause 0x1
	buffer_load_dword v55, v51, s[0:3], 0 offen offset:4
	buffer_load_dword v56, v51, s[0:3], 0 offen
	ds_read_b64 v[53:54], v50
	v_add_nc_u32_e32 v49, 1, v49
	v_add_nc_u32_e32 v50, 8, v50
	;; [unrolled: 1-line block ×3, first 2 shown]
	v_cmp_lt_u32_e32 vcc_lo, 16, v49
	s_or_b32 s5, vcc_lo, s5
	s_waitcnt vmcnt(1) lgkmcnt(0)
	v_mul_f32_e32 v57, v54, v55
	v_mul_f32_e32 v55, v53, v55
	s_waitcnt vmcnt(0)
	v_fma_f32 v53, v53, v56, -v57
	v_fmac_f32_e32 v55, v54, v56
	v_add_f32_e32 v52, v52, v53
	v_add_f32_e32 v46, v46, v55
	s_andn2_b32 exec_lo, exec_lo, s5
	s_cbranch_execnz .LBB21_85
; %bb.86:
	s_or_b32 exec_lo, exec_lo, s5
	v_mov_b32_e32 v49, 0
	ds_read_b64 v[49:50], v49 offset:144
	s_waitcnt lgkmcnt(0)
	v_mul_f32_e32 v51, v46, v50
	v_mul_f32_e32 v50, v52, v50
	v_fma_f32 v51, v52, v49, -v51
	v_fmac_f32_e32 v50, v46, v49
	buffer_store_dword v51, off, s[0:3], 0 offset:144
	buffer_store_dword v50, off, s[0:3], 0 offset:148
.LBB21_87:
	s_or_b32 exec_lo, exec_lo, s4
	s_waitcnt_vscnt null, 0x0
	s_barrier
	buffer_gl0_inv
	s_clause 0x1
	buffer_load_dword v49, off, s[0:3], 0 offset:152
	buffer_load_dword v50, off, s[0:3], 0 offset:156
	s_mov_b32 s4, exec_lo
	s_waitcnt vmcnt(0)
	ds_write_b64 v48, v[49:50]
	s_waitcnt lgkmcnt(0)
	s_barrier
	buffer_gl0_inv
	v_cmpx_gt_u32_e32 19, v0
	s_cbranch_execz .LBB21_91
; %bb.88:
	v_add_nc_u32_e32 v49, -1, v0
	v_add_nc_u32_e32 v50, 0xb0, v47
	v_mov_b32_e32 v51, v47
	v_mov_b32_e32 v46, 0
	;; [unrolled: 1-line block ×3, first 2 shown]
	s_mov_b32 s5, 0
	.p2align	6
.LBB21_89:                              ; =>This Inner Loop Header: Depth=1
	s_clause 0x1
	buffer_load_dword v55, v51, s[0:3], 0 offen offset:4
	buffer_load_dword v56, v51, s[0:3], 0 offen
	ds_read_b64 v[53:54], v50
	v_add_nc_u32_e32 v49, 1, v49
	v_add_nc_u32_e32 v50, 8, v50
	;; [unrolled: 1-line block ×3, first 2 shown]
	v_cmp_lt_u32_e32 vcc_lo, 17, v49
	s_or_b32 s5, vcc_lo, s5
	s_waitcnt vmcnt(1) lgkmcnt(0)
	v_mul_f32_e32 v57, v54, v55
	v_mul_f32_e32 v55, v53, v55
	s_waitcnt vmcnt(0)
	v_fma_f32 v53, v53, v56, -v57
	v_fmac_f32_e32 v55, v54, v56
	v_add_f32_e32 v52, v52, v53
	v_add_f32_e32 v46, v46, v55
	s_andn2_b32 exec_lo, exec_lo, s5
	s_cbranch_execnz .LBB21_89
; %bb.90:
	s_or_b32 exec_lo, exec_lo, s5
	v_mov_b32_e32 v49, 0
	ds_read_b64 v[49:50], v49 offset:152
	s_waitcnt lgkmcnt(0)
	v_mul_f32_e32 v51, v46, v50
	v_mul_f32_e32 v50, v52, v50
	v_fma_f32 v51, v52, v49, -v51
	v_fmac_f32_e32 v50, v46, v49
	buffer_store_dword v51, off, s[0:3], 0 offset:152
	buffer_store_dword v50, off, s[0:3], 0 offset:156
.LBB21_91:
	s_or_b32 exec_lo, exec_lo, s4
	s_waitcnt_vscnt null, 0x0
	s_barrier
	buffer_gl0_inv
	s_clause 0x1
	buffer_load_dword v49, off, s[0:3], 0 offset:160
	buffer_load_dword v50, off, s[0:3], 0 offset:164
	s_mov_b32 s4, exec_lo
	s_waitcnt vmcnt(0)
	ds_write_b64 v48, v[49:50]
	s_waitcnt lgkmcnt(0)
	s_barrier
	buffer_gl0_inv
	v_cmpx_gt_u32_e32 20, v0
	s_cbranch_execz .LBB21_95
; %bb.92:
	v_add_nc_u32_e32 v49, -1, v0
	v_add_nc_u32_e32 v50, 0xb0, v47
	v_mov_b32_e32 v51, v47
	v_mov_b32_e32 v46, 0
	;; [unrolled: 1-line block ×3, first 2 shown]
	s_mov_b32 s5, 0
	.p2align	6
.LBB21_93:                              ; =>This Inner Loop Header: Depth=1
	s_clause 0x1
	buffer_load_dword v55, v51, s[0:3], 0 offen offset:4
	buffer_load_dword v56, v51, s[0:3], 0 offen
	ds_read_b64 v[53:54], v50
	v_add_nc_u32_e32 v49, 1, v49
	v_add_nc_u32_e32 v50, 8, v50
	;; [unrolled: 1-line block ×3, first 2 shown]
	v_cmp_lt_u32_e32 vcc_lo, 18, v49
	s_or_b32 s5, vcc_lo, s5
	s_waitcnt vmcnt(1) lgkmcnt(0)
	v_mul_f32_e32 v57, v54, v55
	v_mul_f32_e32 v55, v53, v55
	s_waitcnt vmcnt(0)
	v_fma_f32 v53, v53, v56, -v57
	v_fmac_f32_e32 v55, v54, v56
	v_add_f32_e32 v52, v52, v53
	v_add_f32_e32 v46, v46, v55
	s_andn2_b32 exec_lo, exec_lo, s5
	s_cbranch_execnz .LBB21_93
; %bb.94:
	s_or_b32 exec_lo, exec_lo, s5
	v_mov_b32_e32 v49, 0
	ds_read_b64 v[49:50], v49 offset:160
	s_waitcnt lgkmcnt(0)
	v_mul_f32_e32 v51, v46, v50
	v_mul_f32_e32 v50, v52, v50
	v_fma_f32 v51, v52, v49, -v51
	v_fmac_f32_e32 v50, v46, v49
	buffer_store_dword v51, off, s[0:3], 0 offset:160
	buffer_store_dword v50, off, s[0:3], 0 offset:164
.LBB21_95:
	s_or_b32 exec_lo, exec_lo, s4
	s_waitcnt_vscnt null, 0x0
	s_barrier
	buffer_gl0_inv
	s_clause 0x1
	buffer_load_dword v49, off, s[0:3], 0 offset:168
	buffer_load_dword v50, off, s[0:3], 0 offset:172
	s_mov_b32 s4, exec_lo
	s_waitcnt vmcnt(0)
	ds_write_b64 v48, v[49:50]
	s_waitcnt lgkmcnt(0)
	s_barrier
	buffer_gl0_inv
	v_cmpx_ne_u32_e32 21, v0
	s_cbranch_execz .LBB21_99
; %bb.96:
	v_mov_b32_e32 v46, 0
	v_mov_b32_e32 v49, 0
	s_mov_b32 s5, 0
	.p2align	6
.LBB21_97:                              ; =>This Inner Loop Header: Depth=1
	s_clause 0x1
	buffer_load_dword v52, v47, s[0:3], 0 offen offset:4
	buffer_load_dword v53, v47, s[0:3], 0 offen
	ds_read_b64 v[50:51], v48
	v_add_nc_u32_e32 v45, 1, v45
	v_add_nc_u32_e32 v48, 8, v48
	;; [unrolled: 1-line block ×3, first 2 shown]
	v_cmp_lt_u32_e32 vcc_lo, 19, v45
	s_or_b32 s5, vcc_lo, s5
	s_waitcnt vmcnt(1) lgkmcnt(0)
	v_mul_f32_e32 v54, v51, v52
	v_mul_f32_e32 v52, v50, v52
	s_waitcnt vmcnt(0)
	v_fma_f32 v50, v50, v53, -v54
	v_fmac_f32_e32 v52, v51, v53
	v_add_f32_e32 v49, v49, v50
	v_add_f32_e32 v46, v46, v52
	s_andn2_b32 exec_lo, exec_lo, s5
	s_cbranch_execnz .LBB21_97
; %bb.98:
	s_or_b32 exec_lo, exec_lo, s5
	v_mov_b32_e32 v45, 0
	ds_read_b64 v[47:48], v45 offset:168
	s_waitcnt lgkmcnt(0)
	v_mul_f32_e32 v45, v46, v48
	v_mul_f32_e32 v48, v49, v48
	v_fma_f32 v45, v49, v47, -v45
	v_fmac_f32_e32 v48, v46, v47
	buffer_store_dword v45, off, s[0:3], 0 offset:168
	buffer_store_dword v48, off, s[0:3], 0 offset:172
.LBB21_99:
	s_or_b32 exec_lo, exec_lo, s4
	s_mov_b32 s5, -1
	s_waitcnt_vscnt null, 0x0
	s_barrier
	buffer_gl0_inv
.LBB21_100:
	s_and_b32 vcc_lo, exec_lo, s5
	s_cbranch_vccz .LBB21_102
; %bb.101:
	s_lshl_b64 s[4:5], s[6:7], 2
	v_mov_b32_e32 v45, 0
	s_add_u32 s4, s10, s4
	s_addc_u32 s5, s11, s5
	global_load_dword v45, v45, s[4:5]
	s_waitcnt vmcnt(0)
	v_cmp_ne_u32_e32 vcc_lo, 0, v45
	s_cbranch_vccz .LBB21_103
.LBB21_102:
	s_endpgm
.LBB21_103:
	v_lshl_add_u32 v45, v0, 3, 0xb0
	s_mov_b32 s4, exec_lo
	v_cmpx_eq_u32_e32 21, v0
	s_cbranch_execz .LBB21_105
; %bb.104:
	s_clause 0x1
	buffer_load_dword v46, off, s[0:3], 0 offset:160
	buffer_load_dword v47, off, s[0:3], 0 offset:164
	v_mov_b32_e32 v48, 0
	buffer_store_dword v48, off, s[0:3], 0 offset:160
	buffer_store_dword v48, off, s[0:3], 0 offset:164
	s_waitcnt vmcnt(0)
	ds_write_b64 v45, v[46:47]
.LBB21_105:
	s_or_b32 exec_lo, exec_lo, s4
	s_waitcnt lgkmcnt(0)
	s_waitcnt_vscnt null, 0x0
	s_barrier
	buffer_gl0_inv
	s_clause 0x3
	buffer_load_dword v49, off, s[0:3], 0 offset:172
	buffer_load_dword v50, off, s[0:3], 0 offset:168
	;; [unrolled: 1-line block ×4, first 2 shown]
	v_mov_b32_e32 v46, 0
	s_mov_b32 s4, exec_lo
	ds_read_b64 v[47:48], v46 offset:344
	s_waitcnt vmcnt(3) lgkmcnt(0)
	v_mul_f32_e32 v53, v48, v49
	v_mul_f32_e32 v49, v47, v49
	s_waitcnt vmcnt(2)
	v_fma_f32 v47, v47, v50, -v53
	v_fmac_f32_e32 v49, v48, v50
	v_add_f32_e32 v47, 0, v47
	v_add_f32_e32 v48, 0, v49
	s_waitcnt vmcnt(1)
	v_sub_f32_e32 v47, v51, v47
	s_waitcnt vmcnt(0)
	v_sub_f32_e32 v48, v52, v48
	buffer_store_dword v47, off, s[0:3], 0 offset:160
	buffer_store_dword v48, off, s[0:3], 0 offset:164
	v_cmpx_lt_u32_e32 19, v0
	s_cbranch_execz .LBB21_107
; %bb.106:
	s_clause 0x1
	buffer_load_dword v47, off, s[0:3], 0 offset:152
	buffer_load_dword v48, off, s[0:3], 0 offset:156
	buffer_store_dword v46, off, s[0:3], 0 offset:152
	buffer_store_dword v46, off, s[0:3], 0 offset:156
	s_waitcnt vmcnt(0)
	ds_write_b64 v45, v[47:48]
.LBB21_107:
	s_or_b32 exec_lo, exec_lo, s4
	s_waitcnt lgkmcnt(0)
	s_waitcnt_vscnt null, 0x0
	s_barrier
	buffer_gl0_inv
	s_clause 0x5
	buffer_load_dword v50, off, s[0:3], 0 offset:164
	buffer_load_dword v51, off, s[0:3], 0 offset:172
	;; [unrolled: 1-line block ×6, first 2 shown]
	ds_read_b128 v[46:49], v46 offset:336
	s_mov_b32 s4, exec_lo
	s_waitcnt vmcnt(5) lgkmcnt(0)
	v_mul_f32_e32 v56, v47, v50
	v_mul_f32_e32 v50, v46, v50
	s_waitcnt vmcnt(4)
	v_mul_f32_e32 v57, v48, v51
	v_mul_f32_e32 v51, v49, v51
	s_waitcnt vmcnt(3)
	v_fma_f32 v46, v46, v52, -v56
	v_fmac_f32_e32 v50, v47, v52
	s_waitcnt vmcnt(2)
	v_fmac_f32_e32 v57, v49, v53
	v_fma_f32 v47, v48, v53, -v51
	v_add_f32_e32 v46, 0, v46
	v_add_f32_e32 v48, 0, v50
	;; [unrolled: 1-line block ×4, first 2 shown]
	s_waitcnt vmcnt(1)
	v_sub_f32_e32 v46, v54, v46
	s_waitcnt vmcnt(0)
	v_sub_f32_e32 v47, v55, v47
	buffer_store_dword v46, off, s[0:3], 0 offset:152
	buffer_store_dword v47, off, s[0:3], 0 offset:156
	v_cmpx_lt_u32_e32 18, v0
	s_cbranch_execz .LBB21_109
; %bb.108:
	s_clause 0x1
	buffer_load_dword v46, off, s[0:3], 0 offset:144
	buffer_load_dword v47, off, s[0:3], 0 offset:148
	v_mov_b32_e32 v48, 0
	buffer_store_dword v48, off, s[0:3], 0 offset:144
	buffer_store_dword v48, off, s[0:3], 0 offset:148
	s_waitcnt vmcnt(0)
	ds_write_b64 v45, v[46:47]
.LBB21_109:
	s_or_b32 exec_lo, exec_lo, s4
	s_waitcnt lgkmcnt(0)
	s_waitcnt_vscnt null, 0x0
	s_barrier
	buffer_gl0_inv
	s_clause 0x7
	buffer_load_dword v53, off, s[0:3], 0 offset:156
	buffer_load_dword v54, off, s[0:3], 0 offset:164
	buffer_load_dword v55, off, s[0:3], 0 offset:172
	buffer_load_dword v56, off, s[0:3], 0 offset:152
	buffer_load_dword v57, off, s[0:3], 0 offset:160
	buffer_load_dword v58, off, s[0:3], 0 offset:168
	buffer_load_dword v59, off, s[0:3], 0 offset:144
	buffer_load_dword v60, off, s[0:3], 0 offset:148
	v_mov_b32_e32 v46, 0
	ds_read2_b64 v[47:50], v46 offset0:41 offset1:42
	ds_read_b64 v[51:52], v46 offset:344
	s_mov_b32 s4, exec_lo
	s_waitcnt vmcnt(7) lgkmcnt(1)
	v_mul_f32_e32 v61, v48, v53
	v_mul_f32_e32 v53, v47, v53
	s_waitcnt vmcnt(6)
	v_mul_f32_e32 v62, v49, v54
	v_mul_f32_e32 v54, v50, v54
	s_waitcnt vmcnt(5) lgkmcnt(0)
	v_mul_f32_e32 v63, v51, v55
	s_waitcnt vmcnt(4)
	v_fma_f32 v47, v47, v56, -v61
	v_fmac_f32_e32 v53, v48, v56
	v_mul_f32_e32 v48, v52, v55
	s_waitcnt vmcnt(3)
	v_fma_f32 v49, v49, v57, -v54
	v_fmac_f32_e32 v62, v50, v57
	v_add_f32_e32 v47, 0, v47
	v_add_f32_e32 v50, 0, v53
	s_waitcnt vmcnt(2)
	v_fma_f32 v48, v51, v58, -v48
	v_fmac_f32_e32 v63, v52, v58
	v_add_f32_e32 v47, v47, v49
	v_add_f32_e32 v49, v50, v62
	;; [unrolled: 1-line block ×4, first 2 shown]
	s_waitcnt vmcnt(1)
	v_sub_f32_e32 v47, v59, v47
	s_waitcnt vmcnt(0)
	v_sub_f32_e32 v48, v60, v48
	buffer_store_dword v47, off, s[0:3], 0 offset:144
	buffer_store_dword v48, off, s[0:3], 0 offset:148
	v_cmpx_lt_u32_e32 17, v0
	s_cbranch_execz .LBB21_111
; %bb.110:
	s_clause 0x1
	buffer_load_dword v47, off, s[0:3], 0 offset:136
	buffer_load_dword v48, off, s[0:3], 0 offset:140
	buffer_store_dword v46, off, s[0:3], 0 offset:136
	buffer_store_dword v46, off, s[0:3], 0 offset:140
	s_waitcnt vmcnt(0)
	ds_write_b64 v45, v[47:48]
.LBB21_111:
	s_or_b32 exec_lo, exec_lo, s4
	s_waitcnt lgkmcnt(0)
	s_waitcnt_vscnt null, 0x0
	s_barrier
	buffer_gl0_inv
	s_clause 0x9
	buffer_load_dword v55, off, s[0:3], 0 offset:148
	buffer_load_dword v56, off, s[0:3], 0 offset:156
	;; [unrolled: 1-line block ×10, first 2 shown]
	ds_read_b128 v[47:50], v46 offset:320
	ds_read_b128 v[51:54], v46 offset:336
	s_mov_b32 s4, exec_lo
	s_waitcnt vmcnt(9) lgkmcnt(1)
	v_mul_f32_e32 v46, v47, v55
	v_mul_f32_e32 v55, v48, v55
	s_waitcnt vmcnt(8)
	v_mul_f32_e32 v65, v49, v56
	v_mul_f32_e32 v56, v50, v56
	s_waitcnt vmcnt(7) lgkmcnt(0)
	v_mul_f32_e32 v66, v51, v57
	s_waitcnt vmcnt(5)
	v_fmac_f32_e32 v46, v48, v59
	v_fma_f32 v47, v47, v59, -v55
	v_mul_f32_e32 v48, v52, v57
	s_waitcnt vmcnt(4)
	v_fma_f32 v49, v49, v60, -v56
	v_fmac_f32_e32 v65, v50, v60
	v_add_f32_e32 v46, 0, v46
	v_add_f32_e32 v47, 0, v47
	v_mul_f32_e32 v50, v54, v58
	s_waitcnt vmcnt(3)
	v_fma_f32 v48, v51, v61, -v48
	v_mul_f32_e32 v67, v53, v58
	v_fmac_f32_e32 v66, v52, v61
	v_add_f32_e32 v47, v47, v49
	v_add_f32_e32 v46, v46, v65
	s_waitcnt vmcnt(2)
	v_fma_f32 v49, v53, v62, -v50
	v_fmac_f32_e32 v67, v54, v62
	v_add_f32_e32 v47, v47, v48
	v_add_f32_e32 v46, v46, v66
	;; [unrolled: 1-line block ×4, first 2 shown]
	s_waitcnt vmcnt(1)
	v_sub_f32_e32 v47, v63, v47
	s_waitcnt vmcnt(0)
	v_sub_f32_e32 v46, v64, v46
	buffer_store_dword v47, off, s[0:3], 0 offset:136
	buffer_store_dword v46, off, s[0:3], 0 offset:140
	v_cmpx_lt_u32_e32 16, v0
	s_cbranch_execz .LBB21_113
; %bb.112:
	s_clause 0x1
	buffer_load_dword v46, off, s[0:3], 0 offset:128
	buffer_load_dword v47, off, s[0:3], 0 offset:132
	v_mov_b32_e32 v48, 0
	buffer_store_dword v48, off, s[0:3], 0 offset:128
	buffer_store_dword v48, off, s[0:3], 0 offset:132
	s_waitcnt vmcnt(0)
	ds_write_b64 v45, v[46:47]
.LBB21_113:
	s_or_b32 exec_lo, exec_lo, s4
	s_waitcnt lgkmcnt(0)
	s_waitcnt_vscnt null, 0x0
	s_barrier
	buffer_gl0_inv
	s_clause 0xb
	buffer_load_dword v57, off, s[0:3], 0 offset:140
	buffer_load_dword v58, off, s[0:3], 0 offset:148
	;; [unrolled: 1-line block ×12, first 2 shown]
	v_mov_b32_e32 v46, 0
	ds_read2_b64 v[47:50], v46 offset0:39 offset1:40
	ds_read2_b64 v[51:54], v46 offset0:41 offset1:42
	ds_read_b64 v[55:56], v46 offset:344
	s_mov_b32 s4, exec_lo
	s_waitcnt vmcnt(11) lgkmcnt(2)
	v_mul_f32_e32 v69, v47, v57
	v_mul_f32_e32 v57, v48, v57
	s_waitcnt vmcnt(10)
	v_mul_f32_e32 v70, v49, v58
	v_mul_f32_e32 v58, v50, v58
	s_waitcnt vmcnt(9) lgkmcnt(1)
	v_mul_f32_e32 v71, v51, v59
	s_waitcnt vmcnt(6)
	v_fmac_f32_e32 v69, v48, v62
	v_fma_f32 v47, v47, v62, -v57
	v_mul_f32_e32 v48, v52, v59
	s_waitcnt vmcnt(5)
	v_fma_f32 v49, v49, v63, -v58
	v_fmac_f32_e32 v70, v50, v63
	v_add_f32_e32 v50, 0, v69
	v_add_f32_e32 v47, 0, v47
	v_mul_f32_e32 v57, v54, v60
	s_waitcnt vmcnt(4)
	v_fma_f32 v48, v51, v64, -v48
	v_mul_f32_e32 v72, v53, v60
	v_fmac_f32_e32 v71, v52, v64
	v_add_f32_e32 v47, v47, v49
	v_add_f32_e32 v49, v50, v70
	s_waitcnt lgkmcnt(0)
	v_mul_f32_e32 v50, v56, v61
	s_waitcnt vmcnt(3)
	v_fma_f32 v51, v53, v65, -v57
	v_mul_f32_e32 v73, v55, v61
	v_add_f32_e32 v47, v47, v48
	v_fmac_f32_e32 v72, v54, v65
	v_add_f32_e32 v48, v49, v71
	s_waitcnt vmcnt(2)
	v_fma_f32 v49, v55, v66, -v50
	v_fmac_f32_e32 v73, v56, v66
	v_add_f32_e32 v47, v47, v51
	v_add_f32_e32 v48, v48, v72
	;; [unrolled: 1-line block ×4, first 2 shown]
	s_waitcnt vmcnt(1)
	v_sub_f32_e32 v47, v67, v47
	s_waitcnt vmcnt(0)
	v_sub_f32_e32 v48, v68, v48
	buffer_store_dword v47, off, s[0:3], 0 offset:128
	buffer_store_dword v48, off, s[0:3], 0 offset:132
	v_cmpx_lt_u32_e32 15, v0
	s_cbranch_execz .LBB21_115
; %bb.114:
	s_clause 0x1
	buffer_load_dword v47, off, s[0:3], 0 offset:120
	buffer_load_dword v48, off, s[0:3], 0 offset:124
	buffer_store_dword v46, off, s[0:3], 0 offset:120
	buffer_store_dword v46, off, s[0:3], 0 offset:124
	s_waitcnt vmcnt(0)
	ds_write_b64 v45, v[47:48]
.LBB21_115:
	s_or_b32 exec_lo, exec_lo, s4
	s_waitcnt lgkmcnt(0)
	s_waitcnt_vscnt null, 0x0
	s_barrier
	buffer_gl0_inv
	s_clause 0xd
	buffer_load_dword v59, off, s[0:3], 0 offset:132
	buffer_load_dword v60, off, s[0:3], 0 offset:140
	;; [unrolled: 1-line block ×14, first 2 shown]
	ds_read_b128 v[47:50], v46 offset:304
	ds_read_b128 v[51:54], v46 offset:320
	;; [unrolled: 1-line block ×3, first 2 shown]
	s_mov_b32 s4, exec_lo
	s_waitcnt vmcnt(13) lgkmcnt(2)
	v_mul_f32_e32 v46, v47, v59
	v_mul_f32_e32 v59, v48, v59
	s_waitcnt vmcnt(12)
	v_mul_f32_e32 v73, v49, v60
	v_mul_f32_e32 v60, v50, v60
	s_waitcnt vmcnt(11) lgkmcnt(1)
	v_mul_f32_e32 v74, v51, v61
	s_waitcnt vmcnt(10)
	v_mul_f32_e32 v75, v53, v62
	s_waitcnt vmcnt(7)
	v_fma_f32 v47, v47, v65, -v59
	v_fmac_f32_e32 v46, v48, v65
	v_mul_f32_e32 v48, v52, v61
	s_waitcnt vmcnt(6)
	v_fma_f32 v49, v49, v66, -v60
	v_fmac_f32_e32 v73, v50, v66
	v_add_f32_e32 v47, 0, v47
	v_add_f32_e32 v46, 0, v46
	v_mul_f32_e32 v50, v54, v62
	s_waitcnt vmcnt(5)
	v_fma_f32 v48, v51, v67, -v48
	v_fmac_f32_e32 v74, v52, v67
	v_add_f32_e32 v47, v47, v49
	v_add_f32_e32 v46, v46, v73
	s_waitcnt lgkmcnt(0)
	v_mul_f32_e32 v49, v56, v63
	s_waitcnt vmcnt(4)
	v_fma_f32 v50, v53, v68, -v50
	v_mul_f32_e32 v76, v55, v63
	v_add_f32_e32 v47, v47, v48
	v_fmac_f32_e32 v75, v54, v68
	v_add_f32_e32 v46, v46, v74
	v_mul_f32_e32 v48, v58, v64
	s_waitcnt vmcnt(3)
	v_fma_f32 v49, v55, v69, -v49
	v_add_f32_e32 v47, v47, v50
	v_mul_f32_e32 v77, v57, v64
	v_fmac_f32_e32 v76, v56, v69
	v_add_f32_e32 v46, v46, v75
	s_waitcnt vmcnt(2)
	v_fma_f32 v48, v57, v70, -v48
	v_add_f32_e32 v47, v47, v49
	v_fmac_f32_e32 v77, v58, v70
	v_add_f32_e32 v46, v46, v76
	v_add_f32_e32 v47, v47, v48
	;; [unrolled: 1-line block ×3, first 2 shown]
	s_waitcnt vmcnt(1)
	v_sub_f32_e32 v47, v71, v47
	s_waitcnt vmcnt(0)
	v_sub_f32_e32 v46, v72, v46
	buffer_store_dword v47, off, s[0:3], 0 offset:120
	buffer_store_dword v46, off, s[0:3], 0 offset:124
	v_cmpx_lt_u32_e32 14, v0
	s_cbranch_execz .LBB21_117
; %bb.116:
	s_clause 0x1
	buffer_load_dword v46, off, s[0:3], 0 offset:112
	buffer_load_dword v47, off, s[0:3], 0 offset:116
	v_mov_b32_e32 v48, 0
	buffer_store_dword v48, off, s[0:3], 0 offset:112
	buffer_store_dword v48, off, s[0:3], 0 offset:116
	s_waitcnt vmcnt(0)
	ds_write_b64 v45, v[46:47]
.LBB21_117:
	s_or_b32 exec_lo, exec_lo, s4
	s_waitcnt lgkmcnt(0)
	s_waitcnt_vscnt null, 0x0
	s_barrier
	buffer_gl0_inv
	s_clause 0xf
	buffer_load_dword v61, off, s[0:3], 0 offset:124
	buffer_load_dword v62, off, s[0:3], 0 offset:132
	;; [unrolled: 1-line block ×16, first 2 shown]
	v_mov_b32_e32 v46, 0
	ds_read2_b64 v[47:50], v46 offset0:37 offset1:38
	ds_read2_b64 v[51:54], v46 offset0:39 offset1:40
	ds_read2_b64 v[55:58], v46 offset0:41 offset1:42
	ds_read_b64 v[59:60], v46 offset:344
	s_mov_b32 s4, exec_lo
	s_waitcnt vmcnt(15) lgkmcnt(3)
	v_mul_f32_e32 v77, v47, v61
	v_mul_f32_e32 v61, v48, v61
	s_waitcnt vmcnt(14)
	v_mul_f32_e32 v78, v49, v62
	v_mul_f32_e32 v62, v50, v62
	s_waitcnt vmcnt(13) lgkmcnt(2)
	v_mul_f32_e32 v79, v51, v63
	s_waitcnt vmcnt(12)
	v_mul_f32_e32 v80, v53, v64
	s_waitcnt vmcnt(11) lgkmcnt(1)
	v_mul_f32_e32 v81, v55, v65
	s_waitcnt vmcnt(8)
	v_fma_f32 v47, v47, v68, -v61
	v_fmac_f32_e32 v77, v48, v68
	v_mul_f32_e32 v48, v52, v63
	s_waitcnt vmcnt(7)
	v_fma_f32 v49, v49, v69, -v62
	v_fmac_f32_e32 v78, v50, v69
	v_add_f32_e32 v47, 0, v47
	v_add_f32_e32 v50, 0, v77
	v_mul_f32_e32 v61, v54, v64
	s_waitcnt vmcnt(6)
	v_fma_f32 v48, v51, v70, -v48
	v_fmac_f32_e32 v79, v52, v70
	v_add_f32_e32 v47, v47, v49
	v_add_f32_e32 v49, v50, v78
	v_mul_f32_e32 v50, v56, v65
	s_waitcnt vmcnt(5)
	v_fma_f32 v51, v53, v71, -v61
	v_fmac_f32_e32 v80, v54, v71
	v_add_f32_e32 v47, v47, v48
	v_add_f32_e32 v48, v49, v79
	v_mul_f32_e32 v49, v58, v66
	s_waitcnt vmcnt(4)
	v_fma_f32 v50, v55, v72, -v50
	v_mul_f32_e32 v82, v57, v66
	v_add_f32_e32 v47, v47, v51
	v_fmac_f32_e32 v81, v56, v72
	v_add_f32_e32 v48, v48, v80
	s_waitcnt lgkmcnt(0)
	v_mul_f32_e32 v51, v60, v67
	s_waitcnt vmcnt(3)
	v_fma_f32 v49, v57, v73, -v49
	v_add_f32_e32 v47, v47, v50
	v_mul_f32_e32 v83, v59, v67
	v_fmac_f32_e32 v82, v58, v73
	v_add_f32_e32 v48, v48, v81
	s_waitcnt vmcnt(2)
	v_fma_f32 v50, v59, v74, -v51
	v_add_f32_e32 v47, v47, v49
	v_fmac_f32_e32 v83, v60, v74
	v_add_f32_e32 v48, v48, v82
	v_add_f32_e32 v47, v47, v50
	;; [unrolled: 1-line block ×3, first 2 shown]
	s_waitcnt vmcnt(1)
	v_sub_f32_e32 v47, v75, v47
	s_waitcnt vmcnt(0)
	v_sub_f32_e32 v48, v76, v48
	buffer_store_dword v47, off, s[0:3], 0 offset:112
	buffer_store_dword v48, off, s[0:3], 0 offset:116
	v_cmpx_lt_u32_e32 13, v0
	s_cbranch_execz .LBB21_119
; %bb.118:
	s_clause 0x1
	buffer_load_dword v47, off, s[0:3], 0 offset:104
	buffer_load_dword v48, off, s[0:3], 0 offset:108
	buffer_store_dword v46, off, s[0:3], 0 offset:104
	buffer_store_dword v46, off, s[0:3], 0 offset:108
	s_waitcnt vmcnt(0)
	ds_write_b64 v45, v[47:48]
.LBB21_119:
	s_or_b32 exec_lo, exec_lo, s4
	s_waitcnt lgkmcnt(0)
	s_waitcnt_vscnt null, 0x0
	s_barrier
	buffer_gl0_inv
	s_clause 0x11
	buffer_load_dword v63, off, s[0:3], 0 offset:116
	buffer_load_dword v64, off, s[0:3], 0 offset:124
	;; [unrolled: 1-line block ×18, first 2 shown]
	ds_read_b128 v[47:50], v46 offset:288
	ds_read_b128 v[51:54], v46 offset:304
	ds_read_b128 v[55:58], v46 offset:320
	ds_read_b128 v[59:62], v46 offset:336
	s_mov_b32 s4, exec_lo
	s_waitcnt vmcnt(17) lgkmcnt(3)
	v_mul_f32_e32 v46, v47, v63
	v_mul_f32_e32 v63, v48, v63
	s_waitcnt vmcnt(16)
	v_mul_f32_e32 v81, v49, v64
	v_mul_f32_e32 v64, v50, v64
	s_waitcnt vmcnt(15) lgkmcnt(2)
	v_mul_f32_e32 v82, v51, v65
	s_waitcnt vmcnt(14)
	v_mul_f32_e32 v83, v53, v66
	s_waitcnt vmcnt(13) lgkmcnt(1)
	v_mul_f32_e32 v84, v55, v67
	s_waitcnt vmcnt(12)
	v_mul_f32_e32 v85, v57, v68
	s_waitcnt vmcnt(9)
	v_fma_f32 v47, v47, v71, -v63
	v_fmac_f32_e32 v46, v48, v71
	v_mul_f32_e32 v48, v52, v65
	s_waitcnt vmcnt(8)
	v_fma_f32 v49, v49, v72, -v64
	v_fmac_f32_e32 v81, v50, v72
	v_add_f32_e32 v47, 0, v47
	v_add_f32_e32 v46, 0, v46
	v_mul_f32_e32 v50, v54, v66
	s_waitcnt vmcnt(7)
	v_fma_f32 v48, v51, v73, -v48
	v_fmac_f32_e32 v82, v52, v73
	v_add_f32_e32 v47, v47, v49
	v_add_f32_e32 v46, v46, v81
	v_mul_f32_e32 v49, v56, v67
	s_waitcnt vmcnt(6)
	v_fma_f32 v50, v53, v74, -v50
	v_fmac_f32_e32 v83, v54, v74
	v_add_f32_e32 v47, v47, v48
	v_add_f32_e32 v46, v46, v82
	v_mul_f32_e32 v48, v58, v68
	s_waitcnt vmcnt(5)
	v_fma_f32 v49, v55, v75, -v49
	v_fmac_f32_e32 v84, v56, v75
	v_add_f32_e32 v47, v47, v50
	v_add_f32_e32 v46, v46, v83
	s_waitcnt lgkmcnt(0)
	v_mul_f32_e32 v50, v60, v69
	s_waitcnt vmcnt(4)
	v_fma_f32 v48, v57, v76, -v48
	v_mul_f32_e32 v86, v59, v69
	v_add_f32_e32 v47, v47, v49
	v_fmac_f32_e32 v85, v58, v76
	v_add_f32_e32 v46, v46, v84
	v_mul_f32_e32 v49, v62, v70
	s_waitcnt vmcnt(3)
	v_fma_f32 v50, v59, v77, -v50
	v_add_f32_e32 v47, v47, v48
	v_mul_f32_e32 v87, v61, v70
	v_fmac_f32_e32 v86, v60, v77
	v_add_f32_e32 v46, v46, v85
	s_waitcnt vmcnt(2)
	v_fma_f32 v48, v61, v78, -v49
	v_add_f32_e32 v47, v47, v50
	v_fmac_f32_e32 v87, v62, v78
	v_add_f32_e32 v46, v46, v86
	v_add_f32_e32 v47, v47, v48
	;; [unrolled: 1-line block ×3, first 2 shown]
	s_waitcnt vmcnt(1)
	v_sub_f32_e32 v47, v79, v47
	s_waitcnt vmcnt(0)
	v_sub_f32_e32 v46, v80, v46
	buffer_store_dword v47, off, s[0:3], 0 offset:104
	buffer_store_dword v46, off, s[0:3], 0 offset:108
	v_cmpx_lt_u32_e32 12, v0
	s_cbranch_execz .LBB21_121
; %bb.120:
	s_clause 0x1
	buffer_load_dword v46, off, s[0:3], 0 offset:96
	buffer_load_dword v47, off, s[0:3], 0 offset:100
	v_mov_b32_e32 v48, 0
	buffer_store_dword v48, off, s[0:3], 0 offset:96
	buffer_store_dword v48, off, s[0:3], 0 offset:100
	s_waitcnt vmcnt(0)
	ds_write_b64 v45, v[46:47]
.LBB21_121:
	s_or_b32 exec_lo, exec_lo, s4
	s_waitcnt lgkmcnt(0)
	s_waitcnt_vscnt null, 0x0
	s_barrier
	buffer_gl0_inv
	s_clause 0x13
	buffer_load_dword v65, off, s[0:3], 0 offset:108
	buffer_load_dword v66, off, s[0:3], 0 offset:116
	;; [unrolled: 1-line block ×20, first 2 shown]
	v_mov_b32_e32 v46, 0
	ds_read2_b64 v[47:50], v46 offset0:35 offset1:36
	ds_read2_b64 v[51:54], v46 offset0:37 offset1:38
	;; [unrolled: 1-line block ×4, first 2 shown]
	ds_read_b64 v[63:64], v46 offset:344
	s_mov_b32 s4, exec_lo
	s_waitcnt vmcnt(19) lgkmcnt(4)
	v_mul_f32_e32 v85, v47, v65
	v_mul_f32_e32 v65, v48, v65
	s_waitcnt vmcnt(18)
	v_mul_f32_e32 v86, v49, v66
	v_mul_f32_e32 v66, v50, v66
	s_waitcnt vmcnt(17) lgkmcnt(3)
	v_mul_f32_e32 v87, v51, v67
	s_waitcnt vmcnt(16)
	v_mul_f32_e32 v88, v53, v68
	s_waitcnt vmcnt(15) lgkmcnt(2)
	v_mul_f32_e32 v89, v55, v69
	s_waitcnt vmcnt(14)
	;; [unrolled: 4-line block ×3, first 2 shown]
	v_fma_f32 v47, v47, v74, -v65
	v_fmac_f32_e32 v85, v48, v74
	v_mul_f32_e32 v48, v52, v67
	s_waitcnt vmcnt(9)
	v_fma_f32 v49, v49, v75, -v66
	v_fmac_f32_e32 v86, v50, v75
	v_add_f32_e32 v47, 0, v47
	v_add_f32_e32 v50, 0, v85
	v_mul_f32_e32 v65, v54, v68
	s_waitcnt vmcnt(8)
	v_fma_f32 v48, v51, v76, -v48
	v_fmac_f32_e32 v87, v52, v76
	v_add_f32_e32 v47, v47, v49
	v_add_f32_e32 v49, v50, v86
	v_mul_f32_e32 v50, v56, v69
	s_waitcnt vmcnt(7)
	v_fma_f32 v51, v53, v77, -v65
	v_fmac_f32_e32 v88, v54, v77
	v_add_f32_e32 v47, v47, v48
	v_add_f32_e32 v48, v49, v87
	v_mul_f32_e32 v49, v58, v70
	s_waitcnt vmcnt(6)
	v_fma_f32 v50, v55, v78, -v50
	v_fmac_f32_e32 v89, v56, v78
	v_add_f32_e32 v47, v47, v51
	v_add_f32_e32 v48, v48, v88
	v_mul_f32_e32 v51, v60, v71
	s_waitcnt vmcnt(5)
	v_fma_f32 v49, v57, v79, -v49
	v_fmac_f32_e32 v90, v58, v79
	v_add_f32_e32 v47, v47, v50
	v_add_f32_e32 v48, v48, v89
	v_mul_f32_e32 v50, v62, v72
	s_waitcnt vmcnt(4)
	v_fma_f32 v51, v59, v80, -v51
	v_mul_f32_e32 v92, v61, v72
	v_add_f32_e32 v47, v47, v49
	v_fmac_f32_e32 v91, v60, v80
	v_add_f32_e32 v48, v48, v90
	s_waitcnt lgkmcnt(0)
	v_mul_f32_e32 v49, v64, v73
	s_waitcnt vmcnt(3)
	v_fma_f32 v50, v61, v81, -v50
	v_add_f32_e32 v47, v47, v51
	v_mul_f32_e32 v93, v63, v73
	v_fmac_f32_e32 v92, v62, v81
	v_add_f32_e32 v48, v48, v91
	s_waitcnt vmcnt(2)
	v_fma_f32 v49, v63, v82, -v49
	v_add_f32_e32 v47, v47, v50
	v_fmac_f32_e32 v93, v64, v82
	v_add_f32_e32 v48, v48, v92
	v_add_f32_e32 v47, v47, v49
	v_add_f32_e32 v48, v48, v93
	s_waitcnt vmcnt(1)
	v_sub_f32_e32 v47, v83, v47
	s_waitcnt vmcnt(0)
	v_sub_f32_e32 v48, v84, v48
	buffer_store_dword v47, off, s[0:3], 0 offset:96
	buffer_store_dword v48, off, s[0:3], 0 offset:100
	v_cmpx_lt_u32_e32 11, v0
	s_cbranch_execz .LBB21_123
; %bb.122:
	s_clause 0x1
	buffer_load_dword v47, off, s[0:3], 0 offset:88
	buffer_load_dword v48, off, s[0:3], 0 offset:92
	buffer_store_dword v46, off, s[0:3], 0 offset:88
	buffer_store_dword v46, off, s[0:3], 0 offset:92
	s_waitcnt vmcnt(0)
	ds_write_b64 v45, v[47:48]
.LBB21_123:
	s_or_b32 exec_lo, exec_lo, s4
	s_waitcnt lgkmcnt(0)
	s_waitcnt_vscnt null, 0x0
	s_barrier
	buffer_gl0_inv
	s_clause 0x15
	buffer_load_dword v67, off, s[0:3], 0 offset:100
	buffer_load_dword v68, off, s[0:3], 0 offset:108
	;; [unrolled: 1-line block ×22, first 2 shown]
	ds_read_b128 v[47:50], v46 offset:272
	ds_read_b128 v[51:54], v46 offset:288
	;; [unrolled: 1-line block ×5, first 2 shown]
	s_mov_b32 s4, exec_lo
	s_waitcnt vmcnt(21) lgkmcnt(4)
	v_mul_f32_e32 v46, v47, v67
	v_mul_f32_e32 v67, v48, v67
	s_waitcnt vmcnt(20)
	v_mul_f32_e32 v89, v49, v68
	v_mul_f32_e32 v68, v50, v68
	s_waitcnt vmcnt(19) lgkmcnt(3)
	v_mul_f32_e32 v90, v51, v69
	s_waitcnt vmcnt(18)
	v_mul_f32_e32 v91, v53, v70
	s_waitcnt vmcnt(17) lgkmcnt(2)
	v_mul_f32_e32 v92, v55, v71
	s_waitcnt vmcnt(16)
	;; [unrolled: 4-line block ×3, first 2 shown]
	v_mul_f32_e32 v95, v61, v74
	s_waitcnt vmcnt(11)
	v_fma_f32 v47, v47, v77, -v67
	v_fmac_f32_e32 v46, v48, v77
	v_mul_f32_e32 v48, v52, v69
	s_waitcnt vmcnt(10)
	v_fma_f32 v49, v49, v78, -v68
	v_fmac_f32_e32 v89, v50, v78
	v_add_f32_e32 v47, 0, v47
	v_add_f32_e32 v46, 0, v46
	v_mul_f32_e32 v50, v54, v70
	s_waitcnt vmcnt(9)
	v_fma_f32 v48, v51, v79, -v48
	v_fmac_f32_e32 v90, v52, v79
	v_add_f32_e32 v47, v47, v49
	v_add_f32_e32 v46, v46, v89
	;; [unrolled: 6-line block ×6, first 2 shown]
	s_waitcnt lgkmcnt(0)
	v_mul_f32_e32 v48, v64, v75
	s_waitcnt vmcnt(4)
	v_fma_f32 v49, v61, v84, -v49
	v_mul_f32_e32 v96, v63, v75
	v_add_f32_e32 v47, v47, v50
	v_fmac_f32_e32 v95, v62, v84
	v_add_f32_e32 v46, v46, v94
	v_mul_f32_e32 v50, v66, v76
	s_waitcnt vmcnt(3)
	v_fma_f32 v48, v63, v85, -v48
	v_add_f32_e32 v47, v47, v49
	v_mul_f32_e32 v97, v65, v76
	v_fmac_f32_e32 v96, v64, v85
	v_add_f32_e32 v46, v46, v95
	s_waitcnt vmcnt(2)
	v_fma_f32 v49, v65, v86, -v50
	v_add_f32_e32 v47, v47, v48
	v_fmac_f32_e32 v97, v66, v86
	v_add_f32_e32 v46, v46, v96
	v_add_f32_e32 v47, v47, v49
	v_add_f32_e32 v46, v46, v97
	s_waitcnt vmcnt(1)
	v_sub_f32_e32 v47, v87, v47
	s_waitcnt vmcnt(0)
	v_sub_f32_e32 v46, v88, v46
	buffer_store_dword v47, off, s[0:3], 0 offset:88
	buffer_store_dword v46, off, s[0:3], 0 offset:92
	v_cmpx_lt_u32_e32 10, v0
	s_cbranch_execz .LBB21_125
; %bb.124:
	s_clause 0x1
	buffer_load_dword v46, off, s[0:3], 0 offset:80
	buffer_load_dword v47, off, s[0:3], 0 offset:84
	v_mov_b32_e32 v48, 0
	buffer_store_dword v48, off, s[0:3], 0 offset:80
	buffer_store_dword v48, off, s[0:3], 0 offset:84
	s_waitcnt vmcnt(0)
	ds_write_b64 v45, v[46:47]
.LBB21_125:
	s_or_b32 exec_lo, exec_lo, s4
	s_waitcnt lgkmcnt(0)
	s_waitcnt_vscnt null, 0x0
	s_barrier
	buffer_gl0_inv
	s_clause 0x17
	buffer_load_dword v69, off, s[0:3], 0 offset:92
	buffer_load_dword v70, off, s[0:3], 0 offset:100
	;; [unrolled: 1-line block ×24, first 2 shown]
	v_mov_b32_e32 v46, 0
	ds_read2_b64 v[47:50], v46 offset0:33 offset1:34
	ds_read2_b64 v[51:54], v46 offset0:35 offset1:36
	;; [unrolled: 1-line block ×5, first 2 shown]
	ds_read_b64 v[67:68], v46 offset:344
	s_mov_b32 s4, exec_lo
	s_waitcnt vmcnt(23) lgkmcnt(5)
	v_mul_f32_e32 v93, v47, v69
	v_mul_f32_e32 v69, v48, v69
	s_waitcnt vmcnt(22)
	v_mul_f32_e32 v94, v49, v70
	v_mul_f32_e32 v70, v50, v70
	s_waitcnt vmcnt(21) lgkmcnt(4)
	v_mul_f32_e32 v95, v51, v71
	s_waitcnt vmcnt(20)
	v_mul_f32_e32 v96, v53, v72
	s_waitcnt vmcnt(19) lgkmcnt(3)
	v_mul_f32_e32 v97, v55, v73
	s_waitcnt vmcnt(18)
	;; [unrolled: 4-line block ×4, first 2 shown]
	v_fma_f32 v47, v47, v80, -v69
	v_fmac_f32_e32 v93, v48, v80
	v_mul_f32_e32 v48, v52, v71
	s_waitcnt vmcnt(11)
	v_fma_f32 v49, v49, v81, -v70
	v_fmac_f32_e32 v94, v50, v81
	v_add_f32_e32 v47, 0, v47
	v_add_f32_e32 v50, 0, v93
	v_mul_f32_e32 v69, v54, v72
	s_waitcnt vmcnt(10)
	v_fma_f32 v48, v51, v82, -v48
	v_fmac_f32_e32 v95, v52, v82
	v_add_f32_e32 v47, v47, v49
	v_add_f32_e32 v49, v50, v94
	;; [unrolled: 6-line block ×7, first 2 shown]
	v_mul_f32_e32 v51, v66, v78
	s_waitcnt vmcnt(4)
	v_fma_f32 v49, v63, v88, -v49
	v_mul_f32_e32 v102, v65, v78
	v_add_f32_e32 v47, v47, v50
	v_fmac_f32_e32 v101, v64, v88
	v_add_f32_e32 v48, v48, v100
	s_waitcnt lgkmcnt(0)
	v_mul_f32_e32 v50, v68, v79
	s_waitcnt vmcnt(3)
	v_fma_f32 v51, v65, v89, -v51
	v_add_f32_e32 v47, v47, v49
	v_mul_f32_e32 v103, v67, v79
	v_fmac_f32_e32 v102, v66, v89
	v_add_f32_e32 v48, v48, v101
	s_waitcnt vmcnt(2)
	v_fma_f32 v49, v67, v90, -v50
	v_add_f32_e32 v47, v47, v51
	v_fmac_f32_e32 v103, v68, v90
	v_add_f32_e32 v48, v48, v102
	v_add_f32_e32 v47, v47, v49
	;; [unrolled: 1-line block ×3, first 2 shown]
	s_waitcnt vmcnt(1)
	v_sub_f32_e32 v47, v91, v47
	s_waitcnt vmcnt(0)
	v_sub_f32_e32 v48, v92, v48
	buffer_store_dword v47, off, s[0:3], 0 offset:80
	buffer_store_dword v48, off, s[0:3], 0 offset:84
	v_cmpx_lt_u32_e32 9, v0
	s_cbranch_execz .LBB21_127
; %bb.126:
	s_clause 0x1
	buffer_load_dword v47, off, s[0:3], 0 offset:72
	buffer_load_dword v48, off, s[0:3], 0 offset:76
	buffer_store_dword v46, off, s[0:3], 0 offset:72
	buffer_store_dword v46, off, s[0:3], 0 offset:76
	s_waitcnt vmcnt(0)
	ds_write_b64 v45, v[47:48]
.LBB21_127:
	s_or_b32 exec_lo, exec_lo, s4
	s_waitcnt lgkmcnt(0)
	s_waitcnt_vscnt null, 0x0
	s_barrier
	buffer_gl0_inv
	s_clause 0x19
	buffer_load_dword v71, off, s[0:3], 0 offset:84
	buffer_load_dword v72, off, s[0:3], 0 offset:92
	;; [unrolled: 1-line block ×26, first 2 shown]
	ds_read_b128 v[47:50], v46 offset:256
	ds_read_b128 v[51:54], v46 offset:272
	;; [unrolled: 1-line block ×6, first 2 shown]
	s_mov_b32 s4, exec_lo
	s_waitcnt vmcnt(25) lgkmcnt(5)
	v_mul_f32_e32 v46, v47, v71
	v_mul_f32_e32 v71, v48, v71
	s_waitcnt vmcnt(24)
	v_mul_f32_e32 v97, v49, v72
	v_mul_f32_e32 v72, v50, v72
	s_waitcnt vmcnt(23) lgkmcnt(4)
	v_mul_f32_e32 v98, v51, v73
	s_waitcnt vmcnt(22)
	v_mul_f32_e32 v99, v53, v74
	s_waitcnt vmcnt(21) lgkmcnt(3)
	v_mul_f32_e32 v100, v55, v75
	s_waitcnt vmcnt(20)
	;; [unrolled: 4-line block ×4, first 2 shown]
	v_mul_f32_e32 v105, v65, v80
	s_waitcnt vmcnt(13)
	v_fma_f32 v47, v47, v83, -v71
	v_fmac_f32_e32 v46, v48, v83
	v_mul_f32_e32 v48, v52, v73
	s_waitcnt vmcnt(12)
	v_fma_f32 v49, v49, v84, -v72
	v_fmac_f32_e32 v97, v50, v84
	v_add_f32_e32 v47, 0, v47
	v_add_f32_e32 v46, 0, v46
	v_mul_f32_e32 v50, v54, v74
	s_waitcnt vmcnt(11)
	v_fma_f32 v48, v51, v85, -v48
	v_fmac_f32_e32 v98, v52, v85
	v_add_f32_e32 v47, v47, v49
	v_add_f32_e32 v46, v46, v97
	;; [unrolled: 6-line block ×8, first 2 shown]
	s_waitcnt lgkmcnt(0)
	v_mul_f32_e32 v49, v68, v81
	s_waitcnt vmcnt(4)
	v_fma_f32 v50, v65, v92, -v50
	v_mul_f32_e32 v106, v67, v81
	v_add_f32_e32 v47, v47, v48
	v_fmac_f32_e32 v105, v66, v92
	v_add_f32_e32 v46, v46, v104
	v_mul_f32_e32 v48, v70, v82
	s_waitcnt vmcnt(3)
	v_fma_f32 v49, v67, v93, -v49
	v_add_f32_e32 v47, v47, v50
	v_mul_f32_e32 v107, v69, v82
	v_fmac_f32_e32 v106, v68, v93
	v_add_f32_e32 v46, v46, v105
	s_waitcnt vmcnt(2)
	v_fma_f32 v48, v69, v94, -v48
	v_add_f32_e32 v47, v47, v49
	v_fmac_f32_e32 v107, v70, v94
	v_add_f32_e32 v46, v46, v106
	v_add_f32_e32 v47, v47, v48
	;; [unrolled: 1-line block ×3, first 2 shown]
	s_waitcnt vmcnt(1)
	v_sub_f32_e32 v47, v95, v47
	s_waitcnt vmcnt(0)
	v_sub_f32_e32 v46, v96, v46
	buffer_store_dword v47, off, s[0:3], 0 offset:72
	buffer_store_dword v46, off, s[0:3], 0 offset:76
	v_cmpx_lt_u32_e32 8, v0
	s_cbranch_execz .LBB21_129
; %bb.128:
	s_clause 0x1
	buffer_load_dword v46, off, s[0:3], 0 offset:64
	buffer_load_dword v47, off, s[0:3], 0 offset:68
	v_mov_b32_e32 v48, 0
	buffer_store_dword v48, off, s[0:3], 0 offset:64
	buffer_store_dword v48, off, s[0:3], 0 offset:68
	s_waitcnt vmcnt(0)
	ds_write_b64 v45, v[46:47]
.LBB21_129:
	s_or_b32 exec_lo, exec_lo, s4
	s_waitcnt lgkmcnt(0)
	s_waitcnt_vscnt null, 0x0
	s_barrier
	buffer_gl0_inv
	s_clause 0x1b
	buffer_load_dword v73, off, s[0:3], 0 offset:76
	buffer_load_dword v74, off, s[0:3], 0 offset:84
	;; [unrolled: 1-line block ×28, first 2 shown]
	v_mov_b32_e32 v46, 0
	ds_read2_b64 v[47:50], v46 offset0:31 offset1:32
	ds_read2_b64 v[51:54], v46 offset0:33 offset1:34
	;; [unrolled: 1-line block ×6, first 2 shown]
	ds_read_b64 v[71:72], v46 offset:344
	s_mov_b32 s4, exec_lo
	s_waitcnt vmcnt(27) lgkmcnt(6)
	v_mul_f32_e32 v101, v47, v73
	v_mul_f32_e32 v73, v48, v73
	s_waitcnt vmcnt(26)
	v_mul_f32_e32 v102, v49, v74
	v_mul_f32_e32 v74, v50, v74
	s_waitcnt vmcnt(25) lgkmcnt(5)
	v_mul_f32_e32 v103, v51, v75
	s_waitcnt vmcnt(24)
	v_mul_f32_e32 v104, v53, v76
	s_waitcnt vmcnt(23) lgkmcnt(4)
	v_mul_f32_e32 v105, v55, v77
	s_waitcnt vmcnt(22)
	;; [unrolled: 4-line block ×5, first 2 shown]
	v_fma_f32 v47, v47, v86, -v73
	v_fmac_f32_e32 v101, v48, v86
	v_mul_f32_e32 v48, v52, v75
	s_waitcnt vmcnt(13)
	v_fma_f32 v49, v49, v87, -v74
	v_fmac_f32_e32 v102, v50, v87
	v_add_f32_e32 v47, 0, v47
	v_add_f32_e32 v50, 0, v101
	v_mul_f32_e32 v73, v54, v76
	s_waitcnt vmcnt(12)
	v_fma_f32 v48, v51, v88, -v48
	v_fmac_f32_e32 v103, v52, v88
	v_add_f32_e32 v47, v47, v49
	v_add_f32_e32 v49, v50, v102
	;; [unrolled: 6-line block ×9, first 2 shown]
	v_mul_f32_e32 v49, v70, v84
	s_waitcnt vmcnt(4)
	v_fma_f32 v50, v67, v96, -v50
	v_mul_f32_e32 v112, v69, v84
	v_add_f32_e32 v47, v47, v51
	v_fmac_f32_e32 v111, v68, v96
	v_add_f32_e32 v48, v48, v110
	s_waitcnt lgkmcnt(0)
	v_mul_f32_e32 v51, v72, v85
	s_waitcnt vmcnt(3)
	v_fma_f32 v49, v69, v97, -v49
	v_add_f32_e32 v47, v47, v50
	v_mul_f32_e32 v113, v71, v85
	v_fmac_f32_e32 v112, v70, v97
	v_add_f32_e32 v48, v48, v111
	s_waitcnt vmcnt(2)
	v_fma_f32 v50, v71, v98, -v51
	v_add_f32_e32 v47, v47, v49
	v_fmac_f32_e32 v113, v72, v98
	v_add_f32_e32 v48, v48, v112
	v_add_f32_e32 v47, v47, v50
	;; [unrolled: 1-line block ×3, first 2 shown]
	s_waitcnt vmcnt(1)
	v_sub_f32_e32 v47, v99, v47
	s_waitcnt vmcnt(0)
	v_sub_f32_e32 v48, v100, v48
	buffer_store_dword v47, off, s[0:3], 0 offset:64
	buffer_store_dword v48, off, s[0:3], 0 offset:68
	v_cmpx_lt_u32_e32 7, v0
	s_cbranch_execz .LBB21_131
; %bb.130:
	s_clause 0x1
	buffer_load_dword v47, off, s[0:3], 0 offset:56
	buffer_load_dword v48, off, s[0:3], 0 offset:60
	buffer_store_dword v46, off, s[0:3], 0 offset:56
	buffer_store_dword v46, off, s[0:3], 0 offset:60
	s_waitcnt vmcnt(0)
	ds_write_b64 v45, v[47:48]
.LBB21_131:
	s_or_b32 exec_lo, exec_lo, s4
	s_waitcnt lgkmcnt(0)
	s_waitcnt_vscnt null, 0x0
	s_barrier
	buffer_gl0_inv
	s_clause 0x1d
	buffer_load_dword v75, off, s[0:3], 0 offset:68
	buffer_load_dword v76, off, s[0:3], 0 offset:76
	;; [unrolled: 1-line block ×30, first 2 shown]
	ds_read_b128 v[47:50], v46 offset:240
	ds_read_b128 v[51:54], v46 offset:256
	;; [unrolled: 1-line block ×7, first 2 shown]
	s_mov_b32 s4, exec_lo
	s_waitcnt vmcnt(29) lgkmcnt(6)
	v_mul_f32_e32 v46, v47, v75
	v_mul_f32_e32 v75, v48, v75
	s_waitcnt vmcnt(28)
	v_mul_f32_e32 v105, v49, v76
	v_mul_f32_e32 v76, v50, v76
	s_waitcnt vmcnt(27) lgkmcnt(5)
	v_mul_f32_e32 v106, v51, v77
	s_waitcnt vmcnt(26)
	v_mul_f32_e32 v107, v53, v78
	s_waitcnt vmcnt(25) lgkmcnt(4)
	v_mul_f32_e32 v108, v55, v79
	s_waitcnt vmcnt(24)
	;; [unrolled: 4-line block ×5, first 2 shown]
	v_mul_f32_e32 v115, v69, v86
	s_waitcnt vmcnt(15)
	v_fma_f32 v47, v47, v89, -v75
	v_fmac_f32_e32 v46, v48, v89
	v_mul_f32_e32 v48, v52, v77
	s_waitcnt vmcnt(14)
	v_fma_f32 v49, v49, v90, -v76
	v_fmac_f32_e32 v105, v50, v90
	v_add_f32_e32 v47, 0, v47
	v_add_f32_e32 v46, 0, v46
	v_mul_f32_e32 v50, v54, v78
	s_waitcnt vmcnt(13)
	v_fma_f32 v48, v51, v91, -v48
	v_fmac_f32_e32 v106, v52, v91
	v_add_f32_e32 v47, v47, v49
	v_add_f32_e32 v46, v46, v105
	;; [unrolled: 6-line block ×10, first 2 shown]
	s_waitcnt lgkmcnt(0)
	v_mul_f32_e32 v50, v72, v87
	s_waitcnt vmcnt(4)
	v_fma_f32 v48, v69, v100, -v48
	v_mul_f32_e32 v116, v71, v87
	v_add_f32_e32 v47, v47, v49
	v_fmac_f32_e32 v115, v70, v100
	v_add_f32_e32 v46, v46, v114
	v_mul_f32_e32 v49, v74, v88
	s_waitcnt vmcnt(3)
	v_fma_f32 v50, v71, v101, -v50
	v_add_f32_e32 v47, v47, v48
	v_mul_f32_e32 v117, v73, v88
	v_fmac_f32_e32 v116, v72, v101
	v_add_f32_e32 v46, v46, v115
	s_waitcnt vmcnt(2)
	v_fma_f32 v48, v73, v102, -v49
	v_add_f32_e32 v47, v47, v50
	v_fmac_f32_e32 v117, v74, v102
	v_add_f32_e32 v46, v46, v116
	v_add_f32_e32 v47, v47, v48
	;; [unrolled: 1-line block ×3, first 2 shown]
	s_waitcnt vmcnt(1)
	v_sub_f32_e32 v47, v103, v47
	s_waitcnt vmcnt(0)
	v_sub_f32_e32 v46, v104, v46
	buffer_store_dword v47, off, s[0:3], 0 offset:56
	buffer_store_dword v46, off, s[0:3], 0 offset:60
	v_cmpx_lt_u32_e32 6, v0
	s_cbranch_execz .LBB21_133
; %bb.132:
	s_clause 0x1
	buffer_load_dword v46, off, s[0:3], 0 offset:48
	buffer_load_dword v47, off, s[0:3], 0 offset:52
	v_mov_b32_e32 v48, 0
	buffer_store_dword v48, off, s[0:3], 0 offset:48
	buffer_store_dword v48, off, s[0:3], 0 offset:52
	s_waitcnt vmcnt(0)
	ds_write_b64 v45, v[46:47]
.LBB21_133:
	s_or_b32 exec_lo, exec_lo, s4
	s_waitcnt lgkmcnt(0)
	s_waitcnt_vscnt null, 0x0
	s_barrier
	buffer_gl0_inv
	s_clause 0x1f
	buffer_load_dword v77, off, s[0:3], 0 offset:60
	buffer_load_dword v78, off, s[0:3], 0 offset:68
	;; [unrolled: 1-line block ×32, first 2 shown]
	v_mov_b32_e32 v46, 0
	ds_read2_b64 v[47:50], v46 offset0:29 offset1:30
	ds_read2_b64 v[51:54], v46 offset0:31 offset1:32
	;; [unrolled: 1-line block ×7, first 2 shown]
	ds_read_b64 v[75:76], v46 offset:344
	s_mov_b32 s4, exec_lo
	s_waitcnt vmcnt(31) lgkmcnt(7)
	v_mul_f32_e32 v109, v47, v77
	v_mul_f32_e32 v77, v48, v77
	s_waitcnt vmcnt(30)
	v_mul_f32_e32 v110, v49, v78
	v_mul_f32_e32 v78, v50, v78
	s_waitcnt vmcnt(29) lgkmcnt(6)
	v_mul_f32_e32 v111, v51, v79
	s_waitcnt vmcnt(28)
	v_mul_f32_e32 v112, v53, v80
	s_waitcnt vmcnt(27) lgkmcnt(5)
	v_mul_f32_e32 v113, v55, v81
	s_waitcnt vmcnt(26)
	;; [unrolled: 4-line block ×6, first 2 shown]
	v_fma_f32 v47, v47, v92, -v77
	v_fmac_f32_e32 v109, v48, v92
	v_mul_f32_e32 v48, v52, v79
	s_waitcnt vmcnt(15)
	v_fma_f32 v49, v49, v93, -v78
	v_fmac_f32_e32 v110, v50, v93
	v_add_f32_e32 v47, 0, v47
	v_add_f32_e32 v50, 0, v109
	v_mul_f32_e32 v77, v54, v80
	s_waitcnt vmcnt(14)
	v_fma_f32 v48, v51, v94, -v48
	v_fmac_f32_e32 v111, v52, v94
	v_add_f32_e32 v47, v47, v49
	v_add_f32_e32 v49, v50, v110
	;; [unrolled: 6-line block ×11, first 2 shown]
	v_mul_f32_e32 v50, v74, v90
	s_waitcnt vmcnt(4)
	v_fma_f32 v51, v71, v104, -v51
	v_mul_f32_e32 v122, v73, v90
	v_add_f32_e32 v47, v47, v49
	v_fmac_f32_e32 v121, v72, v104
	v_add_f32_e32 v48, v48, v120
	s_waitcnt lgkmcnt(0)
	v_mul_f32_e32 v49, v76, v91
	s_waitcnt vmcnt(3)
	v_fma_f32 v50, v73, v105, -v50
	v_add_f32_e32 v47, v47, v51
	v_mul_f32_e32 v123, v75, v91
	v_fmac_f32_e32 v122, v74, v105
	v_add_f32_e32 v48, v48, v121
	s_waitcnt vmcnt(2)
	v_fma_f32 v49, v75, v106, -v49
	v_add_f32_e32 v47, v47, v50
	v_fmac_f32_e32 v123, v76, v106
	v_add_f32_e32 v48, v48, v122
	v_add_f32_e32 v47, v47, v49
	;; [unrolled: 1-line block ×3, first 2 shown]
	s_waitcnt vmcnt(1)
	v_sub_f32_e32 v47, v107, v47
	s_waitcnt vmcnt(0)
	v_sub_f32_e32 v48, v108, v48
	buffer_store_dword v47, off, s[0:3], 0 offset:48
	buffer_store_dword v48, off, s[0:3], 0 offset:52
	v_cmpx_lt_u32_e32 5, v0
	s_cbranch_execz .LBB21_135
; %bb.134:
	s_clause 0x1
	buffer_load_dword v47, off, s[0:3], 0 offset:40
	buffer_load_dword v48, off, s[0:3], 0 offset:44
	buffer_store_dword v46, off, s[0:3], 0 offset:40
	buffer_store_dword v46, off, s[0:3], 0 offset:44
	s_waitcnt vmcnt(0)
	ds_write_b64 v45, v[47:48]
.LBB21_135:
	s_or_b32 exec_lo, exec_lo, s4
	s_waitcnt lgkmcnt(0)
	s_waitcnt_vscnt null, 0x0
	s_barrier
	buffer_gl0_inv
	s_clause 0x21
	buffer_load_dword v79, off, s[0:3], 0 offset:52
	buffer_load_dword v80, off, s[0:3], 0 offset:60
	;; [unrolled: 1-line block ×34, first 2 shown]
	ds_read_b128 v[47:50], v46 offset:224
	ds_read_b128 v[51:54], v46 offset:240
	;; [unrolled: 1-line block ×8, first 2 shown]
	s_mov_b32 s4, exec_lo
	s_waitcnt vmcnt(33) lgkmcnt(7)
	v_mul_f32_e32 v46, v47, v79
	v_mul_f32_e32 v79, v48, v79
	s_waitcnt vmcnt(32)
	v_mul_f32_e32 v113, v49, v80
	v_mul_f32_e32 v80, v50, v80
	s_waitcnt vmcnt(31) lgkmcnt(6)
	v_mul_f32_e32 v114, v51, v81
	s_waitcnt vmcnt(30)
	v_mul_f32_e32 v115, v53, v82
	s_waitcnt vmcnt(29) lgkmcnt(5)
	v_mul_f32_e32 v116, v55, v83
	s_waitcnt vmcnt(28)
	;; [unrolled: 4-line block ×6, first 2 shown]
	v_mul_f32_e32 v125, v73, v92
	s_waitcnt vmcnt(17)
	v_fma_f32 v47, v47, v95, -v79
	v_fmac_f32_e32 v46, v48, v95
	v_mul_f32_e32 v48, v52, v81
	s_waitcnt vmcnt(16)
	v_fma_f32 v49, v49, v96, -v80
	v_fmac_f32_e32 v113, v50, v96
	v_add_f32_e32 v47, 0, v47
	v_add_f32_e32 v46, 0, v46
	v_mul_f32_e32 v50, v54, v82
	s_waitcnt vmcnt(15)
	v_fma_f32 v48, v51, v97, -v48
	v_fmac_f32_e32 v114, v52, v97
	v_add_f32_e32 v47, v47, v49
	v_add_f32_e32 v46, v46, v113
	v_mul_f32_e32 v49, v56, v83
	s_waitcnt vmcnt(14)
	v_fma_f32 v50, v53, v98, -v50
	v_fmac_f32_e32 v115, v54, v98
	v_add_f32_e32 v47, v47, v48
	v_add_f32_e32 v46, v46, v114
	v_mul_f32_e32 v48, v58, v84
	s_waitcnt vmcnt(13)
	v_fma_f32 v49, v55, v99, -v49
	v_fmac_f32_e32 v116, v56, v99
	v_add_f32_e32 v47, v47, v50
	v_add_f32_e32 v46, v46, v115
	v_mul_f32_e32 v50, v60, v85
	s_waitcnt vmcnt(12)
	v_fma_f32 v48, v57, v100, -v48
	v_fmac_f32_e32 v117, v58, v100
	v_add_f32_e32 v47, v47, v49
	v_add_f32_e32 v46, v46, v116
	v_mul_f32_e32 v49, v62, v86
	s_waitcnt vmcnt(11)
	v_fma_f32 v50, v59, v101, -v50
	v_fmac_f32_e32 v118, v60, v101
	v_add_f32_e32 v47, v47, v48
	v_add_f32_e32 v46, v46, v117
	v_mul_f32_e32 v48, v64, v87
	s_waitcnt vmcnt(10)
	v_fma_f32 v49, v61, v102, -v49
	v_fmac_f32_e32 v119, v62, v102
	v_add_f32_e32 v47, v47, v50
	v_add_f32_e32 v46, v46, v118
	v_mul_f32_e32 v50, v66, v88
	s_waitcnt vmcnt(9)
	v_fma_f32 v48, v63, v103, -v48
	v_fmac_f32_e32 v120, v64, v103
	v_add_f32_e32 v47, v47, v49
	v_add_f32_e32 v46, v46, v119
	v_mul_f32_e32 v49, v68, v89
	s_waitcnt vmcnt(8)
	v_fma_f32 v50, v65, v104, -v50
	v_fmac_f32_e32 v121, v66, v104
	v_add_f32_e32 v47, v47, v48
	v_add_f32_e32 v46, v46, v120
	v_mul_f32_e32 v48, v70, v90
	s_waitcnt vmcnt(7)
	v_fma_f32 v49, v67, v105, -v49
	v_fmac_f32_e32 v122, v68, v105
	v_add_f32_e32 v47, v47, v50
	v_add_f32_e32 v46, v46, v121
	v_mul_f32_e32 v50, v72, v91
	s_waitcnt vmcnt(6)
	v_fma_f32 v48, v69, v106, -v48
	v_fmac_f32_e32 v123, v70, v106
	v_add_f32_e32 v47, v47, v49
	v_add_f32_e32 v46, v46, v122
	v_mul_f32_e32 v49, v74, v92
	s_waitcnt vmcnt(5)
	v_fma_f32 v50, v71, v107, -v50
	v_fmac_f32_e32 v124, v72, v107
	v_add_f32_e32 v47, v47, v48
	v_add_f32_e32 v46, v46, v123
	s_waitcnt lgkmcnt(0)
	v_mul_f32_e32 v48, v76, v93
	s_waitcnt vmcnt(4)
	v_fma_f32 v49, v73, v108, -v49
	v_mul_f32_e32 v126, v75, v93
	v_add_f32_e32 v47, v47, v50
	v_fmac_f32_e32 v125, v74, v108
	v_add_f32_e32 v46, v46, v124
	v_mul_f32_e32 v50, v78, v94
	s_waitcnt vmcnt(3)
	v_fma_f32 v48, v75, v109, -v48
	v_add_f32_e32 v47, v47, v49
	v_mul_f32_e32 v127, v77, v94
	v_fmac_f32_e32 v126, v76, v109
	v_add_f32_e32 v46, v46, v125
	s_waitcnt vmcnt(2)
	v_fma_f32 v49, v77, v110, -v50
	v_add_f32_e32 v47, v47, v48
	v_fmac_f32_e32 v127, v78, v110
	v_add_f32_e32 v46, v46, v126
	v_add_f32_e32 v47, v47, v49
	;; [unrolled: 1-line block ×3, first 2 shown]
	s_waitcnt vmcnt(1)
	v_sub_f32_e32 v47, v111, v47
	s_waitcnt vmcnt(0)
	v_sub_f32_e32 v46, v112, v46
	buffer_store_dword v47, off, s[0:3], 0 offset:40
	buffer_store_dword v46, off, s[0:3], 0 offset:44
	v_cmpx_lt_u32_e32 4, v0
	s_cbranch_execz .LBB21_137
; %bb.136:
	s_clause 0x1
	buffer_load_dword v46, off, s[0:3], 0 offset:32
	buffer_load_dword v47, off, s[0:3], 0 offset:36
	v_mov_b32_e32 v48, 0
	buffer_store_dword v48, off, s[0:3], 0 offset:32
	buffer_store_dword v48, off, s[0:3], 0 offset:36
	s_waitcnt vmcnt(0)
	ds_write_b64 v45, v[46:47]
.LBB21_137:
	s_or_b32 exec_lo, exec_lo, s4
	s_waitcnt lgkmcnt(0)
	s_waitcnt_vscnt null, 0x0
	s_barrier
	buffer_gl0_inv
	s_clause 0x23
	buffer_load_dword v81, off, s[0:3], 0 offset:44
	buffer_load_dword v82, off, s[0:3], 0 offset:52
	;; [unrolled: 1-line block ×36, first 2 shown]
	v_mov_b32_e32 v46, 0
	ds_read2_b64 v[47:50], v46 offset0:27 offset1:28
	ds_read2_b64 v[51:54], v46 offset0:29 offset1:30
	;; [unrolled: 1-line block ×8, first 2 shown]
	ds_read_b64 v[79:80], v46 offset:344
	s_mov_b32 s4, exec_lo
	s_waitcnt vmcnt(35) lgkmcnt(8)
	v_mul_f32_e32 v117, v47, v81
	v_mul_f32_e32 v81, v48, v81
	s_waitcnt vmcnt(34)
	v_mul_f32_e32 v118, v49, v82
	v_mul_f32_e32 v82, v50, v82
	s_waitcnt vmcnt(33) lgkmcnt(7)
	v_mul_f32_e32 v119, v51, v83
	s_waitcnt vmcnt(32)
	v_mul_f32_e32 v120, v53, v84
	s_waitcnt vmcnt(31) lgkmcnt(6)
	v_mul_f32_e32 v121, v55, v85
	s_waitcnt vmcnt(30)
	;; [unrolled: 4-line block ×7, first 2 shown]
	v_fma_f32 v47, v47, v98, -v81
	v_fmac_f32_e32 v117, v48, v98
	v_mul_f32_e32 v48, v52, v83
	s_waitcnt vmcnt(17)
	v_fma_f32 v49, v49, v99, -v82
	v_fmac_f32_e32 v118, v50, v99
	v_add_f32_e32 v47, 0, v47
	v_add_f32_e32 v50, 0, v117
	v_mul_f32_e32 v81, v54, v84
	s_waitcnt vmcnt(16)
	v_fma_f32 v48, v51, v100, -v48
	v_fmac_f32_e32 v119, v52, v100
	v_add_f32_e32 v47, v47, v49
	v_add_f32_e32 v49, v50, v118
	;; [unrolled: 6-line block ×13, first 2 shown]
	v_mul_f32_e32 v51, v78, v96
	s_waitcnt vmcnt(4)
	v_fma_f32 v49, v75, v112, -v49
	v_mul_f32_e32 v132, v77, v96
	v_add_f32_e32 v47, v47, v50
	v_fmac_f32_e32 v131, v76, v112
	v_add_f32_e32 v48, v48, v130
	s_waitcnt lgkmcnt(0)
	v_mul_f32_e32 v50, v80, v97
	s_waitcnt vmcnt(3)
	v_fma_f32 v51, v77, v113, -v51
	v_add_f32_e32 v47, v47, v49
	v_mul_f32_e32 v133, v79, v97
	v_fmac_f32_e32 v132, v78, v113
	v_add_f32_e32 v48, v48, v131
	s_waitcnt vmcnt(2)
	v_fma_f32 v49, v79, v114, -v50
	v_add_f32_e32 v47, v47, v51
	v_fmac_f32_e32 v133, v80, v114
	v_add_f32_e32 v48, v48, v132
	v_add_f32_e32 v47, v47, v49
	;; [unrolled: 1-line block ×3, first 2 shown]
	s_waitcnt vmcnt(1)
	v_sub_f32_e32 v47, v115, v47
	s_waitcnt vmcnt(0)
	v_sub_f32_e32 v48, v116, v48
	buffer_store_dword v47, off, s[0:3], 0 offset:32
	buffer_store_dword v48, off, s[0:3], 0 offset:36
	v_cmpx_lt_u32_e32 3, v0
	s_cbranch_execz .LBB21_139
; %bb.138:
	s_clause 0x1
	buffer_load_dword v47, off, s[0:3], 0 offset:24
	buffer_load_dword v48, off, s[0:3], 0 offset:28
	buffer_store_dword v46, off, s[0:3], 0 offset:24
	buffer_store_dword v46, off, s[0:3], 0 offset:28
	s_waitcnt vmcnt(0)
	ds_write_b64 v45, v[47:48]
.LBB21_139:
	s_or_b32 exec_lo, exec_lo, s4
	s_waitcnt lgkmcnt(0)
	s_waitcnt_vscnt null, 0x0
	s_barrier
	buffer_gl0_inv
	s_clause 0x25
	buffer_load_dword v83, off, s[0:3], 0 offset:36
	buffer_load_dword v84, off, s[0:3], 0 offset:44
	;; [unrolled: 1-line block ×38, first 2 shown]
	ds_read_b128 v[47:50], v46 offset:208
	ds_read_b128 v[51:54], v46 offset:224
	;; [unrolled: 1-line block ×9, first 2 shown]
	s_mov_b32 s4, exec_lo
	s_waitcnt vmcnt(37) lgkmcnt(8)
	v_mul_f32_e32 v46, v47, v83
	v_mul_f32_e32 v83, v48, v83
	s_waitcnt vmcnt(36)
	v_mul_f32_e32 v121, v49, v84
	v_mul_f32_e32 v84, v50, v84
	s_waitcnt vmcnt(35) lgkmcnt(7)
	v_mul_f32_e32 v122, v51, v85
	s_waitcnt vmcnt(34)
	v_mul_f32_e32 v123, v53, v86
	s_waitcnt vmcnt(33) lgkmcnt(6)
	v_mul_f32_e32 v124, v55, v87
	s_waitcnt vmcnt(32)
	;; [unrolled: 4-line block ×7, first 2 shown]
	v_mul_f32_e32 v135, v77, v98
	s_waitcnt vmcnt(19)
	v_fma_f32 v47, v47, v101, -v83
	v_fmac_f32_e32 v46, v48, v101
	v_mul_f32_e32 v48, v52, v85
	s_waitcnt vmcnt(18)
	v_fma_f32 v49, v49, v102, -v84
	v_fmac_f32_e32 v121, v50, v102
	v_add_f32_e32 v47, 0, v47
	v_add_f32_e32 v46, 0, v46
	v_mul_f32_e32 v50, v54, v86
	s_waitcnt vmcnt(17)
	v_fma_f32 v48, v51, v103, -v48
	v_fmac_f32_e32 v122, v52, v103
	v_add_f32_e32 v47, v47, v49
	v_add_f32_e32 v46, v46, v121
	;; [unrolled: 6-line block ×14, first 2 shown]
	s_waitcnt lgkmcnt(0)
	v_mul_f32_e32 v49, v80, v99
	s_waitcnt vmcnt(4)
	v_fma_f32 v50, v77, v116, -v50
	v_mul_f32_e32 v136, v79, v99
	v_add_f32_e32 v47, v47, v48
	v_fmac_f32_e32 v135, v78, v116
	v_add_f32_e32 v46, v46, v134
	v_mul_f32_e32 v48, v82, v100
	s_waitcnt vmcnt(3)
	v_fma_f32 v49, v79, v117, -v49
	v_add_f32_e32 v47, v47, v50
	v_mul_f32_e32 v137, v81, v100
	v_fmac_f32_e32 v136, v80, v117
	v_add_f32_e32 v46, v46, v135
	s_waitcnt vmcnt(2)
	v_fma_f32 v48, v81, v118, -v48
	v_add_f32_e32 v47, v47, v49
	v_fmac_f32_e32 v137, v82, v118
	v_add_f32_e32 v46, v46, v136
	v_add_f32_e32 v47, v47, v48
	;; [unrolled: 1-line block ×3, first 2 shown]
	s_waitcnt vmcnt(1)
	v_sub_f32_e32 v47, v119, v47
	s_waitcnt vmcnt(0)
	v_sub_f32_e32 v46, v120, v46
	buffer_store_dword v47, off, s[0:3], 0 offset:24
	buffer_store_dword v46, off, s[0:3], 0 offset:28
	v_cmpx_lt_u32_e32 2, v0
	s_cbranch_execz .LBB21_141
; %bb.140:
	s_clause 0x1
	buffer_load_dword v46, off, s[0:3], 0 offset:16
	buffer_load_dword v47, off, s[0:3], 0 offset:20
	v_mov_b32_e32 v48, 0
	buffer_store_dword v48, off, s[0:3], 0 offset:16
	buffer_store_dword v48, off, s[0:3], 0 offset:20
	s_waitcnt vmcnt(0)
	ds_write_b64 v45, v[46:47]
.LBB21_141:
	s_or_b32 exec_lo, exec_lo, s4
	s_waitcnt lgkmcnt(0)
	s_waitcnt_vscnt null, 0x0
	s_barrier
	buffer_gl0_inv
	s_clause 0x27
	buffer_load_dword v85, off, s[0:3], 0 offset:28
	buffer_load_dword v86, off, s[0:3], 0 offset:36
	;; [unrolled: 1-line block ×40, first 2 shown]
	v_mov_b32_e32 v46, 0
	ds_read2_b64 v[47:50], v46 offset0:25 offset1:26
	ds_read2_b64 v[51:54], v46 offset0:27 offset1:28
	;; [unrolled: 1-line block ×9, first 2 shown]
	ds_read_b64 v[83:84], v46 offset:344
	s_mov_b32 s4, exec_lo
	s_waitcnt vmcnt(39) lgkmcnt(9)
	v_mul_f32_e32 v125, v47, v85
	v_mul_f32_e32 v85, v48, v85
	s_waitcnt vmcnt(38)
	v_mul_f32_e32 v126, v49, v86
	v_mul_f32_e32 v86, v50, v86
	s_waitcnt vmcnt(37) lgkmcnt(8)
	v_mul_f32_e32 v127, v51, v87
	s_waitcnt vmcnt(36)
	v_mul_f32_e32 v128, v53, v88
	s_waitcnt vmcnt(35) lgkmcnt(7)
	v_mul_f32_e32 v129, v55, v89
	s_waitcnt vmcnt(34)
	;; [unrolled: 4-line block ×8, first 2 shown]
	v_fma_f32 v47, v47, v104, -v85
	v_fmac_f32_e32 v125, v48, v104
	v_mul_f32_e32 v48, v52, v87
	s_waitcnt vmcnt(19)
	v_fma_f32 v49, v49, v105, -v86
	v_fmac_f32_e32 v126, v50, v105
	v_add_f32_e32 v47, 0, v47
	v_add_f32_e32 v50, 0, v125
	v_mul_f32_e32 v85, v54, v88
	s_waitcnt vmcnt(18)
	v_fma_f32 v48, v51, v106, -v48
	v_fmac_f32_e32 v127, v52, v106
	v_add_f32_e32 v47, v47, v49
	v_add_f32_e32 v49, v50, v126
	;; [unrolled: 6-line block ×15, first 2 shown]
	v_mul_f32_e32 v49, v82, v102
	s_waitcnt vmcnt(4)
	v_fma_f32 v50, v79, v120, -v50
	v_mul_f32_e32 v142, v81, v102
	v_add_f32_e32 v47, v47, v51
	v_fmac_f32_e32 v141, v80, v120
	v_add_f32_e32 v48, v48, v140
	s_waitcnt lgkmcnt(0)
	v_mul_f32_e32 v51, v84, v103
	s_waitcnt vmcnt(3)
	v_fma_f32 v49, v81, v121, -v49
	v_add_f32_e32 v47, v47, v50
	v_mul_f32_e32 v143, v83, v103
	v_fmac_f32_e32 v142, v82, v121
	v_add_f32_e32 v48, v48, v141
	s_waitcnt vmcnt(2)
	v_fma_f32 v50, v83, v122, -v51
	v_add_f32_e32 v47, v47, v49
	v_fmac_f32_e32 v143, v84, v122
	v_add_f32_e32 v48, v48, v142
	v_add_f32_e32 v47, v47, v50
	;; [unrolled: 1-line block ×3, first 2 shown]
	s_waitcnt vmcnt(1)
	v_sub_f32_e32 v47, v123, v47
	s_waitcnt vmcnt(0)
	v_sub_f32_e32 v48, v124, v48
	buffer_store_dword v47, off, s[0:3], 0 offset:16
	buffer_store_dword v48, off, s[0:3], 0 offset:20
	v_cmpx_lt_u32_e32 1, v0
	s_cbranch_execz .LBB21_143
; %bb.142:
	s_clause 0x1
	buffer_load_dword v47, off, s[0:3], 0 offset:8
	buffer_load_dword v48, off, s[0:3], 0 offset:12
	buffer_store_dword v46, off, s[0:3], 0 offset:8
	buffer_store_dword v46, off, s[0:3], 0 offset:12
	s_waitcnt vmcnt(0)
	ds_write_b64 v45, v[47:48]
.LBB21_143:
	s_or_b32 exec_lo, exec_lo, s4
	s_waitcnt lgkmcnt(0)
	s_waitcnt_vscnt null, 0x0
	s_barrier
	buffer_gl0_inv
	s_clause 0x29
	buffer_load_dword v87, off, s[0:3], 0 offset:20
	buffer_load_dword v88, off, s[0:3], 0 offset:28
	;; [unrolled: 1-line block ×42, first 2 shown]
	ds_read_b128 v[47:50], v46 offset:192
	ds_read_b128 v[51:54], v46 offset:208
	;; [unrolled: 1-line block ×10, first 2 shown]
	s_mov_b32 s4, exec_lo
	s_waitcnt vmcnt(41) lgkmcnt(9)
	v_mul_f32_e32 v46, v47, v87
	v_mul_f32_e32 v87, v48, v87
	s_waitcnt vmcnt(40)
	v_mul_f32_e32 v129, v49, v88
	v_mul_f32_e32 v88, v50, v88
	s_waitcnt vmcnt(39) lgkmcnt(8)
	v_mul_f32_e32 v130, v51, v89
	s_waitcnt vmcnt(38)
	v_mul_f32_e32 v131, v53, v90
	s_waitcnt vmcnt(37) lgkmcnt(7)
	v_mul_f32_e32 v132, v55, v91
	s_waitcnt vmcnt(36)
	;; [unrolled: 4-line block ×8, first 2 shown]
	v_mul_f32_e32 v145, v81, v104
	s_waitcnt vmcnt(21)
	v_fma_f32 v47, v47, v107, -v87
	v_fmac_f32_e32 v46, v48, v107
	v_mul_f32_e32 v48, v52, v89
	s_waitcnt vmcnt(20)
	v_fma_f32 v49, v49, v108, -v88
	v_fmac_f32_e32 v129, v50, v108
	v_add_f32_e32 v47, 0, v47
	v_add_f32_e32 v46, 0, v46
	v_mul_f32_e32 v50, v54, v90
	s_waitcnt vmcnt(19)
	v_fma_f32 v48, v51, v109, -v48
	v_fmac_f32_e32 v130, v52, v109
	v_add_f32_e32 v47, v47, v49
	v_add_f32_e32 v46, v46, v129
	;; [unrolled: 6-line block ×16, first 2 shown]
	s_waitcnt lgkmcnt(0)
	v_mul_f32_e32 v50, v84, v105
	s_waitcnt vmcnt(4)
	v_fma_f32 v48, v81, v124, -v48
	v_mul_f32_e32 v146, v83, v105
	v_add_f32_e32 v47, v47, v49
	v_fmac_f32_e32 v145, v82, v124
	v_add_f32_e32 v46, v46, v144
	v_mul_f32_e32 v49, v86, v106
	s_waitcnt vmcnt(3)
	v_fma_f32 v50, v83, v125, -v50
	v_add_f32_e32 v47, v47, v48
	v_mul_f32_e32 v147, v85, v106
	v_fmac_f32_e32 v146, v84, v125
	v_add_f32_e32 v46, v46, v145
	s_waitcnt vmcnt(2)
	v_fma_f32 v48, v85, v126, -v49
	v_add_f32_e32 v47, v47, v50
	v_fmac_f32_e32 v147, v86, v126
	v_add_f32_e32 v46, v46, v146
	v_add_f32_e32 v47, v47, v48
	;; [unrolled: 1-line block ×3, first 2 shown]
	s_waitcnt vmcnt(1)
	v_sub_f32_e32 v47, v127, v47
	s_waitcnt vmcnt(0)
	v_sub_f32_e32 v46, v128, v46
	buffer_store_dword v47, off, s[0:3], 0 offset:8
	buffer_store_dword v46, off, s[0:3], 0 offset:12
	v_cmpx_ne_u32_e32 0, v0
	s_cbranch_execz .LBB21_145
; %bb.144:
	s_clause 0x1
	buffer_load_dword v46, off, s[0:3], 0
	buffer_load_dword v47, off, s[0:3], 0 offset:4
	v_mov_b32_e32 v0, 0
	buffer_store_dword v0, off, s[0:3], 0
	buffer_store_dword v0, off, s[0:3], 0 offset:4
	s_waitcnt vmcnt(0)
	ds_write_b64 v45, v[46:47]
.LBB21_145:
	s_or_b32 exec_lo, exec_lo, s4
	s_waitcnt lgkmcnt(0)
	s_waitcnt_vscnt null, 0x0
	s_barrier
	buffer_gl0_inv
	s_clause 0x2b
	buffer_load_dword v87, off, s[0:3], 0 offset:12
	buffer_load_dword v88, off, s[0:3], 0 offset:20
	;; [unrolled: 1-line block ×42, first 2 shown]
	buffer_load_dword v129, off, s[0:3], 0
	buffer_load_dword v130, off, s[0:3], 0 offset:4
	v_mov_b32_e32 v0, 0
	ds_read2_b64 v[45:48], v0 offset0:23 offset1:24
	ds_read2_b64 v[49:52], v0 offset0:25 offset1:26
	;; [unrolled: 1-line block ×10, first 2 shown]
	ds_read_b64 v[85:86], v0 offset:344
	s_and_b32 vcc_lo, exec_lo, s22
	s_waitcnt vmcnt(43) lgkmcnt(10)
	v_mul_f32_e32 v131, v45, v87
	v_mul_f32_e32 v87, v46, v87
	s_waitcnt vmcnt(42)
	v_mul_f32_e32 v132, v47, v88
	v_mul_f32_e32 v88, v48, v88
	s_waitcnt vmcnt(41) lgkmcnt(9)
	v_mul_f32_e32 v133, v49, v89
	s_waitcnt vmcnt(40)
	v_mul_f32_e32 v134, v51, v90
	s_waitcnt vmcnt(39) lgkmcnt(8)
	v_mul_f32_e32 v135, v53, v91
	s_waitcnt vmcnt(38)
	;; [unrolled: 4-line block ×9, first 2 shown]
	v_fma_f32 v45, v45, v108, -v87
	v_fmac_f32_e32 v131, v46, v108
	v_mul_f32_e32 v46, v50, v89
	s_waitcnt vmcnt(21)
	v_fma_f32 v47, v47, v109, -v88
	v_fmac_f32_e32 v132, v48, v109
	v_add_f32_e32 v45, 0, v45
	v_add_f32_e32 v48, 0, v131
	v_mul_f32_e32 v87, v52, v90
	s_waitcnt vmcnt(20)
	v_fma_f32 v46, v49, v110, -v46
	v_fmac_f32_e32 v133, v50, v110
	v_add_f32_e32 v45, v45, v47
	v_add_f32_e32 v47, v48, v132
	v_mul_f32_e32 v48, v54, v91
	s_waitcnt vmcnt(19)
	v_fma_f32 v49, v51, v111, -v87
	v_fmac_f32_e32 v134, v52, v111
	v_add_f32_e32 v45, v45, v46
	v_add_f32_e32 v46, v47, v133
	v_mul_f32_e32 v47, v56, v92
	s_waitcnt vmcnt(18)
	v_fma_f32 v48, v53, v112, -v48
	v_fmac_f32_e32 v135, v54, v112
	v_add_f32_e32 v45, v45, v49
	v_add_f32_e32 v46, v46, v134
	v_mul_f32_e32 v49, v58, v93
	s_waitcnt vmcnt(17)
	v_fma_f32 v47, v55, v113, -v47
	v_fmac_f32_e32 v136, v56, v113
	v_add_f32_e32 v45, v45, v48
	v_add_f32_e32 v46, v46, v135
	v_mul_f32_e32 v48, v60, v94
	s_waitcnt vmcnt(16)
	v_fma_f32 v49, v57, v114, -v49
	v_fmac_f32_e32 v137, v58, v114
	v_add_f32_e32 v45, v45, v47
	v_add_f32_e32 v46, v46, v136
	v_mul_f32_e32 v47, v62, v95
	s_waitcnt vmcnt(15)
	v_fma_f32 v48, v59, v115, -v48
	v_fmac_f32_e32 v138, v60, v115
	v_add_f32_e32 v45, v45, v49
	v_add_f32_e32 v46, v46, v137
	v_mul_f32_e32 v49, v64, v96
	s_waitcnt vmcnt(14)
	v_fma_f32 v47, v61, v116, -v47
	v_fmac_f32_e32 v139, v62, v116
	v_add_f32_e32 v45, v45, v48
	v_add_f32_e32 v46, v46, v138
	v_mul_f32_e32 v48, v66, v97
	s_waitcnt vmcnt(13)
	v_fma_f32 v49, v63, v117, -v49
	v_fmac_f32_e32 v140, v64, v117
	v_add_f32_e32 v45, v45, v47
	v_add_f32_e32 v46, v46, v139
	v_mul_f32_e32 v47, v68, v98
	s_waitcnt vmcnt(12)
	v_fma_f32 v48, v65, v118, -v48
	v_fmac_f32_e32 v141, v66, v118
	v_add_f32_e32 v45, v45, v49
	v_add_f32_e32 v46, v46, v140
	v_mul_f32_e32 v49, v70, v99
	s_waitcnt vmcnt(11)
	v_fma_f32 v47, v67, v119, -v47
	v_fmac_f32_e32 v142, v68, v119
	v_add_f32_e32 v45, v45, v48
	v_add_f32_e32 v46, v46, v141
	v_mul_f32_e32 v48, v72, v100
	s_waitcnt vmcnt(10)
	v_fma_f32 v49, v69, v120, -v49
	v_fmac_f32_e32 v143, v70, v120
	v_add_f32_e32 v45, v45, v47
	v_add_f32_e32 v46, v46, v142
	v_mul_f32_e32 v47, v74, v101
	s_waitcnt vmcnt(9)
	v_fma_f32 v48, v71, v121, -v48
	v_fmac_f32_e32 v144, v72, v121
	v_add_f32_e32 v45, v45, v49
	v_add_f32_e32 v46, v46, v143
	v_mul_f32_e32 v49, v76, v102
	s_waitcnt vmcnt(8)
	v_fma_f32 v47, v73, v122, -v47
	v_fmac_f32_e32 v145, v74, v122
	v_add_f32_e32 v45, v45, v48
	v_add_f32_e32 v46, v46, v144
	v_mul_f32_e32 v48, v78, v103
	s_waitcnt vmcnt(7)
	v_fma_f32 v49, v75, v123, -v49
	v_fmac_f32_e32 v146, v76, v123
	v_add_f32_e32 v45, v45, v47
	v_add_f32_e32 v46, v46, v145
	v_mul_f32_e32 v47, v80, v104
	s_waitcnt vmcnt(6)
	v_fma_f32 v48, v77, v124, -v48
	v_fmac_f32_e32 v147, v78, v124
	v_add_f32_e32 v45, v45, v49
	v_add_f32_e32 v46, v46, v146
	v_mul_f32_e32 v49, v82, v105
	s_waitcnt vmcnt(5)
	v_fma_f32 v47, v79, v125, -v47
	v_fmac_f32_e32 v148, v80, v125
	v_add_f32_e32 v45, v45, v48
	v_add_f32_e32 v46, v46, v147
	v_mul_f32_e32 v48, v84, v106
	s_waitcnt vmcnt(4)
	v_fma_f32 v49, v81, v126, -v49
	v_mul_f32_e32 v150, v83, v106
	v_add_f32_e32 v45, v45, v47
	v_fmac_f32_e32 v149, v82, v126
	v_add_f32_e32 v46, v46, v148
	s_waitcnt lgkmcnt(0)
	v_mul_f32_e32 v47, v86, v107
	s_waitcnt vmcnt(3)
	v_fma_f32 v48, v83, v127, -v48
	v_add_f32_e32 v45, v45, v49
	v_mul_f32_e32 v151, v85, v107
	v_fmac_f32_e32 v150, v84, v127
	v_add_f32_e32 v46, v46, v149
	s_waitcnt vmcnt(2)
	v_fma_f32 v47, v85, v128, -v47
	v_add_f32_e32 v45, v45, v48
	v_fmac_f32_e32 v151, v86, v128
	v_add_f32_e32 v46, v46, v150
	v_add_f32_e32 v45, v45, v47
	;; [unrolled: 1-line block ×3, first 2 shown]
	s_waitcnt vmcnt(1)
	v_sub_f32_e32 v45, v129, v45
	s_waitcnt vmcnt(0)
	v_sub_f32_e32 v46, v130, v46
	buffer_store_dword v45, off, s[0:3], 0
	buffer_store_dword v46, off, s[0:3], 0 offset:4
	s_cbranch_vccz .LBB21_188
; %bb.146:
	global_load_dword v0, v0, s[20:21] offset:80
	s_waitcnt vmcnt(0)
	v_add_nc_u32_e32 v0, -1, v0
	v_cmp_ne_u32_e32 vcc_lo, 20, v0
	s_cbranch_vccz .LBB21_148
; %bb.147:
	v_lshlrev_b32_e32 v0, 3, v0
	s_clause 0x3
	buffer_load_dword v45, v0, s[0:3], 0 offen
	buffer_load_dword v46, v0, s[0:3], 0 offen offset:4
	buffer_load_dword v47, off, s[0:3], 0 offset:164
	buffer_load_dword v48, off, s[0:3], 0 offset:160
	s_waitcnt vmcnt(3)
	buffer_store_dword v45, off, s[0:3], 0 offset:160
	s_waitcnt vmcnt(2)
	buffer_store_dword v46, off, s[0:3], 0 offset:164
	s_waitcnt vmcnt(1)
	buffer_store_dword v47, v0, s[0:3], 0 offen offset:4
	s_waitcnt vmcnt(0)
	buffer_store_dword v48, v0, s[0:3], 0 offen
.LBB21_148:
	v_mov_b32_e32 v0, 0
	global_load_dword v45, v0, s[20:21] offset:76
	s_waitcnt vmcnt(0)
	v_add_nc_u32_e32 v45, -1, v45
	v_cmp_eq_u32_e32 vcc_lo, 19, v45
	s_cbranch_vccnz .LBB21_150
; %bb.149:
	v_lshlrev_b32_e32 v45, 3, v45
	s_clause 0x3
	buffer_load_dword v46, v45, s[0:3], 0 offen
	buffer_load_dword v47, v45, s[0:3], 0 offen offset:4
	buffer_load_dword v48, off, s[0:3], 0 offset:152
	buffer_load_dword v49, off, s[0:3], 0 offset:156
	s_waitcnt vmcnt(3)
	buffer_store_dword v46, off, s[0:3], 0 offset:152
	s_waitcnt vmcnt(2)
	buffer_store_dword v47, off, s[0:3], 0 offset:156
	s_waitcnt vmcnt(1)
	buffer_store_dword v48, v45, s[0:3], 0 offen
	s_waitcnt vmcnt(0)
	buffer_store_dword v49, v45, s[0:3], 0 offen offset:4
.LBB21_150:
	global_load_dword v0, v0, s[20:21] offset:72
	s_waitcnt vmcnt(0)
	v_add_nc_u32_e32 v0, -1, v0
	v_cmp_eq_u32_e32 vcc_lo, 18, v0
	s_cbranch_vccnz .LBB21_152
; %bb.151:
	v_lshlrev_b32_e32 v0, 3, v0
	s_clause 0x3
	buffer_load_dword v45, v0, s[0:3], 0 offen
	buffer_load_dword v46, v0, s[0:3], 0 offen offset:4
	buffer_load_dword v47, off, s[0:3], 0 offset:148
	buffer_load_dword v48, off, s[0:3], 0 offset:144
	s_waitcnt vmcnt(3)
	buffer_store_dword v45, off, s[0:3], 0 offset:144
	s_waitcnt vmcnt(2)
	buffer_store_dword v46, off, s[0:3], 0 offset:148
	s_waitcnt vmcnt(1)
	buffer_store_dword v47, v0, s[0:3], 0 offen offset:4
	s_waitcnt vmcnt(0)
	buffer_store_dword v48, v0, s[0:3], 0 offen
.LBB21_152:
	v_mov_b32_e32 v0, 0
	global_load_dword v45, v0, s[20:21] offset:68
	s_waitcnt vmcnt(0)
	v_add_nc_u32_e32 v45, -1, v45
	v_cmp_eq_u32_e32 vcc_lo, 17, v45
	s_cbranch_vccnz .LBB21_154
; %bb.153:
	v_lshlrev_b32_e32 v45, 3, v45
	s_clause 0x3
	buffer_load_dword v46, v45, s[0:3], 0 offen
	buffer_load_dword v47, v45, s[0:3], 0 offen offset:4
	buffer_load_dword v48, off, s[0:3], 0 offset:136
	buffer_load_dword v49, off, s[0:3], 0 offset:140
	s_waitcnt vmcnt(3)
	buffer_store_dword v46, off, s[0:3], 0 offset:136
	s_waitcnt vmcnt(2)
	buffer_store_dword v47, off, s[0:3], 0 offset:140
	s_waitcnt vmcnt(1)
	buffer_store_dword v48, v45, s[0:3], 0 offen
	s_waitcnt vmcnt(0)
	buffer_store_dword v49, v45, s[0:3], 0 offen offset:4
.LBB21_154:
	global_load_dword v0, v0, s[20:21] offset:64
	s_waitcnt vmcnt(0)
	v_add_nc_u32_e32 v0, -1, v0
	v_cmp_eq_u32_e32 vcc_lo, 16, v0
	s_cbranch_vccnz .LBB21_156
; %bb.155:
	v_lshlrev_b32_e32 v0, 3, v0
	s_clause 0x3
	buffer_load_dword v45, v0, s[0:3], 0 offen
	buffer_load_dword v46, v0, s[0:3], 0 offen offset:4
	buffer_load_dword v47, off, s[0:3], 0 offset:132
	buffer_load_dword v48, off, s[0:3], 0 offset:128
	s_waitcnt vmcnt(3)
	buffer_store_dword v45, off, s[0:3], 0 offset:128
	s_waitcnt vmcnt(2)
	buffer_store_dword v46, off, s[0:3], 0 offset:132
	s_waitcnt vmcnt(1)
	buffer_store_dword v47, v0, s[0:3], 0 offen offset:4
	s_waitcnt vmcnt(0)
	buffer_store_dword v48, v0, s[0:3], 0 offen
.LBB21_156:
	v_mov_b32_e32 v0, 0
	global_load_dword v45, v0, s[20:21] offset:60
	s_waitcnt vmcnt(0)
	v_add_nc_u32_e32 v45, -1, v45
	v_cmp_eq_u32_e32 vcc_lo, 15, v45
	s_cbranch_vccnz .LBB21_158
; %bb.157:
	v_lshlrev_b32_e32 v45, 3, v45
	s_clause 0x3
	buffer_load_dword v46, v45, s[0:3], 0 offen
	buffer_load_dword v47, v45, s[0:3], 0 offen offset:4
	buffer_load_dword v48, off, s[0:3], 0 offset:120
	buffer_load_dword v49, off, s[0:3], 0 offset:124
	s_waitcnt vmcnt(3)
	buffer_store_dword v46, off, s[0:3], 0 offset:120
	s_waitcnt vmcnt(2)
	buffer_store_dword v47, off, s[0:3], 0 offset:124
	s_waitcnt vmcnt(1)
	buffer_store_dword v48, v45, s[0:3], 0 offen
	s_waitcnt vmcnt(0)
	buffer_store_dword v49, v45, s[0:3], 0 offen offset:4
.LBB21_158:
	global_load_dword v0, v0, s[20:21] offset:56
	s_waitcnt vmcnt(0)
	v_add_nc_u32_e32 v0, -1, v0
	v_cmp_eq_u32_e32 vcc_lo, 14, v0
	s_cbranch_vccnz .LBB21_160
; %bb.159:
	v_lshlrev_b32_e32 v0, 3, v0
	s_clause 0x3
	buffer_load_dword v45, v0, s[0:3], 0 offen
	buffer_load_dword v46, v0, s[0:3], 0 offen offset:4
	buffer_load_dword v47, off, s[0:3], 0 offset:116
	buffer_load_dword v48, off, s[0:3], 0 offset:112
	s_waitcnt vmcnt(3)
	buffer_store_dword v45, off, s[0:3], 0 offset:112
	s_waitcnt vmcnt(2)
	buffer_store_dword v46, off, s[0:3], 0 offset:116
	s_waitcnt vmcnt(1)
	buffer_store_dword v47, v0, s[0:3], 0 offen offset:4
	s_waitcnt vmcnt(0)
	buffer_store_dword v48, v0, s[0:3], 0 offen
.LBB21_160:
	v_mov_b32_e32 v0, 0
	global_load_dword v45, v0, s[20:21] offset:52
	s_waitcnt vmcnt(0)
	v_add_nc_u32_e32 v45, -1, v45
	v_cmp_eq_u32_e32 vcc_lo, 13, v45
	s_cbranch_vccnz .LBB21_162
; %bb.161:
	v_lshlrev_b32_e32 v45, 3, v45
	s_clause 0x3
	buffer_load_dword v46, v45, s[0:3], 0 offen
	buffer_load_dword v47, v45, s[0:3], 0 offen offset:4
	buffer_load_dword v48, off, s[0:3], 0 offset:104
	buffer_load_dword v49, off, s[0:3], 0 offset:108
	s_waitcnt vmcnt(3)
	buffer_store_dword v46, off, s[0:3], 0 offset:104
	s_waitcnt vmcnt(2)
	buffer_store_dword v47, off, s[0:3], 0 offset:108
	s_waitcnt vmcnt(1)
	buffer_store_dword v48, v45, s[0:3], 0 offen
	s_waitcnt vmcnt(0)
	buffer_store_dword v49, v45, s[0:3], 0 offen offset:4
.LBB21_162:
	global_load_dword v0, v0, s[20:21] offset:48
	s_waitcnt vmcnt(0)
	v_add_nc_u32_e32 v0, -1, v0
	v_cmp_eq_u32_e32 vcc_lo, 12, v0
	s_cbranch_vccnz .LBB21_164
; %bb.163:
	v_lshlrev_b32_e32 v0, 3, v0
	s_clause 0x3
	buffer_load_dword v45, v0, s[0:3], 0 offen
	buffer_load_dword v46, v0, s[0:3], 0 offen offset:4
	buffer_load_dword v47, off, s[0:3], 0 offset:100
	buffer_load_dword v48, off, s[0:3], 0 offset:96
	s_waitcnt vmcnt(3)
	buffer_store_dword v45, off, s[0:3], 0 offset:96
	s_waitcnt vmcnt(2)
	buffer_store_dword v46, off, s[0:3], 0 offset:100
	s_waitcnt vmcnt(1)
	buffer_store_dword v47, v0, s[0:3], 0 offen offset:4
	s_waitcnt vmcnt(0)
	buffer_store_dword v48, v0, s[0:3], 0 offen
.LBB21_164:
	v_mov_b32_e32 v0, 0
	global_load_dword v45, v0, s[20:21] offset:44
	s_waitcnt vmcnt(0)
	v_add_nc_u32_e32 v45, -1, v45
	v_cmp_eq_u32_e32 vcc_lo, 11, v45
	s_cbranch_vccnz .LBB21_166
; %bb.165:
	v_lshlrev_b32_e32 v45, 3, v45
	s_clause 0x3
	buffer_load_dword v46, v45, s[0:3], 0 offen
	buffer_load_dword v47, v45, s[0:3], 0 offen offset:4
	buffer_load_dword v48, off, s[0:3], 0 offset:88
	buffer_load_dword v49, off, s[0:3], 0 offset:92
	s_waitcnt vmcnt(3)
	buffer_store_dword v46, off, s[0:3], 0 offset:88
	s_waitcnt vmcnt(2)
	buffer_store_dword v47, off, s[0:3], 0 offset:92
	s_waitcnt vmcnt(1)
	buffer_store_dword v48, v45, s[0:3], 0 offen
	s_waitcnt vmcnt(0)
	buffer_store_dword v49, v45, s[0:3], 0 offen offset:4
.LBB21_166:
	global_load_dword v0, v0, s[20:21] offset:40
	s_waitcnt vmcnt(0)
	v_add_nc_u32_e32 v0, -1, v0
	v_cmp_eq_u32_e32 vcc_lo, 10, v0
	s_cbranch_vccnz .LBB21_168
; %bb.167:
	v_lshlrev_b32_e32 v0, 3, v0
	s_clause 0x3
	buffer_load_dword v45, v0, s[0:3], 0 offen
	buffer_load_dword v46, v0, s[0:3], 0 offen offset:4
	buffer_load_dword v47, off, s[0:3], 0 offset:84
	buffer_load_dword v48, off, s[0:3], 0 offset:80
	s_waitcnt vmcnt(3)
	buffer_store_dword v45, off, s[0:3], 0 offset:80
	s_waitcnt vmcnt(2)
	buffer_store_dword v46, off, s[0:3], 0 offset:84
	s_waitcnt vmcnt(1)
	buffer_store_dword v47, v0, s[0:3], 0 offen offset:4
	s_waitcnt vmcnt(0)
	buffer_store_dword v48, v0, s[0:3], 0 offen
.LBB21_168:
	v_mov_b32_e32 v0, 0
	global_load_dword v45, v0, s[20:21] offset:36
	s_waitcnt vmcnt(0)
	v_add_nc_u32_e32 v45, -1, v45
	v_cmp_eq_u32_e32 vcc_lo, 9, v45
	s_cbranch_vccnz .LBB21_170
; %bb.169:
	v_lshlrev_b32_e32 v45, 3, v45
	s_clause 0x3
	buffer_load_dword v46, v45, s[0:3], 0 offen
	buffer_load_dword v47, v45, s[0:3], 0 offen offset:4
	buffer_load_dword v48, off, s[0:3], 0 offset:72
	buffer_load_dword v49, off, s[0:3], 0 offset:76
	s_waitcnt vmcnt(3)
	buffer_store_dword v46, off, s[0:3], 0 offset:72
	s_waitcnt vmcnt(2)
	buffer_store_dword v47, off, s[0:3], 0 offset:76
	s_waitcnt vmcnt(1)
	buffer_store_dword v48, v45, s[0:3], 0 offen
	s_waitcnt vmcnt(0)
	buffer_store_dword v49, v45, s[0:3], 0 offen offset:4
.LBB21_170:
	global_load_dword v0, v0, s[20:21] offset:32
	s_waitcnt vmcnt(0)
	v_add_nc_u32_e32 v0, -1, v0
	v_cmp_eq_u32_e32 vcc_lo, 8, v0
	s_cbranch_vccnz .LBB21_172
; %bb.171:
	v_lshlrev_b32_e32 v0, 3, v0
	s_clause 0x3
	buffer_load_dword v45, v0, s[0:3], 0 offen
	buffer_load_dword v46, v0, s[0:3], 0 offen offset:4
	buffer_load_dword v47, off, s[0:3], 0 offset:68
	buffer_load_dword v48, off, s[0:3], 0 offset:64
	s_waitcnt vmcnt(3)
	buffer_store_dword v45, off, s[0:3], 0 offset:64
	s_waitcnt vmcnt(2)
	buffer_store_dword v46, off, s[0:3], 0 offset:68
	s_waitcnt vmcnt(1)
	buffer_store_dword v47, v0, s[0:3], 0 offen offset:4
	s_waitcnt vmcnt(0)
	buffer_store_dword v48, v0, s[0:3], 0 offen
.LBB21_172:
	v_mov_b32_e32 v0, 0
	global_load_dword v45, v0, s[20:21] offset:28
	s_waitcnt vmcnt(0)
	v_add_nc_u32_e32 v45, -1, v45
	v_cmp_eq_u32_e32 vcc_lo, 7, v45
	s_cbranch_vccnz .LBB21_174
; %bb.173:
	v_lshlrev_b32_e32 v45, 3, v45
	s_clause 0x3
	buffer_load_dword v46, v45, s[0:3], 0 offen
	buffer_load_dword v47, v45, s[0:3], 0 offen offset:4
	buffer_load_dword v48, off, s[0:3], 0 offset:56
	buffer_load_dword v49, off, s[0:3], 0 offset:60
	s_waitcnt vmcnt(3)
	buffer_store_dword v46, off, s[0:3], 0 offset:56
	s_waitcnt vmcnt(2)
	buffer_store_dword v47, off, s[0:3], 0 offset:60
	s_waitcnt vmcnt(1)
	buffer_store_dword v48, v45, s[0:3], 0 offen
	s_waitcnt vmcnt(0)
	buffer_store_dword v49, v45, s[0:3], 0 offen offset:4
.LBB21_174:
	global_load_dword v0, v0, s[20:21] offset:24
	s_waitcnt vmcnt(0)
	v_add_nc_u32_e32 v0, -1, v0
	v_cmp_eq_u32_e32 vcc_lo, 6, v0
	s_cbranch_vccnz .LBB21_176
; %bb.175:
	v_lshlrev_b32_e32 v0, 3, v0
	s_clause 0x3
	buffer_load_dword v45, v0, s[0:3], 0 offen
	buffer_load_dword v46, v0, s[0:3], 0 offen offset:4
	buffer_load_dword v47, off, s[0:3], 0 offset:52
	buffer_load_dword v48, off, s[0:3], 0 offset:48
	s_waitcnt vmcnt(3)
	buffer_store_dword v45, off, s[0:3], 0 offset:48
	s_waitcnt vmcnt(2)
	buffer_store_dword v46, off, s[0:3], 0 offset:52
	s_waitcnt vmcnt(1)
	buffer_store_dword v47, v0, s[0:3], 0 offen offset:4
	s_waitcnt vmcnt(0)
	buffer_store_dword v48, v0, s[0:3], 0 offen
.LBB21_176:
	v_mov_b32_e32 v0, 0
	global_load_dword v45, v0, s[20:21] offset:20
	s_waitcnt vmcnt(0)
	v_add_nc_u32_e32 v45, -1, v45
	v_cmp_eq_u32_e32 vcc_lo, 5, v45
	s_cbranch_vccnz .LBB21_178
; %bb.177:
	v_lshlrev_b32_e32 v45, 3, v45
	s_clause 0x3
	buffer_load_dword v46, v45, s[0:3], 0 offen
	buffer_load_dword v47, v45, s[0:3], 0 offen offset:4
	buffer_load_dword v48, off, s[0:3], 0 offset:40
	buffer_load_dword v49, off, s[0:3], 0 offset:44
	s_waitcnt vmcnt(3)
	buffer_store_dword v46, off, s[0:3], 0 offset:40
	s_waitcnt vmcnt(2)
	buffer_store_dword v47, off, s[0:3], 0 offset:44
	s_waitcnt vmcnt(1)
	buffer_store_dword v48, v45, s[0:3], 0 offen
	s_waitcnt vmcnt(0)
	buffer_store_dword v49, v45, s[0:3], 0 offen offset:4
.LBB21_178:
	global_load_dword v0, v0, s[20:21] offset:16
	s_waitcnt vmcnt(0)
	v_add_nc_u32_e32 v0, -1, v0
	v_cmp_eq_u32_e32 vcc_lo, 4, v0
	s_cbranch_vccnz .LBB21_180
; %bb.179:
	v_lshlrev_b32_e32 v0, 3, v0
	s_clause 0x3
	buffer_load_dword v45, v0, s[0:3], 0 offen
	buffer_load_dword v46, v0, s[0:3], 0 offen offset:4
	buffer_load_dword v47, off, s[0:3], 0 offset:36
	buffer_load_dword v48, off, s[0:3], 0 offset:32
	s_waitcnt vmcnt(3)
	buffer_store_dword v45, off, s[0:3], 0 offset:32
	s_waitcnt vmcnt(2)
	buffer_store_dword v46, off, s[0:3], 0 offset:36
	s_waitcnt vmcnt(1)
	buffer_store_dword v47, v0, s[0:3], 0 offen offset:4
	s_waitcnt vmcnt(0)
	buffer_store_dword v48, v0, s[0:3], 0 offen
.LBB21_180:
	v_mov_b32_e32 v0, 0
	global_load_dword v45, v0, s[20:21] offset:12
	s_waitcnt vmcnt(0)
	v_add_nc_u32_e32 v45, -1, v45
	v_cmp_eq_u32_e32 vcc_lo, 3, v45
	s_cbranch_vccnz .LBB21_182
; %bb.181:
	v_lshlrev_b32_e32 v45, 3, v45
	s_clause 0x3
	buffer_load_dword v46, v45, s[0:3], 0 offen
	buffer_load_dword v47, v45, s[0:3], 0 offen offset:4
	buffer_load_dword v48, off, s[0:3], 0 offset:24
	buffer_load_dword v49, off, s[0:3], 0 offset:28
	s_waitcnt vmcnt(3)
	buffer_store_dword v46, off, s[0:3], 0 offset:24
	s_waitcnt vmcnt(2)
	buffer_store_dword v47, off, s[0:3], 0 offset:28
	s_waitcnt vmcnt(1)
	buffer_store_dword v48, v45, s[0:3], 0 offen
	s_waitcnt vmcnt(0)
	buffer_store_dword v49, v45, s[0:3], 0 offen offset:4
.LBB21_182:
	global_load_dword v0, v0, s[20:21] offset:8
	s_waitcnt vmcnt(0)
	v_add_nc_u32_e32 v0, -1, v0
	v_cmp_eq_u32_e32 vcc_lo, 2, v0
	s_cbranch_vccnz .LBB21_184
; %bb.183:
	v_lshlrev_b32_e32 v0, 3, v0
	s_clause 0x3
	buffer_load_dword v45, v0, s[0:3], 0 offen
	buffer_load_dword v46, v0, s[0:3], 0 offen offset:4
	buffer_load_dword v47, off, s[0:3], 0 offset:20
	buffer_load_dword v48, off, s[0:3], 0 offset:16
	s_waitcnt vmcnt(3)
	buffer_store_dword v45, off, s[0:3], 0 offset:16
	s_waitcnt vmcnt(2)
	buffer_store_dword v46, off, s[0:3], 0 offset:20
	s_waitcnt vmcnt(1)
	buffer_store_dword v47, v0, s[0:3], 0 offen offset:4
	s_waitcnt vmcnt(0)
	buffer_store_dword v48, v0, s[0:3], 0 offen
.LBB21_184:
	v_mov_b32_e32 v0, 0
	global_load_dword v45, v0, s[20:21] offset:4
	s_waitcnt vmcnt(0)
	v_add_nc_u32_e32 v45, -1, v45
	v_cmp_eq_u32_e32 vcc_lo, 1, v45
	s_cbranch_vccnz .LBB21_186
; %bb.185:
	v_lshlrev_b32_e32 v45, 3, v45
	s_clause 0x3
	buffer_load_dword v46, v45, s[0:3], 0 offen
	buffer_load_dword v47, v45, s[0:3], 0 offen offset:4
	buffer_load_dword v48, off, s[0:3], 0 offset:8
	buffer_load_dword v49, off, s[0:3], 0 offset:12
	s_waitcnt vmcnt(3)
	buffer_store_dword v46, off, s[0:3], 0 offset:8
	s_waitcnt vmcnt(2)
	buffer_store_dword v47, off, s[0:3], 0 offset:12
	s_waitcnt vmcnt(1)
	buffer_store_dword v48, v45, s[0:3], 0 offen
	s_waitcnt vmcnt(0)
	buffer_store_dword v49, v45, s[0:3], 0 offen offset:4
.LBB21_186:
	global_load_dword v0, v0, s[20:21]
	s_waitcnt vmcnt(0)
	v_add_nc_u32_e32 v0, -1, v0
	v_cmp_eq_u32_e32 vcc_lo, 0, v0
	s_cbranch_vccnz .LBB21_188
; %bb.187:
	v_lshlrev_b32_e32 v0, 3, v0
	s_clause 0x3
	buffer_load_dword v45, v0, s[0:3], 0 offen
	buffer_load_dword v46, v0, s[0:3], 0 offen offset:4
	buffer_load_dword v47, off, s[0:3], 0 offset:4
	buffer_load_dword v48, off, s[0:3], 0
	s_waitcnt vmcnt(3)
	buffer_store_dword v45, off, s[0:3], 0
	s_waitcnt vmcnt(2)
	buffer_store_dword v46, off, s[0:3], 0 offset:4
	s_waitcnt vmcnt(1)
	buffer_store_dword v47, v0, s[0:3], 0 offen offset:4
	s_waitcnt vmcnt(0)
	buffer_store_dword v48, v0, s[0:3], 0 offen
.LBB21_188:
	s_clause 0x2b
	buffer_load_dword v45, off, s[0:3], 0
	buffer_load_dword v46, off, s[0:3], 0 offset:4
	buffer_load_dword v47, off, s[0:3], 0 offset:8
	;; [unrolled: 1-line block ×43, first 2 shown]
	s_waitcnt vmcnt(42)
	global_store_dwordx2 v[1:2], v[45:46], off
	s_waitcnt vmcnt(40)
	global_store_dwordx2 v[3:4], v[47:48], off
	;; [unrolled: 2-line block ×9, first 2 shown]
	global_store_dwordx2 v[19:20], v[63:64], off
	global_store_dwordx2 v[21:22], v[65:66], off
	;; [unrolled: 1-line block ×3, first 2 shown]
	s_waitcnt vmcnt(18)
	global_store_dwordx2 v[25:26], v[69:70], off
	s_waitcnt vmcnt(16)
	global_store_dwordx2 v[27:28], v[71:72], off
	;; [unrolled: 2-line block ×10, first 2 shown]
	s_endpgm
	.section	.rodata,"a",@progbits
	.p2align	6, 0x0
	.amdhsa_kernel _ZN9rocsolver6v33100L18getri_kernel_smallILi22E19rocblas_complex_numIfEPS3_EEvT1_iilPiilS6_bb
		.amdhsa_group_segment_fixed_size 356
		.amdhsa_private_segment_fixed_size 192
		.amdhsa_kernarg_size 60
		.amdhsa_user_sgpr_count 6
		.amdhsa_user_sgpr_private_segment_buffer 1
		.amdhsa_user_sgpr_dispatch_ptr 0
		.amdhsa_user_sgpr_queue_ptr 0
		.amdhsa_user_sgpr_kernarg_segment_ptr 1
		.amdhsa_user_sgpr_dispatch_id 0
		.amdhsa_user_sgpr_flat_scratch_init 0
		.amdhsa_user_sgpr_private_segment_size 0
		.amdhsa_wavefront_size32 1
		.amdhsa_uses_dynamic_stack 0
		.amdhsa_system_sgpr_private_segment_wavefront_offset 1
		.amdhsa_system_sgpr_workgroup_id_x 1
		.amdhsa_system_sgpr_workgroup_id_y 0
		.amdhsa_system_sgpr_workgroup_id_z 0
		.amdhsa_system_sgpr_workgroup_info 0
		.amdhsa_system_vgpr_workitem_id 0
		.amdhsa_next_free_vgpr 152
		.amdhsa_next_free_sgpr 23
		.amdhsa_reserve_vcc 1
		.amdhsa_reserve_flat_scratch 0
		.amdhsa_float_round_mode_32 0
		.amdhsa_float_round_mode_16_64 0
		.amdhsa_float_denorm_mode_32 3
		.amdhsa_float_denorm_mode_16_64 3
		.amdhsa_dx10_clamp 1
		.amdhsa_ieee_mode 1
		.amdhsa_fp16_overflow 0
		.amdhsa_workgroup_processor_mode 1
		.amdhsa_memory_ordered 1
		.amdhsa_forward_progress 1
		.amdhsa_shared_vgpr_count 0
		.amdhsa_exception_fp_ieee_invalid_op 0
		.amdhsa_exception_fp_denorm_src 0
		.amdhsa_exception_fp_ieee_div_zero 0
		.amdhsa_exception_fp_ieee_overflow 0
		.amdhsa_exception_fp_ieee_underflow 0
		.amdhsa_exception_fp_ieee_inexact 0
		.amdhsa_exception_int_div_zero 0
	.end_amdhsa_kernel
	.section	.text._ZN9rocsolver6v33100L18getri_kernel_smallILi22E19rocblas_complex_numIfEPS3_EEvT1_iilPiilS6_bb,"axG",@progbits,_ZN9rocsolver6v33100L18getri_kernel_smallILi22E19rocblas_complex_numIfEPS3_EEvT1_iilPiilS6_bb,comdat
.Lfunc_end21:
	.size	_ZN9rocsolver6v33100L18getri_kernel_smallILi22E19rocblas_complex_numIfEPS3_EEvT1_iilPiilS6_bb, .Lfunc_end21-_ZN9rocsolver6v33100L18getri_kernel_smallILi22E19rocblas_complex_numIfEPS3_EEvT1_iilPiilS6_bb
                                        ; -- End function
	.set _ZN9rocsolver6v33100L18getri_kernel_smallILi22E19rocblas_complex_numIfEPS3_EEvT1_iilPiilS6_bb.num_vgpr, 152
	.set _ZN9rocsolver6v33100L18getri_kernel_smallILi22E19rocblas_complex_numIfEPS3_EEvT1_iilPiilS6_bb.num_agpr, 0
	.set _ZN9rocsolver6v33100L18getri_kernel_smallILi22E19rocblas_complex_numIfEPS3_EEvT1_iilPiilS6_bb.numbered_sgpr, 23
	.set _ZN9rocsolver6v33100L18getri_kernel_smallILi22E19rocblas_complex_numIfEPS3_EEvT1_iilPiilS6_bb.num_named_barrier, 0
	.set _ZN9rocsolver6v33100L18getri_kernel_smallILi22E19rocblas_complex_numIfEPS3_EEvT1_iilPiilS6_bb.private_seg_size, 192
	.set _ZN9rocsolver6v33100L18getri_kernel_smallILi22E19rocblas_complex_numIfEPS3_EEvT1_iilPiilS6_bb.uses_vcc, 1
	.set _ZN9rocsolver6v33100L18getri_kernel_smallILi22E19rocblas_complex_numIfEPS3_EEvT1_iilPiilS6_bb.uses_flat_scratch, 0
	.set _ZN9rocsolver6v33100L18getri_kernel_smallILi22E19rocblas_complex_numIfEPS3_EEvT1_iilPiilS6_bb.has_dyn_sized_stack, 0
	.set _ZN9rocsolver6v33100L18getri_kernel_smallILi22E19rocblas_complex_numIfEPS3_EEvT1_iilPiilS6_bb.has_recursion, 0
	.set _ZN9rocsolver6v33100L18getri_kernel_smallILi22E19rocblas_complex_numIfEPS3_EEvT1_iilPiilS6_bb.has_indirect_call, 0
	.section	.AMDGPU.csdata,"",@progbits
; Kernel info:
; codeLenInByte = 26584
; TotalNumSgprs: 25
; NumVgprs: 152
; ScratchSize: 192
; MemoryBound: 0
; FloatMode: 240
; IeeeMode: 1
; LDSByteSize: 356 bytes/workgroup (compile time only)
; SGPRBlocks: 0
; VGPRBlocks: 18
; NumSGPRsForWavesPerEU: 25
; NumVGPRsForWavesPerEU: 152
; Occupancy: 6
; WaveLimiterHint : 1
; COMPUTE_PGM_RSRC2:SCRATCH_EN: 1
; COMPUTE_PGM_RSRC2:USER_SGPR: 6
; COMPUTE_PGM_RSRC2:TRAP_HANDLER: 0
; COMPUTE_PGM_RSRC2:TGID_X_EN: 1
; COMPUTE_PGM_RSRC2:TGID_Y_EN: 0
; COMPUTE_PGM_RSRC2:TGID_Z_EN: 0
; COMPUTE_PGM_RSRC2:TIDIG_COMP_CNT: 0
	.section	.text._ZN9rocsolver6v33100L18getri_kernel_smallILi23E19rocblas_complex_numIfEPS3_EEvT1_iilPiilS6_bb,"axG",@progbits,_ZN9rocsolver6v33100L18getri_kernel_smallILi23E19rocblas_complex_numIfEPS3_EEvT1_iilPiilS6_bb,comdat
	.globl	_ZN9rocsolver6v33100L18getri_kernel_smallILi23E19rocblas_complex_numIfEPS3_EEvT1_iilPiilS6_bb ; -- Begin function _ZN9rocsolver6v33100L18getri_kernel_smallILi23E19rocblas_complex_numIfEPS3_EEvT1_iilPiilS6_bb
	.p2align	8
	.type	_ZN9rocsolver6v33100L18getri_kernel_smallILi23E19rocblas_complex_numIfEPS3_EEvT1_iilPiilS6_bb,@function
_ZN9rocsolver6v33100L18getri_kernel_smallILi23E19rocblas_complex_numIfEPS3_EEvT1_iilPiilS6_bb: ; @_ZN9rocsolver6v33100L18getri_kernel_smallILi23E19rocblas_complex_numIfEPS3_EEvT1_iilPiilS6_bb
; %bb.0:
	s_add_u32 s0, s0, s7
	s_addc_u32 s1, s1, 0
	s_mov_b32 s7, exec_lo
	v_cmpx_gt_u32_e32 23, v0
	s_cbranch_execz .LBB22_106
; %bb.1:
	s_clause 0x2
	s_load_dword s7, s[4:5], 0x38
	s_load_dwordx4 s[16:19], s[4:5], 0x10
	s_load_dwordx4 s[8:11], s[4:5], 0x28
                                        ; implicit-def: $sgpr20_sgpr21
	s_waitcnt lgkmcnt(0)
	s_bitcmp1_b32 s7, 8
	s_cselect_b32 s22, -1, 0
	s_bfe_u32 s12, s7, 0x10008
	s_ashr_i32 s7, s6, 31
	s_cmp_eq_u32 s12, 0
	s_cbranch_scc1 .LBB22_3
; %bb.2:
	s_load_dword s12, s[4:5], 0x20
	s_mul_i32 s13, s8, s7
	s_mul_hi_u32 s14, s8, s6
	s_mul_i32 s9, s9, s6
	s_add_i32 s13, s14, s13
	s_mul_i32 s8, s8, s6
	s_add_i32 s9, s13, s9
	s_lshl_b64 s[8:9], s[8:9], 2
	s_waitcnt lgkmcnt(0)
	s_ashr_i32 s13, s12, 31
	s_add_u32 s14, s18, s8
	s_addc_u32 s15, s19, s9
	s_lshl_b64 s[8:9], s[12:13], 2
	s_add_u32 s20, s14, s8
	s_addc_u32 s21, s15, s9
.LBB22_3:
	s_clause 0x1
	s_load_dwordx4 s[12:15], s[4:5], 0x0
	s_load_dword s8, s[4:5], 0x38
	s_mul_i32 s4, s16, s7
	s_mul_hi_u32 s5, s16, s6
	s_mul_i32 s9, s17, s6
	s_add_i32 s5, s5, s4
	s_mul_i32 s4, s16, s6
	s_add_i32 s5, s5, s9
	v_lshlrev_b32_e32 v49, 3, v0
	s_lshl_b64 s[4:5], s[4:5], 3
	s_waitcnt lgkmcnt(0)
	v_add3_u32 v3, s15, s15, v0
	s_ashr_i32 s17, s14, 31
	s_mov_b32 s16, s14
	s_add_u32 s9, s12, s4
	s_addc_u32 s13, s13, s5
	v_add_nc_u32_e32 v5, s15, v3
	s_lshl_b64 s[4:5], s[16:17], 3
	v_ashrrev_i32_e32 v4, 31, v3
	s_add_u32 s4, s9, s4
	s_addc_u32 s5, s13, s5
	v_ashrrev_i32_e32 v6, 31, v5
	v_add_nc_u32_e32 v9, s15, v5
	v_add_co_u32 v1, s9, s4, v49
	s_mov_b32 s12, s15
	s_ashr_i32 s13, s15, 31
	v_lshlrev_b64 v[7:8], 3, v[3:4]
	v_add_co_ci_u32_e64 v2, null, s5, 0, s9
	s_lshl_b64 s[12:13], s[12:13], 3
	v_ashrrev_i32_e32 v10, 31, v9
	v_lshlrev_b64 v[11:12], 3, v[5:6]
	v_add_nc_u32_e32 v15, s15, v9
	v_add_co_u32 v3, vcc_lo, v1, s12
	v_add_co_ci_u32_e64 v4, null, s13, v2, vcc_lo
	v_add_co_u32 v5, vcc_lo, s4, v7
	v_lshlrev_b64 v[13:14], 3, v[9:10]
	v_add_co_ci_u32_e64 v6, null, s5, v8, vcc_lo
	v_add_co_u32 v7, vcc_lo, s4, v11
	v_add_nc_u32_e32 v11, s15, v15
	v_add_co_ci_u32_e64 v8, null, s5, v12, vcc_lo
	v_ashrrev_i32_e32 v16, 31, v15
	v_add_co_u32 v9, vcc_lo, s4, v13
	v_add_nc_u32_e32 v13, s15, v11
	v_ashrrev_i32_e32 v12, 31, v11
	v_lshlrev_b64 v[15:16], 3, v[15:16]
	v_add_co_ci_u32_e64 v10, null, s5, v14, vcc_lo
	v_add_nc_u32_e32 v19, s15, v13
	v_lshlrev_b64 v[17:18], 3, v[11:12]
	v_ashrrev_i32_e32 v14, 31, v13
	v_add_co_u32 v11, vcc_lo, s4, v15
	v_ashrrev_i32_e32 v20, 31, v19
	v_add_nc_u32_e32 v21, s15, v19
	v_add_co_ci_u32_e64 v12, null, s5, v16, vcc_lo
	v_lshlrev_b64 v[15:16], 3, v[13:14]
	v_add_co_u32 v13, vcc_lo, s4, v17
	v_add_co_ci_u32_e64 v14, null, s5, v18, vcc_lo
	v_lshlrev_b64 v[17:18], 3, v[19:20]
	v_add_nc_u32_e32 v19, s15, v21
	v_ashrrev_i32_e32 v22, 31, v21
	v_add_co_u32 v15, vcc_lo, s4, v15
	v_add_co_ci_u32_e64 v16, null, s5, v16, vcc_lo
	v_add_nc_u32_e32 v23, s15, v19
	v_ashrrev_i32_e32 v20, 31, v19
	v_lshlrev_b64 v[21:22], 3, v[21:22]
	v_add_co_u32 v17, vcc_lo, s4, v17
	v_add_nc_u32_e32 v27, s15, v23
	v_lshlrev_b64 v[25:26], 3, v[19:20]
	v_add_co_ci_u32_e64 v18, null, s5, v18, vcc_lo
	v_add_co_u32 v19, vcc_lo, s4, v21
	v_ashrrev_i32_e32 v28, 31, v27
	v_add_nc_u32_e32 v29, s15, v27
	v_add_co_ci_u32_e64 v20, null, s5, v22, vcc_lo
	v_add_co_u32 v21, vcc_lo, s4, v25
	v_add_co_ci_u32_e64 v22, null, s5, v26, vcc_lo
	v_lshlrev_b64 v[25:26], 3, v[27:28]
	v_add_nc_u32_e32 v27, s15, v29
	v_ashrrev_i32_e32 v24, 31, v23
	v_ashrrev_i32_e32 v30, 31, v29
	s_clause 0x4
	global_load_dwordx2 v[47:48], v49, s[4:5]
	global_load_dwordx2 v[50:51], v[3:4], off
	global_load_dwordx2 v[52:53], v[5:6], off
	;; [unrolled: 1-line block ×4, first 2 shown]
	v_add_nc_u32_e32 v31, s15, v27
	v_lshlrev_b64 v[23:24], 3, v[23:24]
	v_ashrrev_i32_e32 v28, 31, v27
	v_lshlrev_b64 v[29:30], 3, v[29:30]
	s_clause 0x1
	global_load_dwordx2 v[58:59], v[11:12], off
	global_load_dwordx2 v[60:61], v[13:14], off
	v_add_nc_u32_e32 v35, s15, v31
	v_add_co_u32 v23, vcc_lo, s4, v23
	v_lshlrev_b64 v[33:34], 3, v[27:28]
	v_add_co_ci_u32_e64 v24, null, s5, v24, vcc_lo
	v_add_co_u32 v25, vcc_lo, s4, v25
	v_ashrrev_i32_e32 v36, 31, v35
	v_add_nc_u32_e32 v37, s15, v35
	v_add_co_ci_u32_e64 v26, null, s5, v26, vcc_lo
	v_add_co_u32 v27, vcc_lo, s4, v29
	v_add_co_ci_u32_e64 v28, null, s5, v30, vcc_lo
	v_add_co_u32 v29, vcc_lo, s4, v33
	v_add_co_ci_u32_e64 v30, null, s5, v34, vcc_lo
	v_lshlrev_b64 v[33:34], 3, v[35:36]
	v_add_nc_u32_e32 v35, s15, v37
	v_ashrrev_i32_e32 v32, 31, v31
	v_ashrrev_i32_e32 v38, 31, v37
	s_clause 0x4
	global_load_dwordx2 v[62:63], v[15:16], off
	global_load_dwordx2 v[64:65], v[17:18], off
	;; [unrolled: 1-line block ×5, first 2 shown]
	v_add_nc_u32_e32 v39, s15, v35
	v_lshlrev_b64 v[31:32], 3, v[31:32]
	v_ashrrev_i32_e32 v36, 31, v35
	v_lshlrev_b64 v[37:38], 3, v[37:38]
	s_bitcmp0_b32 s8, 0
	v_add_nc_u32_e32 v43, s15, v39
	v_ashrrev_i32_e32 v40, 31, v39
	v_add_co_u32 v31, vcc_lo, s4, v31
	v_lshlrev_b64 v[41:42], 3, v[35:36]
	v_add_co_ci_u32_e64 v32, null, s5, v32, vcc_lo
	v_add_co_u32 v33, vcc_lo, s4, v33
	v_ashrrev_i32_e32 v44, 31, v43
	v_add_nc_u32_e32 v45, s15, v43
	v_add_co_ci_u32_e64 v34, null, s5, v34, vcc_lo
	v_add_co_u32 v35, vcc_lo, s4, v37
	v_add_co_ci_u32_e64 v36, null, s5, v38, vcc_lo
	v_add_co_u32 v37, vcc_lo, s4, v41
	v_add_co_ci_u32_e64 v38, null, s5, v42, vcc_lo
	v_lshlrev_b64 v[41:42], 3, v[43:44]
	v_add_nc_u32_e32 v43, s15, v45
	v_ashrrev_i32_e32 v46, 31, v45
	v_lshlrev_b64 v[39:40], 3, v[39:40]
	s_clause 0x3
	global_load_dwordx2 v[74:75], v[25:26], off
	global_load_dwordx2 v[76:77], v[27:28], off
	;; [unrolled: 1-line block ×4, first 2 shown]
	v_ashrrev_i32_e32 v44, 31, v43
	v_lshlrev_b64 v[45:46], 3, v[45:46]
	v_add_co_u32 v39, vcc_lo, s4, v39
	v_lshlrev_b64 v[72:73], 3, v[43:44]
	v_add_co_ci_u32_e64 v40, null, s5, v40, vcc_lo
	v_add_co_u32 v41, vcc_lo, s4, v41
	v_add_co_ci_u32_e64 v42, null, s5, v42, vcc_lo
	v_add_co_u32 v43, vcc_lo, s4, v45
	;; [unrolled: 2-line block ×3, first 2 shown]
	v_add_co_ci_u32_e64 v46, null, s5, v73, vcc_lo
	s_clause 0x6
	global_load_dwordx2 v[82:83], v[33:34], off
	global_load_dwordx2 v[84:85], v[35:36], off
	;; [unrolled: 1-line block ×7, first 2 shown]
	s_mov_b32 s5, -1
	s_waitcnt vmcnt(22)
	buffer_store_dword v48, off, s[0:3], 0 offset:4
	buffer_store_dword v47, off, s[0:3], 0
	s_waitcnt vmcnt(21)
	buffer_store_dword v51, off, s[0:3], 0 offset:12
	buffer_store_dword v50, off, s[0:3], 0 offset:8
	s_waitcnt vmcnt(20)
	buffer_store_dword v53, off, s[0:3], 0 offset:20
	buffer_store_dword v52, off, s[0:3], 0 offset:16
	;; [unrolled: 3-line block ×22, first 2 shown]
	s_cbranch_scc1 .LBB22_104
; %bb.4:
	v_cmp_eq_u32_e64 s4, 0, v0
	s_and_saveexec_b32 s5, s4
; %bb.5:
	v_mov_b32_e32 v47, 0
	ds_write_b32 v47, v47 offset:184
; %bb.6:
	s_or_b32 exec_lo, exec_lo, s5
	v_lshl_add_u32 v51, v0, 3, 0
	s_waitcnt lgkmcnt(0)
	s_waitcnt_vscnt null, 0x0
	s_barrier
	buffer_gl0_inv
	s_clause 0x1
	buffer_load_dword v47, v51, s[0:3], 0 offen
	buffer_load_dword v48, v51, s[0:3], 0 offen offset:4
	s_waitcnt vmcnt(1)
	v_cmp_eq_f32_e32 vcc_lo, 0, v47
	s_waitcnt vmcnt(0)
	v_cmp_eq_f32_e64 s5, 0, v48
	s_and_b32 s5, vcc_lo, s5
	s_and_saveexec_b32 s8, s5
	s_cbranch_execz .LBB22_10
; %bb.7:
	v_mov_b32_e32 v47, 0
	s_mov_b32 s9, 0
	ds_read_b32 v48, v47 offset:184
	s_waitcnt lgkmcnt(0)
	v_readfirstlane_b32 s5, v48
	v_add_nc_u32_e32 v48, 1, v0
	s_cmp_eq_u32 s5, 0
	v_cmp_gt_i32_e32 vcc_lo, s5, v48
	s_cselect_b32 s12, -1, 0
	s_or_b32 s12, s12, vcc_lo
	s_and_b32 exec_lo, exec_lo, s12
	s_cbranch_execz .LBB22_10
; %bb.8:
	v_mov_b32_e32 v50, s5
.LBB22_9:                               ; =>This Inner Loop Header: Depth=1
	ds_cmpst_rtn_b32 v50, v47, v50, v48 offset:184
	s_waitcnt lgkmcnt(0)
	v_cmp_ne_u32_e32 vcc_lo, 0, v50
	v_cmp_le_i32_e64 s5, v50, v48
	s_and_b32 s5, vcc_lo, s5
	s_and_b32 s5, exec_lo, s5
	s_or_b32 s9, s5, s9
	s_andn2_b32 exec_lo, exec_lo, s9
	s_cbranch_execnz .LBB22_9
.LBB22_10:
	s_or_b32 exec_lo, exec_lo, s8
	v_mov_b32_e32 v47, 0
	s_barrier
	buffer_gl0_inv
	ds_read_b32 v48, v47 offset:184
	s_and_saveexec_b32 s5, s4
	s_cbranch_execz .LBB22_12
; %bb.11:
	s_lshl_b64 s[8:9], s[6:7], 2
	s_add_u32 s8, s10, s8
	s_addc_u32 s9, s11, s9
	s_waitcnt lgkmcnt(0)
	global_store_dword v47, v48, s[8:9]
.LBB22_12:
	s_or_b32 exec_lo, exec_lo, s5
	s_waitcnt lgkmcnt(0)
	v_cmp_ne_u32_e32 vcc_lo, 0, v48
	s_mov_b32 s5, 0
	s_cbranch_vccnz .LBB22_104
; %bb.13:
	s_clause 0x1
	buffer_load_dword v48, v51, s[0:3], 0 offen
	buffer_load_dword v50, v51, s[0:3], 0 offen offset:4
                                        ; implicit-def: $vgpr53
                                        ; implicit-def: $vgpr52
                                        ; implicit-def: $vgpr47
	s_waitcnt vmcnt(0)
	v_cmp_ngt_f32_e64 s5, |v48|, |v50|
	s_and_saveexec_b32 s8, s5
	s_xor_b32 s5, exec_lo, s8
	s_cbranch_execz .LBB22_15
; %bb.14:
	v_div_scale_f32 v47, null, v50, v50, v48
	v_div_scale_f32 v54, vcc_lo, v48, v50, v48
	v_rcp_f32_e32 v52, v47
	v_fma_f32 v53, -v47, v52, 1.0
	v_fmac_f32_e32 v52, v53, v52
	v_mul_f32_e32 v53, v54, v52
	v_fma_f32 v55, -v47, v53, v54
	v_fmac_f32_e32 v53, v55, v52
	v_fma_f32 v47, -v47, v53, v54
	v_div_fmas_f32 v47, v47, v52, v53
	v_div_fixup_f32 v47, v47, v50, v48
	v_fmac_f32_e32 v50, v48, v47
	v_div_scale_f32 v48, null, v50, v50, 1.0
	v_rcp_f32_e32 v52, v48
	v_fma_f32 v53, -v48, v52, 1.0
	v_fmac_f32_e32 v52, v53, v52
	v_div_scale_f32 v53, vcc_lo, 1.0, v50, 1.0
	v_mul_f32_e32 v54, v53, v52
	v_fma_f32 v55, -v48, v54, v53
	v_fmac_f32_e32 v54, v55, v52
	v_fma_f32 v48, -v48, v54, v53
	v_div_fmas_f32 v48, v48, v52, v54
	v_div_fixup_f32 v48, v48, v50, 1.0
                                        ; implicit-def: $vgpr50
	v_mul_f32_e32 v53, v47, v48
	v_xor_b32_e32 v52, 0x80000000, v48
                                        ; implicit-def: $vgpr48
	v_xor_b32_e32 v47, 0x80000000, v53
.LBB22_15:
	s_andn2_saveexec_b32 s5, s5
	s_cbranch_execz .LBB22_17
; %bb.16:
	v_div_scale_f32 v47, null, v48, v48, v50
	v_div_scale_f32 v54, vcc_lo, v50, v48, v50
	v_rcp_f32_e32 v52, v47
	v_fma_f32 v53, -v47, v52, 1.0
	v_fmac_f32_e32 v52, v53, v52
	v_mul_f32_e32 v53, v54, v52
	v_fma_f32 v55, -v47, v53, v54
	v_fmac_f32_e32 v53, v55, v52
	v_fma_f32 v47, -v47, v53, v54
	v_div_fmas_f32 v47, v47, v52, v53
	v_div_fixup_f32 v52, v47, v48, v50
	v_fmac_f32_e32 v48, v50, v52
	v_div_scale_f32 v47, null, v48, v48, 1.0
	v_div_scale_f32 v54, vcc_lo, 1.0, v48, 1.0
	v_rcp_f32_e32 v50, v47
	v_fma_f32 v53, -v47, v50, 1.0
	v_fmac_f32_e32 v50, v53, v50
	v_mul_f32_e32 v53, v54, v50
	v_fma_f32 v55, -v47, v53, v54
	v_fmac_f32_e32 v53, v55, v50
	v_fma_f32 v47, -v47, v53, v54
	v_div_fmas_f32 v47, v47, v50, v53
	v_div_fixup_f32 v53, v47, v48, 1.0
	v_xor_b32_e32 v47, 0x80000000, v53
	v_mul_f32_e64 v52, v52, -v53
.LBB22_17:
	s_or_b32 exec_lo, exec_lo, s5
	buffer_store_dword v53, v51, s[0:3], 0 offen
	buffer_store_dword v52, v51, s[0:3], 0 offen offset:4
	s_clause 0x1
	buffer_load_dword v54, off, s[0:3], 0 offset:12
	buffer_load_dword v53, off, s[0:3], 0 offset:8
	v_xor_b32_e32 v48, 0x80000000, v52
	v_add_nc_u32_e32 v50, 0xc0, v49
	s_waitcnt vmcnt(0)
	ds_write2_b64 v49, v[47:48], v[53:54] offset1:24
	s_waitcnt lgkmcnt(0)
	s_waitcnt_vscnt null, 0x0
	s_barrier
	buffer_gl0_inv
	s_and_saveexec_b32 s5, s4
	s_cbranch_execz .LBB22_19
; %bb.18:
	s_clause 0x1
	buffer_load_dword v54, v51, s[0:3], 0 offen offset:4
	buffer_load_dword v55, v51, s[0:3], 0 offen
	ds_read_b64 v[47:48], v50
	v_mov_b32_e32 v52, 0
	ds_read_b64 v[52:53], v52 offset:8
	s_waitcnt vmcnt(1) lgkmcnt(1)
	v_mul_f32_e32 v56, v47, v54
	v_mul_f32_e32 v54, v48, v54
	s_waitcnt vmcnt(0)
	v_fmac_f32_e32 v56, v48, v55
	v_fma_f32 v47, v47, v55, -v54
	v_add_f32_e32 v48, 0, v56
	v_add_f32_e32 v47, 0, v47
	s_waitcnt lgkmcnt(0)
	v_mul_f32_e32 v54, v48, v53
	v_mul_f32_e32 v53, v47, v53
	v_fma_f32 v47, v47, v52, -v54
	v_fmac_f32_e32 v53, v48, v52
	buffer_store_dword v47, off, s[0:3], 0 offset:8
	buffer_store_dword v53, off, s[0:3], 0 offset:12
.LBB22_19:
	s_or_b32 exec_lo, exec_lo, s5
	s_waitcnt_vscnt null, 0x0
	s_barrier
	buffer_gl0_inv
	s_clause 0x1
	buffer_load_dword v47, off, s[0:3], 0 offset:16
	buffer_load_dword v48, off, s[0:3], 0 offset:20
	s_mov_b32 s5, exec_lo
	s_waitcnt vmcnt(0)
	ds_write_b64 v50, v[47:48]
	s_waitcnt lgkmcnt(0)
	s_barrier
	buffer_gl0_inv
	v_cmpx_gt_u32_e32 2, v0
	s_cbranch_execz .LBB22_23
; %bb.20:
	s_clause 0x1
	buffer_load_dword v52, v51, s[0:3], 0 offen offset:4
	buffer_load_dword v51, v51, s[0:3], 0 offen
	ds_read_b64 v[47:48], v50
	s_waitcnt vmcnt(1) lgkmcnt(0)
	v_mul_f32_e32 v53, v48, v52
	v_mul_f32_e32 v52, v47, v52
	s_waitcnt vmcnt(0)
	v_fma_f32 v47, v47, v51, -v53
	v_fmac_f32_e32 v52, v48, v51
	v_add_f32_e32 v48, 0, v47
	v_add_f32_e32 v47, 0, v52
	s_and_saveexec_b32 s8, s4
	s_cbranch_execz .LBB22_22
; %bb.21:
	s_clause 0x1
	buffer_load_dword v53, off, s[0:3], 0 offset:12
	buffer_load_dword v54, off, s[0:3], 0 offset:8
	v_mov_b32_e32 v51, 0
	ds_read_b64 v[51:52], v51 offset:200
	s_waitcnt vmcnt(1) lgkmcnt(0)
	v_mul_f32_e32 v55, v51, v53
	v_mul_f32_e32 v53, v52, v53
	s_waitcnt vmcnt(0)
	v_fmac_f32_e32 v55, v52, v54
	v_fma_f32 v51, v51, v54, -v53
	v_add_f32_e32 v47, v47, v55
	v_add_f32_e32 v48, v48, v51
.LBB22_22:
	s_or_b32 exec_lo, exec_lo, s8
	v_mov_b32_e32 v51, 0
	ds_read_b64 v[51:52], v51 offset:16
	s_waitcnt lgkmcnt(0)
	v_mul_f32_e32 v53, v47, v52
	v_mul_f32_e32 v52, v48, v52
	v_fma_f32 v48, v48, v51, -v53
	v_fmac_f32_e32 v52, v47, v51
	buffer_store_dword v48, off, s[0:3], 0 offset:16
	buffer_store_dword v52, off, s[0:3], 0 offset:20
.LBB22_23:
	s_or_b32 exec_lo, exec_lo, s5
	s_waitcnt_vscnt null, 0x0
	s_barrier
	buffer_gl0_inv
	s_clause 0x1
	buffer_load_dword v51, off, s[0:3], 0 offset:24
	buffer_load_dword v52, off, s[0:3], 0 offset:28
	v_add_nc_u32_e32 v47, -1, v0
	s_mov_b32 s4, exec_lo
	s_waitcnt vmcnt(0)
	ds_write_b64 v50, v[51:52]
	s_waitcnt lgkmcnt(0)
	s_barrier
	buffer_gl0_inv
	v_cmpx_gt_u32_e32 3, v0
	s_cbranch_execz .LBB22_27
; %bb.24:
	v_add_nc_u32_e32 v51, -1, v0
	v_add_nc_u32_e32 v52, 0xc0, v49
	v_mov_b32_e32 v53, v49
	v_mov_b32_e32 v48, 0
	;; [unrolled: 1-line block ×3, first 2 shown]
	s_mov_b32 s5, 0
	.p2align	6
.LBB22_25:                              ; =>This Inner Loop Header: Depth=1
	s_clause 0x1
	buffer_load_dword v57, v53, s[0:3], 0 offen offset:4
	buffer_load_dword v58, v53, s[0:3], 0 offen
	ds_read_b64 v[55:56], v52
	v_add_nc_u32_e32 v51, 1, v51
	v_add_nc_u32_e32 v52, 8, v52
	;; [unrolled: 1-line block ×3, first 2 shown]
	v_cmp_lt_u32_e32 vcc_lo, 1, v51
	s_or_b32 s5, vcc_lo, s5
	s_waitcnt vmcnt(1) lgkmcnt(0)
	v_mul_f32_e32 v59, v56, v57
	v_mul_f32_e32 v57, v55, v57
	s_waitcnt vmcnt(0)
	v_fma_f32 v55, v55, v58, -v59
	v_fmac_f32_e32 v57, v56, v58
	v_add_f32_e32 v54, v54, v55
	v_add_f32_e32 v48, v48, v57
	s_andn2_b32 exec_lo, exec_lo, s5
	s_cbranch_execnz .LBB22_25
; %bb.26:
	s_or_b32 exec_lo, exec_lo, s5
	v_mov_b32_e32 v51, 0
	ds_read_b64 v[51:52], v51 offset:24
	s_waitcnt lgkmcnt(0)
	v_mul_f32_e32 v53, v48, v52
	v_mul_f32_e32 v52, v54, v52
	v_fma_f32 v53, v54, v51, -v53
	v_fmac_f32_e32 v52, v48, v51
	buffer_store_dword v53, off, s[0:3], 0 offset:24
	buffer_store_dword v52, off, s[0:3], 0 offset:28
.LBB22_27:
	s_or_b32 exec_lo, exec_lo, s4
	s_waitcnt_vscnt null, 0x0
	s_barrier
	buffer_gl0_inv
	s_clause 0x1
	buffer_load_dword v51, off, s[0:3], 0 offset:32
	buffer_load_dword v52, off, s[0:3], 0 offset:36
	s_mov_b32 s4, exec_lo
	s_waitcnt vmcnt(0)
	ds_write_b64 v50, v[51:52]
	s_waitcnt lgkmcnt(0)
	s_barrier
	buffer_gl0_inv
	v_cmpx_gt_u32_e32 4, v0
	s_cbranch_execz .LBB22_31
; %bb.28:
	v_add_nc_u32_e32 v51, -1, v0
	v_add_nc_u32_e32 v52, 0xc0, v49
	v_mov_b32_e32 v53, v49
	v_mov_b32_e32 v48, 0
	;; [unrolled: 1-line block ×3, first 2 shown]
	s_mov_b32 s5, 0
	.p2align	6
.LBB22_29:                              ; =>This Inner Loop Header: Depth=1
	s_clause 0x1
	buffer_load_dword v57, v53, s[0:3], 0 offen offset:4
	buffer_load_dword v58, v53, s[0:3], 0 offen
	ds_read_b64 v[55:56], v52
	v_add_nc_u32_e32 v51, 1, v51
	v_add_nc_u32_e32 v52, 8, v52
	;; [unrolled: 1-line block ×3, first 2 shown]
	v_cmp_lt_u32_e32 vcc_lo, 2, v51
	s_or_b32 s5, vcc_lo, s5
	s_waitcnt vmcnt(1) lgkmcnt(0)
	v_mul_f32_e32 v59, v56, v57
	v_mul_f32_e32 v57, v55, v57
	s_waitcnt vmcnt(0)
	v_fma_f32 v55, v55, v58, -v59
	v_fmac_f32_e32 v57, v56, v58
	v_add_f32_e32 v54, v54, v55
	v_add_f32_e32 v48, v48, v57
	s_andn2_b32 exec_lo, exec_lo, s5
	s_cbranch_execnz .LBB22_29
; %bb.30:
	s_or_b32 exec_lo, exec_lo, s5
	v_mov_b32_e32 v51, 0
	ds_read_b64 v[51:52], v51 offset:32
	s_waitcnt lgkmcnt(0)
	v_mul_f32_e32 v53, v48, v52
	v_mul_f32_e32 v52, v54, v52
	v_fma_f32 v53, v54, v51, -v53
	v_fmac_f32_e32 v52, v48, v51
	buffer_store_dword v53, off, s[0:3], 0 offset:32
	buffer_store_dword v52, off, s[0:3], 0 offset:36
.LBB22_31:
	s_or_b32 exec_lo, exec_lo, s4
	s_waitcnt_vscnt null, 0x0
	s_barrier
	buffer_gl0_inv
	s_clause 0x1
	buffer_load_dword v51, off, s[0:3], 0 offset:40
	buffer_load_dword v52, off, s[0:3], 0 offset:44
	s_mov_b32 s4, exec_lo
	s_waitcnt vmcnt(0)
	ds_write_b64 v50, v[51:52]
	s_waitcnt lgkmcnt(0)
	s_barrier
	buffer_gl0_inv
	v_cmpx_gt_u32_e32 5, v0
	s_cbranch_execz .LBB22_35
; %bb.32:
	v_add_nc_u32_e32 v51, -1, v0
	v_add_nc_u32_e32 v52, 0xc0, v49
	v_mov_b32_e32 v53, v49
	v_mov_b32_e32 v48, 0
	;; [unrolled: 1-line block ×3, first 2 shown]
	s_mov_b32 s5, 0
	.p2align	6
.LBB22_33:                              ; =>This Inner Loop Header: Depth=1
	s_clause 0x1
	buffer_load_dword v57, v53, s[0:3], 0 offen offset:4
	buffer_load_dword v58, v53, s[0:3], 0 offen
	ds_read_b64 v[55:56], v52
	v_add_nc_u32_e32 v51, 1, v51
	v_add_nc_u32_e32 v52, 8, v52
	v_add_nc_u32_e32 v53, 8, v53
	v_cmp_lt_u32_e32 vcc_lo, 3, v51
	s_or_b32 s5, vcc_lo, s5
	s_waitcnt vmcnt(1) lgkmcnt(0)
	v_mul_f32_e32 v59, v56, v57
	v_mul_f32_e32 v57, v55, v57
	s_waitcnt vmcnt(0)
	v_fma_f32 v55, v55, v58, -v59
	v_fmac_f32_e32 v57, v56, v58
	v_add_f32_e32 v54, v54, v55
	v_add_f32_e32 v48, v48, v57
	s_andn2_b32 exec_lo, exec_lo, s5
	s_cbranch_execnz .LBB22_33
; %bb.34:
	s_or_b32 exec_lo, exec_lo, s5
	v_mov_b32_e32 v51, 0
	ds_read_b64 v[51:52], v51 offset:40
	s_waitcnt lgkmcnt(0)
	v_mul_f32_e32 v53, v48, v52
	v_mul_f32_e32 v52, v54, v52
	v_fma_f32 v53, v54, v51, -v53
	v_fmac_f32_e32 v52, v48, v51
	buffer_store_dword v53, off, s[0:3], 0 offset:40
	buffer_store_dword v52, off, s[0:3], 0 offset:44
.LBB22_35:
	s_or_b32 exec_lo, exec_lo, s4
	s_waitcnt_vscnt null, 0x0
	s_barrier
	buffer_gl0_inv
	s_clause 0x1
	buffer_load_dword v51, off, s[0:3], 0 offset:48
	buffer_load_dword v52, off, s[0:3], 0 offset:52
	s_mov_b32 s4, exec_lo
	s_waitcnt vmcnt(0)
	ds_write_b64 v50, v[51:52]
	s_waitcnt lgkmcnt(0)
	s_barrier
	buffer_gl0_inv
	v_cmpx_gt_u32_e32 6, v0
	s_cbranch_execz .LBB22_39
; %bb.36:
	v_add_nc_u32_e32 v51, -1, v0
	v_add_nc_u32_e32 v52, 0xc0, v49
	v_mov_b32_e32 v53, v49
	v_mov_b32_e32 v48, 0
	;; [unrolled: 1-line block ×3, first 2 shown]
	s_mov_b32 s5, 0
	.p2align	6
.LBB22_37:                              ; =>This Inner Loop Header: Depth=1
	s_clause 0x1
	buffer_load_dword v57, v53, s[0:3], 0 offen offset:4
	buffer_load_dword v58, v53, s[0:3], 0 offen
	ds_read_b64 v[55:56], v52
	v_add_nc_u32_e32 v51, 1, v51
	v_add_nc_u32_e32 v52, 8, v52
	;; [unrolled: 1-line block ×3, first 2 shown]
	v_cmp_lt_u32_e32 vcc_lo, 4, v51
	s_or_b32 s5, vcc_lo, s5
	s_waitcnt vmcnt(1) lgkmcnt(0)
	v_mul_f32_e32 v59, v56, v57
	v_mul_f32_e32 v57, v55, v57
	s_waitcnt vmcnt(0)
	v_fma_f32 v55, v55, v58, -v59
	v_fmac_f32_e32 v57, v56, v58
	v_add_f32_e32 v54, v54, v55
	v_add_f32_e32 v48, v48, v57
	s_andn2_b32 exec_lo, exec_lo, s5
	s_cbranch_execnz .LBB22_37
; %bb.38:
	s_or_b32 exec_lo, exec_lo, s5
	v_mov_b32_e32 v51, 0
	ds_read_b64 v[51:52], v51 offset:48
	s_waitcnt lgkmcnt(0)
	v_mul_f32_e32 v53, v48, v52
	v_mul_f32_e32 v52, v54, v52
	v_fma_f32 v53, v54, v51, -v53
	v_fmac_f32_e32 v52, v48, v51
	buffer_store_dword v53, off, s[0:3], 0 offset:48
	buffer_store_dword v52, off, s[0:3], 0 offset:52
.LBB22_39:
	s_or_b32 exec_lo, exec_lo, s4
	s_waitcnt_vscnt null, 0x0
	s_barrier
	buffer_gl0_inv
	s_clause 0x1
	buffer_load_dword v51, off, s[0:3], 0 offset:56
	buffer_load_dword v52, off, s[0:3], 0 offset:60
	s_mov_b32 s4, exec_lo
	s_waitcnt vmcnt(0)
	ds_write_b64 v50, v[51:52]
	s_waitcnt lgkmcnt(0)
	s_barrier
	buffer_gl0_inv
	v_cmpx_gt_u32_e32 7, v0
	s_cbranch_execz .LBB22_43
; %bb.40:
	v_add_nc_u32_e32 v51, -1, v0
	v_add_nc_u32_e32 v52, 0xc0, v49
	v_mov_b32_e32 v53, v49
	v_mov_b32_e32 v48, 0
	;; [unrolled: 1-line block ×3, first 2 shown]
	s_mov_b32 s5, 0
	.p2align	6
.LBB22_41:                              ; =>This Inner Loop Header: Depth=1
	s_clause 0x1
	buffer_load_dword v57, v53, s[0:3], 0 offen offset:4
	buffer_load_dword v58, v53, s[0:3], 0 offen
	ds_read_b64 v[55:56], v52
	v_add_nc_u32_e32 v51, 1, v51
	v_add_nc_u32_e32 v52, 8, v52
	;; [unrolled: 1-line block ×3, first 2 shown]
	v_cmp_lt_u32_e32 vcc_lo, 5, v51
	s_or_b32 s5, vcc_lo, s5
	s_waitcnt vmcnt(1) lgkmcnt(0)
	v_mul_f32_e32 v59, v56, v57
	v_mul_f32_e32 v57, v55, v57
	s_waitcnt vmcnt(0)
	v_fma_f32 v55, v55, v58, -v59
	v_fmac_f32_e32 v57, v56, v58
	v_add_f32_e32 v54, v54, v55
	v_add_f32_e32 v48, v48, v57
	s_andn2_b32 exec_lo, exec_lo, s5
	s_cbranch_execnz .LBB22_41
; %bb.42:
	s_or_b32 exec_lo, exec_lo, s5
	v_mov_b32_e32 v51, 0
	ds_read_b64 v[51:52], v51 offset:56
	s_waitcnt lgkmcnt(0)
	v_mul_f32_e32 v53, v48, v52
	v_mul_f32_e32 v52, v54, v52
	v_fma_f32 v53, v54, v51, -v53
	v_fmac_f32_e32 v52, v48, v51
	buffer_store_dword v53, off, s[0:3], 0 offset:56
	buffer_store_dword v52, off, s[0:3], 0 offset:60
.LBB22_43:
	s_or_b32 exec_lo, exec_lo, s4
	s_waitcnt_vscnt null, 0x0
	s_barrier
	buffer_gl0_inv
	s_clause 0x1
	buffer_load_dword v51, off, s[0:3], 0 offset:64
	buffer_load_dword v52, off, s[0:3], 0 offset:68
	s_mov_b32 s4, exec_lo
	s_waitcnt vmcnt(0)
	ds_write_b64 v50, v[51:52]
	s_waitcnt lgkmcnt(0)
	s_barrier
	buffer_gl0_inv
	v_cmpx_gt_u32_e32 8, v0
	s_cbranch_execz .LBB22_47
; %bb.44:
	v_add_nc_u32_e32 v51, -1, v0
	v_add_nc_u32_e32 v52, 0xc0, v49
	v_mov_b32_e32 v53, v49
	v_mov_b32_e32 v48, 0
	;; [unrolled: 1-line block ×3, first 2 shown]
	s_mov_b32 s5, 0
	.p2align	6
.LBB22_45:                              ; =>This Inner Loop Header: Depth=1
	s_clause 0x1
	buffer_load_dword v57, v53, s[0:3], 0 offen offset:4
	buffer_load_dword v58, v53, s[0:3], 0 offen
	ds_read_b64 v[55:56], v52
	v_add_nc_u32_e32 v51, 1, v51
	v_add_nc_u32_e32 v52, 8, v52
	;; [unrolled: 1-line block ×3, first 2 shown]
	v_cmp_lt_u32_e32 vcc_lo, 6, v51
	s_or_b32 s5, vcc_lo, s5
	s_waitcnt vmcnt(1) lgkmcnt(0)
	v_mul_f32_e32 v59, v56, v57
	v_mul_f32_e32 v57, v55, v57
	s_waitcnt vmcnt(0)
	v_fma_f32 v55, v55, v58, -v59
	v_fmac_f32_e32 v57, v56, v58
	v_add_f32_e32 v54, v54, v55
	v_add_f32_e32 v48, v48, v57
	s_andn2_b32 exec_lo, exec_lo, s5
	s_cbranch_execnz .LBB22_45
; %bb.46:
	s_or_b32 exec_lo, exec_lo, s5
	v_mov_b32_e32 v51, 0
	ds_read_b64 v[51:52], v51 offset:64
	s_waitcnt lgkmcnt(0)
	v_mul_f32_e32 v53, v48, v52
	v_mul_f32_e32 v52, v54, v52
	v_fma_f32 v53, v54, v51, -v53
	v_fmac_f32_e32 v52, v48, v51
	buffer_store_dword v53, off, s[0:3], 0 offset:64
	buffer_store_dword v52, off, s[0:3], 0 offset:68
.LBB22_47:
	s_or_b32 exec_lo, exec_lo, s4
	s_waitcnt_vscnt null, 0x0
	s_barrier
	buffer_gl0_inv
	s_clause 0x1
	buffer_load_dword v51, off, s[0:3], 0 offset:72
	buffer_load_dword v52, off, s[0:3], 0 offset:76
	s_mov_b32 s4, exec_lo
	s_waitcnt vmcnt(0)
	ds_write_b64 v50, v[51:52]
	s_waitcnt lgkmcnt(0)
	s_barrier
	buffer_gl0_inv
	v_cmpx_gt_u32_e32 9, v0
	s_cbranch_execz .LBB22_51
; %bb.48:
	v_add_nc_u32_e32 v51, -1, v0
	v_add_nc_u32_e32 v52, 0xc0, v49
	v_mov_b32_e32 v53, v49
	v_mov_b32_e32 v48, 0
	;; [unrolled: 1-line block ×3, first 2 shown]
	s_mov_b32 s5, 0
	.p2align	6
.LBB22_49:                              ; =>This Inner Loop Header: Depth=1
	s_clause 0x1
	buffer_load_dword v57, v53, s[0:3], 0 offen offset:4
	buffer_load_dword v58, v53, s[0:3], 0 offen
	ds_read_b64 v[55:56], v52
	v_add_nc_u32_e32 v51, 1, v51
	v_add_nc_u32_e32 v52, 8, v52
	;; [unrolled: 1-line block ×3, first 2 shown]
	v_cmp_lt_u32_e32 vcc_lo, 7, v51
	s_or_b32 s5, vcc_lo, s5
	s_waitcnt vmcnt(1) lgkmcnt(0)
	v_mul_f32_e32 v59, v56, v57
	v_mul_f32_e32 v57, v55, v57
	s_waitcnt vmcnt(0)
	v_fma_f32 v55, v55, v58, -v59
	v_fmac_f32_e32 v57, v56, v58
	v_add_f32_e32 v54, v54, v55
	v_add_f32_e32 v48, v48, v57
	s_andn2_b32 exec_lo, exec_lo, s5
	s_cbranch_execnz .LBB22_49
; %bb.50:
	s_or_b32 exec_lo, exec_lo, s5
	v_mov_b32_e32 v51, 0
	ds_read_b64 v[51:52], v51 offset:72
	s_waitcnt lgkmcnt(0)
	v_mul_f32_e32 v53, v48, v52
	v_mul_f32_e32 v52, v54, v52
	v_fma_f32 v53, v54, v51, -v53
	v_fmac_f32_e32 v52, v48, v51
	buffer_store_dword v53, off, s[0:3], 0 offset:72
	buffer_store_dword v52, off, s[0:3], 0 offset:76
.LBB22_51:
	s_or_b32 exec_lo, exec_lo, s4
	s_waitcnt_vscnt null, 0x0
	s_barrier
	buffer_gl0_inv
	s_clause 0x1
	buffer_load_dword v51, off, s[0:3], 0 offset:80
	buffer_load_dword v52, off, s[0:3], 0 offset:84
	s_mov_b32 s4, exec_lo
	s_waitcnt vmcnt(0)
	ds_write_b64 v50, v[51:52]
	s_waitcnt lgkmcnt(0)
	s_barrier
	buffer_gl0_inv
	v_cmpx_gt_u32_e32 10, v0
	s_cbranch_execz .LBB22_55
; %bb.52:
	v_add_nc_u32_e32 v51, -1, v0
	v_add_nc_u32_e32 v52, 0xc0, v49
	v_mov_b32_e32 v53, v49
	v_mov_b32_e32 v48, 0
	;; [unrolled: 1-line block ×3, first 2 shown]
	s_mov_b32 s5, 0
	.p2align	6
.LBB22_53:                              ; =>This Inner Loop Header: Depth=1
	s_clause 0x1
	buffer_load_dword v57, v53, s[0:3], 0 offen offset:4
	buffer_load_dword v58, v53, s[0:3], 0 offen
	ds_read_b64 v[55:56], v52
	v_add_nc_u32_e32 v51, 1, v51
	v_add_nc_u32_e32 v52, 8, v52
	;; [unrolled: 1-line block ×3, first 2 shown]
	v_cmp_lt_u32_e32 vcc_lo, 8, v51
	s_or_b32 s5, vcc_lo, s5
	s_waitcnt vmcnt(1) lgkmcnt(0)
	v_mul_f32_e32 v59, v56, v57
	v_mul_f32_e32 v57, v55, v57
	s_waitcnt vmcnt(0)
	v_fma_f32 v55, v55, v58, -v59
	v_fmac_f32_e32 v57, v56, v58
	v_add_f32_e32 v54, v54, v55
	v_add_f32_e32 v48, v48, v57
	s_andn2_b32 exec_lo, exec_lo, s5
	s_cbranch_execnz .LBB22_53
; %bb.54:
	s_or_b32 exec_lo, exec_lo, s5
	v_mov_b32_e32 v51, 0
	ds_read_b64 v[51:52], v51 offset:80
	s_waitcnt lgkmcnt(0)
	v_mul_f32_e32 v53, v48, v52
	v_mul_f32_e32 v52, v54, v52
	v_fma_f32 v53, v54, v51, -v53
	v_fmac_f32_e32 v52, v48, v51
	buffer_store_dword v53, off, s[0:3], 0 offset:80
	buffer_store_dword v52, off, s[0:3], 0 offset:84
.LBB22_55:
	s_or_b32 exec_lo, exec_lo, s4
	s_waitcnt_vscnt null, 0x0
	s_barrier
	buffer_gl0_inv
	s_clause 0x1
	buffer_load_dword v51, off, s[0:3], 0 offset:88
	buffer_load_dword v52, off, s[0:3], 0 offset:92
	s_mov_b32 s4, exec_lo
	s_waitcnt vmcnt(0)
	ds_write_b64 v50, v[51:52]
	s_waitcnt lgkmcnt(0)
	s_barrier
	buffer_gl0_inv
	v_cmpx_gt_u32_e32 11, v0
	s_cbranch_execz .LBB22_59
; %bb.56:
	v_add_nc_u32_e32 v51, -1, v0
	v_add_nc_u32_e32 v52, 0xc0, v49
	v_mov_b32_e32 v53, v49
	v_mov_b32_e32 v48, 0
	;; [unrolled: 1-line block ×3, first 2 shown]
	s_mov_b32 s5, 0
	.p2align	6
.LBB22_57:                              ; =>This Inner Loop Header: Depth=1
	s_clause 0x1
	buffer_load_dword v57, v53, s[0:3], 0 offen offset:4
	buffer_load_dword v58, v53, s[0:3], 0 offen
	ds_read_b64 v[55:56], v52
	v_add_nc_u32_e32 v51, 1, v51
	v_add_nc_u32_e32 v52, 8, v52
	;; [unrolled: 1-line block ×3, first 2 shown]
	v_cmp_lt_u32_e32 vcc_lo, 9, v51
	s_or_b32 s5, vcc_lo, s5
	s_waitcnt vmcnt(1) lgkmcnt(0)
	v_mul_f32_e32 v59, v56, v57
	v_mul_f32_e32 v57, v55, v57
	s_waitcnt vmcnt(0)
	v_fma_f32 v55, v55, v58, -v59
	v_fmac_f32_e32 v57, v56, v58
	v_add_f32_e32 v54, v54, v55
	v_add_f32_e32 v48, v48, v57
	s_andn2_b32 exec_lo, exec_lo, s5
	s_cbranch_execnz .LBB22_57
; %bb.58:
	s_or_b32 exec_lo, exec_lo, s5
	v_mov_b32_e32 v51, 0
	ds_read_b64 v[51:52], v51 offset:88
	s_waitcnt lgkmcnt(0)
	v_mul_f32_e32 v53, v48, v52
	v_mul_f32_e32 v52, v54, v52
	v_fma_f32 v53, v54, v51, -v53
	v_fmac_f32_e32 v52, v48, v51
	buffer_store_dword v53, off, s[0:3], 0 offset:88
	buffer_store_dword v52, off, s[0:3], 0 offset:92
.LBB22_59:
	s_or_b32 exec_lo, exec_lo, s4
	s_waitcnt_vscnt null, 0x0
	s_barrier
	buffer_gl0_inv
	s_clause 0x1
	buffer_load_dword v51, off, s[0:3], 0 offset:96
	buffer_load_dword v52, off, s[0:3], 0 offset:100
	s_mov_b32 s4, exec_lo
	s_waitcnt vmcnt(0)
	ds_write_b64 v50, v[51:52]
	s_waitcnt lgkmcnt(0)
	s_barrier
	buffer_gl0_inv
	v_cmpx_gt_u32_e32 12, v0
	s_cbranch_execz .LBB22_63
; %bb.60:
	v_add_nc_u32_e32 v51, -1, v0
	v_add_nc_u32_e32 v52, 0xc0, v49
	v_mov_b32_e32 v53, v49
	v_mov_b32_e32 v48, 0
	;; [unrolled: 1-line block ×3, first 2 shown]
	s_mov_b32 s5, 0
	.p2align	6
.LBB22_61:                              ; =>This Inner Loop Header: Depth=1
	s_clause 0x1
	buffer_load_dword v57, v53, s[0:3], 0 offen offset:4
	buffer_load_dword v58, v53, s[0:3], 0 offen
	ds_read_b64 v[55:56], v52
	v_add_nc_u32_e32 v51, 1, v51
	v_add_nc_u32_e32 v52, 8, v52
	;; [unrolled: 1-line block ×3, first 2 shown]
	v_cmp_lt_u32_e32 vcc_lo, 10, v51
	s_or_b32 s5, vcc_lo, s5
	s_waitcnt vmcnt(1) lgkmcnt(0)
	v_mul_f32_e32 v59, v56, v57
	v_mul_f32_e32 v57, v55, v57
	s_waitcnt vmcnt(0)
	v_fma_f32 v55, v55, v58, -v59
	v_fmac_f32_e32 v57, v56, v58
	v_add_f32_e32 v54, v54, v55
	v_add_f32_e32 v48, v48, v57
	s_andn2_b32 exec_lo, exec_lo, s5
	s_cbranch_execnz .LBB22_61
; %bb.62:
	s_or_b32 exec_lo, exec_lo, s5
	v_mov_b32_e32 v51, 0
	ds_read_b64 v[51:52], v51 offset:96
	s_waitcnt lgkmcnt(0)
	v_mul_f32_e32 v53, v48, v52
	v_mul_f32_e32 v52, v54, v52
	v_fma_f32 v53, v54, v51, -v53
	v_fmac_f32_e32 v52, v48, v51
	buffer_store_dword v53, off, s[0:3], 0 offset:96
	buffer_store_dword v52, off, s[0:3], 0 offset:100
.LBB22_63:
	s_or_b32 exec_lo, exec_lo, s4
	s_waitcnt_vscnt null, 0x0
	s_barrier
	buffer_gl0_inv
	s_clause 0x1
	buffer_load_dword v51, off, s[0:3], 0 offset:104
	buffer_load_dword v52, off, s[0:3], 0 offset:108
	s_mov_b32 s4, exec_lo
	s_waitcnt vmcnt(0)
	ds_write_b64 v50, v[51:52]
	s_waitcnt lgkmcnt(0)
	s_barrier
	buffer_gl0_inv
	v_cmpx_gt_u32_e32 13, v0
	s_cbranch_execz .LBB22_67
; %bb.64:
	v_add_nc_u32_e32 v51, -1, v0
	v_add_nc_u32_e32 v52, 0xc0, v49
	v_mov_b32_e32 v53, v49
	v_mov_b32_e32 v48, 0
	;; [unrolled: 1-line block ×3, first 2 shown]
	s_mov_b32 s5, 0
	.p2align	6
.LBB22_65:                              ; =>This Inner Loop Header: Depth=1
	s_clause 0x1
	buffer_load_dword v57, v53, s[0:3], 0 offen offset:4
	buffer_load_dword v58, v53, s[0:3], 0 offen
	ds_read_b64 v[55:56], v52
	v_add_nc_u32_e32 v51, 1, v51
	v_add_nc_u32_e32 v52, 8, v52
	;; [unrolled: 1-line block ×3, first 2 shown]
	v_cmp_lt_u32_e32 vcc_lo, 11, v51
	s_or_b32 s5, vcc_lo, s5
	s_waitcnt vmcnt(1) lgkmcnt(0)
	v_mul_f32_e32 v59, v56, v57
	v_mul_f32_e32 v57, v55, v57
	s_waitcnt vmcnt(0)
	v_fma_f32 v55, v55, v58, -v59
	v_fmac_f32_e32 v57, v56, v58
	v_add_f32_e32 v54, v54, v55
	v_add_f32_e32 v48, v48, v57
	s_andn2_b32 exec_lo, exec_lo, s5
	s_cbranch_execnz .LBB22_65
; %bb.66:
	s_or_b32 exec_lo, exec_lo, s5
	v_mov_b32_e32 v51, 0
	ds_read_b64 v[51:52], v51 offset:104
	s_waitcnt lgkmcnt(0)
	v_mul_f32_e32 v53, v48, v52
	v_mul_f32_e32 v52, v54, v52
	v_fma_f32 v53, v54, v51, -v53
	v_fmac_f32_e32 v52, v48, v51
	buffer_store_dword v53, off, s[0:3], 0 offset:104
	buffer_store_dword v52, off, s[0:3], 0 offset:108
.LBB22_67:
	s_or_b32 exec_lo, exec_lo, s4
	s_waitcnt_vscnt null, 0x0
	s_barrier
	buffer_gl0_inv
	s_clause 0x1
	buffer_load_dword v51, off, s[0:3], 0 offset:112
	buffer_load_dword v52, off, s[0:3], 0 offset:116
	s_mov_b32 s4, exec_lo
	s_waitcnt vmcnt(0)
	ds_write_b64 v50, v[51:52]
	s_waitcnt lgkmcnt(0)
	s_barrier
	buffer_gl0_inv
	v_cmpx_gt_u32_e32 14, v0
	s_cbranch_execz .LBB22_71
; %bb.68:
	v_add_nc_u32_e32 v51, -1, v0
	v_add_nc_u32_e32 v52, 0xc0, v49
	v_mov_b32_e32 v53, v49
	v_mov_b32_e32 v48, 0
	;; [unrolled: 1-line block ×3, first 2 shown]
	s_mov_b32 s5, 0
	.p2align	6
.LBB22_69:                              ; =>This Inner Loop Header: Depth=1
	s_clause 0x1
	buffer_load_dword v57, v53, s[0:3], 0 offen offset:4
	buffer_load_dword v58, v53, s[0:3], 0 offen
	ds_read_b64 v[55:56], v52
	v_add_nc_u32_e32 v51, 1, v51
	v_add_nc_u32_e32 v52, 8, v52
	;; [unrolled: 1-line block ×3, first 2 shown]
	v_cmp_lt_u32_e32 vcc_lo, 12, v51
	s_or_b32 s5, vcc_lo, s5
	s_waitcnt vmcnt(1) lgkmcnt(0)
	v_mul_f32_e32 v59, v56, v57
	v_mul_f32_e32 v57, v55, v57
	s_waitcnt vmcnt(0)
	v_fma_f32 v55, v55, v58, -v59
	v_fmac_f32_e32 v57, v56, v58
	v_add_f32_e32 v54, v54, v55
	v_add_f32_e32 v48, v48, v57
	s_andn2_b32 exec_lo, exec_lo, s5
	s_cbranch_execnz .LBB22_69
; %bb.70:
	s_or_b32 exec_lo, exec_lo, s5
	v_mov_b32_e32 v51, 0
	ds_read_b64 v[51:52], v51 offset:112
	s_waitcnt lgkmcnt(0)
	v_mul_f32_e32 v53, v48, v52
	v_mul_f32_e32 v52, v54, v52
	v_fma_f32 v53, v54, v51, -v53
	v_fmac_f32_e32 v52, v48, v51
	buffer_store_dword v53, off, s[0:3], 0 offset:112
	buffer_store_dword v52, off, s[0:3], 0 offset:116
.LBB22_71:
	s_or_b32 exec_lo, exec_lo, s4
	s_waitcnt_vscnt null, 0x0
	s_barrier
	buffer_gl0_inv
	s_clause 0x1
	buffer_load_dword v51, off, s[0:3], 0 offset:120
	buffer_load_dword v52, off, s[0:3], 0 offset:124
	s_mov_b32 s4, exec_lo
	s_waitcnt vmcnt(0)
	ds_write_b64 v50, v[51:52]
	s_waitcnt lgkmcnt(0)
	s_barrier
	buffer_gl0_inv
	v_cmpx_gt_u32_e32 15, v0
	s_cbranch_execz .LBB22_75
; %bb.72:
	v_add_nc_u32_e32 v51, -1, v0
	v_add_nc_u32_e32 v52, 0xc0, v49
	v_mov_b32_e32 v53, v49
	v_mov_b32_e32 v48, 0
	;; [unrolled: 1-line block ×3, first 2 shown]
	s_mov_b32 s5, 0
	.p2align	6
.LBB22_73:                              ; =>This Inner Loop Header: Depth=1
	s_clause 0x1
	buffer_load_dword v57, v53, s[0:3], 0 offen offset:4
	buffer_load_dword v58, v53, s[0:3], 0 offen
	ds_read_b64 v[55:56], v52
	v_add_nc_u32_e32 v51, 1, v51
	v_add_nc_u32_e32 v52, 8, v52
	;; [unrolled: 1-line block ×3, first 2 shown]
	v_cmp_lt_u32_e32 vcc_lo, 13, v51
	s_or_b32 s5, vcc_lo, s5
	s_waitcnt vmcnt(1) lgkmcnt(0)
	v_mul_f32_e32 v59, v56, v57
	v_mul_f32_e32 v57, v55, v57
	s_waitcnt vmcnt(0)
	v_fma_f32 v55, v55, v58, -v59
	v_fmac_f32_e32 v57, v56, v58
	v_add_f32_e32 v54, v54, v55
	v_add_f32_e32 v48, v48, v57
	s_andn2_b32 exec_lo, exec_lo, s5
	s_cbranch_execnz .LBB22_73
; %bb.74:
	s_or_b32 exec_lo, exec_lo, s5
	v_mov_b32_e32 v51, 0
	ds_read_b64 v[51:52], v51 offset:120
	s_waitcnt lgkmcnt(0)
	v_mul_f32_e32 v53, v48, v52
	v_mul_f32_e32 v52, v54, v52
	v_fma_f32 v53, v54, v51, -v53
	v_fmac_f32_e32 v52, v48, v51
	buffer_store_dword v53, off, s[0:3], 0 offset:120
	buffer_store_dword v52, off, s[0:3], 0 offset:124
.LBB22_75:
	s_or_b32 exec_lo, exec_lo, s4
	s_waitcnt_vscnt null, 0x0
	s_barrier
	buffer_gl0_inv
	s_clause 0x1
	buffer_load_dword v51, off, s[0:3], 0 offset:128
	buffer_load_dword v52, off, s[0:3], 0 offset:132
	s_mov_b32 s4, exec_lo
	s_waitcnt vmcnt(0)
	ds_write_b64 v50, v[51:52]
	s_waitcnt lgkmcnt(0)
	s_barrier
	buffer_gl0_inv
	v_cmpx_gt_u32_e32 16, v0
	s_cbranch_execz .LBB22_79
; %bb.76:
	v_add_nc_u32_e32 v51, -1, v0
	v_add_nc_u32_e32 v52, 0xc0, v49
	v_mov_b32_e32 v53, v49
	v_mov_b32_e32 v48, 0
	v_mov_b32_e32 v54, 0
	s_mov_b32 s5, 0
	.p2align	6
.LBB22_77:                              ; =>This Inner Loop Header: Depth=1
	s_clause 0x1
	buffer_load_dword v57, v53, s[0:3], 0 offen offset:4
	buffer_load_dword v58, v53, s[0:3], 0 offen
	ds_read_b64 v[55:56], v52
	v_add_nc_u32_e32 v51, 1, v51
	v_add_nc_u32_e32 v52, 8, v52
	;; [unrolled: 1-line block ×3, first 2 shown]
	v_cmp_lt_u32_e32 vcc_lo, 14, v51
	s_or_b32 s5, vcc_lo, s5
	s_waitcnt vmcnt(1) lgkmcnt(0)
	v_mul_f32_e32 v59, v56, v57
	v_mul_f32_e32 v57, v55, v57
	s_waitcnt vmcnt(0)
	v_fma_f32 v55, v55, v58, -v59
	v_fmac_f32_e32 v57, v56, v58
	v_add_f32_e32 v54, v54, v55
	v_add_f32_e32 v48, v48, v57
	s_andn2_b32 exec_lo, exec_lo, s5
	s_cbranch_execnz .LBB22_77
; %bb.78:
	s_or_b32 exec_lo, exec_lo, s5
	v_mov_b32_e32 v51, 0
	ds_read_b64 v[51:52], v51 offset:128
	s_waitcnt lgkmcnt(0)
	v_mul_f32_e32 v53, v48, v52
	v_mul_f32_e32 v52, v54, v52
	v_fma_f32 v53, v54, v51, -v53
	v_fmac_f32_e32 v52, v48, v51
	buffer_store_dword v53, off, s[0:3], 0 offset:128
	buffer_store_dword v52, off, s[0:3], 0 offset:132
.LBB22_79:
	s_or_b32 exec_lo, exec_lo, s4
	s_waitcnt_vscnt null, 0x0
	s_barrier
	buffer_gl0_inv
	s_clause 0x1
	buffer_load_dword v51, off, s[0:3], 0 offset:136
	buffer_load_dword v52, off, s[0:3], 0 offset:140
	s_mov_b32 s4, exec_lo
	s_waitcnt vmcnt(0)
	ds_write_b64 v50, v[51:52]
	s_waitcnt lgkmcnt(0)
	s_barrier
	buffer_gl0_inv
	v_cmpx_gt_u32_e32 17, v0
	s_cbranch_execz .LBB22_83
; %bb.80:
	v_add_nc_u32_e32 v51, -1, v0
	v_add_nc_u32_e32 v52, 0xc0, v49
	v_mov_b32_e32 v53, v49
	v_mov_b32_e32 v48, 0
	;; [unrolled: 1-line block ×3, first 2 shown]
	s_mov_b32 s5, 0
	.p2align	6
.LBB22_81:                              ; =>This Inner Loop Header: Depth=1
	s_clause 0x1
	buffer_load_dword v57, v53, s[0:3], 0 offen offset:4
	buffer_load_dword v58, v53, s[0:3], 0 offen
	ds_read_b64 v[55:56], v52
	v_add_nc_u32_e32 v51, 1, v51
	v_add_nc_u32_e32 v52, 8, v52
	;; [unrolled: 1-line block ×3, first 2 shown]
	v_cmp_lt_u32_e32 vcc_lo, 15, v51
	s_or_b32 s5, vcc_lo, s5
	s_waitcnt vmcnt(1) lgkmcnt(0)
	v_mul_f32_e32 v59, v56, v57
	v_mul_f32_e32 v57, v55, v57
	s_waitcnt vmcnt(0)
	v_fma_f32 v55, v55, v58, -v59
	v_fmac_f32_e32 v57, v56, v58
	v_add_f32_e32 v54, v54, v55
	v_add_f32_e32 v48, v48, v57
	s_andn2_b32 exec_lo, exec_lo, s5
	s_cbranch_execnz .LBB22_81
; %bb.82:
	s_or_b32 exec_lo, exec_lo, s5
	v_mov_b32_e32 v51, 0
	ds_read_b64 v[51:52], v51 offset:136
	s_waitcnt lgkmcnt(0)
	v_mul_f32_e32 v53, v48, v52
	v_mul_f32_e32 v52, v54, v52
	v_fma_f32 v53, v54, v51, -v53
	v_fmac_f32_e32 v52, v48, v51
	buffer_store_dword v53, off, s[0:3], 0 offset:136
	buffer_store_dword v52, off, s[0:3], 0 offset:140
.LBB22_83:
	s_or_b32 exec_lo, exec_lo, s4
	s_waitcnt_vscnt null, 0x0
	s_barrier
	buffer_gl0_inv
	s_clause 0x1
	buffer_load_dword v51, off, s[0:3], 0 offset:144
	buffer_load_dword v52, off, s[0:3], 0 offset:148
	s_mov_b32 s4, exec_lo
	s_waitcnt vmcnt(0)
	ds_write_b64 v50, v[51:52]
	s_waitcnt lgkmcnt(0)
	s_barrier
	buffer_gl0_inv
	v_cmpx_gt_u32_e32 18, v0
	s_cbranch_execz .LBB22_87
; %bb.84:
	v_add_nc_u32_e32 v51, -1, v0
	v_add_nc_u32_e32 v52, 0xc0, v49
	v_mov_b32_e32 v53, v49
	v_mov_b32_e32 v48, 0
	;; [unrolled: 1-line block ×3, first 2 shown]
	s_mov_b32 s5, 0
	.p2align	6
.LBB22_85:                              ; =>This Inner Loop Header: Depth=1
	s_clause 0x1
	buffer_load_dword v57, v53, s[0:3], 0 offen offset:4
	buffer_load_dword v58, v53, s[0:3], 0 offen
	ds_read_b64 v[55:56], v52
	v_add_nc_u32_e32 v51, 1, v51
	v_add_nc_u32_e32 v52, 8, v52
	;; [unrolled: 1-line block ×3, first 2 shown]
	v_cmp_lt_u32_e32 vcc_lo, 16, v51
	s_or_b32 s5, vcc_lo, s5
	s_waitcnt vmcnt(1) lgkmcnt(0)
	v_mul_f32_e32 v59, v56, v57
	v_mul_f32_e32 v57, v55, v57
	s_waitcnt vmcnt(0)
	v_fma_f32 v55, v55, v58, -v59
	v_fmac_f32_e32 v57, v56, v58
	v_add_f32_e32 v54, v54, v55
	v_add_f32_e32 v48, v48, v57
	s_andn2_b32 exec_lo, exec_lo, s5
	s_cbranch_execnz .LBB22_85
; %bb.86:
	s_or_b32 exec_lo, exec_lo, s5
	v_mov_b32_e32 v51, 0
	ds_read_b64 v[51:52], v51 offset:144
	s_waitcnt lgkmcnt(0)
	v_mul_f32_e32 v53, v48, v52
	v_mul_f32_e32 v52, v54, v52
	v_fma_f32 v53, v54, v51, -v53
	v_fmac_f32_e32 v52, v48, v51
	buffer_store_dword v53, off, s[0:3], 0 offset:144
	buffer_store_dword v52, off, s[0:3], 0 offset:148
.LBB22_87:
	s_or_b32 exec_lo, exec_lo, s4
	s_waitcnt_vscnt null, 0x0
	s_barrier
	buffer_gl0_inv
	s_clause 0x1
	buffer_load_dword v51, off, s[0:3], 0 offset:152
	buffer_load_dword v52, off, s[0:3], 0 offset:156
	s_mov_b32 s4, exec_lo
	s_waitcnt vmcnt(0)
	ds_write_b64 v50, v[51:52]
	s_waitcnt lgkmcnt(0)
	s_barrier
	buffer_gl0_inv
	v_cmpx_gt_u32_e32 19, v0
	s_cbranch_execz .LBB22_91
; %bb.88:
	v_add_nc_u32_e32 v51, -1, v0
	v_add_nc_u32_e32 v52, 0xc0, v49
	v_mov_b32_e32 v53, v49
	v_mov_b32_e32 v48, 0
	v_mov_b32_e32 v54, 0
	s_mov_b32 s5, 0
	.p2align	6
.LBB22_89:                              ; =>This Inner Loop Header: Depth=1
	s_clause 0x1
	buffer_load_dword v57, v53, s[0:3], 0 offen offset:4
	buffer_load_dword v58, v53, s[0:3], 0 offen
	ds_read_b64 v[55:56], v52
	v_add_nc_u32_e32 v51, 1, v51
	v_add_nc_u32_e32 v52, 8, v52
	v_add_nc_u32_e32 v53, 8, v53
	v_cmp_lt_u32_e32 vcc_lo, 17, v51
	s_or_b32 s5, vcc_lo, s5
	s_waitcnt vmcnt(1) lgkmcnt(0)
	v_mul_f32_e32 v59, v56, v57
	v_mul_f32_e32 v57, v55, v57
	s_waitcnt vmcnt(0)
	v_fma_f32 v55, v55, v58, -v59
	v_fmac_f32_e32 v57, v56, v58
	v_add_f32_e32 v54, v54, v55
	v_add_f32_e32 v48, v48, v57
	s_andn2_b32 exec_lo, exec_lo, s5
	s_cbranch_execnz .LBB22_89
; %bb.90:
	s_or_b32 exec_lo, exec_lo, s5
	v_mov_b32_e32 v51, 0
	ds_read_b64 v[51:52], v51 offset:152
	s_waitcnt lgkmcnt(0)
	v_mul_f32_e32 v53, v48, v52
	v_mul_f32_e32 v52, v54, v52
	v_fma_f32 v53, v54, v51, -v53
	v_fmac_f32_e32 v52, v48, v51
	buffer_store_dword v53, off, s[0:3], 0 offset:152
	buffer_store_dword v52, off, s[0:3], 0 offset:156
.LBB22_91:
	s_or_b32 exec_lo, exec_lo, s4
	s_waitcnt_vscnt null, 0x0
	s_barrier
	buffer_gl0_inv
	s_clause 0x1
	buffer_load_dword v51, off, s[0:3], 0 offset:160
	buffer_load_dword v52, off, s[0:3], 0 offset:164
	s_mov_b32 s4, exec_lo
	s_waitcnt vmcnt(0)
	ds_write_b64 v50, v[51:52]
	s_waitcnt lgkmcnt(0)
	s_barrier
	buffer_gl0_inv
	v_cmpx_gt_u32_e32 20, v0
	s_cbranch_execz .LBB22_95
; %bb.92:
	v_add_nc_u32_e32 v51, -1, v0
	v_add_nc_u32_e32 v52, 0xc0, v49
	v_mov_b32_e32 v53, v49
	v_mov_b32_e32 v48, 0
	;; [unrolled: 1-line block ×3, first 2 shown]
	s_mov_b32 s5, 0
	.p2align	6
.LBB22_93:                              ; =>This Inner Loop Header: Depth=1
	s_clause 0x1
	buffer_load_dword v57, v53, s[0:3], 0 offen offset:4
	buffer_load_dword v58, v53, s[0:3], 0 offen
	ds_read_b64 v[55:56], v52
	v_add_nc_u32_e32 v51, 1, v51
	v_add_nc_u32_e32 v52, 8, v52
	;; [unrolled: 1-line block ×3, first 2 shown]
	v_cmp_lt_u32_e32 vcc_lo, 18, v51
	s_or_b32 s5, vcc_lo, s5
	s_waitcnt vmcnt(1) lgkmcnt(0)
	v_mul_f32_e32 v59, v56, v57
	v_mul_f32_e32 v57, v55, v57
	s_waitcnt vmcnt(0)
	v_fma_f32 v55, v55, v58, -v59
	v_fmac_f32_e32 v57, v56, v58
	v_add_f32_e32 v54, v54, v55
	v_add_f32_e32 v48, v48, v57
	s_andn2_b32 exec_lo, exec_lo, s5
	s_cbranch_execnz .LBB22_93
; %bb.94:
	s_or_b32 exec_lo, exec_lo, s5
	v_mov_b32_e32 v51, 0
	ds_read_b64 v[51:52], v51 offset:160
	s_waitcnt lgkmcnt(0)
	v_mul_f32_e32 v53, v48, v52
	v_mul_f32_e32 v52, v54, v52
	v_fma_f32 v53, v54, v51, -v53
	v_fmac_f32_e32 v52, v48, v51
	buffer_store_dword v53, off, s[0:3], 0 offset:160
	buffer_store_dword v52, off, s[0:3], 0 offset:164
.LBB22_95:
	s_or_b32 exec_lo, exec_lo, s4
	s_waitcnt_vscnt null, 0x0
	s_barrier
	buffer_gl0_inv
	s_clause 0x1
	buffer_load_dword v51, off, s[0:3], 0 offset:168
	buffer_load_dword v52, off, s[0:3], 0 offset:172
	s_mov_b32 s4, exec_lo
	s_waitcnt vmcnt(0)
	ds_write_b64 v50, v[51:52]
	s_waitcnt lgkmcnt(0)
	s_barrier
	buffer_gl0_inv
	v_cmpx_gt_u32_e32 21, v0
	s_cbranch_execz .LBB22_99
; %bb.96:
	v_add_nc_u32_e32 v51, -1, v0
	v_add_nc_u32_e32 v52, 0xc0, v49
	v_mov_b32_e32 v53, v49
	v_mov_b32_e32 v48, 0
	;; [unrolled: 1-line block ×3, first 2 shown]
	s_mov_b32 s5, 0
	.p2align	6
.LBB22_97:                              ; =>This Inner Loop Header: Depth=1
	s_clause 0x1
	buffer_load_dword v57, v53, s[0:3], 0 offen offset:4
	buffer_load_dword v58, v53, s[0:3], 0 offen
	ds_read_b64 v[55:56], v52
	v_add_nc_u32_e32 v51, 1, v51
	v_add_nc_u32_e32 v52, 8, v52
	;; [unrolled: 1-line block ×3, first 2 shown]
	v_cmp_lt_u32_e32 vcc_lo, 19, v51
	s_or_b32 s5, vcc_lo, s5
	s_waitcnt vmcnt(1) lgkmcnt(0)
	v_mul_f32_e32 v59, v56, v57
	v_mul_f32_e32 v57, v55, v57
	s_waitcnt vmcnt(0)
	v_fma_f32 v55, v55, v58, -v59
	v_fmac_f32_e32 v57, v56, v58
	v_add_f32_e32 v54, v54, v55
	v_add_f32_e32 v48, v48, v57
	s_andn2_b32 exec_lo, exec_lo, s5
	s_cbranch_execnz .LBB22_97
; %bb.98:
	s_or_b32 exec_lo, exec_lo, s5
	v_mov_b32_e32 v51, 0
	ds_read_b64 v[51:52], v51 offset:168
	s_waitcnt lgkmcnt(0)
	v_mul_f32_e32 v53, v48, v52
	v_mul_f32_e32 v52, v54, v52
	v_fma_f32 v53, v54, v51, -v53
	v_fmac_f32_e32 v52, v48, v51
	buffer_store_dword v53, off, s[0:3], 0 offset:168
	buffer_store_dword v52, off, s[0:3], 0 offset:172
.LBB22_99:
	s_or_b32 exec_lo, exec_lo, s4
	s_waitcnt_vscnt null, 0x0
	s_barrier
	buffer_gl0_inv
	s_clause 0x1
	buffer_load_dword v51, off, s[0:3], 0 offset:176
	buffer_load_dword v52, off, s[0:3], 0 offset:180
	s_mov_b32 s4, exec_lo
	s_waitcnt vmcnt(0)
	ds_write_b64 v50, v[51:52]
	s_waitcnt lgkmcnt(0)
	s_barrier
	buffer_gl0_inv
	v_cmpx_ne_u32_e32 22, v0
	s_cbranch_execz .LBB22_103
; %bb.100:
	v_mov_b32_e32 v48, 0
	v_mov_b32_e32 v51, 0
	s_mov_b32 s5, 0
	.p2align	6
.LBB22_101:                             ; =>This Inner Loop Header: Depth=1
	s_clause 0x1
	buffer_load_dword v54, v49, s[0:3], 0 offen offset:4
	buffer_load_dword v55, v49, s[0:3], 0 offen
	ds_read_b64 v[52:53], v50
	v_add_nc_u32_e32 v47, 1, v47
	v_add_nc_u32_e32 v50, 8, v50
	;; [unrolled: 1-line block ×3, first 2 shown]
	v_cmp_lt_u32_e32 vcc_lo, 20, v47
	s_or_b32 s5, vcc_lo, s5
	s_waitcnt vmcnt(1) lgkmcnt(0)
	v_mul_f32_e32 v56, v53, v54
	v_mul_f32_e32 v54, v52, v54
	s_waitcnt vmcnt(0)
	v_fma_f32 v52, v52, v55, -v56
	v_fmac_f32_e32 v54, v53, v55
	v_add_f32_e32 v51, v51, v52
	v_add_f32_e32 v48, v48, v54
	s_andn2_b32 exec_lo, exec_lo, s5
	s_cbranch_execnz .LBB22_101
; %bb.102:
	s_or_b32 exec_lo, exec_lo, s5
	v_mov_b32_e32 v47, 0
	ds_read_b64 v[49:50], v47 offset:176
	s_waitcnt lgkmcnt(0)
	v_mul_f32_e32 v47, v48, v50
	v_mul_f32_e32 v50, v51, v50
	v_fma_f32 v47, v51, v49, -v47
	v_fmac_f32_e32 v50, v48, v49
	buffer_store_dword v47, off, s[0:3], 0 offset:176
	buffer_store_dword v50, off, s[0:3], 0 offset:180
.LBB22_103:
	s_or_b32 exec_lo, exec_lo, s4
	s_mov_b32 s5, -1
	s_waitcnt_vscnt null, 0x0
	s_barrier
	buffer_gl0_inv
.LBB22_104:
	s_and_b32 vcc_lo, exec_lo, s5
	s_cbranch_vccz .LBB22_106
; %bb.105:
	s_lshl_b64 s[4:5], s[6:7], 2
	v_mov_b32_e32 v47, 0
	s_add_u32 s4, s10, s4
	s_addc_u32 s5, s11, s5
	global_load_dword v47, v47, s[4:5]
	s_waitcnt vmcnt(0)
	v_cmp_ne_u32_e32 vcc_lo, 0, v47
	s_cbranch_vccz .LBB22_107
.LBB22_106:
	s_endpgm
.LBB22_107:
	v_lshl_add_u32 v47, v0, 3, 0xc0
	s_mov_b32 s4, exec_lo
	v_cmpx_eq_u32_e32 22, v0
	s_cbranch_execz .LBB22_109
; %bb.108:
	s_clause 0x1
	buffer_load_dword v48, off, s[0:3], 0 offset:168
	buffer_load_dword v49, off, s[0:3], 0 offset:172
	v_mov_b32_e32 v50, 0
	buffer_store_dword v50, off, s[0:3], 0 offset:168
	buffer_store_dword v50, off, s[0:3], 0 offset:172
	s_waitcnt vmcnt(0)
	ds_write_b64 v47, v[48:49]
.LBB22_109:
	s_or_b32 exec_lo, exec_lo, s4
	s_waitcnt lgkmcnt(0)
	s_waitcnt_vscnt null, 0x0
	s_barrier
	buffer_gl0_inv
	s_clause 0x3
	buffer_load_dword v51, off, s[0:3], 0 offset:180
	buffer_load_dword v52, off, s[0:3], 0 offset:176
	;; [unrolled: 1-line block ×4, first 2 shown]
	v_mov_b32_e32 v48, 0
	s_mov_b32 s4, exec_lo
	ds_read_b64 v[49:50], v48 offset:368
	s_waitcnt vmcnt(3) lgkmcnt(0)
	v_mul_f32_e32 v55, v50, v51
	v_mul_f32_e32 v51, v49, v51
	s_waitcnt vmcnt(2)
	v_fma_f32 v49, v49, v52, -v55
	v_fmac_f32_e32 v51, v50, v52
	v_add_f32_e32 v49, 0, v49
	v_add_f32_e32 v50, 0, v51
	s_waitcnt vmcnt(1)
	v_sub_f32_e32 v49, v53, v49
	s_waitcnt vmcnt(0)
	v_sub_f32_e32 v50, v54, v50
	buffer_store_dword v49, off, s[0:3], 0 offset:168
	buffer_store_dword v50, off, s[0:3], 0 offset:172
	v_cmpx_lt_u32_e32 20, v0
	s_cbranch_execz .LBB22_111
; %bb.110:
	s_clause 0x1
	buffer_load_dword v49, off, s[0:3], 0 offset:160
	buffer_load_dword v50, off, s[0:3], 0 offset:164
	buffer_store_dword v48, off, s[0:3], 0 offset:160
	buffer_store_dword v48, off, s[0:3], 0 offset:164
	s_waitcnt vmcnt(0)
	ds_write_b64 v47, v[49:50]
.LBB22_111:
	s_or_b32 exec_lo, exec_lo, s4
	s_waitcnt lgkmcnt(0)
	s_waitcnt_vscnt null, 0x0
	s_barrier
	buffer_gl0_inv
	s_clause 0x5
	buffer_load_dword v52, off, s[0:3], 0 offset:172
	buffer_load_dword v53, off, s[0:3], 0 offset:180
	;; [unrolled: 1-line block ×6, first 2 shown]
	ds_read2_b64 v[48:51], v48 offset0:45 offset1:46
	s_mov_b32 s4, exec_lo
	s_waitcnt vmcnt(5) lgkmcnt(0)
	v_mul_f32_e32 v58, v49, v52
	v_mul_f32_e32 v52, v48, v52
	s_waitcnt vmcnt(4)
	v_mul_f32_e32 v59, v50, v53
	v_mul_f32_e32 v53, v51, v53
	s_waitcnt vmcnt(3)
	v_fma_f32 v48, v48, v54, -v58
	v_fmac_f32_e32 v52, v49, v54
	s_waitcnt vmcnt(2)
	v_fmac_f32_e32 v59, v51, v55
	v_fma_f32 v49, v50, v55, -v53
	v_add_f32_e32 v48, 0, v48
	v_add_f32_e32 v50, 0, v52
	;; [unrolled: 1-line block ×4, first 2 shown]
	s_waitcnt vmcnt(1)
	v_sub_f32_e32 v48, v56, v48
	s_waitcnt vmcnt(0)
	v_sub_f32_e32 v49, v57, v49
	buffer_store_dword v48, off, s[0:3], 0 offset:160
	buffer_store_dword v49, off, s[0:3], 0 offset:164
	v_cmpx_lt_u32_e32 19, v0
	s_cbranch_execz .LBB22_113
; %bb.112:
	s_clause 0x1
	buffer_load_dword v48, off, s[0:3], 0 offset:152
	buffer_load_dword v49, off, s[0:3], 0 offset:156
	v_mov_b32_e32 v50, 0
	buffer_store_dword v50, off, s[0:3], 0 offset:152
	buffer_store_dword v50, off, s[0:3], 0 offset:156
	s_waitcnt vmcnt(0)
	ds_write_b64 v47, v[48:49]
.LBB22_113:
	s_or_b32 exec_lo, exec_lo, s4
	s_waitcnt lgkmcnt(0)
	s_waitcnt_vscnt null, 0x0
	s_barrier
	buffer_gl0_inv
	s_clause 0x7
	buffer_load_dword v55, off, s[0:3], 0 offset:164
	buffer_load_dword v56, off, s[0:3], 0 offset:172
	;; [unrolled: 1-line block ×8, first 2 shown]
	v_mov_b32_e32 v48, 0
	ds_read_b128 v[49:52], v48 offset:352
	ds_read_b64 v[53:54], v48 offset:368
	s_mov_b32 s4, exec_lo
	s_waitcnt vmcnt(7) lgkmcnt(1)
	v_mul_f32_e32 v63, v50, v55
	v_mul_f32_e32 v55, v49, v55
	s_waitcnt vmcnt(6)
	v_mul_f32_e32 v64, v51, v56
	v_mul_f32_e32 v56, v52, v56
	s_waitcnt vmcnt(5) lgkmcnt(0)
	v_mul_f32_e32 v65, v53, v57
	s_waitcnt vmcnt(4)
	v_fma_f32 v49, v49, v58, -v63
	v_fmac_f32_e32 v55, v50, v58
	v_mul_f32_e32 v50, v54, v57
	s_waitcnt vmcnt(3)
	v_fma_f32 v51, v51, v59, -v56
	v_fmac_f32_e32 v64, v52, v59
	v_add_f32_e32 v49, 0, v49
	v_add_f32_e32 v52, 0, v55
	s_waitcnt vmcnt(2)
	v_fma_f32 v50, v53, v60, -v50
	v_fmac_f32_e32 v65, v54, v60
	v_add_f32_e32 v49, v49, v51
	v_add_f32_e32 v51, v52, v64
	;; [unrolled: 1-line block ×4, first 2 shown]
	s_waitcnt vmcnt(1)
	v_sub_f32_e32 v49, v61, v49
	s_waitcnt vmcnt(0)
	v_sub_f32_e32 v50, v62, v50
	buffer_store_dword v49, off, s[0:3], 0 offset:152
	buffer_store_dword v50, off, s[0:3], 0 offset:156
	v_cmpx_lt_u32_e32 18, v0
	s_cbranch_execz .LBB22_115
; %bb.114:
	s_clause 0x1
	buffer_load_dword v49, off, s[0:3], 0 offset:144
	buffer_load_dword v50, off, s[0:3], 0 offset:148
	buffer_store_dword v48, off, s[0:3], 0 offset:144
	buffer_store_dword v48, off, s[0:3], 0 offset:148
	s_waitcnt vmcnt(0)
	ds_write_b64 v47, v[49:50]
.LBB22_115:
	s_or_b32 exec_lo, exec_lo, s4
	s_waitcnt lgkmcnt(0)
	s_waitcnt_vscnt null, 0x0
	s_barrier
	buffer_gl0_inv
	s_clause 0x9
	buffer_load_dword v57, off, s[0:3], 0 offset:156
	buffer_load_dword v58, off, s[0:3], 0 offset:164
	;; [unrolled: 1-line block ×10, first 2 shown]
	ds_read2_b64 v[49:52], v48 offset0:43 offset1:44
	ds_read2_b64 v[53:56], v48 offset0:45 offset1:46
	s_mov_b32 s4, exec_lo
	s_waitcnt vmcnt(9) lgkmcnt(1)
	v_mul_f32_e32 v48, v49, v57
	v_mul_f32_e32 v57, v50, v57
	s_waitcnt vmcnt(8)
	v_mul_f32_e32 v67, v51, v58
	v_mul_f32_e32 v58, v52, v58
	s_waitcnt vmcnt(7) lgkmcnt(0)
	v_mul_f32_e32 v68, v53, v59
	s_waitcnt vmcnt(5)
	v_fmac_f32_e32 v48, v50, v61
	v_fma_f32 v49, v49, v61, -v57
	v_mul_f32_e32 v50, v54, v59
	s_waitcnt vmcnt(4)
	v_fma_f32 v51, v51, v62, -v58
	v_fmac_f32_e32 v67, v52, v62
	v_add_f32_e32 v48, 0, v48
	v_add_f32_e32 v49, 0, v49
	v_mul_f32_e32 v52, v56, v60
	s_waitcnt vmcnt(3)
	v_fma_f32 v50, v53, v63, -v50
	v_mul_f32_e32 v69, v55, v60
	v_fmac_f32_e32 v68, v54, v63
	v_add_f32_e32 v49, v49, v51
	v_add_f32_e32 v48, v48, v67
	s_waitcnt vmcnt(2)
	v_fma_f32 v51, v55, v64, -v52
	v_fmac_f32_e32 v69, v56, v64
	v_add_f32_e32 v49, v49, v50
	v_add_f32_e32 v48, v48, v68
	;; [unrolled: 1-line block ×4, first 2 shown]
	s_waitcnt vmcnt(1)
	v_sub_f32_e32 v49, v65, v49
	s_waitcnt vmcnt(0)
	v_sub_f32_e32 v48, v66, v48
	buffer_store_dword v49, off, s[0:3], 0 offset:144
	buffer_store_dword v48, off, s[0:3], 0 offset:148
	v_cmpx_lt_u32_e32 17, v0
	s_cbranch_execz .LBB22_117
; %bb.116:
	s_clause 0x1
	buffer_load_dword v48, off, s[0:3], 0 offset:136
	buffer_load_dword v49, off, s[0:3], 0 offset:140
	v_mov_b32_e32 v50, 0
	buffer_store_dword v50, off, s[0:3], 0 offset:136
	buffer_store_dword v50, off, s[0:3], 0 offset:140
	s_waitcnt vmcnt(0)
	ds_write_b64 v47, v[48:49]
.LBB22_117:
	s_or_b32 exec_lo, exec_lo, s4
	s_waitcnt lgkmcnt(0)
	s_waitcnt_vscnt null, 0x0
	s_barrier
	buffer_gl0_inv
	s_clause 0xb
	buffer_load_dword v59, off, s[0:3], 0 offset:148
	buffer_load_dword v60, off, s[0:3], 0 offset:156
	;; [unrolled: 1-line block ×12, first 2 shown]
	v_mov_b32_e32 v48, 0
	ds_read_b128 v[49:52], v48 offset:336
	ds_read_b128 v[53:56], v48 offset:352
	ds_read_b64 v[57:58], v48 offset:368
	s_mov_b32 s4, exec_lo
	s_waitcnt vmcnt(11) lgkmcnt(2)
	v_mul_f32_e32 v71, v49, v59
	v_mul_f32_e32 v59, v50, v59
	s_waitcnt vmcnt(10)
	v_mul_f32_e32 v72, v51, v60
	v_mul_f32_e32 v60, v52, v60
	s_waitcnt vmcnt(9) lgkmcnt(1)
	v_mul_f32_e32 v73, v53, v61
	s_waitcnt vmcnt(6)
	v_fmac_f32_e32 v71, v50, v64
	v_fma_f32 v49, v49, v64, -v59
	v_mul_f32_e32 v50, v54, v61
	s_waitcnt vmcnt(5)
	v_fma_f32 v51, v51, v65, -v60
	v_fmac_f32_e32 v72, v52, v65
	v_add_f32_e32 v52, 0, v71
	v_add_f32_e32 v49, 0, v49
	v_mul_f32_e32 v59, v56, v62
	s_waitcnt vmcnt(4)
	v_fma_f32 v50, v53, v66, -v50
	v_mul_f32_e32 v74, v55, v62
	v_fmac_f32_e32 v73, v54, v66
	v_add_f32_e32 v49, v49, v51
	v_add_f32_e32 v51, v52, v72
	s_waitcnt lgkmcnt(0)
	v_mul_f32_e32 v52, v58, v63
	s_waitcnt vmcnt(3)
	v_fma_f32 v53, v55, v67, -v59
	v_mul_f32_e32 v75, v57, v63
	v_add_f32_e32 v49, v49, v50
	v_fmac_f32_e32 v74, v56, v67
	v_add_f32_e32 v50, v51, v73
	s_waitcnt vmcnt(2)
	v_fma_f32 v51, v57, v68, -v52
	v_fmac_f32_e32 v75, v58, v68
	v_add_f32_e32 v49, v49, v53
	v_add_f32_e32 v50, v50, v74
	;; [unrolled: 1-line block ×4, first 2 shown]
	s_waitcnt vmcnt(1)
	v_sub_f32_e32 v49, v69, v49
	s_waitcnt vmcnt(0)
	v_sub_f32_e32 v50, v70, v50
	buffer_store_dword v49, off, s[0:3], 0 offset:136
	buffer_store_dword v50, off, s[0:3], 0 offset:140
	v_cmpx_lt_u32_e32 16, v0
	s_cbranch_execz .LBB22_119
; %bb.118:
	s_clause 0x1
	buffer_load_dword v49, off, s[0:3], 0 offset:128
	buffer_load_dword v50, off, s[0:3], 0 offset:132
	buffer_store_dword v48, off, s[0:3], 0 offset:128
	buffer_store_dword v48, off, s[0:3], 0 offset:132
	s_waitcnt vmcnt(0)
	ds_write_b64 v47, v[49:50]
.LBB22_119:
	s_or_b32 exec_lo, exec_lo, s4
	s_waitcnt lgkmcnt(0)
	s_waitcnt_vscnt null, 0x0
	s_barrier
	buffer_gl0_inv
	s_clause 0xd
	buffer_load_dword v61, off, s[0:3], 0 offset:140
	buffer_load_dword v62, off, s[0:3], 0 offset:148
	;; [unrolled: 1-line block ×14, first 2 shown]
	ds_read2_b64 v[49:52], v48 offset0:41 offset1:42
	ds_read2_b64 v[53:56], v48 offset0:43 offset1:44
	;; [unrolled: 1-line block ×3, first 2 shown]
	s_mov_b32 s4, exec_lo
	s_waitcnt vmcnt(13) lgkmcnt(2)
	v_mul_f32_e32 v48, v49, v61
	v_mul_f32_e32 v61, v50, v61
	s_waitcnt vmcnt(12)
	v_mul_f32_e32 v75, v51, v62
	v_mul_f32_e32 v62, v52, v62
	s_waitcnt vmcnt(11) lgkmcnt(1)
	v_mul_f32_e32 v76, v53, v63
	s_waitcnt vmcnt(10)
	v_mul_f32_e32 v77, v55, v64
	s_waitcnt vmcnt(7)
	v_fma_f32 v49, v49, v67, -v61
	v_fmac_f32_e32 v48, v50, v67
	v_mul_f32_e32 v50, v54, v63
	s_waitcnt vmcnt(6)
	v_fma_f32 v51, v51, v68, -v62
	v_fmac_f32_e32 v75, v52, v68
	v_add_f32_e32 v49, 0, v49
	v_add_f32_e32 v48, 0, v48
	v_mul_f32_e32 v52, v56, v64
	s_waitcnt vmcnt(5)
	v_fma_f32 v50, v53, v69, -v50
	v_fmac_f32_e32 v76, v54, v69
	v_add_f32_e32 v49, v49, v51
	v_add_f32_e32 v48, v48, v75
	s_waitcnt lgkmcnt(0)
	v_mul_f32_e32 v51, v58, v65
	s_waitcnt vmcnt(4)
	v_fma_f32 v52, v55, v70, -v52
	v_mul_f32_e32 v78, v57, v65
	v_add_f32_e32 v49, v49, v50
	v_fmac_f32_e32 v77, v56, v70
	v_add_f32_e32 v48, v48, v76
	v_mul_f32_e32 v50, v60, v66
	s_waitcnt vmcnt(3)
	v_fma_f32 v51, v57, v71, -v51
	v_add_f32_e32 v49, v49, v52
	v_mul_f32_e32 v79, v59, v66
	v_fmac_f32_e32 v78, v58, v71
	v_add_f32_e32 v48, v48, v77
	s_waitcnt vmcnt(2)
	v_fma_f32 v50, v59, v72, -v50
	v_add_f32_e32 v49, v49, v51
	v_fmac_f32_e32 v79, v60, v72
	v_add_f32_e32 v48, v48, v78
	v_add_f32_e32 v49, v49, v50
	;; [unrolled: 1-line block ×3, first 2 shown]
	s_waitcnt vmcnt(1)
	v_sub_f32_e32 v49, v73, v49
	s_waitcnt vmcnt(0)
	v_sub_f32_e32 v48, v74, v48
	buffer_store_dword v49, off, s[0:3], 0 offset:128
	buffer_store_dword v48, off, s[0:3], 0 offset:132
	v_cmpx_lt_u32_e32 15, v0
	s_cbranch_execz .LBB22_121
; %bb.120:
	s_clause 0x1
	buffer_load_dword v48, off, s[0:3], 0 offset:120
	buffer_load_dword v49, off, s[0:3], 0 offset:124
	v_mov_b32_e32 v50, 0
	buffer_store_dword v50, off, s[0:3], 0 offset:120
	buffer_store_dword v50, off, s[0:3], 0 offset:124
	s_waitcnt vmcnt(0)
	ds_write_b64 v47, v[48:49]
.LBB22_121:
	s_or_b32 exec_lo, exec_lo, s4
	s_waitcnt lgkmcnt(0)
	s_waitcnt_vscnt null, 0x0
	s_barrier
	buffer_gl0_inv
	s_clause 0xf
	buffer_load_dword v63, off, s[0:3], 0 offset:132
	buffer_load_dword v64, off, s[0:3], 0 offset:140
	;; [unrolled: 1-line block ×16, first 2 shown]
	v_mov_b32_e32 v48, 0
	ds_read_b128 v[49:52], v48 offset:320
	ds_read_b128 v[53:56], v48 offset:336
	;; [unrolled: 1-line block ×3, first 2 shown]
	ds_read_b64 v[61:62], v48 offset:368
	s_mov_b32 s4, exec_lo
	s_waitcnt vmcnt(15) lgkmcnt(3)
	v_mul_f32_e32 v79, v49, v63
	v_mul_f32_e32 v63, v50, v63
	s_waitcnt vmcnt(14)
	v_mul_f32_e32 v80, v51, v64
	v_mul_f32_e32 v64, v52, v64
	s_waitcnt vmcnt(13) lgkmcnt(2)
	v_mul_f32_e32 v81, v53, v65
	s_waitcnt vmcnt(12)
	v_mul_f32_e32 v82, v55, v66
	s_waitcnt vmcnt(11) lgkmcnt(1)
	v_mul_f32_e32 v83, v57, v67
	s_waitcnt vmcnt(8)
	v_fma_f32 v49, v49, v70, -v63
	v_fmac_f32_e32 v79, v50, v70
	v_mul_f32_e32 v50, v54, v65
	s_waitcnt vmcnt(7)
	v_fma_f32 v51, v51, v71, -v64
	v_fmac_f32_e32 v80, v52, v71
	v_add_f32_e32 v49, 0, v49
	v_add_f32_e32 v52, 0, v79
	v_mul_f32_e32 v63, v56, v66
	s_waitcnt vmcnt(6)
	v_fma_f32 v50, v53, v72, -v50
	v_fmac_f32_e32 v81, v54, v72
	v_add_f32_e32 v49, v49, v51
	v_add_f32_e32 v51, v52, v80
	;; [unrolled: 6-line block ×3, first 2 shown]
	v_mul_f32_e32 v51, v60, v68
	s_waitcnt vmcnt(4)
	v_fma_f32 v52, v57, v74, -v52
	v_mul_f32_e32 v84, v59, v68
	v_add_f32_e32 v49, v49, v53
	v_fmac_f32_e32 v83, v58, v74
	v_add_f32_e32 v50, v50, v82
	s_waitcnt lgkmcnt(0)
	v_mul_f32_e32 v53, v62, v69
	s_waitcnt vmcnt(3)
	v_fma_f32 v51, v59, v75, -v51
	v_add_f32_e32 v49, v49, v52
	v_mul_f32_e32 v85, v61, v69
	v_fmac_f32_e32 v84, v60, v75
	v_add_f32_e32 v50, v50, v83
	s_waitcnt vmcnt(2)
	v_fma_f32 v52, v61, v76, -v53
	v_add_f32_e32 v49, v49, v51
	v_fmac_f32_e32 v85, v62, v76
	v_add_f32_e32 v50, v50, v84
	v_add_f32_e32 v49, v49, v52
	v_add_f32_e32 v50, v50, v85
	s_waitcnt vmcnt(1)
	v_sub_f32_e32 v49, v77, v49
	s_waitcnt vmcnt(0)
	v_sub_f32_e32 v50, v78, v50
	buffer_store_dword v49, off, s[0:3], 0 offset:120
	buffer_store_dword v50, off, s[0:3], 0 offset:124
	v_cmpx_lt_u32_e32 14, v0
	s_cbranch_execz .LBB22_123
; %bb.122:
	s_clause 0x1
	buffer_load_dword v49, off, s[0:3], 0 offset:112
	buffer_load_dword v50, off, s[0:3], 0 offset:116
	buffer_store_dword v48, off, s[0:3], 0 offset:112
	buffer_store_dword v48, off, s[0:3], 0 offset:116
	s_waitcnt vmcnt(0)
	ds_write_b64 v47, v[49:50]
.LBB22_123:
	s_or_b32 exec_lo, exec_lo, s4
	s_waitcnt lgkmcnt(0)
	s_waitcnt_vscnt null, 0x0
	s_barrier
	buffer_gl0_inv
	s_clause 0x11
	buffer_load_dword v65, off, s[0:3], 0 offset:124
	buffer_load_dword v66, off, s[0:3], 0 offset:132
	buffer_load_dword v67, off, s[0:3], 0 offset:140
	buffer_load_dword v68, off, s[0:3], 0 offset:148
	buffer_load_dword v69, off, s[0:3], 0 offset:156
	buffer_load_dword v70, off, s[0:3], 0 offset:164
	buffer_load_dword v71, off, s[0:3], 0 offset:172
	buffer_load_dword v72, off, s[0:3], 0 offset:180
	buffer_load_dword v73, off, s[0:3], 0 offset:120
	buffer_load_dword v74, off, s[0:3], 0 offset:128
	buffer_load_dword v75, off, s[0:3], 0 offset:136
	buffer_load_dword v76, off, s[0:3], 0 offset:144
	buffer_load_dword v77, off, s[0:3], 0 offset:152
	buffer_load_dword v78, off, s[0:3], 0 offset:160
	buffer_load_dword v79, off, s[0:3], 0 offset:168
	buffer_load_dword v80, off, s[0:3], 0 offset:176
	buffer_load_dword v81, off, s[0:3], 0 offset:112
	buffer_load_dword v82, off, s[0:3], 0 offset:116
	ds_read2_b64 v[49:52], v48 offset0:39 offset1:40
	ds_read2_b64 v[53:56], v48 offset0:41 offset1:42
	;; [unrolled: 1-line block ×4, first 2 shown]
	s_mov_b32 s4, exec_lo
	s_waitcnt vmcnt(17) lgkmcnt(3)
	v_mul_f32_e32 v48, v49, v65
	v_mul_f32_e32 v65, v50, v65
	s_waitcnt vmcnt(16)
	v_mul_f32_e32 v83, v51, v66
	v_mul_f32_e32 v66, v52, v66
	s_waitcnt vmcnt(15) lgkmcnt(2)
	v_mul_f32_e32 v84, v53, v67
	s_waitcnt vmcnt(14)
	v_mul_f32_e32 v85, v55, v68
	s_waitcnt vmcnt(13) lgkmcnt(1)
	v_mul_f32_e32 v86, v57, v69
	s_waitcnt vmcnt(12)
	v_mul_f32_e32 v87, v59, v70
	s_waitcnt vmcnt(9)
	v_fma_f32 v49, v49, v73, -v65
	v_fmac_f32_e32 v48, v50, v73
	v_mul_f32_e32 v50, v54, v67
	s_waitcnt vmcnt(8)
	v_fma_f32 v51, v51, v74, -v66
	v_fmac_f32_e32 v83, v52, v74
	v_add_f32_e32 v49, 0, v49
	v_add_f32_e32 v48, 0, v48
	v_mul_f32_e32 v52, v56, v68
	s_waitcnt vmcnt(7)
	v_fma_f32 v50, v53, v75, -v50
	v_fmac_f32_e32 v84, v54, v75
	v_add_f32_e32 v49, v49, v51
	v_add_f32_e32 v48, v48, v83
	;; [unrolled: 6-line block ×4, first 2 shown]
	s_waitcnt lgkmcnt(0)
	v_mul_f32_e32 v52, v62, v71
	s_waitcnt vmcnt(4)
	v_fma_f32 v50, v59, v78, -v50
	v_mul_f32_e32 v88, v61, v71
	v_add_f32_e32 v49, v49, v51
	v_fmac_f32_e32 v87, v60, v78
	v_add_f32_e32 v48, v48, v86
	v_mul_f32_e32 v51, v64, v72
	s_waitcnt vmcnt(3)
	v_fma_f32 v52, v61, v79, -v52
	v_add_f32_e32 v49, v49, v50
	v_mul_f32_e32 v89, v63, v72
	v_fmac_f32_e32 v88, v62, v79
	v_add_f32_e32 v48, v48, v87
	s_waitcnt vmcnt(2)
	v_fma_f32 v50, v63, v80, -v51
	v_add_f32_e32 v49, v49, v52
	v_fmac_f32_e32 v89, v64, v80
	v_add_f32_e32 v48, v48, v88
	v_add_f32_e32 v49, v49, v50
	;; [unrolled: 1-line block ×3, first 2 shown]
	s_waitcnt vmcnt(1)
	v_sub_f32_e32 v49, v81, v49
	s_waitcnt vmcnt(0)
	v_sub_f32_e32 v48, v82, v48
	buffer_store_dword v49, off, s[0:3], 0 offset:112
	buffer_store_dword v48, off, s[0:3], 0 offset:116
	v_cmpx_lt_u32_e32 13, v0
	s_cbranch_execz .LBB22_125
; %bb.124:
	s_clause 0x1
	buffer_load_dword v48, off, s[0:3], 0 offset:104
	buffer_load_dword v49, off, s[0:3], 0 offset:108
	v_mov_b32_e32 v50, 0
	buffer_store_dword v50, off, s[0:3], 0 offset:104
	buffer_store_dword v50, off, s[0:3], 0 offset:108
	s_waitcnt vmcnt(0)
	ds_write_b64 v47, v[48:49]
.LBB22_125:
	s_or_b32 exec_lo, exec_lo, s4
	s_waitcnt lgkmcnt(0)
	s_waitcnt_vscnt null, 0x0
	s_barrier
	buffer_gl0_inv
	s_clause 0x13
	buffer_load_dword v67, off, s[0:3], 0 offset:116
	buffer_load_dword v68, off, s[0:3], 0 offset:124
	;; [unrolled: 1-line block ×20, first 2 shown]
	v_mov_b32_e32 v48, 0
	ds_read_b128 v[49:52], v48 offset:304
	ds_read_b128 v[53:56], v48 offset:320
	;; [unrolled: 1-line block ×4, first 2 shown]
	ds_read_b64 v[65:66], v48 offset:368
	s_mov_b32 s4, exec_lo
	s_waitcnt vmcnt(19) lgkmcnt(4)
	v_mul_f32_e32 v87, v49, v67
	v_mul_f32_e32 v67, v50, v67
	s_waitcnt vmcnt(18)
	v_mul_f32_e32 v88, v51, v68
	v_mul_f32_e32 v68, v52, v68
	s_waitcnt vmcnt(17) lgkmcnt(3)
	v_mul_f32_e32 v89, v53, v69
	s_waitcnt vmcnt(16)
	v_mul_f32_e32 v90, v55, v70
	s_waitcnt vmcnt(15) lgkmcnt(2)
	v_mul_f32_e32 v91, v57, v71
	s_waitcnt vmcnt(14)
	;; [unrolled: 4-line block ×3, first 2 shown]
	v_fma_f32 v49, v49, v76, -v67
	v_fmac_f32_e32 v87, v50, v76
	v_mul_f32_e32 v50, v54, v69
	s_waitcnt vmcnt(9)
	v_fma_f32 v51, v51, v77, -v68
	v_fmac_f32_e32 v88, v52, v77
	v_add_f32_e32 v49, 0, v49
	v_add_f32_e32 v52, 0, v87
	v_mul_f32_e32 v67, v56, v70
	s_waitcnt vmcnt(8)
	v_fma_f32 v50, v53, v78, -v50
	v_fmac_f32_e32 v89, v54, v78
	v_add_f32_e32 v49, v49, v51
	v_add_f32_e32 v51, v52, v88
	;; [unrolled: 6-line block ×5, first 2 shown]
	v_mul_f32_e32 v52, v64, v74
	s_waitcnt vmcnt(4)
	v_fma_f32 v53, v61, v82, -v53
	v_mul_f32_e32 v94, v63, v74
	v_add_f32_e32 v49, v49, v51
	v_fmac_f32_e32 v93, v62, v82
	v_add_f32_e32 v50, v50, v92
	s_waitcnt lgkmcnt(0)
	v_mul_f32_e32 v51, v66, v75
	s_waitcnt vmcnt(3)
	v_fma_f32 v52, v63, v83, -v52
	v_add_f32_e32 v49, v49, v53
	v_mul_f32_e32 v95, v65, v75
	v_fmac_f32_e32 v94, v64, v83
	v_add_f32_e32 v50, v50, v93
	s_waitcnt vmcnt(2)
	v_fma_f32 v51, v65, v84, -v51
	v_add_f32_e32 v49, v49, v52
	v_fmac_f32_e32 v95, v66, v84
	v_add_f32_e32 v50, v50, v94
	v_add_f32_e32 v49, v49, v51
	;; [unrolled: 1-line block ×3, first 2 shown]
	s_waitcnt vmcnt(1)
	v_sub_f32_e32 v49, v85, v49
	s_waitcnt vmcnt(0)
	v_sub_f32_e32 v50, v86, v50
	buffer_store_dword v49, off, s[0:3], 0 offset:104
	buffer_store_dword v50, off, s[0:3], 0 offset:108
	v_cmpx_lt_u32_e32 12, v0
	s_cbranch_execz .LBB22_127
; %bb.126:
	s_clause 0x1
	buffer_load_dword v49, off, s[0:3], 0 offset:96
	buffer_load_dword v50, off, s[0:3], 0 offset:100
	buffer_store_dword v48, off, s[0:3], 0 offset:96
	buffer_store_dword v48, off, s[0:3], 0 offset:100
	s_waitcnt vmcnt(0)
	ds_write_b64 v47, v[49:50]
.LBB22_127:
	s_or_b32 exec_lo, exec_lo, s4
	s_waitcnt lgkmcnt(0)
	s_waitcnt_vscnt null, 0x0
	s_barrier
	buffer_gl0_inv
	s_clause 0x15
	buffer_load_dword v69, off, s[0:3], 0 offset:108
	buffer_load_dword v70, off, s[0:3], 0 offset:116
	;; [unrolled: 1-line block ×22, first 2 shown]
	ds_read2_b64 v[49:52], v48 offset0:37 offset1:38
	ds_read2_b64 v[53:56], v48 offset0:39 offset1:40
	;; [unrolled: 1-line block ×5, first 2 shown]
	s_mov_b32 s4, exec_lo
	s_waitcnt vmcnt(21) lgkmcnt(4)
	v_mul_f32_e32 v48, v49, v69
	v_mul_f32_e32 v69, v50, v69
	s_waitcnt vmcnt(20)
	v_mul_f32_e32 v91, v51, v70
	v_mul_f32_e32 v70, v52, v70
	s_waitcnt vmcnt(19) lgkmcnt(3)
	v_mul_f32_e32 v92, v53, v71
	s_waitcnt vmcnt(18)
	v_mul_f32_e32 v93, v55, v72
	s_waitcnt vmcnt(17) lgkmcnt(2)
	v_mul_f32_e32 v94, v57, v73
	s_waitcnt vmcnt(16)
	;; [unrolled: 4-line block ×3, first 2 shown]
	v_mul_f32_e32 v97, v63, v76
	s_waitcnt vmcnt(11)
	v_fma_f32 v49, v49, v79, -v69
	v_fmac_f32_e32 v48, v50, v79
	v_mul_f32_e32 v50, v54, v71
	s_waitcnt vmcnt(10)
	v_fma_f32 v51, v51, v80, -v70
	v_fmac_f32_e32 v91, v52, v80
	v_add_f32_e32 v49, 0, v49
	v_add_f32_e32 v48, 0, v48
	v_mul_f32_e32 v52, v56, v72
	s_waitcnt vmcnt(9)
	v_fma_f32 v50, v53, v81, -v50
	v_fmac_f32_e32 v92, v54, v81
	v_add_f32_e32 v49, v49, v51
	v_add_f32_e32 v48, v48, v91
	v_mul_f32_e32 v51, v58, v73
	s_waitcnt vmcnt(8)
	v_fma_f32 v52, v55, v82, -v52
	v_fmac_f32_e32 v93, v56, v82
	v_add_f32_e32 v49, v49, v50
	v_add_f32_e32 v48, v48, v92
	v_mul_f32_e32 v50, v60, v74
	s_waitcnt vmcnt(7)
	v_fma_f32 v51, v57, v83, -v51
	v_fmac_f32_e32 v94, v58, v83
	v_add_f32_e32 v49, v49, v52
	v_add_f32_e32 v48, v48, v93
	v_mul_f32_e32 v52, v62, v75
	s_waitcnt vmcnt(6)
	v_fma_f32 v50, v59, v84, -v50
	v_fmac_f32_e32 v95, v60, v84
	v_add_f32_e32 v49, v49, v51
	v_add_f32_e32 v48, v48, v94
	v_mul_f32_e32 v51, v64, v76
	s_waitcnt vmcnt(5)
	v_fma_f32 v52, v61, v85, -v52
	v_fmac_f32_e32 v96, v62, v85
	v_add_f32_e32 v49, v49, v50
	v_add_f32_e32 v48, v48, v95
	s_waitcnt lgkmcnt(0)
	v_mul_f32_e32 v50, v66, v77
	s_waitcnt vmcnt(4)
	v_fma_f32 v51, v63, v86, -v51
	v_mul_f32_e32 v98, v65, v77
	v_add_f32_e32 v49, v49, v52
	v_fmac_f32_e32 v97, v64, v86
	v_add_f32_e32 v48, v48, v96
	v_mul_f32_e32 v52, v68, v78
	s_waitcnt vmcnt(3)
	v_fma_f32 v50, v65, v87, -v50
	v_add_f32_e32 v49, v49, v51
	v_mul_f32_e32 v99, v67, v78
	v_fmac_f32_e32 v98, v66, v87
	v_add_f32_e32 v48, v48, v97
	s_waitcnt vmcnt(2)
	v_fma_f32 v51, v67, v88, -v52
	v_add_f32_e32 v49, v49, v50
	v_fmac_f32_e32 v99, v68, v88
	v_add_f32_e32 v48, v48, v98
	v_add_f32_e32 v49, v49, v51
	v_add_f32_e32 v48, v48, v99
	s_waitcnt vmcnt(1)
	v_sub_f32_e32 v49, v89, v49
	s_waitcnt vmcnt(0)
	v_sub_f32_e32 v48, v90, v48
	buffer_store_dword v49, off, s[0:3], 0 offset:96
	buffer_store_dword v48, off, s[0:3], 0 offset:100
	v_cmpx_lt_u32_e32 11, v0
	s_cbranch_execz .LBB22_129
; %bb.128:
	s_clause 0x1
	buffer_load_dword v48, off, s[0:3], 0 offset:88
	buffer_load_dword v49, off, s[0:3], 0 offset:92
	v_mov_b32_e32 v50, 0
	buffer_store_dword v50, off, s[0:3], 0 offset:88
	buffer_store_dword v50, off, s[0:3], 0 offset:92
	s_waitcnt vmcnt(0)
	ds_write_b64 v47, v[48:49]
.LBB22_129:
	s_or_b32 exec_lo, exec_lo, s4
	s_waitcnt lgkmcnt(0)
	s_waitcnt_vscnt null, 0x0
	s_barrier
	buffer_gl0_inv
	s_clause 0x17
	buffer_load_dword v71, off, s[0:3], 0 offset:100
	buffer_load_dword v72, off, s[0:3], 0 offset:108
	;; [unrolled: 1-line block ×24, first 2 shown]
	v_mov_b32_e32 v48, 0
	ds_read_b128 v[49:52], v48 offset:288
	ds_read_b128 v[53:56], v48 offset:304
	;; [unrolled: 1-line block ×5, first 2 shown]
	ds_read_b64 v[69:70], v48 offset:368
	s_mov_b32 s4, exec_lo
	s_waitcnt vmcnt(23) lgkmcnt(5)
	v_mul_f32_e32 v95, v49, v71
	v_mul_f32_e32 v71, v50, v71
	s_waitcnt vmcnt(22)
	v_mul_f32_e32 v96, v51, v72
	v_mul_f32_e32 v72, v52, v72
	s_waitcnt vmcnt(21) lgkmcnt(4)
	v_mul_f32_e32 v97, v53, v73
	s_waitcnt vmcnt(20)
	v_mul_f32_e32 v98, v55, v74
	s_waitcnt vmcnt(19) lgkmcnt(3)
	v_mul_f32_e32 v99, v57, v75
	s_waitcnt vmcnt(18)
	;; [unrolled: 4-line block ×4, first 2 shown]
	v_fma_f32 v49, v49, v82, -v71
	v_fmac_f32_e32 v95, v50, v82
	v_mul_f32_e32 v50, v54, v73
	s_waitcnt vmcnt(11)
	v_fma_f32 v51, v51, v83, -v72
	v_fmac_f32_e32 v96, v52, v83
	v_add_f32_e32 v49, 0, v49
	v_add_f32_e32 v52, 0, v95
	v_mul_f32_e32 v71, v56, v74
	s_waitcnt vmcnt(10)
	v_fma_f32 v50, v53, v84, -v50
	v_fmac_f32_e32 v97, v54, v84
	v_add_f32_e32 v49, v49, v51
	v_add_f32_e32 v51, v52, v96
	;; [unrolled: 6-line block ×7, first 2 shown]
	v_mul_f32_e32 v53, v68, v80
	s_waitcnt vmcnt(4)
	v_fma_f32 v51, v65, v90, -v51
	v_mul_f32_e32 v104, v67, v80
	v_add_f32_e32 v49, v49, v52
	v_fmac_f32_e32 v103, v66, v90
	v_add_f32_e32 v50, v50, v102
	s_waitcnt lgkmcnt(0)
	v_mul_f32_e32 v52, v70, v81
	s_waitcnt vmcnt(3)
	v_fma_f32 v53, v67, v91, -v53
	v_add_f32_e32 v49, v49, v51
	v_mul_f32_e32 v105, v69, v81
	v_fmac_f32_e32 v104, v68, v91
	v_add_f32_e32 v50, v50, v103
	s_waitcnt vmcnt(2)
	v_fma_f32 v51, v69, v92, -v52
	v_add_f32_e32 v49, v49, v53
	v_fmac_f32_e32 v105, v70, v92
	v_add_f32_e32 v50, v50, v104
	v_add_f32_e32 v49, v49, v51
	;; [unrolled: 1-line block ×3, first 2 shown]
	s_waitcnt vmcnt(1)
	v_sub_f32_e32 v49, v93, v49
	s_waitcnt vmcnt(0)
	v_sub_f32_e32 v50, v94, v50
	buffer_store_dword v49, off, s[0:3], 0 offset:88
	buffer_store_dword v50, off, s[0:3], 0 offset:92
	v_cmpx_lt_u32_e32 10, v0
	s_cbranch_execz .LBB22_131
; %bb.130:
	s_clause 0x1
	buffer_load_dword v49, off, s[0:3], 0 offset:80
	buffer_load_dword v50, off, s[0:3], 0 offset:84
	buffer_store_dword v48, off, s[0:3], 0 offset:80
	buffer_store_dword v48, off, s[0:3], 0 offset:84
	s_waitcnt vmcnt(0)
	ds_write_b64 v47, v[49:50]
.LBB22_131:
	s_or_b32 exec_lo, exec_lo, s4
	s_waitcnt lgkmcnt(0)
	s_waitcnt_vscnt null, 0x0
	s_barrier
	buffer_gl0_inv
	s_clause 0x19
	buffer_load_dword v73, off, s[0:3], 0 offset:92
	buffer_load_dword v74, off, s[0:3], 0 offset:100
	;; [unrolled: 1-line block ×26, first 2 shown]
	ds_read2_b64 v[49:52], v48 offset0:35 offset1:36
	ds_read2_b64 v[53:56], v48 offset0:37 offset1:38
	;; [unrolled: 1-line block ×6, first 2 shown]
	s_mov_b32 s4, exec_lo
	s_waitcnt vmcnt(25) lgkmcnt(5)
	v_mul_f32_e32 v48, v49, v73
	v_mul_f32_e32 v73, v50, v73
	s_waitcnt vmcnt(24)
	v_mul_f32_e32 v99, v51, v74
	v_mul_f32_e32 v74, v52, v74
	s_waitcnt vmcnt(23) lgkmcnt(4)
	v_mul_f32_e32 v100, v53, v75
	s_waitcnt vmcnt(22)
	v_mul_f32_e32 v101, v55, v76
	s_waitcnt vmcnt(21) lgkmcnt(3)
	v_mul_f32_e32 v102, v57, v77
	s_waitcnt vmcnt(20)
	v_mul_f32_e32 v103, v59, v78
	s_waitcnt vmcnt(19) lgkmcnt(2)
	v_mul_f32_e32 v104, v61, v79
	s_waitcnt vmcnt(18)
	v_mul_f32_e32 v105, v63, v80
	s_waitcnt vmcnt(17) lgkmcnt(1)
	v_mul_f32_e32 v106, v65, v81
	s_waitcnt vmcnt(16)
	v_mul_f32_e32 v107, v67, v82
	s_waitcnt vmcnt(13)
	v_fma_f32 v49, v49, v85, -v73
	v_fmac_f32_e32 v48, v50, v85
	v_mul_f32_e32 v50, v54, v75
	s_waitcnt vmcnt(12)
	v_fma_f32 v51, v51, v86, -v74
	v_fmac_f32_e32 v99, v52, v86
	v_add_f32_e32 v49, 0, v49
	v_add_f32_e32 v48, 0, v48
	v_mul_f32_e32 v52, v56, v76
	s_waitcnt vmcnt(11)
	v_fma_f32 v50, v53, v87, -v50
	v_fmac_f32_e32 v100, v54, v87
	v_add_f32_e32 v49, v49, v51
	v_add_f32_e32 v48, v48, v99
	;; [unrolled: 6-line block ×8, first 2 shown]
	s_waitcnt lgkmcnt(0)
	v_mul_f32_e32 v51, v70, v83
	s_waitcnt vmcnt(4)
	v_fma_f32 v52, v67, v94, -v52
	v_mul_f32_e32 v108, v69, v83
	v_add_f32_e32 v49, v49, v50
	v_fmac_f32_e32 v107, v68, v94
	v_add_f32_e32 v48, v48, v106
	v_mul_f32_e32 v50, v72, v84
	s_waitcnt vmcnt(3)
	v_fma_f32 v51, v69, v95, -v51
	v_add_f32_e32 v49, v49, v52
	v_mul_f32_e32 v109, v71, v84
	v_fmac_f32_e32 v108, v70, v95
	v_add_f32_e32 v48, v48, v107
	s_waitcnt vmcnt(2)
	v_fma_f32 v50, v71, v96, -v50
	v_add_f32_e32 v49, v49, v51
	v_fmac_f32_e32 v109, v72, v96
	v_add_f32_e32 v48, v48, v108
	v_add_f32_e32 v49, v49, v50
	;; [unrolled: 1-line block ×3, first 2 shown]
	s_waitcnt vmcnt(1)
	v_sub_f32_e32 v49, v97, v49
	s_waitcnt vmcnt(0)
	v_sub_f32_e32 v48, v98, v48
	buffer_store_dword v49, off, s[0:3], 0 offset:80
	buffer_store_dword v48, off, s[0:3], 0 offset:84
	v_cmpx_lt_u32_e32 9, v0
	s_cbranch_execz .LBB22_133
; %bb.132:
	s_clause 0x1
	buffer_load_dword v48, off, s[0:3], 0 offset:72
	buffer_load_dword v49, off, s[0:3], 0 offset:76
	v_mov_b32_e32 v50, 0
	buffer_store_dword v50, off, s[0:3], 0 offset:72
	buffer_store_dword v50, off, s[0:3], 0 offset:76
	s_waitcnt vmcnt(0)
	ds_write_b64 v47, v[48:49]
.LBB22_133:
	s_or_b32 exec_lo, exec_lo, s4
	s_waitcnt lgkmcnt(0)
	s_waitcnt_vscnt null, 0x0
	s_barrier
	buffer_gl0_inv
	s_clause 0x1b
	buffer_load_dword v75, off, s[0:3], 0 offset:84
	buffer_load_dword v76, off, s[0:3], 0 offset:92
	;; [unrolled: 1-line block ×28, first 2 shown]
	v_mov_b32_e32 v48, 0
	ds_read_b128 v[49:52], v48 offset:272
	ds_read_b128 v[53:56], v48 offset:288
	;; [unrolled: 1-line block ×6, first 2 shown]
	ds_read_b64 v[73:74], v48 offset:368
	s_mov_b32 s4, exec_lo
	s_waitcnt vmcnt(27) lgkmcnt(6)
	v_mul_f32_e32 v103, v49, v75
	v_mul_f32_e32 v75, v50, v75
	s_waitcnt vmcnt(26)
	v_mul_f32_e32 v104, v51, v76
	v_mul_f32_e32 v76, v52, v76
	s_waitcnt vmcnt(25) lgkmcnt(5)
	v_mul_f32_e32 v105, v53, v77
	s_waitcnt vmcnt(24)
	v_mul_f32_e32 v106, v55, v78
	s_waitcnt vmcnt(23) lgkmcnt(4)
	v_mul_f32_e32 v107, v57, v79
	s_waitcnt vmcnt(22)
	;; [unrolled: 4-line block ×5, first 2 shown]
	v_fma_f32 v49, v49, v88, -v75
	v_fmac_f32_e32 v103, v50, v88
	v_mul_f32_e32 v50, v54, v77
	s_waitcnt vmcnt(13)
	v_fma_f32 v51, v51, v89, -v76
	v_fmac_f32_e32 v104, v52, v89
	v_add_f32_e32 v49, 0, v49
	v_add_f32_e32 v52, 0, v103
	v_mul_f32_e32 v75, v56, v78
	s_waitcnt vmcnt(12)
	v_fma_f32 v50, v53, v90, -v50
	v_fmac_f32_e32 v105, v54, v90
	v_add_f32_e32 v49, v49, v51
	v_add_f32_e32 v51, v52, v104
	;; [unrolled: 6-line block ×9, first 2 shown]
	v_mul_f32_e32 v51, v72, v86
	s_waitcnt vmcnt(4)
	v_fma_f32 v52, v69, v98, -v52
	v_mul_f32_e32 v114, v71, v86
	v_add_f32_e32 v49, v49, v53
	v_fmac_f32_e32 v113, v70, v98
	v_add_f32_e32 v50, v50, v112
	s_waitcnt lgkmcnt(0)
	v_mul_f32_e32 v53, v74, v87
	s_waitcnt vmcnt(3)
	v_fma_f32 v51, v71, v99, -v51
	v_add_f32_e32 v49, v49, v52
	v_mul_f32_e32 v115, v73, v87
	v_fmac_f32_e32 v114, v72, v99
	v_add_f32_e32 v50, v50, v113
	s_waitcnt vmcnt(2)
	v_fma_f32 v52, v73, v100, -v53
	v_add_f32_e32 v49, v49, v51
	v_fmac_f32_e32 v115, v74, v100
	v_add_f32_e32 v50, v50, v114
	v_add_f32_e32 v49, v49, v52
	;; [unrolled: 1-line block ×3, first 2 shown]
	s_waitcnt vmcnt(1)
	v_sub_f32_e32 v49, v101, v49
	s_waitcnt vmcnt(0)
	v_sub_f32_e32 v50, v102, v50
	buffer_store_dword v49, off, s[0:3], 0 offset:72
	buffer_store_dword v50, off, s[0:3], 0 offset:76
	v_cmpx_lt_u32_e32 8, v0
	s_cbranch_execz .LBB22_135
; %bb.134:
	s_clause 0x1
	buffer_load_dword v49, off, s[0:3], 0 offset:64
	buffer_load_dword v50, off, s[0:3], 0 offset:68
	buffer_store_dword v48, off, s[0:3], 0 offset:64
	buffer_store_dword v48, off, s[0:3], 0 offset:68
	s_waitcnt vmcnt(0)
	ds_write_b64 v47, v[49:50]
.LBB22_135:
	s_or_b32 exec_lo, exec_lo, s4
	s_waitcnt lgkmcnt(0)
	s_waitcnt_vscnt null, 0x0
	s_barrier
	buffer_gl0_inv
	s_clause 0x1d
	buffer_load_dword v77, off, s[0:3], 0 offset:76
	buffer_load_dword v78, off, s[0:3], 0 offset:84
	buffer_load_dword v79, off, s[0:3], 0 offset:92
	buffer_load_dword v80, off, s[0:3], 0 offset:100
	buffer_load_dword v81, off, s[0:3], 0 offset:108
	buffer_load_dword v82, off, s[0:3], 0 offset:116
	buffer_load_dword v83, off, s[0:3], 0 offset:124
	buffer_load_dword v84, off, s[0:3], 0 offset:132
	buffer_load_dword v85, off, s[0:3], 0 offset:140
	buffer_load_dword v86, off, s[0:3], 0 offset:148
	buffer_load_dword v87, off, s[0:3], 0 offset:156
	buffer_load_dword v88, off, s[0:3], 0 offset:164
	buffer_load_dword v89, off, s[0:3], 0 offset:172
	buffer_load_dword v90, off, s[0:3], 0 offset:180
	buffer_load_dword v91, off, s[0:3], 0 offset:72
	buffer_load_dword v92, off, s[0:3], 0 offset:80
	buffer_load_dword v93, off, s[0:3], 0 offset:88
	buffer_load_dword v94, off, s[0:3], 0 offset:96
	buffer_load_dword v95, off, s[0:3], 0 offset:104
	buffer_load_dword v96, off, s[0:3], 0 offset:112
	buffer_load_dword v97, off, s[0:3], 0 offset:120
	buffer_load_dword v98, off, s[0:3], 0 offset:128
	buffer_load_dword v99, off, s[0:3], 0 offset:136
	buffer_load_dword v100, off, s[0:3], 0 offset:144
	buffer_load_dword v101, off, s[0:3], 0 offset:152
	buffer_load_dword v102, off, s[0:3], 0 offset:160
	buffer_load_dword v103, off, s[0:3], 0 offset:168
	buffer_load_dword v104, off, s[0:3], 0 offset:176
	buffer_load_dword v105, off, s[0:3], 0 offset:64
	buffer_load_dword v106, off, s[0:3], 0 offset:68
	ds_read2_b64 v[49:52], v48 offset0:33 offset1:34
	ds_read2_b64 v[53:56], v48 offset0:35 offset1:36
	;; [unrolled: 1-line block ×7, first 2 shown]
	s_mov_b32 s4, exec_lo
	s_waitcnt vmcnt(29) lgkmcnt(6)
	v_mul_f32_e32 v48, v49, v77
	v_mul_f32_e32 v77, v50, v77
	s_waitcnt vmcnt(28)
	v_mul_f32_e32 v107, v51, v78
	v_mul_f32_e32 v78, v52, v78
	s_waitcnt vmcnt(27) lgkmcnt(5)
	v_mul_f32_e32 v108, v53, v79
	s_waitcnt vmcnt(26)
	v_mul_f32_e32 v109, v55, v80
	s_waitcnt vmcnt(25) lgkmcnt(4)
	v_mul_f32_e32 v110, v57, v81
	s_waitcnt vmcnt(24)
	;; [unrolled: 4-line block ×5, first 2 shown]
	v_mul_f32_e32 v117, v71, v88
	s_waitcnt vmcnt(15)
	v_fma_f32 v49, v49, v91, -v77
	v_fmac_f32_e32 v48, v50, v91
	v_mul_f32_e32 v50, v54, v79
	s_waitcnt vmcnt(14)
	v_fma_f32 v51, v51, v92, -v78
	v_fmac_f32_e32 v107, v52, v92
	v_add_f32_e32 v49, 0, v49
	v_add_f32_e32 v48, 0, v48
	v_mul_f32_e32 v52, v56, v80
	s_waitcnt vmcnt(13)
	v_fma_f32 v50, v53, v93, -v50
	v_fmac_f32_e32 v108, v54, v93
	v_add_f32_e32 v49, v49, v51
	v_add_f32_e32 v48, v48, v107
	;; [unrolled: 6-line block ×10, first 2 shown]
	s_waitcnt lgkmcnt(0)
	v_mul_f32_e32 v52, v74, v89
	s_waitcnt vmcnt(4)
	v_fma_f32 v50, v71, v102, -v50
	v_mul_f32_e32 v118, v73, v89
	v_add_f32_e32 v49, v49, v51
	v_fmac_f32_e32 v117, v72, v102
	v_add_f32_e32 v48, v48, v116
	v_mul_f32_e32 v51, v76, v90
	s_waitcnt vmcnt(3)
	v_fma_f32 v52, v73, v103, -v52
	v_add_f32_e32 v49, v49, v50
	v_mul_f32_e32 v119, v75, v90
	v_fmac_f32_e32 v118, v74, v103
	v_add_f32_e32 v48, v48, v117
	s_waitcnt vmcnt(2)
	v_fma_f32 v50, v75, v104, -v51
	v_add_f32_e32 v49, v49, v52
	v_fmac_f32_e32 v119, v76, v104
	v_add_f32_e32 v48, v48, v118
	v_add_f32_e32 v49, v49, v50
	;; [unrolled: 1-line block ×3, first 2 shown]
	s_waitcnt vmcnt(1)
	v_sub_f32_e32 v49, v105, v49
	s_waitcnt vmcnt(0)
	v_sub_f32_e32 v48, v106, v48
	buffer_store_dword v49, off, s[0:3], 0 offset:64
	buffer_store_dword v48, off, s[0:3], 0 offset:68
	v_cmpx_lt_u32_e32 7, v0
	s_cbranch_execz .LBB22_137
; %bb.136:
	s_clause 0x1
	buffer_load_dword v48, off, s[0:3], 0 offset:56
	buffer_load_dword v49, off, s[0:3], 0 offset:60
	v_mov_b32_e32 v50, 0
	buffer_store_dword v50, off, s[0:3], 0 offset:56
	buffer_store_dword v50, off, s[0:3], 0 offset:60
	s_waitcnt vmcnt(0)
	ds_write_b64 v47, v[48:49]
.LBB22_137:
	s_or_b32 exec_lo, exec_lo, s4
	s_waitcnt lgkmcnt(0)
	s_waitcnt_vscnt null, 0x0
	s_barrier
	buffer_gl0_inv
	s_clause 0x1f
	buffer_load_dword v79, off, s[0:3], 0 offset:68
	buffer_load_dword v80, off, s[0:3], 0 offset:76
	;; [unrolled: 1-line block ×32, first 2 shown]
	v_mov_b32_e32 v48, 0
	ds_read_b128 v[49:52], v48 offset:256
	ds_read_b128 v[53:56], v48 offset:272
	;; [unrolled: 1-line block ×7, first 2 shown]
	ds_read_b64 v[77:78], v48 offset:368
	s_mov_b32 s4, exec_lo
	s_waitcnt vmcnt(31) lgkmcnt(7)
	v_mul_f32_e32 v111, v49, v79
	v_mul_f32_e32 v79, v50, v79
	s_waitcnt vmcnt(30)
	v_mul_f32_e32 v112, v51, v80
	v_mul_f32_e32 v80, v52, v80
	s_waitcnt vmcnt(29) lgkmcnt(6)
	v_mul_f32_e32 v113, v53, v81
	s_waitcnt vmcnt(28)
	v_mul_f32_e32 v114, v55, v82
	s_waitcnt vmcnt(27) lgkmcnt(5)
	v_mul_f32_e32 v115, v57, v83
	s_waitcnt vmcnt(26)
	;; [unrolled: 4-line block ×6, first 2 shown]
	v_fma_f32 v49, v49, v94, -v79
	v_fmac_f32_e32 v111, v50, v94
	v_mul_f32_e32 v50, v54, v81
	s_waitcnt vmcnt(15)
	v_fma_f32 v51, v51, v95, -v80
	v_fmac_f32_e32 v112, v52, v95
	v_add_f32_e32 v49, 0, v49
	v_add_f32_e32 v52, 0, v111
	v_mul_f32_e32 v79, v56, v82
	s_waitcnt vmcnt(14)
	v_fma_f32 v50, v53, v96, -v50
	v_fmac_f32_e32 v113, v54, v96
	v_add_f32_e32 v49, v49, v51
	v_add_f32_e32 v51, v52, v112
	;; [unrolled: 6-line block ×11, first 2 shown]
	v_mul_f32_e32 v52, v76, v92
	s_waitcnt vmcnt(4)
	v_fma_f32 v53, v73, v106, -v53
	v_mul_f32_e32 v124, v75, v92
	v_add_f32_e32 v49, v49, v51
	v_fmac_f32_e32 v123, v74, v106
	v_add_f32_e32 v50, v50, v122
	s_waitcnt lgkmcnt(0)
	v_mul_f32_e32 v51, v78, v93
	s_waitcnt vmcnt(3)
	v_fma_f32 v52, v75, v107, -v52
	v_add_f32_e32 v49, v49, v53
	v_mul_f32_e32 v125, v77, v93
	v_fmac_f32_e32 v124, v76, v107
	v_add_f32_e32 v50, v50, v123
	s_waitcnt vmcnt(2)
	v_fma_f32 v51, v77, v108, -v51
	v_add_f32_e32 v49, v49, v52
	v_fmac_f32_e32 v125, v78, v108
	v_add_f32_e32 v50, v50, v124
	v_add_f32_e32 v49, v49, v51
	;; [unrolled: 1-line block ×3, first 2 shown]
	s_waitcnt vmcnt(1)
	v_sub_f32_e32 v49, v109, v49
	s_waitcnt vmcnt(0)
	v_sub_f32_e32 v50, v110, v50
	buffer_store_dword v49, off, s[0:3], 0 offset:56
	buffer_store_dword v50, off, s[0:3], 0 offset:60
	v_cmpx_lt_u32_e32 6, v0
	s_cbranch_execz .LBB22_139
; %bb.138:
	s_clause 0x1
	buffer_load_dword v49, off, s[0:3], 0 offset:48
	buffer_load_dword v50, off, s[0:3], 0 offset:52
	buffer_store_dword v48, off, s[0:3], 0 offset:48
	buffer_store_dword v48, off, s[0:3], 0 offset:52
	s_waitcnt vmcnt(0)
	ds_write_b64 v47, v[49:50]
.LBB22_139:
	s_or_b32 exec_lo, exec_lo, s4
	s_waitcnt lgkmcnt(0)
	s_waitcnt_vscnt null, 0x0
	s_barrier
	buffer_gl0_inv
	s_clause 0x21
	buffer_load_dword v81, off, s[0:3], 0 offset:60
	buffer_load_dword v82, off, s[0:3], 0 offset:68
	;; [unrolled: 1-line block ×34, first 2 shown]
	ds_read2_b64 v[49:52], v48 offset0:31 offset1:32
	ds_read2_b64 v[53:56], v48 offset0:33 offset1:34
	;; [unrolled: 1-line block ×8, first 2 shown]
	s_mov_b32 s4, exec_lo
	s_waitcnt vmcnt(33) lgkmcnt(7)
	v_mul_f32_e32 v48, v49, v81
	v_mul_f32_e32 v81, v50, v81
	s_waitcnt vmcnt(32)
	v_mul_f32_e32 v115, v51, v82
	v_mul_f32_e32 v82, v52, v82
	s_waitcnt vmcnt(31) lgkmcnt(6)
	v_mul_f32_e32 v116, v53, v83
	s_waitcnt vmcnt(30)
	v_mul_f32_e32 v117, v55, v84
	s_waitcnt vmcnt(29) lgkmcnt(5)
	v_mul_f32_e32 v118, v57, v85
	s_waitcnt vmcnt(28)
	;; [unrolled: 4-line block ×6, first 2 shown]
	v_mul_f32_e32 v127, v75, v94
	s_waitcnt vmcnt(17)
	v_fma_f32 v49, v49, v97, -v81
	v_fmac_f32_e32 v48, v50, v97
	v_mul_f32_e32 v50, v54, v83
	s_waitcnt vmcnt(16)
	v_fma_f32 v51, v51, v98, -v82
	v_fmac_f32_e32 v115, v52, v98
	v_add_f32_e32 v49, 0, v49
	v_add_f32_e32 v48, 0, v48
	v_mul_f32_e32 v52, v56, v84
	s_waitcnt vmcnt(15)
	v_fma_f32 v50, v53, v99, -v50
	v_fmac_f32_e32 v116, v54, v99
	v_add_f32_e32 v49, v49, v51
	v_add_f32_e32 v48, v48, v115
	;; [unrolled: 6-line block ×12, first 2 shown]
	s_waitcnt lgkmcnt(0)
	v_mul_f32_e32 v50, v78, v95
	s_waitcnt vmcnt(4)
	v_fma_f32 v51, v75, v110, -v51
	v_mul_f32_e32 v128, v77, v95
	v_add_f32_e32 v49, v49, v52
	v_fmac_f32_e32 v127, v76, v110
	v_add_f32_e32 v48, v48, v126
	v_mul_f32_e32 v52, v80, v96
	s_waitcnt vmcnt(3)
	v_fma_f32 v50, v77, v111, -v50
	v_add_f32_e32 v49, v49, v51
	v_mul_f32_e32 v129, v79, v96
	v_fmac_f32_e32 v128, v78, v111
	v_add_f32_e32 v48, v48, v127
	s_waitcnt vmcnt(2)
	v_fma_f32 v51, v79, v112, -v52
	v_add_f32_e32 v49, v49, v50
	v_fmac_f32_e32 v129, v80, v112
	v_add_f32_e32 v48, v48, v128
	v_add_f32_e32 v49, v49, v51
	;; [unrolled: 1-line block ×3, first 2 shown]
	s_waitcnt vmcnt(1)
	v_sub_f32_e32 v49, v113, v49
	s_waitcnt vmcnt(0)
	v_sub_f32_e32 v48, v114, v48
	buffer_store_dword v49, off, s[0:3], 0 offset:48
	buffer_store_dword v48, off, s[0:3], 0 offset:52
	v_cmpx_lt_u32_e32 5, v0
	s_cbranch_execz .LBB22_141
; %bb.140:
	s_clause 0x1
	buffer_load_dword v48, off, s[0:3], 0 offset:40
	buffer_load_dword v49, off, s[0:3], 0 offset:44
	v_mov_b32_e32 v50, 0
	buffer_store_dword v50, off, s[0:3], 0 offset:40
	buffer_store_dword v50, off, s[0:3], 0 offset:44
	s_waitcnt vmcnt(0)
	ds_write_b64 v47, v[48:49]
.LBB22_141:
	s_or_b32 exec_lo, exec_lo, s4
	s_waitcnt lgkmcnt(0)
	s_waitcnt_vscnt null, 0x0
	s_barrier
	buffer_gl0_inv
	s_clause 0x23
	buffer_load_dword v83, off, s[0:3], 0 offset:52
	buffer_load_dword v84, off, s[0:3], 0 offset:60
	;; [unrolled: 1-line block ×36, first 2 shown]
	v_mov_b32_e32 v48, 0
	ds_read_b128 v[49:52], v48 offset:240
	ds_read_b128 v[53:56], v48 offset:256
	;; [unrolled: 1-line block ×8, first 2 shown]
	ds_read_b64 v[81:82], v48 offset:368
	s_mov_b32 s4, exec_lo
	s_waitcnt vmcnt(35) lgkmcnt(8)
	v_mul_f32_e32 v119, v49, v83
	v_mul_f32_e32 v83, v50, v83
	s_waitcnt vmcnt(34)
	v_mul_f32_e32 v120, v51, v84
	v_mul_f32_e32 v84, v52, v84
	s_waitcnt vmcnt(33) lgkmcnt(7)
	v_mul_f32_e32 v121, v53, v85
	s_waitcnt vmcnt(32)
	v_mul_f32_e32 v122, v55, v86
	s_waitcnt vmcnt(31) lgkmcnt(6)
	v_mul_f32_e32 v123, v57, v87
	s_waitcnt vmcnt(30)
	;; [unrolled: 4-line block ×7, first 2 shown]
	v_fma_f32 v49, v49, v100, -v83
	v_fmac_f32_e32 v119, v50, v100
	v_mul_f32_e32 v50, v54, v85
	s_waitcnt vmcnt(17)
	v_fma_f32 v51, v51, v101, -v84
	v_fmac_f32_e32 v120, v52, v101
	v_add_f32_e32 v49, 0, v49
	v_add_f32_e32 v52, 0, v119
	v_mul_f32_e32 v83, v56, v86
	s_waitcnt vmcnt(16)
	v_fma_f32 v50, v53, v102, -v50
	v_fmac_f32_e32 v121, v54, v102
	v_add_f32_e32 v49, v49, v51
	v_add_f32_e32 v51, v52, v120
	;; [unrolled: 6-line block ×13, first 2 shown]
	v_mul_f32_e32 v53, v80, v98
	s_waitcnt vmcnt(4)
	v_fma_f32 v51, v77, v114, -v51
	v_mul_f32_e32 v134, v79, v98
	v_add_f32_e32 v49, v49, v52
	v_fmac_f32_e32 v133, v78, v114
	v_add_f32_e32 v50, v50, v132
	s_waitcnt lgkmcnt(0)
	v_mul_f32_e32 v52, v82, v99
	s_waitcnt vmcnt(3)
	v_fma_f32 v53, v79, v115, -v53
	v_add_f32_e32 v49, v49, v51
	v_mul_f32_e32 v135, v81, v99
	v_fmac_f32_e32 v134, v80, v115
	v_add_f32_e32 v50, v50, v133
	s_waitcnt vmcnt(2)
	v_fma_f32 v51, v81, v116, -v52
	v_add_f32_e32 v49, v49, v53
	v_fmac_f32_e32 v135, v82, v116
	v_add_f32_e32 v50, v50, v134
	v_add_f32_e32 v49, v49, v51
	;; [unrolled: 1-line block ×3, first 2 shown]
	s_waitcnt vmcnt(1)
	v_sub_f32_e32 v49, v117, v49
	s_waitcnt vmcnt(0)
	v_sub_f32_e32 v50, v118, v50
	buffer_store_dword v49, off, s[0:3], 0 offset:40
	buffer_store_dword v50, off, s[0:3], 0 offset:44
	v_cmpx_lt_u32_e32 4, v0
	s_cbranch_execz .LBB22_143
; %bb.142:
	s_clause 0x1
	buffer_load_dword v49, off, s[0:3], 0 offset:32
	buffer_load_dword v50, off, s[0:3], 0 offset:36
	buffer_store_dword v48, off, s[0:3], 0 offset:32
	buffer_store_dword v48, off, s[0:3], 0 offset:36
	s_waitcnt vmcnt(0)
	ds_write_b64 v47, v[49:50]
.LBB22_143:
	s_or_b32 exec_lo, exec_lo, s4
	s_waitcnt lgkmcnt(0)
	s_waitcnt_vscnt null, 0x0
	s_barrier
	buffer_gl0_inv
	s_clause 0x25
	buffer_load_dword v85, off, s[0:3], 0 offset:44
	buffer_load_dword v86, off, s[0:3], 0 offset:52
	;; [unrolled: 1-line block ×38, first 2 shown]
	ds_read2_b64 v[49:52], v48 offset0:29 offset1:30
	ds_read2_b64 v[53:56], v48 offset0:31 offset1:32
	;; [unrolled: 1-line block ×9, first 2 shown]
	s_mov_b32 s4, exec_lo
	s_waitcnt vmcnt(37) lgkmcnt(8)
	v_mul_f32_e32 v48, v49, v85
	v_mul_f32_e32 v85, v50, v85
	s_waitcnt vmcnt(36)
	v_mul_f32_e32 v123, v51, v86
	v_mul_f32_e32 v86, v52, v86
	s_waitcnt vmcnt(35) lgkmcnt(7)
	v_mul_f32_e32 v124, v53, v87
	s_waitcnt vmcnt(34)
	v_mul_f32_e32 v125, v55, v88
	s_waitcnt vmcnt(33) lgkmcnt(6)
	v_mul_f32_e32 v126, v57, v89
	s_waitcnt vmcnt(32)
	;; [unrolled: 4-line block ×7, first 2 shown]
	v_mul_f32_e32 v137, v79, v100
	s_waitcnt vmcnt(19)
	v_fma_f32 v49, v49, v103, -v85
	v_fmac_f32_e32 v48, v50, v103
	v_mul_f32_e32 v50, v54, v87
	s_waitcnt vmcnt(18)
	v_fma_f32 v51, v51, v104, -v86
	v_fmac_f32_e32 v123, v52, v104
	v_add_f32_e32 v49, 0, v49
	v_add_f32_e32 v48, 0, v48
	v_mul_f32_e32 v52, v56, v88
	s_waitcnt vmcnt(17)
	v_fma_f32 v50, v53, v105, -v50
	v_fmac_f32_e32 v124, v54, v105
	v_add_f32_e32 v49, v49, v51
	v_add_f32_e32 v48, v48, v123
	;; [unrolled: 6-line block ×14, first 2 shown]
	s_waitcnt lgkmcnt(0)
	v_mul_f32_e32 v51, v82, v101
	s_waitcnt vmcnt(4)
	v_fma_f32 v52, v79, v118, -v52
	v_mul_f32_e32 v138, v81, v101
	v_add_f32_e32 v49, v49, v50
	v_fmac_f32_e32 v137, v80, v118
	v_add_f32_e32 v48, v48, v136
	v_mul_f32_e32 v50, v84, v102
	s_waitcnt vmcnt(3)
	v_fma_f32 v51, v81, v119, -v51
	v_add_f32_e32 v49, v49, v52
	v_mul_f32_e32 v139, v83, v102
	v_fmac_f32_e32 v138, v82, v119
	v_add_f32_e32 v48, v48, v137
	s_waitcnt vmcnt(2)
	v_fma_f32 v50, v83, v120, -v50
	v_add_f32_e32 v49, v49, v51
	v_fmac_f32_e32 v139, v84, v120
	v_add_f32_e32 v48, v48, v138
	v_add_f32_e32 v49, v49, v50
	;; [unrolled: 1-line block ×3, first 2 shown]
	s_waitcnt vmcnt(1)
	v_sub_f32_e32 v49, v121, v49
	s_waitcnt vmcnt(0)
	v_sub_f32_e32 v48, v122, v48
	buffer_store_dword v49, off, s[0:3], 0 offset:32
	buffer_store_dword v48, off, s[0:3], 0 offset:36
	v_cmpx_lt_u32_e32 3, v0
	s_cbranch_execz .LBB22_145
; %bb.144:
	s_clause 0x1
	buffer_load_dword v48, off, s[0:3], 0 offset:24
	buffer_load_dword v49, off, s[0:3], 0 offset:28
	v_mov_b32_e32 v50, 0
	buffer_store_dword v50, off, s[0:3], 0 offset:24
	buffer_store_dword v50, off, s[0:3], 0 offset:28
	s_waitcnt vmcnt(0)
	ds_write_b64 v47, v[48:49]
.LBB22_145:
	s_or_b32 exec_lo, exec_lo, s4
	s_waitcnt lgkmcnt(0)
	s_waitcnt_vscnt null, 0x0
	s_barrier
	buffer_gl0_inv
	s_clause 0x27
	buffer_load_dword v87, off, s[0:3], 0 offset:36
	buffer_load_dword v88, off, s[0:3], 0 offset:44
	;; [unrolled: 1-line block ×40, first 2 shown]
	v_mov_b32_e32 v48, 0
	ds_read_b128 v[49:52], v48 offset:224
	ds_read_b128 v[53:56], v48 offset:240
	;; [unrolled: 1-line block ×9, first 2 shown]
	ds_read_b64 v[85:86], v48 offset:368
	s_mov_b32 s4, exec_lo
	s_waitcnt vmcnt(39) lgkmcnt(9)
	v_mul_f32_e32 v127, v49, v87
	v_mul_f32_e32 v87, v50, v87
	s_waitcnt vmcnt(38)
	v_mul_f32_e32 v128, v51, v88
	v_mul_f32_e32 v88, v52, v88
	s_waitcnt vmcnt(37) lgkmcnt(8)
	v_mul_f32_e32 v129, v53, v89
	s_waitcnt vmcnt(36)
	v_mul_f32_e32 v130, v55, v90
	s_waitcnt vmcnt(35) lgkmcnt(7)
	v_mul_f32_e32 v131, v57, v91
	s_waitcnt vmcnt(34)
	;; [unrolled: 4-line block ×8, first 2 shown]
	v_fma_f32 v49, v49, v106, -v87
	v_fmac_f32_e32 v127, v50, v106
	v_mul_f32_e32 v50, v54, v89
	s_waitcnt vmcnt(19)
	v_fma_f32 v51, v51, v107, -v88
	v_fmac_f32_e32 v128, v52, v107
	v_add_f32_e32 v49, 0, v49
	v_add_f32_e32 v52, 0, v127
	v_mul_f32_e32 v87, v56, v90
	s_waitcnt vmcnt(18)
	v_fma_f32 v50, v53, v108, -v50
	v_fmac_f32_e32 v129, v54, v108
	v_add_f32_e32 v49, v49, v51
	v_add_f32_e32 v51, v52, v128
	;; [unrolled: 6-line block ×15, first 2 shown]
	v_mul_f32_e32 v51, v84, v104
	s_waitcnt vmcnt(4)
	v_fma_f32 v52, v81, v122, -v52
	v_mul_f32_e32 v144, v83, v104
	v_add_f32_e32 v49, v49, v53
	v_fmac_f32_e32 v143, v82, v122
	v_add_f32_e32 v50, v50, v142
	s_waitcnt lgkmcnt(0)
	v_mul_f32_e32 v53, v86, v105
	s_waitcnt vmcnt(3)
	v_fma_f32 v51, v83, v123, -v51
	v_add_f32_e32 v49, v49, v52
	v_mul_f32_e32 v145, v85, v105
	v_fmac_f32_e32 v144, v84, v123
	v_add_f32_e32 v50, v50, v143
	s_waitcnt vmcnt(2)
	v_fma_f32 v52, v85, v124, -v53
	v_add_f32_e32 v49, v49, v51
	v_fmac_f32_e32 v145, v86, v124
	v_add_f32_e32 v50, v50, v144
	v_add_f32_e32 v49, v49, v52
	;; [unrolled: 1-line block ×3, first 2 shown]
	s_waitcnt vmcnt(1)
	v_sub_f32_e32 v49, v125, v49
	s_waitcnt vmcnt(0)
	v_sub_f32_e32 v50, v126, v50
	buffer_store_dword v49, off, s[0:3], 0 offset:24
	buffer_store_dword v50, off, s[0:3], 0 offset:28
	v_cmpx_lt_u32_e32 2, v0
	s_cbranch_execz .LBB22_147
; %bb.146:
	s_clause 0x1
	buffer_load_dword v49, off, s[0:3], 0 offset:16
	buffer_load_dword v50, off, s[0:3], 0 offset:20
	buffer_store_dword v48, off, s[0:3], 0 offset:16
	buffer_store_dword v48, off, s[0:3], 0 offset:20
	s_waitcnt vmcnt(0)
	ds_write_b64 v47, v[49:50]
.LBB22_147:
	s_or_b32 exec_lo, exec_lo, s4
	s_waitcnt lgkmcnt(0)
	s_waitcnt_vscnt null, 0x0
	s_barrier
	buffer_gl0_inv
	s_clause 0x29
	buffer_load_dword v89, off, s[0:3], 0 offset:28
	buffer_load_dword v90, off, s[0:3], 0 offset:36
	;; [unrolled: 1-line block ×42, first 2 shown]
	ds_read2_b64 v[49:52], v48 offset0:27 offset1:28
	ds_read2_b64 v[53:56], v48 offset0:29 offset1:30
	;; [unrolled: 1-line block ×10, first 2 shown]
	s_mov_b32 s4, exec_lo
	s_waitcnt vmcnt(41) lgkmcnt(9)
	v_mul_f32_e32 v48, v49, v89
	v_mul_f32_e32 v89, v50, v89
	s_waitcnt vmcnt(40)
	v_mul_f32_e32 v131, v51, v90
	v_mul_f32_e32 v90, v52, v90
	s_waitcnt vmcnt(39) lgkmcnt(8)
	v_mul_f32_e32 v132, v53, v91
	s_waitcnt vmcnt(38)
	v_mul_f32_e32 v133, v55, v92
	s_waitcnt vmcnt(37) lgkmcnt(7)
	v_mul_f32_e32 v134, v57, v93
	s_waitcnt vmcnt(36)
	;; [unrolled: 4-line block ×8, first 2 shown]
	v_mul_f32_e32 v147, v83, v106
	s_waitcnt vmcnt(21)
	v_fma_f32 v49, v49, v109, -v89
	v_fmac_f32_e32 v48, v50, v109
	v_mul_f32_e32 v50, v54, v91
	s_waitcnt vmcnt(20)
	v_fma_f32 v51, v51, v110, -v90
	v_fmac_f32_e32 v131, v52, v110
	v_add_f32_e32 v49, 0, v49
	v_add_f32_e32 v48, 0, v48
	v_mul_f32_e32 v52, v56, v92
	s_waitcnt vmcnt(19)
	v_fma_f32 v50, v53, v111, -v50
	v_fmac_f32_e32 v132, v54, v111
	v_add_f32_e32 v49, v49, v51
	v_add_f32_e32 v48, v48, v131
	;; [unrolled: 6-line block ×16, first 2 shown]
	s_waitcnt lgkmcnt(0)
	v_mul_f32_e32 v52, v86, v107
	s_waitcnt vmcnt(4)
	v_fma_f32 v50, v83, v126, -v50
	v_mul_f32_e32 v148, v85, v107
	v_add_f32_e32 v49, v49, v51
	v_fmac_f32_e32 v147, v84, v126
	v_add_f32_e32 v48, v48, v146
	v_mul_f32_e32 v51, v88, v108
	s_waitcnt vmcnt(3)
	v_fma_f32 v52, v85, v127, -v52
	v_add_f32_e32 v49, v49, v50
	v_mul_f32_e32 v149, v87, v108
	v_fmac_f32_e32 v148, v86, v127
	v_add_f32_e32 v48, v48, v147
	s_waitcnt vmcnt(2)
	v_fma_f32 v50, v87, v128, -v51
	v_add_f32_e32 v49, v49, v52
	v_fmac_f32_e32 v149, v88, v128
	v_add_f32_e32 v48, v48, v148
	v_add_f32_e32 v49, v49, v50
	;; [unrolled: 1-line block ×3, first 2 shown]
	s_waitcnt vmcnt(1)
	v_sub_f32_e32 v49, v129, v49
	s_waitcnt vmcnt(0)
	v_sub_f32_e32 v48, v130, v48
	buffer_store_dword v49, off, s[0:3], 0 offset:16
	buffer_store_dword v48, off, s[0:3], 0 offset:20
	v_cmpx_lt_u32_e32 1, v0
	s_cbranch_execz .LBB22_149
; %bb.148:
	s_clause 0x1
	buffer_load_dword v48, off, s[0:3], 0 offset:8
	buffer_load_dword v49, off, s[0:3], 0 offset:12
	v_mov_b32_e32 v50, 0
	buffer_store_dword v50, off, s[0:3], 0 offset:8
	buffer_store_dword v50, off, s[0:3], 0 offset:12
	s_waitcnt vmcnt(0)
	ds_write_b64 v47, v[48:49]
.LBB22_149:
	s_or_b32 exec_lo, exec_lo, s4
	s_waitcnt lgkmcnt(0)
	s_waitcnt_vscnt null, 0x0
	s_barrier
	buffer_gl0_inv
	s_clause 0x2b
	buffer_load_dword v91, off, s[0:3], 0 offset:20
	buffer_load_dword v92, off, s[0:3], 0 offset:28
	;; [unrolled: 1-line block ×44, first 2 shown]
	v_mov_b32_e32 v48, 0
	ds_read_b128 v[49:52], v48 offset:208
	ds_read_b128 v[53:56], v48 offset:224
	ds_read_b128 v[57:60], v48 offset:240
	ds_read_b128 v[61:64], v48 offset:256
	ds_read_b128 v[65:68], v48 offset:272
	ds_read_b128 v[69:72], v48 offset:288
	ds_read_b128 v[73:76], v48 offset:304
	ds_read_b128 v[77:80], v48 offset:320
	ds_read_b128 v[81:84], v48 offset:336
	ds_read_b128 v[85:88], v48 offset:352
	ds_read_b64 v[89:90], v48 offset:368
	s_mov_b32 s4, exec_lo
	s_waitcnt vmcnt(43) lgkmcnt(10)
	v_mul_f32_e32 v135, v49, v91
	v_mul_f32_e32 v91, v50, v91
	s_waitcnt vmcnt(42)
	v_mul_f32_e32 v136, v51, v92
	v_mul_f32_e32 v92, v52, v92
	s_waitcnt vmcnt(41) lgkmcnt(9)
	v_mul_f32_e32 v137, v53, v93
	s_waitcnt vmcnt(40)
	v_mul_f32_e32 v138, v55, v94
	s_waitcnt vmcnt(39) lgkmcnt(8)
	v_mul_f32_e32 v139, v57, v95
	s_waitcnt vmcnt(38)
	;; [unrolled: 4-line block ×9, first 2 shown]
	v_fma_f32 v49, v49, v112, -v91
	v_fmac_f32_e32 v135, v50, v112
	v_mul_f32_e32 v50, v54, v93
	s_waitcnt vmcnt(21)
	v_fma_f32 v51, v51, v113, -v92
	v_fmac_f32_e32 v136, v52, v113
	v_add_f32_e32 v49, 0, v49
	v_add_f32_e32 v52, 0, v135
	v_mul_f32_e32 v91, v56, v94
	s_waitcnt vmcnt(20)
	v_fma_f32 v50, v53, v114, -v50
	v_fmac_f32_e32 v137, v54, v114
	v_add_f32_e32 v49, v49, v51
	v_add_f32_e32 v51, v52, v136
	;; [unrolled: 6-line block ×17, first 2 shown]
	v_mul_f32_e32 v52, v88, v110
	s_waitcnt vmcnt(4)
	v_fma_f32 v53, v85, v130, -v53
	v_mul_f32_e32 v154, v87, v110
	v_add_f32_e32 v49, v49, v51
	v_fmac_f32_e32 v153, v86, v130
	v_add_f32_e32 v50, v50, v152
	s_waitcnt lgkmcnt(0)
	v_mul_f32_e32 v51, v90, v111
	s_waitcnt vmcnt(3)
	v_fma_f32 v52, v87, v131, -v52
	v_add_f32_e32 v49, v49, v53
	v_mul_f32_e32 v155, v89, v111
	v_fmac_f32_e32 v154, v88, v131
	v_add_f32_e32 v50, v50, v153
	s_waitcnt vmcnt(2)
	v_fma_f32 v51, v89, v132, -v51
	v_add_f32_e32 v49, v49, v52
	v_fmac_f32_e32 v155, v90, v132
	v_add_f32_e32 v50, v50, v154
	v_add_f32_e32 v49, v49, v51
	;; [unrolled: 1-line block ×3, first 2 shown]
	s_waitcnt vmcnt(1)
	v_sub_f32_e32 v49, v133, v49
	s_waitcnt vmcnt(0)
	v_sub_f32_e32 v50, v134, v50
	buffer_store_dword v49, off, s[0:3], 0 offset:8
	buffer_store_dword v50, off, s[0:3], 0 offset:12
	v_cmpx_ne_u32_e32 0, v0
	s_cbranch_execz .LBB22_151
; %bb.150:
	s_clause 0x1
	buffer_load_dword v49, off, s[0:3], 0
	buffer_load_dword v50, off, s[0:3], 0 offset:4
	buffer_store_dword v48, off, s[0:3], 0
	buffer_store_dword v48, off, s[0:3], 0 offset:4
	s_waitcnt vmcnt(0)
	ds_write_b64 v47, v[49:50]
.LBB22_151:
	s_or_b32 exec_lo, exec_lo, s4
	s_waitcnt lgkmcnt(0)
	s_waitcnt_vscnt null, 0x0
	s_barrier
	buffer_gl0_inv
	s_clause 0x2d
	buffer_load_dword v0, off, s[0:3], 0 offset:12
	buffer_load_dword v47, off, s[0:3], 0 offset:20
	;; [unrolled: 1-line block ×44, first 2 shown]
	buffer_load_dword v135, off, s[0:3], 0
	buffer_load_dword v136, off, s[0:3], 0 offset:4
	ds_read2_b64 v[49:52], v48 offset0:25 offset1:26
	ds_read2_b64 v[53:56], v48 offset0:27 offset1:28
	;; [unrolled: 1-line block ×11, first 2 shown]
	s_and_b32 vcc_lo, exec_lo, s22
	s_waitcnt vmcnt(45) lgkmcnt(10)
	v_mul_f32_e32 v48, v49, v0
	v_mul_f32_e32 v0, v50, v0
	s_waitcnt vmcnt(44)
	v_mul_f32_e32 v137, v51, v47
	v_mul_f32_e32 v47, v52, v47
	s_waitcnt vmcnt(43) lgkmcnt(9)
	v_mul_f32_e32 v138, v53, v93
	s_waitcnt vmcnt(42)
	v_mul_f32_e32 v139, v55, v94
	s_waitcnt vmcnt(41) lgkmcnt(8)
	v_mul_f32_e32 v140, v57, v95
	s_waitcnt vmcnt(40)
	;; [unrolled: 4-line block ×9, first 2 shown]
	v_mul_f32_e32 v155, v87, v110
	s_waitcnt vmcnt(23)
	v_fma_f32 v0, v49, v113, -v0
	v_fmac_f32_e32 v48, v50, v113
	v_mul_f32_e32 v49, v54, v93
	s_waitcnt vmcnt(22)
	v_fma_f32 v47, v51, v114, -v47
	v_fmac_f32_e32 v137, v52, v114
	v_add_f32_e32 v0, 0, v0
	v_add_f32_e32 v48, 0, v48
	v_mul_f32_e32 v50, v56, v94
	s_waitcnt vmcnt(21)
	v_fma_f32 v49, v53, v115, -v49
	v_fmac_f32_e32 v138, v54, v115
	v_add_f32_e32 v0, v0, v47
	v_add_f32_e32 v47, v48, v137
	;; [unrolled: 6-line block ×18, first 2 shown]
	s_waitcnt lgkmcnt(0)
	v_mul_f32_e32 v49, v90, v111
	s_waitcnt vmcnt(4)
	v_fma_f32 v48, v87, v132, -v48
	v_mul_f32_e32 v156, v89, v111
	v_add_f32_e32 v0, v0, v50
	v_fmac_f32_e32 v155, v88, v132
	v_add_f32_e32 v47, v47, v154
	v_mul_f32_e32 v50, v92, v112
	s_waitcnt vmcnt(3)
	v_fma_f32 v49, v89, v133, -v49
	v_add_f32_e32 v0, v0, v48
	v_mul_f32_e32 v157, v91, v112
	v_fmac_f32_e32 v156, v90, v133
	v_add_f32_e32 v47, v47, v155
	s_waitcnt vmcnt(2)
	v_fma_f32 v48, v91, v134, -v50
	v_add_f32_e32 v0, v0, v49
	v_fmac_f32_e32 v157, v92, v134
	v_add_f32_e32 v47, v47, v156
	v_add_f32_e32 v0, v0, v48
	;; [unrolled: 1-line block ×3, first 2 shown]
	s_waitcnt vmcnt(1)
	v_sub_f32_e32 v0, v135, v0
	s_waitcnt vmcnt(0)
	v_sub_f32_e32 v47, v136, v47
	buffer_store_dword v0, off, s[0:3], 0
	buffer_store_dword v47, off, s[0:3], 0 offset:4
	s_cbranch_vccz .LBB22_196
; %bb.152:
	v_mov_b32_e32 v0, 0
	global_load_dword v47, v0, s[20:21] offset:84
	s_waitcnt vmcnt(0)
	v_add_nc_u32_e32 v47, -1, v47
	v_cmp_ne_u32_e32 vcc_lo, 21, v47
	s_cbranch_vccz .LBB22_154
; %bb.153:
	v_lshlrev_b32_e32 v47, 3, v47
	s_clause 0x3
	buffer_load_dword v48, v47, s[0:3], 0 offen
	buffer_load_dword v49, v47, s[0:3], 0 offen offset:4
	buffer_load_dword v50, off, s[0:3], 0 offset:168
	buffer_load_dword v51, off, s[0:3], 0 offset:172
	s_waitcnt vmcnt(3)
	buffer_store_dword v48, off, s[0:3], 0 offset:168
	s_waitcnt vmcnt(2)
	buffer_store_dword v49, off, s[0:3], 0 offset:172
	s_waitcnt vmcnt(1)
	buffer_store_dword v50, v47, s[0:3], 0 offen
	s_waitcnt vmcnt(0)
	buffer_store_dword v51, v47, s[0:3], 0 offen offset:4
.LBB22_154:
	global_load_dword v0, v0, s[20:21] offset:80
	s_waitcnt vmcnt(0)
	v_add_nc_u32_e32 v0, -1, v0
	v_cmp_eq_u32_e32 vcc_lo, 20, v0
	s_cbranch_vccnz .LBB22_156
; %bb.155:
	v_lshlrev_b32_e32 v0, 3, v0
	s_clause 0x3
	buffer_load_dword v47, v0, s[0:3], 0 offen
	buffer_load_dword v48, v0, s[0:3], 0 offen offset:4
	buffer_load_dword v49, off, s[0:3], 0 offset:164
	buffer_load_dword v50, off, s[0:3], 0 offset:160
	s_waitcnt vmcnt(3)
	buffer_store_dword v47, off, s[0:3], 0 offset:160
	s_waitcnt vmcnt(2)
	buffer_store_dword v48, off, s[0:3], 0 offset:164
	s_waitcnt vmcnt(1)
	buffer_store_dword v49, v0, s[0:3], 0 offen offset:4
	s_waitcnt vmcnt(0)
	buffer_store_dword v50, v0, s[0:3], 0 offen
.LBB22_156:
	v_mov_b32_e32 v0, 0
	global_load_dword v47, v0, s[20:21] offset:76
	s_waitcnt vmcnt(0)
	v_add_nc_u32_e32 v47, -1, v47
	v_cmp_eq_u32_e32 vcc_lo, 19, v47
	s_cbranch_vccnz .LBB22_158
; %bb.157:
	v_lshlrev_b32_e32 v47, 3, v47
	s_clause 0x3
	buffer_load_dword v48, v47, s[0:3], 0 offen
	buffer_load_dword v49, v47, s[0:3], 0 offen offset:4
	buffer_load_dword v50, off, s[0:3], 0 offset:152
	buffer_load_dword v51, off, s[0:3], 0 offset:156
	s_waitcnt vmcnt(3)
	buffer_store_dword v48, off, s[0:3], 0 offset:152
	s_waitcnt vmcnt(2)
	buffer_store_dword v49, off, s[0:3], 0 offset:156
	s_waitcnt vmcnt(1)
	buffer_store_dword v50, v47, s[0:3], 0 offen
	s_waitcnt vmcnt(0)
	buffer_store_dword v51, v47, s[0:3], 0 offen offset:4
.LBB22_158:
	global_load_dword v0, v0, s[20:21] offset:72
	s_waitcnt vmcnt(0)
	v_add_nc_u32_e32 v0, -1, v0
	v_cmp_eq_u32_e32 vcc_lo, 18, v0
	s_cbranch_vccnz .LBB22_160
; %bb.159:
	v_lshlrev_b32_e32 v0, 3, v0
	s_clause 0x3
	buffer_load_dword v47, v0, s[0:3], 0 offen
	buffer_load_dword v48, v0, s[0:3], 0 offen offset:4
	buffer_load_dword v49, off, s[0:3], 0 offset:148
	buffer_load_dword v50, off, s[0:3], 0 offset:144
	s_waitcnt vmcnt(3)
	buffer_store_dword v47, off, s[0:3], 0 offset:144
	s_waitcnt vmcnt(2)
	buffer_store_dword v48, off, s[0:3], 0 offset:148
	s_waitcnt vmcnt(1)
	buffer_store_dword v49, v0, s[0:3], 0 offen offset:4
	s_waitcnt vmcnt(0)
	buffer_store_dword v50, v0, s[0:3], 0 offen
.LBB22_160:
	v_mov_b32_e32 v0, 0
	global_load_dword v47, v0, s[20:21] offset:68
	s_waitcnt vmcnt(0)
	v_add_nc_u32_e32 v47, -1, v47
	v_cmp_eq_u32_e32 vcc_lo, 17, v47
	s_cbranch_vccnz .LBB22_162
; %bb.161:
	v_lshlrev_b32_e32 v47, 3, v47
	s_clause 0x3
	buffer_load_dword v48, v47, s[0:3], 0 offen
	buffer_load_dword v49, v47, s[0:3], 0 offen offset:4
	buffer_load_dword v50, off, s[0:3], 0 offset:136
	buffer_load_dword v51, off, s[0:3], 0 offset:140
	s_waitcnt vmcnt(3)
	buffer_store_dword v48, off, s[0:3], 0 offset:136
	s_waitcnt vmcnt(2)
	buffer_store_dword v49, off, s[0:3], 0 offset:140
	s_waitcnt vmcnt(1)
	buffer_store_dword v50, v47, s[0:3], 0 offen
	s_waitcnt vmcnt(0)
	buffer_store_dword v51, v47, s[0:3], 0 offen offset:4
.LBB22_162:
	;; [unrolled: 43-line block ×10, first 2 shown]
	global_load_dword v0, v0, s[20:21]
	s_waitcnt vmcnt(0)
	v_add_nc_u32_e32 v0, -1, v0
	v_cmp_eq_u32_e32 vcc_lo, 0, v0
	s_cbranch_vccnz .LBB22_196
; %bb.195:
	v_lshlrev_b32_e32 v0, 3, v0
	s_clause 0x3
	buffer_load_dword v47, v0, s[0:3], 0 offen
	buffer_load_dword v48, v0, s[0:3], 0 offen offset:4
	buffer_load_dword v49, off, s[0:3], 0 offset:4
	buffer_load_dword v50, off, s[0:3], 0
	s_waitcnt vmcnt(3)
	buffer_store_dword v47, off, s[0:3], 0
	s_waitcnt vmcnt(2)
	buffer_store_dword v48, off, s[0:3], 0 offset:4
	s_waitcnt vmcnt(1)
	buffer_store_dword v49, v0, s[0:3], 0 offen offset:4
	s_waitcnt vmcnt(0)
	buffer_store_dword v50, v0, s[0:3], 0 offen
.LBB22_196:
	s_clause 0x2d
	buffer_load_dword v47, off, s[0:3], 0
	buffer_load_dword v48, off, s[0:3], 0 offset:4
	buffer_load_dword v49, off, s[0:3], 0 offset:8
	;; [unrolled: 1-line block ×45, first 2 shown]
	s_waitcnt vmcnt(44)
	global_store_dwordx2 v[1:2], v[47:48], off
	s_waitcnt vmcnt(42)
	global_store_dwordx2 v[3:4], v[49:50], off
	;; [unrolled: 2-line block ×9, first 2 shown]
	global_store_dwordx2 v[19:20], v[65:66], off
	global_store_dwordx2 v[21:22], v[67:68], off
	;; [unrolled: 1-line block ×3, first 2 shown]
	s_waitcnt vmcnt(20)
	global_store_dwordx2 v[25:26], v[71:72], off
	s_waitcnt vmcnt(18)
	global_store_dwordx2 v[27:28], v[73:74], off
	;; [unrolled: 2-line block ×11, first 2 shown]
	s_endpgm
	.section	.rodata,"a",@progbits
	.p2align	6, 0x0
	.amdhsa_kernel _ZN9rocsolver6v33100L18getri_kernel_smallILi23E19rocblas_complex_numIfEPS3_EEvT1_iilPiilS6_bb
		.amdhsa_group_segment_fixed_size 376
		.amdhsa_private_segment_fixed_size 192
		.amdhsa_kernarg_size 60
		.amdhsa_user_sgpr_count 6
		.amdhsa_user_sgpr_private_segment_buffer 1
		.amdhsa_user_sgpr_dispatch_ptr 0
		.amdhsa_user_sgpr_queue_ptr 0
		.amdhsa_user_sgpr_kernarg_segment_ptr 1
		.amdhsa_user_sgpr_dispatch_id 0
		.amdhsa_user_sgpr_flat_scratch_init 0
		.amdhsa_user_sgpr_private_segment_size 0
		.amdhsa_wavefront_size32 1
		.amdhsa_uses_dynamic_stack 0
		.amdhsa_system_sgpr_private_segment_wavefront_offset 1
		.amdhsa_system_sgpr_workgroup_id_x 1
		.amdhsa_system_sgpr_workgroup_id_y 0
		.amdhsa_system_sgpr_workgroup_id_z 0
		.amdhsa_system_sgpr_workgroup_info 0
		.amdhsa_system_vgpr_workitem_id 0
		.amdhsa_next_free_vgpr 158
		.amdhsa_next_free_sgpr 23
		.amdhsa_reserve_vcc 1
		.amdhsa_reserve_flat_scratch 0
		.amdhsa_float_round_mode_32 0
		.amdhsa_float_round_mode_16_64 0
		.amdhsa_float_denorm_mode_32 3
		.amdhsa_float_denorm_mode_16_64 3
		.amdhsa_dx10_clamp 1
		.amdhsa_ieee_mode 1
		.amdhsa_fp16_overflow 0
		.amdhsa_workgroup_processor_mode 1
		.amdhsa_memory_ordered 1
		.amdhsa_forward_progress 1
		.amdhsa_shared_vgpr_count 0
		.amdhsa_exception_fp_ieee_invalid_op 0
		.amdhsa_exception_fp_denorm_src 0
		.amdhsa_exception_fp_ieee_div_zero 0
		.amdhsa_exception_fp_ieee_overflow 0
		.amdhsa_exception_fp_ieee_underflow 0
		.amdhsa_exception_fp_ieee_inexact 0
		.amdhsa_exception_int_div_zero 0
	.end_amdhsa_kernel
	.section	.text._ZN9rocsolver6v33100L18getri_kernel_smallILi23E19rocblas_complex_numIfEPS3_EEvT1_iilPiilS6_bb,"axG",@progbits,_ZN9rocsolver6v33100L18getri_kernel_smallILi23E19rocblas_complex_numIfEPS3_EEvT1_iilPiilS6_bb,comdat
.Lfunc_end22:
	.size	_ZN9rocsolver6v33100L18getri_kernel_smallILi23E19rocblas_complex_numIfEPS3_EEvT1_iilPiilS6_bb, .Lfunc_end22-_ZN9rocsolver6v33100L18getri_kernel_smallILi23E19rocblas_complex_numIfEPS3_EEvT1_iilPiilS6_bb
                                        ; -- End function
	.set _ZN9rocsolver6v33100L18getri_kernel_smallILi23E19rocblas_complex_numIfEPS3_EEvT1_iilPiilS6_bb.num_vgpr, 158
	.set _ZN9rocsolver6v33100L18getri_kernel_smallILi23E19rocblas_complex_numIfEPS3_EEvT1_iilPiilS6_bb.num_agpr, 0
	.set _ZN9rocsolver6v33100L18getri_kernel_smallILi23E19rocblas_complex_numIfEPS3_EEvT1_iilPiilS6_bb.numbered_sgpr, 23
	.set _ZN9rocsolver6v33100L18getri_kernel_smallILi23E19rocblas_complex_numIfEPS3_EEvT1_iilPiilS6_bb.num_named_barrier, 0
	.set _ZN9rocsolver6v33100L18getri_kernel_smallILi23E19rocblas_complex_numIfEPS3_EEvT1_iilPiilS6_bb.private_seg_size, 192
	.set _ZN9rocsolver6v33100L18getri_kernel_smallILi23E19rocblas_complex_numIfEPS3_EEvT1_iilPiilS6_bb.uses_vcc, 1
	.set _ZN9rocsolver6v33100L18getri_kernel_smallILi23E19rocblas_complex_numIfEPS3_EEvT1_iilPiilS6_bb.uses_flat_scratch, 0
	.set _ZN9rocsolver6v33100L18getri_kernel_smallILi23E19rocblas_complex_numIfEPS3_EEvT1_iilPiilS6_bb.has_dyn_sized_stack, 0
	.set _ZN9rocsolver6v33100L18getri_kernel_smallILi23E19rocblas_complex_numIfEPS3_EEvT1_iilPiilS6_bb.has_recursion, 0
	.set _ZN9rocsolver6v33100L18getri_kernel_smallILi23E19rocblas_complex_numIfEPS3_EEvT1_iilPiilS6_bb.has_indirect_call, 0
	.section	.AMDGPU.csdata,"",@progbits
; Kernel info:
; codeLenInByte = 28412
; TotalNumSgprs: 25
; NumVgprs: 158
; ScratchSize: 192
; MemoryBound: 0
; FloatMode: 240
; IeeeMode: 1
; LDSByteSize: 376 bytes/workgroup (compile time only)
; SGPRBlocks: 0
; VGPRBlocks: 19
; NumSGPRsForWavesPerEU: 25
; NumVGPRsForWavesPerEU: 158
; Occupancy: 6
; WaveLimiterHint : 1
; COMPUTE_PGM_RSRC2:SCRATCH_EN: 1
; COMPUTE_PGM_RSRC2:USER_SGPR: 6
; COMPUTE_PGM_RSRC2:TRAP_HANDLER: 0
; COMPUTE_PGM_RSRC2:TGID_X_EN: 1
; COMPUTE_PGM_RSRC2:TGID_Y_EN: 0
; COMPUTE_PGM_RSRC2:TGID_Z_EN: 0
; COMPUTE_PGM_RSRC2:TIDIG_COMP_CNT: 0
	.section	.text._ZN9rocsolver6v33100L18getri_kernel_smallILi24E19rocblas_complex_numIfEPS3_EEvT1_iilPiilS6_bb,"axG",@progbits,_ZN9rocsolver6v33100L18getri_kernel_smallILi24E19rocblas_complex_numIfEPS3_EEvT1_iilPiilS6_bb,comdat
	.globl	_ZN9rocsolver6v33100L18getri_kernel_smallILi24E19rocblas_complex_numIfEPS3_EEvT1_iilPiilS6_bb ; -- Begin function _ZN9rocsolver6v33100L18getri_kernel_smallILi24E19rocblas_complex_numIfEPS3_EEvT1_iilPiilS6_bb
	.p2align	8
	.type	_ZN9rocsolver6v33100L18getri_kernel_smallILi24E19rocblas_complex_numIfEPS3_EEvT1_iilPiilS6_bb,@function
_ZN9rocsolver6v33100L18getri_kernel_smallILi24E19rocblas_complex_numIfEPS3_EEvT1_iilPiilS6_bb: ; @_ZN9rocsolver6v33100L18getri_kernel_smallILi24E19rocblas_complex_numIfEPS3_EEvT1_iilPiilS6_bb
; %bb.0:
	s_add_u32 s0, s0, s7
	s_addc_u32 s1, s1, 0
	s_mov_b32 s7, exec_lo
	v_cmpx_gt_u32_e32 24, v0
	s_cbranch_execz .LBB23_110
; %bb.1:
	s_clause 0x2
	s_load_dword s7, s[4:5], 0x38
	s_load_dwordx4 s[16:19], s[4:5], 0x10
	s_load_dwordx4 s[8:11], s[4:5], 0x28
                                        ; implicit-def: $sgpr20_sgpr21
	s_waitcnt lgkmcnt(0)
	s_bitcmp1_b32 s7, 8
	s_cselect_b32 s22, -1, 0
	s_bfe_u32 s12, s7, 0x10008
	s_ashr_i32 s7, s6, 31
	s_cmp_eq_u32 s12, 0
	s_cbranch_scc1 .LBB23_3
; %bb.2:
	s_load_dword s12, s[4:5], 0x20
	s_mul_i32 s13, s8, s7
	s_mul_hi_u32 s14, s8, s6
	s_mul_i32 s9, s9, s6
	s_add_i32 s13, s14, s13
	s_mul_i32 s8, s8, s6
	s_add_i32 s9, s13, s9
	s_lshl_b64 s[8:9], s[8:9], 2
	s_waitcnt lgkmcnt(0)
	s_ashr_i32 s13, s12, 31
	s_add_u32 s14, s18, s8
	s_addc_u32 s15, s19, s9
	s_lshl_b64 s[8:9], s[12:13], 2
	s_add_u32 s20, s14, s8
	s_addc_u32 s21, s15, s9
.LBB23_3:
	s_clause 0x1
	s_load_dwordx4 s[12:15], s[4:5], 0x0
	s_load_dword s8, s[4:5], 0x38
	s_mul_i32 s4, s16, s7
	s_mul_hi_u32 s5, s16, s6
	s_mul_i32 s9, s17, s6
	s_add_i32 s5, s5, s4
	s_mul_i32 s4, s16, s6
	s_add_i32 s5, s5, s9
	v_lshlrev_b32_e32 v51, 3, v0
	s_lshl_b64 s[4:5], s[4:5], 3
	s_waitcnt lgkmcnt(0)
	v_add3_u32 v3, s15, s15, v0
	s_ashr_i32 s17, s14, 31
	s_mov_b32 s16, s14
	s_add_u32 s9, s12, s4
	s_addc_u32 s13, s13, s5
	v_add_nc_u32_e32 v5, s15, v3
	s_lshl_b64 s[4:5], s[16:17], 3
	v_ashrrev_i32_e32 v4, 31, v3
	s_add_u32 s4, s9, s4
	s_addc_u32 s5, s13, s5
	v_add_nc_u32_e32 v9, s15, v5
	v_ashrrev_i32_e32 v6, 31, v5
	v_add_co_u32 v1, s9, s4, v51
	s_mov_b32 s12, s15
	s_ashr_i32 s13, s15, 31
	v_lshlrev_b64 v[7:8], 3, v[3:4]
	v_add_nc_u32_e32 v13, s15, v9
	v_add_co_ci_u32_e64 v2, null, s5, 0, s9
	s_lshl_b64 s[12:13], s[12:13], 3
	v_lshlrev_b64 v[11:12], 3, v[5:6]
	v_add_co_u32 v3, vcc_lo, v1, s12
	v_ashrrev_i32_e32 v14, 31, v13
	v_add_nc_u32_e32 v15, s15, v13
	v_add_co_ci_u32_e64 v4, null, s13, v2, vcc_lo
	v_add_co_u32 v5, vcc_lo, s4, v7
	v_add_co_ci_u32_e64 v6, null, s5, v8, vcc_lo
	v_add_co_u32 v7, vcc_lo, s4, v11
	v_add_co_ci_u32_e64 v8, null, s5, v12, vcc_lo
	v_lshlrev_b64 v[11:12], 3, v[13:14]
	v_add_nc_u32_e32 v13, s15, v15
	v_ashrrev_i32_e32 v10, 31, v9
	v_ashrrev_i32_e32 v16, 31, v15
	s_clause 0x1
	global_load_dwordx2 v[49:50], v51, s[4:5]
	global_load_dwordx2 v[52:53], v[3:4], off
	v_add_nc_u32_e32 v17, s15, v13
	v_lshlrev_b64 v[9:10], 3, v[9:10]
	v_ashrrev_i32_e32 v14, 31, v13
	v_lshlrev_b64 v[15:16], 3, v[15:16]
	s_bitcmp0_b32 s8, 0
	v_add_nc_u32_e32 v21, s15, v17
	v_ashrrev_i32_e32 v18, 31, v17
	v_add_co_u32 v9, vcc_lo, s4, v9
	v_lshlrev_b64 v[19:20], 3, v[13:14]
	v_add_co_ci_u32_e64 v10, null, s5, v10, vcc_lo
	v_add_co_u32 v11, vcc_lo, s4, v11
	v_ashrrev_i32_e32 v22, 31, v21
	v_add_nc_u32_e32 v23, s15, v21
	v_add_co_ci_u32_e64 v12, null, s5, v12, vcc_lo
	v_add_co_u32 v13, vcc_lo, s4, v15
	v_add_co_ci_u32_e64 v14, null, s5, v16, vcc_lo
	v_add_co_u32 v15, vcc_lo, s4, v19
	v_add_co_ci_u32_e64 v16, null, s5, v20, vcc_lo
	v_lshlrev_b64 v[19:20], 3, v[21:22]
	v_add_nc_u32_e32 v21, s15, v23
	v_ashrrev_i32_e32 v24, 31, v23
	v_lshlrev_b64 v[17:18], 3, v[17:18]
	s_clause 0x5
	global_load_dwordx2 v[54:55], v[5:6], off
	global_load_dwordx2 v[56:57], v[7:8], off
	;; [unrolled: 1-line block ×6, first 2 shown]
	v_add_nc_u32_e32 v25, s15, v21
	v_ashrrev_i32_e32 v22, 31, v21
	v_lshlrev_b64 v[23:24], 3, v[23:24]
	v_add_co_u32 v17, vcc_lo, s4, v17
	v_add_nc_u32_e32 v29, s15, v25
	v_lshlrev_b64 v[27:28], 3, v[21:22]
	v_add_co_ci_u32_e64 v18, null, s5, v18, vcc_lo
	v_add_co_u32 v19, vcc_lo, s4, v19
	v_ashrrev_i32_e32 v30, 31, v29
	v_add_nc_u32_e32 v31, s15, v29
	v_add_co_ci_u32_e64 v20, null, s5, v20, vcc_lo
	v_add_co_u32 v21, vcc_lo, s4, v23
	v_add_co_ci_u32_e64 v22, null, s5, v24, vcc_lo
	v_add_co_u32 v23, vcc_lo, s4, v27
	v_add_co_ci_u32_e64 v24, null, s5, v28, vcc_lo
	v_lshlrev_b64 v[27:28], 3, v[29:30]
	v_add_nc_u32_e32 v29, s15, v31
	v_ashrrev_i32_e32 v26, 31, v25
	v_ashrrev_i32_e32 v32, 31, v31
	s_clause 0x3
	global_load_dwordx2 v[66:67], v[17:18], off
	global_load_dwordx2 v[68:69], v[19:20], off
	;; [unrolled: 1-line block ×4, first 2 shown]
	v_add_nc_u32_e32 v33, s15, v29
	v_lshlrev_b64 v[25:26], 3, v[25:26]
	v_ashrrev_i32_e32 v30, 31, v29
	v_lshlrev_b64 v[31:32], 3, v[31:32]
	v_add_nc_u32_e32 v37, s15, v33
	v_ashrrev_i32_e32 v34, 31, v33
	v_add_co_u32 v25, vcc_lo, s4, v25
	v_lshlrev_b64 v[35:36], 3, v[29:30]
	v_add_co_ci_u32_e64 v26, null, s5, v26, vcc_lo
	v_add_co_u32 v27, vcc_lo, s4, v27
	v_ashrrev_i32_e32 v38, 31, v37
	v_add_nc_u32_e32 v39, s15, v37
	v_add_co_ci_u32_e64 v28, null, s5, v28, vcc_lo
	v_add_co_u32 v29, vcc_lo, s4, v31
	v_add_co_ci_u32_e64 v30, null, s5, v32, vcc_lo
	v_add_co_u32 v31, vcc_lo, s4, v35
	v_add_co_ci_u32_e64 v32, null, s5, v36, vcc_lo
	v_lshlrev_b64 v[35:36], 3, v[37:38]
	v_add_nc_u32_e32 v37, s15, v39
	v_ashrrev_i32_e32 v40, 31, v39
	v_lshlrev_b64 v[33:34], 3, v[33:34]
	global_load_dwordx2 v[74:75], v[25:26], off
	v_add_nc_u32_e32 v41, s15, v37
	v_ashrrev_i32_e32 v38, 31, v37
	v_lshlrev_b64 v[39:40], 3, v[39:40]
	v_add_co_u32 v33, vcc_lo, s4, v33
	v_add_nc_u32_e32 v45, s15, v41
	v_lshlrev_b64 v[43:44], 3, v[37:38]
	v_add_co_ci_u32_e64 v34, null, s5, v34, vcc_lo
	v_add_co_u32 v35, vcc_lo, s4, v35
	v_ashrrev_i32_e32 v46, 31, v45
	v_add_nc_u32_e32 v47, s15, v45
	v_add_co_ci_u32_e64 v36, null, s5, v36, vcc_lo
	v_add_co_u32 v37, vcc_lo, s4, v39
	v_add_co_ci_u32_e64 v38, null, s5, v40, vcc_lo
	v_add_co_u32 v39, vcc_lo, s4, v43
	v_ashrrev_i32_e32 v42, 31, v41
	v_add_co_ci_u32_e64 v40, null, s5, v44, vcc_lo
	v_lshlrev_b64 v[43:44], 3, v[45:46]
	v_add_nc_u32_e32 v45, s15, v47
	v_ashrrev_i32_e32 v48, 31, v47
	v_lshlrev_b64 v[41:42], 3, v[41:42]
	s_clause 0x3
	global_load_dwordx2 v[78:79], v[27:28], off
	global_load_dwordx2 v[80:81], v[29:30], off
	;; [unrolled: 1-line block ×4, first 2 shown]
	v_ashrrev_i32_e32 v46, 31, v45
	v_lshlrev_b64 v[47:48], 3, v[47:48]
	v_add_co_u32 v41, vcc_lo, s4, v41
	v_lshlrev_b64 v[76:77], 3, v[45:46]
	v_add_co_ci_u32_e64 v42, null, s5, v42, vcc_lo
	v_add_co_u32 v43, vcc_lo, s4, v43
	v_add_co_ci_u32_e64 v44, null, s5, v44, vcc_lo
	v_add_co_u32 v45, vcc_lo, s4, v47
	;; [unrolled: 2-line block ×3, first 2 shown]
	v_add_co_ci_u32_e64 v48, null, s5, v77, vcc_lo
	s_clause 0x6
	global_load_dwordx2 v[86:87], v[35:36], off
	global_load_dwordx2 v[88:89], v[37:38], off
	;; [unrolled: 1-line block ×7, first 2 shown]
	s_mov_b32 s5, -1
	s_waitcnt vmcnt(23)
	buffer_store_dword v50, off, s[0:3], 0 offset:4
	buffer_store_dword v49, off, s[0:3], 0
	s_waitcnt vmcnt(22)
	buffer_store_dword v53, off, s[0:3], 0 offset:12
	buffer_store_dword v52, off, s[0:3], 0 offset:8
	s_waitcnt vmcnt(21)
	buffer_store_dword v55, off, s[0:3], 0 offset:20
	buffer_store_dword v54, off, s[0:3], 0 offset:16
	;; [unrolled: 3-line block ×23, first 2 shown]
	s_cbranch_scc1 .LBB23_108
; %bb.4:
	v_cmp_eq_u32_e64 s4, 0, v0
	s_and_saveexec_b32 s5, s4
; %bb.5:
	v_mov_b32_e32 v49, 0
	ds_write_b32 v49, v49 offset:384
; %bb.6:
	s_or_b32 exec_lo, exec_lo, s5
	v_lshl_add_u32 v53, v0, 3, 0
	s_waitcnt lgkmcnt(0)
	s_waitcnt_vscnt null, 0x0
	s_barrier
	buffer_gl0_inv
	s_clause 0x1
	buffer_load_dword v49, v53, s[0:3], 0 offen
	buffer_load_dword v50, v53, s[0:3], 0 offen offset:4
	s_waitcnt vmcnt(1)
	v_cmp_eq_f32_e32 vcc_lo, 0, v49
	s_waitcnt vmcnt(0)
	v_cmp_eq_f32_e64 s5, 0, v50
	s_and_b32 s5, vcc_lo, s5
	s_and_saveexec_b32 s8, s5
	s_cbranch_execz .LBB23_10
; %bb.7:
	v_mov_b32_e32 v49, 0
	s_mov_b32 s9, 0
	ds_read_b32 v50, v49 offset:384
	s_waitcnt lgkmcnt(0)
	v_readfirstlane_b32 s5, v50
	v_add_nc_u32_e32 v50, 1, v0
	s_cmp_eq_u32 s5, 0
	v_cmp_gt_i32_e32 vcc_lo, s5, v50
	s_cselect_b32 s12, -1, 0
	s_or_b32 s12, s12, vcc_lo
	s_and_b32 exec_lo, exec_lo, s12
	s_cbranch_execz .LBB23_10
; %bb.8:
	v_mov_b32_e32 v52, s5
.LBB23_9:                               ; =>This Inner Loop Header: Depth=1
	ds_cmpst_rtn_b32 v52, v49, v52, v50 offset:384
	s_waitcnt lgkmcnt(0)
	v_cmp_ne_u32_e32 vcc_lo, 0, v52
	v_cmp_le_i32_e64 s5, v52, v50
	s_and_b32 s5, vcc_lo, s5
	s_and_b32 s5, exec_lo, s5
	s_or_b32 s9, s5, s9
	s_andn2_b32 exec_lo, exec_lo, s9
	s_cbranch_execnz .LBB23_9
.LBB23_10:
	s_or_b32 exec_lo, exec_lo, s8
	v_mov_b32_e32 v49, 0
	s_barrier
	buffer_gl0_inv
	ds_read_b32 v50, v49 offset:384
	s_and_saveexec_b32 s5, s4
	s_cbranch_execz .LBB23_12
; %bb.11:
	s_lshl_b64 s[8:9], s[6:7], 2
	s_add_u32 s8, s10, s8
	s_addc_u32 s9, s11, s9
	s_waitcnt lgkmcnt(0)
	global_store_dword v49, v50, s[8:9]
.LBB23_12:
	s_or_b32 exec_lo, exec_lo, s5
	s_waitcnt lgkmcnt(0)
	v_cmp_ne_u32_e32 vcc_lo, 0, v50
	s_mov_b32 s5, 0
	s_cbranch_vccnz .LBB23_108
; %bb.13:
	s_clause 0x1
	buffer_load_dword v50, v53, s[0:3], 0 offen
	buffer_load_dword v52, v53, s[0:3], 0 offen offset:4
                                        ; implicit-def: $vgpr55
                                        ; implicit-def: $vgpr54
                                        ; implicit-def: $vgpr49
	s_waitcnt vmcnt(0)
	v_cmp_ngt_f32_e64 s5, |v50|, |v52|
	s_and_saveexec_b32 s8, s5
	s_xor_b32 s5, exec_lo, s8
	s_cbranch_execz .LBB23_15
; %bb.14:
	v_div_scale_f32 v49, null, v52, v52, v50
	v_div_scale_f32 v56, vcc_lo, v50, v52, v50
	v_rcp_f32_e32 v54, v49
	v_fma_f32 v55, -v49, v54, 1.0
	v_fmac_f32_e32 v54, v55, v54
	v_mul_f32_e32 v55, v56, v54
	v_fma_f32 v57, -v49, v55, v56
	v_fmac_f32_e32 v55, v57, v54
	v_fma_f32 v49, -v49, v55, v56
	v_div_fmas_f32 v49, v49, v54, v55
	v_div_fixup_f32 v49, v49, v52, v50
	v_fmac_f32_e32 v52, v50, v49
	v_div_scale_f32 v50, null, v52, v52, 1.0
	v_rcp_f32_e32 v54, v50
	v_fma_f32 v55, -v50, v54, 1.0
	v_fmac_f32_e32 v54, v55, v54
	v_div_scale_f32 v55, vcc_lo, 1.0, v52, 1.0
	v_mul_f32_e32 v56, v55, v54
	v_fma_f32 v57, -v50, v56, v55
	v_fmac_f32_e32 v56, v57, v54
	v_fma_f32 v50, -v50, v56, v55
	v_div_fmas_f32 v50, v50, v54, v56
	v_div_fixup_f32 v50, v50, v52, 1.0
                                        ; implicit-def: $vgpr52
	v_mul_f32_e32 v55, v49, v50
	v_xor_b32_e32 v54, 0x80000000, v50
                                        ; implicit-def: $vgpr50
	v_xor_b32_e32 v49, 0x80000000, v55
.LBB23_15:
	s_andn2_saveexec_b32 s5, s5
	s_cbranch_execz .LBB23_17
; %bb.16:
	v_div_scale_f32 v49, null, v50, v50, v52
	v_div_scale_f32 v56, vcc_lo, v52, v50, v52
	v_rcp_f32_e32 v54, v49
	v_fma_f32 v55, -v49, v54, 1.0
	v_fmac_f32_e32 v54, v55, v54
	v_mul_f32_e32 v55, v56, v54
	v_fma_f32 v57, -v49, v55, v56
	v_fmac_f32_e32 v55, v57, v54
	v_fma_f32 v49, -v49, v55, v56
	v_div_fmas_f32 v49, v49, v54, v55
	v_div_fixup_f32 v54, v49, v50, v52
	v_fmac_f32_e32 v50, v52, v54
	v_div_scale_f32 v49, null, v50, v50, 1.0
	v_div_scale_f32 v56, vcc_lo, 1.0, v50, 1.0
	v_rcp_f32_e32 v52, v49
	v_fma_f32 v55, -v49, v52, 1.0
	v_fmac_f32_e32 v52, v55, v52
	v_mul_f32_e32 v55, v56, v52
	v_fma_f32 v57, -v49, v55, v56
	v_fmac_f32_e32 v55, v57, v52
	v_fma_f32 v49, -v49, v55, v56
	v_div_fmas_f32 v49, v49, v52, v55
	v_div_fixup_f32 v55, v49, v50, 1.0
	v_xor_b32_e32 v49, 0x80000000, v55
	v_mul_f32_e64 v54, v54, -v55
.LBB23_17:
	s_or_b32 exec_lo, exec_lo, s5
	buffer_store_dword v55, v53, s[0:3], 0 offen
	buffer_store_dword v54, v53, s[0:3], 0 offen offset:4
	s_clause 0x1
	buffer_load_dword v56, off, s[0:3], 0 offset:12
	buffer_load_dword v55, off, s[0:3], 0 offset:8
	v_xor_b32_e32 v50, 0x80000000, v54
	v_add_nc_u32_e32 v52, 0xc0, v51
	s_waitcnt vmcnt(0)
	ds_write2_b64 v51, v[49:50], v[55:56] offset1:24
	s_waitcnt lgkmcnt(0)
	s_waitcnt_vscnt null, 0x0
	s_barrier
	buffer_gl0_inv
	s_and_saveexec_b32 s5, s4
	s_cbranch_execz .LBB23_19
; %bb.18:
	s_clause 0x1
	buffer_load_dword v56, v53, s[0:3], 0 offen offset:4
	buffer_load_dword v57, v53, s[0:3], 0 offen
	ds_read_b64 v[49:50], v52
	v_mov_b32_e32 v54, 0
	ds_read_b64 v[54:55], v54 offset:8
	s_waitcnt vmcnt(1) lgkmcnt(1)
	v_mul_f32_e32 v58, v49, v56
	v_mul_f32_e32 v56, v50, v56
	s_waitcnt vmcnt(0)
	v_fmac_f32_e32 v58, v50, v57
	v_fma_f32 v49, v49, v57, -v56
	v_add_f32_e32 v50, 0, v58
	v_add_f32_e32 v49, 0, v49
	s_waitcnt lgkmcnt(0)
	v_mul_f32_e32 v56, v50, v55
	v_mul_f32_e32 v55, v49, v55
	v_fma_f32 v49, v49, v54, -v56
	v_fmac_f32_e32 v55, v50, v54
	buffer_store_dword v49, off, s[0:3], 0 offset:8
	buffer_store_dword v55, off, s[0:3], 0 offset:12
.LBB23_19:
	s_or_b32 exec_lo, exec_lo, s5
	s_waitcnt_vscnt null, 0x0
	s_barrier
	buffer_gl0_inv
	s_clause 0x1
	buffer_load_dword v49, off, s[0:3], 0 offset:16
	buffer_load_dword v50, off, s[0:3], 0 offset:20
	s_mov_b32 s5, exec_lo
	s_waitcnt vmcnt(0)
	ds_write_b64 v52, v[49:50]
	s_waitcnt lgkmcnt(0)
	s_barrier
	buffer_gl0_inv
	v_cmpx_gt_u32_e32 2, v0
	s_cbranch_execz .LBB23_23
; %bb.20:
	s_clause 0x1
	buffer_load_dword v54, v53, s[0:3], 0 offen offset:4
	buffer_load_dword v53, v53, s[0:3], 0 offen
	ds_read_b64 v[49:50], v52
	s_waitcnt vmcnt(1) lgkmcnt(0)
	v_mul_f32_e32 v55, v50, v54
	v_mul_f32_e32 v54, v49, v54
	s_waitcnt vmcnt(0)
	v_fma_f32 v49, v49, v53, -v55
	v_fmac_f32_e32 v54, v50, v53
	v_add_f32_e32 v50, 0, v49
	v_add_f32_e32 v49, 0, v54
	s_and_saveexec_b32 s8, s4
	s_cbranch_execz .LBB23_22
; %bb.21:
	s_clause 0x1
	buffer_load_dword v55, off, s[0:3], 0 offset:12
	buffer_load_dword v56, off, s[0:3], 0 offset:8
	v_mov_b32_e32 v53, 0
	ds_read_b64 v[53:54], v53 offset:200
	s_waitcnt vmcnt(1) lgkmcnt(0)
	v_mul_f32_e32 v57, v53, v55
	v_mul_f32_e32 v55, v54, v55
	s_waitcnt vmcnt(0)
	v_fmac_f32_e32 v57, v54, v56
	v_fma_f32 v53, v53, v56, -v55
	v_add_f32_e32 v49, v49, v57
	v_add_f32_e32 v50, v50, v53
.LBB23_22:
	s_or_b32 exec_lo, exec_lo, s8
	v_mov_b32_e32 v53, 0
	ds_read_b64 v[53:54], v53 offset:16
	s_waitcnt lgkmcnt(0)
	v_mul_f32_e32 v55, v49, v54
	v_mul_f32_e32 v54, v50, v54
	v_fma_f32 v50, v50, v53, -v55
	v_fmac_f32_e32 v54, v49, v53
	buffer_store_dword v50, off, s[0:3], 0 offset:16
	buffer_store_dword v54, off, s[0:3], 0 offset:20
.LBB23_23:
	s_or_b32 exec_lo, exec_lo, s5
	s_waitcnt_vscnt null, 0x0
	s_barrier
	buffer_gl0_inv
	s_clause 0x1
	buffer_load_dword v53, off, s[0:3], 0 offset:24
	buffer_load_dword v54, off, s[0:3], 0 offset:28
	v_add_nc_u32_e32 v49, -1, v0
	s_mov_b32 s4, exec_lo
	s_waitcnt vmcnt(0)
	ds_write_b64 v52, v[53:54]
	s_waitcnt lgkmcnt(0)
	s_barrier
	buffer_gl0_inv
	v_cmpx_gt_u32_e32 3, v0
	s_cbranch_execz .LBB23_27
; %bb.24:
	v_add_nc_u32_e32 v53, -1, v0
	v_add_nc_u32_e32 v54, 0xc0, v51
	v_mov_b32_e32 v55, v51
	v_mov_b32_e32 v50, 0
	;; [unrolled: 1-line block ×3, first 2 shown]
	s_mov_b32 s5, 0
	.p2align	6
.LBB23_25:                              ; =>This Inner Loop Header: Depth=1
	s_clause 0x1
	buffer_load_dword v59, v55, s[0:3], 0 offen offset:4
	buffer_load_dword v60, v55, s[0:3], 0 offen
	ds_read_b64 v[57:58], v54
	v_add_nc_u32_e32 v53, 1, v53
	v_add_nc_u32_e32 v54, 8, v54
	;; [unrolled: 1-line block ×3, first 2 shown]
	v_cmp_lt_u32_e32 vcc_lo, 1, v53
	s_or_b32 s5, vcc_lo, s5
	s_waitcnt vmcnt(1) lgkmcnt(0)
	v_mul_f32_e32 v61, v58, v59
	v_mul_f32_e32 v59, v57, v59
	s_waitcnt vmcnt(0)
	v_fma_f32 v57, v57, v60, -v61
	v_fmac_f32_e32 v59, v58, v60
	v_add_f32_e32 v56, v56, v57
	v_add_f32_e32 v50, v50, v59
	s_andn2_b32 exec_lo, exec_lo, s5
	s_cbranch_execnz .LBB23_25
; %bb.26:
	s_or_b32 exec_lo, exec_lo, s5
	v_mov_b32_e32 v53, 0
	ds_read_b64 v[53:54], v53 offset:24
	s_waitcnt lgkmcnt(0)
	v_mul_f32_e32 v55, v50, v54
	v_mul_f32_e32 v54, v56, v54
	v_fma_f32 v55, v56, v53, -v55
	v_fmac_f32_e32 v54, v50, v53
	buffer_store_dword v55, off, s[0:3], 0 offset:24
	buffer_store_dword v54, off, s[0:3], 0 offset:28
.LBB23_27:
	s_or_b32 exec_lo, exec_lo, s4
	s_waitcnt_vscnt null, 0x0
	s_barrier
	buffer_gl0_inv
	s_clause 0x1
	buffer_load_dword v53, off, s[0:3], 0 offset:32
	buffer_load_dword v54, off, s[0:3], 0 offset:36
	s_mov_b32 s4, exec_lo
	s_waitcnt vmcnt(0)
	ds_write_b64 v52, v[53:54]
	s_waitcnt lgkmcnt(0)
	s_barrier
	buffer_gl0_inv
	v_cmpx_gt_u32_e32 4, v0
	s_cbranch_execz .LBB23_31
; %bb.28:
	v_add_nc_u32_e32 v53, -1, v0
	v_add_nc_u32_e32 v54, 0xc0, v51
	v_mov_b32_e32 v55, v51
	v_mov_b32_e32 v50, 0
	;; [unrolled: 1-line block ×3, first 2 shown]
	s_mov_b32 s5, 0
	.p2align	6
.LBB23_29:                              ; =>This Inner Loop Header: Depth=1
	s_clause 0x1
	buffer_load_dword v59, v55, s[0:3], 0 offen offset:4
	buffer_load_dword v60, v55, s[0:3], 0 offen
	ds_read_b64 v[57:58], v54
	v_add_nc_u32_e32 v53, 1, v53
	v_add_nc_u32_e32 v54, 8, v54
	;; [unrolled: 1-line block ×3, first 2 shown]
	v_cmp_lt_u32_e32 vcc_lo, 2, v53
	s_or_b32 s5, vcc_lo, s5
	s_waitcnt vmcnt(1) lgkmcnt(0)
	v_mul_f32_e32 v61, v58, v59
	v_mul_f32_e32 v59, v57, v59
	s_waitcnt vmcnt(0)
	v_fma_f32 v57, v57, v60, -v61
	v_fmac_f32_e32 v59, v58, v60
	v_add_f32_e32 v56, v56, v57
	v_add_f32_e32 v50, v50, v59
	s_andn2_b32 exec_lo, exec_lo, s5
	s_cbranch_execnz .LBB23_29
; %bb.30:
	s_or_b32 exec_lo, exec_lo, s5
	v_mov_b32_e32 v53, 0
	ds_read_b64 v[53:54], v53 offset:32
	s_waitcnt lgkmcnt(0)
	v_mul_f32_e32 v55, v50, v54
	v_mul_f32_e32 v54, v56, v54
	v_fma_f32 v55, v56, v53, -v55
	v_fmac_f32_e32 v54, v50, v53
	buffer_store_dword v55, off, s[0:3], 0 offset:32
	buffer_store_dword v54, off, s[0:3], 0 offset:36
.LBB23_31:
	s_or_b32 exec_lo, exec_lo, s4
	s_waitcnt_vscnt null, 0x0
	s_barrier
	buffer_gl0_inv
	s_clause 0x1
	buffer_load_dword v53, off, s[0:3], 0 offset:40
	buffer_load_dword v54, off, s[0:3], 0 offset:44
	s_mov_b32 s4, exec_lo
	s_waitcnt vmcnt(0)
	ds_write_b64 v52, v[53:54]
	s_waitcnt lgkmcnt(0)
	s_barrier
	buffer_gl0_inv
	v_cmpx_gt_u32_e32 5, v0
	s_cbranch_execz .LBB23_35
; %bb.32:
	v_add_nc_u32_e32 v53, -1, v0
	v_add_nc_u32_e32 v54, 0xc0, v51
	v_mov_b32_e32 v55, v51
	v_mov_b32_e32 v50, 0
	;; [unrolled: 1-line block ×3, first 2 shown]
	s_mov_b32 s5, 0
	.p2align	6
.LBB23_33:                              ; =>This Inner Loop Header: Depth=1
	s_clause 0x1
	buffer_load_dword v59, v55, s[0:3], 0 offen offset:4
	buffer_load_dword v60, v55, s[0:3], 0 offen
	ds_read_b64 v[57:58], v54
	v_add_nc_u32_e32 v53, 1, v53
	v_add_nc_u32_e32 v54, 8, v54
	;; [unrolled: 1-line block ×3, first 2 shown]
	v_cmp_lt_u32_e32 vcc_lo, 3, v53
	s_or_b32 s5, vcc_lo, s5
	s_waitcnt vmcnt(1) lgkmcnt(0)
	v_mul_f32_e32 v61, v58, v59
	v_mul_f32_e32 v59, v57, v59
	s_waitcnt vmcnt(0)
	v_fma_f32 v57, v57, v60, -v61
	v_fmac_f32_e32 v59, v58, v60
	v_add_f32_e32 v56, v56, v57
	v_add_f32_e32 v50, v50, v59
	s_andn2_b32 exec_lo, exec_lo, s5
	s_cbranch_execnz .LBB23_33
; %bb.34:
	s_or_b32 exec_lo, exec_lo, s5
	v_mov_b32_e32 v53, 0
	ds_read_b64 v[53:54], v53 offset:40
	s_waitcnt lgkmcnt(0)
	v_mul_f32_e32 v55, v50, v54
	v_mul_f32_e32 v54, v56, v54
	v_fma_f32 v55, v56, v53, -v55
	v_fmac_f32_e32 v54, v50, v53
	buffer_store_dword v55, off, s[0:3], 0 offset:40
	buffer_store_dword v54, off, s[0:3], 0 offset:44
.LBB23_35:
	s_or_b32 exec_lo, exec_lo, s4
	s_waitcnt_vscnt null, 0x0
	s_barrier
	buffer_gl0_inv
	s_clause 0x1
	buffer_load_dword v53, off, s[0:3], 0 offset:48
	buffer_load_dword v54, off, s[0:3], 0 offset:52
	s_mov_b32 s4, exec_lo
	s_waitcnt vmcnt(0)
	ds_write_b64 v52, v[53:54]
	s_waitcnt lgkmcnt(0)
	s_barrier
	buffer_gl0_inv
	v_cmpx_gt_u32_e32 6, v0
	s_cbranch_execz .LBB23_39
; %bb.36:
	v_add_nc_u32_e32 v53, -1, v0
	v_add_nc_u32_e32 v54, 0xc0, v51
	v_mov_b32_e32 v55, v51
	v_mov_b32_e32 v50, 0
	;; [unrolled: 1-line block ×3, first 2 shown]
	s_mov_b32 s5, 0
	.p2align	6
.LBB23_37:                              ; =>This Inner Loop Header: Depth=1
	s_clause 0x1
	buffer_load_dword v59, v55, s[0:3], 0 offen offset:4
	buffer_load_dword v60, v55, s[0:3], 0 offen
	ds_read_b64 v[57:58], v54
	v_add_nc_u32_e32 v53, 1, v53
	v_add_nc_u32_e32 v54, 8, v54
	;; [unrolled: 1-line block ×3, first 2 shown]
	v_cmp_lt_u32_e32 vcc_lo, 4, v53
	s_or_b32 s5, vcc_lo, s5
	s_waitcnt vmcnt(1) lgkmcnt(0)
	v_mul_f32_e32 v61, v58, v59
	v_mul_f32_e32 v59, v57, v59
	s_waitcnt vmcnt(0)
	v_fma_f32 v57, v57, v60, -v61
	v_fmac_f32_e32 v59, v58, v60
	v_add_f32_e32 v56, v56, v57
	v_add_f32_e32 v50, v50, v59
	s_andn2_b32 exec_lo, exec_lo, s5
	s_cbranch_execnz .LBB23_37
; %bb.38:
	s_or_b32 exec_lo, exec_lo, s5
	v_mov_b32_e32 v53, 0
	ds_read_b64 v[53:54], v53 offset:48
	s_waitcnt lgkmcnt(0)
	v_mul_f32_e32 v55, v50, v54
	v_mul_f32_e32 v54, v56, v54
	v_fma_f32 v55, v56, v53, -v55
	v_fmac_f32_e32 v54, v50, v53
	buffer_store_dword v55, off, s[0:3], 0 offset:48
	buffer_store_dword v54, off, s[0:3], 0 offset:52
.LBB23_39:
	s_or_b32 exec_lo, exec_lo, s4
	s_waitcnt_vscnt null, 0x0
	s_barrier
	buffer_gl0_inv
	s_clause 0x1
	buffer_load_dword v53, off, s[0:3], 0 offset:56
	buffer_load_dword v54, off, s[0:3], 0 offset:60
	s_mov_b32 s4, exec_lo
	s_waitcnt vmcnt(0)
	ds_write_b64 v52, v[53:54]
	s_waitcnt lgkmcnt(0)
	s_barrier
	buffer_gl0_inv
	v_cmpx_gt_u32_e32 7, v0
	s_cbranch_execz .LBB23_43
; %bb.40:
	v_add_nc_u32_e32 v53, -1, v0
	v_add_nc_u32_e32 v54, 0xc0, v51
	v_mov_b32_e32 v55, v51
	v_mov_b32_e32 v50, 0
	;; [unrolled: 1-line block ×3, first 2 shown]
	s_mov_b32 s5, 0
	.p2align	6
.LBB23_41:                              ; =>This Inner Loop Header: Depth=1
	s_clause 0x1
	buffer_load_dword v59, v55, s[0:3], 0 offen offset:4
	buffer_load_dword v60, v55, s[0:3], 0 offen
	ds_read_b64 v[57:58], v54
	v_add_nc_u32_e32 v53, 1, v53
	v_add_nc_u32_e32 v54, 8, v54
	;; [unrolled: 1-line block ×3, first 2 shown]
	v_cmp_lt_u32_e32 vcc_lo, 5, v53
	s_or_b32 s5, vcc_lo, s5
	s_waitcnt vmcnt(1) lgkmcnt(0)
	v_mul_f32_e32 v61, v58, v59
	v_mul_f32_e32 v59, v57, v59
	s_waitcnt vmcnt(0)
	v_fma_f32 v57, v57, v60, -v61
	v_fmac_f32_e32 v59, v58, v60
	v_add_f32_e32 v56, v56, v57
	v_add_f32_e32 v50, v50, v59
	s_andn2_b32 exec_lo, exec_lo, s5
	s_cbranch_execnz .LBB23_41
; %bb.42:
	s_or_b32 exec_lo, exec_lo, s5
	v_mov_b32_e32 v53, 0
	ds_read_b64 v[53:54], v53 offset:56
	s_waitcnt lgkmcnt(0)
	v_mul_f32_e32 v55, v50, v54
	v_mul_f32_e32 v54, v56, v54
	v_fma_f32 v55, v56, v53, -v55
	v_fmac_f32_e32 v54, v50, v53
	buffer_store_dword v55, off, s[0:3], 0 offset:56
	buffer_store_dword v54, off, s[0:3], 0 offset:60
.LBB23_43:
	s_or_b32 exec_lo, exec_lo, s4
	s_waitcnt_vscnt null, 0x0
	s_barrier
	buffer_gl0_inv
	s_clause 0x1
	buffer_load_dword v53, off, s[0:3], 0 offset:64
	buffer_load_dword v54, off, s[0:3], 0 offset:68
	s_mov_b32 s4, exec_lo
	s_waitcnt vmcnt(0)
	ds_write_b64 v52, v[53:54]
	s_waitcnt lgkmcnt(0)
	s_barrier
	buffer_gl0_inv
	v_cmpx_gt_u32_e32 8, v0
	s_cbranch_execz .LBB23_47
; %bb.44:
	v_add_nc_u32_e32 v53, -1, v0
	v_add_nc_u32_e32 v54, 0xc0, v51
	v_mov_b32_e32 v55, v51
	v_mov_b32_e32 v50, 0
	v_mov_b32_e32 v56, 0
	s_mov_b32 s5, 0
	.p2align	6
.LBB23_45:                              ; =>This Inner Loop Header: Depth=1
	s_clause 0x1
	buffer_load_dword v59, v55, s[0:3], 0 offen offset:4
	buffer_load_dword v60, v55, s[0:3], 0 offen
	ds_read_b64 v[57:58], v54
	v_add_nc_u32_e32 v53, 1, v53
	v_add_nc_u32_e32 v54, 8, v54
	;; [unrolled: 1-line block ×3, first 2 shown]
	v_cmp_lt_u32_e32 vcc_lo, 6, v53
	s_or_b32 s5, vcc_lo, s5
	s_waitcnt vmcnt(1) lgkmcnt(0)
	v_mul_f32_e32 v61, v58, v59
	v_mul_f32_e32 v59, v57, v59
	s_waitcnt vmcnt(0)
	v_fma_f32 v57, v57, v60, -v61
	v_fmac_f32_e32 v59, v58, v60
	v_add_f32_e32 v56, v56, v57
	v_add_f32_e32 v50, v50, v59
	s_andn2_b32 exec_lo, exec_lo, s5
	s_cbranch_execnz .LBB23_45
; %bb.46:
	s_or_b32 exec_lo, exec_lo, s5
	v_mov_b32_e32 v53, 0
	ds_read_b64 v[53:54], v53 offset:64
	s_waitcnt lgkmcnt(0)
	v_mul_f32_e32 v55, v50, v54
	v_mul_f32_e32 v54, v56, v54
	v_fma_f32 v55, v56, v53, -v55
	v_fmac_f32_e32 v54, v50, v53
	buffer_store_dword v55, off, s[0:3], 0 offset:64
	buffer_store_dword v54, off, s[0:3], 0 offset:68
.LBB23_47:
	s_or_b32 exec_lo, exec_lo, s4
	s_waitcnt_vscnt null, 0x0
	s_barrier
	buffer_gl0_inv
	s_clause 0x1
	buffer_load_dword v53, off, s[0:3], 0 offset:72
	buffer_load_dword v54, off, s[0:3], 0 offset:76
	s_mov_b32 s4, exec_lo
	s_waitcnt vmcnt(0)
	ds_write_b64 v52, v[53:54]
	s_waitcnt lgkmcnt(0)
	s_barrier
	buffer_gl0_inv
	v_cmpx_gt_u32_e32 9, v0
	s_cbranch_execz .LBB23_51
; %bb.48:
	v_add_nc_u32_e32 v53, -1, v0
	v_add_nc_u32_e32 v54, 0xc0, v51
	v_mov_b32_e32 v55, v51
	v_mov_b32_e32 v50, 0
	;; [unrolled: 1-line block ×3, first 2 shown]
	s_mov_b32 s5, 0
	.p2align	6
.LBB23_49:                              ; =>This Inner Loop Header: Depth=1
	s_clause 0x1
	buffer_load_dword v59, v55, s[0:3], 0 offen offset:4
	buffer_load_dword v60, v55, s[0:3], 0 offen
	ds_read_b64 v[57:58], v54
	v_add_nc_u32_e32 v53, 1, v53
	v_add_nc_u32_e32 v54, 8, v54
	;; [unrolled: 1-line block ×3, first 2 shown]
	v_cmp_lt_u32_e32 vcc_lo, 7, v53
	s_or_b32 s5, vcc_lo, s5
	s_waitcnt vmcnt(1) lgkmcnt(0)
	v_mul_f32_e32 v61, v58, v59
	v_mul_f32_e32 v59, v57, v59
	s_waitcnt vmcnt(0)
	v_fma_f32 v57, v57, v60, -v61
	v_fmac_f32_e32 v59, v58, v60
	v_add_f32_e32 v56, v56, v57
	v_add_f32_e32 v50, v50, v59
	s_andn2_b32 exec_lo, exec_lo, s5
	s_cbranch_execnz .LBB23_49
; %bb.50:
	s_or_b32 exec_lo, exec_lo, s5
	v_mov_b32_e32 v53, 0
	ds_read_b64 v[53:54], v53 offset:72
	s_waitcnt lgkmcnt(0)
	v_mul_f32_e32 v55, v50, v54
	v_mul_f32_e32 v54, v56, v54
	v_fma_f32 v55, v56, v53, -v55
	v_fmac_f32_e32 v54, v50, v53
	buffer_store_dword v55, off, s[0:3], 0 offset:72
	buffer_store_dword v54, off, s[0:3], 0 offset:76
.LBB23_51:
	s_or_b32 exec_lo, exec_lo, s4
	s_waitcnt_vscnt null, 0x0
	s_barrier
	buffer_gl0_inv
	s_clause 0x1
	buffer_load_dword v53, off, s[0:3], 0 offset:80
	buffer_load_dword v54, off, s[0:3], 0 offset:84
	s_mov_b32 s4, exec_lo
	s_waitcnt vmcnt(0)
	ds_write_b64 v52, v[53:54]
	s_waitcnt lgkmcnt(0)
	s_barrier
	buffer_gl0_inv
	v_cmpx_gt_u32_e32 10, v0
	s_cbranch_execz .LBB23_55
; %bb.52:
	v_add_nc_u32_e32 v53, -1, v0
	v_add_nc_u32_e32 v54, 0xc0, v51
	v_mov_b32_e32 v55, v51
	v_mov_b32_e32 v50, 0
	;; [unrolled: 1-line block ×3, first 2 shown]
	s_mov_b32 s5, 0
	.p2align	6
.LBB23_53:                              ; =>This Inner Loop Header: Depth=1
	s_clause 0x1
	buffer_load_dword v59, v55, s[0:3], 0 offen offset:4
	buffer_load_dword v60, v55, s[0:3], 0 offen
	ds_read_b64 v[57:58], v54
	v_add_nc_u32_e32 v53, 1, v53
	v_add_nc_u32_e32 v54, 8, v54
	;; [unrolled: 1-line block ×3, first 2 shown]
	v_cmp_lt_u32_e32 vcc_lo, 8, v53
	s_or_b32 s5, vcc_lo, s5
	s_waitcnt vmcnt(1) lgkmcnt(0)
	v_mul_f32_e32 v61, v58, v59
	v_mul_f32_e32 v59, v57, v59
	s_waitcnt vmcnt(0)
	v_fma_f32 v57, v57, v60, -v61
	v_fmac_f32_e32 v59, v58, v60
	v_add_f32_e32 v56, v56, v57
	v_add_f32_e32 v50, v50, v59
	s_andn2_b32 exec_lo, exec_lo, s5
	s_cbranch_execnz .LBB23_53
; %bb.54:
	s_or_b32 exec_lo, exec_lo, s5
	v_mov_b32_e32 v53, 0
	ds_read_b64 v[53:54], v53 offset:80
	s_waitcnt lgkmcnt(0)
	v_mul_f32_e32 v55, v50, v54
	v_mul_f32_e32 v54, v56, v54
	v_fma_f32 v55, v56, v53, -v55
	v_fmac_f32_e32 v54, v50, v53
	buffer_store_dword v55, off, s[0:3], 0 offset:80
	buffer_store_dword v54, off, s[0:3], 0 offset:84
.LBB23_55:
	s_or_b32 exec_lo, exec_lo, s4
	s_waitcnt_vscnt null, 0x0
	s_barrier
	buffer_gl0_inv
	s_clause 0x1
	buffer_load_dword v53, off, s[0:3], 0 offset:88
	buffer_load_dword v54, off, s[0:3], 0 offset:92
	s_mov_b32 s4, exec_lo
	s_waitcnt vmcnt(0)
	ds_write_b64 v52, v[53:54]
	s_waitcnt lgkmcnt(0)
	s_barrier
	buffer_gl0_inv
	v_cmpx_gt_u32_e32 11, v0
	s_cbranch_execz .LBB23_59
; %bb.56:
	v_add_nc_u32_e32 v53, -1, v0
	v_add_nc_u32_e32 v54, 0xc0, v51
	v_mov_b32_e32 v55, v51
	v_mov_b32_e32 v50, 0
	;; [unrolled: 1-line block ×3, first 2 shown]
	s_mov_b32 s5, 0
	.p2align	6
.LBB23_57:                              ; =>This Inner Loop Header: Depth=1
	s_clause 0x1
	buffer_load_dword v59, v55, s[0:3], 0 offen offset:4
	buffer_load_dword v60, v55, s[0:3], 0 offen
	ds_read_b64 v[57:58], v54
	v_add_nc_u32_e32 v53, 1, v53
	v_add_nc_u32_e32 v54, 8, v54
	;; [unrolled: 1-line block ×3, first 2 shown]
	v_cmp_lt_u32_e32 vcc_lo, 9, v53
	s_or_b32 s5, vcc_lo, s5
	s_waitcnt vmcnt(1) lgkmcnt(0)
	v_mul_f32_e32 v61, v58, v59
	v_mul_f32_e32 v59, v57, v59
	s_waitcnt vmcnt(0)
	v_fma_f32 v57, v57, v60, -v61
	v_fmac_f32_e32 v59, v58, v60
	v_add_f32_e32 v56, v56, v57
	v_add_f32_e32 v50, v50, v59
	s_andn2_b32 exec_lo, exec_lo, s5
	s_cbranch_execnz .LBB23_57
; %bb.58:
	s_or_b32 exec_lo, exec_lo, s5
	v_mov_b32_e32 v53, 0
	ds_read_b64 v[53:54], v53 offset:88
	s_waitcnt lgkmcnt(0)
	v_mul_f32_e32 v55, v50, v54
	v_mul_f32_e32 v54, v56, v54
	v_fma_f32 v55, v56, v53, -v55
	v_fmac_f32_e32 v54, v50, v53
	buffer_store_dword v55, off, s[0:3], 0 offset:88
	buffer_store_dword v54, off, s[0:3], 0 offset:92
.LBB23_59:
	s_or_b32 exec_lo, exec_lo, s4
	s_waitcnt_vscnt null, 0x0
	s_barrier
	buffer_gl0_inv
	s_clause 0x1
	buffer_load_dword v53, off, s[0:3], 0 offset:96
	buffer_load_dword v54, off, s[0:3], 0 offset:100
	s_mov_b32 s4, exec_lo
	s_waitcnt vmcnt(0)
	ds_write_b64 v52, v[53:54]
	s_waitcnt lgkmcnt(0)
	s_barrier
	buffer_gl0_inv
	v_cmpx_gt_u32_e32 12, v0
	s_cbranch_execz .LBB23_63
; %bb.60:
	v_add_nc_u32_e32 v53, -1, v0
	v_add_nc_u32_e32 v54, 0xc0, v51
	v_mov_b32_e32 v55, v51
	v_mov_b32_e32 v50, 0
	;; [unrolled: 1-line block ×3, first 2 shown]
	s_mov_b32 s5, 0
	.p2align	6
.LBB23_61:                              ; =>This Inner Loop Header: Depth=1
	s_clause 0x1
	buffer_load_dword v59, v55, s[0:3], 0 offen offset:4
	buffer_load_dword v60, v55, s[0:3], 0 offen
	ds_read_b64 v[57:58], v54
	v_add_nc_u32_e32 v53, 1, v53
	v_add_nc_u32_e32 v54, 8, v54
	;; [unrolled: 1-line block ×3, first 2 shown]
	v_cmp_lt_u32_e32 vcc_lo, 10, v53
	s_or_b32 s5, vcc_lo, s5
	s_waitcnt vmcnt(1) lgkmcnt(0)
	v_mul_f32_e32 v61, v58, v59
	v_mul_f32_e32 v59, v57, v59
	s_waitcnt vmcnt(0)
	v_fma_f32 v57, v57, v60, -v61
	v_fmac_f32_e32 v59, v58, v60
	v_add_f32_e32 v56, v56, v57
	v_add_f32_e32 v50, v50, v59
	s_andn2_b32 exec_lo, exec_lo, s5
	s_cbranch_execnz .LBB23_61
; %bb.62:
	s_or_b32 exec_lo, exec_lo, s5
	v_mov_b32_e32 v53, 0
	ds_read_b64 v[53:54], v53 offset:96
	s_waitcnt lgkmcnt(0)
	v_mul_f32_e32 v55, v50, v54
	v_mul_f32_e32 v54, v56, v54
	v_fma_f32 v55, v56, v53, -v55
	v_fmac_f32_e32 v54, v50, v53
	buffer_store_dword v55, off, s[0:3], 0 offset:96
	buffer_store_dword v54, off, s[0:3], 0 offset:100
.LBB23_63:
	s_or_b32 exec_lo, exec_lo, s4
	s_waitcnt_vscnt null, 0x0
	s_barrier
	buffer_gl0_inv
	s_clause 0x1
	buffer_load_dword v53, off, s[0:3], 0 offset:104
	buffer_load_dword v54, off, s[0:3], 0 offset:108
	s_mov_b32 s4, exec_lo
	s_waitcnt vmcnt(0)
	ds_write_b64 v52, v[53:54]
	s_waitcnt lgkmcnt(0)
	s_barrier
	buffer_gl0_inv
	v_cmpx_gt_u32_e32 13, v0
	s_cbranch_execz .LBB23_67
; %bb.64:
	v_add_nc_u32_e32 v53, -1, v0
	v_add_nc_u32_e32 v54, 0xc0, v51
	v_mov_b32_e32 v55, v51
	v_mov_b32_e32 v50, 0
	;; [unrolled: 1-line block ×3, first 2 shown]
	s_mov_b32 s5, 0
	.p2align	6
.LBB23_65:                              ; =>This Inner Loop Header: Depth=1
	s_clause 0x1
	buffer_load_dword v59, v55, s[0:3], 0 offen offset:4
	buffer_load_dword v60, v55, s[0:3], 0 offen
	ds_read_b64 v[57:58], v54
	v_add_nc_u32_e32 v53, 1, v53
	v_add_nc_u32_e32 v54, 8, v54
	;; [unrolled: 1-line block ×3, first 2 shown]
	v_cmp_lt_u32_e32 vcc_lo, 11, v53
	s_or_b32 s5, vcc_lo, s5
	s_waitcnt vmcnt(1) lgkmcnt(0)
	v_mul_f32_e32 v61, v58, v59
	v_mul_f32_e32 v59, v57, v59
	s_waitcnt vmcnt(0)
	v_fma_f32 v57, v57, v60, -v61
	v_fmac_f32_e32 v59, v58, v60
	v_add_f32_e32 v56, v56, v57
	v_add_f32_e32 v50, v50, v59
	s_andn2_b32 exec_lo, exec_lo, s5
	s_cbranch_execnz .LBB23_65
; %bb.66:
	s_or_b32 exec_lo, exec_lo, s5
	v_mov_b32_e32 v53, 0
	ds_read_b64 v[53:54], v53 offset:104
	s_waitcnt lgkmcnt(0)
	v_mul_f32_e32 v55, v50, v54
	v_mul_f32_e32 v54, v56, v54
	v_fma_f32 v55, v56, v53, -v55
	v_fmac_f32_e32 v54, v50, v53
	buffer_store_dword v55, off, s[0:3], 0 offset:104
	buffer_store_dword v54, off, s[0:3], 0 offset:108
.LBB23_67:
	s_or_b32 exec_lo, exec_lo, s4
	s_waitcnt_vscnt null, 0x0
	s_barrier
	buffer_gl0_inv
	s_clause 0x1
	buffer_load_dword v53, off, s[0:3], 0 offset:112
	buffer_load_dword v54, off, s[0:3], 0 offset:116
	s_mov_b32 s4, exec_lo
	s_waitcnt vmcnt(0)
	ds_write_b64 v52, v[53:54]
	s_waitcnt lgkmcnt(0)
	s_barrier
	buffer_gl0_inv
	v_cmpx_gt_u32_e32 14, v0
	s_cbranch_execz .LBB23_71
; %bb.68:
	v_add_nc_u32_e32 v53, -1, v0
	v_add_nc_u32_e32 v54, 0xc0, v51
	v_mov_b32_e32 v55, v51
	v_mov_b32_e32 v50, 0
	;; [unrolled: 1-line block ×3, first 2 shown]
	s_mov_b32 s5, 0
	.p2align	6
.LBB23_69:                              ; =>This Inner Loop Header: Depth=1
	s_clause 0x1
	buffer_load_dword v59, v55, s[0:3], 0 offen offset:4
	buffer_load_dword v60, v55, s[0:3], 0 offen
	ds_read_b64 v[57:58], v54
	v_add_nc_u32_e32 v53, 1, v53
	v_add_nc_u32_e32 v54, 8, v54
	;; [unrolled: 1-line block ×3, first 2 shown]
	v_cmp_lt_u32_e32 vcc_lo, 12, v53
	s_or_b32 s5, vcc_lo, s5
	s_waitcnt vmcnt(1) lgkmcnt(0)
	v_mul_f32_e32 v61, v58, v59
	v_mul_f32_e32 v59, v57, v59
	s_waitcnt vmcnt(0)
	v_fma_f32 v57, v57, v60, -v61
	v_fmac_f32_e32 v59, v58, v60
	v_add_f32_e32 v56, v56, v57
	v_add_f32_e32 v50, v50, v59
	s_andn2_b32 exec_lo, exec_lo, s5
	s_cbranch_execnz .LBB23_69
; %bb.70:
	s_or_b32 exec_lo, exec_lo, s5
	v_mov_b32_e32 v53, 0
	ds_read_b64 v[53:54], v53 offset:112
	s_waitcnt lgkmcnt(0)
	v_mul_f32_e32 v55, v50, v54
	v_mul_f32_e32 v54, v56, v54
	v_fma_f32 v55, v56, v53, -v55
	v_fmac_f32_e32 v54, v50, v53
	buffer_store_dword v55, off, s[0:3], 0 offset:112
	buffer_store_dword v54, off, s[0:3], 0 offset:116
.LBB23_71:
	s_or_b32 exec_lo, exec_lo, s4
	s_waitcnt_vscnt null, 0x0
	s_barrier
	buffer_gl0_inv
	s_clause 0x1
	buffer_load_dword v53, off, s[0:3], 0 offset:120
	buffer_load_dword v54, off, s[0:3], 0 offset:124
	s_mov_b32 s4, exec_lo
	s_waitcnt vmcnt(0)
	ds_write_b64 v52, v[53:54]
	s_waitcnt lgkmcnt(0)
	s_barrier
	buffer_gl0_inv
	v_cmpx_gt_u32_e32 15, v0
	s_cbranch_execz .LBB23_75
; %bb.72:
	v_add_nc_u32_e32 v53, -1, v0
	v_add_nc_u32_e32 v54, 0xc0, v51
	v_mov_b32_e32 v55, v51
	v_mov_b32_e32 v50, 0
	;; [unrolled: 1-line block ×3, first 2 shown]
	s_mov_b32 s5, 0
	.p2align	6
.LBB23_73:                              ; =>This Inner Loop Header: Depth=1
	s_clause 0x1
	buffer_load_dword v59, v55, s[0:3], 0 offen offset:4
	buffer_load_dword v60, v55, s[0:3], 0 offen
	ds_read_b64 v[57:58], v54
	v_add_nc_u32_e32 v53, 1, v53
	v_add_nc_u32_e32 v54, 8, v54
	;; [unrolled: 1-line block ×3, first 2 shown]
	v_cmp_lt_u32_e32 vcc_lo, 13, v53
	s_or_b32 s5, vcc_lo, s5
	s_waitcnt vmcnt(1) lgkmcnt(0)
	v_mul_f32_e32 v61, v58, v59
	v_mul_f32_e32 v59, v57, v59
	s_waitcnt vmcnt(0)
	v_fma_f32 v57, v57, v60, -v61
	v_fmac_f32_e32 v59, v58, v60
	v_add_f32_e32 v56, v56, v57
	v_add_f32_e32 v50, v50, v59
	s_andn2_b32 exec_lo, exec_lo, s5
	s_cbranch_execnz .LBB23_73
; %bb.74:
	s_or_b32 exec_lo, exec_lo, s5
	v_mov_b32_e32 v53, 0
	ds_read_b64 v[53:54], v53 offset:120
	s_waitcnt lgkmcnt(0)
	v_mul_f32_e32 v55, v50, v54
	v_mul_f32_e32 v54, v56, v54
	v_fma_f32 v55, v56, v53, -v55
	v_fmac_f32_e32 v54, v50, v53
	buffer_store_dword v55, off, s[0:3], 0 offset:120
	buffer_store_dword v54, off, s[0:3], 0 offset:124
.LBB23_75:
	s_or_b32 exec_lo, exec_lo, s4
	s_waitcnt_vscnt null, 0x0
	s_barrier
	buffer_gl0_inv
	s_clause 0x1
	buffer_load_dword v53, off, s[0:3], 0 offset:128
	buffer_load_dword v54, off, s[0:3], 0 offset:132
	s_mov_b32 s4, exec_lo
	s_waitcnt vmcnt(0)
	ds_write_b64 v52, v[53:54]
	s_waitcnt lgkmcnt(0)
	s_barrier
	buffer_gl0_inv
	v_cmpx_gt_u32_e32 16, v0
	s_cbranch_execz .LBB23_79
; %bb.76:
	v_add_nc_u32_e32 v53, -1, v0
	v_add_nc_u32_e32 v54, 0xc0, v51
	v_mov_b32_e32 v55, v51
	v_mov_b32_e32 v50, 0
	;; [unrolled: 1-line block ×3, first 2 shown]
	s_mov_b32 s5, 0
	.p2align	6
.LBB23_77:                              ; =>This Inner Loop Header: Depth=1
	s_clause 0x1
	buffer_load_dword v59, v55, s[0:3], 0 offen offset:4
	buffer_load_dword v60, v55, s[0:3], 0 offen
	ds_read_b64 v[57:58], v54
	v_add_nc_u32_e32 v53, 1, v53
	v_add_nc_u32_e32 v54, 8, v54
	;; [unrolled: 1-line block ×3, first 2 shown]
	v_cmp_lt_u32_e32 vcc_lo, 14, v53
	s_or_b32 s5, vcc_lo, s5
	s_waitcnt vmcnt(1) lgkmcnt(0)
	v_mul_f32_e32 v61, v58, v59
	v_mul_f32_e32 v59, v57, v59
	s_waitcnt vmcnt(0)
	v_fma_f32 v57, v57, v60, -v61
	v_fmac_f32_e32 v59, v58, v60
	v_add_f32_e32 v56, v56, v57
	v_add_f32_e32 v50, v50, v59
	s_andn2_b32 exec_lo, exec_lo, s5
	s_cbranch_execnz .LBB23_77
; %bb.78:
	s_or_b32 exec_lo, exec_lo, s5
	v_mov_b32_e32 v53, 0
	ds_read_b64 v[53:54], v53 offset:128
	s_waitcnt lgkmcnt(0)
	v_mul_f32_e32 v55, v50, v54
	v_mul_f32_e32 v54, v56, v54
	v_fma_f32 v55, v56, v53, -v55
	v_fmac_f32_e32 v54, v50, v53
	buffer_store_dword v55, off, s[0:3], 0 offset:128
	buffer_store_dword v54, off, s[0:3], 0 offset:132
.LBB23_79:
	s_or_b32 exec_lo, exec_lo, s4
	s_waitcnt_vscnt null, 0x0
	s_barrier
	buffer_gl0_inv
	s_clause 0x1
	buffer_load_dword v53, off, s[0:3], 0 offset:136
	buffer_load_dword v54, off, s[0:3], 0 offset:140
	s_mov_b32 s4, exec_lo
	s_waitcnt vmcnt(0)
	ds_write_b64 v52, v[53:54]
	s_waitcnt lgkmcnt(0)
	s_barrier
	buffer_gl0_inv
	v_cmpx_gt_u32_e32 17, v0
	s_cbranch_execz .LBB23_83
; %bb.80:
	v_add_nc_u32_e32 v53, -1, v0
	v_add_nc_u32_e32 v54, 0xc0, v51
	v_mov_b32_e32 v55, v51
	v_mov_b32_e32 v50, 0
	;; [unrolled: 1-line block ×3, first 2 shown]
	s_mov_b32 s5, 0
	.p2align	6
.LBB23_81:                              ; =>This Inner Loop Header: Depth=1
	s_clause 0x1
	buffer_load_dword v59, v55, s[0:3], 0 offen offset:4
	buffer_load_dword v60, v55, s[0:3], 0 offen
	ds_read_b64 v[57:58], v54
	v_add_nc_u32_e32 v53, 1, v53
	v_add_nc_u32_e32 v54, 8, v54
	;; [unrolled: 1-line block ×3, first 2 shown]
	v_cmp_lt_u32_e32 vcc_lo, 15, v53
	s_or_b32 s5, vcc_lo, s5
	s_waitcnt vmcnt(1) lgkmcnt(0)
	v_mul_f32_e32 v61, v58, v59
	v_mul_f32_e32 v59, v57, v59
	s_waitcnt vmcnt(0)
	v_fma_f32 v57, v57, v60, -v61
	v_fmac_f32_e32 v59, v58, v60
	v_add_f32_e32 v56, v56, v57
	v_add_f32_e32 v50, v50, v59
	s_andn2_b32 exec_lo, exec_lo, s5
	s_cbranch_execnz .LBB23_81
; %bb.82:
	s_or_b32 exec_lo, exec_lo, s5
	v_mov_b32_e32 v53, 0
	ds_read_b64 v[53:54], v53 offset:136
	s_waitcnt lgkmcnt(0)
	v_mul_f32_e32 v55, v50, v54
	v_mul_f32_e32 v54, v56, v54
	v_fma_f32 v55, v56, v53, -v55
	v_fmac_f32_e32 v54, v50, v53
	buffer_store_dword v55, off, s[0:3], 0 offset:136
	buffer_store_dword v54, off, s[0:3], 0 offset:140
.LBB23_83:
	s_or_b32 exec_lo, exec_lo, s4
	s_waitcnt_vscnt null, 0x0
	s_barrier
	buffer_gl0_inv
	s_clause 0x1
	buffer_load_dword v53, off, s[0:3], 0 offset:144
	buffer_load_dword v54, off, s[0:3], 0 offset:148
	s_mov_b32 s4, exec_lo
	s_waitcnt vmcnt(0)
	ds_write_b64 v52, v[53:54]
	s_waitcnt lgkmcnt(0)
	s_barrier
	buffer_gl0_inv
	v_cmpx_gt_u32_e32 18, v0
	s_cbranch_execz .LBB23_87
; %bb.84:
	v_add_nc_u32_e32 v53, -1, v0
	v_add_nc_u32_e32 v54, 0xc0, v51
	v_mov_b32_e32 v55, v51
	v_mov_b32_e32 v50, 0
	;; [unrolled: 1-line block ×3, first 2 shown]
	s_mov_b32 s5, 0
	.p2align	6
.LBB23_85:                              ; =>This Inner Loop Header: Depth=1
	s_clause 0x1
	buffer_load_dword v59, v55, s[0:3], 0 offen offset:4
	buffer_load_dword v60, v55, s[0:3], 0 offen
	ds_read_b64 v[57:58], v54
	v_add_nc_u32_e32 v53, 1, v53
	v_add_nc_u32_e32 v54, 8, v54
	;; [unrolled: 1-line block ×3, first 2 shown]
	v_cmp_lt_u32_e32 vcc_lo, 16, v53
	s_or_b32 s5, vcc_lo, s5
	s_waitcnt vmcnt(1) lgkmcnt(0)
	v_mul_f32_e32 v61, v58, v59
	v_mul_f32_e32 v59, v57, v59
	s_waitcnt vmcnt(0)
	v_fma_f32 v57, v57, v60, -v61
	v_fmac_f32_e32 v59, v58, v60
	v_add_f32_e32 v56, v56, v57
	v_add_f32_e32 v50, v50, v59
	s_andn2_b32 exec_lo, exec_lo, s5
	s_cbranch_execnz .LBB23_85
; %bb.86:
	s_or_b32 exec_lo, exec_lo, s5
	v_mov_b32_e32 v53, 0
	ds_read_b64 v[53:54], v53 offset:144
	s_waitcnt lgkmcnt(0)
	v_mul_f32_e32 v55, v50, v54
	v_mul_f32_e32 v54, v56, v54
	v_fma_f32 v55, v56, v53, -v55
	v_fmac_f32_e32 v54, v50, v53
	buffer_store_dword v55, off, s[0:3], 0 offset:144
	buffer_store_dword v54, off, s[0:3], 0 offset:148
.LBB23_87:
	s_or_b32 exec_lo, exec_lo, s4
	s_waitcnt_vscnt null, 0x0
	s_barrier
	buffer_gl0_inv
	s_clause 0x1
	buffer_load_dword v53, off, s[0:3], 0 offset:152
	buffer_load_dword v54, off, s[0:3], 0 offset:156
	s_mov_b32 s4, exec_lo
	s_waitcnt vmcnt(0)
	ds_write_b64 v52, v[53:54]
	s_waitcnt lgkmcnt(0)
	s_barrier
	buffer_gl0_inv
	v_cmpx_gt_u32_e32 19, v0
	s_cbranch_execz .LBB23_91
; %bb.88:
	v_add_nc_u32_e32 v53, -1, v0
	v_add_nc_u32_e32 v54, 0xc0, v51
	v_mov_b32_e32 v55, v51
	v_mov_b32_e32 v50, 0
	;; [unrolled: 1-line block ×3, first 2 shown]
	s_mov_b32 s5, 0
	.p2align	6
.LBB23_89:                              ; =>This Inner Loop Header: Depth=1
	s_clause 0x1
	buffer_load_dword v59, v55, s[0:3], 0 offen offset:4
	buffer_load_dword v60, v55, s[0:3], 0 offen
	ds_read_b64 v[57:58], v54
	v_add_nc_u32_e32 v53, 1, v53
	v_add_nc_u32_e32 v54, 8, v54
	;; [unrolled: 1-line block ×3, first 2 shown]
	v_cmp_lt_u32_e32 vcc_lo, 17, v53
	s_or_b32 s5, vcc_lo, s5
	s_waitcnt vmcnt(1) lgkmcnt(0)
	v_mul_f32_e32 v61, v58, v59
	v_mul_f32_e32 v59, v57, v59
	s_waitcnt vmcnt(0)
	v_fma_f32 v57, v57, v60, -v61
	v_fmac_f32_e32 v59, v58, v60
	v_add_f32_e32 v56, v56, v57
	v_add_f32_e32 v50, v50, v59
	s_andn2_b32 exec_lo, exec_lo, s5
	s_cbranch_execnz .LBB23_89
; %bb.90:
	s_or_b32 exec_lo, exec_lo, s5
	v_mov_b32_e32 v53, 0
	ds_read_b64 v[53:54], v53 offset:152
	s_waitcnt lgkmcnt(0)
	v_mul_f32_e32 v55, v50, v54
	v_mul_f32_e32 v54, v56, v54
	v_fma_f32 v55, v56, v53, -v55
	v_fmac_f32_e32 v54, v50, v53
	buffer_store_dword v55, off, s[0:3], 0 offset:152
	buffer_store_dword v54, off, s[0:3], 0 offset:156
.LBB23_91:
	s_or_b32 exec_lo, exec_lo, s4
	s_waitcnt_vscnt null, 0x0
	s_barrier
	buffer_gl0_inv
	s_clause 0x1
	buffer_load_dword v53, off, s[0:3], 0 offset:160
	buffer_load_dword v54, off, s[0:3], 0 offset:164
	s_mov_b32 s4, exec_lo
	s_waitcnt vmcnt(0)
	ds_write_b64 v52, v[53:54]
	s_waitcnt lgkmcnt(0)
	s_barrier
	buffer_gl0_inv
	v_cmpx_gt_u32_e32 20, v0
	s_cbranch_execz .LBB23_95
; %bb.92:
	v_add_nc_u32_e32 v53, -1, v0
	v_add_nc_u32_e32 v54, 0xc0, v51
	v_mov_b32_e32 v55, v51
	v_mov_b32_e32 v50, 0
	;; [unrolled: 1-line block ×3, first 2 shown]
	s_mov_b32 s5, 0
	.p2align	6
.LBB23_93:                              ; =>This Inner Loop Header: Depth=1
	s_clause 0x1
	buffer_load_dword v59, v55, s[0:3], 0 offen offset:4
	buffer_load_dword v60, v55, s[0:3], 0 offen
	ds_read_b64 v[57:58], v54
	v_add_nc_u32_e32 v53, 1, v53
	v_add_nc_u32_e32 v54, 8, v54
	;; [unrolled: 1-line block ×3, first 2 shown]
	v_cmp_lt_u32_e32 vcc_lo, 18, v53
	s_or_b32 s5, vcc_lo, s5
	s_waitcnt vmcnt(1) lgkmcnt(0)
	v_mul_f32_e32 v61, v58, v59
	v_mul_f32_e32 v59, v57, v59
	s_waitcnt vmcnt(0)
	v_fma_f32 v57, v57, v60, -v61
	v_fmac_f32_e32 v59, v58, v60
	v_add_f32_e32 v56, v56, v57
	v_add_f32_e32 v50, v50, v59
	s_andn2_b32 exec_lo, exec_lo, s5
	s_cbranch_execnz .LBB23_93
; %bb.94:
	s_or_b32 exec_lo, exec_lo, s5
	v_mov_b32_e32 v53, 0
	ds_read_b64 v[53:54], v53 offset:160
	s_waitcnt lgkmcnt(0)
	v_mul_f32_e32 v55, v50, v54
	v_mul_f32_e32 v54, v56, v54
	v_fma_f32 v55, v56, v53, -v55
	v_fmac_f32_e32 v54, v50, v53
	buffer_store_dword v55, off, s[0:3], 0 offset:160
	buffer_store_dword v54, off, s[0:3], 0 offset:164
.LBB23_95:
	s_or_b32 exec_lo, exec_lo, s4
	s_waitcnt_vscnt null, 0x0
	s_barrier
	buffer_gl0_inv
	s_clause 0x1
	buffer_load_dword v53, off, s[0:3], 0 offset:168
	buffer_load_dword v54, off, s[0:3], 0 offset:172
	s_mov_b32 s4, exec_lo
	s_waitcnt vmcnt(0)
	ds_write_b64 v52, v[53:54]
	s_waitcnt lgkmcnt(0)
	s_barrier
	buffer_gl0_inv
	v_cmpx_gt_u32_e32 21, v0
	s_cbranch_execz .LBB23_99
; %bb.96:
	v_add_nc_u32_e32 v53, -1, v0
	v_add_nc_u32_e32 v54, 0xc0, v51
	v_mov_b32_e32 v55, v51
	v_mov_b32_e32 v50, 0
	;; [unrolled: 1-line block ×3, first 2 shown]
	s_mov_b32 s5, 0
	.p2align	6
.LBB23_97:                              ; =>This Inner Loop Header: Depth=1
	s_clause 0x1
	buffer_load_dword v59, v55, s[0:3], 0 offen offset:4
	buffer_load_dword v60, v55, s[0:3], 0 offen
	ds_read_b64 v[57:58], v54
	v_add_nc_u32_e32 v53, 1, v53
	v_add_nc_u32_e32 v54, 8, v54
	;; [unrolled: 1-line block ×3, first 2 shown]
	v_cmp_lt_u32_e32 vcc_lo, 19, v53
	s_or_b32 s5, vcc_lo, s5
	s_waitcnt vmcnt(1) lgkmcnt(0)
	v_mul_f32_e32 v61, v58, v59
	v_mul_f32_e32 v59, v57, v59
	s_waitcnt vmcnt(0)
	v_fma_f32 v57, v57, v60, -v61
	v_fmac_f32_e32 v59, v58, v60
	v_add_f32_e32 v56, v56, v57
	v_add_f32_e32 v50, v50, v59
	s_andn2_b32 exec_lo, exec_lo, s5
	s_cbranch_execnz .LBB23_97
; %bb.98:
	s_or_b32 exec_lo, exec_lo, s5
	v_mov_b32_e32 v53, 0
	ds_read_b64 v[53:54], v53 offset:168
	s_waitcnt lgkmcnt(0)
	v_mul_f32_e32 v55, v50, v54
	v_mul_f32_e32 v54, v56, v54
	v_fma_f32 v55, v56, v53, -v55
	v_fmac_f32_e32 v54, v50, v53
	buffer_store_dword v55, off, s[0:3], 0 offset:168
	buffer_store_dword v54, off, s[0:3], 0 offset:172
.LBB23_99:
	s_or_b32 exec_lo, exec_lo, s4
	s_waitcnt_vscnt null, 0x0
	s_barrier
	buffer_gl0_inv
	s_clause 0x1
	buffer_load_dword v53, off, s[0:3], 0 offset:176
	buffer_load_dword v54, off, s[0:3], 0 offset:180
	s_mov_b32 s4, exec_lo
	s_waitcnt vmcnt(0)
	ds_write_b64 v52, v[53:54]
	s_waitcnt lgkmcnt(0)
	s_barrier
	buffer_gl0_inv
	v_cmpx_gt_u32_e32 22, v0
	s_cbranch_execz .LBB23_103
; %bb.100:
	v_add_nc_u32_e32 v53, -1, v0
	v_add_nc_u32_e32 v54, 0xc0, v51
	v_mov_b32_e32 v55, v51
	v_mov_b32_e32 v50, 0
	;; [unrolled: 1-line block ×3, first 2 shown]
	s_mov_b32 s5, 0
	.p2align	6
.LBB23_101:                             ; =>This Inner Loop Header: Depth=1
	s_clause 0x1
	buffer_load_dword v59, v55, s[0:3], 0 offen offset:4
	buffer_load_dword v60, v55, s[0:3], 0 offen
	ds_read_b64 v[57:58], v54
	v_add_nc_u32_e32 v53, 1, v53
	v_add_nc_u32_e32 v54, 8, v54
	;; [unrolled: 1-line block ×3, first 2 shown]
	v_cmp_lt_u32_e32 vcc_lo, 20, v53
	s_or_b32 s5, vcc_lo, s5
	s_waitcnt vmcnt(1) lgkmcnt(0)
	v_mul_f32_e32 v61, v58, v59
	v_mul_f32_e32 v59, v57, v59
	s_waitcnt vmcnt(0)
	v_fma_f32 v57, v57, v60, -v61
	v_fmac_f32_e32 v59, v58, v60
	v_add_f32_e32 v56, v56, v57
	v_add_f32_e32 v50, v50, v59
	s_andn2_b32 exec_lo, exec_lo, s5
	s_cbranch_execnz .LBB23_101
; %bb.102:
	s_or_b32 exec_lo, exec_lo, s5
	v_mov_b32_e32 v53, 0
	ds_read_b64 v[53:54], v53 offset:176
	s_waitcnt lgkmcnt(0)
	v_mul_f32_e32 v55, v50, v54
	v_mul_f32_e32 v54, v56, v54
	v_fma_f32 v55, v56, v53, -v55
	v_fmac_f32_e32 v54, v50, v53
	buffer_store_dword v55, off, s[0:3], 0 offset:176
	buffer_store_dword v54, off, s[0:3], 0 offset:180
.LBB23_103:
	s_or_b32 exec_lo, exec_lo, s4
	s_waitcnt_vscnt null, 0x0
	s_barrier
	buffer_gl0_inv
	s_clause 0x1
	buffer_load_dword v53, off, s[0:3], 0 offset:184
	buffer_load_dword v54, off, s[0:3], 0 offset:188
	s_mov_b32 s4, exec_lo
	s_waitcnt vmcnt(0)
	ds_write_b64 v52, v[53:54]
	s_waitcnt lgkmcnt(0)
	s_barrier
	buffer_gl0_inv
	v_cmpx_ne_u32_e32 23, v0
	s_cbranch_execz .LBB23_107
; %bb.104:
	v_mov_b32_e32 v50, 0
	v_mov_b32_e32 v53, 0
	s_mov_b32 s5, 0
	.p2align	6
.LBB23_105:                             ; =>This Inner Loop Header: Depth=1
	s_clause 0x1
	buffer_load_dword v56, v51, s[0:3], 0 offen offset:4
	buffer_load_dword v57, v51, s[0:3], 0 offen
	ds_read_b64 v[54:55], v52
	v_add_nc_u32_e32 v49, 1, v49
	v_add_nc_u32_e32 v52, 8, v52
	;; [unrolled: 1-line block ×3, first 2 shown]
	v_cmp_lt_u32_e32 vcc_lo, 21, v49
	s_or_b32 s5, vcc_lo, s5
	s_waitcnt vmcnt(1) lgkmcnt(0)
	v_mul_f32_e32 v58, v55, v56
	v_mul_f32_e32 v56, v54, v56
	s_waitcnt vmcnt(0)
	v_fma_f32 v54, v54, v57, -v58
	v_fmac_f32_e32 v56, v55, v57
	v_add_f32_e32 v53, v53, v54
	v_add_f32_e32 v50, v50, v56
	s_andn2_b32 exec_lo, exec_lo, s5
	s_cbranch_execnz .LBB23_105
; %bb.106:
	s_or_b32 exec_lo, exec_lo, s5
	v_mov_b32_e32 v49, 0
	ds_read_b64 v[51:52], v49 offset:184
	s_waitcnt lgkmcnt(0)
	v_mul_f32_e32 v49, v50, v52
	v_mul_f32_e32 v52, v53, v52
	v_fma_f32 v49, v53, v51, -v49
	v_fmac_f32_e32 v52, v50, v51
	buffer_store_dword v49, off, s[0:3], 0 offset:184
	buffer_store_dword v52, off, s[0:3], 0 offset:188
.LBB23_107:
	s_or_b32 exec_lo, exec_lo, s4
	s_mov_b32 s5, -1
	s_waitcnt_vscnt null, 0x0
	s_barrier
	buffer_gl0_inv
.LBB23_108:
	s_and_b32 vcc_lo, exec_lo, s5
	s_cbranch_vccz .LBB23_110
; %bb.109:
	s_lshl_b64 s[4:5], s[6:7], 2
	v_mov_b32_e32 v49, 0
	s_add_u32 s4, s10, s4
	s_addc_u32 s5, s11, s5
	global_load_dword v49, v49, s[4:5]
	s_waitcnt vmcnt(0)
	v_cmp_ne_u32_e32 vcc_lo, 0, v49
	s_cbranch_vccz .LBB23_111
.LBB23_110:
	s_endpgm
.LBB23_111:
	v_lshl_add_u32 v49, v0, 3, 0xc0
	s_mov_b32 s4, exec_lo
	v_cmpx_eq_u32_e32 23, v0
	s_cbranch_execz .LBB23_113
; %bb.112:
	s_clause 0x1
	buffer_load_dword v50, off, s[0:3], 0 offset:176
	buffer_load_dword v51, off, s[0:3], 0 offset:180
	v_mov_b32_e32 v52, 0
	buffer_store_dword v52, off, s[0:3], 0 offset:176
	buffer_store_dword v52, off, s[0:3], 0 offset:180
	s_waitcnt vmcnt(0)
	ds_write_b64 v49, v[50:51]
.LBB23_113:
	s_or_b32 exec_lo, exec_lo, s4
	s_waitcnt lgkmcnt(0)
	s_waitcnt_vscnt null, 0x0
	s_barrier
	buffer_gl0_inv
	s_clause 0x3
	buffer_load_dword v53, off, s[0:3], 0 offset:188
	buffer_load_dword v54, off, s[0:3], 0 offset:184
	;; [unrolled: 1-line block ×4, first 2 shown]
	v_mov_b32_e32 v50, 0
	s_mov_b32 s4, exec_lo
	ds_read_b64 v[51:52], v50 offset:376
	s_waitcnt vmcnt(3) lgkmcnt(0)
	v_mul_f32_e32 v57, v52, v53
	v_mul_f32_e32 v53, v51, v53
	s_waitcnt vmcnt(2)
	v_fma_f32 v51, v51, v54, -v57
	v_fmac_f32_e32 v53, v52, v54
	v_add_f32_e32 v51, 0, v51
	v_add_f32_e32 v52, 0, v53
	s_waitcnt vmcnt(1)
	v_sub_f32_e32 v51, v55, v51
	s_waitcnt vmcnt(0)
	v_sub_f32_e32 v52, v56, v52
	buffer_store_dword v51, off, s[0:3], 0 offset:176
	buffer_store_dword v52, off, s[0:3], 0 offset:180
	v_cmpx_lt_u32_e32 21, v0
	s_cbranch_execz .LBB23_115
; %bb.114:
	s_clause 0x1
	buffer_load_dword v51, off, s[0:3], 0 offset:168
	buffer_load_dword v52, off, s[0:3], 0 offset:172
	buffer_store_dword v50, off, s[0:3], 0 offset:168
	buffer_store_dword v50, off, s[0:3], 0 offset:172
	s_waitcnt vmcnt(0)
	ds_write_b64 v49, v[51:52]
.LBB23_115:
	s_or_b32 exec_lo, exec_lo, s4
	s_waitcnt lgkmcnt(0)
	s_waitcnt_vscnt null, 0x0
	s_barrier
	buffer_gl0_inv
	s_clause 0x5
	buffer_load_dword v54, off, s[0:3], 0 offset:180
	buffer_load_dword v55, off, s[0:3], 0 offset:188
	;; [unrolled: 1-line block ×6, first 2 shown]
	ds_read_b128 v[50:53], v50 offset:368
	s_mov_b32 s4, exec_lo
	s_waitcnt vmcnt(5) lgkmcnt(0)
	v_mul_f32_e32 v60, v51, v54
	v_mul_f32_e32 v54, v50, v54
	s_waitcnt vmcnt(4)
	v_mul_f32_e32 v61, v52, v55
	v_mul_f32_e32 v55, v53, v55
	s_waitcnt vmcnt(3)
	v_fma_f32 v50, v50, v56, -v60
	v_fmac_f32_e32 v54, v51, v56
	s_waitcnt vmcnt(2)
	v_fmac_f32_e32 v61, v53, v57
	v_fma_f32 v51, v52, v57, -v55
	v_add_f32_e32 v50, 0, v50
	v_add_f32_e32 v52, 0, v54
	;; [unrolled: 1-line block ×4, first 2 shown]
	s_waitcnt vmcnt(1)
	v_sub_f32_e32 v50, v58, v50
	s_waitcnt vmcnt(0)
	v_sub_f32_e32 v51, v59, v51
	buffer_store_dword v50, off, s[0:3], 0 offset:168
	buffer_store_dword v51, off, s[0:3], 0 offset:172
	v_cmpx_lt_u32_e32 20, v0
	s_cbranch_execz .LBB23_117
; %bb.116:
	s_clause 0x1
	buffer_load_dword v50, off, s[0:3], 0 offset:160
	buffer_load_dword v51, off, s[0:3], 0 offset:164
	v_mov_b32_e32 v52, 0
	buffer_store_dword v52, off, s[0:3], 0 offset:160
	buffer_store_dword v52, off, s[0:3], 0 offset:164
	s_waitcnt vmcnt(0)
	ds_write_b64 v49, v[50:51]
.LBB23_117:
	s_or_b32 exec_lo, exec_lo, s4
	s_waitcnt lgkmcnt(0)
	s_waitcnt_vscnt null, 0x0
	s_barrier
	buffer_gl0_inv
	s_clause 0x7
	buffer_load_dword v57, off, s[0:3], 0 offset:172
	buffer_load_dword v58, off, s[0:3], 0 offset:180
	;; [unrolled: 1-line block ×8, first 2 shown]
	v_mov_b32_e32 v50, 0
	ds_read2_b64 v[51:54], v50 offset0:45 offset1:46
	ds_read_b64 v[55:56], v50 offset:376
	s_mov_b32 s4, exec_lo
	s_waitcnt vmcnt(7) lgkmcnt(1)
	v_mul_f32_e32 v65, v52, v57
	v_mul_f32_e32 v57, v51, v57
	s_waitcnt vmcnt(6)
	v_mul_f32_e32 v66, v53, v58
	v_mul_f32_e32 v58, v54, v58
	s_waitcnt vmcnt(5) lgkmcnt(0)
	v_mul_f32_e32 v67, v55, v59
	s_waitcnt vmcnt(4)
	v_fma_f32 v51, v51, v60, -v65
	v_fmac_f32_e32 v57, v52, v60
	v_mul_f32_e32 v52, v56, v59
	s_waitcnt vmcnt(3)
	v_fma_f32 v53, v53, v61, -v58
	v_fmac_f32_e32 v66, v54, v61
	v_add_f32_e32 v51, 0, v51
	v_add_f32_e32 v54, 0, v57
	s_waitcnt vmcnt(2)
	v_fma_f32 v52, v55, v62, -v52
	v_fmac_f32_e32 v67, v56, v62
	v_add_f32_e32 v51, v51, v53
	v_add_f32_e32 v53, v54, v66
	;; [unrolled: 1-line block ×4, first 2 shown]
	s_waitcnt vmcnt(1)
	v_sub_f32_e32 v51, v63, v51
	s_waitcnt vmcnt(0)
	v_sub_f32_e32 v52, v64, v52
	buffer_store_dword v51, off, s[0:3], 0 offset:160
	buffer_store_dword v52, off, s[0:3], 0 offset:164
	v_cmpx_lt_u32_e32 19, v0
	s_cbranch_execz .LBB23_119
; %bb.118:
	s_clause 0x1
	buffer_load_dword v51, off, s[0:3], 0 offset:152
	buffer_load_dword v52, off, s[0:3], 0 offset:156
	buffer_store_dword v50, off, s[0:3], 0 offset:152
	buffer_store_dword v50, off, s[0:3], 0 offset:156
	s_waitcnt vmcnt(0)
	ds_write_b64 v49, v[51:52]
.LBB23_119:
	s_or_b32 exec_lo, exec_lo, s4
	s_waitcnt lgkmcnt(0)
	s_waitcnt_vscnt null, 0x0
	s_barrier
	buffer_gl0_inv
	s_clause 0x9
	buffer_load_dword v59, off, s[0:3], 0 offset:164
	buffer_load_dword v60, off, s[0:3], 0 offset:172
	;; [unrolled: 1-line block ×10, first 2 shown]
	ds_read_b128 v[51:54], v50 offset:352
	ds_read_b128 v[55:58], v50 offset:368
	s_mov_b32 s4, exec_lo
	s_waitcnt vmcnt(9) lgkmcnt(1)
	v_mul_f32_e32 v50, v51, v59
	v_mul_f32_e32 v59, v52, v59
	s_waitcnt vmcnt(8)
	v_mul_f32_e32 v69, v53, v60
	v_mul_f32_e32 v60, v54, v60
	s_waitcnt vmcnt(7) lgkmcnt(0)
	v_mul_f32_e32 v70, v55, v61
	s_waitcnt vmcnt(5)
	v_fmac_f32_e32 v50, v52, v63
	v_fma_f32 v51, v51, v63, -v59
	v_mul_f32_e32 v52, v56, v61
	s_waitcnt vmcnt(4)
	v_fma_f32 v53, v53, v64, -v60
	v_fmac_f32_e32 v69, v54, v64
	v_add_f32_e32 v50, 0, v50
	v_add_f32_e32 v51, 0, v51
	v_mul_f32_e32 v54, v58, v62
	s_waitcnt vmcnt(3)
	v_fma_f32 v52, v55, v65, -v52
	v_mul_f32_e32 v71, v57, v62
	v_fmac_f32_e32 v70, v56, v65
	v_add_f32_e32 v51, v51, v53
	v_add_f32_e32 v50, v50, v69
	s_waitcnt vmcnt(2)
	v_fma_f32 v53, v57, v66, -v54
	v_fmac_f32_e32 v71, v58, v66
	v_add_f32_e32 v51, v51, v52
	v_add_f32_e32 v50, v50, v70
	;; [unrolled: 1-line block ×4, first 2 shown]
	s_waitcnt vmcnt(1)
	v_sub_f32_e32 v51, v67, v51
	s_waitcnt vmcnt(0)
	v_sub_f32_e32 v50, v68, v50
	buffer_store_dword v51, off, s[0:3], 0 offset:152
	buffer_store_dword v50, off, s[0:3], 0 offset:156
	v_cmpx_lt_u32_e32 18, v0
	s_cbranch_execz .LBB23_121
; %bb.120:
	s_clause 0x1
	buffer_load_dword v50, off, s[0:3], 0 offset:144
	buffer_load_dword v51, off, s[0:3], 0 offset:148
	v_mov_b32_e32 v52, 0
	buffer_store_dword v52, off, s[0:3], 0 offset:144
	buffer_store_dword v52, off, s[0:3], 0 offset:148
	s_waitcnt vmcnt(0)
	ds_write_b64 v49, v[50:51]
.LBB23_121:
	s_or_b32 exec_lo, exec_lo, s4
	s_waitcnt lgkmcnt(0)
	s_waitcnt_vscnt null, 0x0
	s_barrier
	buffer_gl0_inv
	s_clause 0xb
	buffer_load_dword v61, off, s[0:3], 0 offset:156
	buffer_load_dword v62, off, s[0:3], 0 offset:164
	;; [unrolled: 1-line block ×12, first 2 shown]
	v_mov_b32_e32 v50, 0
	ds_read2_b64 v[51:54], v50 offset0:43 offset1:44
	ds_read2_b64 v[55:58], v50 offset0:45 offset1:46
	ds_read_b64 v[59:60], v50 offset:376
	s_mov_b32 s4, exec_lo
	s_waitcnt vmcnt(11) lgkmcnt(2)
	v_mul_f32_e32 v73, v51, v61
	v_mul_f32_e32 v61, v52, v61
	s_waitcnt vmcnt(10)
	v_mul_f32_e32 v74, v53, v62
	v_mul_f32_e32 v62, v54, v62
	s_waitcnt vmcnt(9) lgkmcnt(1)
	v_mul_f32_e32 v75, v55, v63
	s_waitcnt vmcnt(6)
	v_fmac_f32_e32 v73, v52, v66
	v_fma_f32 v51, v51, v66, -v61
	v_mul_f32_e32 v52, v56, v63
	s_waitcnt vmcnt(5)
	v_fma_f32 v53, v53, v67, -v62
	v_fmac_f32_e32 v74, v54, v67
	v_add_f32_e32 v54, 0, v73
	v_add_f32_e32 v51, 0, v51
	v_mul_f32_e32 v61, v58, v64
	s_waitcnt vmcnt(4)
	v_fma_f32 v52, v55, v68, -v52
	v_mul_f32_e32 v76, v57, v64
	v_fmac_f32_e32 v75, v56, v68
	v_add_f32_e32 v51, v51, v53
	v_add_f32_e32 v53, v54, v74
	s_waitcnt lgkmcnt(0)
	v_mul_f32_e32 v54, v60, v65
	s_waitcnt vmcnt(3)
	v_fma_f32 v55, v57, v69, -v61
	v_mul_f32_e32 v77, v59, v65
	v_add_f32_e32 v51, v51, v52
	v_fmac_f32_e32 v76, v58, v69
	v_add_f32_e32 v52, v53, v75
	s_waitcnt vmcnt(2)
	v_fma_f32 v53, v59, v70, -v54
	v_fmac_f32_e32 v77, v60, v70
	v_add_f32_e32 v51, v51, v55
	v_add_f32_e32 v52, v52, v76
	;; [unrolled: 1-line block ×4, first 2 shown]
	s_waitcnt vmcnt(1)
	v_sub_f32_e32 v51, v71, v51
	s_waitcnt vmcnt(0)
	v_sub_f32_e32 v52, v72, v52
	buffer_store_dword v51, off, s[0:3], 0 offset:144
	buffer_store_dword v52, off, s[0:3], 0 offset:148
	v_cmpx_lt_u32_e32 17, v0
	s_cbranch_execz .LBB23_123
; %bb.122:
	s_clause 0x1
	buffer_load_dword v51, off, s[0:3], 0 offset:136
	buffer_load_dword v52, off, s[0:3], 0 offset:140
	buffer_store_dword v50, off, s[0:3], 0 offset:136
	buffer_store_dword v50, off, s[0:3], 0 offset:140
	s_waitcnt vmcnt(0)
	ds_write_b64 v49, v[51:52]
.LBB23_123:
	s_or_b32 exec_lo, exec_lo, s4
	s_waitcnt lgkmcnt(0)
	s_waitcnt_vscnt null, 0x0
	s_barrier
	buffer_gl0_inv
	s_clause 0xd
	buffer_load_dword v63, off, s[0:3], 0 offset:148
	buffer_load_dword v64, off, s[0:3], 0 offset:156
	;; [unrolled: 1-line block ×14, first 2 shown]
	ds_read_b128 v[51:54], v50 offset:336
	ds_read_b128 v[55:58], v50 offset:352
	;; [unrolled: 1-line block ×3, first 2 shown]
	s_mov_b32 s4, exec_lo
	s_waitcnt vmcnt(13) lgkmcnt(2)
	v_mul_f32_e32 v50, v51, v63
	v_mul_f32_e32 v63, v52, v63
	s_waitcnt vmcnt(12)
	v_mul_f32_e32 v77, v53, v64
	v_mul_f32_e32 v64, v54, v64
	s_waitcnt vmcnt(11) lgkmcnt(1)
	v_mul_f32_e32 v78, v55, v65
	s_waitcnt vmcnt(10)
	v_mul_f32_e32 v79, v57, v66
	s_waitcnt vmcnt(7)
	v_fma_f32 v51, v51, v69, -v63
	v_fmac_f32_e32 v50, v52, v69
	v_mul_f32_e32 v52, v56, v65
	s_waitcnt vmcnt(6)
	v_fma_f32 v53, v53, v70, -v64
	v_fmac_f32_e32 v77, v54, v70
	v_add_f32_e32 v51, 0, v51
	v_add_f32_e32 v50, 0, v50
	v_mul_f32_e32 v54, v58, v66
	s_waitcnt vmcnt(5)
	v_fma_f32 v52, v55, v71, -v52
	v_fmac_f32_e32 v78, v56, v71
	v_add_f32_e32 v51, v51, v53
	v_add_f32_e32 v50, v50, v77
	s_waitcnt lgkmcnt(0)
	v_mul_f32_e32 v53, v60, v67
	s_waitcnt vmcnt(4)
	v_fma_f32 v54, v57, v72, -v54
	v_mul_f32_e32 v80, v59, v67
	v_add_f32_e32 v51, v51, v52
	v_fmac_f32_e32 v79, v58, v72
	v_add_f32_e32 v50, v50, v78
	v_mul_f32_e32 v52, v62, v68
	s_waitcnt vmcnt(3)
	v_fma_f32 v53, v59, v73, -v53
	v_add_f32_e32 v51, v51, v54
	v_mul_f32_e32 v81, v61, v68
	v_fmac_f32_e32 v80, v60, v73
	v_add_f32_e32 v50, v50, v79
	s_waitcnt vmcnt(2)
	v_fma_f32 v52, v61, v74, -v52
	v_add_f32_e32 v51, v51, v53
	v_fmac_f32_e32 v81, v62, v74
	v_add_f32_e32 v50, v50, v80
	v_add_f32_e32 v51, v51, v52
	;; [unrolled: 1-line block ×3, first 2 shown]
	s_waitcnt vmcnt(1)
	v_sub_f32_e32 v51, v75, v51
	s_waitcnt vmcnt(0)
	v_sub_f32_e32 v50, v76, v50
	buffer_store_dword v51, off, s[0:3], 0 offset:136
	buffer_store_dword v50, off, s[0:3], 0 offset:140
	v_cmpx_lt_u32_e32 16, v0
	s_cbranch_execz .LBB23_125
; %bb.124:
	s_clause 0x1
	buffer_load_dword v50, off, s[0:3], 0 offset:128
	buffer_load_dword v51, off, s[0:3], 0 offset:132
	v_mov_b32_e32 v52, 0
	buffer_store_dword v52, off, s[0:3], 0 offset:128
	buffer_store_dword v52, off, s[0:3], 0 offset:132
	s_waitcnt vmcnt(0)
	ds_write_b64 v49, v[50:51]
.LBB23_125:
	s_or_b32 exec_lo, exec_lo, s4
	s_waitcnt lgkmcnt(0)
	s_waitcnt_vscnt null, 0x0
	s_barrier
	buffer_gl0_inv
	s_clause 0xf
	buffer_load_dword v65, off, s[0:3], 0 offset:140
	buffer_load_dword v66, off, s[0:3], 0 offset:148
	;; [unrolled: 1-line block ×16, first 2 shown]
	v_mov_b32_e32 v50, 0
	ds_read2_b64 v[51:54], v50 offset0:41 offset1:42
	ds_read2_b64 v[55:58], v50 offset0:43 offset1:44
	;; [unrolled: 1-line block ×3, first 2 shown]
	ds_read_b64 v[63:64], v50 offset:376
	s_mov_b32 s4, exec_lo
	s_waitcnt vmcnt(15) lgkmcnt(3)
	v_mul_f32_e32 v81, v51, v65
	v_mul_f32_e32 v65, v52, v65
	s_waitcnt vmcnt(14)
	v_mul_f32_e32 v82, v53, v66
	v_mul_f32_e32 v66, v54, v66
	s_waitcnt vmcnt(13) lgkmcnt(2)
	v_mul_f32_e32 v83, v55, v67
	s_waitcnt vmcnt(12)
	v_mul_f32_e32 v84, v57, v68
	s_waitcnt vmcnt(11) lgkmcnt(1)
	v_mul_f32_e32 v85, v59, v69
	s_waitcnt vmcnt(8)
	v_fma_f32 v51, v51, v72, -v65
	v_fmac_f32_e32 v81, v52, v72
	v_mul_f32_e32 v52, v56, v67
	s_waitcnt vmcnt(7)
	v_fma_f32 v53, v53, v73, -v66
	v_fmac_f32_e32 v82, v54, v73
	v_add_f32_e32 v51, 0, v51
	v_add_f32_e32 v54, 0, v81
	v_mul_f32_e32 v65, v58, v68
	s_waitcnt vmcnt(6)
	v_fma_f32 v52, v55, v74, -v52
	v_fmac_f32_e32 v83, v56, v74
	v_add_f32_e32 v51, v51, v53
	v_add_f32_e32 v53, v54, v82
	;; [unrolled: 6-line block ×3, first 2 shown]
	v_mul_f32_e32 v53, v62, v70
	s_waitcnt vmcnt(4)
	v_fma_f32 v54, v59, v76, -v54
	v_mul_f32_e32 v86, v61, v70
	v_add_f32_e32 v51, v51, v55
	v_fmac_f32_e32 v85, v60, v76
	v_add_f32_e32 v52, v52, v84
	s_waitcnt lgkmcnt(0)
	v_mul_f32_e32 v55, v64, v71
	s_waitcnt vmcnt(3)
	v_fma_f32 v53, v61, v77, -v53
	v_add_f32_e32 v51, v51, v54
	v_mul_f32_e32 v87, v63, v71
	v_fmac_f32_e32 v86, v62, v77
	v_add_f32_e32 v52, v52, v85
	s_waitcnt vmcnt(2)
	v_fma_f32 v54, v63, v78, -v55
	v_add_f32_e32 v51, v51, v53
	v_fmac_f32_e32 v87, v64, v78
	v_add_f32_e32 v52, v52, v86
	v_add_f32_e32 v51, v51, v54
	;; [unrolled: 1-line block ×3, first 2 shown]
	s_waitcnt vmcnt(1)
	v_sub_f32_e32 v51, v79, v51
	s_waitcnt vmcnt(0)
	v_sub_f32_e32 v52, v80, v52
	buffer_store_dword v51, off, s[0:3], 0 offset:128
	buffer_store_dword v52, off, s[0:3], 0 offset:132
	v_cmpx_lt_u32_e32 15, v0
	s_cbranch_execz .LBB23_127
; %bb.126:
	s_clause 0x1
	buffer_load_dword v51, off, s[0:3], 0 offset:120
	buffer_load_dword v52, off, s[0:3], 0 offset:124
	buffer_store_dword v50, off, s[0:3], 0 offset:120
	buffer_store_dword v50, off, s[0:3], 0 offset:124
	s_waitcnt vmcnt(0)
	ds_write_b64 v49, v[51:52]
.LBB23_127:
	s_or_b32 exec_lo, exec_lo, s4
	s_waitcnt lgkmcnt(0)
	s_waitcnt_vscnt null, 0x0
	s_barrier
	buffer_gl0_inv
	s_clause 0x11
	buffer_load_dword v67, off, s[0:3], 0 offset:132
	buffer_load_dword v68, off, s[0:3], 0 offset:140
	;; [unrolled: 1-line block ×18, first 2 shown]
	ds_read_b128 v[51:54], v50 offset:320
	ds_read_b128 v[55:58], v50 offset:336
	;; [unrolled: 1-line block ×4, first 2 shown]
	s_mov_b32 s4, exec_lo
	s_waitcnt vmcnt(17) lgkmcnt(3)
	v_mul_f32_e32 v50, v51, v67
	v_mul_f32_e32 v67, v52, v67
	s_waitcnt vmcnt(16)
	v_mul_f32_e32 v85, v53, v68
	v_mul_f32_e32 v68, v54, v68
	s_waitcnt vmcnt(15) lgkmcnt(2)
	v_mul_f32_e32 v86, v55, v69
	s_waitcnt vmcnt(14)
	v_mul_f32_e32 v87, v57, v70
	s_waitcnt vmcnt(13) lgkmcnt(1)
	v_mul_f32_e32 v88, v59, v71
	s_waitcnt vmcnt(12)
	v_mul_f32_e32 v89, v61, v72
	s_waitcnt vmcnt(9)
	v_fma_f32 v51, v51, v75, -v67
	v_fmac_f32_e32 v50, v52, v75
	v_mul_f32_e32 v52, v56, v69
	s_waitcnt vmcnt(8)
	v_fma_f32 v53, v53, v76, -v68
	v_fmac_f32_e32 v85, v54, v76
	v_add_f32_e32 v51, 0, v51
	v_add_f32_e32 v50, 0, v50
	v_mul_f32_e32 v54, v58, v70
	s_waitcnt vmcnt(7)
	v_fma_f32 v52, v55, v77, -v52
	v_fmac_f32_e32 v86, v56, v77
	v_add_f32_e32 v51, v51, v53
	v_add_f32_e32 v50, v50, v85
	;; [unrolled: 6-line block ×4, first 2 shown]
	s_waitcnt lgkmcnt(0)
	v_mul_f32_e32 v54, v64, v73
	s_waitcnt vmcnt(4)
	v_fma_f32 v52, v61, v80, -v52
	v_mul_f32_e32 v90, v63, v73
	v_add_f32_e32 v51, v51, v53
	v_fmac_f32_e32 v89, v62, v80
	v_add_f32_e32 v50, v50, v88
	v_mul_f32_e32 v53, v66, v74
	s_waitcnt vmcnt(3)
	v_fma_f32 v54, v63, v81, -v54
	v_add_f32_e32 v51, v51, v52
	v_mul_f32_e32 v91, v65, v74
	v_fmac_f32_e32 v90, v64, v81
	v_add_f32_e32 v50, v50, v89
	s_waitcnt vmcnt(2)
	v_fma_f32 v52, v65, v82, -v53
	v_add_f32_e32 v51, v51, v54
	v_fmac_f32_e32 v91, v66, v82
	v_add_f32_e32 v50, v50, v90
	v_add_f32_e32 v51, v51, v52
	;; [unrolled: 1-line block ×3, first 2 shown]
	s_waitcnt vmcnt(1)
	v_sub_f32_e32 v51, v83, v51
	s_waitcnt vmcnt(0)
	v_sub_f32_e32 v50, v84, v50
	buffer_store_dword v51, off, s[0:3], 0 offset:120
	buffer_store_dword v50, off, s[0:3], 0 offset:124
	v_cmpx_lt_u32_e32 14, v0
	s_cbranch_execz .LBB23_129
; %bb.128:
	s_clause 0x1
	buffer_load_dword v50, off, s[0:3], 0 offset:112
	buffer_load_dword v51, off, s[0:3], 0 offset:116
	v_mov_b32_e32 v52, 0
	buffer_store_dword v52, off, s[0:3], 0 offset:112
	buffer_store_dword v52, off, s[0:3], 0 offset:116
	s_waitcnt vmcnt(0)
	ds_write_b64 v49, v[50:51]
.LBB23_129:
	s_or_b32 exec_lo, exec_lo, s4
	s_waitcnt lgkmcnt(0)
	s_waitcnt_vscnt null, 0x0
	s_barrier
	buffer_gl0_inv
	s_clause 0x13
	buffer_load_dword v69, off, s[0:3], 0 offset:124
	buffer_load_dword v70, off, s[0:3], 0 offset:132
	;; [unrolled: 1-line block ×20, first 2 shown]
	v_mov_b32_e32 v50, 0
	ds_read2_b64 v[51:54], v50 offset0:39 offset1:40
	ds_read2_b64 v[55:58], v50 offset0:41 offset1:42
	;; [unrolled: 1-line block ×4, first 2 shown]
	ds_read_b64 v[67:68], v50 offset:376
	s_mov_b32 s4, exec_lo
	s_waitcnt vmcnt(19) lgkmcnt(4)
	v_mul_f32_e32 v89, v51, v69
	v_mul_f32_e32 v69, v52, v69
	s_waitcnt vmcnt(18)
	v_mul_f32_e32 v90, v53, v70
	v_mul_f32_e32 v70, v54, v70
	s_waitcnt vmcnt(17) lgkmcnt(3)
	v_mul_f32_e32 v91, v55, v71
	s_waitcnt vmcnt(16)
	v_mul_f32_e32 v92, v57, v72
	s_waitcnt vmcnt(15) lgkmcnt(2)
	v_mul_f32_e32 v93, v59, v73
	s_waitcnt vmcnt(14)
	;; [unrolled: 4-line block ×3, first 2 shown]
	v_fma_f32 v51, v51, v78, -v69
	v_fmac_f32_e32 v89, v52, v78
	v_mul_f32_e32 v52, v56, v71
	s_waitcnt vmcnt(9)
	v_fma_f32 v53, v53, v79, -v70
	v_fmac_f32_e32 v90, v54, v79
	v_add_f32_e32 v51, 0, v51
	v_add_f32_e32 v54, 0, v89
	v_mul_f32_e32 v69, v58, v72
	s_waitcnt vmcnt(8)
	v_fma_f32 v52, v55, v80, -v52
	v_fmac_f32_e32 v91, v56, v80
	v_add_f32_e32 v51, v51, v53
	v_add_f32_e32 v53, v54, v90
	;; [unrolled: 6-line block ×5, first 2 shown]
	v_mul_f32_e32 v54, v66, v76
	s_waitcnt vmcnt(4)
	v_fma_f32 v55, v63, v84, -v55
	v_mul_f32_e32 v96, v65, v76
	v_add_f32_e32 v51, v51, v53
	v_fmac_f32_e32 v95, v64, v84
	v_add_f32_e32 v52, v52, v94
	s_waitcnt lgkmcnt(0)
	v_mul_f32_e32 v53, v68, v77
	s_waitcnt vmcnt(3)
	v_fma_f32 v54, v65, v85, -v54
	v_add_f32_e32 v51, v51, v55
	v_mul_f32_e32 v97, v67, v77
	v_fmac_f32_e32 v96, v66, v85
	v_add_f32_e32 v52, v52, v95
	s_waitcnt vmcnt(2)
	v_fma_f32 v53, v67, v86, -v53
	v_add_f32_e32 v51, v51, v54
	v_fmac_f32_e32 v97, v68, v86
	v_add_f32_e32 v52, v52, v96
	v_add_f32_e32 v51, v51, v53
	;; [unrolled: 1-line block ×3, first 2 shown]
	s_waitcnt vmcnt(1)
	v_sub_f32_e32 v51, v87, v51
	s_waitcnt vmcnt(0)
	v_sub_f32_e32 v52, v88, v52
	buffer_store_dword v51, off, s[0:3], 0 offset:112
	buffer_store_dword v52, off, s[0:3], 0 offset:116
	v_cmpx_lt_u32_e32 13, v0
	s_cbranch_execz .LBB23_131
; %bb.130:
	s_clause 0x1
	buffer_load_dword v51, off, s[0:3], 0 offset:104
	buffer_load_dword v52, off, s[0:3], 0 offset:108
	buffer_store_dword v50, off, s[0:3], 0 offset:104
	buffer_store_dword v50, off, s[0:3], 0 offset:108
	s_waitcnt vmcnt(0)
	ds_write_b64 v49, v[51:52]
.LBB23_131:
	s_or_b32 exec_lo, exec_lo, s4
	s_waitcnt lgkmcnt(0)
	s_waitcnt_vscnt null, 0x0
	s_barrier
	buffer_gl0_inv
	s_clause 0x15
	buffer_load_dword v71, off, s[0:3], 0 offset:116
	buffer_load_dword v72, off, s[0:3], 0 offset:124
	;; [unrolled: 1-line block ×22, first 2 shown]
	ds_read_b128 v[51:54], v50 offset:304
	ds_read_b128 v[55:58], v50 offset:320
	;; [unrolled: 1-line block ×5, first 2 shown]
	s_mov_b32 s4, exec_lo
	s_waitcnt vmcnt(21) lgkmcnt(4)
	v_mul_f32_e32 v50, v51, v71
	v_mul_f32_e32 v71, v52, v71
	s_waitcnt vmcnt(20)
	v_mul_f32_e32 v93, v53, v72
	v_mul_f32_e32 v72, v54, v72
	s_waitcnt vmcnt(19) lgkmcnt(3)
	v_mul_f32_e32 v94, v55, v73
	s_waitcnt vmcnt(18)
	v_mul_f32_e32 v95, v57, v74
	s_waitcnt vmcnt(17) lgkmcnt(2)
	v_mul_f32_e32 v96, v59, v75
	s_waitcnt vmcnt(16)
	;; [unrolled: 4-line block ×3, first 2 shown]
	v_mul_f32_e32 v99, v65, v78
	s_waitcnt vmcnt(11)
	v_fma_f32 v51, v51, v81, -v71
	v_fmac_f32_e32 v50, v52, v81
	v_mul_f32_e32 v52, v56, v73
	s_waitcnt vmcnt(10)
	v_fma_f32 v53, v53, v82, -v72
	v_fmac_f32_e32 v93, v54, v82
	v_add_f32_e32 v51, 0, v51
	v_add_f32_e32 v50, 0, v50
	v_mul_f32_e32 v54, v58, v74
	s_waitcnt vmcnt(9)
	v_fma_f32 v52, v55, v83, -v52
	v_fmac_f32_e32 v94, v56, v83
	v_add_f32_e32 v51, v51, v53
	v_add_f32_e32 v50, v50, v93
	;; [unrolled: 6-line block ×6, first 2 shown]
	s_waitcnt lgkmcnt(0)
	v_mul_f32_e32 v52, v68, v79
	s_waitcnt vmcnt(4)
	v_fma_f32 v53, v65, v88, -v53
	v_mul_f32_e32 v100, v67, v79
	v_add_f32_e32 v51, v51, v54
	v_fmac_f32_e32 v99, v66, v88
	v_add_f32_e32 v50, v50, v98
	v_mul_f32_e32 v54, v70, v80
	s_waitcnt vmcnt(3)
	v_fma_f32 v52, v67, v89, -v52
	v_add_f32_e32 v51, v51, v53
	v_mul_f32_e32 v101, v69, v80
	v_fmac_f32_e32 v100, v68, v89
	v_add_f32_e32 v50, v50, v99
	s_waitcnt vmcnt(2)
	v_fma_f32 v53, v69, v90, -v54
	v_add_f32_e32 v51, v51, v52
	v_fmac_f32_e32 v101, v70, v90
	v_add_f32_e32 v50, v50, v100
	v_add_f32_e32 v51, v51, v53
	;; [unrolled: 1-line block ×3, first 2 shown]
	s_waitcnt vmcnt(1)
	v_sub_f32_e32 v51, v91, v51
	s_waitcnt vmcnt(0)
	v_sub_f32_e32 v50, v92, v50
	buffer_store_dword v51, off, s[0:3], 0 offset:104
	buffer_store_dword v50, off, s[0:3], 0 offset:108
	v_cmpx_lt_u32_e32 12, v0
	s_cbranch_execz .LBB23_133
; %bb.132:
	s_clause 0x1
	buffer_load_dword v50, off, s[0:3], 0 offset:96
	buffer_load_dword v51, off, s[0:3], 0 offset:100
	v_mov_b32_e32 v52, 0
	buffer_store_dword v52, off, s[0:3], 0 offset:96
	buffer_store_dword v52, off, s[0:3], 0 offset:100
	s_waitcnt vmcnt(0)
	ds_write_b64 v49, v[50:51]
.LBB23_133:
	s_or_b32 exec_lo, exec_lo, s4
	s_waitcnt lgkmcnt(0)
	s_waitcnt_vscnt null, 0x0
	s_barrier
	buffer_gl0_inv
	s_clause 0x17
	buffer_load_dword v73, off, s[0:3], 0 offset:108
	buffer_load_dword v74, off, s[0:3], 0 offset:116
	;; [unrolled: 1-line block ×24, first 2 shown]
	v_mov_b32_e32 v50, 0
	ds_read2_b64 v[51:54], v50 offset0:37 offset1:38
	ds_read2_b64 v[55:58], v50 offset0:39 offset1:40
	;; [unrolled: 1-line block ×5, first 2 shown]
	ds_read_b64 v[71:72], v50 offset:376
	s_mov_b32 s4, exec_lo
	s_waitcnt vmcnt(23) lgkmcnt(5)
	v_mul_f32_e32 v97, v51, v73
	v_mul_f32_e32 v73, v52, v73
	s_waitcnt vmcnt(22)
	v_mul_f32_e32 v98, v53, v74
	v_mul_f32_e32 v74, v54, v74
	s_waitcnt vmcnt(21) lgkmcnt(4)
	v_mul_f32_e32 v99, v55, v75
	s_waitcnt vmcnt(20)
	v_mul_f32_e32 v100, v57, v76
	s_waitcnt vmcnt(19) lgkmcnt(3)
	v_mul_f32_e32 v101, v59, v77
	s_waitcnt vmcnt(18)
	;; [unrolled: 4-line block ×4, first 2 shown]
	v_fma_f32 v51, v51, v84, -v73
	v_fmac_f32_e32 v97, v52, v84
	v_mul_f32_e32 v52, v56, v75
	s_waitcnt vmcnt(11)
	v_fma_f32 v53, v53, v85, -v74
	v_fmac_f32_e32 v98, v54, v85
	v_add_f32_e32 v51, 0, v51
	v_add_f32_e32 v54, 0, v97
	v_mul_f32_e32 v73, v58, v76
	s_waitcnt vmcnt(10)
	v_fma_f32 v52, v55, v86, -v52
	v_fmac_f32_e32 v99, v56, v86
	v_add_f32_e32 v51, v51, v53
	v_add_f32_e32 v53, v54, v98
	;; [unrolled: 6-line block ×7, first 2 shown]
	v_mul_f32_e32 v55, v70, v82
	s_waitcnt vmcnt(4)
	v_fma_f32 v53, v67, v92, -v53
	v_mul_f32_e32 v106, v69, v82
	v_add_f32_e32 v51, v51, v54
	v_fmac_f32_e32 v105, v68, v92
	v_add_f32_e32 v52, v52, v104
	s_waitcnt lgkmcnt(0)
	v_mul_f32_e32 v54, v72, v83
	s_waitcnt vmcnt(3)
	v_fma_f32 v55, v69, v93, -v55
	v_add_f32_e32 v51, v51, v53
	v_mul_f32_e32 v107, v71, v83
	v_fmac_f32_e32 v106, v70, v93
	v_add_f32_e32 v52, v52, v105
	s_waitcnt vmcnt(2)
	v_fma_f32 v53, v71, v94, -v54
	v_add_f32_e32 v51, v51, v55
	v_fmac_f32_e32 v107, v72, v94
	v_add_f32_e32 v52, v52, v106
	v_add_f32_e32 v51, v51, v53
	;; [unrolled: 1-line block ×3, first 2 shown]
	s_waitcnt vmcnt(1)
	v_sub_f32_e32 v51, v95, v51
	s_waitcnt vmcnt(0)
	v_sub_f32_e32 v52, v96, v52
	buffer_store_dword v51, off, s[0:3], 0 offset:96
	buffer_store_dword v52, off, s[0:3], 0 offset:100
	v_cmpx_lt_u32_e32 11, v0
	s_cbranch_execz .LBB23_135
; %bb.134:
	s_clause 0x1
	buffer_load_dword v51, off, s[0:3], 0 offset:88
	buffer_load_dword v52, off, s[0:3], 0 offset:92
	buffer_store_dword v50, off, s[0:3], 0 offset:88
	buffer_store_dword v50, off, s[0:3], 0 offset:92
	s_waitcnt vmcnt(0)
	ds_write_b64 v49, v[51:52]
.LBB23_135:
	s_or_b32 exec_lo, exec_lo, s4
	s_waitcnt lgkmcnt(0)
	s_waitcnt_vscnt null, 0x0
	s_barrier
	buffer_gl0_inv
	s_clause 0x19
	buffer_load_dword v75, off, s[0:3], 0 offset:100
	buffer_load_dword v76, off, s[0:3], 0 offset:108
	;; [unrolled: 1-line block ×26, first 2 shown]
	ds_read_b128 v[51:54], v50 offset:288
	ds_read_b128 v[55:58], v50 offset:304
	;; [unrolled: 1-line block ×6, first 2 shown]
	s_mov_b32 s4, exec_lo
	s_waitcnt vmcnt(25) lgkmcnt(5)
	v_mul_f32_e32 v50, v51, v75
	v_mul_f32_e32 v75, v52, v75
	s_waitcnt vmcnt(24)
	v_mul_f32_e32 v101, v53, v76
	v_mul_f32_e32 v76, v54, v76
	s_waitcnt vmcnt(23) lgkmcnt(4)
	v_mul_f32_e32 v102, v55, v77
	s_waitcnt vmcnt(22)
	v_mul_f32_e32 v103, v57, v78
	s_waitcnt vmcnt(21) lgkmcnt(3)
	v_mul_f32_e32 v104, v59, v79
	s_waitcnt vmcnt(20)
	;; [unrolled: 4-line block ×4, first 2 shown]
	v_mul_f32_e32 v109, v69, v84
	s_waitcnt vmcnt(13)
	v_fma_f32 v51, v51, v87, -v75
	v_fmac_f32_e32 v50, v52, v87
	v_mul_f32_e32 v52, v56, v77
	s_waitcnt vmcnt(12)
	v_fma_f32 v53, v53, v88, -v76
	v_fmac_f32_e32 v101, v54, v88
	v_add_f32_e32 v51, 0, v51
	v_add_f32_e32 v50, 0, v50
	v_mul_f32_e32 v54, v58, v78
	s_waitcnt vmcnt(11)
	v_fma_f32 v52, v55, v89, -v52
	v_fmac_f32_e32 v102, v56, v89
	v_add_f32_e32 v51, v51, v53
	v_add_f32_e32 v50, v50, v101
	;; [unrolled: 6-line block ×8, first 2 shown]
	s_waitcnt lgkmcnt(0)
	v_mul_f32_e32 v53, v72, v85
	s_waitcnt vmcnt(4)
	v_fma_f32 v54, v69, v96, -v54
	v_mul_f32_e32 v110, v71, v85
	v_add_f32_e32 v51, v51, v52
	v_fmac_f32_e32 v109, v70, v96
	v_add_f32_e32 v50, v50, v108
	v_mul_f32_e32 v52, v74, v86
	s_waitcnt vmcnt(3)
	v_fma_f32 v53, v71, v97, -v53
	v_add_f32_e32 v51, v51, v54
	v_mul_f32_e32 v111, v73, v86
	v_fmac_f32_e32 v110, v72, v97
	v_add_f32_e32 v50, v50, v109
	s_waitcnt vmcnt(2)
	v_fma_f32 v52, v73, v98, -v52
	v_add_f32_e32 v51, v51, v53
	v_fmac_f32_e32 v111, v74, v98
	v_add_f32_e32 v50, v50, v110
	v_add_f32_e32 v51, v51, v52
	;; [unrolled: 1-line block ×3, first 2 shown]
	s_waitcnt vmcnt(1)
	v_sub_f32_e32 v51, v99, v51
	s_waitcnt vmcnt(0)
	v_sub_f32_e32 v50, v100, v50
	buffer_store_dword v51, off, s[0:3], 0 offset:88
	buffer_store_dword v50, off, s[0:3], 0 offset:92
	v_cmpx_lt_u32_e32 10, v0
	s_cbranch_execz .LBB23_137
; %bb.136:
	s_clause 0x1
	buffer_load_dword v50, off, s[0:3], 0 offset:80
	buffer_load_dword v51, off, s[0:3], 0 offset:84
	v_mov_b32_e32 v52, 0
	buffer_store_dword v52, off, s[0:3], 0 offset:80
	buffer_store_dword v52, off, s[0:3], 0 offset:84
	s_waitcnt vmcnt(0)
	ds_write_b64 v49, v[50:51]
.LBB23_137:
	s_or_b32 exec_lo, exec_lo, s4
	s_waitcnt lgkmcnt(0)
	s_waitcnt_vscnt null, 0x0
	s_barrier
	buffer_gl0_inv
	s_clause 0x1b
	buffer_load_dword v77, off, s[0:3], 0 offset:92
	buffer_load_dword v78, off, s[0:3], 0 offset:100
	;; [unrolled: 1-line block ×28, first 2 shown]
	v_mov_b32_e32 v50, 0
	ds_read2_b64 v[51:54], v50 offset0:35 offset1:36
	ds_read2_b64 v[55:58], v50 offset0:37 offset1:38
	ds_read2_b64 v[59:62], v50 offset0:39 offset1:40
	ds_read2_b64 v[63:66], v50 offset0:41 offset1:42
	ds_read2_b64 v[67:70], v50 offset0:43 offset1:44
	ds_read2_b64 v[71:74], v50 offset0:45 offset1:46
	ds_read_b64 v[75:76], v50 offset:376
	s_mov_b32 s4, exec_lo
	s_waitcnt vmcnt(27) lgkmcnt(6)
	v_mul_f32_e32 v105, v51, v77
	v_mul_f32_e32 v77, v52, v77
	s_waitcnt vmcnt(26)
	v_mul_f32_e32 v106, v53, v78
	v_mul_f32_e32 v78, v54, v78
	s_waitcnt vmcnt(25) lgkmcnt(5)
	v_mul_f32_e32 v107, v55, v79
	s_waitcnt vmcnt(24)
	v_mul_f32_e32 v108, v57, v80
	s_waitcnt vmcnt(23) lgkmcnt(4)
	v_mul_f32_e32 v109, v59, v81
	s_waitcnt vmcnt(22)
	;; [unrolled: 4-line block ×5, first 2 shown]
	v_fma_f32 v51, v51, v90, -v77
	v_fmac_f32_e32 v105, v52, v90
	v_mul_f32_e32 v52, v56, v79
	s_waitcnt vmcnt(13)
	v_fma_f32 v53, v53, v91, -v78
	v_fmac_f32_e32 v106, v54, v91
	v_add_f32_e32 v51, 0, v51
	v_add_f32_e32 v54, 0, v105
	v_mul_f32_e32 v77, v58, v80
	s_waitcnt vmcnt(12)
	v_fma_f32 v52, v55, v92, -v52
	v_fmac_f32_e32 v107, v56, v92
	v_add_f32_e32 v51, v51, v53
	v_add_f32_e32 v53, v54, v106
	;; [unrolled: 6-line block ×9, first 2 shown]
	v_mul_f32_e32 v53, v74, v88
	s_waitcnt vmcnt(4)
	v_fma_f32 v54, v71, v100, -v54
	v_mul_f32_e32 v116, v73, v88
	v_add_f32_e32 v51, v51, v55
	v_fmac_f32_e32 v115, v72, v100
	v_add_f32_e32 v52, v52, v114
	s_waitcnt lgkmcnt(0)
	v_mul_f32_e32 v55, v76, v89
	s_waitcnt vmcnt(3)
	v_fma_f32 v53, v73, v101, -v53
	v_add_f32_e32 v51, v51, v54
	v_mul_f32_e32 v117, v75, v89
	v_fmac_f32_e32 v116, v74, v101
	v_add_f32_e32 v52, v52, v115
	s_waitcnt vmcnt(2)
	v_fma_f32 v54, v75, v102, -v55
	v_add_f32_e32 v51, v51, v53
	v_fmac_f32_e32 v117, v76, v102
	v_add_f32_e32 v52, v52, v116
	v_add_f32_e32 v51, v51, v54
	;; [unrolled: 1-line block ×3, first 2 shown]
	s_waitcnt vmcnt(1)
	v_sub_f32_e32 v51, v103, v51
	s_waitcnt vmcnt(0)
	v_sub_f32_e32 v52, v104, v52
	buffer_store_dword v51, off, s[0:3], 0 offset:80
	buffer_store_dword v52, off, s[0:3], 0 offset:84
	v_cmpx_lt_u32_e32 9, v0
	s_cbranch_execz .LBB23_139
; %bb.138:
	s_clause 0x1
	buffer_load_dword v51, off, s[0:3], 0 offset:72
	buffer_load_dword v52, off, s[0:3], 0 offset:76
	buffer_store_dword v50, off, s[0:3], 0 offset:72
	buffer_store_dword v50, off, s[0:3], 0 offset:76
	s_waitcnt vmcnt(0)
	ds_write_b64 v49, v[51:52]
.LBB23_139:
	s_or_b32 exec_lo, exec_lo, s4
	s_waitcnt lgkmcnt(0)
	s_waitcnt_vscnt null, 0x0
	s_barrier
	buffer_gl0_inv
	s_clause 0x1d
	buffer_load_dword v79, off, s[0:3], 0 offset:84
	buffer_load_dword v80, off, s[0:3], 0 offset:92
	buffer_load_dword v81, off, s[0:3], 0 offset:100
	buffer_load_dword v82, off, s[0:3], 0 offset:108
	buffer_load_dword v83, off, s[0:3], 0 offset:116
	buffer_load_dword v84, off, s[0:3], 0 offset:124
	buffer_load_dword v85, off, s[0:3], 0 offset:132
	buffer_load_dword v86, off, s[0:3], 0 offset:140
	buffer_load_dword v87, off, s[0:3], 0 offset:148
	buffer_load_dword v88, off, s[0:3], 0 offset:156
	buffer_load_dword v89, off, s[0:3], 0 offset:164
	buffer_load_dword v90, off, s[0:3], 0 offset:172
	buffer_load_dword v91, off, s[0:3], 0 offset:180
	buffer_load_dword v92, off, s[0:3], 0 offset:188
	buffer_load_dword v93, off, s[0:3], 0 offset:80
	buffer_load_dword v94, off, s[0:3], 0 offset:88
	buffer_load_dword v95, off, s[0:3], 0 offset:96
	buffer_load_dword v96, off, s[0:3], 0 offset:104
	buffer_load_dword v97, off, s[0:3], 0 offset:112
	buffer_load_dword v98, off, s[0:3], 0 offset:120
	buffer_load_dword v99, off, s[0:3], 0 offset:128
	buffer_load_dword v100, off, s[0:3], 0 offset:136
	buffer_load_dword v101, off, s[0:3], 0 offset:144
	buffer_load_dword v102, off, s[0:3], 0 offset:152
	buffer_load_dword v103, off, s[0:3], 0 offset:160
	buffer_load_dword v104, off, s[0:3], 0 offset:168
	buffer_load_dword v105, off, s[0:3], 0 offset:176
	buffer_load_dword v106, off, s[0:3], 0 offset:184
	buffer_load_dword v107, off, s[0:3], 0 offset:72
	buffer_load_dword v108, off, s[0:3], 0 offset:76
	ds_read_b128 v[51:54], v50 offset:272
	ds_read_b128 v[55:58], v50 offset:288
	;; [unrolled: 1-line block ×7, first 2 shown]
	s_mov_b32 s4, exec_lo
	s_waitcnt vmcnt(29) lgkmcnt(6)
	v_mul_f32_e32 v50, v51, v79
	v_mul_f32_e32 v79, v52, v79
	s_waitcnt vmcnt(28)
	v_mul_f32_e32 v109, v53, v80
	v_mul_f32_e32 v80, v54, v80
	s_waitcnt vmcnt(27) lgkmcnt(5)
	v_mul_f32_e32 v110, v55, v81
	s_waitcnt vmcnt(26)
	v_mul_f32_e32 v111, v57, v82
	s_waitcnt vmcnt(25) lgkmcnt(4)
	v_mul_f32_e32 v112, v59, v83
	s_waitcnt vmcnt(24)
	;; [unrolled: 4-line block ×5, first 2 shown]
	v_mul_f32_e32 v119, v73, v90
	s_waitcnt vmcnt(15)
	v_fma_f32 v51, v51, v93, -v79
	v_fmac_f32_e32 v50, v52, v93
	v_mul_f32_e32 v52, v56, v81
	s_waitcnt vmcnt(14)
	v_fma_f32 v53, v53, v94, -v80
	v_fmac_f32_e32 v109, v54, v94
	v_add_f32_e32 v51, 0, v51
	v_add_f32_e32 v50, 0, v50
	v_mul_f32_e32 v54, v58, v82
	s_waitcnt vmcnt(13)
	v_fma_f32 v52, v55, v95, -v52
	v_fmac_f32_e32 v110, v56, v95
	v_add_f32_e32 v51, v51, v53
	v_add_f32_e32 v50, v50, v109
	;; [unrolled: 6-line block ×10, first 2 shown]
	s_waitcnt lgkmcnt(0)
	v_mul_f32_e32 v54, v76, v91
	s_waitcnt vmcnt(4)
	v_fma_f32 v52, v73, v104, -v52
	v_mul_f32_e32 v120, v75, v91
	v_add_f32_e32 v51, v51, v53
	v_fmac_f32_e32 v119, v74, v104
	v_add_f32_e32 v50, v50, v118
	v_mul_f32_e32 v53, v78, v92
	s_waitcnt vmcnt(3)
	v_fma_f32 v54, v75, v105, -v54
	v_add_f32_e32 v51, v51, v52
	v_mul_f32_e32 v121, v77, v92
	v_fmac_f32_e32 v120, v76, v105
	v_add_f32_e32 v50, v50, v119
	s_waitcnt vmcnt(2)
	v_fma_f32 v52, v77, v106, -v53
	v_add_f32_e32 v51, v51, v54
	v_fmac_f32_e32 v121, v78, v106
	v_add_f32_e32 v50, v50, v120
	v_add_f32_e32 v51, v51, v52
	v_add_f32_e32 v50, v50, v121
	s_waitcnt vmcnt(1)
	v_sub_f32_e32 v51, v107, v51
	s_waitcnt vmcnt(0)
	v_sub_f32_e32 v50, v108, v50
	buffer_store_dword v51, off, s[0:3], 0 offset:72
	buffer_store_dword v50, off, s[0:3], 0 offset:76
	v_cmpx_lt_u32_e32 8, v0
	s_cbranch_execz .LBB23_141
; %bb.140:
	s_clause 0x1
	buffer_load_dword v50, off, s[0:3], 0 offset:64
	buffer_load_dword v51, off, s[0:3], 0 offset:68
	v_mov_b32_e32 v52, 0
	buffer_store_dword v52, off, s[0:3], 0 offset:64
	buffer_store_dword v52, off, s[0:3], 0 offset:68
	s_waitcnt vmcnt(0)
	ds_write_b64 v49, v[50:51]
.LBB23_141:
	s_or_b32 exec_lo, exec_lo, s4
	s_waitcnt lgkmcnt(0)
	s_waitcnt_vscnt null, 0x0
	s_barrier
	buffer_gl0_inv
	s_clause 0x1f
	buffer_load_dword v81, off, s[0:3], 0 offset:76
	buffer_load_dword v82, off, s[0:3], 0 offset:84
	;; [unrolled: 1-line block ×32, first 2 shown]
	v_mov_b32_e32 v50, 0
	ds_read2_b64 v[51:54], v50 offset0:33 offset1:34
	ds_read2_b64 v[55:58], v50 offset0:35 offset1:36
	;; [unrolled: 1-line block ×7, first 2 shown]
	ds_read_b64 v[79:80], v50 offset:376
	s_mov_b32 s4, exec_lo
	s_waitcnt vmcnt(31) lgkmcnt(7)
	v_mul_f32_e32 v113, v51, v81
	v_mul_f32_e32 v81, v52, v81
	s_waitcnt vmcnt(30)
	v_mul_f32_e32 v114, v53, v82
	v_mul_f32_e32 v82, v54, v82
	s_waitcnt vmcnt(29) lgkmcnt(6)
	v_mul_f32_e32 v115, v55, v83
	s_waitcnt vmcnt(28)
	v_mul_f32_e32 v116, v57, v84
	s_waitcnt vmcnt(27) lgkmcnt(5)
	v_mul_f32_e32 v117, v59, v85
	s_waitcnt vmcnt(26)
	;; [unrolled: 4-line block ×6, first 2 shown]
	v_fma_f32 v51, v51, v96, -v81
	v_fmac_f32_e32 v113, v52, v96
	v_mul_f32_e32 v52, v56, v83
	s_waitcnt vmcnt(15)
	v_fma_f32 v53, v53, v97, -v82
	v_fmac_f32_e32 v114, v54, v97
	v_add_f32_e32 v51, 0, v51
	v_add_f32_e32 v54, 0, v113
	v_mul_f32_e32 v81, v58, v84
	s_waitcnt vmcnt(14)
	v_fma_f32 v52, v55, v98, -v52
	v_fmac_f32_e32 v115, v56, v98
	v_add_f32_e32 v51, v51, v53
	v_add_f32_e32 v53, v54, v114
	;; [unrolled: 6-line block ×11, first 2 shown]
	v_mul_f32_e32 v54, v78, v94
	s_waitcnt vmcnt(4)
	v_fma_f32 v55, v75, v108, -v55
	v_mul_f32_e32 v126, v77, v94
	v_add_f32_e32 v51, v51, v53
	v_fmac_f32_e32 v125, v76, v108
	v_add_f32_e32 v52, v52, v124
	s_waitcnt lgkmcnt(0)
	v_mul_f32_e32 v53, v80, v95
	s_waitcnt vmcnt(3)
	v_fma_f32 v54, v77, v109, -v54
	v_add_f32_e32 v51, v51, v55
	v_mul_f32_e32 v127, v79, v95
	v_fmac_f32_e32 v126, v78, v109
	v_add_f32_e32 v52, v52, v125
	s_waitcnt vmcnt(2)
	v_fma_f32 v53, v79, v110, -v53
	v_add_f32_e32 v51, v51, v54
	v_fmac_f32_e32 v127, v80, v110
	v_add_f32_e32 v52, v52, v126
	v_add_f32_e32 v51, v51, v53
	;; [unrolled: 1-line block ×3, first 2 shown]
	s_waitcnt vmcnt(1)
	v_sub_f32_e32 v51, v111, v51
	s_waitcnt vmcnt(0)
	v_sub_f32_e32 v52, v112, v52
	buffer_store_dword v51, off, s[0:3], 0 offset:64
	buffer_store_dword v52, off, s[0:3], 0 offset:68
	v_cmpx_lt_u32_e32 7, v0
	s_cbranch_execz .LBB23_143
; %bb.142:
	s_clause 0x1
	buffer_load_dword v51, off, s[0:3], 0 offset:56
	buffer_load_dword v52, off, s[0:3], 0 offset:60
	buffer_store_dword v50, off, s[0:3], 0 offset:56
	buffer_store_dword v50, off, s[0:3], 0 offset:60
	s_waitcnt vmcnt(0)
	ds_write_b64 v49, v[51:52]
.LBB23_143:
	s_or_b32 exec_lo, exec_lo, s4
	s_waitcnt lgkmcnt(0)
	s_waitcnt_vscnt null, 0x0
	s_barrier
	buffer_gl0_inv
	s_clause 0x21
	buffer_load_dword v83, off, s[0:3], 0 offset:68
	buffer_load_dword v84, off, s[0:3], 0 offset:76
	;; [unrolled: 1-line block ×34, first 2 shown]
	ds_read_b128 v[51:54], v50 offset:256
	ds_read_b128 v[55:58], v50 offset:272
	;; [unrolled: 1-line block ×8, first 2 shown]
	s_mov_b32 s4, exec_lo
	s_waitcnt vmcnt(33) lgkmcnt(7)
	v_mul_f32_e32 v50, v51, v83
	v_mul_f32_e32 v83, v52, v83
	s_waitcnt vmcnt(32)
	v_mul_f32_e32 v117, v53, v84
	v_mul_f32_e32 v84, v54, v84
	s_waitcnt vmcnt(31) lgkmcnt(6)
	v_mul_f32_e32 v118, v55, v85
	s_waitcnt vmcnt(30)
	v_mul_f32_e32 v119, v57, v86
	s_waitcnt vmcnt(29) lgkmcnt(5)
	v_mul_f32_e32 v120, v59, v87
	s_waitcnt vmcnt(28)
	;; [unrolled: 4-line block ×6, first 2 shown]
	v_mul_f32_e32 v129, v77, v96
	s_waitcnt vmcnt(17)
	v_fma_f32 v51, v51, v99, -v83
	v_fmac_f32_e32 v50, v52, v99
	v_mul_f32_e32 v52, v56, v85
	s_waitcnt vmcnt(16)
	v_fma_f32 v53, v53, v100, -v84
	v_fmac_f32_e32 v117, v54, v100
	v_add_f32_e32 v51, 0, v51
	v_add_f32_e32 v50, 0, v50
	v_mul_f32_e32 v54, v58, v86
	s_waitcnt vmcnt(15)
	v_fma_f32 v52, v55, v101, -v52
	v_fmac_f32_e32 v118, v56, v101
	v_add_f32_e32 v51, v51, v53
	v_add_f32_e32 v50, v50, v117
	;; [unrolled: 6-line block ×12, first 2 shown]
	s_waitcnt lgkmcnt(0)
	v_mul_f32_e32 v52, v80, v97
	s_waitcnt vmcnt(4)
	v_fma_f32 v53, v77, v112, -v53
	v_mul_f32_e32 v130, v79, v97
	v_add_f32_e32 v51, v51, v54
	v_fmac_f32_e32 v129, v78, v112
	v_add_f32_e32 v50, v50, v128
	v_mul_f32_e32 v54, v82, v98
	s_waitcnt vmcnt(3)
	v_fma_f32 v52, v79, v113, -v52
	v_add_f32_e32 v51, v51, v53
	v_mul_f32_e32 v131, v81, v98
	v_fmac_f32_e32 v130, v80, v113
	v_add_f32_e32 v50, v50, v129
	s_waitcnt vmcnt(2)
	v_fma_f32 v53, v81, v114, -v54
	v_add_f32_e32 v51, v51, v52
	v_fmac_f32_e32 v131, v82, v114
	v_add_f32_e32 v50, v50, v130
	v_add_f32_e32 v51, v51, v53
	;; [unrolled: 1-line block ×3, first 2 shown]
	s_waitcnt vmcnt(1)
	v_sub_f32_e32 v51, v115, v51
	s_waitcnt vmcnt(0)
	v_sub_f32_e32 v50, v116, v50
	buffer_store_dword v51, off, s[0:3], 0 offset:56
	buffer_store_dword v50, off, s[0:3], 0 offset:60
	v_cmpx_lt_u32_e32 6, v0
	s_cbranch_execz .LBB23_145
; %bb.144:
	s_clause 0x1
	buffer_load_dword v50, off, s[0:3], 0 offset:48
	buffer_load_dword v51, off, s[0:3], 0 offset:52
	v_mov_b32_e32 v52, 0
	buffer_store_dword v52, off, s[0:3], 0 offset:48
	buffer_store_dword v52, off, s[0:3], 0 offset:52
	s_waitcnt vmcnt(0)
	ds_write_b64 v49, v[50:51]
.LBB23_145:
	s_or_b32 exec_lo, exec_lo, s4
	s_waitcnt lgkmcnt(0)
	s_waitcnt_vscnt null, 0x0
	s_barrier
	buffer_gl0_inv
	s_clause 0x23
	buffer_load_dword v85, off, s[0:3], 0 offset:60
	buffer_load_dword v86, off, s[0:3], 0 offset:68
	;; [unrolled: 1-line block ×36, first 2 shown]
	v_mov_b32_e32 v50, 0
	ds_read2_b64 v[51:54], v50 offset0:31 offset1:32
	ds_read2_b64 v[55:58], v50 offset0:33 offset1:34
	;; [unrolled: 1-line block ×8, first 2 shown]
	ds_read_b64 v[83:84], v50 offset:376
	s_mov_b32 s4, exec_lo
	s_waitcnt vmcnt(35) lgkmcnt(8)
	v_mul_f32_e32 v121, v51, v85
	v_mul_f32_e32 v85, v52, v85
	s_waitcnt vmcnt(34)
	v_mul_f32_e32 v122, v53, v86
	v_mul_f32_e32 v86, v54, v86
	s_waitcnt vmcnt(33) lgkmcnt(7)
	v_mul_f32_e32 v123, v55, v87
	s_waitcnt vmcnt(32)
	v_mul_f32_e32 v124, v57, v88
	s_waitcnt vmcnt(31) lgkmcnt(6)
	v_mul_f32_e32 v125, v59, v89
	s_waitcnt vmcnt(30)
	;; [unrolled: 4-line block ×7, first 2 shown]
	v_fma_f32 v51, v51, v102, -v85
	v_fmac_f32_e32 v121, v52, v102
	v_mul_f32_e32 v52, v56, v87
	s_waitcnt vmcnt(17)
	v_fma_f32 v53, v53, v103, -v86
	v_fmac_f32_e32 v122, v54, v103
	v_add_f32_e32 v51, 0, v51
	v_add_f32_e32 v54, 0, v121
	v_mul_f32_e32 v85, v58, v88
	s_waitcnt vmcnt(16)
	v_fma_f32 v52, v55, v104, -v52
	v_fmac_f32_e32 v123, v56, v104
	v_add_f32_e32 v51, v51, v53
	v_add_f32_e32 v53, v54, v122
	;; [unrolled: 6-line block ×13, first 2 shown]
	v_mul_f32_e32 v55, v82, v100
	s_waitcnt vmcnt(4)
	v_fma_f32 v53, v79, v116, -v53
	v_mul_f32_e32 v136, v81, v100
	v_add_f32_e32 v51, v51, v54
	v_fmac_f32_e32 v135, v80, v116
	v_add_f32_e32 v52, v52, v134
	s_waitcnt lgkmcnt(0)
	v_mul_f32_e32 v54, v84, v101
	s_waitcnt vmcnt(3)
	v_fma_f32 v55, v81, v117, -v55
	v_add_f32_e32 v51, v51, v53
	v_mul_f32_e32 v137, v83, v101
	v_fmac_f32_e32 v136, v82, v117
	v_add_f32_e32 v52, v52, v135
	s_waitcnt vmcnt(2)
	v_fma_f32 v53, v83, v118, -v54
	v_add_f32_e32 v51, v51, v55
	v_fmac_f32_e32 v137, v84, v118
	v_add_f32_e32 v52, v52, v136
	v_add_f32_e32 v51, v51, v53
	;; [unrolled: 1-line block ×3, first 2 shown]
	s_waitcnt vmcnt(1)
	v_sub_f32_e32 v51, v119, v51
	s_waitcnt vmcnt(0)
	v_sub_f32_e32 v52, v120, v52
	buffer_store_dword v51, off, s[0:3], 0 offset:48
	buffer_store_dword v52, off, s[0:3], 0 offset:52
	v_cmpx_lt_u32_e32 5, v0
	s_cbranch_execz .LBB23_147
; %bb.146:
	s_clause 0x1
	buffer_load_dword v51, off, s[0:3], 0 offset:40
	buffer_load_dword v52, off, s[0:3], 0 offset:44
	buffer_store_dword v50, off, s[0:3], 0 offset:40
	buffer_store_dword v50, off, s[0:3], 0 offset:44
	s_waitcnt vmcnt(0)
	ds_write_b64 v49, v[51:52]
.LBB23_147:
	s_or_b32 exec_lo, exec_lo, s4
	s_waitcnt lgkmcnt(0)
	s_waitcnt_vscnt null, 0x0
	s_barrier
	buffer_gl0_inv
	s_clause 0x25
	buffer_load_dword v87, off, s[0:3], 0 offset:52
	buffer_load_dword v88, off, s[0:3], 0 offset:60
	;; [unrolled: 1-line block ×38, first 2 shown]
	ds_read_b128 v[51:54], v50 offset:240
	ds_read_b128 v[55:58], v50 offset:256
	;; [unrolled: 1-line block ×9, first 2 shown]
	s_mov_b32 s4, exec_lo
	s_waitcnt vmcnt(37) lgkmcnt(8)
	v_mul_f32_e32 v50, v51, v87
	v_mul_f32_e32 v87, v52, v87
	s_waitcnt vmcnt(36)
	v_mul_f32_e32 v125, v53, v88
	v_mul_f32_e32 v88, v54, v88
	s_waitcnt vmcnt(35) lgkmcnt(7)
	v_mul_f32_e32 v126, v55, v89
	s_waitcnt vmcnt(34)
	v_mul_f32_e32 v127, v57, v90
	s_waitcnt vmcnt(33) lgkmcnt(6)
	v_mul_f32_e32 v128, v59, v91
	s_waitcnt vmcnt(32)
	;; [unrolled: 4-line block ×7, first 2 shown]
	v_mul_f32_e32 v139, v81, v102
	s_waitcnt vmcnt(19)
	v_fma_f32 v51, v51, v105, -v87
	v_fmac_f32_e32 v50, v52, v105
	v_mul_f32_e32 v52, v56, v89
	s_waitcnt vmcnt(18)
	v_fma_f32 v53, v53, v106, -v88
	v_fmac_f32_e32 v125, v54, v106
	v_add_f32_e32 v51, 0, v51
	v_add_f32_e32 v50, 0, v50
	v_mul_f32_e32 v54, v58, v90
	s_waitcnt vmcnt(17)
	v_fma_f32 v52, v55, v107, -v52
	v_fmac_f32_e32 v126, v56, v107
	v_add_f32_e32 v51, v51, v53
	v_add_f32_e32 v50, v50, v125
	;; [unrolled: 6-line block ×14, first 2 shown]
	s_waitcnt lgkmcnt(0)
	v_mul_f32_e32 v53, v84, v103
	s_waitcnt vmcnt(4)
	v_fma_f32 v54, v81, v120, -v54
	v_mul_f32_e32 v140, v83, v103
	v_add_f32_e32 v51, v51, v52
	v_fmac_f32_e32 v139, v82, v120
	v_add_f32_e32 v50, v50, v138
	v_mul_f32_e32 v52, v86, v104
	s_waitcnt vmcnt(3)
	v_fma_f32 v53, v83, v121, -v53
	v_add_f32_e32 v51, v51, v54
	v_mul_f32_e32 v141, v85, v104
	v_fmac_f32_e32 v140, v84, v121
	v_add_f32_e32 v50, v50, v139
	s_waitcnt vmcnt(2)
	v_fma_f32 v52, v85, v122, -v52
	v_add_f32_e32 v51, v51, v53
	v_fmac_f32_e32 v141, v86, v122
	v_add_f32_e32 v50, v50, v140
	v_add_f32_e32 v51, v51, v52
	;; [unrolled: 1-line block ×3, first 2 shown]
	s_waitcnt vmcnt(1)
	v_sub_f32_e32 v51, v123, v51
	s_waitcnt vmcnt(0)
	v_sub_f32_e32 v50, v124, v50
	buffer_store_dword v51, off, s[0:3], 0 offset:40
	buffer_store_dword v50, off, s[0:3], 0 offset:44
	v_cmpx_lt_u32_e32 4, v0
	s_cbranch_execz .LBB23_149
; %bb.148:
	s_clause 0x1
	buffer_load_dword v50, off, s[0:3], 0 offset:32
	buffer_load_dword v51, off, s[0:3], 0 offset:36
	v_mov_b32_e32 v52, 0
	buffer_store_dword v52, off, s[0:3], 0 offset:32
	buffer_store_dword v52, off, s[0:3], 0 offset:36
	s_waitcnt vmcnt(0)
	ds_write_b64 v49, v[50:51]
.LBB23_149:
	s_or_b32 exec_lo, exec_lo, s4
	s_waitcnt lgkmcnt(0)
	s_waitcnt_vscnt null, 0x0
	s_barrier
	buffer_gl0_inv
	s_clause 0x27
	buffer_load_dword v89, off, s[0:3], 0 offset:44
	buffer_load_dword v90, off, s[0:3], 0 offset:52
	;; [unrolled: 1-line block ×40, first 2 shown]
	v_mov_b32_e32 v50, 0
	ds_read2_b64 v[51:54], v50 offset0:29 offset1:30
	ds_read2_b64 v[55:58], v50 offset0:31 offset1:32
	;; [unrolled: 1-line block ×9, first 2 shown]
	ds_read_b64 v[87:88], v50 offset:376
	s_mov_b32 s4, exec_lo
	s_waitcnt vmcnt(39) lgkmcnt(9)
	v_mul_f32_e32 v129, v51, v89
	v_mul_f32_e32 v89, v52, v89
	s_waitcnt vmcnt(38)
	v_mul_f32_e32 v130, v53, v90
	v_mul_f32_e32 v90, v54, v90
	s_waitcnt vmcnt(37) lgkmcnt(8)
	v_mul_f32_e32 v131, v55, v91
	s_waitcnt vmcnt(36)
	v_mul_f32_e32 v132, v57, v92
	s_waitcnt vmcnt(35) lgkmcnt(7)
	v_mul_f32_e32 v133, v59, v93
	s_waitcnt vmcnt(34)
	;; [unrolled: 4-line block ×8, first 2 shown]
	v_fma_f32 v51, v51, v108, -v89
	v_fmac_f32_e32 v129, v52, v108
	v_mul_f32_e32 v52, v56, v91
	s_waitcnt vmcnt(19)
	v_fma_f32 v53, v53, v109, -v90
	v_fmac_f32_e32 v130, v54, v109
	v_add_f32_e32 v51, 0, v51
	v_add_f32_e32 v54, 0, v129
	v_mul_f32_e32 v89, v58, v92
	s_waitcnt vmcnt(18)
	v_fma_f32 v52, v55, v110, -v52
	v_fmac_f32_e32 v131, v56, v110
	v_add_f32_e32 v51, v51, v53
	v_add_f32_e32 v53, v54, v130
	v_mul_f32_e32 v54, v60, v93
	s_waitcnt vmcnt(17)
	v_fma_f32 v55, v57, v111, -v89
	v_fmac_f32_e32 v132, v58, v111
	v_add_f32_e32 v51, v51, v52
	v_add_f32_e32 v52, v53, v131
	v_mul_f32_e32 v53, v62, v94
	s_waitcnt vmcnt(16)
	v_fma_f32 v54, v59, v112, -v54
	v_fmac_f32_e32 v133, v60, v112
	v_add_f32_e32 v51, v51, v55
	v_add_f32_e32 v52, v52, v132
	v_mul_f32_e32 v55, v64, v95
	s_waitcnt vmcnt(15)
	v_fma_f32 v53, v61, v113, -v53
	v_fmac_f32_e32 v134, v62, v113
	v_add_f32_e32 v51, v51, v54
	v_add_f32_e32 v52, v52, v133
	v_mul_f32_e32 v54, v66, v96
	s_waitcnt vmcnt(14)
	v_fma_f32 v55, v63, v114, -v55
	v_fmac_f32_e32 v135, v64, v114
	v_add_f32_e32 v51, v51, v53
	v_add_f32_e32 v52, v52, v134
	v_mul_f32_e32 v53, v68, v97
	s_waitcnt vmcnt(13)
	v_fma_f32 v54, v65, v115, -v54
	v_fmac_f32_e32 v136, v66, v115
	v_add_f32_e32 v51, v51, v55
	v_add_f32_e32 v52, v52, v135
	v_mul_f32_e32 v55, v70, v98
	s_waitcnt vmcnt(12)
	v_fma_f32 v53, v67, v116, -v53
	v_fmac_f32_e32 v137, v68, v116
	v_add_f32_e32 v51, v51, v54
	v_add_f32_e32 v52, v52, v136
	v_mul_f32_e32 v54, v72, v99
	s_waitcnt vmcnt(11)
	v_fma_f32 v55, v69, v117, -v55
	v_fmac_f32_e32 v138, v70, v117
	v_add_f32_e32 v51, v51, v53
	v_add_f32_e32 v52, v52, v137
	v_mul_f32_e32 v53, v74, v100
	s_waitcnt vmcnt(10)
	v_fma_f32 v54, v71, v118, -v54
	v_fmac_f32_e32 v139, v72, v118
	v_add_f32_e32 v51, v51, v55
	v_add_f32_e32 v52, v52, v138
	v_mul_f32_e32 v55, v76, v101
	s_waitcnt vmcnt(9)
	v_fma_f32 v53, v73, v119, -v53
	v_fmac_f32_e32 v140, v74, v119
	v_add_f32_e32 v51, v51, v54
	v_add_f32_e32 v52, v52, v139
	v_mul_f32_e32 v54, v78, v102
	s_waitcnt vmcnt(8)
	v_fma_f32 v55, v75, v120, -v55
	v_fmac_f32_e32 v141, v76, v120
	v_add_f32_e32 v51, v51, v53
	v_add_f32_e32 v52, v52, v140
	v_mul_f32_e32 v53, v80, v103
	s_waitcnt vmcnt(7)
	v_fma_f32 v54, v77, v121, -v54
	v_fmac_f32_e32 v142, v78, v121
	v_add_f32_e32 v51, v51, v55
	v_add_f32_e32 v52, v52, v141
	v_mul_f32_e32 v55, v82, v104
	s_waitcnt vmcnt(6)
	v_fma_f32 v53, v79, v122, -v53
	v_fmac_f32_e32 v143, v80, v122
	v_add_f32_e32 v51, v51, v54
	v_add_f32_e32 v52, v52, v142
	v_mul_f32_e32 v54, v84, v105
	s_waitcnt vmcnt(5)
	v_fma_f32 v55, v81, v123, -v55
	v_fmac_f32_e32 v144, v82, v123
	v_add_f32_e32 v51, v51, v53
	v_add_f32_e32 v52, v52, v143
	v_mul_f32_e32 v53, v86, v106
	s_waitcnt vmcnt(4)
	v_fma_f32 v54, v83, v124, -v54
	v_mul_f32_e32 v146, v85, v106
	v_add_f32_e32 v51, v51, v55
	v_fmac_f32_e32 v145, v84, v124
	v_add_f32_e32 v52, v52, v144
	s_waitcnt lgkmcnt(0)
	v_mul_f32_e32 v55, v88, v107
	s_waitcnt vmcnt(3)
	v_fma_f32 v53, v85, v125, -v53
	v_add_f32_e32 v51, v51, v54
	v_mul_f32_e32 v147, v87, v107
	v_fmac_f32_e32 v146, v86, v125
	v_add_f32_e32 v52, v52, v145
	s_waitcnt vmcnt(2)
	v_fma_f32 v54, v87, v126, -v55
	v_add_f32_e32 v51, v51, v53
	v_fmac_f32_e32 v147, v88, v126
	v_add_f32_e32 v52, v52, v146
	v_add_f32_e32 v51, v51, v54
	v_add_f32_e32 v52, v52, v147
	s_waitcnt vmcnt(1)
	v_sub_f32_e32 v51, v127, v51
	s_waitcnt vmcnt(0)
	v_sub_f32_e32 v52, v128, v52
	buffer_store_dword v51, off, s[0:3], 0 offset:32
	buffer_store_dword v52, off, s[0:3], 0 offset:36
	v_cmpx_lt_u32_e32 3, v0
	s_cbranch_execz .LBB23_151
; %bb.150:
	s_clause 0x1
	buffer_load_dword v51, off, s[0:3], 0 offset:24
	buffer_load_dword v52, off, s[0:3], 0 offset:28
	buffer_store_dword v50, off, s[0:3], 0 offset:24
	buffer_store_dword v50, off, s[0:3], 0 offset:28
	s_waitcnt vmcnt(0)
	ds_write_b64 v49, v[51:52]
.LBB23_151:
	s_or_b32 exec_lo, exec_lo, s4
	s_waitcnt lgkmcnt(0)
	s_waitcnt_vscnt null, 0x0
	s_barrier
	buffer_gl0_inv
	s_clause 0x29
	buffer_load_dword v91, off, s[0:3], 0 offset:36
	buffer_load_dword v92, off, s[0:3], 0 offset:44
	;; [unrolled: 1-line block ×42, first 2 shown]
	ds_read_b128 v[51:54], v50 offset:224
	ds_read_b128 v[55:58], v50 offset:240
	;; [unrolled: 1-line block ×10, first 2 shown]
	s_mov_b32 s4, exec_lo
	s_waitcnt vmcnt(41) lgkmcnt(9)
	v_mul_f32_e32 v50, v51, v91
	v_mul_f32_e32 v91, v52, v91
	s_waitcnt vmcnt(40)
	v_mul_f32_e32 v133, v53, v92
	v_mul_f32_e32 v92, v54, v92
	s_waitcnt vmcnt(39) lgkmcnt(8)
	v_mul_f32_e32 v134, v55, v93
	s_waitcnt vmcnt(38)
	v_mul_f32_e32 v135, v57, v94
	s_waitcnt vmcnt(37) lgkmcnt(7)
	v_mul_f32_e32 v136, v59, v95
	s_waitcnt vmcnt(36)
	;; [unrolled: 4-line block ×8, first 2 shown]
	v_mul_f32_e32 v149, v85, v108
	s_waitcnt vmcnt(21)
	v_fma_f32 v51, v51, v111, -v91
	v_fmac_f32_e32 v50, v52, v111
	v_mul_f32_e32 v52, v56, v93
	s_waitcnt vmcnt(20)
	v_fma_f32 v53, v53, v112, -v92
	v_fmac_f32_e32 v133, v54, v112
	v_add_f32_e32 v51, 0, v51
	v_add_f32_e32 v50, 0, v50
	v_mul_f32_e32 v54, v58, v94
	s_waitcnt vmcnt(19)
	v_fma_f32 v52, v55, v113, -v52
	v_fmac_f32_e32 v134, v56, v113
	v_add_f32_e32 v51, v51, v53
	v_add_f32_e32 v50, v50, v133
	;; [unrolled: 6-line block ×16, first 2 shown]
	s_waitcnt lgkmcnt(0)
	v_mul_f32_e32 v54, v88, v109
	s_waitcnt vmcnt(4)
	v_fma_f32 v52, v85, v128, -v52
	v_mul_f32_e32 v150, v87, v109
	v_add_f32_e32 v51, v51, v53
	v_fmac_f32_e32 v149, v86, v128
	v_add_f32_e32 v50, v50, v148
	v_mul_f32_e32 v53, v90, v110
	s_waitcnt vmcnt(3)
	v_fma_f32 v54, v87, v129, -v54
	v_add_f32_e32 v51, v51, v52
	v_mul_f32_e32 v151, v89, v110
	v_fmac_f32_e32 v150, v88, v129
	v_add_f32_e32 v50, v50, v149
	s_waitcnt vmcnt(2)
	v_fma_f32 v52, v89, v130, -v53
	v_add_f32_e32 v51, v51, v54
	v_fmac_f32_e32 v151, v90, v130
	v_add_f32_e32 v50, v50, v150
	v_add_f32_e32 v51, v51, v52
	;; [unrolled: 1-line block ×3, first 2 shown]
	s_waitcnt vmcnt(1)
	v_sub_f32_e32 v51, v131, v51
	s_waitcnt vmcnt(0)
	v_sub_f32_e32 v50, v132, v50
	buffer_store_dword v51, off, s[0:3], 0 offset:24
	buffer_store_dword v50, off, s[0:3], 0 offset:28
	v_cmpx_lt_u32_e32 2, v0
	s_cbranch_execz .LBB23_153
; %bb.152:
	s_clause 0x1
	buffer_load_dword v50, off, s[0:3], 0 offset:16
	buffer_load_dword v51, off, s[0:3], 0 offset:20
	v_mov_b32_e32 v52, 0
	buffer_store_dword v52, off, s[0:3], 0 offset:16
	buffer_store_dword v52, off, s[0:3], 0 offset:20
	s_waitcnt vmcnt(0)
	ds_write_b64 v49, v[50:51]
.LBB23_153:
	s_or_b32 exec_lo, exec_lo, s4
	s_waitcnt lgkmcnt(0)
	s_waitcnt_vscnt null, 0x0
	s_barrier
	buffer_gl0_inv
	s_clause 0x2b
	buffer_load_dword v93, off, s[0:3], 0 offset:28
	buffer_load_dword v94, off, s[0:3], 0 offset:36
	buffer_load_dword v95, off, s[0:3], 0 offset:44
	buffer_load_dword v96, off, s[0:3], 0 offset:52
	buffer_load_dword v97, off, s[0:3], 0 offset:60
	buffer_load_dword v98, off, s[0:3], 0 offset:68
	buffer_load_dword v99, off, s[0:3], 0 offset:76
	buffer_load_dword v100, off, s[0:3], 0 offset:84
	buffer_load_dword v101, off, s[0:3], 0 offset:92
	buffer_load_dword v102, off, s[0:3], 0 offset:100
	buffer_load_dword v103, off, s[0:3], 0 offset:108
	buffer_load_dword v104, off, s[0:3], 0 offset:116
	buffer_load_dword v105, off, s[0:3], 0 offset:124
	buffer_load_dword v106, off, s[0:3], 0 offset:132
	buffer_load_dword v107, off, s[0:3], 0 offset:140
	buffer_load_dword v108, off, s[0:3], 0 offset:148
	buffer_load_dword v109, off, s[0:3], 0 offset:156
	buffer_load_dword v110, off, s[0:3], 0 offset:164
	buffer_load_dword v111, off, s[0:3], 0 offset:172
	buffer_load_dword v112, off, s[0:3], 0 offset:180
	buffer_load_dword v113, off, s[0:3], 0 offset:188
	buffer_load_dword v114, off, s[0:3], 0 offset:24
	buffer_load_dword v115, off, s[0:3], 0 offset:32
	buffer_load_dword v116, off, s[0:3], 0 offset:40
	buffer_load_dword v117, off, s[0:3], 0 offset:48
	buffer_load_dword v118, off, s[0:3], 0 offset:56
	buffer_load_dword v119, off, s[0:3], 0 offset:64
	buffer_load_dword v120, off, s[0:3], 0 offset:72
	buffer_load_dword v121, off, s[0:3], 0 offset:80
	buffer_load_dword v122, off, s[0:3], 0 offset:88
	buffer_load_dword v123, off, s[0:3], 0 offset:96
	buffer_load_dword v124, off, s[0:3], 0 offset:104
	buffer_load_dword v125, off, s[0:3], 0 offset:112
	buffer_load_dword v126, off, s[0:3], 0 offset:120
	buffer_load_dword v127, off, s[0:3], 0 offset:128
	buffer_load_dword v128, off, s[0:3], 0 offset:136
	buffer_load_dword v129, off, s[0:3], 0 offset:144
	buffer_load_dword v130, off, s[0:3], 0 offset:152
	buffer_load_dword v131, off, s[0:3], 0 offset:160
	buffer_load_dword v132, off, s[0:3], 0 offset:168
	buffer_load_dword v133, off, s[0:3], 0 offset:176
	buffer_load_dword v134, off, s[0:3], 0 offset:184
	buffer_load_dword v135, off, s[0:3], 0 offset:16
	buffer_load_dword v136, off, s[0:3], 0 offset:20
	v_mov_b32_e32 v50, 0
	ds_read2_b64 v[51:54], v50 offset0:27 offset1:28
	ds_read2_b64 v[55:58], v50 offset0:29 offset1:30
	;; [unrolled: 1-line block ×10, first 2 shown]
	ds_read_b64 v[91:92], v50 offset:376
	s_mov_b32 s4, exec_lo
	s_waitcnt vmcnt(43) lgkmcnt(10)
	v_mul_f32_e32 v137, v51, v93
	v_mul_f32_e32 v93, v52, v93
	s_waitcnt vmcnt(42)
	v_mul_f32_e32 v138, v53, v94
	v_mul_f32_e32 v94, v54, v94
	s_waitcnt vmcnt(41) lgkmcnt(9)
	v_mul_f32_e32 v139, v55, v95
	s_waitcnt vmcnt(40)
	v_mul_f32_e32 v140, v57, v96
	s_waitcnt vmcnt(39) lgkmcnt(8)
	v_mul_f32_e32 v141, v59, v97
	s_waitcnt vmcnt(38)
	;; [unrolled: 4-line block ×9, first 2 shown]
	v_fma_f32 v51, v51, v114, -v93
	v_fmac_f32_e32 v137, v52, v114
	v_mul_f32_e32 v52, v56, v95
	s_waitcnt vmcnt(21)
	v_fma_f32 v53, v53, v115, -v94
	v_fmac_f32_e32 v138, v54, v115
	v_add_f32_e32 v51, 0, v51
	v_add_f32_e32 v54, 0, v137
	v_mul_f32_e32 v93, v58, v96
	s_waitcnt vmcnt(20)
	v_fma_f32 v52, v55, v116, -v52
	v_fmac_f32_e32 v139, v56, v116
	v_add_f32_e32 v51, v51, v53
	v_add_f32_e32 v53, v54, v138
	;; [unrolled: 6-line block ×17, first 2 shown]
	v_mul_f32_e32 v54, v90, v112
	s_waitcnt vmcnt(4)
	v_fma_f32 v55, v87, v132, -v55
	v_mul_f32_e32 v156, v89, v112
	v_add_f32_e32 v51, v51, v53
	v_fmac_f32_e32 v155, v88, v132
	v_add_f32_e32 v52, v52, v154
	s_waitcnt lgkmcnt(0)
	v_mul_f32_e32 v53, v92, v113
	s_waitcnt vmcnt(3)
	v_fma_f32 v54, v89, v133, -v54
	v_add_f32_e32 v51, v51, v55
	v_mul_f32_e32 v157, v91, v113
	v_fmac_f32_e32 v156, v90, v133
	v_add_f32_e32 v52, v52, v155
	s_waitcnt vmcnt(2)
	v_fma_f32 v53, v91, v134, -v53
	v_add_f32_e32 v51, v51, v54
	v_fmac_f32_e32 v157, v92, v134
	v_add_f32_e32 v52, v52, v156
	v_add_f32_e32 v51, v51, v53
	;; [unrolled: 1-line block ×3, first 2 shown]
	s_waitcnt vmcnt(1)
	v_sub_f32_e32 v51, v135, v51
	s_waitcnt vmcnt(0)
	v_sub_f32_e32 v52, v136, v52
	buffer_store_dword v51, off, s[0:3], 0 offset:16
	buffer_store_dword v52, off, s[0:3], 0 offset:20
	v_cmpx_lt_u32_e32 1, v0
	s_cbranch_execz .LBB23_155
; %bb.154:
	s_clause 0x1
	buffer_load_dword v51, off, s[0:3], 0 offset:8
	buffer_load_dword v52, off, s[0:3], 0 offset:12
	buffer_store_dword v50, off, s[0:3], 0 offset:8
	buffer_store_dword v50, off, s[0:3], 0 offset:12
	s_waitcnt vmcnt(0)
	ds_write_b64 v49, v[51:52]
.LBB23_155:
	s_or_b32 exec_lo, exec_lo, s4
	s_waitcnt lgkmcnt(0)
	s_waitcnt_vscnt null, 0x0
	s_barrier
	buffer_gl0_inv
	s_clause 0x2d
	buffer_load_dword v95, off, s[0:3], 0 offset:20
	buffer_load_dword v96, off, s[0:3], 0 offset:28
	;; [unrolled: 1-line block ×46, first 2 shown]
	ds_read_b128 v[51:54], v50 offset:208
	ds_read_b128 v[55:58], v50 offset:224
	;; [unrolled: 1-line block ×11, first 2 shown]
	s_mov_b32 s4, exec_lo
	s_waitcnt vmcnt(45) lgkmcnt(10)
	v_mul_f32_e32 v50, v51, v95
	v_mul_f32_e32 v95, v52, v95
	s_waitcnt vmcnt(44)
	v_mul_f32_e32 v141, v53, v96
	v_mul_f32_e32 v96, v54, v96
	s_waitcnt vmcnt(43) lgkmcnt(9)
	v_mul_f32_e32 v142, v55, v97
	s_waitcnt vmcnt(42)
	v_mul_f32_e32 v143, v57, v98
	s_waitcnt vmcnt(41) lgkmcnt(8)
	v_mul_f32_e32 v144, v59, v99
	s_waitcnt vmcnt(40)
	v_mul_f32_e32 v145, v61, v100
	s_waitcnt vmcnt(39) lgkmcnt(7)
	v_mul_f32_e32 v146, v63, v101
	s_waitcnt vmcnt(38)
	v_mul_f32_e32 v147, v65, v102
	s_waitcnt vmcnt(37) lgkmcnt(6)
	v_mul_f32_e32 v148, v67, v103
	s_waitcnt vmcnt(36)
	v_mul_f32_e32 v149, v69, v104
	s_waitcnt vmcnt(35) lgkmcnt(5)
	v_mul_f32_e32 v150, v71, v105
	s_waitcnt vmcnt(34)
	v_mul_f32_e32 v151, v73, v106
	s_waitcnt vmcnt(33) lgkmcnt(4)
	v_mul_f32_e32 v152, v75, v107
	s_waitcnt vmcnt(32)
	v_mul_f32_e32 v153, v77, v108
	s_waitcnt vmcnt(31) lgkmcnt(3)
	v_mul_f32_e32 v154, v79, v109
	s_waitcnt vmcnt(30)
	v_mul_f32_e32 v155, v81, v110
	s_waitcnt vmcnt(29) lgkmcnt(2)
	v_mul_f32_e32 v156, v83, v111
	s_waitcnt vmcnt(28)
	v_mul_f32_e32 v157, v85, v112
	s_waitcnt vmcnt(27) lgkmcnt(1)
	v_mul_f32_e32 v158, v87, v113
	s_waitcnt vmcnt(26)
	v_mul_f32_e32 v159, v89, v114
	s_waitcnt vmcnt(23)
	v_fma_f32 v51, v51, v117, -v95
	v_fmac_f32_e32 v50, v52, v117
	v_mul_f32_e32 v52, v56, v97
	s_waitcnt vmcnt(22)
	v_fma_f32 v53, v53, v118, -v96
	v_fmac_f32_e32 v141, v54, v118
	v_add_f32_e32 v51, 0, v51
	v_add_f32_e32 v50, 0, v50
	v_mul_f32_e32 v54, v58, v98
	s_waitcnt vmcnt(21)
	v_fma_f32 v52, v55, v119, -v52
	v_fmac_f32_e32 v142, v56, v119
	v_add_f32_e32 v51, v51, v53
	v_add_f32_e32 v50, v50, v141
	;; [unrolled: 6-line block ×18, first 2 shown]
	s_waitcnt lgkmcnt(0)
	v_mul_f32_e32 v52, v92, v115
	s_waitcnt vmcnt(4)
	v_fma_f32 v53, v89, v136, -v53
	v_mul_f32_e32 v160, v91, v115
	v_add_f32_e32 v51, v51, v54
	v_fmac_f32_e32 v159, v90, v136
	v_add_f32_e32 v50, v50, v158
	v_mul_f32_e32 v54, v94, v116
	s_waitcnt vmcnt(3)
	v_fma_f32 v52, v91, v137, -v52
	v_add_f32_e32 v51, v51, v53
	v_mul_f32_e32 v161, v93, v116
	v_fmac_f32_e32 v160, v92, v137
	v_add_f32_e32 v50, v50, v159
	s_waitcnt vmcnt(2)
	v_fma_f32 v53, v93, v138, -v54
	v_add_f32_e32 v51, v51, v52
	v_fmac_f32_e32 v161, v94, v138
	v_add_f32_e32 v50, v50, v160
	v_add_f32_e32 v51, v51, v53
	;; [unrolled: 1-line block ×3, first 2 shown]
	s_waitcnt vmcnt(1)
	v_sub_f32_e32 v51, v139, v51
	s_waitcnt vmcnt(0)
	v_sub_f32_e32 v50, v140, v50
	buffer_store_dword v51, off, s[0:3], 0 offset:8
	buffer_store_dword v50, off, s[0:3], 0 offset:12
	v_cmpx_ne_u32_e32 0, v0
	s_cbranch_execz .LBB23_157
; %bb.156:
	s_clause 0x1
	buffer_load_dword v50, off, s[0:3], 0
	buffer_load_dword v51, off, s[0:3], 0 offset:4
	v_mov_b32_e32 v0, 0
	buffer_store_dword v0, off, s[0:3], 0
	buffer_store_dword v0, off, s[0:3], 0 offset:4
	s_waitcnt vmcnt(0)
	ds_write_b64 v49, v[50:51]
.LBB23_157:
	s_or_b32 exec_lo, exec_lo, s4
	s_waitcnt lgkmcnt(0)
	s_waitcnt_vscnt null, 0x0
	s_barrier
	buffer_gl0_inv
	s_clause 0x2f
	buffer_load_dword v95, off, s[0:3], 0 offset:12
	buffer_load_dword v96, off, s[0:3], 0 offset:20
	;; [unrolled: 1-line block ×46, first 2 shown]
	buffer_load_dword v141, off, s[0:3], 0
	buffer_load_dword v142, off, s[0:3], 0 offset:4
	v_mov_b32_e32 v0, 0
	ds_read2_b64 v[49:52], v0 offset0:25 offset1:26
	ds_read2_b64 v[53:56], v0 offset0:27 offset1:28
	;; [unrolled: 1-line block ×11, first 2 shown]
	ds_read_b64 v[93:94], v0 offset:376
	s_and_b32 vcc_lo, exec_lo, s22
	s_waitcnt vmcnt(47) lgkmcnt(11)
	v_mul_f32_e32 v143, v49, v95
	v_mul_f32_e32 v95, v50, v95
	s_waitcnt vmcnt(46)
	v_mul_f32_e32 v144, v51, v96
	v_mul_f32_e32 v96, v52, v96
	s_waitcnt vmcnt(45) lgkmcnt(10)
	v_mul_f32_e32 v145, v53, v97
	s_waitcnt vmcnt(44)
	v_mul_f32_e32 v146, v55, v98
	s_waitcnt vmcnt(43) lgkmcnt(9)
	v_mul_f32_e32 v147, v57, v99
	s_waitcnt vmcnt(42)
	;; [unrolled: 4-line block ×10, first 2 shown]
	v_fma_f32 v49, v49, v118, -v95
	v_fmac_f32_e32 v143, v50, v118
	v_mul_f32_e32 v50, v54, v97
	s_waitcnt vmcnt(23)
	v_fma_f32 v51, v51, v119, -v96
	v_fmac_f32_e32 v144, v52, v119
	v_add_f32_e32 v49, 0, v49
	v_add_f32_e32 v52, 0, v143
	v_mul_f32_e32 v95, v56, v98
	s_waitcnt vmcnt(22)
	v_fma_f32 v50, v53, v120, -v50
	v_fmac_f32_e32 v145, v54, v120
	v_add_f32_e32 v49, v49, v51
	v_add_f32_e32 v51, v52, v144
	v_mul_f32_e32 v52, v58, v99
	s_waitcnt vmcnt(21)
	v_fma_f32 v53, v55, v121, -v95
	v_fmac_f32_e32 v146, v56, v121
	v_add_f32_e32 v49, v49, v50
	v_add_f32_e32 v50, v51, v145
	v_mul_f32_e32 v51, v60, v100
	s_waitcnt vmcnt(20)
	v_fma_f32 v52, v57, v122, -v52
	v_fmac_f32_e32 v147, v58, v122
	v_add_f32_e32 v49, v49, v53
	v_add_f32_e32 v50, v50, v146
	v_mul_f32_e32 v53, v62, v101
	s_waitcnt vmcnt(19)
	v_fma_f32 v51, v59, v123, -v51
	v_fmac_f32_e32 v148, v60, v123
	v_add_f32_e32 v49, v49, v52
	v_add_f32_e32 v50, v50, v147
	v_mul_f32_e32 v52, v64, v102
	s_waitcnt vmcnt(18)
	v_fma_f32 v53, v61, v124, -v53
	v_fmac_f32_e32 v149, v62, v124
	v_add_f32_e32 v49, v49, v51
	v_add_f32_e32 v50, v50, v148
	v_mul_f32_e32 v51, v66, v103
	s_waitcnt vmcnt(17)
	v_fma_f32 v52, v63, v125, -v52
	v_fmac_f32_e32 v150, v64, v125
	v_add_f32_e32 v49, v49, v53
	v_add_f32_e32 v50, v50, v149
	v_mul_f32_e32 v53, v68, v104
	s_waitcnt vmcnt(16)
	v_fma_f32 v51, v65, v126, -v51
	v_fmac_f32_e32 v151, v66, v126
	v_add_f32_e32 v49, v49, v52
	v_add_f32_e32 v50, v50, v150
	v_mul_f32_e32 v52, v70, v105
	s_waitcnt vmcnt(15)
	v_fma_f32 v53, v67, v127, -v53
	v_fmac_f32_e32 v152, v68, v127
	v_add_f32_e32 v49, v49, v51
	v_add_f32_e32 v50, v50, v151
	v_mul_f32_e32 v51, v72, v106
	s_waitcnt vmcnt(14)
	v_fma_f32 v52, v69, v128, -v52
	v_fmac_f32_e32 v153, v70, v128
	v_add_f32_e32 v49, v49, v53
	v_add_f32_e32 v50, v50, v152
	v_mul_f32_e32 v53, v74, v107
	s_waitcnt vmcnt(13)
	v_fma_f32 v51, v71, v129, -v51
	v_fmac_f32_e32 v154, v72, v129
	v_add_f32_e32 v49, v49, v52
	v_add_f32_e32 v50, v50, v153
	v_mul_f32_e32 v52, v76, v108
	s_waitcnt vmcnt(12)
	v_fma_f32 v53, v73, v130, -v53
	v_fmac_f32_e32 v155, v74, v130
	v_add_f32_e32 v49, v49, v51
	v_add_f32_e32 v50, v50, v154
	v_mul_f32_e32 v51, v78, v109
	s_waitcnt vmcnt(11)
	v_fma_f32 v52, v75, v131, -v52
	v_fmac_f32_e32 v156, v76, v131
	v_add_f32_e32 v49, v49, v53
	v_add_f32_e32 v50, v50, v155
	v_mul_f32_e32 v53, v80, v110
	s_waitcnt vmcnt(10)
	v_fma_f32 v51, v77, v132, -v51
	v_fmac_f32_e32 v157, v78, v132
	v_add_f32_e32 v49, v49, v52
	v_add_f32_e32 v50, v50, v156
	v_mul_f32_e32 v52, v82, v111
	s_waitcnt vmcnt(9)
	v_fma_f32 v53, v79, v133, -v53
	v_fmac_f32_e32 v158, v80, v133
	v_add_f32_e32 v49, v49, v51
	v_add_f32_e32 v50, v50, v157
	v_mul_f32_e32 v51, v84, v112
	s_waitcnt vmcnt(8)
	v_fma_f32 v52, v81, v134, -v52
	v_fmac_f32_e32 v159, v82, v134
	v_add_f32_e32 v49, v49, v53
	v_add_f32_e32 v50, v50, v158
	v_mul_f32_e32 v53, v86, v113
	s_waitcnt vmcnt(7)
	v_fma_f32 v51, v83, v135, -v51
	v_fmac_f32_e32 v160, v84, v135
	v_add_f32_e32 v49, v49, v52
	v_add_f32_e32 v50, v50, v159
	v_mul_f32_e32 v52, v88, v114
	s_waitcnt vmcnt(6)
	v_fma_f32 v53, v85, v136, -v53
	v_fmac_f32_e32 v161, v86, v136
	v_add_f32_e32 v49, v49, v51
	v_add_f32_e32 v50, v50, v160
	v_mul_f32_e32 v51, v90, v115
	s_waitcnt vmcnt(5)
	v_fma_f32 v52, v87, v137, -v52
	v_fmac_f32_e32 v162, v88, v137
	v_add_f32_e32 v49, v49, v53
	v_add_f32_e32 v50, v50, v161
	v_mul_f32_e32 v53, v92, v116
	s_waitcnt vmcnt(4)
	v_fma_f32 v51, v89, v138, -v51
	v_mul_f32_e32 v164, v91, v116
	v_add_f32_e32 v49, v49, v52
	v_fmac_f32_e32 v163, v90, v138
	v_add_f32_e32 v50, v50, v162
	s_waitcnt lgkmcnt(0)
	v_mul_f32_e32 v52, v94, v117
	s_waitcnt vmcnt(3)
	v_fma_f32 v53, v91, v139, -v53
	v_add_f32_e32 v49, v49, v51
	v_mul_f32_e32 v165, v93, v117
	v_fmac_f32_e32 v164, v92, v139
	v_add_f32_e32 v50, v50, v163
	s_waitcnt vmcnt(2)
	v_fma_f32 v51, v93, v140, -v52
	v_add_f32_e32 v49, v49, v53
	v_fmac_f32_e32 v165, v94, v140
	v_add_f32_e32 v50, v50, v164
	v_add_f32_e32 v49, v49, v51
	;; [unrolled: 1-line block ×3, first 2 shown]
	s_waitcnt vmcnt(1)
	v_sub_f32_e32 v49, v141, v49
	s_waitcnt vmcnt(0)
	v_sub_f32_e32 v50, v142, v50
	buffer_store_dword v49, off, s[0:3], 0
	buffer_store_dword v50, off, s[0:3], 0 offset:4
	s_cbranch_vccz .LBB23_204
; %bb.158:
	global_load_dword v0, v0, s[20:21] offset:88
	s_waitcnt vmcnt(0)
	v_add_nc_u32_e32 v0, -1, v0
	v_cmp_ne_u32_e32 vcc_lo, 22, v0
	s_cbranch_vccz .LBB23_160
; %bb.159:
	v_lshlrev_b32_e32 v0, 3, v0
	s_clause 0x3
	buffer_load_dword v49, v0, s[0:3], 0 offen
	buffer_load_dword v50, v0, s[0:3], 0 offen offset:4
	buffer_load_dword v51, off, s[0:3], 0 offset:180
	buffer_load_dword v52, off, s[0:3], 0 offset:176
	s_waitcnt vmcnt(3)
	buffer_store_dword v49, off, s[0:3], 0 offset:176
	s_waitcnt vmcnt(2)
	buffer_store_dword v50, off, s[0:3], 0 offset:180
	s_waitcnt vmcnt(1)
	buffer_store_dword v51, v0, s[0:3], 0 offen offset:4
	s_waitcnt vmcnt(0)
	buffer_store_dword v52, v0, s[0:3], 0 offen
.LBB23_160:
	v_mov_b32_e32 v0, 0
	global_load_dword v49, v0, s[20:21] offset:84
	s_waitcnt vmcnt(0)
	v_add_nc_u32_e32 v49, -1, v49
	v_cmp_eq_u32_e32 vcc_lo, 21, v49
	s_cbranch_vccnz .LBB23_162
; %bb.161:
	v_lshlrev_b32_e32 v49, 3, v49
	s_clause 0x3
	buffer_load_dword v50, v49, s[0:3], 0 offen
	buffer_load_dword v51, v49, s[0:3], 0 offen offset:4
	buffer_load_dword v52, off, s[0:3], 0 offset:168
	buffer_load_dword v53, off, s[0:3], 0 offset:172
	s_waitcnt vmcnt(3)
	buffer_store_dword v50, off, s[0:3], 0 offset:168
	s_waitcnt vmcnt(2)
	buffer_store_dword v51, off, s[0:3], 0 offset:172
	s_waitcnt vmcnt(1)
	buffer_store_dword v52, v49, s[0:3], 0 offen
	s_waitcnt vmcnt(0)
	buffer_store_dword v53, v49, s[0:3], 0 offen offset:4
.LBB23_162:
	global_load_dword v0, v0, s[20:21] offset:80
	s_waitcnt vmcnt(0)
	v_add_nc_u32_e32 v0, -1, v0
	v_cmp_eq_u32_e32 vcc_lo, 20, v0
	s_cbranch_vccnz .LBB23_164
; %bb.163:
	v_lshlrev_b32_e32 v0, 3, v0
	s_clause 0x3
	buffer_load_dword v49, v0, s[0:3], 0 offen
	buffer_load_dword v50, v0, s[0:3], 0 offen offset:4
	buffer_load_dword v51, off, s[0:3], 0 offset:164
	buffer_load_dword v52, off, s[0:3], 0 offset:160
	s_waitcnt vmcnt(3)
	buffer_store_dword v49, off, s[0:3], 0 offset:160
	s_waitcnt vmcnt(2)
	buffer_store_dword v50, off, s[0:3], 0 offset:164
	s_waitcnt vmcnt(1)
	buffer_store_dword v51, v0, s[0:3], 0 offen offset:4
	s_waitcnt vmcnt(0)
	buffer_store_dword v52, v0, s[0:3], 0 offen
.LBB23_164:
	v_mov_b32_e32 v0, 0
	global_load_dword v49, v0, s[20:21] offset:76
	s_waitcnt vmcnt(0)
	v_add_nc_u32_e32 v49, -1, v49
	v_cmp_eq_u32_e32 vcc_lo, 19, v49
	s_cbranch_vccnz .LBB23_166
; %bb.165:
	v_lshlrev_b32_e32 v49, 3, v49
	s_clause 0x3
	buffer_load_dword v50, v49, s[0:3], 0 offen
	buffer_load_dword v51, v49, s[0:3], 0 offen offset:4
	buffer_load_dword v52, off, s[0:3], 0 offset:152
	buffer_load_dword v53, off, s[0:3], 0 offset:156
	s_waitcnt vmcnt(3)
	buffer_store_dword v50, off, s[0:3], 0 offset:152
	s_waitcnt vmcnt(2)
	buffer_store_dword v51, off, s[0:3], 0 offset:156
	s_waitcnt vmcnt(1)
	buffer_store_dword v52, v49, s[0:3], 0 offen
	s_waitcnt vmcnt(0)
	buffer_store_dword v53, v49, s[0:3], 0 offen offset:4
.LBB23_166:
	global_load_dword v0, v0, s[20:21] offset:72
	s_waitcnt vmcnt(0)
	v_add_nc_u32_e32 v0, -1, v0
	v_cmp_eq_u32_e32 vcc_lo, 18, v0
	s_cbranch_vccnz .LBB23_168
; %bb.167:
	v_lshlrev_b32_e32 v0, 3, v0
	s_clause 0x3
	buffer_load_dword v49, v0, s[0:3], 0 offen
	buffer_load_dword v50, v0, s[0:3], 0 offen offset:4
	buffer_load_dword v51, off, s[0:3], 0 offset:148
	buffer_load_dword v52, off, s[0:3], 0 offset:144
	s_waitcnt vmcnt(3)
	buffer_store_dword v49, off, s[0:3], 0 offset:144
	s_waitcnt vmcnt(2)
	buffer_store_dword v50, off, s[0:3], 0 offset:148
	s_waitcnt vmcnt(1)
	buffer_store_dword v51, v0, s[0:3], 0 offen offset:4
	s_waitcnt vmcnt(0)
	buffer_store_dword v52, v0, s[0:3], 0 offen
.LBB23_168:
	;; [unrolled: 43-line block ×10, first 2 shown]
	v_mov_b32_e32 v0, 0
	global_load_dword v49, v0, s[20:21] offset:4
	s_waitcnt vmcnt(0)
	v_add_nc_u32_e32 v49, -1, v49
	v_cmp_eq_u32_e32 vcc_lo, 1, v49
	s_cbranch_vccnz .LBB23_202
; %bb.201:
	v_lshlrev_b32_e32 v49, 3, v49
	s_clause 0x3
	buffer_load_dword v50, v49, s[0:3], 0 offen
	buffer_load_dword v51, v49, s[0:3], 0 offen offset:4
	buffer_load_dword v52, off, s[0:3], 0 offset:8
	buffer_load_dword v53, off, s[0:3], 0 offset:12
	s_waitcnt vmcnt(3)
	buffer_store_dword v50, off, s[0:3], 0 offset:8
	s_waitcnt vmcnt(2)
	buffer_store_dword v51, off, s[0:3], 0 offset:12
	s_waitcnt vmcnt(1)
	buffer_store_dword v52, v49, s[0:3], 0 offen
	s_waitcnt vmcnt(0)
	buffer_store_dword v53, v49, s[0:3], 0 offen offset:4
.LBB23_202:
	global_load_dword v0, v0, s[20:21]
	s_waitcnt vmcnt(0)
	v_add_nc_u32_e32 v0, -1, v0
	v_cmp_eq_u32_e32 vcc_lo, 0, v0
	s_cbranch_vccnz .LBB23_204
; %bb.203:
	v_lshlrev_b32_e32 v0, 3, v0
	s_clause 0x3
	buffer_load_dword v49, v0, s[0:3], 0 offen
	buffer_load_dword v50, v0, s[0:3], 0 offen offset:4
	buffer_load_dword v51, off, s[0:3], 0 offset:4
	buffer_load_dword v52, off, s[0:3], 0
	s_waitcnt vmcnt(3)
	buffer_store_dword v49, off, s[0:3], 0
	s_waitcnt vmcnt(2)
	buffer_store_dword v50, off, s[0:3], 0 offset:4
	s_waitcnt vmcnt(1)
	buffer_store_dword v51, v0, s[0:3], 0 offen offset:4
	s_waitcnt vmcnt(0)
	buffer_store_dword v52, v0, s[0:3], 0 offen
.LBB23_204:
	s_clause 0x2f
	buffer_load_dword v49, off, s[0:3], 0
	buffer_load_dword v50, off, s[0:3], 0 offset:4
	buffer_load_dword v51, off, s[0:3], 0 offset:8
	;; [unrolled: 1-line block ×47, first 2 shown]
	s_waitcnt vmcnt(46)
	global_store_dwordx2 v[1:2], v[49:50], off
	s_waitcnt vmcnt(44)
	global_store_dwordx2 v[3:4], v[51:52], off
	;; [unrolled: 2-line block ×9, first 2 shown]
	global_store_dwordx2 v[19:20], v[67:68], off
	global_store_dwordx2 v[21:22], v[69:70], off
	global_store_dwordx2 v[23:24], v[71:72], off
	s_waitcnt vmcnt(22)
	global_store_dwordx2 v[25:26], v[73:74], off
	s_waitcnt vmcnt(20)
	global_store_dwordx2 v[27:28], v[75:76], off
	s_waitcnt vmcnt(18)
	global_store_dwordx2 v[29:30], v[77:78], off
	s_waitcnt vmcnt(16)
	global_store_dwordx2 v[31:32], v[79:80], off
	s_waitcnt vmcnt(14)
	global_store_dwordx2 v[33:34], v[81:82], off
	s_waitcnt vmcnt(12)
	global_store_dwordx2 v[35:36], v[83:84], off
	s_waitcnt vmcnt(10)
	global_store_dwordx2 v[37:38], v[85:86], off
	s_waitcnt vmcnt(8)
	global_store_dwordx2 v[39:40], v[87:88], off
	s_waitcnt vmcnt(6)
	global_store_dwordx2 v[41:42], v[89:90], off
	s_waitcnt vmcnt(4)
	global_store_dwordx2 v[43:44], v[91:92], off
	s_waitcnt vmcnt(2)
	global_store_dwordx2 v[45:46], v[93:94], off
	s_waitcnt vmcnt(0)
	global_store_dwordx2 v[47:48], v[95:96], off
	s_endpgm
	.section	.rodata,"a",@progbits
	.p2align	6, 0x0
	.amdhsa_kernel _ZN9rocsolver6v33100L18getri_kernel_smallILi24E19rocblas_complex_numIfEPS3_EEvT1_iilPiilS6_bb
		.amdhsa_group_segment_fixed_size 388
		.amdhsa_private_segment_fixed_size 208
		.amdhsa_kernarg_size 60
		.amdhsa_user_sgpr_count 6
		.amdhsa_user_sgpr_private_segment_buffer 1
		.amdhsa_user_sgpr_dispatch_ptr 0
		.amdhsa_user_sgpr_queue_ptr 0
		.amdhsa_user_sgpr_kernarg_segment_ptr 1
		.amdhsa_user_sgpr_dispatch_id 0
		.amdhsa_user_sgpr_flat_scratch_init 0
		.amdhsa_user_sgpr_private_segment_size 0
		.amdhsa_wavefront_size32 1
		.amdhsa_uses_dynamic_stack 0
		.amdhsa_system_sgpr_private_segment_wavefront_offset 1
		.amdhsa_system_sgpr_workgroup_id_x 1
		.amdhsa_system_sgpr_workgroup_id_y 0
		.amdhsa_system_sgpr_workgroup_id_z 0
		.amdhsa_system_sgpr_workgroup_info 0
		.amdhsa_system_vgpr_workitem_id 0
		.amdhsa_next_free_vgpr 166
		.amdhsa_next_free_sgpr 23
		.amdhsa_reserve_vcc 1
		.amdhsa_reserve_flat_scratch 0
		.amdhsa_float_round_mode_32 0
		.amdhsa_float_round_mode_16_64 0
		.amdhsa_float_denorm_mode_32 3
		.amdhsa_float_denorm_mode_16_64 3
		.amdhsa_dx10_clamp 1
		.amdhsa_ieee_mode 1
		.amdhsa_fp16_overflow 0
		.amdhsa_workgroup_processor_mode 1
		.amdhsa_memory_ordered 1
		.amdhsa_forward_progress 1
		.amdhsa_shared_vgpr_count 0
		.amdhsa_exception_fp_ieee_invalid_op 0
		.amdhsa_exception_fp_denorm_src 0
		.amdhsa_exception_fp_ieee_div_zero 0
		.amdhsa_exception_fp_ieee_overflow 0
		.amdhsa_exception_fp_ieee_underflow 0
		.amdhsa_exception_fp_ieee_inexact 0
		.amdhsa_exception_int_div_zero 0
	.end_amdhsa_kernel
	.section	.text._ZN9rocsolver6v33100L18getri_kernel_smallILi24E19rocblas_complex_numIfEPS3_EEvT1_iilPiilS6_bb,"axG",@progbits,_ZN9rocsolver6v33100L18getri_kernel_smallILi24E19rocblas_complex_numIfEPS3_EEvT1_iilPiilS6_bb,comdat
.Lfunc_end23:
	.size	_ZN9rocsolver6v33100L18getri_kernel_smallILi24E19rocblas_complex_numIfEPS3_EEvT1_iilPiilS6_bb, .Lfunc_end23-_ZN9rocsolver6v33100L18getri_kernel_smallILi24E19rocblas_complex_numIfEPS3_EEvT1_iilPiilS6_bb
                                        ; -- End function
	.set _ZN9rocsolver6v33100L18getri_kernel_smallILi24E19rocblas_complex_numIfEPS3_EEvT1_iilPiilS6_bb.num_vgpr, 166
	.set _ZN9rocsolver6v33100L18getri_kernel_smallILi24E19rocblas_complex_numIfEPS3_EEvT1_iilPiilS6_bb.num_agpr, 0
	.set _ZN9rocsolver6v33100L18getri_kernel_smallILi24E19rocblas_complex_numIfEPS3_EEvT1_iilPiilS6_bb.numbered_sgpr, 23
	.set _ZN9rocsolver6v33100L18getri_kernel_smallILi24E19rocblas_complex_numIfEPS3_EEvT1_iilPiilS6_bb.num_named_barrier, 0
	.set _ZN9rocsolver6v33100L18getri_kernel_smallILi24E19rocblas_complex_numIfEPS3_EEvT1_iilPiilS6_bb.private_seg_size, 208
	.set _ZN9rocsolver6v33100L18getri_kernel_smallILi24E19rocblas_complex_numIfEPS3_EEvT1_iilPiilS6_bb.uses_vcc, 1
	.set _ZN9rocsolver6v33100L18getri_kernel_smallILi24E19rocblas_complex_numIfEPS3_EEvT1_iilPiilS6_bb.uses_flat_scratch, 0
	.set _ZN9rocsolver6v33100L18getri_kernel_smallILi24E19rocblas_complex_numIfEPS3_EEvT1_iilPiilS6_bb.has_dyn_sized_stack, 0
	.set _ZN9rocsolver6v33100L18getri_kernel_smallILi24E19rocblas_complex_numIfEPS3_EEvT1_iilPiilS6_bb.has_recursion, 0
	.set _ZN9rocsolver6v33100L18getri_kernel_smallILi24E19rocblas_complex_numIfEPS3_EEvT1_iilPiilS6_bb.has_indirect_call, 0
	.section	.AMDGPU.csdata,"",@progbits
; Kernel info:
; codeLenInByte = 30304
; TotalNumSgprs: 25
; NumVgprs: 166
; ScratchSize: 208
; MemoryBound: 0
; FloatMode: 240
; IeeeMode: 1
; LDSByteSize: 388 bytes/workgroup (compile time only)
; SGPRBlocks: 0
; VGPRBlocks: 20
; NumSGPRsForWavesPerEU: 25
; NumVGPRsForWavesPerEU: 166
; Occupancy: 5
; WaveLimiterHint : 1
; COMPUTE_PGM_RSRC2:SCRATCH_EN: 1
; COMPUTE_PGM_RSRC2:USER_SGPR: 6
; COMPUTE_PGM_RSRC2:TRAP_HANDLER: 0
; COMPUTE_PGM_RSRC2:TGID_X_EN: 1
; COMPUTE_PGM_RSRC2:TGID_Y_EN: 0
; COMPUTE_PGM_RSRC2:TGID_Z_EN: 0
; COMPUTE_PGM_RSRC2:TIDIG_COMP_CNT: 0
	.section	.text._ZN9rocsolver6v33100L18getri_kernel_smallILi25E19rocblas_complex_numIfEPS3_EEvT1_iilPiilS6_bb,"axG",@progbits,_ZN9rocsolver6v33100L18getri_kernel_smallILi25E19rocblas_complex_numIfEPS3_EEvT1_iilPiilS6_bb,comdat
	.globl	_ZN9rocsolver6v33100L18getri_kernel_smallILi25E19rocblas_complex_numIfEPS3_EEvT1_iilPiilS6_bb ; -- Begin function _ZN9rocsolver6v33100L18getri_kernel_smallILi25E19rocblas_complex_numIfEPS3_EEvT1_iilPiilS6_bb
	.p2align	8
	.type	_ZN9rocsolver6v33100L18getri_kernel_smallILi25E19rocblas_complex_numIfEPS3_EEvT1_iilPiilS6_bb,@function
_ZN9rocsolver6v33100L18getri_kernel_smallILi25E19rocblas_complex_numIfEPS3_EEvT1_iilPiilS6_bb: ; @_ZN9rocsolver6v33100L18getri_kernel_smallILi25E19rocblas_complex_numIfEPS3_EEvT1_iilPiilS6_bb
; %bb.0:
	s_add_u32 s0, s0, s7
	s_addc_u32 s1, s1, 0
	s_mov_b32 s7, exec_lo
	v_cmpx_gt_u32_e32 25, v0
	s_cbranch_execz .LBB24_114
; %bb.1:
	s_clause 0x2
	s_load_dword s7, s[4:5], 0x38
	s_load_dwordx4 s[16:19], s[4:5], 0x10
	s_load_dwordx4 s[8:11], s[4:5], 0x28
                                        ; implicit-def: $sgpr20_sgpr21
	s_waitcnt lgkmcnt(0)
	s_bitcmp1_b32 s7, 8
	s_cselect_b32 s22, -1, 0
	s_bfe_u32 s12, s7, 0x10008
	s_ashr_i32 s7, s6, 31
	s_cmp_eq_u32 s12, 0
	s_cbranch_scc1 .LBB24_3
; %bb.2:
	s_load_dword s12, s[4:5], 0x20
	s_mul_i32 s13, s8, s7
	s_mul_hi_u32 s14, s8, s6
	s_mul_i32 s9, s9, s6
	s_add_i32 s13, s14, s13
	s_mul_i32 s8, s8, s6
	s_add_i32 s9, s13, s9
	s_lshl_b64 s[8:9], s[8:9], 2
	s_waitcnt lgkmcnt(0)
	s_ashr_i32 s13, s12, 31
	s_add_u32 s14, s18, s8
	s_addc_u32 s15, s19, s9
	s_lshl_b64 s[8:9], s[12:13], 2
	s_add_u32 s20, s14, s8
	s_addc_u32 s21, s15, s9
.LBB24_3:
	s_clause 0x1
	s_load_dwordx4 s[12:15], s[4:5], 0x0
	s_load_dword s8, s[4:5], 0x38
	s_mul_i32 s4, s16, s7
	s_mul_hi_u32 s5, s16, s6
	s_mul_i32 s9, s17, s6
	s_add_i32 s5, s5, s4
	s_mul_i32 s4, s16, s6
	s_add_i32 s5, s5, s9
	v_lshlrev_b32_e32 v53, 3, v0
	s_lshl_b64 s[4:5], s[4:5], 3
	s_waitcnt lgkmcnt(0)
	v_add3_u32 v3, s15, s15, v0
	s_ashr_i32 s17, s14, 31
	s_mov_b32 s16, s14
	s_add_u32 s9, s12, s4
	s_addc_u32 s13, s13, s5
	v_add_nc_u32_e32 v5, s15, v3
	s_lshl_b64 s[4:5], s[16:17], 3
	v_ashrrev_i32_e32 v4, 31, v3
	s_add_u32 s4, s9, s4
	s_addc_u32 s5, s13, s5
	v_add_nc_u32_e32 v9, s15, v5
	v_ashrrev_i32_e32 v6, 31, v5
	v_add_co_u32 v1, s9, s4, v53
	s_mov_b32 s12, s15
	s_ashr_i32 s13, s15, 31
	v_lshlrev_b64 v[7:8], 3, v[3:4]
	v_add_nc_u32_e32 v13, s15, v9
	v_add_co_ci_u32_e64 v2, null, s5, 0, s9
	s_lshl_b64 s[12:13], s[12:13], 3
	v_lshlrev_b64 v[11:12], 3, v[5:6]
	v_add_co_u32 v3, vcc_lo, v1, s12
	v_ashrrev_i32_e32 v14, 31, v13
	v_add_nc_u32_e32 v15, s15, v13
	v_add_co_ci_u32_e64 v4, null, s13, v2, vcc_lo
	v_add_co_u32 v5, vcc_lo, s4, v7
	v_add_co_ci_u32_e64 v6, null, s5, v8, vcc_lo
	v_add_co_u32 v7, vcc_lo, s4, v11
	v_add_co_ci_u32_e64 v8, null, s5, v12, vcc_lo
	v_lshlrev_b64 v[11:12], 3, v[13:14]
	v_add_nc_u32_e32 v13, s15, v15
	v_ashrrev_i32_e32 v10, 31, v9
	v_ashrrev_i32_e32 v16, 31, v15
	s_clause 0x2
	global_load_dwordx2 v[51:52], v53, s[4:5]
	global_load_dwordx2 v[54:55], v[3:4], off
	global_load_dwordx2 v[56:57], v[5:6], off
	v_add_nc_u32_e32 v17, s15, v13
	v_lshlrev_b64 v[9:10], 3, v[9:10]
	v_ashrrev_i32_e32 v14, 31, v13
	v_lshlrev_b64 v[15:16], 3, v[15:16]
	s_bitcmp0_b32 s8, 0
	v_add_nc_u32_e32 v21, s15, v17
	v_ashrrev_i32_e32 v18, 31, v17
	v_add_co_u32 v9, vcc_lo, s4, v9
	v_lshlrev_b64 v[19:20], 3, v[13:14]
	v_add_co_ci_u32_e64 v10, null, s5, v10, vcc_lo
	v_add_co_u32 v11, vcc_lo, s4, v11
	v_ashrrev_i32_e32 v22, 31, v21
	v_add_nc_u32_e32 v23, s15, v21
	v_add_co_ci_u32_e64 v12, null, s5, v12, vcc_lo
	v_add_co_u32 v13, vcc_lo, s4, v15
	v_add_co_ci_u32_e64 v14, null, s5, v16, vcc_lo
	v_add_co_u32 v15, vcc_lo, s4, v19
	v_add_co_ci_u32_e64 v16, null, s5, v20, vcc_lo
	v_lshlrev_b64 v[19:20], 3, v[21:22]
	v_add_nc_u32_e32 v21, s15, v23
	v_ashrrev_i32_e32 v24, 31, v23
	v_lshlrev_b64 v[17:18], 3, v[17:18]
	s_clause 0x4
	global_load_dwordx2 v[58:59], v[7:8], off
	global_load_dwordx2 v[60:61], v[9:10], off
	;; [unrolled: 1-line block ×5, first 2 shown]
	v_add_nc_u32_e32 v25, s15, v21
	v_ashrrev_i32_e32 v22, 31, v21
	v_lshlrev_b64 v[23:24], 3, v[23:24]
	v_add_co_u32 v17, vcc_lo, s4, v17
	v_add_nc_u32_e32 v29, s15, v25
	v_lshlrev_b64 v[27:28], 3, v[21:22]
	v_add_co_ci_u32_e64 v18, null, s5, v18, vcc_lo
	v_add_co_u32 v19, vcc_lo, s4, v19
	v_ashrrev_i32_e32 v30, 31, v29
	v_add_nc_u32_e32 v31, s15, v29
	v_add_co_ci_u32_e64 v20, null, s5, v20, vcc_lo
	v_add_co_u32 v21, vcc_lo, s4, v23
	v_add_co_ci_u32_e64 v22, null, s5, v24, vcc_lo
	v_add_co_u32 v23, vcc_lo, s4, v27
	v_add_co_ci_u32_e64 v24, null, s5, v28, vcc_lo
	v_lshlrev_b64 v[27:28], 3, v[29:30]
	v_add_nc_u32_e32 v29, s15, v31
	v_ashrrev_i32_e32 v26, 31, v25
	v_ashrrev_i32_e32 v32, 31, v31
	global_load_dwordx2 v[70:71], v[17:18], off
	v_add_nc_u32_e32 v33, s15, v29
	v_lshlrev_b64 v[25:26], 3, v[25:26]
	v_ashrrev_i32_e32 v30, 31, v29
	v_lshlrev_b64 v[31:32], 3, v[31:32]
	v_add_nc_u32_e32 v37, s15, v33
	v_ashrrev_i32_e32 v34, 31, v33
	v_add_co_u32 v25, vcc_lo, s4, v25
	v_lshlrev_b64 v[35:36], 3, v[29:30]
	v_add_co_ci_u32_e64 v26, null, s5, v26, vcc_lo
	v_add_co_u32 v27, vcc_lo, s4, v27
	v_ashrrev_i32_e32 v38, 31, v37
	v_add_nc_u32_e32 v39, s15, v37
	v_add_co_ci_u32_e64 v28, null, s5, v28, vcc_lo
	v_add_co_u32 v29, vcc_lo, s4, v31
	v_add_co_ci_u32_e64 v30, null, s5, v32, vcc_lo
	v_add_co_u32 v31, vcc_lo, s4, v35
	v_add_co_ci_u32_e64 v32, null, s5, v36, vcc_lo
	v_lshlrev_b64 v[35:36], 3, v[37:38]
	v_add_nc_u32_e32 v37, s15, v39
	v_ashrrev_i32_e32 v40, 31, v39
	v_lshlrev_b64 v[33:34], 3, v[33:34]
	s_clause 0x4
	global_load_dwordx2 v[72:73], v[19:20], off
	global_load_dwordx2 v[74:75], v[21:22], off
	;; [unrolled: 1-line block ×5, first 2 shown]
	v_add_nc_u32_e32 v41, s15, v37
	v_ashrrev_i32_e32 v38, 31, v37
	v_lshlrev_b64 v[39:40], 3, v[39:40]
	v_add_co_u32 v33, vcc_lo, s4, v33
	v_add_nc_u32_e32 v45, s15, v41
	v_lshlrev_b64 v[43:44], 3, v[37:38]
	v_add_co_ci_u32_e64 v34, null, s5, v34, vcc_lo
	v_add_co_u32 v35, vcc_lo, s4, v35
	v_ashrrev_i32_e32 v46, 31, v45
	v_add_nc_u32_e32 v47, s15, v45
	v_add_co_ci_u32_e64 v36, null, s5, v36, vcc_lo
	v_add_co_u32 v37, vcc_lo, s4, v39
	v_add_co_ci_u32_e64 v38, null, s5, v40, vcc_lo
	v_add_co_u32 v39, vcc_lo, s4, v43
	v_add_co_ci_u32_e64 v40, null, s5, v44, vcc_lo
	v_lshlrev_b64 v[43:44], 3, v[45:46]
	v_add_nc_u32_e32 v45, s15, v47
	v_ashrrev_i32_e32 v42, 31, v41
	v_ashrrev_i32_e32 v48, 31, v47
	s_clause 0x3
	global_load_dwordx2 v[82:83], v[29:30], off
	global_load_dwordx2 v[84:85], v[31:32], off
	;; [unrolled: 1-line block ×4, first 2 shown]
	v_add_nc_u32_e32 v49, s15, v45
	v_lshlrev_b64 v[41:42], 3, v[41:42]
	v_ashrrev_i32_e32 v46, 31, v45
	v_lshlrev_b64 v[47:48], 3, v[47:48]
	v_ashrrev_i32_e32 v50, 31, v49
	v_add_co_u32 v41, vcc_lo, s4, v41
	v_lshlrev_b64 v[68:69], 3, v[45:46]
	v_add_co_ci_u32_e64 v42, null, s5, v42, vcc_lo
	v_add_co_u32 v43, vcc_lo, s4, v43
	v_lshlrev_b64 v[49:50], 3, v[49:50]
	v_add_co_ci_u32_e64 v44, null, s5, v44, vcc_lo
	v_add_co_u32 v45, vcc_lo, s4, v47
	v_add_co_ci_u32_e64 v46, null, s5, v48, vcc_lo
	v_add_co_u32 v47, vcc_lo, s4, v68
	;; [unrolled: 2-line block ×3, first 2 shown]
	v_add_co_ci_u32_e64 v50, null, s5, v50, vcc_lo
	s_clause 0x6
	global_load_dwordx2 v[68:69], v[37:38], off
	global_load_dwordx2 v[90:91], v[39:40], off
	;; [unrolled: 1-line block ×7, first 2 shown]
	s_mov_b32 s5, -1
	s_waitcnt vmcnt(24)
	buffer_store_dword v52, off, s[0:3], 0 offset:4
	buffer_store_dword v51, off, s[0:3], 0
	s_waitcnt vmcnt(23)
	buffer_store_dword v55, off, s[0:3], 0 offset:12
	buffer_store_dword v54, off, s[0:3], 0 offset:8
	s_waitcnt vmcnt(22)
	buffer_store_dword v57, off, s[0:3], 0 offset:20
	buffer_store_dword v56, off, s[0:3], 0 offset:16
	;; [unrolled: 3-line block ×24, first 2 shown]
	s_cbranch_scc1 .LBB24_112
; %bb.4:
	v_cmp_eq_u32_e64 s4, 0, v0
	s_and_saveexec_b32 s5, s4
; %bb.5:
	v_mov_b32_e32 v51, 0
	ds_write_b32 v51, v51 offset:200
; %bb.6:
	s_or_b32 exec_lo, exec_lo, s5
	v_lshl_add_u32 v55, v0, 3, 0
	s_waitcnt lgkmcnt(0)
	s_waitcnt_vscnt null, 0x0
	s_barrier
	buffer_gl0_inv
	s_clause 0x1
	buffer_load_dword v51, v55, s[0:3], 0 offen
	buffer_load_dword v52, v55, s[0:3], 0 offen offset:4
	s_waitcnt vmcnt(1)
	v_cmp_eq_f32_e32 vcc_lo, 0, v51
	s_waitcnt vmcnt(0)
	v_cmp_eq_f32_e64 s5, 0, v52
	s_and_b32 s5, vcc_lo, s5
	s_and_saveexec_b32 s8, s5
	s_cbranch_execz .LBB24_10
; %bb.7:
	v_mov_b32_e32 v51, 0
	s_mov_b32 s9, 0
	ds_read_b32 v52, v51 offset:200
	s_waitcnt lgkmcnt(0)
	v_readfirstlane_b32 s5, v52
	v_add_nc_u32_e32 v52, 1, v0
	s_cmp_eq_u32 s5, 0
	v_cmp_gt_i32_e32 vcc_lo, s5, v52
	s_cselect_b32 s12, -1, 0
	s_or_b32 s12, s12, vcc_lo
	s_and_b32 exec_lo, exec_lo, s12
	s_cbranch_execz .LBB24_10
; %bb.8:
	v_mov_b32_e32 v54, s5
.LBB24_9:                               ; =>This Inner Loop Header: Depth=1
	ds_cmpst_rtn_b32 v54, v51, v54, v52 offset:200
	s_waitcnt lgkmcnt(0)
	v_cmp_ne_u32_e32 vcc_lo, 0, v54
	v_cmp_le_i32_e64 s5, v54, v52
	s_and_b32 s5, vcc_lo, s5
	s_and_b32 s5, exec_lo, s5
	s_or_b32 s9, s5, s9
	s_andn2_b32 exec_lo, exec_lo, s9
	s_cbranch_execnz .LBB24_9
.LBB24_10:
	s_or_b32 exec_lo, exec_lo, s8
	v_mov_b32_e32 v51, 0
	s_barrier
	buffer_gl0_inv
	ds_read_b32 v52, v51 offset:200
	s_and_saveexec_b32 s5, s4
	s_cbranch_execz .LBB24_12
; %bb.11:
	s_lshl_b64 s[8:9], s[6:7], 2
	s_add_u32 s8, s10, s8
	s_addc_u32 s9, s11, s9
	s_waitcnt lgkmcnt(0)
	global_store_dword v51, v52, s[8:9]
.LBB24_12:
	s_or_b32 exec_lo, exec_lo, s5
	s_waitcnt lgkmcnt(0)
	v_cmp_ne_u32_e32 vcc_lo, 0, v52
	s_mov_b32 s5, 0
	s_cbranch_vccnz .LBB24_112
; %bb.13:
	s_clause 0x1
	buffer_load_dword v52, v55, s[0:3], 0 offen
	buffer_load_dword v54, v55, s[0:3], 0 offen offset:4
                                        ; implicit-def: $vgpr57
                                        ; implicit-def: $vgpr56
                                        ; implicit-def: $vgpr51
	s_waitcnt vmcnt(0)
	v_cmp_ngt_f32_e64 s5, |v52|, |v54|
	s_and_saveexec_b32 s8, s5
	s_xor_b32 s5, exec_lo, s8
	s_cbranch_execz .LBB24_15
; %bb.14:
	v_div_scale_f32 v51, null, v54, v54, v52
	v_div_scale_f32 v58, vcc_lo, v52, v54, v52
	v_rcp_f32_e32 v56, v51
	v_fma_f32 v57, -v51, v56, 1.0
	v_fmac_f32_e32 v56, v57, v56
	v_mul_f32_e32 v57, v58, v56
	v_fma_f32 v59, -v51, v57, v58
	v_fmac_f32_e32 v57, v59, v56
	v_fma_f32 v51, -v51, v57, v58
	v_div_fmas_f32 v51, v51, v56, v57
	v_div_fixup_f32 v51, v51, v54, v52
	v_fmac_f32_e32 v54, v52, v51
	v_div_scale_f32 v52, null, v54, v54, 1.0
	v_rcp_f32_e32 v56, v52
	v_fma_f32 v57, -v52, v56, 1.0
	v_fmac_f32_e32 v56, v57, v56
	v_div_scale_f32 v57, vcc_lo, 1.0, v54, 1.0
	v_mul_f32_e32 v58, v57, v56
	v_fma_f32 v59, -v52, v58, v57
	v_fmac_f32_e32 v58, v59, v56
	v_fma_f32 v52, -v52, v58, v57
	v_div_fmas_f32 v52, v52, v56, v58
	v_div_fixup_f32 v52, v52, v54, 1.0
                                        ; implicit-def: $vgpr54
	v_mul_f32_e32 v57, v51, v52
	v_xor_b32_e32 v56, 0x80000000, v52
                                        ; implicit-def: $vgpr52
	v_xor_b32_e32 v51, 0x80000000, v57
.LBB24_15:
	s_andn2_saveexec_b32 s5, s5
	s_cbranch_execz .LBB24_17
; %bb.16:
	v_div_scale_f32 v51, null, v52, v52, v54
	v_div_scale_f32 v58, vcc_lo, v54, v52, v54
	v_rcp_f32_e32 v56, v51
	v_fma_f32 v57, -v51, v56, 1.0
	v_fmac_f32_e32 v56, v57, v56
	v_mul_f32_e32 v57, v58, v56
	v_fma_f32 v59, -v51, v57, v58
	v_fmac_f32_e32 v57, v59, v56
	v_fma_f32 v51, -v51, v57, v58
	v_div_fmas_f32 v51, v51, v56, v57
	v_div_fixup_f32 v56, v51, v52, v54
	v_fmac_f32_e32 v52, v54, v56
	v_div_scale_f32 v51, null, v52, v52, 1.0
	v_div_scale_f32 v58, vcc_lo, 1.0, v52, 1.0
	v_rcp_f32_e32 v54, v51
	v_fma_f32 v57, -v51, v54, 1.0
	v_fmac_f32_e32 v54, v57, v54
	v_mul_f32_e32 v57, v58, v54
	v_fma_f32 v59, -v51, v57, v58
	v_fmac_f32_e32 v57, v59, v54
	v_fma_f32 v51, -v51, v57, v58
	v_div_fmas_f32 v51, v51, v54, v57
	v_div_fixup_f32 v57, v51, v52, 1.0
	v_xor_b32_e32 v51, 0x80000000, v57
	v_mul_f32_e64 v56, v56, -v57
.LBB24_17:
	s_or_b32 exec_lo, exec_lo, s5
	buffer_store_dword v57, v55, s[0:3], 0 offen
	buffer_store_dword v56, v55, s[0:3], 0 offen offset:4
	s_clause 0x1
	buffer_load_dword v58, off, s[0:3], 0 offset:12
	buffer_load_dword v57, off, s[0:3], 0 offset:8
	v_xor_b32_e32 v52, 0x80000000, v56
	v_add_nc_u32_e32 v54, 0xd0, v53
	s_waitcnt vmcnt(0)
	ds_write2_b64 v53, v[51:52], v[57:58] offset1:26
	s_waitcnt lgkmcnt(0)
	s_waitcnt_vscnt null, 0x0
	s_barrier
	buffer_gl0_inv
	s_and_saveexec_b32 s5, s4
	s_cbranch_execz .LBB24_19
; %bb.18:
	s_clause 0x1
	buffer_load_dword v58, v55, s[0:3], 0 offen offset:4
	buffer_load_dword v59, v55, s[0:3], 0 offen
	ds_read_b64 v[51:52], v54
	v_mov_b32_e32 v56, 0
	ds_read_b64 v[56:57], v56 offset:8
	s_waitcnt vmcnt(1) lgkmcnt(1)
	v_mul_f32_e32 v60, v51, v58
	v_mul_f32_e32 v58, v52, v58
	s_waitcnt vmcnt(0)
	v_fmac_f32_e32 v60, v52, v59
	v_fma_f32 v51, v51, v59, -v58
	v_add_f32_e32 v52, 0, v60
	v_add_f32_e32 v51, 0, v51
	s_waitcnt lgkmcnt(0)
	v_mul_f32_e32 v58, v52, v57
	v_mul_f32_e32 v57, v51, v57
	v_fma_f32 v51, v51, v56, -v58
	v_fmac_f32_e32 v57, v52, v56
	buffer_store_dword v51, off, s[0:3], 0 offset:8
	buffer_store_dword v57, off, s[0:3], 0 offset:12
.LBB24_19:
	s_or_b32 exec_lo, exec_lo, s5
	s_waitcnt_vscnt null, 0x0
	s_barrier
	buffer_gl0_inv
	s_clause 0x1
	buffer_load_dword v51, off, s[0:3], 0 offset:16
	buffer_load_dword v52, off, s[0:3], 0 offset:20
	s_mov_b32 s5, exec_lo
	s_waitcnt vmcnt(0)
	ds_write_b64 v54, v[51:52]
	s_waitcnt lgkmcnt(0)
	s_barrier
	buffer_gl0_inv
	v_cmpx_gt_u32_e32 2, v0
	s_cbranch_execz .LBB24_23
; %bb.20:
	s_clause 0x1
	buffer_load_dword v56, v55, s[0:3], 0 offen offset:4
	buffer_load_dword v55, v55, s[0:3], 0 offen
	ds_read_b64 v[51:52], v54
	s_waitcnt vmcnt(1) lgkmcnt(0)
	v_mul_f32_e32 v57, v52, v56
	v_mul_f32_e32 v56, v51, v56
	s_waitcnt vmcnt(0)
	v_fma_f32 v51, v51, v55, -v57
	v_fmac_f32_e32 v56, v52, v55
	v_add_f32_e32 v52, 0, v51
	v_add_f32_e32 v51, 0, v56
	s_and_saveexec_b32 s8, s4
	s_cbranch_execz .LBB24_22
; %bb.21:
	s_clause 0x1
	buffer_load_dword v57, off, s[0:3], 0 offset:12
	buffer_load_dword v58, off, s[0:3], 0 offset:8
	v_mov_b32_e32 v55, 0
	ds_read_b64 v[55:56], v55 offset:216
	s_waitcnt vmcnt(1) lgkmcnt(0)
	v_mul_f32_e32 v59, v55, v57
	v_mul_f32_e32 v57, v56, v57
	s_waitcnt vmcnt(0)
	v_fmac_f32_e32 v59, v56, v58
	v_fma_f32 v55, v55, v58, -v57
	v_add_f32_e32 v51, v51, v59
	v_add_f32_e32 v52, v52, v55
.LBB24_22:
	s_or_b32 exec_lo, exec_lo, s8
	v_mov_b32_e32 v55, 0
	ds_read_b64 v[55:56], v55 offset:16
	s_waitcnt lgkmcnt(0)
	v_mul_f32_e32 v57, v51, v56
	v_mul_f32_e32 v56, v52, v56
	v_fma_f32 v52, v52, v55, -v57
	v_fmac_f32_e32 v56, v51, v55
	buffer_store_dword v52, off, s[0:3], 0 offset:16
	buffer_store_dword v56, off, s[0:3], 0 offset:20
.LBB24_23:
	s_or_b32 exec_lo, exec_lo, s5
	s_waitcnt_vscnt null, 0x0
	s_barrier
	buffer_gl0_inv
	s_clause 0x1
	buffer_load_dword v55, off, s[0:3], 0 offset:24
	buffer_load_dword v56, off, s[0:3], 0 offset:28
	v_add_nc_u32_e32 v51, -1, v0
	s_mov_b32 s4, exec_lo
	s_waitcnt vmcnt(0)
	ds_write_b64 v54, v[55:56]
	s_waitcnt lgkmcnt(0)
	s_barrier
	buffer_gl0_inv
	v_cmpx_gt_u32_e32 3, v0
	s_cbranch_execz .LBB24_27
; %bb.24:
	v_add_nc_u32_e32 v55, -1, v0
	v_add_nc_u32_e32 v56, 0xd0, v53
	v_mov_b32_e32 v57, v53
	v_mov_b32_e32 v52, 0
	;; [unrolled: 1-line block ×3, first 2 shown]
	s_mov_b32 s5, 0
	.p2align	6
.LBB24_25:                              ; =>This Inner Loop Header: Depth=1
	s_clause 0x1
	buffer_load_dword v61, v57, s[0:3], 0 offen offset:4
	buffer_load_dword v62, v57, s[0:3], 0 offen
	ds_read_b64 v[59:60], v56
	v_add_nc_u32_e32 v55, 1, v55
	v_add_nc_u32_e32 v56, 8, v56
	;; [unrolled: 1-line block ×3, first 2 shown]
	v_cmp_lt_u32_e32 vcc_lo, 1, v55
	s_or_b32 s5, vcc_lo, s5
	s_waitcnt vmcnt(1) lgkmcnt(0)
	v_mul_f32_e32 v63, v60, v61
	v_mul_f32_e32 v61, v59, v61
	s_waitcnt vmcnt(0)
	v_fma_f32 v59, v59, v62, -v63
	v_fmac_f32_e32 v61, v60, v62
	v_add_f32_e32 v58, v58, v59
	v_add_f32_e32 v52, v52, v61
	s_andn2_b32 exec_lo, exec_lo, s5
	s_cbranch_execnz .LBB24_25
; %bb.26:
	s_or_b32 exec_lo, exec_lo, s5
	v_mov_b32_e32 v55, 0
	ds_read_b64 v[55:56], v55 offset:24
	s_waitcnt lgkmcnt(0)
	v_mul_f32_e32 v57, v52, v56
	v_mul_f32_e32 v56, v58, v56
	v_fma_f32 v57, v58, v55, -v57
	v_fmac_f32_e32 v56, v52, v55
	buffer_store_dword v57, off, s[0:3], 0 offset:24
	buffer_store_dword v56, off, s[0:3], 0 offset:28
.LBB24_27:
	s_or_b32 exec_lo, exec_lo, s4
	s_waitcnt_vscnt null, 0x0
	s_barrier
	buffer_gl0_inv
	s_clause 0x1
	buffer_load_dword v55, off, s[0:3], 0 offset:32
	buffer_load_dword v56, off, s[0:3], 0 offset:36
	s_mov_b32 s4, exec_lo
	s_waitcnt vmcnt(0)
	ds_write_b64 v54, v[55:56]
	s_waitcnt lgkmcnt(0)
	s_barrier
	buffer_gl0_inv
	v_cmpx_gt_u32_e32 4, v0
	s_cbranch_execz .LBB24_31
; %bb.28:
	v_add_nc_u32_e32 v55, -1, v0
	v_add_nc_u32_e32 v56, 0xd0, v53
	v_mov_b32_e32 v57, v53
	v_mov_b32_e32 v52, 0
	;; [unrolled: 1-line block ×3, first 2 shown]
	s_mov_b32 s5, 0
	.p2align	6
.LBB24_29:                              ; =>This Inner Loop Header: Depth=1
	s_clause 0x1
	buffer_load_dword v61, v57, s[0:3], 0 offen offset:4
	buffer_load_dword v62, v57, s[0:3], 0 offen
	ds_read_b64 v[59:60], v56
	v_add_nc_u32_e32 v55, 1, v55
	v_add_nc_u32_e32 v56, 8, v56
	;; [unrolled: 1-line block ×3, first 2 shown]
	v_cmp_lt_u32_e32 vcc_lo, 2, v55
	s_or_b32 s5, vcc_lo, s5
	s_waitcnt vmcnt(1) lgkmcnt(0)
	v_mul_f32_e32 v63, v60, v61
	v_mul_f32_e32 v61, v59, v61
	s_waitcnt vmcnt(0)
	v_fma_f32 v59, v59, v62, -v63
	v_fmac_f32_e32 v61, v60, v62
	v_add_f32_e32 v58, v58, v59
	v_add_f32_e32 v52, v52, v61
	s_andn2_b32 exec_lo, exec_lo, s5
	s_cbranch_execnz .LBB24_29
; %bb.30:
	s_or_b32 exec_lo, exec_lo, s5
	v_mov_b32_e32 v55, 0
	ds_read_b64 v[55:56], v55 offset:32
	s_waitcnt lgkmcnt(0)
	v_mul_f32_e32 v57, v52, v56
	v_mul_f32_e32 v56, v58, v56
	v_fma_f32 v57, v58, v55, -v57
	v_fmac_f32_e32 v56, v52, v55
	buffer_store_dword v57, off, s[0:3], 0 offset:32
	buffer_store_dword v56, off, s[0:3], 0 offset:36
.LBB24_31:
	s_or_b32 exec_lo, exec_lo, s4
	s_waitcnt_vscnt null, 0x0
	s_barrier
	buffer_gl0_inv
	s_clause 0x1
	buffer_load_dword v55, off, s[0:3], 0 offset:40
	buffer_load_dword v56, off, s[0:3], 0 offset:44
	s_mov_b32 s4, exec_lo
	s_waitcnt vmcnt(0)
	ds_write_b64 v54, v[55:56]
	s_waitcnt lgkmcnt(0)
	s_barrier
	buffer_gl0_inv
	v_cmpx_gt_u32_e32 5, v0
	s_cbranch_execz .LBB24_35
; %bb.32:
	v_add_nc_u32_e32 v55, -1, v0
	v_add_nc_u32_e32 v56, 0xd0, v53
	v_mov_b32_e32 v57, v53
	v_mov_b32_e32 v52, 0
	;; [unrolled: 1-line block ×3, first 2 shown]
	s_mov_b32 s5, 0
	.p2align	6
.LBB24_33:                              ; =>This Inner Loop Header: Depth=1
	s_clause 0x1
	buffer_load_dword v61, v57, s[0:3], 0 offen offset:4
	buffer_load_dword v62, v57, s[0:3], 0 offen
	ds_read_b64 v[59:60], v56
	v_add_nc_u32_e32 v55, 1, v55
	v_add_nc_u32_e32 v56, 8, v56
	;; [unrolled: 1-line block ×3, first 2 shown]
	v_cmp_lt_u32_e32 vcc_lo, 3, v55
	s_or_b32 s5, vcc_lo, s5
	s_waitcnt vmcnt(1) lgkmcnt(0)
	v_mul_f32_e32 v63, v60, v61
	v_mul_f32_e32 v61, v59, v61
	s_waitcnt vmcnt(0)
	v_fma_f32 v59, v59, v62, -v63
	v_fmac_f32_e32 v61, v60, v62
	v_add_f32_e32 v58, v58, v59
	v_add_f32_e32 v52, v52, v61
	s_andn2_b32 exec_lo, exec_lo, s5
	s_cbranch_execnz .LBB24_33
; %bb.34:
	s_or_b32 exec_lo, exec_lo, s5
	v_mov_b32_e32 v55, 0
	ds_read_b64 v[55:56], v55 offset:40
	s_waitcnt lgkmcnt(0)
	v_mul_f32_e32 v57, v52, v56
	v_mul_f32_e32 v56, v58, v56
	v_fma_f32 v57, v58, v55, -v57
	v_fmac_f32_e32 v56, v52, v55
	buffer_store_dword v57, off, s[0:3], 0 offset:40
	buffer_store_dword v56, off, s[0:3], 0 offset:44
.LBB24_35:
	s_or_b32 exec_lo, exec_lo, s4
	s_waitcnt_vscnt null, 0x0
	s_barrier
	buffer_gl0_inv
	s_clause 0x1
	buffer_load_dword v55, off, s[0:3], 0 offset:48
	buffer_load_dword v56, off, s[0:3], 0 offset:52
	s_mov_b32 s4, exec_lo
	s_waitcnt vmcnt(0)
	ds_write_b64 v54, v[55:56]
	s_waitcnt lgkmcnt(0)
	s_barrier
	buffer_gl0_inv
	v_cmpx_gt_u32_e32 6, v0
	s_cbranch_execz .LBB24_39
; %bb.36:
	v_add_nc_u32_e32 v55, -1, v0
	v_add_nc_u32_e32 v56, 0xd0, v53
	v_mov_b32_e32 v57, v53
	v_mov_b32_e32 v52, 0
	;; [unrolled: 1-line block ×3, first 2 shown]
	s_mov_b32 s5, 0
	.p2align	6
.LBB24_37:                              ; =>This Inner Loop Header: Depth=1
	s_clause 0x1
	buffer_load_dword v61, v57, s[0:3], 0 offen offset:4
	buffer_load_dword v62, v57, s[0:3], 0 offen
	ds_read_b64 v[59:60], v56
	v_add_nc_u32_e32 v55, 1, v55
	v_add_nc_u32_e32 v56, 8, v56
	;; [unrolled: 1-line block ×3, first 2 shown]
	v_cmp_lt_u32_e32 vcc_lo, 4, v55
	s_or_b32 s5, vcc_lo, s5
	s_waitcnt vmcnt(1) lgkmcnt(0)
	v_mul_f32_e32 v63, v60, v61
	v_mul_f32_e32 v61, v59, v61
	s_waitcnt vmcnt(0)
	v_fma_f32 v59, v59, v62, -v63
	v_fmac_f32_e32 v61, v60, v62
	v_add_f32_e32 v58, v58, v59
	v_add_f32_e32 v52, v52, v61
	s_andn2_b32 exec_lo, exec_lo, s5
	s_cbranch_execnz .LBB24_37
; %bb.38:
	s_or_b32 exec_lo, exec_lo, s5
	v_mov_b32_e32 v55, 0
	ds_read_b64 v[55:56], v55 offset:48
	s_waitcnt lgkmcnt(0)
	v_mul_f32_e32 v57, v52, v56
	v_mul_f32_e32 v56, v58, v56
	v_fma_f32 v57, v58, v55, -v57
	v_fmac_f32_e32 v56, v52, v55
	buffer_store_dword v57, off, s[0:3], 0 offset:48
	buffer_store_dword v56, off, s[0:3], 0 offset:52
.LBB24_39:
	s_or_b32 exec_lo, exec_lo, s4
	s_waitcnt_vscnt null, 0x0
	s_barrier
	buffer_gl0_inv
	s_clause 0x1
	buffer_load_dword v55, off, s[0:3], 0 offset:56
	buffer_load_dword v56, off, s[0:3], 0 offset:60
	s_mov_b32 s4, exec_lo
	s_waitcnt vmcnt(0)
	ds_write_b64 v54, v[55:56]
	s_waitcnt lgkmcnt(0)
	s_barrier
	buffer_gl0_inv
	v_cmpx_gt_u32_e32 7, v0
	s_cbranch_execz .LBB24_43
; %bb.40:
	v_add_nc_u32_e32 v55, -1, v0
	v_add_nc_u32_e32 v56, 0xd0, v53
	v_mov_b32_e32 v57, v53
	v_mov_b32_e32 v52, 0
	;; [unrolled: 1-line block ×3, first 2 shown]
	s_mov_b32 s5, 0
	.p2align	6
.LBB24_41:                              ; =>This Inner Loop Header: Depth=1
	s_clause 0x1
	buffer_load_dword v61, v57, s[0:3], 0 offen offset:4
	buffer_load_dword v62, v57, s[0:3], 0 offen
	ds_read_b64 v[59:60], v56
	v_add_nc_u32_e32 v55, 1, v55
	v_add_nc_u32_e32 v56, 8, v56
	v_add_nc_u32_e32 v57, 8, v57
	v_cmp_lt_u32_e32 vcc_lo, 5, v55
	s_or_b32 s5, vcc_lo, s5
	s_waitcnt vmcnt(1) lgkmcnt(0)
	v_mul_f32_e32 v63, v60, v61
	v_mul_f32_e32 v61, v59, v61
	s_waitcnt vmcnt(0)
	v_fma_f32 v59, v59, v62, -v63
	v_fmac_f32_e32 v61, v60, v62
	v_add_f32_e32 v58, v58, v59
	v_add_f32_e32 v52, v52, v61
	s_andn2_b32 exec_lo, exec_lo, s5
	s_cbranch_execnz .LBB24_41
; %bb.42:
	s_or_b32 exec_lo, exec_lo, s5
	v_mov_b32_e32 v55, 0
	ds_read_b64 v[55:56], v55 offset:56
	s_waitcnt lgkmcnt(0)
	v_mul_f32_e32 v57, v52, v56
	v_mul_f32_e32 v56, v58, v56
	v_fma_f32 v57, v58, v55, -v57
	v_fmac_f32_e32 v56, v52, v55
	buffer_store_dword v57, off, s[0:3], 0 offset:56
	buffer_store_dword v56, off, s[0:3], 0 offset:60
.LBB24_43:
	s_or_b32 exec_lo, exec_lo, s4
	s_waitcnt_vscnt null, 0x0
	s_barrier
	buffer_gl0_inv
	s_clause 0x1
	buffer_load_dword v55, off, s[0:3], 0 offset:64
	buffer_load_dword v56, off, s[0:3], 0 offset:68
	s_mov_b32 s4, exec_lo
	s_waitcnt vmcnt(0)
	ds_write_b64 v54, v[55:56]
	s_waitcnt lgkmcnt(0)
	s_barrier
	buffer_gl0_inv
	v_cmpx_gt_u32_e32 8, v0
	s_cbranch_execz .LBB24_47
; %bb.44:
	v_add_nc_u32_e32 v55, -1, v0
	v_add_nc_u32_e32 v56, 0xd0, v53
	v_mov_b32_e32 v57, v53
	v_mov_b32_e32 v52, 0
	;; [unrolled: 1-line block ×3, first 2 shown]
	s_mov_b32 s5, 0
	.p2align	6
.LBB24_45:                              ; =>This Inner Loop Header: Depth=1
	s_clause 0x1
	buffer_load_dword v61, v57, s[0:3], 0 offen offset:4
	buffer_load_dword v62, v57, s[0:3], 0 offen
	ds_read_b64 v[59:60], v56
	v_add_nc_u32_e32 v55, 1, v55
	v_add_nc_u32_e32 v56, 8, v56
	;; [unrolled: 1-line block ×3, first 2 shown]
	v_cmp_lt_u32_e32 vcc_lo, 6, v55
	s_or_b32 s5, vcc_lo, s5
	s_waitcnt vmcnt(1) lgkmcnt(0)
	v_mul_f32_e32 v63, v60, v61
	v_mul_f32_e32 v61, v59, v61
	s_waitcnt vmcnt(0)
	v_fma_f32 v59, v59, v62, -v63
	v_fmac_f32_e32 v61, v60, v62
	v_add_f32_e32 v58, v58, v59
	v_add_f32_e32 v52, v52, v61
	s_andn2_b32 exec_lo, exec_lo, s5
	s_cbranch_execnz .LBB24_45
; %bb.46:
	s_or_b32 exec_lo, exec_lo, s5
	v_mov_b32_e32 v55, 0
	ds_read_b64 v[55:56], v55 offset:64
	s_waitcnt lgkmcnt(0)
	v_mul_f32_e32 v57, v52, v56
	v_mul_f32_e32 v56, v58, v56
	v_fma_f32 v57, v58, v55, -v57
	v_fmac_f32_e32 v56, v52, v55
	buffer_store_dword v57, off, s[0:3], 0 offset:64
	buffer_store_dword v56, off, s[0:3], 0 offset:68
.LBB24_47:
	s_or_b32 exec_lo, exec_lo, s4
	s_waitcnt_vscnt null, 0x0
	s_barrier
	buffer_gl0_inv
	s_clause 0x1
	buffer_load_dword v55, off, s[0:3], 0 offset:72
	buffer_load_dword v56, off, s[0:3], 0 offset:76
	s_mov_b32 s4, exec_lo
	s_waitcnt vmcnt(0)
	ds_write_b64 v54, v[55:56]
	s_waitcnt lgkmcnt(0)
	s_barrier
	buffer_gl0_inv
	v_cmpx_gt_u32_e32 9, v0
	s_cbranch_execz .LBB24_51
; %bb.48:
	v_add_nc_u32_e32 v55, -1, v0
	v_add_nc_u32_e32 v56, 0xd0, v53
	v_mov_b32_e32 v57, v53
	v_mov_b32_e32 v52, 0
	;; [unrolled: 1-line block ×3, first 2 shown]
	s_mov_b32 s5, 0
	.p2align	6
.LBB24_49:                              ; =>This Inner Loop Header: Depth=1
	s_clause 0x1
	buffer_load_dword v61, v57, s[0:3], 0 offen offset:4
	buffer_load_dword v62, v57, s[0:3], 0 offen
	ds_read_b64 v[59:60], v56
	v_add_nc_u32_e32 v55, 1, v55
	v_add_nc_u32_e32 v56, 8, v56
	;; [unrolled: 1-line block ×3, first 2 shown]
	v_cmp_lt_u32_e32 vcc_lo, 7, v55
	s_or_b32 s5, vcc_lo, s5
	s_waitcnt vmcnt(1) lgkmcnt(0)
	v_mul_f32_e32 v63, v60, v61
	v_mul_f32_e32 v61, v59, v61
	s_waitcnt vmcnt(0)
	v_fma_f32 v59, v59, v62, -v63
	v_fmac_f32_e32 v61, v60, v62
	v_add_f32_e32 v58, v58, v59
	v_add_f32_e32 v52, v52, v61
	s_andn2_b32 exec_lo, exec_lo, s5
	s_cbranch_execnz .LBB24_49
; %bb.50:
	s_or_b32 exec_lo, exec_lo, s5
	v_mov_b32_e32 v55, 0
	ds_read_b64 v[55:56], v55 offset:72
	s_waitcnt lgkmcnt(0)
	v_mul_f32_e32 v57, v52, v56
	v_mul_f32_e32 v56, v58, v56
	v_fma_f32 v57, v58, v55, -v57
	v_fmac_f32_e32 v56, v52, v55
	buffer_store_dword v57, off, s[0:3], 0 offset:72
	buffer_store_dword v56, off, s[0:3], 0 offset:76
.LBB24_51:
	s_or_b32 exec_lo, exec_lo, s4
	s_waitcnt_vscnt null, 0x0
	s_barrier
	buffer_gl0_inv
	s_clause 0x1
	buffer_load_dword v55, off, s[0:3], 0 offset:80
	buffer_load_dword v56, off, s[0:3], 0 offset:84
	s_mov_b32 s4, exec_lo
	s_waitcnt vmcnt(0)
	ds_write_b64 v54, v[55:56]
	s_waitcnt lgkmcnt(0)
	s_barrier
	buffer_gl0_inv
	v_cmpx_gt_u32_e32 10, v0
	s_cbranch_execz .LBB24_55
; %bb.52:
	v_add_nc_u32_e32 v55, -1, v0
	v_add_nc_u32_e32 v56, 0xd0, v53
	v_mov_b32_e32 v57, v53
	v_mov_b32_e32 v52, 0
	;; [unrolled: 1-line block ×3, first 2 shown]
	s_mov_b32 s5, 0
	.p2align	6
.LBB24_53:                              ; =>This Inner Loop Header: Depth=1
	s_clause 0x1
	buffer_load_dword v61, v57, s[0:3], 0 offen offset:4
	buffer_load_dword v62, v57, s[0:3], 0 offen
	ds_read_b64 v[59:60], v56
	v_add_nc_u32_e32 v55, 1, v55
	v_add_nc_u32_e32 v56, 8, v56
	;; [unrolled: 1-line block ×3, first 2 shown]
	v_cmp_lt_u32_e32 vcc_lo, 8, v55
	s_or_b32 s5, vcc_lo, s5
	s_waitcnt vmcnt(1) lgkmcnt(0)
	v_mul_f32_e32 v63, v60, v61
	v_mul_f32_e32 v61, v59, v61
	s_waitcnt vmcnt(0)
	v_fma_f32 v59, v59, v62, -v63
	v_fmac_f32_e32 v61, v60, v62
	v_add_f32_e32 v58, v58, v59
	v_add_f32_e32 v52, v52, v61
	s_andn2_b32 exec_lo, exec_lo, s5
	s_cbranch_execnz .LBB24_53
; %bb.54:
	s_or_b32 exec_lo, exec_lo, s5
	v_mov_b32_e32 v55, 0
	ds_read_b64 v[55:56], v55 offset:80
	s_waitcnt lgkmcnt(0)
	v_mul_f32_e32 v57, v52, v56
	v_mul_f32_e32 v56, v58, v56
	v_fma_f32 v57, v58, v55, -v57
	v_fmac_f32_e32 v56, v52, v55
	buffer_store_dword v57, off, s[0:3], 0 offset:80
	buffer_store_dword v56, off, s[0:3], 0 offset:84
.LBB24_55:
	s_or_b32 exec_lo, exec_lo, s4
	s_waitcnt_vscnt null, 0x0
	s_barrier
	buffer_gl0_inv
	s_clause 0x1
	buffer_load_dword v55, off, s[0:3], 0 offset:88
	buffer_load_dword v56, off, s[0:3], 0 offset:92
	s_mov_b32 s4, exec_lo
	s_waitcnt vmcnt(0)
	ds_write_b64 v54, v[55:56]
	s_waitcnt lgkmcnt(0)
	s_barrier
	buffer_gl0_inv
	v_cmpx_gt_u32_e32 11, v0
	s_cbranch_execz .LBB24_59
; %bb.56:
	v_add_nc_u32_e32 v55, -1, v0
	v_add_nc_u32_e32 v56, 0xd0, v53
	v_mov_b32_e32 v57, v53
	v_mov_b32_e32 v52, 0
	;; [unrolled: 1-line block ×3, first 2 shown]
	s_mov_b32 s5, 0
	.p2align	6
.LBB24_57:                              ; =>This Inner Loop Header: Depth=1
	s_clause 0x1
	buffer_load_dword v61, v57, s[0:3], 0 offen offset:4
	buffer_load_dword v62, v57, s[0:3], 0 offen
	ds_read_b64 v[59:60], v56
	v_add_nc_u32_e32 v55, 1, v55
	v_add_nc_u32_e32 v56, 8, v56
	;; [unrolled: 1-line block ×3, first 2 shown]
	v_cmp_lt_u32_e32 vcc_lo, 9, v55
	s_or_b32 s5, vcc_lo, s5
	s_waitcnt vmcnt(1) lgkmcnt(0)
	v_mul_f32_e32 v63, v60, v61
	v_mul_f32_e32 v61, v59, v61
	s_waitcnt vmcnt(0)
	v_fma_f32 v59, v59, v62, -v63
	v_fmac_f32_e32 v61, v60, v62
	v_add_f32_e32 v58, v58, v59
	v_add_f32_e32 v52, v52, v61
	s_andn2_b32 exec_lo, exec_lo, s5
	s_cbranch_execnz .LBB24_57
; %bb.58:
	s_or_b32 exec_lo, exec_lo, s5
	v_mov_b32_e32 v55, 0
	ds_read_b64 v[55:56], v55 offset:88
	s_waitcnt lgkmcnt(0)
	v_mul_f32_e32 v57, v52, v56
	v_mul_f32_e32 v56, v58, v56
	v_fma_f32 v57, v58, v55, -v57
	v_fmac_f32_e32 v56, v52, v55
	buffer_store_dword v57, off, s[0:3], 0 offset:88
	buffer_store_dword v56, off, s[0:3], 0 offset:92
.LBB24_59:
	s_or_b32 exec_lo, exec_lo, s4
	s_waitcnt_vscnt null, 0x0
	s_barrier
	buffer_gl0_inv
	s_clause 0x1
	buffer_load_dword v55, off, s[0:3], 0 offset:96
	buffer_load_dword v56, off, s[0:3], 0 offset:100
	s_mov_b32 s4, exec_lo
	s_waitcnt vmcnt(0)
	ds_write_b64 v54, v[55:56]
	s_waitcnt lgkmcnt(0)
	s_barrier
	buffer_gl0_inv
	v_cmpx_gt_u32_e32 12, v0
	s_cbranch_execz .LBB24_63
; %bb.60:
	v_add_nc_u32_e32 v55, -1, v0
	v_add_nc_u32_e32 v56, 0xd0, v53
	v_mov_b32_e32 v57, v53
	v_mov_b32_e32 v52, 0
	;; [unrolled: 1-line block ×3, first 2 shown]
	s_mov_b32 s5, 0
	.p2align	6
.LBB24_61:                              ; =>This Inner Loop Header: Depth=1
	s_clause 0x1
	buffer_load_dword v61, v57, s[0:3], 0 offen offset:4
	buffer_load_dword v62, v57, s[0:3], 0 offen
	ds_read_b64 v[59:60], v56
	v_add_nc_u32_e32 v55, 1, v55
	v_add_nc_u32_e32 v56, 8, v56
	;; [unrolled: 1-line block ×3, first 2 shown]
	v_cmp_lt_u32_e32 vcc_lo, 10, v55
	s_or_b32 s5, vcc_lo, s5
	s_waitcnt vmcnt(1) lgkmcnt(0)
	v_mul_f32_e32 v63, v60, v61
	v_mul_f32_e32 v61, v59, v61
	s_waitcnt vmcnt(0)
	v_fma_f32 v59, v59, v62, -v63
	v_fmac_f32_e32 v61, v60, v62
	v_add_f32_e32 v58, v58, v59
	v_add_f32_e32 v52, v52, v61
	s_andn2_b32 exec_lo, exec_lo, s5
	s_cbranch_execnz .LBB24_61
; %bb.62:
	s_or_b32 exec_lo, exec_lo, s5
	v_mov_b32_e32 v55, 0
	ds_read_b64 v[55:56], v55 offset:96
	s_waitcnt lgkmcnt(0)
	v_mul_f32_e32 v57, v52, v56
	v_mul_f32_e32 v56, v58, v56
	v_fma_f32 v57, v58, v55, -v57
	v_fmac_f32_e32 v56, v52, v55
	buffer_store_dword v57, off, s[0:3], 0 offset:96
	buffer_store_dword v56, off, s[0:3], 0 offset:100
.LBB24_63:
	s_or_b32 exec_lo, exec_lo, s4
	s_waitcnt_vscnt null, 0x0
	s_barrier
	buffer_gl0_inv
	s_clause 0x1
	buffer_load_dword v55, off, s[0:3], 0 offset:104
	buffer_load_dword v56, off, s[0:3], 0 offset:108
	s_mov_b32 s4, exec_lo
	s_waitcnt vmcnt(0)
	ds_write_b64 v54, v[55:56]
	s_waitcnt lgkmcnt(0)
	s_barrier
	buffer_gl0_inv
	v_cmpx_gt_u32_e32 13, v0
	s_cbranch_execz .LBB24_67
; %bb.64:
	v_add_nc_u32_e32 v55, -1, v0
	v_add_nc_u32_e32 v56, 0xd0, v53
	v_mov_b32_e32 v57, v53
	v_mov_b32_e32 v52, 0
	v_mov_b32_e32 v58, 0
	s_mov_b32 s5, 0
	.p2align	6
.LBB24_65:                              ; =>This Inner Loop Header: Depth=1
	s_clause 0x1
	buffer_load_dword v61, v57, s[0:3], 0 offen offset:4
	buffer_load_dword v62, v57, s[0:3], 0 offen
	ds_read_b64 v[59:60], v56
	v_add_nc_u32_e32 v55, 1, v55
	v_add_nc_u32_e32 v56, 8, v56
	v_add_nc_u32_e32 v57, 8, v57
	v_cmp_lt_u32_e32 vcc_lo, 11, v55
	s_or_b32 s5, vcc_lo, s5
	s_waitcnt vmcnt(1) lgkmcnt(0)
	v_mul_f32_e32 v63, v60, v61
	v_mul_f32_e32 v61, v59, v61
	s_waitcnt vmcnt(0)
	v_fma_f32 v59, v59, v62, -v63
	v_fmac_f32_e32 v61, v60, v62
	v_add_f32_e32 v58, v58, v59
	v_add_f32_e32 v52, v52, v61
	s_andn2_b32 exec_lo, exec_lo, s5
	s_cbranch_execnz .LBB24_65
; %bb.66:
	s_or_b32 exec_lo, exec_lo, s5
	v_mov_b32_e32 v55, 0
	ds_read_b64 v[55:56], v55 offset:104
	s_waitcnt lgkmcnt(0)
	v_mul_f32_e32 v57, v52, v56
	v_mul_f32_e32 v56, v58, v56
	v_fma_f32 v57, v58, v55, -v57
	v_fmac_f32_e32 v56, v52, v55
	buffer_store_dword v57, off, s[0:3], 0 offset:104
	buffer_store_dword v56, off, s[0:3], 0 offset:108
.LBB24_67:
	s_or_b32 exec_lo, exec_lo, s4
	s_waitcnt_vscnt null, 0x0
	s_barrier
	buffer_gl0_inv
	s_clause 0x1
	buffer_load_dword v55, off, s[0:3], 0 offset:112
	buffer_load_dword v56, off, s[0:3], 0 offset:116
	s_mov_b32 s4, exec_lo
	s_waitcnt vmcnt(0)
	ds_write_b64 v54, v[55:56]
	s_waitcnt lgkmcnt(0)
	s_barrier
	buffer_gl0_inv
	v_cmpx_gt_u32_e32 14, v0
	s_cbranch_execz .LBB24_71
; %bb.68:
	v_add_nc_u32_e32 v55, -1, v0
	v_add_nc_u32_e32 v56, 0xd0, v53
	v_mov_b32_e32 v57, v53
	v_mov_b32_e32 v52, 0
	;; [unrolled: 1-line block ×3, first 2 shown]
	s_mov_b32 s5, 0
	.p2align	6
.LBB24_69:                              ; =>This Inner Loop Header: Depth=1
	s_clause 0x1
	buffer_load_dword v61, v57, s[0:3], 0 offen offset:4
	buffer_load_dword v62, v57, s[0:3], 0 offen
	ds_read_b64 v[59:60], v56
	v_add_nc_u32_e32 v55, 1, v55
	v_add_nc_u32_e32 v56, 8, v56
	;; [unrolled: 1-line block ×3, first 2 shown]
	v_cmp_lt_u32_e32 vcc_lo, 12, v55
	s_or_b32 s5, vcc_lo, s5
	s_waitcnt vmcnt(1) lgkmcnt(0)
	v_mul_f32_e32 v63, v60, v61
	v_mul_f32_e32 v61, v59, v61
	s_waitcnt vmcnt(0)
	v_fma_f32 v59, v59, v62, -v63
	v_fmac_f32_e32 v61, v60, v62
	v_add_f32_e32 v58, v58, v59
	v_add_f32_e32 v52, v52, v61
	s_andn2_b32 exec_lo, exec_lo, s5
	s_cbranch_execnz .LBB24_69
; %bb.70:
	s_or_b32 exec_lo, exec_lo, s5
	v_mov_b32_e32 v55, 0
	ds_read_b64 v[55:56], v55 offset:112
	s_waitcnt lgkmcnt(0)
	v_mul_f32_e32 v57, v52, v56
	v_mul_f32_e32 v56, v58, v56
	v_fma_f32 v57, v58, v55, -v57
	v_fmac_f32_e32 v56, v52, v55
	buffer_store_dword v57, off, s[0:3], 0 offset:112
	buffer_store_dword v56, off, s[0:3], 0 offset:116
.LBB24_71:
	s_or_b32 exec_lo, exec_lo, s4
	s_waitcnt_vscnt null, 0x0
	s_barrier
	buffer_gl0_inv
	s_clause 0x1
	buffer_load_dword v55, off, s[0:3], 0 offset:120
	buffer_load_dword v56, off, s[0:3], 0 offset:124
	s_mov_b32 s4, exec_lo
	s_waitcnt vmcnt(0)
	ds_write_b64 v54, v[55:56]
	s_waitcnt lgkmcnt(0)
	s_barrier
	buffer_gl0_inv
	v_cmpx_gt_u32_e32 15, v0
	s_cbranch_execz .LBB24_75
; %bb.72:
	v_add_nc_u32_e32 v55, -1, v0
	v_add_nc_u32_e32 v56, 0xd0, v53
	v_mov_b32_e32 v57, v53
	v_mov_b32_e32 v52, 0
	;; [unrolled: 1-line block ×3, first 2 shown]
	s_mov_b32 s5, 0
	.p2align	6
.LBB24_73:                              ; =>This Inner Loop Header: Depth=1
	s_clause 0x1
	buffer_load_dword v61, v57, s[0:3], 0 offen offset:4
	buffer_load_dword v62, v57, s[0:3], 0 offen
	ds_read_b64 v[59:60], v56
	v_add_nc_u32_e32 v55, 1, v55
	v_add_nc_u32_e32 v56, 8, v56
	;; [unrolled: 1-line block ×3, first 2 shown]
	v_cmp_lt_u32_e32 vcc_lo, 13, v55
	s_or_b32 s5, vcc_lo, s5
	s_waitcnt vmcnt(1) lgkmcnt(0)
	v_mul_f32_e32 v63, v60, v61
	v_mul_f32_e32 v61, v59, v61
	s_waitcnt vmcnt(0)
	v_fma_f32 v59, v59, v62, -v63
	v_fmac_f32_e32 v61, v60, v62
	v_add_f32_e32 v58, v58, v59
	v_add_f32_e32 v52, v52, v61
	s_andn2_b32 exec_lo, exec_lo, s5
	s_cbranch_execnz .LBB24_73
; %bb.74:
	s_or_b32 exec_lo, exec_lo, s5
	v_mov_b32_e32 v55, 0
	ds_read_b64 v[55:56], v55 offset:120
	s_waitcnt lgkmcnt(0)
	v_mul_f32_e32 v57, v52, v56
	v_mul_f32_e32 v56, v58, v56
	v_fma_f32 v57, v58, v55, -v57
	v_fmac_f32_e32 v56, v52, v55
	buffer_store_dword v57, off, s[0:3], 0 offset:120
	buffer_store_dword v56, off, s[0:3], 0 offset:124
.LBB24_75:
	s_or_b32 exec_lo, exec_lo, s4
	s_waitcnt_vscnt null, 0x0
	s_barrier
	buffer_gl0_inv
	s_clause 0x1
	buffer_load_dword v55, off, s[0:3], 0 offset:128
	buffer_load_dword v56, off, s[0:3], 0 offset:132
	s_mov_b32 s4, exec_lo
	s_waitcnt vmcnt(0)
	ds_write_b64 v54, v[55:56]
	s_waitcnt lgkmcnt(0)
	s_barrier
	buffer_gl0_inv
	v_cmpx_gt_u32_e32 16, v0
	s_cbranch_execz .LBB24_79
; %bb.76:
	v_add_nc_u32_e32 v55, -1, v0
	v_add_nc_u32_e32 v56, 0xd0, v53
	v_mov_b32_e32 v57, v53
	v_mov_b32_e32 v52, 0
	;; [unrolled: 1-line block ×3, first 2 shown]
	s_mov_b32 s5, 0
	.p2align	6
.LBB24_77:                              ; =>This Inner Loop Header: Depth=1
	s_clause 0x1
	buffer_load_dword v61, v57, s[0:3], 0 offen offset:4
	buffer_load_dword v62, v57, s[0:3], 0 offen
	ds_read_b64 v[59:60], v56
	v_add_nc_u32_e32 v55, 1, v55
	v_add_nc_u32_e32 v56, 8, v56
	;; [unrolled: 1-line block ×3, first 2 shown]
	v_cmp_lt_u32_e32 vcc_lo, 14, v55
	s_or_b32 s5, vcc_lo, s5
	s_waitcnt vmcnt(1) lgkmcnt(0)
	v_mul_f32_e32 v63, v60, v61
	v_mul_f32_e32 v61, v59, v61
	s_waitcnt vmcnt(0)
	v_fma_f32 v59, v59, v62, -v63
	v_fmac_f32_e32 v61, v60, v62
	v_add_f32_e32 v58, v58, v59
	v_add_f32_e32 v52, v52, v61
	s_andn2_b32 exec_lo, exec_lo, s5
	s_cbranch_execnz .LBB24_77
; %bb.78:
	s_or_b32 exec_lo, exec_lo, s5
	v_mov_b32_e32 v55, 0
	ds_read_b64 v[55:56], v55 offset:128
	s_waitcnt lgkmcnt(0)
	v_mul_f32_e32 v57, v52, v56
	v_mul_f32_e32 v56, v58, v56
	v_fma_f32 v57, v58, v55, -v57
	v_fmac_f32_e32 v56, v52, v55
	buffer_store_dword v57, off, s[0:3], 0 offset:128
	buffer_store_dword v56, off, s[0:3], 0 offset:132
.LBB24_79:
	s_or_b32 exec_lo, exec_lo, s4
	s_waitcnt_vscnt null, 0x0
	s_barrier
	buffer_gl0_inv
	s_clause 0x1
	buffer_load_dword v55, off, s[0:3], 0 offset:136
	buffer_load_dword v56, off, s[0:3], 0 offset:140
	s_mov_b32 s4, exec_lo
	s_waitcnt vmcnt(0)
	ds_write_b64 v54, v[55:56]
	s_waitcnt lgkmcnt(0)
	s_barrier
	buffer_gl0_inv
	v_cmpx_gt_u32_e32 17, v0
	s_cbranch_execz .LBB24_83
; %bb.80:
	v_add_nc_u32_e32 v55, -1, v0
	v_add_nc_u32_e32 v56, 0xd0, v53
	v_mov_b32_e32 v57, v53
	v_mov_b32_e32 v52, 0
	;; [unrolled: 1-line block ×3, first 2 shown]
	s_mov_b32 s5, 0
	.p2align	6
.LBB24_81:                              ; =>This Inner Loop Header: Depth=1
	s_clause 0x1
	buffer_load_dword v61, v57, s[0:3], 0 offen offset:4
	buffer_load_dword v62, v57, s[0:3], 0 offen
	ds_read_b64 v[59:60], v56
	v_add_nc_u32_e32 v55, 1, v55
	v_add_nc_u32_e32 v56, 8, v56
	;; [unrolled: 1-line block ×3, first 2 shown]
	v_cmp_lt_u32_e32 vcc_lo, 15, v55
	s_or_b32 s5, vcc_lo, s5
	s_waitcnt vmcnt(1) lgkmcnt(0)
	v_mul_f32_e32 v63, v60, v61
	v_mul_f32_e32 v61, v59, v61
	s_waitcnt vmcnt(0)
	v_fma_f32 v59, v59, v62, -v63
	v_fmac_f32_e32 v61, v60, v62
	v_add_f32_e32 v58, v58, v59
	v_add_f32_e32 v52, v52, v61
	s_andn2_b32 exec_lo, exec_lo, s5
	s_cbranch_execnz .LBB24_81
; %bb.82:
	s_or_b32 exec_lo, exec_lo, s5
	v_mov_b32_e32 v55, 0
	ds_read_b64 v[55:56], v55 offset:136
	s_waitcnt lgkmcnt(0)
	v_mul_f32_e32 v57, v52, v56
	v_mul_f32_e32 v56, v58, v56
	v_fma_f32 v57, v58, v55, -v57
	v_fmac_f32_e32 v56, v52, v55
	buffer_store_dword v57, off, s[0:3], 0 offset:136
	buffer_store_dword v56, off, s[0:3], 0 offset:140
.LBB24_83:
	s_or_b32 exec_lo, exec_lo, s4
	s_waitcnt_vscnt null, 0x0
	s_barrier
	buffer_gl0_inv
	s_clause 0x1
	buffer_load_dword v55, off, s[0:3], 0 offset:144
	buffer_load_dword v56, off, s[0:3], 0 offset:148
	s_mov_b32 s4, exec_lo
	s_waitcnt vmcnt(0)
	ds_write_b64 v54, v[55:56]
	s_waitcnt lgkmcnt(0)
	s_barrier
	buffer_gl0_inv
	v_cmpx_gt_u32_e32 18, v0
	s_cbranch_execz .LBB24_87
; %bb.84:
	v_add_nc_u32_e32 v55, -1, v0
	v_add_nc_u32_e32 v56, 0xd0, v53
	v_mov_b32_e32 v57, v53
	v_mov_b32_e32 v52, 0
	;; [unrolled: 1-line block ×3, first 2 shown]
	s_mov_b32 s5, 0
	.p2align	6
.LBB24_85:                              ; =>This Inner Loop Header: Depth=1
	s_clause 0x1
	buffer_load_dword v61, v57, s[0:3], 0 offen offset:4
	buffer_load_dword v62, v57, s[0:3], 0 offen
	ds_read_b64 v[59:60], v56
	v_add_nc_u32_e32 v55, 1, v55
	v_add_nc_u32_e32 v56, 8, v56
	;; [unrolled: 1-line block ×3, first 2 shown]
	v_cmp_lt_u32_e32 vcc_lo, 16, v55
	s_or_b32 s5, vcc_lo, s5
	s_waitcnt vmcnt(1) lgkmcnt(0)
	v_mul_f32_e32 v63, v60, v61
	v_mul_f32_e32 v61, v59, v61
	s_waitcnt vmcnt(0)
	v_fma_f32 v59, v59, v62, -v63
	v_fmac_f32_e32 v61, v60, v62
	v_add_f32_e32 v58, v58, v59
	v_add_f32_e32 v52, v52, v61
	s_andn2_b32 exec_lo, exec_lo, s5
	s_cbranch_execnz .LBB24_85
; %bb.86:
	s_or_b32 exec_lo, exec_lo, s5
	v_mov_b32_e32 v55, 0
	ds_read_b64 v[55:56], v55 offset:144
	s_waitcnt lgkmcnt(0)
	v_mul_f32_e32 v57, v52, v56
	v_mul_f32_e32 v56, v58, v56
	v_fma_f32 v57, v58, v55, -v57
	v_fmac_f32_e32 v56, v52, v55
	buffer_store_dword v57, off, s[0:3], 0 offset:144
	buffer_store_dword v56, off, s[0:3], 0 offset:148
.LBB24_87:
	s_or_b32 exec_lo, exec_lo, s4
	s_waitcnt_vscnt null, 0x0
	s_barrier
	buffer_gl0_inv
	s_clause 0x1
	buffer_load_dword v55, off, s[0:3], 0 offset:152
	buffer_load_dword v56, off, s[0:3], 0 offset:156
	s_mov_b32 s4, exec_lo
	s_waitcnt vmcnt(0)
	ds_write_b64 v54, v[55:56]
	s_waitcnt lgkmcnt(0)
	s_barrier
	buffer_gl0_inv
	v_cmpx_gt_u32_e32 19, v0
	s_cbranch_execz .LBB24_91
; %bb.88:
	v_add_nc_u32_e32 v55, -1, v0
	v_add_nc_u32_e32 v56, 0xd0, v53
	v_mov_b32_e32 v57, v53
	v_mov_b32_e32 v52, 0
	;; [unrolled: 1-line block ×3, first 2 shown]
	s_mov_b32 s5, 0
	.p2align	6
.LBB24_89:                              ; =>This Inner Loop Header: Depth=1
	s_clause 0x1
	buffer_load_dword v61, v57, s[0:3], 0 offen offset:4
	buffer_load_dword v62, v57, s[0:3], 0 offen
	ds_read_b64 v[59:60], v56
	v_add_nc_u32_e32 v55, 1, v55
	v_add_nc_u32_e32 v56, 8, v56
	;; [unrolled: 1-line block ×3, first 2 shown]
	v_cmp_lt_u32_e32 vcc_lo, 17, v55
	s_or_b32 s5, vcc_lo, s5
	s_waitcnt vmcnt(1) lgkmcnt(0)
	v_mul_f32_e32 v63, v60, v61
	v_mul_f32_e32 v61, v59, v61
	s_waitcnt vmcnt(0)
	v_fma_f32 v59, v59, v62, -v63
	v_fmac_f32_e32 v61, v60, v62
	v_add_f32_e32 v58, v58, v59
	v_add_f32_e32 v52, v52, v61
	s_andn2_b32 exec_lo, exec_lo, s5
	s_cbranch_execnz .LBB24_89
; %bb.90:
	s_or_b32 exec_lo, exec_lo, s5
	v_mov_b32_e32 v55, 0
	ds_read_b64 v[55:56], v55 offset:152
	s_waitcnt lgkmcnt(0)
	v_mul_f32_e32 v57, v52, v56
	v_mul_f32_e32 v56, v58, v56
	v_fma_f32 v57, v58, v55, -v57
	v_fmac_f32_e32 v56, v52, v55
	buffer_store_dword v57, off, s[0:3], 0 offset:152
	buffer_store_dword v56, off, s[0:3], 0 offset:156
.LBB24_91:
	s_or_b32 exec_lo, exec_lo, s4
	s_waitcnt_vscnt null, 0x0
	s_barrier
	buffer_gl0_inv
	s_clause 0x1
	buffer_load_dword v55, off, s[0:3], 0 offset:160
	buffer_load_dword v56, off, s[0:3], 0 offset:164
	s_mov_b32 s4, exec_lo
	s_waitcnt vmcnt(0)
	ds_write_b64 v54, v[55:56]
	s_waitcnt lgkmcnt(0)
	s_barrier
	buffer_gl0_inv
	v_cmpx_gt_u32_e32 20, v0
	s_cbranch_execz .LBB24_95
; %bb.92:
	v_add_nc_u32_e32 v55, -1, v0
	v_add_nc_u32_e32 v56, 0xd0, v53
	v_mov_b32_e32 v57, v53
	v_mov_b32_e32 v52, 0
	;; [unrolled: 1-line block ×3, first 2 shown]
	s_mov_b32 s5, 0
	.p2align	6
.LBB24_93:                              ; =>This Inner Loop Header: Depth=1
	s_clause 0x1
	buffer_load_dword v61, v57, s[0:3], 0 offen offset:4
	buffer_load_dword v62, v57, s[0:3], 0 offen
	ds_read_b64 v[59:60], v56
	v_add_nc_u32_e32 v55, 1, v55
	v_add_nc_u32_e32 v56, 8, v56
	;; [unrolled: 1-line block ×3, first 2 shown]
	v_cmp_lt_u32_e32 vcc_lo, 18, v55
	s_or_b32 s5, vcc_lo, s5
	s_waitcnt vmcnt(1) lgkmcnt(0)
	v_mul_f32_e32 v63, v60, v61
	v_mul_f32_e32 v61, v59, v61
	s_waitcnt vmcnt(0)
	v_fma_f32 v59, v59, v62, -v63
	v_fmac_f32_e32 v61, v60, v62
	v_add_f32_e32 v58, v58, v59
	v_add_f32_e32 v52, v52, v61
	s_andn2_b32 exec_lo, exec_lo, s5
	s_cbranch_execnz .LBB24_93
; %bb.94:
	s_or_b32 exec_lo, exec_lo, s5
	v_mov_b32_e32 v55, 0
	ds_read_b64 v[55:56], v55 offset:160
	s_waitcnt lgkmcnt(0)
	v_mul_f32_e32 v57, v52, v56
	v_mul_f32_e32 v56, v58, v56
	v_fma_f32 v57, v58, v55, -v57
	v_fmac_f32_e32 v56, v52, v55
	buffer_store_dword v57, off, s[0:3], 0 offset:160
	buffer_store_dword v56, off, s[0:3], 0 offset:164
.LBB24_95:
	s_or_b32 exec_lo, exec_lo, s4
	s_waitcnt_vscnt null, 0x0
	s_barrier
	buffer_gl0_inv
	s_clause 0x1
	buffer_load_dword v55, off, s[0:3], 0 offset:168
	buffer_load_dword v56, off, s[0:3], 0 offset:172
	s_mov_b32 s4, exec_lo
	s_waitcnt vmcnt(0)
	ds_write_b64 v54, v[55:56]
	s_waitcnt lgkmcnt(0)
	s_barrier
	buffer_gl0_inv
	v_cmpx_gt_u32_e32 21, v0
	s_cbranch_execz .LBB24_99
; %bb.96:
	v_add_nc_u32_e32 v55, -1, v0
	v_add_nc_u32_e32 v56, 0xd0, v53
	v_mov_b32_e32 v57, v53
	v_mov_b32_e32 v52, 0
	;; [unrolled: 1-line block ×3, first 2 shown]
	s_mov_b32 s5, 0
	.p2align	6
.LBB24_97:                              ; =>This Inner Loop Header: Depth=1
	s_clause 0x1
	buffer_load_dword v61, v57, s[0:3], 0 offen offset:4
	buffer_load_dword v62, v57, s[0:3], 0 offen
	ds_read_b64 v[59:60], v56
	v_add_nc_u32_e32 v55, 1, v55
	v_add_nc_u32_e32 v56, 8, v56
	;; [unrolled: 1-line block ×3, first 2 shown]
	v_cmp_lt_u32_e32 vcc_lo, 19, v55
	s_or_b32 s5, vcc_lo, s5
	s_waitcnt vmcnt(1) lgkmcnt(0)
	v_mul_f32_e32 v63, v60, v61
	v_mul_f32_e32 v61, v59, v61
	s_waitcnt vmcnt(0)
	v_fma_f32 v59, v59, v62, -v63
	v_fmac_f32_e32 v61, v60, v62
	v_add_f32_e32 v58, v58, v59
	v_add_f32_e32 v52, v52, v61
	s_andn2_b32 exec_lo, exec_lo, s5
	s_cbranch_execnz .LBB24_97
; %bb.98:
	s_or_b32 exec_lo, exec_lo, s5
	v_mov_b32_e32 v55, 0
	ds_read_b64 v[55:56], v55 offset:168
	s_waitcnt lgkmcnt(0)
	v_mul_f32_e32 v57, v52, v56
	v_mul_f32_e32 v56, v58, v56
	v_fma_f32 v57, v58, v55, -v57
	v_fmac_f32_e32 v56, v52, v55
	buffer_store_dword v57, off, s[0:3], 0 offset:168
	buffer_store_dword v56, off, s[0:3], 0 offset:172
.LBB24_99:
	s_or_b32 exec_lo, exec_lo, s4
	s_waitcnt_vscnt null, 0x0
	s_barrier
	buffer_gl0_inv
	s_clause 0x1
	buffer_load_dword v55, off, s[0:3], 0 offset:176
	buffer_load_dword v56, off, s[0:3], 0 offset:180
	s_mov_b32 s4, exec_lo
	s_waitcnt vmcnt(0)
	ds_write_b64 v54, v[55:56]
	s_waitcnt lgkmcnt(0)
	s_barrier
	buffer_gl0_inv
	v_cmpx_gt_u32_e32 22, v0
	s_cbranch_execz .LBB24_103
; %bb.100:
	v_add_nc_u32_e32 v55, -1, v0
	v_add_nc_u32_e32 v56, 0xd0, v53
	v_mov_b32_e32 v57, v53
	v_mov_b32_e32 v52, 0
	;; [unrolled: 1-line block ×3, first 2 shown]
	s_mov_b32 s5, 0
	.p2align	6
.LBB24_101:                             ; =>This Inner Loop Header: Depth=1
	s_clause 0x1
	buffer_load_dword v61, v57, s[0:3], 0 offen offset:4
	buffer_load_dword v62, v57, s[0:3], 0 offen
	ds_read_b64 v[59:60], v56
	v_add_nc_u32_e32 v55, 1, v55
	v_add_nc_u32_e32 v56, 8, v56
	;; [unrolled: 1-line block ×3, first 2 shown]
	v_cmp_lt_u32_e32 vcc_lo, 20, v55
	s_or_b32 s5, vcc_lo, s5
	s_waitcnt vmcnt(1) lgkmcnt(0)
	v_mul_f32_e32 v63, v60, v61
	v_mul_f32_e32 v61, v59, v61
	s_waitcnt vmcnt(0)
	v_fma_f32 v59, v59, v62, -v63
	v_fmac_f32_e32 v61, v60, v62
	v_add_f32_e32 v58, v58, v59
	v_add_f32_e32 v52, v52, v61
	s_andn2_b32 exec_lo, exec_lo, s5
	s_cbranch_execnz .LBB24_101
; %bb.102:
	s_or_b32 exec_lo, exec_lo, s5
	v_mov_b32_e32 v55, 0
	ds_read_b64 v[55:56], v55 offset:176
	s_waitcnt lgkmcnt(0)
	v_mul_f32_e32 v57, v52, v56
	v_mul_f32_e32 v56, v58, v56
	v_fma_f32 v57, v58, v55, -v57
	v_fmac_f32_e32 v56, v52, v55
	buffer_store_dword v57, off, s[0:3], 0 offset:176
	buffer_store_dword v56, off, s[0:3], 0 offset:180
.LBB24_103:
	s_or_b32 exec_lo, exec_lo, s4
	s_waitcnt_vscnt null, 0x0
	s_barrier
	buffer_gl0_inv
	s_clause 0x1
	buffer_load_dword v55, off, s[0:3], 0 offset:184
	buffer_load_dword v56, off, s[0:3], 0 offset:188
	s_mov_b32 s4, exec_lo
	s_waitcnt vmcnt(0)
	ds_write_b64 v54, v[55:56]
	s_waitcnt lgkmcnt(0)
	s_barrier
	buffer_gl0_inv
	v_cmpx_gt_u32_e32 23, v0
	s_cbranch_execz .LBB24_107
; %bb.104:
	v_add_nc_u32_e32 v55, -1, v0
	v_add_nc_u32_e32 v56, 0xd0, v53
	v_mov_b32_e32 v57, v53
	v_mov_b32_e32 v52, 0
	;; [unrolled: 1-line block ×3, first 2 shown]
	s_mov_b32 s5, 0
	.p2align	6
.LBB24_105:                             ; =>This Inner Loop Header: Depth=1
	s_clause 0x1
	buffer_load_dword v61, v57, s[0:3], 0 offen offset:4
	buffer_load_dword v62, v57, s[0:3], 0 offen
	ds_read_b64 v[59:60], v56
	v_add_nc_u32_e32 v55, 1, v55
	v_add_nc_u32_e32 v56, 8, v56
	v_add_nc_u32_e32 v57, 8, v57
	v_cmp_lt_u32_e32 vcc_lo, 21, v55
	s_or_b32 s5, vcc_lo, s5
	s_waitcnt vmcnt(1) lgkmcnt(0)
	v_mul_f32_e32 v63, v60, v61
	v_mul_f32_e32 v61, v59, v61
	s_waitcnt vmcnt(0)
	v_fma_f32 v59, v59, v62, -v63
	v_fmac_f32_e32 v61, v60, v62
	v_add_f32_e32 v58, v58, v59
	v_add_f32_e32 v52, v52, v61
	s_andn2_b32 exec_lo, exec_lo, s5
	s_cbranch_execnz .LBB24_105
; %bb.106:
	s_or_b32 exec_lo, exec_lo, s5
	v_mov_b32_e32 v55, 0
	ds_read_b64 v[55:56], v55 offset:184
	s_waitcnt lgkmcnt(0)
	v_mul_f32_e32 v57, v52, v56
	v_mul_f32_e32 v56, v58, v56
	v_fma_f32 v57, v58, v55, -v57
	v_fmac_f32_e32 v56, v52, v55
	buffer_store_dword v57, off, s[0:3], 0 offset:184
	buffer_store_dword v56, off, s[0:3], 0 offset:188
.LBB24_107:
	s_or_b32 exec_lo, exec_lo, s4
	s_waitcnt_vscnt null, 0x0
	s_barrier
	buffer_gl0_inv
	s_clause 0x1
	buffer_load_dword v55, off, s[0:3], 0 offset:192
	buffer_load_dword v56, off, s[0:3], 0 offset:196
	s_mov_b32 s4, exec_lo
	s_waitcnt vmcnt(0)
	ds_write_b64 v54, v[55:56]
	s_waitcnt lgkmcnt(0)
	s_barrier
	buffer_gl0_inv
	v_cmpx_ne_u32_e32 24, v0
	s_cbranch_execz .LBB24_111
; %bb.108:
	v_mov_b32_e32 v52, 0
	v_mov_b32_e32 v55, 0
	s_mov_b32 s5, 0
	.p2align	6
.LBB24_109:                             ; =>This Inner Loop Header: Depth=1
	s_clause 0x1
	buffer_load_dword v58, v53, s[0:3], 0 offen offset:4
	buffer_load_dword v59, v53, s[0:3], 0 offen
	ds_read_b64 v[56:57], v54
	v_add_nc_u32_e32 v51, 1, v51
	v_add_nc_u32_e32 v54, 8, v54
	;; [unrolled: 1-line block ×3, first 2 shown]
	v_cmp_lt_u32_e32 vcc_lo, 22, v51
	s_or_b32 s5, vcc_lo, s5
	s_waitcnt vmcnt(1) lgkmcnt(0)
	v_mul_f32_e32 v60, v57, v58
	v_mul_f32_e32 v58, v56, v58
	s_waitcnt vmcnt(0)
	v_fma_f32 v56, v56, v59, -v60
	v_fmac_f32_e32 v58, v57, v59
	v_add_f32_e32 v55, v55, v56
	v_add_f32_e32 v52, v52, v58
	s_andn2_b32 exec_lo, exec_lo, s5
	s_cbranch_execnz .LBB24_109
; %bb.110:
	s_or_b32 exec_lo, exec_lo, s5
	v_mov_b32_e32 v51, 0
	ds_read_b64 v[53:54], v51 offset:192
	s_waitcnt lgkmcnt(0)
	v_mul_f32_e32 v51, v52, v54
	v_mul_f32_e32 v54, v55, v54
	v_fma_f32 v51, v55, v53, -v51
	v_fmac_f32_e32 v54, v52, v53
	buffer_store_dword v51, off, s[0:3], 0 offset:192
	buffer_store_dword v54, off, s[0:3], 0 offset:196
.LBB24_111:
	s_or_b32 exec_lo, exec_lo, s4
	s_mov_b32 s5, -1
	s_waitcnt_vscnt null, 0x0
	s_barrier
	buffer_gl0_inv
.LBB24_112:
	s_and_b32 vcc_lo, exec_lo, s5
	s_cbranch_vccz .LBB24_114
; %bb.113:
	s_lshl_b64 s[4:5], s[6:7], 2
	v_mov_b32_e32 v51, 0
	s_add_u32 s4, s10, s4
	s_addc_u32 s5, s11, s5
	global_load_dword v51, v51, s[4:5]
	s_waitcnt vmcnt(0)
	v_cmp_ne_u32_e32 vcc_lo, 0, v51
	s_cbranch_vccz .LBB24_115
.LBB24_114:
	s_endpgm
.LBB24_115:
	v_lshl_add_u32 v51, v0, 3, 0xd0
	s_mov_b32 s4, exec_lo
	v_cmpx_eq_u32_e32 24, v0
	s_cbranch_execz .LBB24_117
; %bb.116:
	s_clause 0x1
	buffer_load_dword v52, off, s[0:3], 0 offset:184
	buffer_load_dword v53, off, s[0:3], 0 offset:188
	v_mov_b32_e32 v54, 0
	buffer_store_dword v54, off, s[0:3], 0 offset:184
	buffer_store_dword v54, off, s[0:3], 0 offset:188
	s_waitcnt vmcnt(0)
	ds_write_b64 v51, v[52:53]
.LBB24_117:
	s_or_b32 exec_lo, exec_lo, s4
	s_waitcnt lgkmcnt(0)
	s_waitcnt_vscnt null, 0x0
	s_barrier
	buffer_gl0_inv
	s_clause 0x3
	buffer_load_dword v55, off, s[0:3], 0 offset:196
	buffer_load_dword v56, off, s[0:3], 0 offset:192
	;; [unrolled: 1-line block ×4, first 2 shown]
	v_mov_b32_e32 v52, 0
	s_mov_b32 s4, exec_lo
	ds_read_b64 v[53:54], v52 offset:400
	s_waitcnt vmcnt(3) lgkmcnt(0)
	v_mul_f32_e32 v59, v54, v55
	v_mul_f32_e32 v55, v53, v55
	s_waitcnt vmcnt(2)
	v_fma_f32 v53, v53, v56, -v59
	v_fmac_f32_e32 v55, v54, v56
	v_add_f32_e32 v53, 0, v53
	v_add_f32_e32 v54, 0, v55
	s_waitcnt vmcnt(1)
	v_sub_f32_e32 v53, v57, v53
	s_waitcnt vmcnt(0)
	v_sub_f32_e32 v54, v58, v54
	buffer_store_dword v53, off, s[0:3], 0 offset:184
	buffer_store_dword v54, off, s[0:3], 0 offset:188
	v_cmpx_lt_u32_e32 22, v0
	s_cbranch_execz .LBB24_119
; %bb.118:
	s_clause 0x1
	buffer_load_dword v53, off, s[0:3], 0 offset:176
	buffer_load_dword v54, off, s[0:3], 0 offset:180
	buffer_store_dword v52, off, s[0:3], 0 offset:176
	buffer_store_dword v52, off, s[0:3], 0 offset:180
	s_waitcnt vmcnt(0)
	ds_write_b64 v51, v[53:54]
.LBB24_119:
	s_or_b32 exec_lo, exec_lo, s4
	s_waitcnt lgkmcnt(0)
	s_waitcnt_vscnt null, 0x0
	s_barrier
	buffer_gl0_inv
	s_clause 0x5
	buffer_load_dword v56, off, s[0:3], 0 offset:188
	buffer_load_dword v57, off, s[0:3], 0 offset:196
	;; [unrolled: 1-line block ×6, first 2 shown]
	ds_read2_b64 v[52:55], v52 offset0:49 offset1:50
	s_mov_b32 s4, exec_lo
	s_waitcnt vmcnt(5) lgkmcnt(0)
	v_mul_f32_e32 v62, v53, v56
	v_mul_f32_e32 v56, v52, v56
	s_waitcnt vmcnt(4)
	v_mul_f32_e32 v63, v54, v57
	v_mul_f32_e32 v57, v55, v57
	s_waitcnt vmcnt(3)
	v_fma_f32 v52, v52, v58, -v62
	v_fmac_f32_e32 v56, v53, v58
	s_waitcnt vmcnt(2)
	v_fmac_f32_e32 v63, v55, v59
	v_fma_f32 v53, v54, v59, -v57
	v_add_f32_e32 v52, 0, v52
	v_add_f32_e32 v54, 0, v56
	;; [unrolled: 1-line block ×4, first 2 shown]
	s_waitcnt vmcnt(1)
	v_sub_f32_e32 v52, v60, v52
	s_waitcnt vmcnt(0)
	v_sub_f32_e32 v53, v61, v53
	buffer_store_dword v52, off, s[0:3], 0 offset:176
	buffer_store_dword v53, off, s[0:3], 0 offset:180
	v_cmpx_lt_u32_e32 21, v0
	s_cbranch_execz .LBB24_121
; %bb.120:
	s_clause 0x1
	buffer_load_dword v52, off, s[0:3], 0 offset:168
	buffer_load_dword v53, off, s[0:3], 0 offset:172
	v_mov_b32_e32 v54, 0
	buffer_store_dword v54, off, s[0:3], 0 offset:168
	buffer_store_dword v54, off, s[0:3], 0 offset:172
	s_waitcnt vmcnt(0)
	ds_write_b64 v51, v[52:53]
.LBB24_121:
	s_or_b32 exec_lo, exec_lo, s4
	s_waitcnt lgkmcnt(0)
	s_waitcnt_vscnt null, 0x0
	s_barrier
	buffer_gl0_inv
	s_clause 0x7
	buffer_load_dword v59, off, s[0:3], 0 offset:180
	buffer_load_dword v60, off, s[0:3], 0 offset:188
	;; [unrolled: 1-line block ×8, first 2 shown]
	v_mov_b32_e32 v52, 0
	ds_read_b128 v[53:56], v52 offset:384
	ds_read_b64 v[57:58], v52 offset:400
	s_mov_b32 s4, exec_lo
	s_waitcnt vmcnt(7) lgkmcnt(1)
	v_mul_f32_e32 v67, v54, v59
	v_mul_f32_e32 v59, v53, v59
	s_waitcnt vmcnt(6)
	v_mul_f32_e32 v68, v55, v60
	v_mul_f32_e32 v60, v56, v60
	s_waitcnt vmcnt(5) lgkmcnt(0)
	v_mul_f32_e32 v69, v57, v61
	s_waitcnt vmcnt(4)
	v_fma_f32 v53, v53, v62, -v67
	v_fmac_f32_e32 v59, v54, v62
	v_mul_f32_e32 v54, v58, v61
	s_waitcnt vmcnt(3)
	v_fma_f32 v55, v55, v63, -v60
	v_fmac_f32_e32 v68, v56, v63
	v_add_f32_e32 v53, 0, v53
	v_add_f32_e32 v56, 0, v59
	s_waitcnt vmcnt(2)
	v_fma_f32 v54, v57, v64, -v54
	v_fmac_f32_e32 v69, v58, v64
	v_add_f32_e32 v53, v53, v55
	v_add_f32_e32 v55, v56, v68
	;; [unrolled: 1-line block ×4, first 2 shown]
	s_waitcnt vmcnt(1)
	v_sub_f32_e32 v53, v65, v53
	s_waitcnt vmcnt(0)
	v_sub_f32_e32 v54, v66, v54
	buffer_store_dword v53, off, s[0:3], 0 offset:168
	buffer_store_dword v54, off, s[0:3], 0 offset:172
	v_cmpx_lt_u32_e32 20, v0
	s_cbranch_execz .LBB24_123
; %bb.122:
	s_clause 0x1
	buffer_load_dword v53, off, s[0:3], 0 offset:160
	buffer_load_dword v54, off, s[0:3], 0 offset:164
	buffer_store_dword v52, off, s[0:3], 0 offset:160
	buffer_store_dword v52, off, s[0:3], 0 offset:164
	s_waitcnt vmcnt(0)
	ds_write_b64 v51, v[53:54]
.LBB24_123:
	s_or_b32 exec_lo, exec_lo, s4
	s_waitcnt lgkmcnt(0)
	s_waitcnt_vscnt null, 0x0
	s_barrier
	buffer_gl0_inv
	s_clause 0x9
	buffer_load_dword v61, off, s[0:3], 0 offset:172
	buffer_load_dword v62, off, s[0:3], 0 offset:180
	;; [unrolled: 1-line block ×10, first 2 shown]
	ds_read2_b64 v[53:56], v52 offset0:47 offset1:48
	ds_read2_b64 v[57:60], v52 offset0:49 offset1:50
	s_mov_b32 s4, exec_lo
	s_waitcnt vmcnt(9) lgkmcnt(1)
	v_mul_f32_e32 v52, v53, v61
	v_mul_f32_e32 v61, v54, v61
	s_waitcnt vmcnt(8)
	v_mul_f32_e32 v71, v55, v62
	v_mul_f32_e32 v62, v56, v62
	s_waitcnt vmcnt(7) lgkmcnt(0)
	v_mul_f32_e32 v72, v57, v63
	s_waitcnt vmcnt(5)
	v_fmac_f32_e32 v52, v54, v65
	v_fma_f32 v53, v53, v65, -v61
	v_mul_f32_e32 v54, v58, v63
	s_waitcnt vmcnt(4)
	v_fma_f32 v55, v55, v66, -v62
	v_fmac_f32_e32 v71, v56, v66
	v_add_f32_e32 v52, 0, v52
	v_add_f32_e32 v53, 0, v53
	v_mul_f32_e32 v56, v60, v64
	s_waitcnt vmcnt(3)
	v_fma_f32 v54, v57, v67, -v54
	v_mul_f32_e32 v73, v59, v64
	v_fmac_f32_e32 v72, v58, v67
	v_add_f32_e32 v53, v53, v55
	v_add_f32_e32 v52, v52, v71
	s_waitcnt vmcnt(2)
	v_fma_f32 v55, v59, v68, -v56
	v_fmac_f32_e32 v73, v60, v68
	v_add_f32_e32 v53, v53, v54
	v_add_f32_e32 v52, v52, v72
	;; [unrolled: 1-line block ×4, first 2 shown]
	s_waitcnt vmcnt(1)
	v_sub_f32_e32 v53, v69, v53
	s_waitcnt vmcnt(0)
	v_sub_f32_e32 v52, v70, v52
	buffer_store_dword v53, off, s[0:3], 0 offset:160
	buffer_store_dword v52, off, s[0:3], 0 offset:164
	v_cmpx_lt_u32_e32 19, v0
	s_cbranch_execz .LBB24_125
; %bb.124:
	s_clause 0x1
	buffer_load_dword v52, off, s[0:3], 0 offset:152
	buffer_load_dword v53, off, s[0:3], 0 offset:156
	v_mov_b32_e32 v54, 0
	buffer_store_dword v54, off, s[0:3], 0 offset:152
	buffer_store_dword v54, off, s[0:3], 0 offset:156
	s_waitcnt vmcnt(0)
	ds_write_b64 v51, v[52:53]
.LBB24_125:
	s_or_b32 exec_lo, exec_lo, s4
	s_waitcnt lgkmcnt(0)
	s_waitcnt_vscnt null, 0x0
	s_barrier
	buffer_gl0_inv
	s_clause 0xb
	buffer_load_dword v63, off, s[0:3], 0 offset:164
	buffer_load_dword v64, off, s[0:3], 0 offset:172
	;; [unrolled: 1-line block ×12, first 2 shown]
	v_mov_b32_e32 v52, 0
	ds_read_b128 v[53:56], v52 offset:368
	ds_read_b128 v[57:60], v52 offset:384
	ds_read_b64 v[61:62], v52 offset:400
	s_mov_b32 s4, exec_lo
	s_waitcnt vmcnt(11) lgkmcnt(2)
	v_mul_f32_e32 v75, v53, v63
	v_mul_f32_e32 v63, v54, v63
	s_waitcnt vmcnt(10)
	v_mul_f32_e32 v76, v55, v64
	v_mul_f32_e32 v64, v56, v64
	s_waitcnt vmcnt(9) lgkmcnt(1)
	v_mul_f32_e32 v77, v57, v65
	s_waitcnt vmcnt(6)
	v_fmac_f32_e32 v75, v54, v68
	v_fma_f32 v53, v53, v68, -v63
	v_mul_f32_e32 v54, v58, v65
	s_waitcnt vmcnt(5)
	v_fma_f32 v55, v55, v69, -v64
	v_fmac_f32_e32 v76, v56, v69
	v_add_f32_e32 v56, 0, v75
	v_add_f32_e32 v53, 0, v53
	v_mul_f32_e32 v63, v60, v66
	s_waitcnt vmcnt(4)
	v_fma_f32 v54, v57, v70, -v54
	v_mul_f32_e32 v78, v59, v66
	v_fmac_f32_e32 v77, v58, v70
	v_add_f32_e32 v53, v53, v55
	v_add_f32_e32 v55, v56, v76
	s_waitcnt lgkmcnt(0)
	v_mul_f32_e32 v56, v62, v67
	s_waitcnt vmcnt(3)
	v_fma_f32 v57, v59, v71, -v63
	v_mul_f32_e32 v79, v61, v67
	v_add_f32_e32 v53, v53, v54
	v_fmac_f32_e32 v78, v60, v71
	v_add_f32_e32 v54, v55, v77
	s_waitcnt vmcnt(2)
	v_fma_f32 v55, v61, v72, -v56
	v_fmac_f32_e32 v79, v62, v72
	v_add_f32_e32 v53, v53, v57
	v_add_f32_e32 v54, v54, v78
	;; [unrolled: 1-line block ×4, first 2 shown]
	s_waitcnt vmcnt(1)
	v_sub_f32_e32 v53, v73, v53
	s_waitcnt vmcnt(0)
	v_sub_f32_e32 v54, v74, v54
	buffer_store_dword v53, off, s[0:3], 0 offset:152
	buffer_store_dword v54, off, s[0:3], 0 offset:156
	v_cmpx_lt_u32_e32 18, v0
	s_cbranch_execz .LBB24_127
; %bb.126:
	s_clause 0x1
	buffer_load_dword v53, off, s[0:3], 0 offset:144
	buffer_load_dword v54, off, s[0:3], 0 offset:148
	buffer_store_dword v52, off, s[0:3], 0 offset:144
	buffer_store_dword v52, off, s[0:3], 0 offset:148
	s_waitcnt vmcnt(0)
	ds_write_b64 v51, v[53:54]
.LBB24_127:
	s_or_b32 exec_lo, exec_lo, s4
	s_waitcnt lgkmcnt(0)
	s_waitcnt_vscnt null, 0x0
	s_barrier
	buffer_gl0_inv
	s_clause 0xd
	buffer_load_dword v65, off, s[0:3], 0 offset:156
	buffer_load_dword v66, off, s[0:3], 0 offset:164
	;; [unrolled: 1-line block ×14, first 2 shown]
	ds_read2_b64 v[53:56], v52 offset0:45 offset1:46
	ds_read2_b64 v[57:60], v52 offset0:47 offset1:48
	;; [unrolled: 1-line block ×3, first 2 shown]
	s_mov_b32 s4, exec_lo
	s_waitcnt vmcnt(13) lgkmcnt(2)
	v_mul_f32_e32 v52, v53, v65
	v_mul_f32_e32 v65, v54, v65
	s_waitcnt vmcnt(12)
	v_mul_f32_e32 v79, v55, v66
	v_mul_f32_e32 v66, v56, v66
	s_waitcnt vmcnt(11) lgkmcnt(1)
	v_mul_f32_e32 v80, v57, v67
	s_waitcnt vmcnt(10)
	v_mul_f32_e32 v81, v59, v68
	s_waitcnt vmcnt(7)
	v_fma_f32 v53, v53, v71, -v65
	v_fmac_f32_e32 v52, v54, v71
	v_mul_f32_e32 v54, v58, v67
	s_waitcnt vmcnt(6)
	v_fma_f32 v55, v55, v72, -v66
	v_fmac_f32_e32 v79, v56, v72
	v_add_f32_e32 v53, 0, v53
	v_add_f32_e32 v52, 0, v52
	v_mul_f32_e32 v56, v60, v68
	s_waitcnt vmcnt(5)
	v_fma_f32 v54, v57, v73, -v54
	v_fmac_f32_e32 v80, v58, v73
	v_add_f32_e32 v53, v53, v55
	v_add_f32_e32 v52, v52, v79
	s_waitcnt lgkmcnt(0)
	v_mul_f32_e32 v55, v62, v69
	s_waitcnt vmcnt(4)
	v_fma_f32 v56, v59, v74, -v56
	v_mul_f32_e32 v82, v61, v69
	v_add_f32_e32 v53, v53, v54
	v_fmac_f32_e32 v81, v60, v74
	v_add_f32_e32 v52, v52, v80
	v_mul_f32_e32 v54, v64, v70
	s_waitcnt vmcnt(3)
	v_fma_f32 v55, v61, v75, -v55
	v_add_f32_e32 v53, v53, v56
	v_mul_f32_e32 v83, v63, v70
	v_fmac_f32_e32 v82, v62, v75
	v_add_f32_e32 v52, v52, v81
	s_waitcnt vmcnt(2)
	v_fma_f32 v54, v63, v76, -v54
	v_add_f32_e32 v53, v53, v55
	v_fmac_f32_e32 v83, v64, v76
	v_add_f32_e32 v52, v52, v82
	v_add_f32_e32 v53, v53, v54
	;; [unrolled: 1-line block ×3, first 2 shown]
	s_waitcnt vmcnt(1)
	v_sub_f32_e32 v53, v77, v53
	s_waitcnt vmcnt(0)
	v_sub_f32_e32 v52, v78, v52
	buffer_store_dword v53, off, s[0:3], 0 offset:144
	buffer_store_dword v52, off, s[0:3], 0 offset:148
	v_cmpx_lt_u32_e32 17, v0
	s_cbranch_execz .LBB24_129
; %bb.128:
	s_clause 0x1
	buffer_load_dword v52, off, s[0:3], 0 offset:136
	buffer_load_dword v53, off, s[0:3], 0 offset:140
	v_mov_b32_e32 v54, 0
	buffer_store_dword v54, off, s[0:3], 0 offset:136
	buffer_store_dword v54, off, s[0:3], 0 offset:140
	s_waitcnt vmcnt(0)
	ds_write_b64 v51, v[52:53]
.LBB24_129:
	s_or_b32 exec_lo, exec_lo, s4
	s_waitcnt lgkmcnt(0)
	s_waitcnt_vscnt null, 0x0
	s_barrier
	buffer_gl0_inv
	s_clause 0xf
	buffer_load_dword v67, off, s[0:3], 0 offset:148
	buffer_load_dword v68, off, s[0:3], 0 offset:156
	;; [unrolled: 1-line block ×16, first 2 shown]
	v_mov_b32_e32 v52, 0
	ds_read_b128 v[53:56], v52 offset:352
	ds_read_b128 v[57:60], v52 offset:368
	;; [unrolled: 1-line block ×3, first 2 shown]
	ds_read_b64 v[65:66], v52 offset:400
	s_mov_b32 s4, exec_lo
	s_waitcnt vmcnt(15) lgkmcnt(3)
	v_mul_f32_e32 v83, v53, v67
	v_mul_f32_e32 v67, v54, v67
	s_waitcnt vmcnt(14)
	v_mul_f32_e32 v84, v55, v68
	v_mul_f32_e32 v68, v56, v68
	s_waitcnt vmcnt(13) lgkmcnt(2)
	v_mul_f32_e32 v85, v57, v69
	s_waitcnt vmcnt(12)
	v_mul_f32_e32 v86, v59, v70
	s_waitcnt vmcnt(11) lgkmcnt(1)
	v_mul_f32_e32 v87, v61, v71
	s_waitcnt vmcnt(8)
	v_fma_f32 v53, v53, v74, -v67
	v_fmac_f32_e32 v83, v54, v74
	v_mul_f32_e32 v54, v58, v69
	s_waitcnt vmcnt(7)
	v_fma_f32 v55, v55, v75, -v68
	v_fmac_f32_e32 v84, v56, v75
	v_add_f32_e32 v53, 0, v53
	v_add_f32_e32 v56, 0, v83
	v_mul_f32_e32 v67, v60, v70
	s_waitcnt vmcnt(6)
	v_fma_f32 v54, v57, v76, -v54
	v_fmac_f32_e32 v85, v58, v76
	v_add_f32_e32 v53, v53, v55
	v_add_f32_e32 v55, v56, v84
	;; [unrolled: 6-line block ×3, first 2 shown]
	v_mul_f32_e32 v55, v64, v72
	s_waitcnt vmcnt(4)
	v_fma_f32 v56, v61, v78, -v56
	v_mul_f32_e32 v88, v63, v72
	v_add_f32_e32 v53, v53, v57
	v_fmac_f32_e32 v87, v62, v78
	v_add_f32_e32 v54, v54, v86
	s_waitcnt lgkmcnt(0)
	v_mul_f32_e32 v57, v66, v73
	s_waitcnt vmcnt(3)
	v_fma_f32 v55, v63, v79, -v55
	v_add_f32_e32 v53, v53, v56
	v_mul_f32_e32 v89, v65, v73
	v_fmac_f32_e32 v88, v64, v79
	v_add_f32_e32 v54, v54, v87
	s_waitcnt vmcnt(2)
	v_fma_f32 v56, v65, v80, -v57
	v_add_f32_e32 v53, v53, v55
	v_fmac_f32_e32 v89, v66, v80
	v_add_f32_e32 v54, v54, v88
	v_add_f32_e32 v53, v53, v56
	;; [unrolled: 1-line block ×3, first 2 shown]
	s_waitcnt vmcnt(1)
	v_sub_f32_e32 v53, v81, v53
	s_waitcnt vmcnt(0)
	v_sub_f32_e32 v54, v82, v54
	buffer_store_dword v53, off, s[0:3], 0 offset:136
	buffer_store_dword v54, off, s[0:3], 0 offset:140
	v_cmpx_lt_u32_e32 16, v0
	s_cbranch_execz .LBB24_131
; %bb.130:
	s_clause 0x1
	buffer_load_dword v53, off, s[0:3], 0 offset:128
	buffer_load_dword v54, off, s[0:3], 0 offset:132
	buffer_store_dword v52, off, s[0:3], 0 offset:128
	buffer_store_dword v52, off, s[0:3], 0 offset:132
	s_waitcnt vmcnt(0)
	ds_write_b64 v51, v[53:54]
.LBB24_131:
	s_or_b32 exec_lo, exec_lo, s4
	s_waitcnt lgkmcnt(0)
	s_waitcnt_vscnt null, 0x0
	s_barrier
	buffer_gl0_inv
	s_clause 0x11
	buffer_load_dword v69, off, s[0:3], 0 offset:140
	buffer_load_dword v70, off, s[0:3], 0 offset:148
	;; [unrolled: 1-line block ×18, first 2 shown]
	ds_read2_b64 v[53:56], v52 offset0:43 offset1:44
	ds_read2_b64 v[57:60], v52 offset0:45 offset1:46
	;; [unrolled: 1-line block ×4, first 2 shown]
	s_mov_b32 s4, exec_lo
	s_waitcnt vmcnt(17) lgkmcnt(3)
	v_mul_f32_e32 v52, v53, v69
	v_mul_f32_e32 v69, v54, v69
	s_waitcnt vmcnt(16)
	v_mul_f32_e32 v87, v55, v70
	v_mul_f32_e32 v70, v56, v70
	s_waitcnt vmcnt(15) lgkmcnt(2)
	v_mul_f32_e32 v88, v57, v71
	s_waitcnt vmcnt(14)
	v_mul_f32_e32 v89, v59, v72
	s_waitcnt vmcnt(13) lgkmcnt(1)
	v_mul_f32_e32 v90, v61, v73
	s_waitcnt vmcnt(12)
	v_mul_f32_e32 v91, v63, v74
	s_waitcnt vmcnt(9)
	v_fma_f32 v53, v53, v77, -v69
	v_fmac_f32_e32 v52, v54, v77
	v_mul_f32_e32 v54, v58, v71
	s_waitcnt vmcnt(8)
	v_fma_f32 v55, v55, v78, -v70
	v_fmac_f32_e32 v87, v56, v78
	v_add_f32_e32 v53, 0, v53
	v_add_f32_e32 v52, 0, v52
	v_mul_f32_e32 v56, v60, v72
	s_waitcnt vmcnt(7)
	v_fma_f32 v54, v57, v79, -v54
	v_fmac_f32_e32 v88, v58, v79
	v_add_f32_e32 v53, v53, v55
	v_add_f32_e32 v52, v52, v87
	;; [unrolled: 6-line block ×4, first 2 shown]
	s_waitcnt lgkmcnt(0)
	v_mul_f32_e32 v56, v66, v75
	s_waitcnt vmcnt(4)
	v_fma_f32 v54, v63, v82, -v54
	v_mul_f32_e32 v92, v65, v75
	v_add_f32_e32 v53, v53, v55
	v_fmac_f32_e32 v91, v64, v82
	v_add_f32_e32 v52, v52, v90
	v_mul_f32_e32 v55, v68, v76
	s_waitcnt vmcnt(3)
	v_fma_f32 v56, v65, v83, -v56
	v_add_f32_e32 v53, v53, v54
	v_mul_f32_e32 v93, v67, v76
	v_fmac_f32_e32 v92, v66, v83
	v_add_f32_e32 v52, v52, v91
	s_waitcnt vmcnt(2)
	v_fma_f32 v54, v67, v84, -v55
	v_add_f32_e32 v53, v53, v56
	v_fmac_f32_e32 v93, v68, v84
	v_add_f32_e32 v52, v52, v92
	v_add_f32_e32 v53, v53, v54
	;; [unrolled: 1-line block ×3, first 2 shown]
	s_waitcnt vmcnt(1)
	v_sub_f32_e32 v53, v85, v53
	s_waitcnt vmcnt(0)
	v_sub_f32_e32 v52, v86, v52
	buffer_store_dword v53, off, s[0:3], 0 offset:128
	buffer_store_dword v52, off, s[0:3], 0 offset:132
	v_cmpx_lt_u32_e32 15, v0
	s_cbranch_execz .LBB24_133
; %bb.132:
	s_clause 0x1
	buffer_load_dword v52, off, s[0:3], 0 offset:120
	buffer_load_dword v53, off, s[0:3], 0 offset:124
	v_mov_b32_e32 v54, 0
	buffer_store_dword v54, off, s[0:3], 0 offset:120
	buffer_store_dword v54, off, s[0:3], 0 offset:124
	s_waitcnt vmcnt(0)
	ds_write_b64 v51, v[52:53]
.LBB24_133:
	s_or_b32 exec_lo, exec_lo, s4
	s_waitcnt lgkmcnt(0)
	s_waitcnt_vscnt null, 0x0
	s_barrier
	buffer_gl0_inv
	s_clause 0x13
	buffer_load_dword v71, off, s[0:3], 0 offset:132
	buffer_load_dword v72, off, s[0:3], 0 offset:140
	buffer_load_dword v73, off, s[0:3], 0 offset:148
	buffer_load_dword v74, off, s[0:3], 0 offset:156
	buffer_load_dword v75, off, s[0:3], 0 offset:164
	buffer_load_dword v76, off, s[0:3], 0 offset:172
	buffer_load_dword v77, off, s[0:3], 0 offset:180
	buffer_load_dword v78, off, s[0:3], 0 offset:188
	buffer_load_dword v79, off, s[0:3], 0 offset:196
	buffer_load_dword v80, off, s[0:3], 0 offset:128
	buffer_load_dword v81, off, s[0:3], 0 offset:136
	buffer_load_dword v82, off, s[0:3], 0 offset:144
	buffer_load_dword v83, off, s[0:3], 0 offset:152
	buffer_load_dword v84, off, s[0:3], 0 offset:160
	buffer_load_dword v85, off, s[0:3], 0 offset:168
	buffer_load_dword v86, off, s[0:3], 0 offset:176
	buffer_load_dword v87, off, s[0:3], 0 offset:184
	buffer_load_dword v88, off, s[0:3], 0 offset:192
	buffer_load_dword v89, off, s[0:3], 0 offset:120
	buffer_load_dword v90, off, s[0:3], 0 offset:124
	v_mov_b32_e32 v52, 0
	ds_read_b128 v[53:56], v52 offset:336
	ds_read_b128 v[57:60], v52 offset:352
	;; [unrolled: 1-line block ×4, first 2 shown]
	ds_read_b64 v[69:70], v52 offset:400
	s_mov_b32 s4, exec_lo
	s_waitcnt vmcnt(19) lgkmcnt(4)
	v_mul_f32_e32 v91, v53, v71
	v_mul_f32_e32 v71, v54, v71
	s_waitcnt vmcnt(18)
	v_mul_f32_e32 v92, v55, v72
	v_mul_f32_e32 v72, v56, v72
	s_waitcnt vmcnt(17) lgkmcnt(3)
	v_mul_f32_e32 v93, v57, v73
	s_waitcnt vmcnt(16)
	v_mul_f32_e32 v94, v59, v74
	s_waitcnt vmcnt(15) lgkmcnt(2)
	v_mul_f32_e32 v95, v61, v75
	s_waitcnt vmcnt(14)
	;; [unrolled: 4-line block ×3, first 2 shown]
	v_fma_f32 v53, v53, v80, -v71
	v_fmac_f32_e32 v91, v54, v80
	v_mul_f32_e32 v54, v58, v73
	s_waitcnt vmcnt(9)
	v_fma_f32 v55, v55, v81, -v72
	v_fmac_f32_e32 v92, v56, v81
	v_add_f32_e32 v53, 0, v53
	v_add_f32_e32 v56, 0, v91
	v_mul_f32_e32 v71, v60, v74
	s_waitcnt vmcnt(8)
	v_fma_f32 v54, v57, v82, -v54
	v_fmac_f32_e32 v93, v58, v82
	v_add_f32_e32 v53, v53, v55
	v_add_f32_e32 v55, v56, v92
	;; [unrolled: 6-line block ×5, first 2 shown]
	v_mul_f32_e32 v56, v68, v78
	s_waitcnt vmcnt(4)
	v_fma_f32 v57, v65, v86, -v57
	v_mul_f32_e32 v98, v67, v78
	v_add_f32_e32 v53, v53, v55
	v_fmac_f32_e32 v97, v66, v86
	v_add_f32_e32 v54, v54, v96
	s_waitcnt lgkmcnt(0)
	v_mul_f32_e32 v55, v70, v79
	s_waitcnt vmcnt(3)
	v_fma_f32 v56, v67, v87, -v56
	v_add_f32_e32 v53, v53, v57
	v_mul_f32_e32 v99, v69, v79
	v_fmac_f32_e32 v98, v68, v87
	v_add_f32_e32 v54, v54, v97
	s_waitcnt vmcnt(2)
	v_fma_f32 v55, v69, v88, -v55
	v_add_f32_e32 v53, v53, v56
	v_fmac_f32_e32 v99, v70, v88
	v_add_f32_e32 v54, v54, v98
	v_add_f32_e32 v53, v53, v55
	;; [unrolled: 1-line block ×3, first 2 shown]
	s_waitcnt vmcnt(1)
	v_sub_f32_e32 v53, v89, v53
	s_waitcnt vmcnt(0)
	v_sub_f32_e32 v54, v90, v54
	buffer_store_dword v53, off, s[0:3], 0 offset:120
	buffer_store_dword v54, off, s[0:3], 0 offset:124
	v_cmpx_lt_u32_e32 14, v0
	s_cbranch_execz .LBB24_135
; %bb.134:
	s_clause 0x1
	buffer_load_dword v53, off, s[0:3], 0 offset:112
	buffer_load_dword v54, off, s[0:3], 0 offset:116
	buffer_store_dword v52, off, s[0:3], 0 offset:112
	buffer_store_dword v52, off, s[0:3], 0 offset:116
	s_waitcnt vmcnt(0)
	ds_write_b64 v51, v[53:54]
.LBB24_135:
	s_or_b32 exec_lo, exec_lo, s4
	s_waitcnt lgkmcnt(0)
	s_waitcnt_vscnt null, 0x0
	s_barrier
	buffer_gl0_inv
	s_clause 0x15
	buffer_load_dword v73, off, s[0:3], 0 offset:124
	buffer_load_dword v74, off, s[0:3], 0 offset:132
	;; [unrolled: 1-line block ×22, first 2 shown]
	ds_read2_b64 v[53:56], v52 offset0:41 offset1:42
	ds_read2_b64 v[57:60], v52 offset0:43 offset1:44
	;; [unrolled: 1-line block ×5, first 2 shown]
	s_mov_b32 s4, exec_lo
	s_waitcnt vmcnt(21) lgkmcnt(4)
	v_mul_f32_e32 v52, v53, v73
	v_mul_f32_e32 v73, v54, v73
	s_waitcnt vmcnt(20)
	v_mul_f32_e32 v95, v55, v74
	v_mul_f32_e32 v74, v56, v74
	s_waitcnt vmcnt(19) lgkmcnt(3)
	v_mul_f32_e32 v96, v57, v75
	s_waitcnt vmcnt(18)
	v_mul_f32_e32 v97, v59, v76
	s_waitcnt vmcnt(17) lgkmcnt(2)
	v_mul_f32_e32 v98, v61, v77
	s_waitcnt vmcnt(16)
	;; [unrolled: 4-line block ×3, first 2 shown]
	v_mul_f32_e32 v101, v67, v80
	s_waitcnt vmcnt(11)
	v_fma_f32 v53, v53, v83, -v73
	v_fmac_f32_e32 v52, v54, v83
	v_mul_f32_e32 v54, v58, v75
	s_waitcnt vmcnt(10)
	v_fma_f32 v55, v55, v84, -v74
	v_fmac_f32_e32 v95, v56, v84
	v_add_f32_e32 v53, 0, v53
	v_add_f32_e32 v52, 0, v52
	v_mul_f32_e32 v56, v60, v76
	s_waitcnt vmcnt(9)
	v_fma_f32 v54, v57, v85, -v54
	v_fmac_f32_e32 v96, v58, v85
	v_add_f32_e32 v53, v53, v55
	v_add_f32_e32 v52, v52, v95
	;; [unrolled: 6-line block ×6, first 2 shown]
	s_waitcnt lgkmcnt(0)
	v_mul_f32_e32 v54, v70, v81
	s_waitcnt vmcnt(4)
	v_fma_f32 v55, v67, v90, -v55
	v_mul_f32_e32 v102, v69, v81
	v_add_f32_e32 v53, v53, v56
	v_fmac_f32_e32 v101, v68, v90
	v_add_f32_e32 v52, v52, v100
	v_mul_f32_e32 v56, v72, v82
	s_waitcnt vmcnt(3)
	v_fma_f32 v54, v69, v91, -v54
	v_add_f32_e32 v53, v53, v55
	v_mul_f32_e32 v103, v71, v82
	v_fmac_f32_e32 v102, v70, v91
	v_add_f32_e32 v52, v52, v101
	s_waitcnt vmcnt(2)
	v_fma_f32 v55, v71, v92, -v56
	v_add_f32_e32 v53, v53, v54
	v_fmac_f32_e32 v103, v72, v92
	v_add_f32_e32 v52, v52, v102
	v_add_f32_e32 v53, v53, v55
	;; [unrolled: 1-line block ×3, first 2 shown]
	s_waitcnt vmcnt(1)
	v_sub_f32_e32 v53, v93, v53
	s_waitcnt vmcnt(0)
	v_sub_f32_e32 v52, v94, v52
	buffer_store_dword v53, off, s[0:3], 0 offset:112
	buffer_store_dword v52, off, s[0:3], 0 offset:116
	v_cmpx_lt_u32_e32 13, v0
	s_cbranch_execz .LBB24_137
; %bb.136:
	s_clause 0x1
	buffer_load_dword v52, off, s[0:3], 0 offset:104
	buffer_load_dword v53, off, s[0:3], 0 offset:108
	v_mov_b32_e32 v54, 0
	buffer_store_dword v54, off, s[0:3], 0 offset:104
	buffer_store_dword v54, off, s[0:3], 0 offset:108
	s_waitcnt vmcnt(0)
	ds_write_b64 v51, v[52:53]
.LBB24_137:
	s_or_b32 exec_lo, exec_lo, s4
	s_waitcnt lgkmcnt(0)
	s_waitcnt_vscnt null, 0x0
	s_barrier
	buffer_gl0_inv
	s_clause 0x17
	buffer_load_dword v75, off, s[0:3], 0 offset:116
	buffer_load_dword v76, off, s[0:3], 0 offset:124
	;; [unrolled: 1-line block ×24, first 2 shown]
	v_mov_b32_e32 v52, 0
	ds_read_b128 v[53:56], v52 offset:320
	ds_read_b128 v[57:60], v52 offset:336
	;; [unrolled: 1-line block ×5, first 2 shown]
	ds_read_b64 v[73:74], v52 offset:400
	s_mov_b32 s4, exec_lo
	s_waitcnt vmcnt(23) lgkmcnt(5)
	v_mul_f32_e32 v99, v53, v75
	v_mul_f32_e32 v75, v54, v75
	s_waitcnt vmcnt(22)
	v_mul_f32_e32 v100, v55, v76
	v_mul_f32_e32 v76, v56, v76
	s_waitcnt vmcnt(21) lgkmcnt(4)
	v_mul_f32_e32 v101, v57, v77
	s_waitcnt vmcnt(20)
	v_mul_f32_e32 v102, v59, v78
	s_waitcnt vmcnt(19) lgkmcnt(3)
	v_mul_f32_e32 v103, v61, v79
	s_waitcnt vmcnt(18)
	;; [unrolled: 4-line block ×4, first 2 shown]
	v_fma_f32 v53, v53, v86, -v75
	v_fmac_f32_e32 v99, v54, v86
	v_mul_f32_e32 v54, v58, v77
	s_waitcnt vmcnt(11)
	v_fma_f32 v55, v55, v87, -v76
	v_fmac_f32_e32 v100, v56, v87
	v_add_f32_e32 v53, 0, v53
	v_add_f32_e32 v56, 0, v99
	v_mul_f32_e32 v75, v60, v78
	s_waitcnt vmcnt(10)
	v_fma_f32 v54, v57, v88, -v54
	v_fmac_f32_e32 v101, v58, v88
	v_add_f32_e32 v53, v53, v55
	v_add_f32_e32 v55, v56, v100
	;; [unrolled: 6-line block ×7, first 2 shown]
	v_mul_f32_e32 v57, v72, v84
	s_waitcnt vmcnt(4)
	v_fma_f32 v55, v69, v94, -v55
	v_mul_f32_e32 v108, v71, v84
	v_add_f32_e32 v53, v53, v56
	v_fmac_f32_e32 v107, v70, v94
	v_add_f32_e32 v54, v54, v106
	s_waitcnt lgkmcnt(0)
	v_mul_f32_e32 v56, v74, v85
	s_waitcnt vmcnt(3)
	v_fma_f32 v57, v71, v95, -v57
	v_add_f32_e32 v53, v53, v55
	v_mul_f32_e32 v109, v73, v85
	v_fmac_f32_e32 v108, v72, v95
	v_add_f32_e32 v54, v54, v107
	s_waitcnt vmcnt(2)
	v_fma_f32 v55, v73, v96, -v56
	v_add_f32_e32 v53, v53, v57
	v_fmac_f32_e32 v109, v74, v96
	v_add_f32_e32 v54, v54, v108
	v_add_f32_e32 v53, v53, v55
	;; [unrolled: 1-line block ×3, first 2 shown]
	s_waitcnt vmcnt(1)
	v_sub_f32_e32 v53, v97, v53
	s_waitcnt vmcnt(0)
	v_sub_f32_e32 v54, v98, v54
	buffer_store_dword v53, off, s[0:3], 0 offset:104
	buffer_store_dword v54, off, s[0:3], 0 offset:108
	v_cmpx_lt_u32_e32 12, v0
	s_cbranch_execz .LBB24_139
; %bb.138:
	s_clause 0x1
	buffer_load_dword v53, off, s[0:3], 0 offset:96
	buffer_load_dword v54, off, s[0:3], 0 offset:100
	buffer_store_dword v52, off, s[0:3], 0 offset:96
	buffer_store_dword v52, off, s[0:3], 0 offset:100
	s_waitcnt vmcnt(0)
	ds_write_b64 v51, v[53:54]
.LBB24_139:
	s_or_b32 exec_lo, exec_lo, s4
	s_waitcnt lgkmcnt(0)
	s_waitcnt_vscnt null, 0x0
	s_barrier
	buffer_gl0_inv
	s_clause 0x19
	buffer_load_dword v77, off, s[0:3], 0 offset:108
	buffer_load_dword v78, off, s[0:3], 0 offset:116
	;; [unrolled: 1-line block ×26, first 2 shown]
	ds_read2_b64 v[53:56], v52 offset0:39 offset1:40
	ds_read2_b64 v[57:60], v52 offset0:41 offset1:42
	;; [unrolled: 1-line block ×6, first 2 shown]
	s_mov_b32 s4, exec_lo
	s_waitcnt vmcnt(25) lgkmcnt(5)
	v_mul_f32_e32 v52, v53, v77
	v_mul_f32_e32 v77, v54, v77
	s_waitcnt vmcnt(24)
	v_mul_f32_e32 v103, v55, v78
	v_mul_f32_e32 v78, v56, v78
	s_waitcnt vmcnt(23) lgkmcnt(4)
	v_mul_f32_e32 v104, v57, v79
	s_waitcnt vmcnt(22)
	v_mul_f32_e32 v105, v59, v80
	s_waitcnt vmcnt(21) lgkmcnt(3)
	v_mul_f32_e32 v106, v61, v81
	s_waitcnt vmcnt(20)
	;; [unrolled: 4-line block ×4, first 2 shown]
	v_mul_f32_e32 v111, v71, v86
	s_waitcnt vmcnt(13)
	v_fma_f32 v53, v53, v89, -v77
	v_fmac_f32_e32 v52, v54, v89
	v_mul_f32_e32 v54, v58, v79
	s_waitcnt vmcnt(12)
	v_fma_f32 v55, v55, v90, -v78
	v_fmac_f32_e32 v103, v56, v90
	v_add_f32_e32 v53, 0, v53
	v_add_f32_e32 v52, 0, v52
	v_mul_f32_e32 v56, v60, v80
	s_waitcnt vmcnt(11)
	v_fma_f32 v54, v57, v91, -v54
	v_fmac_f32_e32 v104, v58, v91
	v_add_f32_e32 v53, v53, v55
	v_add_f32_e32 v52, v52, v103
	;; [unrolled: 6-line block ×8, first 2 shown]
	s_waitcnt lgkmcnt(0)
	v_mul_f32_e32 v55, v74, v87
	s_waitcnt vmcnt(4)
	v_fma_f32 v56, v71, v98, -v56
	v_mul_f32_e32 v112, v73, v87
	v_add_f32_e32 v53, v53, v54
	v_fmac_f32_e32 v111, v72, v98
	v_add_f32_e32 v52, v52, v110
	v_mul_f32_e32 v54, v76, v88
	s_waitcnt vmcnt(3)
	v_fma_f32 v55, v73, v99, -v55
	v_add_f32_e32 v53, v53, v56
	v_mul_f32_e32 v113, v75, v88
	v_fmac_f32_e32 v112, v74, v99
	v_add_f32_e32 v52, v52, v111
	s_waitcnt vmcnt(2)
	v_fma_f32 v54, v75, v100, -v54
	v_add_f32_e32 v53, v53, v55
	v_fmac_f32_e32 v113, v76, v100
	v_add_f32_e32 v52, v52, v112
	v_add_f32_e32 v53, v53, v54
	;; [unrolled: 1-line block ×3, first 2 shown]
	s_waitcnt vmcnt(1)
	v_sub_f32_e32 v53, v101, v53
	s_waitcnt vmcnt(0)
	v_sub_f32_e32 v52, v102, v52
	buffer_store_dword v53, off, s[0:3], 0 offset:96
	buffer_store_dword v52, off, s[0:3], 0 offset:100
	v_cmpx_lt_u32_e32 11, v0
	s_cbranch_execz .LBB24_141
; %bb.140:
	s_clause 0x1
	buffer_load_dword v52, off, s[0:3], 0 offset:88
	buffer_load_dword v53, off, s[0:3], 0 offset:92
	v_mov_b32_e32 v54, 0
	buffer_store_dword v54, off, s[0:3], 0 offset:88
	buffer_store_dword v54, off, s[0:3], 0 offset:92
	s_waitcnt vmcnt(0)
	ds_write_b64 v51, v[52:53]
.LBB24_141:
	s_or_b32 exec_lo, exec_lo, s4
	s_waitcnt lgkmcnt(0)
	s_waitcnt_vscnt null, 0x0
	s_barrier
	buffer_gl0_inv
	s_clause 0x1b
	buffer_load_dword v79, off, s[0:3], 0 offset:100
	buffer_load_dword v80, off, s[0:3], 0 offset:108
	buffer_load_dword v81, off, s[0:3], 0 offset:116
	buffer_load_dword v82, off, s[0:3], 0 offset:124
	buffer_load_dword v83, off, s[0:3], 0 offset:132
	buffer_load_dword v84, off, s[0:3], 0 offset:140
	buffer_load_dword v85, off, s[0:3], 0 offset:148
	buffer_load_dword v86, off, s[0:3], 0 offset:156
	buffer_load_dword v87, off, s[0:3], 0 offset:164
	buffer_load_dword v88, off, s[0:3], 0 offset:172
	buffer_load_dword v89, off, s[0:3], 0 offset:180
	buffer_load_dword v90, off, s[0:3], 0 offset:188
	buffer_load_dword v91, off, s[0:3], 0 offset:196
	buffer_load_dword v92, off, s[0:3], 0 offset:96
	buffer_load_dword v93, off, s[0:3], 0 offset:104
	buffer_load_dword v94, off, s[0:3], 0 offset:112
	buffer_load_dword v95, off, s[0:3], 0 offset:120
	buffer_load_dword v96, off, s[0:3], 0 offset:128
	buffer_load_dword v97, off, s[0:3], 0 offset:136
	buffer_load_dword v98, off, s[0:3], 0 offset:144
	buffer_load_dword v99, off, s[0:3], 0 offset:152
	buffer_load_dword v100, off, s[0:3], 0 offset:160
	buffer_load_dword v101, off, s[0:3], 0 offset:168
	buffer_load_dword v102, off, s[0:3], 0 offset:176
	buffer_load_dword v103, off, s[0:3], 0 offset:184
	buffer_load_dword v104, off, s[0:3], 0 offset:192
	buffer_load_dword v105, off, s[0:3], 0 offset:88
	buffer_load_dword v106, off, s[0:3], 0 offset:92
	v_mov_b32_e32 v52, 0
	ds_read_b128 v[53:56], v52 offset:304
	ds_read_b128 v[57:60], v52 offset:320
	;; [unrolled: 1-line block ×6, first 2 shown]
	ds_read_b64 v[77:78], v52 offset:400
	s_mov_b32 s4, exec_lo
	s_waitcnt vmcnt(27) lgkmcnt(6)
	v_mul_f32_e32 v107, v53, v79
	v_mul_f32_e32 v79, v54, v79
	s_waitcnt vmcnt(26)
	v_mul_f32_e32 v108, v55, v80
	v_mul_f32_e32 v80, v56, v80
	s_waitcnt vmcnt(25) lgkmcnt(5)
	v_mul_f32_e32 v109, v57, v81
	s_waitcnt vmcnt(24)
	v_mul_f32_e32 v110, v59, v82
	s_waitcnt vmcnt(23) lgkmcnt(4)
	v_mul_f32_e32 v111, v61, v83
	s_waitcnt vmcnt(22)
	;; [unrolled: 4-line block ×5, first 2 shown]
	v_fma_f32 v53, v53, v92, -v79
	v_fmac_f32_e32 v107, v54, v92
	v_mul_f32_e32 v54, v58, v81
	s_waitcnt vmcnt(13)
	v_fma_f32 v55, v55, v93, -v80
	v_fmac_f32_e32 v108, v56, v93
	v_add_f32_e32 v53, 0, v53
	v_add_f32_e32 v56, 0, v107
	v_mul_f32_e32 v79, v60, v82
	s_waitcnt vmcnt(12)
	v_fma_f32 v54, v57, v94, -v54
	v_fmac_f32_e32 v109, v58, v94
	v_add_f32_e32 v53, v53, v55
	v_add_f32_e32 v55, v56, v108
	;; [unrolled: 6-line block ×9, first 2 shown]
	v_mul_f32_e32 v55, v76, v90
	s_waitcnt vmcnt(4)
	v_fma_f32 v56, v73, v102, -v56
	v_mul_f32_e32 v118, v75, v90
	v_add_f32_e32 v53, v53, v57
	v_fmac_f32_e32 v117, v74, v102
	v_add_f32_e32 v54, v54, v116
	s_waitcnt lgkmcnt(0)
	v_mul_f32_e32 v57, v78, v91
	s_waitcnt vmcnt(3)
	v_fma_f32 v55, v75, v103, -v55
	v_add_f32_e32 v53, v53, v56
	v_mul_f32_e32 v119, v77, v91
	v_fmac_f32_e32 v118, v76, v103
	v_add_f32_e32 v54, v54, v117
	s_waitcnt vmcnt(2)
	v_fma_f32 v56, v77, v104, -v57
	v_add_f32_e32 v53, v53, v55
	v_fmac_f32_e32 v119, v78, v104
	v_add_f32_e32 v54, v54, v118
	v_add_f32_e32 v53, v53, v56
	v_add_f32_e32 v54, v54, v119
	s_waitcnt vmcnt(1)
	v_sub_f32_e32 v53, v105, v53
	s_waitcnt vmcnt(0)
	v_sub_f32_e32 v54, v106, v54
	buffer_store_dword v53, off, s[0:3], 0 offset:88
	buffer_store_dword v54, off, s[0:3], 0 offset:92
	v_cmpx_lt_u32_e32 10, v0
	s_cbranch_execz .LBB24_143
; %bb.142:
	s_clause 0x1
	buffer_load_dword v53, off, s[0:3], 0 offset:80
	buffer_load_dword v54, off, s[0:3], 0 offset:84
	buffer_store_dword v52, off, s[0:3], 0 offset:80
	buffer_store_dword v52, off, s[0:3], 0 offset:84
	s_waitcnt vmcnt(0)
	ds_write_b64 v51, v[53:54]
.LBB24_143:
	s_or_b32 exec_lo, exec_lo, s4
	s_waitcnt lgkmcnt(0)
	s_waitcnt_vscnt null, 0x0
	s_barrier
	buffer_gl0_inv
	s_clause 0x1d
	buffer_load_dword v81, off, s[0:3], 0 offset:92
	buffer_load_dword v82, off, s[0:3], 0 offset:100
	;; [unrolled: 1-line block ×30, first 2 shown]
	ds_read2_b64 v[53:56], v52 offset0:37 offset1:38
	ds_read2_b64 v[57:60], v52 offset0:39 offset1:40
	;; [unrolled: 1-line block ×7, first 2 shown]
	s_mov_b32 s4, exec_lo
	s_waitcnt vmcnt(29) lgkmcnt(6)
	v_mul_f32_e32 v52, v53, v81
	v_mul_f32_e32 v81, v54, v81
	s_waitcnt vmcnt(28)
	v_mul_f32_e32 v111, v55, v82
	v_mul_f32_e32 v82, v56, v82
	s_waitcnt vmcnt(27) lgkmcnt(5)
	v_mul_f32_e32 v112, v57, v83
	s_waitcnt vmcnt(26)
	v_mul_f32_e32 v113, v59, v84
	s_waitcnt vmcnt(25) lgkmcnt(4)
	v_mul_f32_e32 v114, v61, v85
	s_waitcnt vmcnt(24)
	;; [unrolled: 4-line block ×5, first 2 shown]
	v_mul_f32_e32 v121, v75, v92
	s_waitcnt vmcnt(15)
	v_fma_f32 v53, v53, v95, -v81
	v_fmac_f32_e32 v52, v54, v95
	v_mul_f32_e32 v54, v58, v83
	s_waitcnt vmcnt(14)
	v_fma_f32 v55, v55, v96, -v82
	v_fmac_f32_e32 v111, v56, v96
	v_add_f32_e32 v53, 0, v53
	v_add_f32_e32 v52, 0, v52
	v_mul_f32_e32 v56, v60, v84
	s_waitcnt vmcnt(13)
	v_fma_f32 v54, v57, v97, -v54
	v_fmac_f32_e32 v112, v58, v97
	v_add_f32_e32 v53, v53, v55
	v_add_f32_e32 v52, v52, v111
	;; [unrolled: 6-line block ×10, first 2 shown]
	s_waitcnt lgkmcnt(0)
	v_mul_f32_e32 v56, v78, v93
	s_waitcnt vmcnt(4)
	v_fma_f32 v54, v75, v106, -v54
	v_mul_f32_e32 v122, v77, v93
	v_add_f32_e32 v53, v53, v55
	v_fmac_f32_e32 v121, v76, v106
	v_add_f32_e32 v52, v52, v120
	v_mul_f32_e32 v55, v80, v94
	s_waitcnt vmcnt(3)
	v_fma_f32 v56, v77, v107, -v56
	v_add_f32_e32 v53, v53, v54
	v_mul_f32_e32 v123, v79, v94
	v_fmac_f32_e32 v122, v78, v107
	v_add_f32_e32 v52, v52, v121
	s_waitcnt vmcnt(2)
	v_fma_f32 v54, v79, v108, -v55
	v_add_f32_e32 v53, v53, v56
	v_fmac_f32_e32 v123, v80, v108
	v_add_f32_e32 v52, v52, v122
	v_add_f32_e32 v53, v53, v54
	;; [unrolled: 1-line block ×3, first 2 shown]
	s_waitcnt vmcnt(1)
	v_sub_f32_e32 v53, v109, v53
	s_waitcnt vmcnt(0)
	v_sub_f32_e32 v52, v110, v52
	buffer_store_dword v53, off, s[0:3], 0 offset:80
	buffer_store_dword v52, off, s[0:3], 0 offset:84
	v_cmpx_lt_u32_e32 9, v0
	s_cbranch_execz .LBB24_145
; %bb.144:
	s_clause 0x1
	buffer_load_dword v52, off, s[0:3], 0 offset:72
	buffer_load_dword v53, off, s[0:3], 0 offset:76
	v_mov_b32_e32 v54, 0
	buffer_store_dword v54, off, s[0:3], 0 offset:72
	buffer_store_dword v54, off, s[0:3], 0 offset:76
	s_waitcnt vmcnt(0)
	ds_write_b64 v51, v[52:53]
.LBB24_145:
	s_or_b32 exec_lo, exec_lo, s4
	s_waitcnt lgkmcnt(0)
	s_waitcnt_vscnt null, 0x0
	s_barrier
	buffer_gl0_inv
	s_clause 0x1f
	buffer_load_dword v83, off, s[0:3], 0 offset:84
	buffer_load_dword v84, off, s[0:3], 0 offset:92
	buffer_load_dword v85, off, s[0:3], 0 offset:100
	buffer_load_dword v86, off, s[0:3], 0 offset:108
	buffer_load_dword v87, off, s[0:3], 0 offset:116
	buffer_load_dword v88, off, s[0:3], 0 offset:124
	buffer_load_dword v89, off, s[0:3], 0 offset:132
	buffer_load_dword v90, off, s[0:3], 0 offset:140
	buffer_load_dword v91, off, s[0:3], 0 offset:148
	buffer_load_dword v92, off, s[0:3], 0 offset:156
	buffer_load_dword v93, off, s[0:3], 0 offset:164
	buffer_load_dword v94, off, s[0:3], 0 offset:172
	buffer_load_dword v95, off, s[0:3], 0 offset:180
	buffer_load_dword v96, off, s[0:3], 0 offset:188
	buffer_load_dword v97, off, s[0:3], 0 offset:196
	buffer_load_dword v98, off, s[0:3], 0 offset:80
	buffer_load_dword v99, off, s[0:3], 0 offset:88
	buffer_load_dword v100, off, s[0:3], 0 offset:96
	buffer_load_dword v101, off, s[0:3], 0 offset:104
	buffer_load_dword v102, off, s[0:3], 0 offset:112
	buffer_load_dword v103, off, s[0:3], 0 offset:120
	buffer_load_dword v104, off, s[0:3], 0 offset:128
	buffer_load_dword v105, off, s[0:3], 0 offset:136
	buffer_load_dword v106, off, s[0:3], 0 offset:144
	buffer_load_dword v107, off, s[0:3], 0 offset:152
	buffer_load_dword v108, off, s[0:3], 0 offset:160
	buffer_load_dword v109, off, s[0:3], 0 offset:168
	buffer_load_dword v110, off, s[0:3], 0 offset:176
	buffer_load_dword v111, off, s[0:3], 0 offset:184
	buffer_load_dword v112, off, s[0:3], 0 offset:192
	buffer_load_dword v113, off, s[0:3], 0 offset:72
	buffer_load_dword v114, off, s[0:3], 0 offset:76
	v_mov_b32_e32 v52, 0
	ds_read_b128 v[53:56], v52 offset:288
	ds_read_b128 v[57:60], v52 offset:304
	;; [unrolled: 1-line block ×7, first 2 shown]
	ds_read_b64 v[81:82], v52 offset:400
	s_mov_b32 s4, exec_lo
	s_waitcnt vmcnt(31) lgkmcnt(7)
	v_mul_f32_e32 v115, v53, v83
	v_mul_f32_e32 v83, v54, v83
	s_waitcnt vmcnt(30)
	v_mul_f32_e32 v116, v55, v84
	v_mul_f32_e32 v84, v56, v84
	s_waitcnt vmcnt(29) lgkmcnt(6)
	v_mul_f32_e32 v117, v57, v85
	s_waitcnt vmcnt(28)
	v_mul_f32_e32 v118, v59, v86
	s_waitcnt vmcnt(27) lgkmcnt(5)
	v_mul_f32_e32 v119, v61, v87
	s_waitcnt vmcnt(26)
	v_mul_f32_e32 v120, v63, v88
	s_waitcnt vmcnt(25) lgkmcnt(4)
	v_mul_f32_e32 v121, v65, v89
	s_waitcnt vmcnt(24)
	v_mul_f32_e32 v122, v67, v90
	s_waitcnt vmcnt(23) lgkmcnt(3)
	v_mul_f32_e32 v123, v69, v91
	s_waitcnt vmcnt(22)
	v_mul_f32_e32 v124, v71, v92
	s_waitcnt vmcnt(21) lgkmcnt(2)
	v_mul_f32_e32 v125, v73, v93
	s_waitcnt vmcnt(20)
	v_mul_f32_e32 v126, v75, v94
	s_waitcnt vmcnt(19) lgkmcnt(1)
	v_mul_f32_e32 v127, v77, v95
	s_waitcnt vmcnt(16)
	v_fma_f32 v53, v53, v98, -v83
	v_fmac_f32_e32 v115, v54, v98
	v_mul_f32_e32 v54, v58, v85
	s_waitcnt vmcnt(15)
	v_fma_f32 v55, v55, v99, -v84
	v_fmac_f32_e32 v116, v56, v99
	v_add_f32_e32 v53, 0, v53
	v_add_f32_e32 v56, 0, v115
	v_mul_f32_e32 v83, v60, v86
	s_waitcnt vmcnt(14)
	v_fma_f32 v54, v57, v100, -v54
	v_fmac_f32_e32 v117, v58, v100
	v_add_f32_e32 v53, v53, v55
	v_add_f32_e32 v55, v56, v116
	;; [unrolled: 6-line block ×11, first 2 shown]
	v_mul_f32_e32 v56, v80, v96
	s_waitcnt vmcnt(4)
	v_fma_f32 v57, v77, v110, -v57
	v_mul_f32_e32 v128, v79, v96
	v_add_f32_e32 v53, v53, v55
	v_fmac_f32_e32 v127, v78, v110
	v_add_f32_e32 v54, v54, v126
	s_waitcnt lgkmcnt(0)
	v_mul_f32_e32 v55, v82, v97
	s_waitcnt vmcnt(3)
	v_fma_f32 v56, v79, v111, -v56
	v_add_f32_e32 v53, v53, v57
	v_mul_f32_e32 v129, v81, v97
	v_fmac_f32_e32 v128, v80, v111
	v_add_f32_e32 v54, v54, v127
	s_waitcnt vmcnt(2)
	v_fma_f32 v55, v81, v112, -v55
	v_add_f32_e32 v53, v53, v56
	v_fmac_f32_e32 v129, v82, v112
	v_add_f32_e32 v54, v54, v128
	v_add_f32_e32 v53, v53, v55
	;; [unrolled: 1-line block ×3, first 2 shown]
	s_waitcnt vmcnt(1)
	v_sub_f32_e32 v53, v113, v53
	s_waitcnt vmcnt(0)
	v_sub_f32_e32 v54, v114, v54
	buffer_store_dword v53, off, s[0:3], 0 offset:72
	buffer_store_dword v54, off, s[0:3], 0 offset:76
	v_cmpx_lt_u32_e32 8, v0
	s_cbranch_execz .LBB24_147
; %bb.146:
	s_clause 0x1
	buffer_load_dword v53, off, s[0:3], 0 offset:64
	buffer_load_dword v54, off, s[0:3], 0 offset:68
	buffer_store_dword v52, off, s[0:3], 0 offset:64
	buffer_store_dword v52, off, s[0:3], 0 offset:68
	s_waitcnt vmcnt(0)
	ds_write_b64 v51, v[53:54]
.LBB24_147:
	s_or_b32 exec_lo, exec_lo, s4
	s_waitcnt lgkmcnt(0)
	s_waitcnt_vscnt null, 0x0
	s_barrier
	buffer_gl0_inv
	s_clause 0x21
	buffer_load_dword v85, off, s[0:3], 0 offset:76
	buffer_load_dword v86, off, s[0:3], 0 offset:84
	;; [unrolled: 1-line block ×34, first 2 shown]
	ds_read2_b64 v[53:56], v52 offset0:35 offset1:36
	ds_read2_b64 v[57:60], v52 offset0:37 offset1:38
	;; [unrolled: 1-line block ×8, first 2 shown]
	s_mov_b32 s4, exec_lo
	s_waitcnt vmcnt(33) lgkmcnt(7)
	v_mul_f32_e32 v52, v53, v85
	v_mul_f32_e32 v85, v54, v85
	s_waitcnt vmcnt(32)
	v_mul_f32_e32 v119, v55, v86
	v_mul_f32_e32 v86, v56, v86
	s_waitcnt vmcnt(31) lgkmcnt(6)
	v_mul_f32_e32 v120, v57, v87
	s_waitcnt vmcnt(30)
	v_mul_f32_e32 v121, v59, v88
	s_waitcnt vmcnt(29) lgkmcnt(5)
	v_mul_f32_e32 v122, v61, v89
	s_waitcnt vmcnt(28)
	v_mul_f32_e32 v123, v63, v90
	s_waitcnt vmcnt(27) lgkmcnt(4)
	v_mul_f32_e32 v124, v65, v91
	s_waitcnt vmcnt(26)
	v_mul_f32_e32 v125, v67, v92
	s_waitcnt vmcnt(25) lgkmcnt(3)
	v_mul_f32_e32 v126, v69, v93
	s_waitcnt vmcnt(24)
	v_mul_f32_e32 v127, v71, v94
	s_waitcnt vmcnt(23) lgkmcnt(2)
	v_mul_f32_e32 v128, v73, v95
	s_waitcnt vmcnt(22)
	v_mul_f32_e32 v129, v75, v96
	s_waitcnt vmcnt(21) lgkmcnt(1)
	v_mul_f32_e32 v130, v77, v97
	s_waitcnt vmcnt(20)
	v_mul_f32_e32 v131, v79, v98
	s_waitcnt vmcnt(17)
	v_fma_f32 v53, v53, v101, -v85
	v_fmac_f32_e32 v52, v54, v101
	v_mul_f32_e32 v54, v58, v87
	s_waitcnt vmcnt(16)
	v_fma_f32 v55, v55, v102, -v86
	v_fmac_f32_e32 v119, v56, v102
	v_add_f32_e32 v53, 0, v53
	v_add_f32_e32 v52, 0, v52
	v_mul_f32_e32 v56, v60, v88
	s_waitcnt vmcnt(15)
	v_fma_f32 v54, v57, v103, -v54
	v_fmac_f32_e32 v120, v58, v103
	v_add_f32_e32 v53, v53, v55
	v_add_f32_e32 v52, v52, v119
	;; [unrolled: 6-line block ×12, first 2 shown]
	s_waitcnt lgkmcnt(0)
	v_mul_f32_e32 v54, v82, v99
	s_waitcnt vmcnt(4)
	v_fma_f32 v55, v79, v114, -v55
	v_mul_f32_e32 v132, v81, v99
	v_add_f32_e32 v53, v53, v56
	v_fmac_f32_e32 v131, v80, v114
	v_add_f32_e32 v52, v52, v130
	v_mul_f32_e32 v56, v84, v100
	s_waitcnt vmcnt(3)
	v_fma_f32 v54, v81, v115, -v54
	v_add_f32_e32 v53, v53, v55
	v_mul_f32_e32 v133, v83, v100
	v_fmac_f32_e32 v132, v82, v115
	v_add_f32_e32 v52, v52, v131
	s_waitcnt vmcnt(2)
	v_fma_f32 v55, v83, v116, -v56
	v_add_f32_e32 v53, v53, v54
	v_fmac_f32_e32 v133, v84, v116
	v_add_f32_e32 v52, v52, v132
	v_add_f32_e32 v53, v53, v55
	;; [unrolled: 1-line block ×3, first 2 shown]
	s_waitcnt vmcnt(1)
	v_sub_f32_e32 v53, v117, v53
	s_waitcnt vmcnt(0)
	v_sub_f32_e32 v52, v118, v52
	buffer_store_dword v53, off, s[0:3], 0 offset:64
	buffer_store_dword v52, off, s[0:3], 0 offset:68
	v_cmpx_lt_u32_e32 7, v0
	s_cbranch_execz .LBB24_149
; %bb.148:
	s_clause 0x1
	buffer_load_dword v52, off, s[0:3], 0 offset:56
	buffer_load_dword v53, off, s[0:3], 0 offset:60
	v_mov_b32_e32 v54, 0
	buffer_store_dword v54, off, s[0:3], 0 offset:56
	buffer_store_dword v54, off, s[0:3], 0 offset:60
	s_waitcnt vmcnt(0)
	ds_write_b64 v51, v[52:53]
.LBB24_149:
	s_or_b32 exec_lo, exec_lo, s4
	s_waitcnt lgkmcnt(0)
	s_waitcnt_vscnt null, 0x0
	s_barrier
	buffer_gl0_inv
	s_clause 0x23
	buffer_load_dword v87, off, s[0:3], 0 offset:68
	buffer_load_dword v88, off, s[0:3], 0 offset:76
	;; [unrolled: 1-line block ×36, first 2 shown]
	v_mov_b32_e32 v52, 0
	ds_read_b128 v[53:56], v52 offset:272
	ds_read_b128 v[57:60], v52 offset:288
	;; [unrolled: 1-line block ×8, first 2 shown]
	ds_read_b64 v[85:86], v52 offset:400
	s_mov_b32 s4, exec_lo
	s_waitcnt vmcnt(35) lgkmcnt(8)
	v_mul_f32_e32 v123, v53, v87
	v_mul_f32_e32 v87, v54, v87
	s_waitcnt vmcnt(34)
	v_mul_f32_e32 v124, v55, v88
	v_mul_f32_e32 v88, v56, v88
	s_waitcnt vmcnt(33) lgkmcnt(7)
	v_mul_f32_e32 v125, v57, v89
	s_waitcnt vmcnt(32)
	v_mul_f32_e32 v126, v59, v90
	s_waitcnt vmcnt(31) lgkmcnt(6)
	v_mul_f32_e32 v127, v61, v91
	s_waitcnt vmcnt(30)
	;; [unrolled: 4-line block ×7, first 2 shown]
	v_fma_f32 v53, v53, v104, -v87
	v_fmac_f32_e32 v123, v54, v104
	v_mul_f32_e32 v54, v58, v89
	s_waitcnt vmcnt(17)
	v_fma_f32 v55, v55, v105, -v88
	v_fmac_f32_e32 v124, v56, v105
	v_add_f32_e32 v53, 0, v53
	v_add_f32_e32 v56, 0, v123
	v_mul_f32_e32 v87, v60, v90
	s_waitcnt vmcnt(16)
	v_fma_f32 v54, v57, v106, -v54
	v_fmac_f32_e32 v125, v58, v106
	v_add_f32_e32 v53, v53, v55
	v_add_f32_e32 v55, v56, v124
	;; [unrolled: 6-line block ×13, first 2 shown]
	v_mul_f32_e32 v57, v84, v102
	s_waitcnt vmcnt(4)
	v_fma_f32 v55, v81, v118, -v55
	v_mul_f32_e32 v138, v83, v102
	v_add_f32_e32 v53, v53, v56
	v_fmac_f32_e32 v137, v82, v118
	v_add_f32_e32 v54, v54, v136
	s_waitcnt lgkmcnt(0)
	v_mul_f32_e32 v56, v86, v103
	s_waitcnt vmcnt(3)
	v_fma_f32 v57, v83, v119, -v57
	v_add_f32_e32 v53, v53, v55
	v_mul_f32_e32 v139, v85, v103
	v_fmac_f32_e32 v138, v84, v119
	v_add_f32_e32 v54, v54, v137
	s_waitcnt vmcnt(2)
	v_fma_f32 v55, v85, v120, -v56
	v_add_f32_e32 v53, v53, v57
	v_fmac_f32_e32 v139, v86, v120
	v_add_f32_e32 v54, v54, v138
	v_add_f32_e32 v53, v53, v55
	;; [unrolled: 1-line block ×3, first 2 shown]
	s_waitcnt vmcnt(1)
	v_sub_f32_e32 v53, v121, v53
	s_waitcnt vmcnt(0)
	v_sub_f32_e32 v54, v122, v54
	buffer_store_dword v53, off, s[0:3], 0 offset:56
	buffer_store_dword v54, off, s[0:3], 0 offset:60
	v_cmpx_lt_u32_e32 6, v0
	s_cbranch_execz .LBB24_151
; %bb.150:
	s_clause 0x1
	buffer_load_dword v53, off, s[0:3], 0 offset:48
	buffer_load_dword v54, off, s[0:3], 0 offset:52
	buffer_store_dword v52, off, s[0:3], 0 offset:48
	buffer_store_dword v52, off, s[0:3], 0 offset:52
	s_waitcnt vmcnt(0)
	ds_write_b64 v51, v[53:54]
.LBB24_151:
	s_or_b32 exec_lo, exec_lo, s4
	s_waitcnt lgkmcnt(0)
	s_waitcnt_vscnt null, 0x0
	s_barrier
	buffer_gl0_inv
	s_clause 0x25
	buffer_load_dword v89, off, s[0:3], 0 offset:60
	buffer_load_dword v90, off, s[0:3], 0 offset:68
	;; [unrolled: 1-line block ×38, first 2 shown]
	ds_read2_b64 v[53:56], v52 offset0:33 offset1:34
	ds_read2_b64 v[57:60], v52 offset0:35 offset1:36
	;; [unrolled: 1-line block ×9, first 2 shown]
	s_mov_b32 s4, exec_lo
	s_waitcnt vmcnt(37) lgkmcnt(8)
	v_mul_f32_e32 v52, v53, v89
	v_mul_f32_e32 v89, v54, v89
	s_waitcnt vmcnt(36)
	v_mul_f32_e32 v127, v55, v90
	v_mul_f32_e32 v90, v56, v90
	s_waitcnt vmcnt(35) lgkmcnt(7)
	v_mul_f32_e32 v128, v57, v91
	s_waitcnt vmcnt(34)
	v_mul_f32_e32 v129, v59, v92
	s_waitcnt vmcnt(33) lgkmcnt(6)
	v_mul_f32_e32 v130, v61, v93
	s_waitcnt vmcnt(32)
	;; [unrolled: 4-line block ×7, first 2 shown]
	v_mul_f32_e32 v141, v83, v104
	s_waitcnt vmcnt(19)
	v_fma_f32 v53, v53, v107, -v89
	v_fmac_f32_e32 v52, v54, v107
	v_mul_f32_e32 v54, v58, v91
	s_waitcnt vmcnt(18)
	v_fma_f32 v55, v55, v108, -v90
	v_fmac_f32_e32 v127, v56, v108
	v_add_f32_e32 v53, 0, v53
	v_add_f32_e32 v52, 0, v52
	v_mul_f32_e32 v56, v60, v92
	s_waitcnt vmcnt(17)
	v_fma_f32 v54, v57, v109, -v54
	v_fmac_f32_e32 v128, v58, v109
	v_add_f32_e32 v53, v53, v55
	v_add_f32_e32 v52, v52, v127
	;; [unrolled: 6-line block ×14, first 2 shown]
	s_waitcnt lgkmcnt(0)
	v_mul_f32_e32 v55, v86, v105
	s_waitcnt vmcnt(4)
	v_fma_f32 v56, v83, v122, -v56
	v_mul_f32_e32 v142, v85, v105
	v_add_f32_e32 v53, v53, v54
	v_fmac_f32_e32 v141, v84, v122
	v_add_f32_e32 v52, v52, v140
	v_mul_f32_e32 v54, v88, v106
	s_waitcnt vmcnt(3)
	v_fma_f32 v55, v85, v123, -v55
	v_add_f32_e32 v53, v53, v56
	v_mul_f32_e32 v143, v87, v106
	v_fmac_f32_e32 v142, v86, v123
	v_add_f32_e32 v52, v52, v141
	s_waitcnt vmcnt(2)
	v_fma_f32 v54, v87, v124, -v54
	v_add_f32_e32 v53, v53, v55
	v_fmac_f32_e32 v143, v88, v124
	v_add_f32_e32 v52, v52, v142
	v_add_f32_e32 v53, v53, v54
	;; [unrolled: 1-line block ×3, first 2 shown]
	s_waitcnt vmcnt(1)
	v_sub_f32_e32 v53, v125, v53
	s_waitcnt vmcnt(0)
	v_sub_f32_e32 v52, v126, v52
	buffer_store_dword v53, off, s[0:3], 0 offset:48
	buffer_store_dword v52, off, s[0:3], 0 offset:52
	v_cmpx_lt_u32_e32 5, v0
	s_cbranch_execz .LBB24_153
; %bb.152:
	s_clause 0x1
	buffer_load_dword v52, off, s[0:3], 0 offset:40
	buffer_load_dword v53, off, s[0:3], 0 offset:44
	v_mov_b32_e32 v54, 0
	buffer_store_dword v54, off, s[0:3], 0 offset:40
	buffer_store_dword v54, off, s[0:3], 0 offset:44
	s_waitcnt vmcnt(0)
	ds_write_b64 v51, v[52:53]
.LBB24_153:
	s_or_b32 exec_lo, exec_lo, s4
	s_waitcnt lgkmcnt(0)
	s_waitcnt_vscnt null, 0x0
	s_barrier
	buffer_gl0_inv
	s_clause 0x27
	buffer_load_dword v91, off, s[0:3], 0 offset:52
	buffer_load_dword v92, off, s[0:3], 0 offset:60
	;; [unrolled: 1-line block ×40, first 2 shown]
	v_mov_b32_e32 v52, 0
	ds_read_b128 v[53:56], v52 offset:256
	ds_read_b128 v[57:60], v52 offset:272
	;; [unrolled: 1-line block ×9, first 2 shown]
	ds_read_b64 v[89:90], v52 offset:400
	s_mov_b32 s4, exec_lo
	s_waitcnt vmcnt(39) lgkmcnt(9)
	v_mul_f32_e32 v131, v53, v91
	v_mul_f32_e32 v91, v54, v91
	s_waitcnt vmcnt(38)
	v_mul_f32_e32 v132, v55, v92
	v_mul_f32_e32 v92, v56, v92
	s_waitcnt vmcnt(37) lgkmcnt(8)
	v_mul_f32_e32 v133, v57, v93
	s_waitcnt vmcnt(36)
	v_mul_f32_e32 v134, v59, v94
	s_waitcnt vmcnt(35) lgkmcnt(7)
	v_mul_f32_e32 v135, v61, v95
	s_waitcnt vmcnt(34)
	;; [unrolled: 4-line block ×8, first 2 shown]
	v_fma_f32 v53, v53, v110, -v91
	v_fmac_f32_e32 v131, v54, v110
	v_mul_f32_e32 v54, v58, v93
	s_waitcnt vmcnt(19)
	v_fma_f32 v55, v55, v111, -v92
	v_fmac_f32_e32 v132, v56, v111
	v_add_f32_e32 v53, 0, v53
	v_add_f32_e32 v56, 0, v131
	v_mul_f32_e32 v91, v60, v94
	s_waitcnt vmcnt(18)
	v_fma_f32 v54, v57, v112, -v54
	v_fmac_f32_e32 v133, v58, v112
	v_add_f32_e32 v53, v53, v55
	v_add_f32_e32 v55, v56, v132
	;; [unrolled: 6-line block ×15, first 2 shown]
	v_mul_f32_e32 v55, v88, v108
	s_waitcnt vmcnt(4)
	v_fma_f32 v56, v85, v126, -v56
	v_mul_f32_e32 v148, v87, v108
	v_add_f32_e32 v53, v53, v57
	v_fmac_f32_e32 v147, v86, v126
	v_add_f32_e32 v54, v54, v146
	s_waitcnt lgkmcnt(0)
	v_mul_f32_e32 v57, v90, v109
	s_waitcnt vmcnt(3)
	v_fma_f32 v55, v87, v127, -v55
	v_add_f32_e32 v53, v53, v56
	v_mul_f32_e32 v149, v89, v109
	v_fmac_f32_e32 v148, v88, v127
	v_add_f32_e32 v54, v54, v147
	s_waitcnt vmcnt(2)
	v_fma_f32 v56, v89, v128, -v57
	v_add_f32_e32 v53, v53, v55
	v_fmac_f32_e32 v149, v90, v128
	v_add_f32_e32 v54, v54, v148
	v_add_f32_e32 v53, v53, v56
	;; [unrolled: 1-line block ×3, first 2 shown]
	s_waitcnt vmcnt(1)
	v_sub_f32_e32 v53, v129, v53
	s_waitcnt vmcnt(0)
	v_sub_f32_e32 v54, v130, v54
	buffer_store_dword v53, off, s[0:3], 0 offset:40
	buffer_store_dword v54, off, s[0:3], 0 offset:44
	v_cmpx_lt_u32_e32 4, v0
	s_cbranch_execz .LBB24_155
; %bb.154:
	s_clause 0x1
	buffer_load_dword v53, off, s[0:3], 0 offset:32
	buffer_load_dword v54, off, s[0:3], 0 offset:36
	buffer_store_dword v52, off, s[0:3], 0 offset:32
	buffer_store_dword v52, off, s[0:3], 0 offset:36
	s_waitcnt vmcnt(0)
	ds_write_b64 v51, v[53:54]
.LBB24_155:
	s_or_b32 exec_lo, exec_lo, s4
	s_waitcnt lgkmcnt(0)
	s_waitcnt_vscnt null, 0x0
	s_barrier
	buffer_gl0_inv
	s_clause 0x29
	buffer_load_dword v93, off, s[0:3], 0 offset:44
	buffer_load_dword v94, off, s[0:3], 0 offset:52
	;; [unrolled: 1-line block ×42, first 2 shown]
	ds_read2_b64 v[53:56], v52 offset0:31 offset1:32
	ds_read2_b64 v[57:60], v52 offset0:33 offset1:34
	ds_read2_b64 v[61:64], v52 offset0:35 offset1:36
	ds_read2_b64 v[65:68], v52 offset0:37 offset1:38
	ds_read2_b64 v[69:72], v52 offset0:39 offset1:40
	ds_read2_b64 v[73:76], v52 offset0:41 offset1:42
	ds_read2_b64 v[77:80], v52 offset0:43 offset1:44
	ds_read2_b64 v[81:84], v52 offset0:45 offset1:46
	ds_read2_b64 v[85:88], v52 offset0:47 offset1:48
	ds_read2_b64 v[89:92], v52 offset0:49 offset1:50
	s_mov_b32 s4, exec_lo
	s_waitcnt vmcnt(41) lgkmcnt(9)
	v_mul_f32_e32 v52, v53, v93
	v_mul_f32_e32 v93, v54, v93
	s_waitcnt vmcnt(40)
	v_mul_f32_e32 v135, v55, v94
	v_mul_f32_e32 v94, v56, v94
	s_waitcnt vmcnt(39) lgkmcnt(8)
	v_mul_f32_e32 v136, v57, v95
	s_waitcnt vmcnt(38)
	v_mul_f32_e32 v137, v59, v96
	s_waitcnt vmcnt(37) lgkmcnt(7)
	v_mul_f32_e32 v138, v61, v97
	s_waitcnt vmcnt(36)
	v_mul_f32_e32 v139, v63, v98
	s_waitcnt vmcnt(35) lgkmcnt(6)
	v_mul_f32_e32 v140, v65, v99
	s_waitcnt vmcnt(34)
	v_mul_f32_e32 v141, v67, v100
	s_waitcnt vmcnt(33) lgkmcnt(5)
	v_mul_f32_e32 v142, v69, v101
	s_waitcnt vmcnt(32)
	v_mul_f32_e32 v143, v71, v102
	s_waitcnt vmcnt(31) lgkmcnt(4)
	v_mul_f32_e32 v144, v73, v103
	s_waitcnt vmcnt(30)
	v_mul_f32_e32 v145, v75, v104
	s_waitcnt vmcnt(29) lgkmcnt(3)
	v_mul_f32_e32 v146, v77, v105
	s_waitcnt vmcnt(28)
	v_mul_f32_e32 v147, v79, v106
	s_waitcnt vmcnt(27) lgkmcnt(2)
	v_mul_f32_e32 v148, v81, v107
	s_waitcnt vmcnt(26)
	v_mul_f32_e32 v149, v83, v108
	s_waitcnt vmcnt(25) lgkmcnt(1)
	v_mul_f32_e32 v150, v85, v109
	s_waitcnt vmcnt(24)
	v_mul_f32_e32 v151, v87, v110
	s_waitcnt vmcnt(21)
	v_fma_f32 v53, v53, v113, -v93
	v_fmac_f32_e32 v52, v54, v113
	v_mul_f32_e32 v54, v58, v95
	s_waitcnt vmcnt(20)
	v_fma_f32 v55, v55, v114, -v94
	v_fmac_f32_e32 v135, v56, v114
	v_add_f32_e32 v53, 0, v53
	v_add_f32_e32 v52, 0, v52
	v_mul_f32_e32 v56, v60, v96
	s_waitcnt vmcnt(19)
	v_fma_f32 v54, v57, v115, -v54
	v_fmac_f32_e32 v136, v58, v115
	v_add_f32_e32 v53, v53, v55
	v_add_f32_e32 v52, v52, v135
	;; [unrolled: 6-line block ×16, first 2 shown]
	s_waitcnt lgkmcnt(0)
	v_mul_f32_e32 v56, v90, v111
	s_waitcnt vmcnt(4)
	v_fma_f32 v54, v87, v130, -v54
	v_mul_f32_e32 v152, v89, v111
	v_add_f32_e32 v53, v53, v55
	v_fmac_f32_e32 v151, v88, v130
	v_add_f32_e32 v52, v52, v150
	v_mul_f32_e32 v55, v92, v112
	s_waitcnt vmcnt(3)
	v_fma_f32 v56, v89, v131, -v56
	v_add_f32_e32 v53, v53, v54
	v_mul_f32_e32 v153, v91, v112
	v_fmac_f32_e32 v152, v90, v131
	v_add_f32_e32 v52, v52, v151
	s_waitcnt vmcnt(2)
	v_fma_f32 v54, v91, v132, -v55
	v_add_f32_e32 v53, v53, v56
	v_fmac_f32_e32 v153, v92, v132
	v_add_f32_e32 v52, v52, v152
	v_add_f32_e32 v53, v53, v54
	;; [unrolled: 1-line block ×3, first 2 shown]
	s_waitcnt vmcnt(1)
	v_sub_f32_e32 v53, v133, v53
	s_waitcnt vmcnt(0)
	v_sub_f32_e32 v52, v134, v52
	buffer_store_dword v53, off, s[0:3], 0 offset:32
	buffer_store_dword v52, off, s[0:3], 0 offset:36
	v_cmpx_lt_u32_e32 3, v0
	s_cbranch_execz .LBB24_157
; %bb.156:
	s_clause 0x1
	buffer_load_dword v52, off, s[0:3], 0 offset:24
	buffer_load_dword v53, off, s[0:3], 0 offset:28
	v_mov_b32_e32 v54, 0
	buffer_store_dword v54, off, s[0:3], 0 offset:24
	buffer_store_dword v54, off, s[0:3], 0 offset:28
	s_waitcnt vmcnt(0)
	ds_write_b64 v51, v[52:53]
.LBB24_157:
	s_or_b32 exec_lo, exec_lo, s4
	s_waitcnt lgkmcnt(0)
	s_waitcnt_vscnt null, 0x0
	s_barrier
	buffer_gl0_inv
	s_clause 0x2b
	buffer_load_dword v95, off, s[0:3], 0 offset:36
	buffer_load_dword v96, off, s[0:3], 0 offset:44
	buffer_load_dword v97, off, s[0:3], 0 offset:52
	buffer_load_dword v98, off, s[0:3], 0 offset:60
	buffer_load_dword v99, off, s[0:3], 0 offset:68
	buffer_load_dword v100, off, s[0:3], 0 offset:76
	buffer_load_dword v101, off, s[0:3], 0 offset:84
	buffer_load_dword v102, off, s[0:3], 0 offset:92
	buffer_load_dword v103, off, s[0:3], 0 offset:100
	buffer_load_dword v104, off, s[0:3], 0 offset:108
	buffer_load_dword v105, off, s[0:3], 0 offset:116
	buffer_load_dword v106, off, s[0:3], 0 offset:124
	buffer_load_dword v107, off, s[0:3], 0 offset:132
	buffer_load_dword v108, off, s[0:3], 0 offset:140
	buffer_load_dword v109, off, s[0:3], 0 offset:148
	buffer_load_dword v110, off, s[0:3], 0 offset:156
	buffer_load_dword v111, off, s[0:3], 0 offset:164
	buffer_load_dword v112, off, s[0:3], 0 offset:172
	buffer_load_dword v113, off, s[0:3], 0 offset:180
	buffer_load_dword v114, off, s[0:3], 0 offset:188
	buffer_load_dword v115, off, s[0:3], 0 offset:196
	buffer_load_dword v116, off, s[0:3], 0 offset:32
	buffer_load_dword v117, off, s[0:3], 0 offset:40
	buffer_load_dword v118, off, s[0:3], 0 offset:48
	buffer_load_dword v119, off, s[0:3], 0 offset:56
	buffer_load_dword v120, off, s[0:3], 0 offset:64
	buffer_load_dword v121, off, s[0:3], 0 offset:72
	buffer_load_dword v122, off, s[0:3], 0 offset:80
	buffer_load_dword v123, off, s[0:3], 0 offset:88
	buffer_load_dword v124, off, s[0:3], 0 offset:96
	buffer_load_dword v125, off, s[0:3], 0 offset:104
	buffer_load_dword v126, off, s[0:3], 0 offset:112
	buffer_load_dword v127, off, s[0:3], 0 offset:120
	buffer_load_dword v128, off, s[0:3], 0 offset:128
	buffer_load_dword v129, off, s[0:3], 0 offset:136
	buffer_load_dword v130, off, s[0:3], 0 offset:144
	buffer_load_dword v131, off, s[0:3], 0 offset:152
	buffer_load_dword v132, off, s[0:3], 0 offset:160
	buffer_load_dword v133, off, s[0:3], 0 offset:168
	buffer_load_dword v134, off, s[0:3], 0 offset:176
	buffer_load_dword v135, off, s[0:3], 0 offset:184
	buffer_load_dword v136, off, s[0:3], 0 offset:192
	buffer_load_dword v137, off, s[0:3], 0 offset:24
	buffer_load_dword v138, off, s[0:3], 0 offset:28
	v_mov_b32_e32 v52, 0
	ds_read_b128 v[53:56], v52 offset:240
	ds_read_b128 v[57:60], v52 offset:256
	;; [unrolled: 1-line block ×10, first 2 shown]
	ds_read_b64 v[93:94], v52 offset:400
	s_mov_b32 s4, exec_lo
	s_waitcnt vmcnt(43) lgkmcnt(10)
	v_mul_f32_e32 v139, v53, v95
	v_mul_f32_e32 v95, v54, v95
	s_waitcnt vmcnt(42)
	v_mul_f32_e32 v140, v55, v96
	v_mul_f32_e32 v96, v56, v96
	s_waitcnt vmcnt(41) lgkmcnt(9)
	v_mul_f32_e32 v141, v57, v97
	s_waitcnt vmcnt(40)
	v_mul_f32_e32 v142, v59, v98
	s_waitcnt vmcnt(39) lgkmcnt(8)
	v_mul_f32_e32 v143, v61, v99
	s_waitcnt vmcnt(38)
	;; [unrolled: 4-line block ×9, first 2 shown]
	v_fma_f32 v53, v53, v116, -v95
	v_fmac_f32_e32 v139, v54, v116
	v_mul_f32_e32 v54, v58, v97
	s_waitcnt vmcnt(21)
	v_fma_f32 v55, v55, v117, -v96
	v_fmac_f32_e32 v140, v56, v117
	v_add_f32_e32 v53, 0, v53
	v_add_f32_e32 v56, 0, v139
	v_mul_f32_e32 v95, v60, v98
	s_waitcnt vmcnt(20)
	v_fma_f32 v54, v57, v118, -v54
	v_fmac_f32_e32 v141, v58, v118
	v_add_f32_e32 v53, v53, v55
	v_add_f32_e32 v55, v56, v140
	;; [unrolled: 6-line block ×17, first 2 shown]
	v_mul_f32_e32 v56, v92, v114
	s_waitcnt vmcnt(4)
	v_fma_f32 v57, v89, v134, -v57
	v_mul_f32_e32 v158, v91, v114
	v_add_f32_e32 v53, v53, v55
	v_fmac_f32_e32 v157, v90, v134
	v_add_f32_e32 v54, v54, v156
	s_waitcnt lgkmcnt(0)
	v_mul_f32_e32 v55, v94, v115
	s_waitcnt vmcnt(3)
	v_fma_f32 v56, v91, v135, -v56
	v_add_f32_e32 v53, v53, v57
	v_mul_f32_e32 v159, v93, v115
	v_fmac_f32_e32 v158, v92, v135
	v_add_f32_e32 v54, v54, v157
	s_waitcnt vmcnt(2)
	v_fma_f32 v55, v93, v136, -v55
	v_add_f32_e32 v53, v53, v56
	v_fmac_f32_e32 v159, v94, v136
	v_add_f32_e32 v54, v54, v158
	v_add_f32_e32 v53, v53, v55
	;; [unrolled: 1-line block ×3, first 2 shown]
	s_waitcnt vmcnt(1)
	v_sub_f32_e32 v53, v137, v53
	s_waitcnt vmcnt(0)
	v_sub_f32_e32 v54, v138, v54
	buffer_store_dword v53, off, s[0:3], 0 offset:24
	buffer_store_dword v54, off, s[0:3], 0 offset:28
	v_cmpx_lt_u32_e32 2, v0
	s_cbranch_execz .LBB24_159
; %bb.158:
	s_clause 0x1
	buffer_load_dword v53, off, s[0:3], 0 offset:16
	buffer_load_dword v54, off, s[0:3], 0 offset:20
	buffer_store_dword v52, off, s[0:3], 0 offset:16
	buffer_store_dword v52, off, s[0:3], 0 offset:20
	s_waitcnt vmcnt(0)
	ds_write_b64 v51, v[53:54]
.LBB24_159:
	s_or_b32 exec_lo, exec_lo, s4
	s_waitcnt lgkmcnt(0)
	s_waitcnt_vscnt null, 0x0
	s_barrier
	buffer_gl0_inv
	s_clause 0x2d
	buffer_load_dword v97, off, s[0:3], 0 offset:28
	buffer_load_dword v98, off, s[0:3], 0 offset:36
	;; [unrolled: 1-line block ×46, first 2 shown]
	ds_read2_b64 v[53:56], v52 offset0:29 offset1:30
	ds_read2_b64 v[57:60], v52 offset0:31 offset1:32
	;; [unrolled: 1-line block ×11, first 2 shown]
	s_mov_b32 s4, exec_lo
	s_waitcnt vmcnt(45) lgkmcnt(10)
	v_mul_f32_e32 v52, v53, v97
	v_mul_f32_e32 v97, v54, v97
	s_waitcnt vmcnt(44)
	v_mul_f32_e32 v143, v55, v98
	v_mul_f32_e32 v98, v56, v98
	s_waitcnt vmcnt(43) lgkmcnt(9)
	v_mul_f32_e32 v144, v57, v99
	s_waitcnt vmcnt(42)
	v_mul_f32_e32 v145, v59, v100
	s_waitcnt vmcnt(41) lgkmcnt(8)
	v_mul_f32_e32 v146, v61, v101
	s_waitcnt vmcnt(40)
	;; [unrolled: 4-line block ×9, first 2 shown]
	v_mul_f32_e32 v161, v91, v116
	s_waitcnt vmcnt(23)
	v_fma_f32 v53, v53, v119, -v97
	v_fmac_f32_e32 v52, v54, v119
	v_mul_f32_e32 v54, v58, v99
	s_waitcnt vmcnt(22)
	v_fma_f32 v55, v55, v120, -v98
	v_fmac_f32_e32 v143, v56, v120
	v_add_f32_e32 v53, 0, v53
	v_add_f32_e32 v52, 0, v52
	v_mul_f32_e32 v56, v60, v100
	s_waitcnt vmcnt(21)
	v_fma_f32 v54, v57, v121, -v54
	v_fmac_f32_e32 v144, v58, v121
	v_add_f32_e32 v53, v53, v55
	v_add_f32_e32 v52, v52, v143
	;; [unrolled: 6-line block ×18, first 2 shown]
	s_waitcnt lgkmcnt(0)
	v_mul_f32_e32 v54, v94, v117
	s_waitcnt vmcnt(4)
	v_fma_f32 v55, v91, v138, -v55
	v_mul_f32_e32 v162, v93, v117
	v_add_f32_e32 v53, v53, v56
	v_fmac_f32_e32 v161, v92, v138
	v_add_f32_e32 v52, v52, v160
	v_mul_f32_e32 v56, v96, v118
	s_waitcnt vmcnt(3)
	v_fma_f32 v54, v93, v139, -v54
	v_add_f32_e32 v53, v53, v55
	v_mul_f32_e32 v163, v95, v118
	v_fmac_f32_e32 v162, v94, v139
	v_add_f32_e32 v52, v52, v161
	s_waitcnt vmcnt(2)
	v_fma_f32 v55, v95, v140, -v56
	v_add_f32_e32 v53, v53, v54
	v_fmac_f32_e32 v163, v96, v140
	v_add_f32_e32 v52, v52, v162
	v_add_f32_e32 v53, v53, v55
	;; [unrolled: 1-line block ×3, first 2 shown]
	s_waitcnt vmcnt(1)
	v_sub_f32_e32 v53, v141, v53
	s_waitcnt vmcnt(0)
	v_sub_f32_e32 v52, v142, v52
	buffer_store_dword v53, off, s[0:3], 0 offset:16
	buffer_store_dword v52, off, s[0:3], 0 offset:20
	v_cmpx_lt_u32_e32 1, v0
	s_cbranch_execz .LBB24_161
; %bb.160:
	s_clause 0x1
	buffer_load_dword v52, off, s[0:3], 0 offset:8
	buffer_load_dword v53, off, s[0:3], 0 offset:12
	v_mov_b32_e32 v54, 0
	buffer_store_dword v54, off, s[0:3], 0 offset:8
	buffer_store_dword v54, off, s[0:3], 0 offset:12
	s_waitcnt vmcnt(0)
	ds_write_b64 v51, v[52:53]
.LBB24_161:
	s_or_b32 exec_lo, exec_lo, s4
	s_waitcnt lgkmcnt(0)
	s_waitcnt_vscnt null, 0x0
	s_barrier
	buffer_gl0_inv
	s_clause 0x2f
	buffer_load_dword v99, off, s[0:3], 0 offset:20
	buffer_load_dword v100, off, s[0:3], 0 offset:28
	;; [unrolled: 1-line block ×48, first 2 shown]
	v_mov_b32_e32 v52, 0
	ds_read_b128 v[53:56], v52 offset:224
	ds_read_b128 v[57:60], v52 offset:240
	;; [unrolled: 1-line block ×11, first 2 shown]
	ds_read_b64 v[97:98], v52 offset:400
	s_mov_b32 s4, exec_lo
	s_waitcnt vmcnt(47) lgkmcnt(11)
	v_mul_f32_e32 v147, v53, v99
	v_mul_f32_e32 v99, v54, v99
	s_waitcnt vmcnt(46)
	v_mul_f32_e32 v148, v55, v100
	v_mul_f32_e32 v100, v56, v100
	s_waitcnt vmcnt(45) lgkmcnt(10)
	v_mul_f32_e32 v149, v57, v101
	s_waitcnt vmcnt(44)
	v_mul_f32_e32 v150, v59, v102
	s_waitcnt vmcnt(43) lgkmcnt(9)
	v_mul_f32_e32 v151, v61, v103
	s_waitcnt vmcnt(42)
	;; [unrolled: 4-line block ×10, first 2 shown]
	v_fma_f32 v53, v53, v122, -v99
	v_fmac_f32_e32 v147, v54, v122
	v_mul_f32_e32 v54, v58, v101
	s_waitcnt vmcnt(23)
	v_fma_f32 v55, v55, v123, -v100
	v_fmac_f32_e32 v148, v56, v123
	v_add_f32_e32 v53, 0, v53
	v_add_f32_e32 v56, 0, v147
	v_mul_f32_e32 v99, v60, v102
	s_waitcnt vmcnt(22)
	v_fma_f32 v54, v57, v124, -v54
	v_fmac_f32_e32 v149, v58, v124
	v_add_f32_e32 v53, v53, v55
	v_add_f32_e32 v55, v56, v148
	;; [unrolled: 6-line block ×19, first 2 shown]
	v_mul_f32_e32 v57, v96, v120
	s_waitcnt vmcnt(4)
	v_fma_f32 v55, v93, v142, -v55
	v_mul_f32_e32 v168, v95, v120
	v_add_f32_e32 v53, v53, v56
	v_fmac_f32_e32 v167, v94, v142
	v_add_f32_e32 v54, v54, v166
	s_waitcnt lgkmcnt(0)
	v_mul_f32_e32 v56, v98, v121
	s_waitcnt vmcnt(3)
	v_fma_f32 v57, v95, v143, -v57
	v_add_f32_e32 v53, v53, v55
	v_mul_f32_e32 v169, v97, v121
	v_fmac_f32_e32 v168, v96, v143
	v_add_f32_e32 v54, v54, v167
	s_waitcnt vmcnt(2)
	v_fma_f32 v55, v97, v144, -v56
	v_add_f32_e32 v53, v53, v57
	v_fmac_f32_e32 v169, v98, v144
	v_add_f32_e32 v54, v54, v168
	v_add_f32_e32 v53, v53, v55
	;; [unrolled: 1-line block ×3, first 2 shown]
	s_waitcnt vmcnt(1)
	v_sub_f32_e32 v53, v145, v53
	s_waitcnt vmcnt(0)
	v_sub_f32_e32 v54, v146, v54
	buffer_store_dword v53, off, s[0:3], 0 offset:8
	buffer_store_dword v54, off, s[0:3], 0 offset:12
	v_cmpx_ne_u32_e32 0, v0
	s_cbranch_execz .LBB24_163
; %bb.162:
	s_clause 0x1
	buffer_load_dword v53, off, s[0:3], 0
	buffer_load_dword v54, off, s[0:3], 0 offset:4
	buffer_store_dword v52, off, s[0:3], 0
	buffer_store_dword v52, off, s[0:3], 0 offset:4
	s_waitcnt vmcnt(0)
	ds_write_b64 v51, v[53:54]
.LBB24_163:
	s_or_b32 exec_lo, exec_lo, s4
	s_waitcnt lgkmcnt(0)
	s_waitcnt_vscnt null, 0x0
	s_barrier
	buffer_gl0_inv
	s_clause 0x31
	buffer_load_dword v0, off, s[0:3], 0 offset:12
	buffer_load_dword v51, off, s[0:3], 0 offset:20
	buffer_load_dword v101, off, s[0:3], 0 offset:28
	buffer_load_dword v102, off, s[0:3], 0 offset:36
	buffer_load_dword v103, off, s[0:3], 0 offset:44
	buffer_load_dword v104, off, s[0:3], 0 offset:52
	buffer_load_dword v105, off, s[0:3], 0 offset:60
	buffer_load_dword v106, off, s[0:3], 0 offset:68
	buffer_load_dword v107, off, s[0:3], 0 offset:76
	buffer_load_dword v108, off, s[0:3], 0 offset:84
	buffer_load_dword v109, off, s[0:3], 0 offset:92
	buffer_load_dword v110, off, s[0:3], 0 offset:100
	buffer_load_dword v111, off, s[0:3], 0 offset:108
	buffer_load_dword v112, off, s[0:3], 0 offset:116
	buffer_load_dword v113, off, s[0:3], 0 offset:124
	buffer_load_dword v114, off, s[0:3], 0 offset:132
	buffer_load_dword v115, off, s[0:3], 0 offset:140
	buffer_load_dword v116, off, s[0:3], 0 offset:148
	buffer_load_dword v117, off, s[0:3], 0 offset:156
	buffer_load_dword v118, off, s[0:3], 0 offset:164
	buffer_load_dword v119, off, s[0:3], 0 offset:172
	buffer_load_dword v120, off, s[0:3], 0 offset:180
	buffer_load_dword v121, off, s[0:3], 0 offset:188
	buffer_load_dword v122, off, s[0:3], 0 offset:196
	buffer_load_dword v123, off, s[0:3], 0 offset:8
	buffer_load_dword v124, off, s[0:3], 0 offset:16
	buffer_load_dword v125, off, s[0:3], 0 offset:24
	buffer_load_dword v126, off, s[0:3], 0 offset:32
	buffer_load_dword v127, off, s[0:3], 0 offset:40
	buffer_load_dword v128, off, s[0:3], 0 offset:48
	buffer_load_dword v129, off, s[0:3], 0 offset:56
	buffer_load_dword v130, off, s[0:3], 0 offset:64
	buffer_load_dword v131, off, s[0:3], 0 offset:72
	buffer_load_dword v132, off, s[0:3], 0 offset:80
	buffer_load_dword v133, off, s[0:3], 0 offset:88
	buffer_load_dword v134, off, s[0:3], 0 offset:96
	buffer_load_dword v135, off, s[0:3], 0 offset:104
	buffer_load_dword v136, off, s[0:3], 0 offset:112
	buffer_load_dword v137, off, s[0:3], 0 offset:120
	buffer_load_dword v138, off, s[0:3], 0 offset:128
	buffer_load_dword v139, off, s[0:3], 0 offset:136
	buffer_load_dword v140, off, s[0:3], 0 offset:144
	buffer_load_dword v141, off, s[0:3], 0 offset:152
	buffer_load_dword v142, off, s[0:3], 0 offset:160
	buffer_load_dword v143, off, s[0:3], 0 offset:168
	buffer_load_dword v144, off, s[0:3], 0 offset:176
	buffer_load_dword v145, off, s[0:3], 0 offset:184
	buffer_load_dword v146, off, s[0:3], 0 offset:192
	buffer_load_dword v147, off, s[0:3], 0
	buffer_load_dword v148, off, s[0:3], 0 offset:4
	ds_read2_b64 v[53:56], v52 offset0:27 offset1:28
	ds_read2_b64 v[57:60], v52 offset0:29 offset1:30
	;; [unrolled: 1-line block ×12, first 2 shown]
	s_and_b32 vcc_lo, exec_lo, s22
	s_waitcnt vmcnt(49) lgkmcnt(11)
	v_mul_f32_e32 v52, v53, v0
	v_mul_f32_e32 v0, v54, v0
	s_waitcnt vmcnt(48)
	v_mul_f32_e32 v149, v55, v51
	v_mul_f32_e32 v51, v56, v51
	s_waitcnt vmcnt(47) lgkmcnt(10)
	v_mul_f32_e32 v150, v57, v101
	s_waitcnt vmcnt(46)
	v_mul_f32_e32 v151, v59, v102
	s_waitcnt vmcnt(45) lgkmcnt(9)
	v_mul_f32_e32 v152, v61, v103
	s_waitcnt vmcnt(44)
	;; [unrolled: 4-line block ×10, first 2 shown]
	v_mul_f32_e32 v169, v95, v120
	s_waitcnt vmcnt(25)
	v_fma_f32 v0, v53, v123, -v0
	v_fmac_f32_e32 v52, v54, v123
	v_mul_f32_e32 v53, v58, v101
	s_waitcnt vmcnt(24)
	v_fma_f32 v51, v55, v124, -v51
	v_fmac_f32_e32 v149, v56, v124
	v_add_f32_e32 v0, 0, v0
	v_add_f32_e32 v52, 0, v52
	v_mul_f32_e32 v54, v60, v102
	s_waitcnt vmcnt(23)
	v_fma_f32 v53, v57, v125, -v53
	v_fmac_f32_e32 v150, v58, v125
	v_add_f32_e32 v0, v0, v51
	v_add_f32_e32 v51, v52, v149
	;; [unrolled: 6-line block ×20, first 2 shown]
	s_waitcnt lgkmcnt(0)
	v_mul_f32_e32 v52, v98, v121
	s_waitcnt vmcnt(4)
	v_fma_f32 v54, v95, v144, -v54
	v_mul_f32_e32 v170, v97, v121
	v_add_f32_e32 v0, v0, v53
	v_fmac_f32_e32 v169, v96, v144
	v_add_f32_e32 v51, v51, v168
	v_mul_f32_e32 v53, v100, v122
	s_waitcnt vmcnt(3)
	v_fma_f32 v52, v97, v145, -v52
	v_add_f32_e32 v0, v0, v54
	v_mul_f32_e32 v171, v99, v122
	v_fmac_f32_e32 v170, v98, v145
	v_add_f32_e32 v51, v51, v169
	s_waitcnt vmcnt(2)
	v_fma_f32 v53, v99, v146, -v53
	v_add_f32_e32 v0, v0, v52
	v_fmac_f32_e32 v171, v100, v146
	v_add_f32_e32 v51, v51, v170
	v_add_f32_e32 v0, v0, v53
	;; [unrolled: 1-line block ×3, first 2 shown]
	s_waitcnt vmcnt(1)
	v_sub_f32_e32 v0, v147, v0
	s_waitcnt vmcnt(0)
	v_sub_f32_e32 v51, v148, v51
	buffer_store_dword v0, off, s[0:3], 0
	buffer_store_dword v51, off, s[0:3], 0 offset:4
	s_cbranch_vccz .LBB24_212
; %bb.164:
	v_mov_b32_e32 v0, 0
	global_load_dword v51, v0, s[20:21] offset:92
	s_waitcnt vmcnt(0)
	v_add_nc_u32_e32 v51, -1, v51
	v_cmp_ne_u32_e32 vcc_lo, 23, v51
	s_cbranch_vccz .LBB24_166
; %bb.165:
	v_lshlrev_b32_e32 v51, 3, v51
	s_clause 0x3
	buffer_load_dword v52, v51, s[0:3], 0 offen
	buffer_load_dword v53, v51, s[0:3], 0 offen offset:4
	buffer_load_dword v54, off, s[0:3], 0 offset:184
	buffer_load_dword v55, off, s[0:3], 0 offset:188
	s_waitcnt vmcnt(3)
	buffer_store_dword v52, off, s[0:3], 0 offset:184
	s_waitcnt vmcnt(2)
	buffer_store_dword v53, off, s[0:3], 0 offset:188
	s_waitcnt vmcnt(1)
	buffer_store_dword v54, v51, s[0:3], 0 offen
	s_waitcnt vmcnt(0)
	buffer_store_dword v55, v51, s[0:3], 0 offen offset:4
.LBB24_166:
	global_load_dword v0, v0, s[20:21] offset:88
	s_waitcnt vmcnt(0)
	v_add_nc_u32_e32 v0, -1, v0
	v_cmp_eq_u32_e32 vcc_lo, 22, v0
	s_cbranch_vccnz .LBB24_168
; %bb.167:
	v_lshlrev_b32_e32 v0, 3, v0
	s_clause 0x3
	buffer_load_dword v51, v0, s[0:3], 0 offen
	buffer_load_dword v52, v0, s[0:3], 0 offen offset:4
	buffer_load_dword v53, off, s[0:3], 0 offset:180
	buffer_load_dword v54, off, s[0:3], 0 offset:176
	s_waitcnt vmcnt(3)
	buffer_store_dword v51, off, s[0:3], 0 offset:176
	s_waitcnt vmcnt(2)
	buffer_store_dword v52, off, s[0:3], 0 offset:180
	s_waitcnt vmcnt(1)
	buffer_store_dword v53, v0, s[0:3], 0 offen offset:4
	s_waitcnt vmcnt(0)
	buffer_store_dword v54, v0, s[0:3], 0 offen
.LBB24_168:
	v_mov_b32_e32 v0, 0
	global_load_dword v51, v0, s[20:21] offset:84
	s_waitcnt vmcnt(0)
	v_add_nc_u32_e32 v51, -1, v51
	v_cmp_eq_u32_e32 vcc_lo, 21, v51
	s_cbranch_vccnz .LBB24_170
; %bb.169:
	v_lshlrev_b32_e32 v51, 3, v51
	s_clause 0x3
	buffer_load_dword v52, v51, s[0:3], 0 offen
	buffer_load_dword v53, v51, s[0:3], 0 offen offset:4
	buffer_load_dword v54, off, s[0:3], 0 offset:168
	buffer_load_dword v55, off, s[0:3], 0 offset:172
	s_waitcnt vmcnt(3)
	buffer_store_dword v52, off, s[0:3], 0 offset:168
	s_waitcnt vmcnt(2)
	buffer_store_dword v53, off, s[0:3], 0 offset:172
	s_waitcnt vmcnt(1)
	buffer_store_dword v54, v51, s[0:3], 0 offen
	s_waitcnt vmcnt(0)
	buffer_store_dword v55, v51, s[0:3], 0 offen offset:4
.LBB24_170:
	global_load_dword v0, v0, s[20:21] offset:80
	s_waitcnt vmcnt(0)
	v_add_nc_u32_e32 v0, -1, v0
	v_cmp_eq_u32_e32 vcc_lo, 20, v0
	s_cbranch_vccnz .LBB24_172
; %bb.171:
	v_lshlrev_b32_e32 v0, 3, v0
	s_clause 0x3
	buffer_load_dword v51, v0, s[0:3], 0 offen
	buffer_load_dword v52, v0, s[0:3], 0 offen offset:4
	buffer_load_dword v53, off, s[0:3], 0 offset:164
	buffer_load_dword v54, off, s[0:3], 0 offset:160
	s_waitcnt vmcnt(3)
	buffer_store_dword v51, off, s[0:3], 0 offset:160
	s_waitcnt vmcnt(2)
	buffer_store_dword v52, off, s[0:3], 0 offset:164
	s_waitcnt vmcnt(1)
	buffer_store_dword v53, v0, s[0:3], 0 offen offset:4
	s_waitcnt vmcnt(0)
	buffer_store_dword v54, v0, s[0:3], 0 offen
.LBB24_172:
	v_mov_b32_e32 v0, 0
	global_load_dword v51, v0, s[20:21] offset:76
	s_waitcnt vmcnt(0)
	v_add_nc_u32_e32 v51, -1, v51
	v_cmp_eq_u32_e32 vcc_lo, 19, v51
	s_cbranch_vccnz .LBB24_174
; %bb.173:
	v_lshlrev_b32_e32 v51, 3, v51
	s_clause 0x3
	buffer_load_dword v52, v51, s[0:3], 0 offen
	buffer_load_dword v53, v51, s[0:3], 0 offen offset:4
	buffer_load_dword v54, off, s[0:3], 0 offset:152
	buffer_load_dword v55, off, s[0:3], 0 offset:156
	s_waitcnt vmcnt(3)
	buffer_store_dword v52, off, s[0:3], 0 offset:152
	s_waitcnt vmcnt(2)
	buffer_store_dword v53, off, s[0:3], 0 offset:156
	s_waitcnt vmcnt(1)
	buffer_store_dword v54, v51, s[0:3], 0 offen
	s_waitcnt vmcnt(0)
	buffer_store_dword v55, v51, s[0:3], 0 offen offset:4
.LBB24_174:
	;; [unrolled: 43-line block ×11, first 2 shown]
	global_load_dword v0, v0, s[20:21]
	s_waitcnt vmcnt(0)
	v_add_nc_u32_e32 v0, -1, v0
	v_cmp_eq_u32_e32 vcc_lo, 0, v0
	s_cbranch_vccnz .LBB24_212
; %bb.211:
	v_lshlrev_b32_e32 v0, 3, v0
	s_clause 0x3
	buffer_load_dword v51, v0, s[0:3], 0 offen
	buffer_load_dword v52, v0, s[0:3], 0 offen offset:4
	buffer_load_dword v53, off, s[0:3], 0 offset:4
	buffer_load_dword v54, off, s[0:3], 0
	s_waitcnt vmcnt(3)
	buffer_store_dword v51, off, s[0:3], 0
	s_waitcnt vmcnt(2)
	buffer_store_dword v52, off, s[0:3], 0 offset:4
	s_waitcnt vmcnt(1)
	buffer_store_dword v53, v0, s[0:3], 0 offen offset:4
	s_waitcnt vmcnt(0)
	buffer_store_dword v54, v0, s[0:3], 0 offen
.LBB24_212:
	s_clause 0x31
	buffer_load_dword v51, off, s[0:3], 0
	buffer_load_dword v52, off, s[0:3], 0 offset:4
	buffer_load_dword v53, off, s[0:3], 0 offset:8
	;; [unrolled: 1-line block ×49, first 2 shown]
	s_waitcnt vmcnt(48)
	global_store_dwordx2 v[1:2], v[51:52], off
	s_waitcnt vmcnt(46)
	global_store_dwordx2 v[3:4], v[53:54], off
	;; [unrolled: 2-line block ×9, first 2 shown]
	global_store_dwordx2 v[19:20], v[69:70], off
	global_store_dwordx2 v[21:22], v[71:72], off
	;; [unrolled: 1-line block ×3, first 2 shown]
	s_waitcnt vmcnt(24)
	global_store_dwordx2 v[25:26], v[75:76], off
	s_waitcnt vmcnt(22)
	global_store_dwordx2 v[27:28], v[77:78], off
	;; [unrolled: 2-line block ×13, first 2 shown]
	s_endpgm
	.section	.rodata,"a",@progbits
	.p2align	6, 0x0
	.amdhsa_kernel _ZN9rocsolver6v33100L18getri_kernel_smallILi25E19rocblas_complex_numIfEPS3_EEvT1_iilPiilS6_bb
		.amdhsa_group_segment_fixed_size 408
		.amdhsa_private_segment_fixed_size 208
		.amdhsa_kernarg_size 60
		.amdhsa_user_sgpr_count 6
		.amdhsa_user_sgpr_private_segment_buffer 1
		.amdhsa_user_sgpr_dispatch_ptr 0
		.amdhsa_user_sgpr_queue_ptr 0
		.amdhsa_user_sgpr_kernarg_segment_ptr 1
		.amdhsa_user_sgpr_dispatch_id 0
		.amdhsa_user_sgpr_flat_scratch_init 0
		.amdhsa_user_sgpr_private_segment_size 0
		.amdhsa_wavefront_size32 1
		.amdhsa_uses_dynamic_stack 0
		.amdhsa_system_sgpr_private_segment_wavefront_offset 1
		.amdhsa_system_sgpr_workgroup_id_x 1
		.amdhsa_system_sgpr_workgroup_id_y 0
		.amdhsa_system_sgpr_workgroup_id_z 0
		.amdhsa_system_sgpr_workgroup_info 0
		.amdhsa_system_vgpr_workitem_id 0
		.amdhsa_next_free_vgpr 172
		.amdhsa_next_free_sgpr 23
		.amdhsa_reserve_vcc 1
		.amdhsa_reserve_flat_scratch 0
		.amdhsa_float_round_mode_32 0
		.amdhsa_float_round_mode_16_64 0
		.amdhsa_float_denorm_mode_32 3
		.amdhsa_float_denorm_mode_16_64 3
		.amdhsa_dx10_clamp 1
		.amdhsa_ieee_mode 1
		.amdhsa_fp16_overflow 0
		.amdhsa_workgroup_processor_mode 1
		.amdhsa_memory_ordered 1
		.amdhsa_forward_progress 1
		.amdhsa_shared_vgpr_count 0
		.amdhsa_exception_fp_ieee_invalid_op 0
		.amdhsa_exception_fp_denorm_src 0
		.amdhsa_exception_fp_ieee_div_zero 0
		.amdhsa_exception_fp_ieee_overflow 0
		.amdhsa_exception_fp_ieee_underflow 0
		.amdhsa_exception_fp_ieee_inexact 0
		.amdhsa_exception_int_div_zero 0
	.end_amdhsa_kernel
	.section	.text._ZN9rocsolver6v33100L18getri_kernel_smallILi25E19rocblas_complex_numIfEPS3_EEvT1_iilPiilS6_bb,"axG",@progbits,_ZN9rocsolver6v33100L18getri_kernel_smallILi25E19rocblas_complex_numIfEPS3_EEvT1_iilPiilS6_bb,comdat
.Lfunc_end24:
	.size	_ZN9rocsolver6v33100L18getri_kernel_smallILi25E19rocblas_complex_numIfEPS3_EEvT1_iilPiilS6_bb, .Lfunc_end24-_ZN9rocsolver6v33100L18getri_kernel_smallILi25E19rocblas_complex_numIfEPS3_EEvT1_iilPiilS6_bb
                                        ; -- End function
	.set _ZN9rocsolver6v33100L18getri_kernel_smallILi25E19rocblas_complex_numIfEPS3_EEvT1_iilPiilS6_bb.num_vgpr, 172
	.set _ZN9rocsolver6v33100L18getri_kernel_smallILi25E19rocblas_complex_numIfEPS3_EEvT1_iilPiilS6_bb.num_agpr, 0
	.set _ZN9rocsolver6v33100L18getri_kernel_smallILi25E19rocblas_complex_numIfEPS3_EEvT1_iilPiilS6_bb.numbered_sgpr, 23
	.set _ZN9rocsolver6v33100L18getri_kernel_smallILi25E19rocblas_complex_numIfEPS3_EEvT1_iilPiilS6_bb.num_named_barrier, 0
	.set _ZN9rocsolver6v33100L18getri_kernel_smallILi25E19rocblas_complex_numIfEPS3_EEvT1_iilPiilS6_bb.private_seg_size, 208
	.set _ZN9rocsolver6v33100L18getri_kernel_smallILi25E19rocblas_complex_numIfEPS3_EEvT1_iilPiilS6_bb.uses_vcc, 1
	.set _ZN9rocsolver6v33100L18getri_kernel_smallILi25E19rocblas_complex_numIfEPS3_EEvT1_iilPiilS6_bb.uses_flat_scratch, 0
	.set _ZN9rocsolver6v33100L18getri_kernel_smallILi25E19rocblas_complex_numIfEPS3_EEvT1_iilPiilS6_bb.has_dyn_sized_stack, 0
	.set _ZN9rocsolver6v33100L18getri_kernel_smallILi25E19rocblas_complex_numIfEPS3_EEvT1_iilPiilS6_bb.has_recursion, 0
	.set _ZN9rocsolver6v33100L18getri_kernel_smallILi25E19rocblas_complex_numIfEPS3_EEvT1_iilPiilS6_bb.has_indirect_call, 0
	.section	.AMDGPU.csdata,"",@progbits
; Kernel info:
; codeLenInByte = 32244
; TotalNumSgprs: 25
; NumVgprs: 172
; ScratchSize: 208
; MemoryBound: 0
; FloatMode: 240
; IeeeMode: 1
; LDSByteSize: 408 bytes/workgroup (compile time only)
; SGPRBlocks: 0
; VGPRBlocks: 21
; NumSGPRsForWavesPerEU: 25
; NumVGPRsForWavesPerEU: 172
; Occupancy: 5
; WaveLimiterHint : 1
; COMPUTE_PGM_RSRC2:SCRATCH_EN: 1
; COMPUTE_PGM_RSRC2:USER_SGPR: 6
; COMPUTE_PGM_RSRC2:TRAP_HANDLER: 0
; COMPUTE_PGM_RSRC2:TGID_X_EN: 1
; COMPUTE_PGM_RSRC2:TGID_Y_EN: 0
; COMPUTE_PGM_RSRC2:TGID_Z_EN: 0
; COMPUTE_PGM_RSRC2:TIDIG_COMP_CNT: 0
	.section	.text._ZN9rocsolver6v33100L18getri_kernel_smallILi26E19rocblas_complex_numIfEPS3_EEvT1_iilPiilS6_bb,"axG",@progbits,_ZN9rocsolver6v33100L18getri_kernel_smallILi26E19rocblas_complex_numIfEPS3_EEvT1_iilPiilS6_bb,comdat
	.globl	_ZN9rocsolver6v33100L18getri_kernel_smallILi26E19rocblas_complex_numIfEPS3_EEvT1_iilPiilS6_bb ; -- Begin function _ZN9rocsolver6v33100L18getri_kernel_smallILi26E19rocblas_complex_numIfEPS3_EEvT1_iilPiilS6_bb
	.p2align	8
	.type	_ZN9rocsolver6v33100L18getri_kernel_smallILi26E19rocblas_complex_numIfEPS3_EEvT1_iilPiilS6_bb,@function
_ZN9rocsolver6v33100L18getri_kernel_smallILi26E19rocblas_complex_numIfEPS3_EEvT1_iilPiilS6_bb: ; @_ZN9rocsolver6v33100L18getri_kernel_smallILi26E19rocblas_complex_numIfEPS3_EEvT1_iilPiilS6_bb
; %bb.0:
	s_add_u32 s0, s0, s7
	s_addc_u32 s1, s1, 0
	s_mov_b32 s7, exec_lo
	v_cmpx_gt_u32_e32 26, v0
	s_cbranch_execz .LBB25_118
; %bb.1:
	s_clause 0x2
	s_load_dword s7, s[4:5], 0x38
	s_load_dwordx4 s[16:19], s[4:5], 0x10
	s_load_dwordx4 s[8:11], s[4:5], 0x28
                                        ; implicit-def: $sgpr20_sgpr21
	s_waitcnt lgkmcnt(0)
	s_bitcmp1_b32 s7, 8
	s_cselect_b32 s22, -1, 0
	s_bfe_u32 s12, s7, 0x10008
	s_ashr_i32 s7, s6, 31
	s_cmp_eq_u32 s12, 0
	s_cbranch_scc1 .LBB25_3
; %bb.2:
	s_load_dword s12, s[4:5], 0x20
	s_mul_i32 s13, s8, s7
	s_mul_hi_u32 s14, s8, s6
	s_mul_i32 s9, s9, s6
	s_add_i32 s13, s14, s13
	s_mul_i32 s8, s8, s6
	s_add_i32 s9, s13, s9
	s_lshl_b64 s[8:9], s[8:9], 2
	s_waitcnt lgkmcnt(0)
	s_ashr_i32 s13, s12, 31
	s_add_u32 s14, s18, s8
	s_addc_u32 s15, s19, s9
	s_lshl_b64 s[8:9], s[12:13], 2
	s_add_u32 s20, s14, s8
	s_addc_u32 s21, s15, s9
.LBB25_3:
	s_clause 0x1
	s_load_dwordx4 s[12:15], s[4:5], 0x0
	s_load_dword s8, s[4:5], 0x38
	s_mul_i32 s4, s16, s7
	s_mul_hi_u32 s5, s16, s6
	s_mul_i32 s9, s17, s6
	s_add_i32 s5, s5, s4
	s_mul_i32 s4, s16, s6
	s_add_i32 s5, s5, s9
	v_lshlrev_b32_e32 v55, 3, v0
	s_lshl_b64 s[4:5], s[4:5], 3
	s_waitcnt lgkmcnt(0)
	v_add3_u32 v3, s15, s15, v0
	s_ashr_i32 s17, s14, 31
	s_mov_b32 s16, s14
	s_add_u32 s9, s12, s4
	s_addc_u32 s13, s13, s5
	v_add_nc_u32_e32 v5, s15, v3
	s_lshl_b64 s[4:5], s[16:17], 3
	v_ashrrev_i32_e32 v4, 31, v3
	s_add_u32 s4, s9, s4
	s_addc_u32 s5, s13, s5
	v_add_nc_u32_e32 v9, s15, v5
	v_ashrrev_i32_e32 v6, 31, v5
	v_add_co_u32 v1, s9, s4, v55
	s_mov_b32 s12, s15
	s_ashr_i32 s13, s15, 31
	v_lshlrev_b64 v[7:8], 3, v[3:4]
	v_add_nc_u32_e32 v13, s15, v9
	v_add_co_ci_u32_e64 v2, null, s5, 0, s9
	s_lshl_b64 s[12:13], s[12:13], 3
	v_lshlrev_b64 v[11:12], 3, v[5:6]
	v_add_co_u32 v3, vcc_lo, v1, s12
	v_ashrrev_i32_e32 v14, 31, v13
	v_add_nc_u32_e32 v15, s15, v13
	v_add_co_ci_u32_e64 v4, null, s13, v2, vcc_lo
	v_add_co_u32 v5, vcc_lo, s4, v7
	v_add_co_ci_u32_e64 v6, null, s5, v8, vcc_lo
	v_add_co_u32 v7, vcc_lo, s4, v11
	v_add_co_ci_u32_e64 v8, null, s5, v12, vcc_lo
	v_lshlrev_b64 v[11:12], 3, v[13:14]
	v_add_nc_u32_e32 v13, s15, v15
	v_ashrrev_i32_e32 v10, 31, v9
	v_ashrrev_i32_e32 v16, 31, v15
	s_clause 0x3
	global_load_dwordx2 v[53:54], v55, s[4:5]
	global_load_dwordx2 v[56:57], v[3:4], off
	global_load_dwordx2 v[58:59], v[5:6], off
	global_load_dwordx2 v[60:61], v[7:8], off
	v_add_nc_u32_e32 v17, s15, v13
	v_lshlrev_b64 v[9:10], 3, v[9:10]
	v_ashrrev_i32_e32 v14, 31, v13
	v_lshlrev_b64 v[15:16], 3, v[15:16]
	s_bitcmp0_b32 s8, 0
	v_add_nc_u32_e32 v21, s15, v17
	v_ashrrev_i32_e32 v18, 31, v17
	v_add_co_u32 v9, vcc_lo, s4, v9
	v_lshlrev_b64 v[19:20], 3, v[13:14]
	v_add_co_ci_u32_e64 v10, null, s5, v10, vcc_lo
	v_add_co_u32 v11, vcc_lo, s4, v11
	v_ashrrev_i32_e32 v22, 31, v21
	v_add_nc_u32_e32 v23, s15, v21
	v_add_co_ci_u32_e64 v12, null, s5, v12, vcc_lo
	v_add_co_u32 v13, vcc_lo, s4, v15
	v_add_co_ci_u32_e64 v14, null, s5, v16, vcc_lo
	v_add_co_u32 v15, vcc_lo, s4, v19
	v_add_co_ci_u32_e64 v16, null, s5, v20, vcc_lo
	v_lshlrev_b64 v[19:20], 3, v[21:22]
	v_add_nc_u32_e32 v21, s15, v23
	v_ashrrev_i32_e32 v24, 31, v23
	v_lshlrev_b64 v[17:18], 3, v[17:18]
	s_clause 0x3
	global_load_dwordx2 v[64:65], v[9:10], off
	global_load_dwordx2 v[66:67], v[11:12], off
	;; [unrolled: 1-line block ×4, first 2 shown]
	v_add_nc_u32_e32 v25, s15, v21
	v_ashrrev_i32_e32 v22, 31, v21
	v_lshlrev_b64 v[23:24], 3, v[23:24]
	v_add_co_u32 v17, vcc_lo, s4, v17
	v_add_nc_u32_e32 v29, s15, v25
	v_lshlrev_b64 v[27:28], 3, v[21:22]
	v_add_co_ci_u32_e64 v18, null, s5, v18, vcc_lo
	v_add_co_u32 v19, vcc_lo, s4, v19
	v_ashrrev_i32_e32 v30, 31, v29
	v_add_nc_u32_e32 v31, s15, v29
	v_add_co_ci_u32_e64 v20, null, s5, v20, vcc_lo
	v_add_co_u32 v21, vcc_lo, s4, v23
	v_add_co_ci_u32_e64 v22, null, s5, v24, vcc_lo
	v_add_co_u32 v23, vcc_lo, s4, v27
	v_add_co_ci_u32_e64 v24, null, s5, v28, vcc_lo
	v_lshlrev_b64 v[27:28], 3, v[29:30]
	v_add_nc_u32_e32 v29, s15, v31
	v_ashrrev_i32_e32 v26, 31, v25
	v_ashrrev_i32_e32 v32, 31, v31
	s_clause 0x1
	global_load_dwordx2 v[72:73], v[17:18], off
	global_load_dwordx2 v[74:75], v[19:20], off
	v_add_nc_u32_e32 v33, s15, v29
	v_lshlrev_b64 v[25:26], 3, v[25:26]
	v_ashrrev_i32_e32 v30, 31, v29
	v_lshlrev_b64 v[31:32], 3, v[31:32]
	v_add_nc_u32_e32 v37, s15, v33
	v_ashrrev_i32_e32 v34, 31, v33
	v_add_co_u32 v25, vcc_lo, s4, v25
	v_lshlrev_b64 v[35:36], 3, v[29:30]
	v_add_co_ci_u32_e64 v26, null, s5, v26, vcc_lo
	v_add_co_u32 v27, vcc_lo, s4, v27
	v_ashrrev_i32_e32 v38, 31, v37
	v_add_nc_u32_e32 v39, s15, v37
	v_add_co_ci_u32_e64 v28, null, s5, v28, vcc_lo
	v_add_co_u32 v29, vcc_lo, s4, v31
	v_add_co_ci_u32_e64 v30, null, s5, v32, vcc_lo
	v_add_co_u32 v31, vcc_lo, s4, v35
	v_add_co_ci_u32_e64 v32, null, s5, v36, vcc_lo
	v_lshlrev_b64 v[35:36], 3, v[37:38]
	v_add_nc_u32_e32 v37, s15, v39
	v_ashrrev_i32_e32 v40, 31, v39
	v_lshlrev_b64 v[33:34], 3, v[33:34]
	s_clause 0x4
	global_load_dwordx2 v[76:77], v[21:22], off
	global_load_dwordx2 v[78:79], v[23:24], off
	;; [unrolled: 1-line block ×5, first 2 shown]
	v_add_nc_u32_e32 v41, s15, v37
	v_ashrrev_i32_e32 v38, 31, v37
	v_lshlrev_b64 v[39:40], 3, v[39:40]
	v_add_co_u32 v33, vcc_lo, s4, v33
	v_add_nc_u32_e32 v45, s15, v41
	v_lshlrev_b64 v[43:44], 3, v[37:38]
	v_add_co_ci_u32_e64 v34, null, s5, v34, vcc_lo
	v_add_co_u32 v35, vcc_lo, s4, v35
	v_ashrrev_i32_e32 v46, 31, v45
	v_add_nc_u32_e32 v47, s15, v45
	v_add_co_ci_u32_e64 v36, null, s5, v36, vcc_lo
	v_add_co_u32 v37, vcc_lo, s4, v39
	v_add_co_ci_u32_e64 v38, null, s5, v40, vcc_lo
	v_add_co_u32 v39, vcc_lo, s4, v43
	v_add_co_ci_u32_e64 v40, null, s5, v44, vcc_lo
	v_lshlrev_b64 v[43:44], 3, v[45:46]
	v_add_nc_u32_e32 v45, s15, v47
	v_ashrrev_i32_e32 v42, 31, v41
	v_ashrrev_i32_e32 v48, 31, v47
	v_add_nc_u32_e32 v49, s15, v45
	v_lshlrev_b64 v[41:42], 3, v[41:42]
	v_ashrrev_i32_e32 v46, 31, v45
	v_lshlrev_b64 v[47:48], 3, v[47:48]
	v_add_nc_u32_e32 v62, s15, v49
	v_ashrrev_i32_e32 v50, 31, v49
	v_add_co_u32 v41, vcc_lo, s4, v41
	v_lshlrev_b64 v[51:52], 3, v[45:46]
	v_add_co_ci_u32_e64 v42, null, s5, v42, vcc_lo
	v_add_co_u32 v43, vcc_lo, s4, v43
	v_ashrrev_i32_e32 v63, 31, v62
	v_add_co_ci_u32_e64 v44, null, s5, v44, vcc_lo
	v_add_co_u32 v45, vcc_lo, s4, v47
	v_add_co_ci_u32_e64 v46, null, s5, v48, vcc_lo
	v_lshlrev_b64 v[49:50], 3, v[49:50]
	v_add_co_u32 v47, vcc_lo, s4, v51
	v_add_co_ci_u32_e64 v48, null, s5, v52, vcc_lo
	v_lshlrev_b64 v[51:52], 3, v[62:63]
	v_add_co_u32 v49, vcc_lo, s4, v49
	v_add_co_ci_u32_e64 v50, null, s5, v50, vcc_lo
	s_clause 0x3
	global_load_dwordx2 v[62:63], v[31:32], off
	global_load_dwordx2 v[86:87], v[33:34], off
	;; [unrolled: 1-line block ×4, first 2 shown]
	v_add_co_u32 v51, vcc_lo, s4, v51
	v_add_co_ci_u32_e64 v52, null, s5, v52, vcc_lo
	s_clause 0x6
	global_load_dwordx2 v[92:93], v[39:40], off
	global_load_dwordx2 v[94:95], v[41:42], off
	;; [unrolled: 1-line block ×7, first 2 shown]
	s_mov_b32 s5, -1
	s_waitcnt vmcnt(25)
	buffer_store_dword v54, off, s[0:3], 0 offset:4
	buffer_store_dword v53, off, s[0:3], 0
	s_waitcnt vmcnt(24)
	buffer_store_dword v57, off, s[0:3], 0 offset:12
	buffer_store_dword v56, off, s[0:3], 0 offset:8
	s_waitcnt vmcnt(23)
	buffer_store_dword v59, off, s[0:3], 0 offset:20
	buffer_store_dword v58, off, s[0:3], 0 offset:16
	;; [unrolled: 3-line block ×25, first 2 shown]
	s_cbranch_scc1 .LBB25_116
; %bb.4:
	v_cmp_eq_u32_e64 s4, 0, v0
	s_and_saveexec_b32 s5, s4
; %bb.5:
	v_mov_b32_e32 v53, 0
	ds_write_b32 v53, v53 offset:416
; %bb.6:
	s_or_b32 exec_lo, exec_lo, s5
	v_lshl_add_u32 v57, v0, 3, 0
	s_waitcnt lgkmcnt(0)
	s_waitcnt_vscnt null, 0x0
	s_barrier
	buffer_gl0_inv
	s_clause 0x1
	buffer_load_dword v53, v57, s[0:3], 0 offen
	buffer_load_dword v54, v57, s[0:3], 0 offen offset:4
	s_waitcnt vmcnt(1)
	v_cmp_eq_f32_e32 vcc_lo, 0, v53
	s_waitcnt vmcnt(0)
	v_cmp_eq_f32_e64 s5, 0, v54
	s_and_b32 s5, vcc_lo, s5
	s_and_saveexec_b32 s8, s5
	s_cbranch_execz .LBB25_10
; %bb.7:
	v_mov_b32_e32 v53, 0
	s_mov_b32 s9, 0
	ds_read_b32 v54, v53 offset:416
	s_waitcnt lgkmcnt(0)
	v_readfirstlane_b32 s5, v54
	v_add_nc_u32_e32 v54, 1, v0
	s_cmp_eq_u32 s5, 0
	v_cmp_gt_i32_e32 vcc_lo, s5, v54
	s_cselect_b32 s12, -1, 0
	s_or_b32 s12, s12, vcc_lo
	s_and_b32 exec_lo, exec_lo, s12
	s_cbranch_execz .LBB25_10
; %bb.8:
	v_mov_b32_e32 v56, s5
.LBB25_9:                               ; =>This Inner Loop Header: Depth=1
	ds_cmpst_rtn_b32 v56, v53, v56, v54 offset:416
	s_waitcnt lgkmcnt(0)
	v_cmp_ne_u32_e32 vcc_lo, 0, v56
	v_cmp_le_i32_e64 s5, v56, v54
	s_and_b32 s5, vcc_lo, s5
	s_and_b32 s5, exec_lo, s5
	s_or_b32 s9, s5, s9
	s_andn2_b32 exec_lo, exec_lo, s9
	s_cbranch_execnz .LBB25_9
.LBB25_10:
	s_or_b32 exec_lo, exec_lo, s8
	v_mov_b32_e32 v53, 0
	s_barrier
	buffer_gl0_inv
	ds_read_b32 v54, v53 offset:416
	s_and_saveexec_b32 s5, s4
	s_cbranch_execz .LBB25_12
; %bb.11:
	s_lshl_b64 s[8:9], s[6:7], 2
	s_add_u32 s8, s10, s8
	s_addc_u32 s9, s11, s9
	s_waitcnt lgkmcnt(0)
	global_store_dword v53, v54, s[8:9]
.LBB25_12:
	s_or_b32 exec_lo, exec_lo, s5
	s_waitcnt lgkmcnt(0)
	v_cmp_ne_u32_e32 vcc_lo, 0, v54
	s_mov_b32 s5, 0
	s_cbranch_vccnz .LBB25_116
; %bb.13:
	s_clause 0x1
	buffer_load_dword v54, v57, s[0:3], 0 offen
	buffer_load_dword v56, v57, s[0:3], 0 offen offset:4
                                        ; implicit-def: $vgpr59
                                        ; implicit-def: $vgpr58
                                        ; implicit-def: $vgpr53
	s_waitcnt vmcnt(0)
	v_cmp_ngt_f32_e64 s5, |v54|, |v56|
	s_and_saveexec_b32 s8, s5
	s_xor_b32 s5, exec_lo, s8
	s_cbranch_execz .LBB25_15
; %bb.14:
	v_div_scale_f32 v53, null, v56, v56, v54
	v_div_scale_f32 v60, vcc_lo, v54, v56, v54
	v_rcp_f32_e32 v58, v53
	v_fma_f32 v59, -v53, v58, 1.0
	v_fmac_f32_e32 v58, v59, v58
	v_mul_f32_e32 v59, v60, v58
	v_fma_f32 v61, -v53, v59, v60
	v_fmac_f32_e32 v59, v61, v58
	v_fma_f32 v53, -v53, v59, v60
	v_div_fmas_f32 v53, v53, v58, v59
	v_div_fixup_f32 v53, v53, v56, v54
	v_fmac_f32_e32 v56, v54, v53
	v_div_scale_f32 v54, null, v56, v56, 1.0
	v_rcp_f32_e32 v58, v54
	v_fma_f32 v59, -v54, v58, 1.0
	v_fmac_f32_e32 v58, v59, v58
	v_div_scale_f32 v59, vcc_lo, 1.0, v56, 1.0
	v_mul_f32_e32 v60, v59, v58
	v_fma_f32 v61, -v54, v60, v59
	v_fmac_f32_e32 v60, v61, v58
	v_fma_f32 v54, -v54, v60, v59
	v_div_fmas_f32 v54, v54, v58, v60
	v_div_fixup_f32 v54, v54, v56, 1.0
                                        ; implicit-def: $vgpr56
	v_mul_f32_e32 v59, v53, v54
	v_xor_b32_e32 v58, 0x80000000, v54
                                        ; implicit-def: $vgpr54
	v_xor_b32_e32 v53, 0x80000000, v59
.LBB25_15:
	s_andn2_saveexec_b32 s5, s5
	s_cbranch_execz .LBB25_17
; %bb.16:
	v_div_scale_f32 v53, null, v54, v54, v56
	v_div_scale_f32 v60, vcc_lo, v56, v54, v56
	v_rcp_f32_e32 v58, v53
	v_fma_f32 v59, -v53, v58, 1.0
	v_fmac_f32_e32 v58, v59, v58
	v_mul_f32_e32 v59, v60, v58
	v_fma_f32 v61, -v53, v59, v60
	v_fmac_f32_e32 v59, v61, v58
	v_fma_f32 v53, -v53, v59, v60
	v_div_fmas_f32 v53, v53, v58, v59
	v_div_fixup_f32 v58, v53, v54, v56
	v_fmac_f32_e32 v54, v56, v58
	v_div_scale_f32 v53, null, v54, v54, 1.0
	v_div_scale_f32 v60, vcc_lo, 1.0, v54, 1.0
	v_rcp_f32_e32 v56, v53
	v_fma_f32 v59, -v53, v56, 1.0
	v_fmac_f32_e32 v56, v59, v56
	v_mul_f32_e32 v59, v60, v56
	v_fma_f32 v61, -v53, v59, v60
	v_fmac_f32_e32 v59, v61, v56
	v_fma_f32 v53, -v53, v59, v60
	v_div_fmas_f32 v53, v53, v56, v59
	v_div_fixup_f32 v59, v53, v54, 1.0
	v_xor_b32_e32 v53, 0x80000000, v59
	v_mul_f32_e64 v58, v58, -v59
.LBB25_17:
	s_or_b32 exec_lo, exec_lo, s5
	buffer_store_dword v59, v57, s[0:3], 0 offen
	buffer_store_dword v58, v57, s[0:3], 0 offen offset:4
	s_clause 0x1
	buffer_load_dword v60, off, s[0:3], 0 offset:12
	buffer_load_dword v59, off, s[0:3], 0 offset:8
	v_xor_b32_e32 v54, 0x80000000, v58
	v_add_nc_u32_e32 v56, 0xd0, v55
	s_waitcnt vmcnt(0)
	ds_write2_b64 v55, v[53:54], v[59:60] offset1:26
	s_waitcnt lgkmcnt(0)
	s_waitcnt_vscnt null, 0x0
	s_barrier
	buffer_gl0_inv
	s_and_saveexec_b32 s5, s4
	s_cbranch_execz .LBB25_19
; %bb.18:
	s_clause 0x1
	buffer_load_dword v60, v57, s[0:3], 0 offen offset:4
	buffer_load_dword v61, v57, s[0:3], 0 offen
	ds_read_b64 v[53:54], v56
	v_mov_b32_e32 v58, 0
	ds_read_b64 v[58:59], v58 offset:8
	s_waitcnt vmcnt(1) lgkmcnt(1)
	v_mul_f32_e32 v62, v53, v60
	v_mul_f32_e32 v60, v54, v60
	s_waitcnt vmcnt(0)
	v_fmac_f32_e32 v62, v54, v61
	v_fma_f32 v53, v53, v61, -v60
	v_add_f32_e32 v54, 0, v62
	v_add_f32_e32 v53, 0, v53
	s_waitcnt lgkmcnt(0)
	v_mul_f32_e32 v60, v54, v59
	v_mul_f32_e32 v59, v53, v59
	v_fma_f32 v53, v53, v58, -v60
	v_fmac_f32_e32 v59, v54, v58
	buffer_store_dword v53, off, s[0:3], 0 offset:8
	buffer_store_dword v59, off, s[0:3], 0 offset:12
.LBB25_19:
	s_or_b32 exec_lo, exec_lo, s5
	s_waitcnt_vscnt null, 0x0
	s_barrier
	buffer_gl0_inv
	s_clause 0x1
	buffer_load_dword v53, off, s[0:3], 0 offset:16
	buffer_load_dword v54, off, s[0:3], 0 offset:20
	s_mov_b32 s5, exec_lo
	s_waitcnt vmcnt(0)
	ds_write_b64 v56, v[53:54]
	s_waitcnt lgkmcnt(0)
	s_barrier
	buffer_gl0_inv
	v_cmpx_gt_u32_e32 2, v0
	s_cbranch_execz .LBB25_23
; %bb.20:
	s_clause 0x1
	buffer_load_dword v58, v57, s[0:3], 0 offen offset:4
	buffer_load_dword v57, v57, s[0:3], 0 offen
	ds_read_b64 v[53:54], v56
	s_waitcnt vmcnt(1) lgkmcnt(0)
	v_mul_f32_e32 v59, v54, v58
	v_mul_f32_e32 v58, v53, v58
	s_waitcnt vmcnt(0)
	v_fma_f32 v53, v53, v57, -v59
	v_fmac_f32_e32 v58, v54, v57
	v_add_f32_e32 v54, 0, v53
	v_add_f32_e32 v53, 0, v58
	s_and_saveexec_b32 s8, s4
	s_cbranch_execz .LBB25_22
; %bb.21:
	s_clause 0x1
	buffer_load_dword v59, off, s[0:3], 0 offset:12
	buffer_load_dword v60, off, s[0:3], 0 offset:8
	v_mov_b32_e32 v57, 0
	ds_read_b64 v[57:58], v57 offset:216
	s_waitcnt vmcnt(1) lgkmcnt(0)
	v_mul_f32_e32 v61, v57, v59
	v_mul_f32_e32 v59, v58, v59
	s_waitcnt vmcnt(0)
	v_fmac_f32_e32 v61, v58, v60
	v_fma_f32 v57, v57, v60, -v59
	v_add_f32_e32 v53, v53, v61
	v_add_f32_e32 v54, v54, v57
.LBB25_22:
	s_or_b32 exec_lo, exec_lo, s8
	v_mov_b32_e32 v57, 0
	ds_read_b64 v[57:58], v57 offset:16
	s_waitcnt lgkmcnt(0)
	v_mul_f32_e32 v59, v53, v58
	v_mul_f32_e32 v58, v54, v58
	v_fma_f32 v54, v54, v57, -v59
	v_fmac_f32_e32 v58, v53, v57
	buffer_store_dword v54, off, s[0:3], 0 offset:16
	buffer_store_dword v58, off, s[0:3], 0 offset:20
.LBB25_23:
	s_or_b32 exec_lo, exec_lo, s5
	s_waitcnt_vscnt null, 0x0
	s_barrier
	buffer_gl0_inv
	s_clause 0x1
	buffer_load_dword v57, off, s[0:3], 0 offset:24
	buffer_load_dword v58, off, s[0:3], 0 offset:28
	v_add_nc_u32_e32 v53, -1, v0
	s_mov_b32 s4, exec_lo
	s_waitcnt vmcnt(0)
	ds_write_b64 v56, v[57:58]
	s_waitcnt lgkmcnt(0)
	s_barrier
	buffer_gl0_inv
	v_cmpx_gt_u32_e32 3, v0
	s_cbranch_execz .LBB25_27
; %bb.24:
	v_add_nc_u32_e32 v57, -1, v0
	v_add_nc_u32_e32 v58, 0xd0, v55
	v_mov_b32_e32 v59, v55
	v_mov_b32_e32 v54, 0
	;; [unrolled: 1-line block ×3, first 2 shown]
	s_mov_b32 s5, 0
	.p2align	6
.LBB25_25:                              ; =>This Inner Loop Header: Depth=1
	s_clause 0x1
	buffer_load_dword v63, v59, s[0:3], 0 offen offset:4
	buffer_load_dword v64, v59, s[0:3], 0 offen
	ds_read_b64 v[61:62], v58
	v_add_nc_u32_e32 v57, 1, v57
	v_add_nc_u32_e32 v58, 8, v58
	;; [unrolled: 1-line block ×3, first 2 shown]
	v_cmp_lt_u32_e32 vcc_lo, 1, v57
	s_or_b32 s5, vcc_lo, s5
	s_waitcnt vmcnt(1) lgkmcnt(0)
	v_mul_f32_e32 v65, v62, v63
	v_mul_f32_e32 v63, v61, v63
	s_waitcnt vmcnt(0)
	v_fma_f32 v61, v61, v64, -v65
	v_fmac_f32_e32 v63, v62, v64
	v_add_f32_e32 v60, v60, v61
	v_add_f32_e32 v54, v54, v63
	s_andn2_b32 exec_lo, exec_lo, s5
	s_cbranch_execnz .LBB25_25
; %bb.26:
	s_or_b32 exec_lo, exec_lo, s5
	v_mov_b32_e32 v57, 0
	ds_read_b64 v[57:58], v57 offset:24
	s_waitcnt lgkmcnt(0)
	v_mul_f32_e32 v59, v54, v58
	v_mul_f32_e32 v58, v60, v58
	v_fma_f32 v59, v60, v57, -v59
	v_fmac_f32_e32 v58, v54, v57
	buffer_store_dword v59, off, s[0:3], 0 offset:24
	buffer_store_dword v58, off, s[0:3], 0 offset:28
.LBB25_27:
	s_or_b32 exec_lo, exec_lo, s4
	s_waitcnt_vscnt null, 0x0
	s_barrier
	buffer_gl0_inv
	s_clause 0x1
	buffer_load_dword v57, off, s[0:3], 0 offset:32
	buffer_load_dword v58, off, s[0:3], 0 offset:36
	s_mov_b32 s4, exec_lo
	s_waitcnt vmcnt(0)
	ds_write_b64 v56, v[57:58]
	s_waitcnt lgkmcnt(0)
	s_barrier
	buffer_gl0_inv
	v_cmpx_gt_u32_e32 4, v0
	s_cbranch_execz .LBB25_31
; %bb.28:
	v_add_nc_u32_e32 v57, -1, v0
	v_add_nc_u32_e32 v58, 0xd0, v55
	v_mov_b32_e32 v59, v55
	v_mov_b32_e32 v54, 0
	;; [unrolled: 1-line block ×3, first 2 shown]
	s_mov_b32 s5, 0
	.p2align	6
.LBB25_29:                              ; =>This Inner Loop Header: Depth=1
	s_clause 0x1
	buffer_load_dword v63, v59, s[0:3], 0 offen offset:4
	buffer_load_dword v64, v59, s[0:3], 0 offen
	ds_read_b64 v[61:62], v58
	v_add_nc_u32_e32 v57, 1, v57
	v_add_nc_u32_e32 v58, 8, v58
	;; [unrolled: 1-line block ×3, first 2 shown]
	v_cmp_lt_u32_e32 vcc_lo, 2, v57
	s_or_b32 s5, vcc_lo, s5
	s_waitcnt vmcnt(1) lgkmcnt(0)
	v_mul_f32_e32 v65, v62, v63
	v_mul_f32_e32 v63, v61, v63
	s_waitcnt vmcnt(0)
	v_fma_f32 v61, v61, v64, -v65
	v_fmac_f32_e32 v63, v62, v64
	v_add_f32_e32 v60, v60, v61
	v_add_f32_e32 v54, v54, v63
	s_andn2_b32 exec_lo, exec_lo, s5
	s_cbranch_execnz .LBB25_29
; %bb.30:
	s_or_b32 exec_lo, exec_lo, s5
	v_mov_b32_e32 v57, 0
	ds_read_b64 v[57:58], v57 offset:32
	s_waitcnt lgkmcnt(0)
	v_mul_f32_e32 v59, v54, v58
	v_mul_f32_e32 v58, v60, v58
	v_fma_f32 v59, v60, v57, -v59
	v_fmac_f32_e32 v58, v54, v57
	buffer_store_dword v59, off, s[0:3], 0 offset:32
	buffer_store_dword v58, off, s[0:3], 0 offset:36
.LBB25_31:
	s_or_b32 exec_lo, exec_lo, s4
	s_waitcnt_vscnt null, 0x0
	s_barrier
	buffer_gl0_inv
	s_clause 0x1
	buffer_load_dword v57, off, s[0:3], 0 offset:40
	buffer_load_dword v58, off, s[0:3], 0 offset:44
	s_mov_b32 s4, exec_lo
	s_waitcnt vmcnt(0)
	ds_write_b64 v56, v[57:58]
	s_waitcnt lgkmcnt(0)
	s_barrier
	buffer_gl0_inv
	v_cmpx_gt_u32_e32 5, v0
	s_cbranch_execz .LBB25_35
; %bb.32:
	v_add_nc_u32_e32 v57, -1, v0
	v_add_nc_u32_e32 v58, 0xd0, v55
	v_mov_b32_e32 v59, v55
	v_mov_b32_e32 v54, 0
	;; [unrolled: 1-line block ×3, first 2 shown]
	s_mov_b32 s5, 0
	.p2align	6
.LBB25_33:                              ; =>This Inner Loop Header: Depth=1
	s_clause 0x1
	buffer_load_dword v63, v59, s[0:3], 0 offen offset:4
	buffer_load_dword v64, v59, s[0:3], 0 offen
	ds_read_b64 v[61:62], v58
	v_add_nc_u32_e32 v57, 1, v57
	v_add_nc_u32_e32 v58, 8, v58
	v_add_nc_u32_e32 v59, 8, v59
	v_cmp_lt_u32_e32 vcc_lo, 3, v57
	s_or_b32 s5, vcc_lo, s5
	s_waitcnt vmcnt(1) lgkmcnt(0)
	v_mul_f32_e32 v65, v62, v63
	v_mul_f32_e32 v63, v61, v63
	s_waitcnt vmcnt(0)
	v_fma_f32 v61, v61, v64, -v65
	v_fmac_f32_e32 v63, v62, v64
	v_add_f32_e32 v60, v60, v61
	v_add_f32_e32 v54, v54, v63
	s_andn2_b32 exec_lo, exec_lo, s5
	s_cbranch_execnz .LBB25_33
; %bb.34:
	s_or_b32 exec_lo, exec_lo, s5
	v_mov_b32_e32 v57, 0
	ds_read_b64 v[57:58], v57 offset:40
	s_waitcnt lgkmcnt(0)
	v_mul_f32_e32 v59, v54, v58
	v_mul_f32_e32 v58, v60, v58
	v_fma_f32 v59, v60, v57, -v59
	v_fmac_f32_e32 v58, v54, v57
	buffer_store_dword v59, off, s[0:3], 0 offset:40
	buffer_store_dword v58, off, s[0:3], 0 offset:44
.LBB25_35:
	s_or_b32 exec_lo, exec_lo, s4
	s_waitcnt_vscnt null, 0x0
	s_barrier
	buffer_gl0_inv
	s_clause 0x1
	buffer_load_dword v57, off, s[0:3], 0 offset:48
	buffer_load_dword v58, off, s[0:3], 0 offset:52
	s_mov_b32 s4, exec_lo
	s_waitcnt vmcnt(0)
	ds_write_b64 v56, v[57:58]
	s_waitcnt lgkmcnt(0)
	s_barrier
	buffer_gl0_inv
	v_cmpx_gt_u32_e32 6, v0
	s_cbranch_execz .LBB25_39
; %bb.36:
	v_add_nc_u32_e32 v57, -1, v0
	v_add_nc_u32_e32 v58, 0xd0, v55
	v_mov_b32_e32 v59, v55
	v_mov_b32_e32 v54, 0
	;; [unrolled: 1-line block ×3, first 2 shown]
	s_mov_b32 s5, 0
	.p2align	6
.LBB25_37:                              ; =>This Inner Loop Header: Depth=1
	s_clause 0x1
	buffer_load_dword v63, v59, s[0:3], 0 offen offset:4
	buffer_load_dword v64, v59, s[0:3], 0 offen
	ds_read_b64 v[61:62], v58
	v_add_nc_u32_e32 v57, 1, v57
	v_add_nc_u32_e32 v58, 8, v58
	;; [unrolled: 1-line block ×3, first 2 shown]
	v_cmp_lt_u32_e32 vcc_lo, 4, v57
	s_or_b32 s5, vcc_lo, s5
	s_waitcnt vmcnt(1) lgkmcnt(0)
	v_mul_f32_e32 v65, v62, v63
	v_mul_f32_e32 v63, v61, v63
	s_waitcnt vmcnt(0)
	v_fma_f32 v61, v61, v64, -v65
	v_fmac_f32_e32 v63, v62, v64
	v_add_f32_e32 v60, v60, v61
	v_add_f32_e32 v54, v54, v63
	s_andn2_b32 exec_lo, exec_lo, s5
	s_cbranch_execnz .LBB25_37
; %bb.38:
	s_or_b32 exec_lo, exec_lo, s5
	v_mov_b32_e32 v57, 0
	ds_read_b64 v[57:58], v57 offset:48
	s_waitcnt lgkmcnt(0)
	v_mul_f32_e32 v59, v54, v58
	v_mul_f32_e32 v58, v60, v58
	v_fma_f32 v59, v60, v57, -v59
	v_fmac_f32_e32 v58, v54, v57
	buffer_store_dword v59, off, s[0:3], 0 offset:48
	buffer_store_dword v58, off, s[0:3], 0 offset:52
.LBB25_39:
	s_or_b32 exec_lo, exec_lo, s4
	s_waitcnt_vscnt null, 0x0
	s_barrier
	buffer_gl0_inv
	s_clause 0x1
	buffer_load_dword v57, off, s[0:3], 0 offset:56
	buffer_load_dword v58, off, s[0:3], 0 offset:60
	s_mov_b32 s4, exec_lo
	s_waitcnt vmcnt(0)
	ds_write_b64 v56, v[57:58]
	s_waitcnt lgkmcnt(0)
	s_barrier
	buffer_gl0_inv
	v_cmpx_gt_u32_e32 7, v0
	s_cbranch_execz .LBB25_43
; %bb.40:
	v_add_nc_u32_e32 v57, -1, v0
	v_add_nc_u32_e32 v58, 0xd0, v55
	v_mov_b32_e32 v59, v55
	v_mov_b32_e32 v54, 0
	;; [unrolled: 1-line block ×3, first 2 shown]
	s_mov_b32 s5, 0
	.p2align	6
.LBB25_41:                              ; =>This Inner Loop Header: Depth=1
	s_clause 0x1
	buffer_load_dword v63, v59, s[0:3], 0 offen offset:4
	buffer_load_dword v64, v59, s[0:3], 0 offen
	ds_read_b64 v[61:62], v58
	v_add_nc_u32_e32 v57, 1, v57
	v_add_nc_u32_e32 v58, 8, v58
	;; [unrolled: 1-line block ×3, first 2 shown]
	v_cmp_lt_u32_e32 vcc_lo, 5, v57
	s_or_b32 s5, vcc_lo, s5
	s_waitcnt vmcnt(1) lgkmcnt(0)
	v_mul_f32_e32 v65, v62, v63
	v_mul_f32_e32 v63, v61, v63
	s_waitcnt vmcnt(0)
	v_fma_f32 v61, v61, v64, -v65
	v_fmac_f32_e32 v63, v62, v64
	v_add_f32_e32 v60, v60, v61
	v_add_f32_e32 v54, v54, v63
	s_andn2_b32 exec_lo, exec_lo, s5
	s_cbranch_execnz .LBB25_41
; %bb.42:
	s_or_b32 exec_lo, exec_lo, s5
	v_mov_b32_e32 v57, 0
	ds_read_b64 v[57:58], v57 offset:56
	s_waitcnt lgkmcnt(0)
	v_mul_f32_e32 v59, v54, v58
	v_mul_f32_e32 v58, v60, v58
	v_fma_f32 v59, v60, v57, -v59
	v_fmac_f32_e32 v58, v54, v57
	buffer_store_dword v59, off, s[0:3], 0 offset:56
	buffer_store_dword v58, off, s[0:3], 0 offset:60
.LBB25_43:
	s_or_b32 exec_lo, exec_lo, s4
	s_waitcnt_vscnt null, 0x0
	s_barrier
	buffer_gl0_inv
	s_clause 0x1
	buffer_load_dword v57, off, s[0:3], 0 offset:64
	buffer_load_dword v58, off, s[0:3], 0 offset:68
	s_mov_b32 s4, exec_lo
	s_waitcnt vmcnt(0)
	ds_write_b64 v56, v[57:58]
	s_waitcnt lgkmcnt(0)
	s_barrier
	buffer_gl0_inv
	v_cmpx_gt_u32_e32 8, v0
	s_cbranch_execz .LBB25_47
; %bb.44:
	v_add_nc_u32_e32 v57, -1, v0
	v_add_nc_u32_e32 v58, 0xd0, v55
	v_mov_b32_e32 v59, v55
	v_mov_b32_e32 v54, 0
	;; [unrolled: 1-line block ×3, first 2 shown]
	s_mov_b32 s5, 0
	.p2align	6
.LBB25_45:                              ; =>This Inner Loop Header: Depth=1
	s_clause 0x1
	buffer_load_dword v63, v59, s[0:3], 0 offen offset:4
	buffer_load_dword v64, v59, s[0:3], 0 offen
	ds_read_b64 v[61:62], v58
	v_add_nc_u32_e32 v57, 1, v57
	v_add_nc_u32_e32 v58, 8, v58
	;; [unrolled: 1-line block ×3, first 2 shown]
	v_cmp_lt_u32_e32 vcc_lo, 6, v57
	s_or_b32 s5, vcc_lo, s5
	s_waitcnt vmcnt(1) lgkmcnt(0)
	v_mul_f32_e32 v65, v62, v63
	v_mul_f32_e32 v63, v61, v63
	s_waitcnt vmcnt(0)
	v_fma_f32 v61, v61, v64, -v65
	v_fmac_f32_e32 v63, v62, v64
	v_add_f32_e32 v60, v60, v61
	v_add_f32_e32 v54, v54, v63
	s_andn2_b32 exec_lo, exec_lo, s5
	s_cbranch_execnz .LBB25_45
; %bb.46:
	s_or_b32 exec_lo, exec_lo, s5
	v_mov_b32_e32 v57, 0
	ds_read_b64 v[57:58], v57 offset:64
	s_waitcnt lgkmcnt(0)
	v_mul_f32_e32 v59, v54, v58
	v_mul_f32_e32 v58, v60, v58
	v_fma_f32 v59, v60, v57, -v59
	v_fmac_f32_e32 v58, v54, v57
	buffer_store_dword v59, off, s[0:3], 0 offset:64
	buffer_store_dword v58, off, s[0:3], 0 offset:68
.LBB25_47:
	s_or_b32 exec_lo, exec_lo, s4
	s_waitcnt_vscnt null, 0x0
	s_barrier
	buffer_gl0_inv
	s_clause 0x1
	buffer_load_dword v57, off, s[0:3], 0 offset:72
	buffer_load_dword v58, off, s[0:3], 0 offset:76
	s_mov_b32 s4, exec_lo
	s_waitcnt vmcnt(0)
	ds_write_b64 v56, v[57:58]
	s_waitcnt lgkmcnt(0)
	s_barrier
	buffer_gl0_inv
	v_cmpx_gt_u32_e32 9, v0
	s_cbranch_execz .LBB25_51
; %bb.48:
	v_add_nc_u32_e32 v57, -1, v0
	v_add_nc_u32_e32 v58, 0xd0, v55
	v_mov_b32_e32 v59, v55
	v_mov_b32_e32 v54, 0
	;; [unrolled: 1-line block ×3, first 2 shown]
	s_mov_b32 s5, 0
	.p2align	6
.LBB25_49:                              ; =>This Inner Loop Header: Depth=1
	s_clause 0x1
	buffer_load_dword v63, v59, s[0:3], 0 offen offset:4
	buffer_load_dword v64, v59, s[0:3], 0 offen
	ds_read_b64 v[61:62], v58
	v_add_nc_u32_e32 v57, 1, v57
	v_add_nc_u32_e32 v58, 8, v58
	;; [unrolled: 1-line block ×3, first 2 shown]
	v_cmp_lt_u32_e32 vcc_lo, 7, v57
	s_or_b32 s5, vcc_lo, s5
	s_waitcnt vmcnt(1) lgkmcnt(0)
	v_mul_f32_e32 v65, v62, v63
	v_mul_f32_e32 v63, v61, v63
	s_waitcnt vmcnt(0)
	v_fma_f32 v61, v61, v64, -v65
	v_fmac_f32_e32 v63, v62, v64
	v_add_f32_e32 v60, v60, v61
	v_add_f32_e32 v54, v54, v63
	s_andn2_b32 exec_lo, exec_lo, s5
	s_cbranch_execnz .LBB25_49
; %bb.50:
	s_or_b32 exec_lo, exec_lo, s5
	v_mov_b32_e32 v57, 0
	ds_read_b64 v[57:58], v57 offset:72
	s_waitcnt lgkmcnt(0)
	v_mul_f32_e32 v59, v54, v58
	v_mul_f32_e32 v58, v60, v58
	v_fma_f32 v59, v60, v57, -v59
	v_fmac_f32_e32 v58, v54, v57
	buffer_store_dword v59, off, s[0:3], 0 offset:72
	buffer_store_dword v58, off, s[0:3], 0 offset:76
.LBB25_51:
	s_or_b32 exec_lo, exec_lo, s4
	s_waitcnt_vscnt null, 0x0
	s_barrier
	buffer_gl0_inv
	s_clause 0x1
	buffer_load_dword v57, off, s[0:3], 0 offset:80
	buffer_load_dword v58, off, s[0:3], 0 offset:84
	s_mov_b32 s4, exec_lo
	s_waitcnt vmcnt(0)
	ds_write_b64 v56, v[57:58]
	s_waitcnt lgkmcnt(0)
	s_barrier
	buffer_gl0_inv
	v_cmpx_gt_u32_e32 10, v0
	s_cbranch_execz .LBB25_55
; %bb.52:
	v_add_nc_u32_e32 v57, -1, v0
	v_add_nc_u32_e32 v58, 0xd0, v55
	v_mov_b32_e32 v59, v55
	v_mov_b32_e32 v54, 0
	;; [unrolled: 1-line block ×3, first 2 shown]
	s_mov_b32 s5, 0
	.p2align	6
.LBB25_53:                              ; =>This Inner Loop Header: Depth=1
	s_clause 0x1
	buffer_load_dword v63, v59, s[0:3], 0 offen offset:4
	buffer_load_dword v64, v59, s[0:3], 0 offen
	ds_read_b64 v[61:62], v58
	v_add_nc_u32_e32 v57, 1, v57
	v_add_nc_u32_e32 v58, 8, v58
	;; [unrolled: 1-line block ×3, first 2 shown]
	v_cmp_lt_u32_e32 vcc_lo, 8, v57
	s_or_b32 s5, vcc_lo, s5
	s_waitcnt vmcnt(1) lgkmcnt(0)
	v_mul_f32_e32 v65, v62, v63
	v_mul_f32_e32 v63, v61, v63
	s_waitcnt vmcnt(0)
	v_fma_f32 v61, v61, v64, -v65
	v_fmac_f32_e32 v63, v62, v64
	v_add_f32_e32 v60, v60, v61
	v_add_f32_e32 v54, v54, v63
	s_andn2_b32 exec_lo, exec_lo, s5
	s_cbranch_execnz .LBB25_53
; %bb.54:
	s_or_b32 exec_lo, exec_lo, s5
	v_mov_b32_e32 v57, 0
	ds_read_b64 v[57:58], v57 offset:80
	s_waitcnt lgkmcnt(0)
	v_mul_f32_e32 v59, v54, v58
	v_mul_f32_e32 v58, v60, v58
	v_fma_f32 v59, v60, v57, -v59
	v_fmac_f32_e32 v58, v54, v57
	buffer_store_dword v59, off, s[0:3], 0 offset:80
	buffer_store_dword v58, off, s[0:3], 0 offset:84
.LBB25_55:
	s_or_b32 exec_lo, exec_lo, s4
	s_waitcnt_vscnt null, 0x0
	s_barrier
	buffer_gl0_inv
	s_clause 0x1
	buffer_load_dword v57, off, s[0:3], 0 offset:88
	buffer_load_dword v58, off, s[0:3], 0 offset:92
	s_mov_b32 s4, exec_lo
	s_waitcnt vmcnt(0)
	ds_write_b64 v56, v[57:58]
	s_waitcnt lgkmcnt(0)
	s_barrier
	buffer_gl0_inv
	v_cmpx_gt_u32_e32 11, v0
	s_cbranch_execz .LBB25_59
; %bb.56:
	v_add_nc_u32_e32 v57, -1, v0
	v_add_nc_u32_e32 v58, 0xd0, v55
	v_mov_b32_e32 v59, v55
	v_mov_b32_e32 v54, 0
	;; [unrolled: 1-line block ×3, first 2 shown]
	s_mov_b32 s5, 0
	.p2align	6
.LBB25_57:                              ; =>This Inner Loop Header: Depth=1
	s_clause 0x1
	buffer_load_dword v63, v59, s[0:3], 0 offen offset:4
	buffer_load_dword v64, v59, s[0:3], 0 offen
	ds_read_b64 v[61:62], v58
	v_add_nc_u32_e32 v57, 1, v57
	v_add_nc_u32_e32 v58, 8, v58
	;; [unrolled: 1-line block ×3, first 2 shown]
	v_cmp_lt_u32_e32 vcc_lo, 9, v57
	s_or_b32 s5, vcc_lo, s5
	s_waitcnt vmcnt(1) lgkmcnt(0)
	v_mul_f32_e32 v65, v62, v63
	v_mul_f32_e32 v63, v61, v63
	s_waitcnt vmcnt(0)
	v_fma_f32 v61, v61, v64, -v65
	v_fmac_f32_e32 v63, v62, v64
	v_add_f32_e32 v60, v60, v61
	v_add_f32_e32 v54, v54, v63
	s_andn2_b32 exec_lo, exec_lo, s5
	s_cbranch_execnz .LBB25_57
; %bb.58:
	s_or_b32 exec_lo, exec_lo, s5
	v_mov_b32_e32 v57, 0
	ds_read_b64 v[57:58], v57 offset:88
	s_waitcnt lgkmcnt(0)
	v_mul_f32_e32 v59, v54, v58
	v_mul_f32_e32 v58, v60, v58
	v_fma_f32 v59, v60, v57, -v59
	v_fmac_f32_e32 v58, v54, v57
	buffer_store_dword v59, off, s[0:3], 0 offset:88
	buffer_store_dword v58, off, s[0:3], 0 offset:92
.LBB25_59:
	s_or_b32 exec_lo, exec_lo, s4
	s_waitcnt_vscnt null, 0x0
	s_barrier
	buffer_gl0_inv
	s_clause 0x1
	buffer_load_dword v57, off, s[0:3], 0 offset:96
	buffer_load_dword v58, off, s[0:3], 0 offset:100
	s_mov_b32 s4, exec_lo
	s_waitcnt vmcnt(0)
	ds_write_b64 v56, v[57:58]
	s_waitcnt lgkmcnt(0)
	s_barrier
	buffer_gl0_inv
	v_cmpx_gt_u32_e32 12, v0
	s_cbranch_execz .LBB25_63
; %bb.60:
	v_add_nc_u32_e32 v57, -1, v0
	v_add_nc_u32_e32 v58, 0xd0, v55
	v_mov_b32_e32 v59, v55
	v_mov_b32_e32 v54, 0
	;; [unrolled: 1-line block ×3, first 2 shown]
	s_mov_b32 s5, 0
	.p2align	6
.LBB25_61:                              ; =>This Inner Loop Header: Depth=1
	s_clause 0x1
	buffer_load_dword v63, v59, s[0:3], 0 offen offset:4
	buffer_load_dword v64, v59, s[0:3], 0 offen
	ds_read_b64 v[61:62], v58
	v_add_nc_u32_e32 v57, 1, v57
	v_add_nc_u32_e32 v58, 8, v58
	;; [unrolled: 1-line block ×3, first 2 shown]
	v_cmp_lt_u32_e32 vcc_lo, 10, v57
	s_or_b32 s5, vcc_lo, s5
	s_waitcnt vmcnt(1) lgkmcnt(0)
	v_mul_f32_e32 v65, v62, v63
	v_mul_f32_e32 v63, v61, v63
	s_waitcnt vmcnt(0)
	v_fma_f32 v61, v61, v64, -v65
	v_fmac_f32_e32 v63, v62, v64
	v_add_f32_e32 v60, v60, v61
	v_add_f32_e32 v54, v54, v63
	s_andn2_b32 exec_lo, exec_lo, s5
	s_cbranch_execnz .LBB25_61
; %bb.62:
	s_or_b32 exec_lo, exec_lo, s5
	v_mov_b32_e32 v57, 0
	ds_read_b64 v[57:58], v57 offset:96
	s_waitcnt lgkmcnt(0)
	v_mul_f32_e32 v59, v54, v58
	v_mul_f32_e32 v58, v60, v58
	v_fma_f32 v59, v60, v57, -v59
	v_fmac_f32_e32 v58, v54, v57
	buffer_store_dword v59, off, s[0:3], 0 offset:96
	buffer_store_dword v58, off, s[0:3], 0 offset:100
.LBB25_63:
	s_or_b32 exec_lo, exec_lo, s4
	s_waitcnt_vscnt null, 0x0
	s_barrier
	buffer_gl0_inv
	s_clause 0x1
	buffer_load_dword v57, off, s[0:3], 0 offset:104
	buffer_load_dword v58, off, s[0:3], 0 offset:108
	s_mov_b32 s4, exec_lo
	s_waitcnt vmcnt(0)
	ds_write_b64 v56, v[57:58]
	s_waitcnt lgkmcnt(0)
	s_barrier
	buffer_gl0_inv
	v_cmpx_gt_u32_e32 13, v0
	s_cbranch_execz .LBB25_67
; %bb.64:
	v_add_nc_u32_e32 v57, -1, v0
	v_add_nc_u32_e32 v58, 0xd0, v55
	v_mov_b32_e32 v59, v55
	v_mov_b32_e32 v54, 0
	;; [unrolled: 1-line block ×3, first 2 shown]
	s_mov_b32 s5, 0
	.p2align	6
.LBB25_65:                              ; =>This Inner Loop Header: Depth=1
	s_clause 0x1
	buffer_load_dword v63, v59, s[0:3], 0 offen offset:4
	buffer_load_dword v64, v59, s[0:3], 0 offen
	ds_read_b64 v[61:62], v58
	v_add_nc_u32_e32 v57, 1, v57
	v_add_nc_u32_e32 v58, 8, v58
	;; [unrolled: 1-line block ×3, first 2 shown]
	v_cmp_lt_u32_e32 vcc_lo, 11, v57
	s_or_b32 s5, vcc_lo, s5
	s_waitcnt vmcnt(1) lgkmcnt(0)
	v_mul_f32_e32 v65, v62, v63
	v_mul_f32_e32 v63, v61, v63
	s_waitcnt vmcnt(0)
	v_fma_f32 v61, v61, v64, -v65
	v_fmac_f32_e32 v63, v62, v64
	v_add_f32_e32 v60, v60, v61
	v_add_f32_e32 v54, v54, v63
	s_andn2_b32 exec_lo, exec_lo, s5
	s_cbranch_execnz .LBB25_65
; %bb.66:
	s_or_b32 exec_lo, exec_lo, s5
	v_mov_b32_e32 v57, 0
	ds_read_b64 v[57:58], v57 offset:104
	s_waitcnt lgkmcnt(0)
	v_mul_f32_e32 v59, v54, v58
	v_mul_f32_e32 v58, v60, v58
	v_fma_f32 v59, v60, v57, -v59
	v_fmac_f32_e32 v58, v54, v57
	buffer_store_dword v59, off, s[0:3], 0 offset:104
	buffer_store_dword v58, off, s[0:3], 0 offset:108
.LBB25_67:
	s_or_b32 exec_lo, exec_lo, s4
	s_waitcnt_vscnt null, 0x0
	s_barrier
	buffer_gl0_inv
	s_clause 0x1
	buffer_load_dword v57, off, s[0:3], 0 offset:112
	buffer_load_dword v58, off, s[0:3], 0 offset:116
	s_mov_b32 s4, exec_lo
	s_waitcnt vmcnt(0)
	ds_write_b64 v56, v[57:58]
	s_waitcnt lgkmcnt(0)
	s_barrier
	buffer_gl0_inv
	v_cmpx_gt_u32_e32 14, v0
	s_cbranch_execz .LBB25_71
; %bb.68:
	v_add_nc_u32_e32 v57, -1, v0
	v_add_nc_u32_e32 v58, 0xd0, v55
	v_mov_b32_e32 v59, v55
	v_mov_b32_e32 v54, 0
	;; [unrolled: 1-line block ×3, first 2 shown]
	s_mov_b32 s5, 0
	.p2align	6
.LBB25_69:                              ; =>This Inner Loop Header: Depth=1
	s_clause 0x1
	buffer_load_dword v63, v59, s[0:3], 0 offen offset:4
	buffer_load_dword v64, v59, s[0:3], 0 offen
	ds_read_b64 v[61:62], v58
	v_add_nc_u32_e32 v57, 1, v57
	v_add_nc_u32_e32 v58, 8, v58
	;; [unrolled: 1-line block ×3, first 2 shown]
	v_cmp_lt_u32_e32 vcc_lo, 12, v57
	s_or_b32 s5, vcc_lo, s5
	s_waitcnt vmcnt(1) lgkmcnt(0)
	v_mul_f32_e32 v65, v62, v63
	v_mul_f32_e32 v63, v61, v63
	s_waitcnt vmcnt(0)
	v_fma_f32 v61, v61, v64, -v65
	v_fmac_f32_e32 v63, v62, v64
	v_add_f32_e32 v60, v60, v61
	v_add_f32_e32 v54, v54, v63
	s_andn2_b32 exec_lo, exec_lo, s5
	s_cbranch_execnz .LBB25_69
; %bb.70:
	s_or_b32 exec_lo, exec_lo, s5
	v_mov_b32_e32 v57, 0
	ds_read_b64 v[57:58], v57 offset:112
	s_waitcnt lgkmcnt(0)
	v_mul_f32_e32 v59, v54, v58
	v_mul_f32_e32 v58, v60, v58
	v_fma_f32 v59, v60, v57, -v59
	v_fmac_f32_e32 v58, v54, v57
	buffer_store_dword v59, off, s[0:3], 0 offset:112
	buffer_store_dword v58, off, s[0:3], 0 offset:116
.LBB25_71:
	s_or_b32 exec_lo, exec_lo, s4
	s_waitcnt_vscnt null, 0x0
	s_barrier
	buffer_gl0_inv
	s_clause 0x1
	buffer_load_dword v57, off, s[0:3], 0 offset:120
	buffer_load_dword v58, off, s[0:3], 0 offset:124
	s_mov_b32 s4, exec_lo
	s_waitcnt vmcnt(0)
	ds_write_b64 v56, v[57:58]
	s_waitcnt lgkmcnt(0)
	s_barrier
	buffer_gl0_inv
	v_cmpx_gt_u32_e32 15, v0
	s_cbranch_execz .LBB25_75
; %bb.72:
	v_add_nc_u32_e32 v57, -1, v0
	v_add_nc_u32_e32 v58, 0xd0, v55
	v_mov_b32_e32 v59, v55
	v_mov_b32_e32 v54, 0
	;; [unrolled: 1-line block ×3, first 2 shown]
	s_mov_b32 s5, 0
	.p2align	6
.LBB25_73:                              ; =>This Inner Loop Header: Depth=1
	s_clause 0x1
	buffer_load_dword v63, v59, s[0:3], 0 offen offset:4
	buffer_load_dword v64, v59, s[0:3], 0 offen
	ds_read_b64 v[61:62], v58
	v_add_nc_u32_e32 v57, 1, v57
	v_add_nc_u32_e32 v58, 8, v58
	;; [unrolled: 1-line block ×3, first 2 shown]
	v_cmp_lt_u32_e32 vcc_lo, 13, v57
	s_or_b32 s5, vcc_lo, s5
	s_waitcnt vmcnt(1) lgkmcnt(0)
	v_mul_f32_e32 v65, v62, v63
	v_mul_f32_e32 v63, v61, v63
	s_waitcnt vmcnt(0)
	v_fma_f32 v61, v61, v64, -v65
	v_fmac_f32_e32 v63, v62, v64
	v_add_f32_e32 v60, v60, v61
	v_add_f32_e32 v54, v54, v63
	s_andn2_b32 exec_lo, exec_lo, s5
	s_cbranch_execnz .LBB25_73
; %bb.74:
	s_or_b32 exec_lo, exec_lo, s5
	v_mov_b32_e32 v57, 0
	ds_read_b64 v[57:58], v57 offset:120
	s_waitcnt lgkmcnt(0)
	v_mul_f32_e32 v59, v54, v58
	v_mul_f32_e32 v58, v60, v58
	v_fma_f32 v59, v60, v57, -v59
	v_fmac_f32_e32 v58, v54, v57
	buffer_store_dword v59, off, s[0:3], 0 offset:120
	buffer_store_dword v58, off, s[0:3], 0 offset:124
.LBB25_75:
	s_or_b32 exec_lo, exec_lo, s4
	s_waitcnt_vscnt null, 0x0
	s_barrier
	buffer_gl0_inv
	s_clause 0x1
	buffer_load_dword v57, off, s[0:3], 0 offset:128
	buffer_load_dword v58, off, s[0:3], 0 offset:132
	s_mov_b32 s4, exec_lo
	s_waitcnt vmcnt(0)
	ds_write_b64 v56, v[57:58]
	s_waitcnt lgkmcnt(0)
	s_barrier
	buffer_gl0_inv
	v_cmpx_gt_u32_e32 16, v0
	s_cbranch_execz .LBB25_79
; %bb.76:
	v_add_nc_u32_e32 v57, -1, v0
	v_add_nc_u32_e32 v58, 0xd0, v55
	v_mov_b32_e32 v59, v55
	v_mov_b32_e32 v54, 0
	v_mov_b32_e32 v60, 0
	s_mov_b32 s5, 0
	.p2align	6
.LBB25_77:                              ; =>This Inner Loop Header: Depth=1
	s_clause 0x1
	buffer_load_dword v63, v59, s[0:3], 0 offen offset:4
	buffer_load_dword v64, v59, s[0:3], 0 offen
	ds_read_b64 v[61:62], v58
	v_add_nc_u32_e32 v57, 1, v57
	v_add_nc_u32_e32 v58, 8, v58
	;; [unrolled: 1-line block ×3, first 2 shown]
	v_cmp_lt_u32_e32 vcc_lo, 14, v57
	s_or_b32 s5, vcc_lo, s5
	s_waitcnt vmcnt(1) lgkmcnt(0)
	v_mul_f32_e32 v65, v62, v63
	v_mul_f32_e32 v63, v61, v63
	s_waitcnt vmcnt(0)
	v_fma_f32 v61, v61, v64, -v65
	v_fmac_f32_e32 v63, v62, v64
	v_add_f32_e32 v60, v60, v61
	v_add_f32_e32 v54, v54, v63
	s_andn2_b32 exec_lo, exec_lo, s5
	s_cbranch_execnz .LBB25_77
; %bb.78:
	s_or_b32 exec_lo, exec_lo, s5
	v_mov_b32_e32 v57, 0
	ds_read_b64 v[57:58], v57 offset:128
	s_waitcnt lgkmcnt(0)
	v_mul_f32_e32 v59, v54, v58
	v_mul_f32_e32 v58, v60, v58
	v_fma_f32 v59, v60, v57, -v59
	v_fmac_f32_e32 v58, v54, v57
	buffer_store_dword v59, off, s[0:3], 0 offset:128
	buffer_store_dword v58, off, s[0:3], 0 offset:132
.LBB25_79:
	s_or_b32 exec_lo, exec_lo, s4
	s_waitcnt_vscnt null, 0x0
	s_barrier
	buffer_gl0_inv
	s_clause 0x1
	buffer_load_dword v57, off, s[0:3], 0 offset:136
	buffer_load_dword v58, off, s[0:3], 0 offset:140
	s_mov_b32 s4, exec_lo
	s_waitcnt vmcnt(0)
	ds_write_b64 v56, v[57:58]
	s_waitcnt lgkmcnt(0)
	s_barrier
	buffer_gl0_inv
	v_cmpx_gt_u32_e32 17, v0
	s_cbranch_execz .LBB25_83
; %bb.80:
	v_add_nc_u32_e32 v57, -1, v0
	v_add_nc_u32_e32 v58, 0xd0, v55
	v_mov_b32_e32 v59, v55
	v_mov_b32_e32 v54, 0
	;; [unrolled: 1-line block ×3, first 2 shown]
	s_mov_b32 s5, 0
	.p2align	6
.LBB25_81:                              ; =>This Inner Loop Header: Depth=1
	s_clause 0x1
	buffer_load_dword v63, v59, s[0:3], 0 offen offset:4
	buffer_load_dword v64, v59, s[0:3], 0 offen
	ds_read_b64 v[61:62], v58
	v_add_nc_u32_e32 v57, 1, v57
	v_add_nc_u32_e32 v58, 8, v58
	;; [unrolled: 1-line block ×3, first 2 shown]
	v_cmp_lt_u32_e32 vcc_lo, 15, v57
	s_or_b32 s5, vcc_lo, s5
	s_waitcnt vmcnt(1) lgkmcnt(0)
	v_mul_f32_e32 v65, v62, v63
	v_mul_f32_e32 v63, v61, v63
	s_waitcnt vmcnt(0)
	v_fma_f32 v61, v61, v64, -v65
	v_fmac_f32_e32 v63, v62, v64
	v_add_f32_e32 v60, v60, v61
	v_add_f32_e32 v54, v54, v63
	s_andn2_b32 exec_lo, exec_lo, s5
	s_cbranch_execnz .LBB25_81
; %bb.82:
	s_or_b32 exec_lo, exec_lo, s5
	v_mov_b32_e32 v57, 0
	ds_read_b64 v[57:58], v57 offset:136
	s_waitcnt lgkmcnt(0)
	v_mul_f32_e32 v59, v54, v58
	v_mul_f32_e32 v58, v60, v58
	v_fma_f32 v59, v60, v57, -v59
	v_fmac_f32_e32 v58, v54, v57
	buffer_store_dword v59, off, s[0:3], 0 offset:136
	buffer_store_dword v58, off, s[0:3], 0 offset:140
.LBB25_83:
	s_or_b32 exec_lo, exec_lo, s4
	s_waitcnt_vscnt null, 0x0
	s_barrier
	buffer_gl0_inv
	s_clause 0x1
	buffer_load_dword v57, off, s[0:3], 0 offset:144
	buffer_load_dword v58, off, s[0:3], 0 offset:148
	s_mov_b32 s4, exec_lo
	s_waitcnt vmcnt(0)
	ds_write_b64 v56, v[57:58]
	s_waitcnt lgkmcnt(0)
	s_barrier
	buffer_gl0_inv
	v_cmpx_gt_u32_e32 18, v0
	s_cbranch_execz .LBB25_87
; %bb.84:
	v_add_nc_u32_e32 v57, -1, v0
	v_add_nc_u32_e32 v58, 0xd0, v55
	v_mov_b32_e32 v59, v55
	v_mov_b32_e32 v54, 0
	;; [unrolled: 1-line block ×3, first 2 shown]
	s_mov_b32 s5, 0
	.p2align	6
.LBB25_85:                              ; =>This Inner Loop Header: Depth=1
	s_clause 0x1
	buffer_load_dword v63, v59, s[0:3], 0 offen offset:4
	buffer_load_dword v64, v59, s[0:3], 0 offen
	ds_read_b64 v[61:62], v58
	v_add_nc_u32_e32 v57, 1, v57
	v_add_nc_u32_e32 v58, 8, v58
	v_add_nc_u32_e32 v59, 8, v59
	v_cmp_lt_u32_e32 vcc_lo, 16, v57
	s_or_b32 s5, vcc_lo, s5
	s_waitcnt vmcnt(1) lgkmcnt(0)
	v_mul_f32_e32 v65, v62, v63
	v_mul_f32_e32 v63, v61, v63
	s_waitcnt vmcnt(0)
	v_fma_f32 v61, v61, v64, -v65
	v_fmac_f32_e32 v63, v62, v64
	v_add_f32_e32 v60, v60, v61
	v_add_f32_e32 v54, v54, v63
	s_andn2_b32 exec_lo, exec_lo, s5
	s_cbranch_execnz .LBB25_85
; %bb.86:
	s_or_b32 exec_lo, exec_lo, s5
	v_mov_b32_e32 v57, 0
	ds_read_b64 v[57:58], v57 offset:144
	s_waitcnt lgkmcnt(0)
	v_mul_f32_e32 v59, v54, v58
	v_mul_f32_e32 v58, v60, v58
	v_fma_f32 v59, v60, v57, -v59
	v_fmac_f32_e32 v58, v54, v57
	buffer_store_dword v59, off, s[0:3], 0 offset:144
	buffer_store_dword v58, off, s[0:3], 0 offset:148
.LBB25_87:
	s_or_b32 exec_lo, exec_lo, s4
	s_waitcnt_vscnt null, 0x0
	s_barrier
	buffer_gl0_inv
	s_clause 0x1
	buffer_load_dword v57, off, s[0:3], 0 offset:152
	buffer_load_dword v58, off, s[0:3], 0 offset:156
	s_mov_b32 s4, exec_lo
	s_waitcnt vmcnt(0)
	ds_write_b64 v56, v[57:58]
	s_waitcnt lgkmcnt(0)
	s_barrier
	buffer_gl0_inv
	v_cmpx_gt_u32_e32 19, v0
	s_cbranch_execz .LBB25_91
; %bb.88:
	v_add_nc_u32_e32 v57, -1, v0
	v_add_nc_u32_e32 v58, 0xd0, v55
	v_mov_b32_e32 v59, v55
	v_mov_b32_e32 v54, 0
	;; [unrolled: 1-line block ×3, first 2 shown]
	s_mov_b32 s5, 0
	.p2align	6
.LBB25_89:                              ; =>This Inner Loop Header: Depth=1
	s_clause 0x1
	buffer_load_dword v63, v59, s[0:3], 0 offen offset:4
	buffer_load_dword v64, v59, s[0:3], 0 offen
	ds_read_b64 v[61:62], v58
	v_add_nc_u32_e32 v57, 1, v57
	v_add_nc_u32_e32 v58, 8, v58
	;; [unrolled: 1-line block ×3, first 2 shown]
	v_cmp_lt_u32_e32 vcc_lo, 17, v57
	s_or_b32 s5, vcc_lo, s5
	s_waitcnt vmcnt(1) lgkmcnt(0)
	v_mul_f32_e32 v65, v62, v63
	v_mul_f32_e32 v63, v61, v63
	s_waitcnt vmcnt(0)
	v_fma_f32 v61, v61, v64, -v65
	v_fmac_f32_e32 v63, v62, v64
	v_add_f32_e32 v60, v60, v61
	v_add_f32_e32 v54, v54, v63
	s_andn2_b32 exec_lo, exec_lo, s5
	s_cbranch_execnz .LBB25_89
; %bb.90:
	s_or_b32 exec_lo, exec_lo, s5
	v_mov_b32_e32 v57, 0
	ds_read_b64 v[57:58], v57 offset:152
	s_waitcnt lgkmcnt(0)
	v_mul_f32_e32 v59, v54, v58
	v_mul_f32_e32 v58, v60, v58
	v_fma_f32 v59, v60, v57, -v59
	v_fmac_f32_e32 v58, v54, v57
	buffer_store_dword v59, off, s[0:3], 0 offset:152
	buffer_store_dword v58, off, s[0:3], 0 offset:156
.LBB25_91:
	s_or_b32 exec_lo, exec_lo, s4
	s_waitcnt_vscnt null, 0x0
	s_barrier
	buffer_gl0_inv
	s_clause 0x1
	buffer_load_dword v57, off, s[0:3], 0 offset:160
	buffer_load_dword v58, off, s[0:3], 0 offset:164
	s_mov_b32 s4, exec_lo
	s_waitcnt vmcnt(0)
	ds_write_b64 v56, v[57:58]
	s_waitcnt lgkmcnt(0)
	s_barrier
	buffer_gl0_inv
	v_cmpx_gt_u32_e32 20, v0
	s_cbranch_execz .LBB25_95
; %bb.92:
	v_add_nc_u32_e32 v57, -1, v0
	v_add_nc_u32_e32 v58, 0xd0, v55
	v_mov_b32_e32 v59, v55
	v_mov_b32_e32 v54, 0
	;; [unrolled: 1-line block ×3, first 2 shown]
	s_mov_b32 s5, 0
	.p2align	6
.LBB25_93:                              ; =>This Inner Loop Header: Depth=1
	s_clause 0x1
	buffer_load_dword v63, v59, s[0:3], 0 offen offset:4
	buffer_load_dword v64, v59, s[0:3], 0 offen
	ds_read_b64 v[61:62], v58
	v_add_nc_u32_e32 v57, 1, v57
	v_add_nc_u32_e32 v58, 8, v58
	;; [unrolled: 1-line block ×3, first 2 shown]
	v_cmp_lt_u32_e32 vcc_lo, 18, v57
	s_or_b32 s5, vcc_lo, s5
	s_waitcnt vmcnt(1) lgkmcnt(0)
	v_mul_f32_e32 v65, v62, v63
	v_mul_f32_e32 v63, v61, v63
	s_waitcnt vmcnt(0)
	v_fma_f32 v61, v61, v64, -v65
	v_fmac_f32_e32 v63, v62, v64
	v_add_f32_e32 v60, v60, v61
	v_add_f32_e32 v54, v54, v63
	s_andn2_b32 exec_lo, exec_lo, s5
	s_cbranch_execnz .LBB25_93
; %bb.94:
	s_or_b32 exec_lo, exec_lo, s5
	v_mov_b32_e32 v57, 0
	ds_read_b64 v[57:58], v57 offset:160
	s_waitcnt lgkmcnt(0)
	v_mul_f32_e32 v59, v54, v58
	v_mul_f32_e32 v58, v60, v58
	v_fma_f32 v59, v60, v57, -v59
	v_fmac_f32_e32 v58, v54, v57
	buffer_store_dword v59, off, s[0:3], 0 offset:160
	buffer_store_dword v58, off, s[0:3], 0 offset:164
.LBB25_95:
	s_or_b32 exec_lo, exec_lo, s4
	s_waitcnt_vscnt null, 0x0
	s_barrier
	buffer_gl0_inv
	s_clause 0x1
	buffer_load_dword v57, off, s[0:3], 0 offset:168
	buffer_load_dword v58, off, s[0:3], 0 offset:172
	s_mov_b32 s4, exec_lo
	s_waitcnt vmcnt(0)
	ds_write_b64 v56, v[57:58]
	s_waitcnt lgkmcnt(0)
	s_barrier
	buffer_gl0_inv
	v_cmpx_gt_u32_e32 21, v0
	s_cbranch_execz .LBB25_99
; %bb.96:
	v_add_nc_u32_e32 v57, -1, v0
	v_add_nc_u32_e32 v58, 0xd0, v55
	v_mov_b32_e32 v59, v55
	v_mov_b32_e32 v54, 0
	v_mov_b32_e32 v60, 0
	s_mov_b32 s5, 0
	.p2align	6
.LBB25_97:                              ; =>This Inner Loop Header: Depth=1
	s_clause 0x1
	buffer_load_dword v63, v59, s[0:3], 0 offen offset:4
	buffer_load_dword v64, v59, s[0:3], 0 offen
	ds_read_b64 v[61:62], v58
	v_add_nc_u32_e32 v57, 1, v57
	v_add_nc_u32_e32 v58, 8, v58
	;; [unrolled: 1-line block ×3, first 2 shown]
	v_cmp_lt_u32_e32 vcc_lo, 19, v57
	s_or_b32 s5, vcc_lo, s5
	s_waitcnt vmcnt(1) lgkmcnt(0)
	v_mul_f32_e32 v65, v62, v63
	v_mul_f32_e32 v63, v61, v63
	s_waitcnt vmcnt(0)
	v_fma_f32 v61, v61, v64, -v65
	v_fmac_f32_e32 v63, v62, v64
	v_add_f32_e32 v60, v60, v61
	v_add_f32_e32 v54, v54, v63
	s_andn2_b32 exec_lo, exec_lo, s5
	s_cbranch_execnz .LBB25_97
; %bb.98:
	s_or_b32 exec_lo, exec_lo, s5
	v_mov_b32_e32 v57, 0
	ds_read_b64 v[57:58], v57 offset:168
	s_waitcnt lgkmcnt(0)
	v_mul_f32_e32 v59, v54, v58
	v_mul_f32_e32 v58, v60, v58
	v_fma_f32 v59, v60, v57, -v59
	v_fmac_f32_e32 v58, v54, v57
	buffer_store_dword v59, off, s[0:3], 0 offset:168
	buffer_store_dword v58, off, s[0:3], 0 offset:172
.LBB25_99:
	s_or_b32 exec_lo, exec_lo, s4
	s_waitcnt_vscnt null, 0x0
	s_barrier
	buffer_gl0_inv
	s_clause 0x1
	buffer_load_dword v57, off, s[0:3], 0 offset:176
	buffer_load_dword v58, off, s[0:3], 0 offset:180
	s_mov_b32 s4, exec_lo
	s_waitcnt vmcnt(0)
	ds_write_b64 v56, v[57:58]
	s_waitcnt lgkmcnt(0)
	s_barrier
	buffer_gl0_inv
	v_cmpx_gt_u32_e32 22, v0
	s_cbranch_execz .LBB25_103
; %bb.100:
	v_add_nc_u32_e32 v57, -1, v0
	v_add_nc_u32_e32 v58, 0xd0, v55
	v_mov_b32_e32 v59, v55
	v_mov_b32_e32 v54, 0
	;; [unrolled: 1-line block ×3, first 2 shown]
	s_mov_b32 s5, 0
	.p2align	6
.LBB25_101:                             ; =>This Inner Loop Header: Depth=1
	s_clause 0x1
	buffer_load_dword v63, v59, s[0:3], 0 offen offset:4
	buffer_load_dword v64, v59, s[0:3], 0 offen
	ds_read_b64 v[61:62], v58
	v_add_nc_u32_e32 v57, 1, v57
	v_add_nc_u32_e32 v58, 8, v58
	;; [unrolled: 1-line block ×3, first 2 shown]
	v_cmp_lt_u32_e32 vcc_lo, 20, v57
	s_or_b32 s5, vcc_lo, s5
	s_waitcnt vmcnt(1) lgkmcnt(0)
	v_mul_f32_e32 v65, v62, v63
	v_mul_f32_e32 v63, v61, v63
	s_waitcnt vmcnt(0)
	v_fma_f32 v61, v61, v64, -v65
	v_fmac_f32_e32 v63, v62, v64
	v_add_f32_e32 v60, v60, v61
	v_add_f32_e32 v54, v54, v63
	s_andn2_b32 exec_lo, exec_lo, s5
	s_cbranch_execnz .LBB25_101
; %bb.102:
	s_or_b32 exec_lo, exec_lo, s5
	v_mov_b32_e32 v57, 0
	ds_read_b64 v[57:58], v57 offset:176
	s_waitcnt lgkmcnt(0)
	v_mul_f32_e32 v59, v54, v58
	v_mul_f32_e32 v58, v60, v58
	v_fma_f32 v59, v60, v57, -v59
	v_fmac_f32_e32 v58, v54, v57
	buffer_store_dword v59, off, s[0:3], 0 offset:176
	buffer_store_dword v58, off, s[0:3], 0 offset:180
.LBB25_103:
	s_or_b32 exec_lo, exec_lo, s4
	s_waitcnt_vscnt null, 0x0
	s_barrier
	buffer_gl0_inv
	s_clause 0x1
	buffer_load_dword v57, off, s[0:3], 0 offset:184
	buffer_load_dword v58, off, s[0:3], 0 offset:188
	s_mov_b32 s4, exec_lo
	s_waitcnt vmcnt(0)
	ds_write_b64 v56, v[57:58]
	s_waitcnt lgkmcnt(0)
	s_barrier
	buffer_gl0_inv
	v_cmpx_gt_u32_e32 23, v0
	s_cbranch_execz .LBB25_107
; %bb.104:
	v_add_nc_u32_e32 v57, -1, v0
	v_add_nc_u32_e32 v58, 0xd0, v55
	v_mov_b32_e32 v59, v55
	v_mov_b32_e32 v54, 0
	;; [unrolled: 1-line block ×3, first 2 shown]
	s_mov_b32 s5, 0
	.p2align	6
.LBB25_105:                             ; =>This Inner Loop Header: Depth=1
	s_clause 0x1
	buffer_load_dword v63, v59, s[0:3], 0 offen offset:4
	buffer_load_dword v64, v59, s[0:3], 0 offen
	ds_read_b64 v[61:62], v58
	v_add_nc_u32_e32 v57, 1, v57
	v_add_nc_u32_e32 v58, 8, v58
	;; [unrolled: 1-line block ×3, first 2 shown]
	v_cmp_lt_u32_e32 vcc_lo, 21, v57
	s_or_b32 s5, vcc_lo, s5
	s_waitcnt vmcnt(1) lgkmcnt(0)
	v_mul_f32_e32 v65, v62, v63
	v_mul_f32_e32 v63, v61, v63
	s_waitcnt vmcnt(0)
	v_fma_f32 v61, v61, v64, -v65
	v_fmac_f32_e32 v63, v62, v64
	v_add_f32_e32 v60, v60, v61
	v_add_f32_e32 v54, v54, v63
	s_andn2_b32 exec_lo, exec_lo, s5
	s_cbranch_execnz .LBB25_105
; %bb.106:
	s_or_b32 exec_lo, exec_lo, s5
	v_mov_b32_e32 v57, 0
	ds_read_b64 v[57:58], v57 offset:184
	s_waitcnt lgkmcnt(0)
	v_mul_f32_e32 v59, v54, v58
	v_mul_f32_e32 v58, v60, v58
	v_fma_f32 v59, v60, v57, -v59
	v_fmac_f32_e32 v58, v54, v57
	buffer_store_dword v59, off, s[0:3], 0 offset:184
	buffer_store_dword v58, off, s[0:3], 0 offset:188
.LBB25_107:
	s_or_b32 exec_lo, exec_lo, s4
	s_waitcnt_vscnt null, 0x0
	s_barrier
	buffer_gl0_inv
	s_clause 0x1
	buffer_load_dword v57, off, s[0:3], 0 offset:192
	buffer_load_dword v58, off, s[0:3], 0 offset:196
	s_mov_b32 s4, exec_lo
	s_waitcnt vmcnt(0)
	ds_write_b64 v56, v[57:58]
	s_waitcnt lgkmcnt(0)
	s_barrier
	buffer_gl0_inv
	v_cmpx_gt_u32_e32 24, v0
	s_cbranch_execz .LBB25_111
; %bb.108:
	v_add_nc_u32_e32 v57, -1, v0
	v_add_nc_u32_e32 v58, 0xd0, v55
	v_mov_b32_e32 v59, v55
	v_mov_b32_e32 v54, 0
	;; [unrolled: 1-line block ×3, first 2 shown]
	s_mov_b32 s5, 0
	.p2align	6
.LBB25_109:                             ; =>This Inner Loop Header: Depth=1
	s_clause 0x1
	buffer_load_dword v63, v59, s[0:3], 0 offen offset:4
	buffer_load_dword v64, v59, s[0:3], 0 offen
	ds_read_b64 v[61:62], v58
	v_add_nc_u32_e32 v57, 1, v57
	v_add_nc_u32_e32 v58, 8, v58
	;; [unrolled: 1-line block ×3, first 2 shown]
	v_cmp_lt_u32_e32 vcc_lo, 22, v57
	s_or_b32 s5, vcc_lo, s5
	s_waitcnt vmcnt(1) lgkmcnt(0)
	v_mul_f32_e32 v65, v62, v63
	v_mul_f32_e32 v63, v61, v63
	s_waitcnt vmcnt(0)
	v_fma_f32 v61, v61, v64, -v65
	v_fmac_f32_e32 v63, v62, v64
	v_add_f32_e32 v60, v60, v61
	v_add_f32_e32 v54, v54, v63
	s_andn2_b32 exec_lo, exec_lo, s5
	s_cbranch_execnz .LBB25_109
; %bb.110:
	s_or_b32 exec_lo, exec_lo, s5
	v_mov_b32_e32 v57, 0
	ds_read_b64 v[57:58], v57 offset:192
	s_waitcnt lgkmcnt(0)
	v_mul_f32_e32 v59, v54, v58
	v_mul_f32_e32 v58, v60, v58
	v_fma_f32 v59, v60, v57, -v59
	v_fmac_f32_e32 v58, v54, v57
	buffer_store_dword v59, off, s[0:3], 0 offset:192
	buffer_store_dword v58, off, s[0:3], 0 offset:196
.LBB25_111:
	s_or_b32 exec_lo, exec_lo, s4
	s_waitcnt_vscnt null, 0x0
	s_barrier
	buffer_gl0_inv
	s_clause 0x1
	buffer_load_dword v57, off, s[0:3], 0 offset:200
	buffer_load_dword v58, off, s[0:3], 0 offset:204
	s_mov_b32 s4, exec_lo
	s_waitcnt vmcnt(0)
	ds_write_b64 v56, v[57:58]
	s_waitcnt lgkmcnt(0)
	s_barrier
	buffer_gl0_inv
	v_cmpx_ne_u32_e32 25, v0
	s_cbranch_execz .LBB25_115
; %bb.112:
	v_mov_b32_e32 v54, 0
	v_mov_b32_e32 v57, 0
	s_mov_b32 s5, 0
	.p2align	6
.LBB25_113:                             ; =>This Inner Loop Header: Depth=1
	s_clause 0x1
	buffer_load_dword v60, v55, s[0:3], 0 offen offset:4
	buffer_load_dword v61, v55, s[0:3], 0 offen
	ds_read_b64 v[58:59], v56
	v_add_nc_u32_e32 v53, 1, v53
	v_add_nc_u32_e32 v56, 8, v56
	;; [unrolled: 1-line block ×3, first 2 shown]
	v_cmp_lt_u32_e32 vcc_lo, 23, v53
	s_or_b32 s5, vcc_lo, s5
	s_waitcnt vmcnt(1) lgkmcnt(0)
	v_mul_f32_e32 v62, v59, v60
	v_mul_f32_e32 v60, v58, v60
	s_waitcnt vmcnt(0)
	v_fma_f32 v58, v58, v61, -v62
	v_fmac_f32_e32 v60, v59, v61
	v_add_f32_e32 v57, v57, v58
	v_add_f32_e32 v54, v54, v60
	s_andn2_b32 exec_lo, exec_lo, s5
	s_cbranch_execnz .LBB25_113
; %bb.114:
	s_or_b32 exec_lo, exec_lo, s5
	v_mov_b32_e32 v53, 0
	ds_read_b64 v[55:56], v53 offset:200
	s_waitcnt lgkmcnt(0)
	v_mul_f32_e32 v53, v54, v56
	v_mul_f32_e32 v56, v57, v56
	v_fma_f32 v53, v57, v55, -v53
	v_fmac_f32_e32 v56, v54, v55
	buffer_store_dword v53, off, s[0:3], 0 offset:200
	buffer_store_dword v56, off, s[0:3], 0 offset:204
.LBB25_115:
	s_or_b32 exec_lo, exec_lo, s4
	s_mov_b32 s5, -1
	s_waitcnt_vscnt null, 0x0
	s_barrier
	buffer_gl0_inv
.LBB25_116:
	s_and_b32 vcc_lo, exec_lo, s5
	s_cbranch_vccz .LBB25_118
; %bb.117:
	s_lshl_b64 s[4:5], s[6:7], 2
	v_mov_b32_e32 v53, 0
	s_add_u32 s4, s10, s4
	s_addc_u32 s5, s11, s5
	global_load_dword v53, v53, s[4:5]
	s_waitcnt vmcnt(0)
	v_cmp_ne_u32_e32 vcc_lo, 0, v53
	s_cbranch_vccz .LBB25_119
.LBB25_118:
	s_endpgm
.LBB25_119:
	v_lshl_add_u32 v53, v0, 3, 0xd0
	s_mov_b32 s4, exec_lo
	v_cmpx_eq_u32_e32 25, v0
	s_cbranch_execz .LBB25_121
; %bb.120:
	s_clause 0x1
	buffer_load_dword v54, off, s[0:3], 0 offset:192
	buffer_load_dword v55, off, s[0:3], 0 offset:196
	v_mov_b32_e32 v56, 0
	buffer_store_dword v56, off, s[0:3], 0 offset:192
	buffer_store_dword v56, off, s[0:3], 0 offset:196
	s_waitcnt vmcnt(0)
	ds_write_b64 v53, v[54:55]
.LBB25_121:
	s_or_b32 exec_lo, exec_lo, s4
	s_waitcnt lgkmcnt(0)
	s_waitcnt_vscnt null, 0x0
	s_barrier
	buffer_gl0_inv
	s_clause 0x3
	buffer_load_dword v57, off, s[0:3], 0 offset:204
	buffer_load_dword v58, off, s[0:3], 0 offset:200
	;; [unrolled: 1-line block ×4, first 2 shown]
	v_mov_b32_e32 v54, 0
	s_mov_b32 s4, exec_lo
	ds_read_b64 v[55:56], v54 offset:408
	s_waitcnt vmcnt(3) lgkmcnt(0)
	v_mul_f32_e32 v61, v56, v57
	v_mul_f32_e32 v57, v55, v57
	s_waitcnt vmcnt(2)
	v_fma_f32 v55, v55, v58, -v61
	v_fmac_f32_e32 v57, v56, v58
	v_add_f32_e32 v55, 0, v55
	v_add_f32_e32 v56, 0, v57
	s_waitcnt vmcnt(1)
	v_sub_f32_e32 v55, v59, v55
	s_waitcnt vmcnt(0)
	v_sub_f32_e32 v56, v60, v56
	buffer_store_dword v55, off, s[0:3], 0 offset:192
	buffer_store_dword v56, off, s[0:3], 0 offset:196
	v_cmpx_lt_u32_e32 23, v0
	s_cbranch_execz .LBB25_123
; %bb.122:
	s_clause 0x1
	buffer_load_dword v55, off, s[0:3], 0 offset:184
	buffer_load_dword v56, off, s[0:3], 0 offset:188
	buffer_store_dword v54, off, s[0:3], 0 offset:184
	buffer_store_dword v54, off, s[0:3], 0 offset:188
	s_waitcnt vmcnt(0)
	ds_write_b64 v53, v[55:56]
.LBB25_123:
	s_or_b32 exec_lo, exec_lo, s4
	s_waitcnt lgkmcnt(0)
	s_waitcnt_vscnt null, 0x0
	s_barrier
	buffer_gl0_inv
	s_clause 0x5
	buffer_load_dword v58, off, s[0:3], 0 offset:196
	buffer_load_dword v59, off, s[0:3], 0 offset:204
	;; [unrolled: 1-line block ×6, first 2 shown]
	ds_read_b128 v[54:57], v54 offset:400
	s_mov_b32 s4, exec_lo
	s_waitcnt vmcnt(5) lgkmcnt(0)
	v_mul_f32_e32 v64, v55, v58
	v_mul_f32_e32 v58, v54, v58
	s_waitcnt vmcnt(4)
	v_mul_f32_e32 v65, v56, v59
	v_mul_f32_e32 v59, v57, v59
	s_waitcnt vmcnt(3)
	v_fma_f32 v54, v54, v60, -v64
	v_fmac_f32_e32 v58, v55, v60
	s_waitcnt vmcnt(2)
	v_fmac_f32_e32 v65, v57, v61
	v_fma_f32 v55, v56, v61, -v59
	v_add_f32_e32 v54, 0, v54
	v_add_f32_e32 v56, 0, v58
	v_add_f32_e32 v54, v54, v55
	v_add_f32_e32 v55, v56, v65
	s_waitcnt vmcnt(1)
	v_sub_f32_e32 v54, v62, v54
	s_waitcnt vmcnt(0)
	v_sub_f32_e32 v55, v63, v55
	buffer_store_dword v54, off, s[0:3], 0 offset:184
	buffer_store_dword v55, off, s[0:3], 0 offset:188
	v_cmpx_lt_u32_e32 22, v0
	s_cbranch_execz .LBB25_125
; %bb.124:
	s_clause 0x1
	buffer_load_dword v54, off, s[0:3], 0 offset:176
	buffer_load_dword v55, off, s[0:3], 0 offset:180
	v_mov_b32_e32 v56, 0
	buffer_store_dword v56, off, s[0:3], 0 offset:176
	buffer_store_dword v56, off, s[0:3], 0 offset:180
	s_waitcnt vmcnt(0)
	ds_write_b64 v53, v[54:55]
.LBB25_125:
	s_or_b32 exec_lo, exec_lo, s4
	s_waitcnt lgkmcnt(0)
	s_waitcnt_vscnt null, 0x0
	s_barrier
	buffer_gl0_inv
	s_clause 0x7
	buffer_load_dword v61, off, s[0:3], 0 offset:188
	buffer_load_dword v62, off, s[0:3], 0 offset:196
	;; [unrolled: 1-line block ×8, first 2 shown]
	v_mov_b32_e32 v54, 0
	ds_read2_b64 v[55:58], v54 offset0:49 offset1:50
	ds_read_b64 v[59:60], v54 offset:408
	s_mov_b32 s4, exec_lo
	s_waitcnt vmcnt(7) lgkmcnt(1)
	v_mul_f32_e32 v69, v56, v61
	v_mul_f32_e32 v61, v55, v61
	s_waitcnt vmcnt(6)
	v_mul_f32_e32 v70, v57, v62
	v_mul_f32_e32 v62, v58, v62
	s_waitcnt vmcnt(5) lgkmcnt(0)
	v_mul_f32_e32 v71, v59, v63
	s_waitcnt vmcnt(4)
	v_fma_f32 v55, v55, v64, -v69
	v_fmac_f32_e32 v61, v56, v64
	v_mul_f32_e32 v56, v60, v63
	s_waitcnt vmcnt(3)
	v_fma_f32 v57, v57, v65, -v62
	v_fmac_f32_e32 v70, v58, v65
	v_add_f32_e32 v55, 0, v55
	v_add_f32_e32 v58, 0, v61
	s_waitcnt vmcnt(2)
	v_fma_f32 v56, v59, v66, -v56
	v_fmac_f32_e32 v71, v60, v66
	v_add_f32_e32 v55, v55, v57
	v_add_f32_e32 v57, v58, v70
	v_add_f32_e32 v55, v55, v56
	v_add_f32_e32 v56, v57, v71
	s_waitcnt vmcnt(1)
	v_sub_f32_e32 v55, v67, v55
	s_waitcnt vmcnt(0)
	v_sub_f32_e32 v56, v68, v56
	buffer_store_dword v55, off, s[0:3], 0 offset:176
	buffer_store_dword v56, off, s[0:3], 0 offset:180
	v_cmpx_lt_u32_e32 21, v0
	s_cbranch_execz .LBB25_127
; %bb.126:
	s_clause 0x1
	buffer_load_dword v55, off, s[0:3], 0 offset:168
	buffer_load_dword v56, off, s[0:3], 0 offset:172
	buffer_store_dword v54, off, s[0:3], 0 offset:168
	buffer_store_dword v54, off, s[0:3], 0 offset:172
	s_waitcnt vmcnt(0)
	ds_write_b64 v53, v[55:56]
.LBB25_127:
	s_or_b32 exec_lo, exec_lo, s4
	s_waitcnt lgkmcnt(0)
	s_waitcnt_vscnt null, 0x0
	s_barrier
	buffer_gl0_inv
	s_clause 0x9
	buffer_load_dword v63, off, s[0:3], 0 offset:180
	buffer_load_dword v64, off, s[0:3], 0 offset:188
	;; [unrolled: 1-line block ×10, first 2 shown]
	ds_read_b128 v[55:58], v54 offset:384
	ds_read_b128 v[59:62], v54 offset:400
	s_mov_b32 s4, exec_lo
	s_waitcnt vmcnt(9) lgkmcnt(1)
	v_mul_f32_e32 v54, v55, v63
	v_mul_f32_e32 v63, v56, v63
	s_waitcnt vmcnt(8)
	v_mul_f32_e32 v73, v57, v64
	v_mul_f32_e32 v64, v58, v64
	s_waitcnt vmcnt(7) lgkmcnt(0)
	v_mul_f32_e32 v74, v59, v65
	s_waitcnt vmcnt(5)
	v_fmac_f32_e32 v54, v56, v67
	v_fma_f32 v55, v55, v67, -v63
	v_mul_f32_e32 v56, v60, v65
	s_waitcnt vmcnt(4)
	v_fma_f32 v57, v57, v68, -v64
	v_fmac_f32_e32 v73, v58, v68
	v_add_f32_e32 v54, 0, v54
	v_add_f32_e32 v55, 0, v55
	v_mul_f32_e32 v58, v62, v66
	s_waitcnt vmcnt(3)
	v_fma_f32 v56, v59, v69, -v56
	v_mul_f32_e32 v75, v61, v66
	v_fmac_f32_e32 v74, v60, v69
	v_add_f32_e32 v55, v55, v57
	v_add_f32_e32 v54, v54, v73
	s_waitcnt vmcnt(2)
	v_fma_f32 v57, v61, v70, -v58
	v_fmac_f32_e32 v75, v62, v70
	v_add_f32_e32 v55, v55, v56
	v_add_f32_e32 v54, v54, v74
	;; [unrolled: 1-line block ×4, first 2 shown]
	s_waitcnt vmcnt(1)
	v_sub_f32_e32 v55, v71, v55
	s_waitcnt vmcnt(0)
	v_sub_f32_e32 v54, v72, v54
	buffer_store_dword v55, off, s[0:3], 0 offset:168
	buffer_store_dword v54, off, s[0:3], 0 offset:172
	v_cmpx_lt_u32_e32 20, v0
	s_cbranch_execz .LBB25_129
; %bb.128:
	s_clause 0x1
	buffer_load_dword v54, off, s[0:3], 0 offset:160
	buffer_load_dword v55, off, s[0:3], 0 offset:164
	v_mov_b32_e32 v56, 0
	buffer_store_dword v56, off, s[0:3], 0 offset:160
	buffer_store_dword v56, off, s[0:3], 0 offset:164
	s_waitcnt vmcnt(0)
	ds_write_b64 v53, v[54:55]
.LBB25_129:
	s_or_b32 exec_lo, exec_lo, s4
	s_waitcnt lgkmcnt(0)
	s_waitcnt_vscnt null, 0x0
	s_barrier
	buffer_gl0_inv
	s_clause 0xb
	buffer_load_dword v65, off, s[0:3], 0 offset:172
	buffer_load_dword v66, off, s[0:3], 0 offset:180
	;; [unrolled: 1-line block ×12, first 2 shown]
	v_mov_b32_e32 v54, 0
	ds_read2_b64 v[55:58], v54 offset0:47 offset1:48
	ds_read2_b64 v[59:62], v54 offset0:49 offset1:50
	ds_read_b64 v[63:64], v54 offset:408
	s_mov_b32 s4, exec_lo
	s_waitcnt vmcnt(11) lgkmcnt(2)
	v_mul_f32_e32 v77, v55, v65
	v_mul_f32_e32 v65, v56, v65
	s_waitcnt vmcnt(10)
	v_mul_f32_e32 v78, v57, v66
	v_mul_f32_e32 v66, v58, v66
	s_waitcnt vmcnt(9) lgkmcnt(1)
	v_mul_f32_e32 v79, v59, v67
	s_waitcnt vmcnt(6)
	v_fmac_f32_e32 v77, v56, v70
	v_fma_f32 v55, v55, v70, -v65
	v_mul_f32_e32 v56, v60, v67
	s_waitcnt vmcnt(5)
	v_fma_f32 v57, v57, v71, -v66
	v_fmac_f32_e32 v78, v58, v71
	v_add_f32_e32 v58, 0, v77
	v_add_f32_e32 v55, 0, v55
	v_mul_f32_e32 v65, v62, v68
	s_waitcnt vmcnt(4)
	v_fma_f32 v56, v59, v72, -v56
	v_mul_f32_e32 v80, v61, v68
	v_fmac_f32_e32 v79, v60, v72
	v_add_f32_e32 v55, v55, v57
	v_add_f32_e32 v57, v58, v78
	s_waitcnt lgkmcnt(0)
	v_mul_f32_e32 v58, v64, v69
	s_waitcnt vmcnt(3)
	v_fma_f32 v59, v61, v73, -v65
	v_mul_f32_e32 v81, v63, v69
	v_add_f32_e32 v55, v55, v56
	v_fmac_f32_e32 v80, v62, v73
	v_add_f32_e32 v56, v57, v79
	s_waitcnt vmcnt(2)
	v_fma_f32 v57, v63, v74, -v58
	v_fmac_f32_e32 v81, v64, v74
	v_add_f32_e32 v55, v55, v59
	v_add_f32_e32 v56, v56, v80
	;; [unrolled: 1-line block ×4, first 2 shown]
	s_waitcnt vmcnt(1)
	v_sub_f32_e32 v55, v75, v55
	s_waitcnt vmcnt(0)
	v_sub_f32_e32 v56, v76, v56
	buffer_store_dword v55, off, s[0:3], 0 offset:160
	buffer_store_dword v56, off, s[0:3], 0 offset:164
	v_cmpx_lt_u32_e32 19, v0
	s_cbranch_execz .LBB25_131
; %bb.130:
	s_clause 0x1
	buffer_load_dword v55, off, s[0:3], 0 offset:152
	buffer_load_dword v56, off, s[0:3], 0 offset:156
	buffer_store_dword v54, off, s[0:3], 0 offset:152
	buffer_store_dword v54, off, s[0:3], 0 offset:156
	s_waitcnt vmcnt(0)
	ds_write_b64 v53, v[55:56]
.LBB25_131:
	s_or_b32 exec_lo, exec_lo, s4
	s_waitcnt lgkmcnt(0)
	s_waitcnt_vscnt null, 0x0
	s_barrier
	buffer_gl0_inv
	s_clause 0xd
	buffer_load_dword v67, off, s[0:3], 0 offset:164
	buffer_load_dword v68, off, s[0:3], 0 offset:172
	;; [unrolled: 1-line block ×14, first 2 shown]
	ds_read_b128 v[55:58], v54 offset:368
	ds_read_b128 v[59:62], v54 offset:384
	;; [unrolled: 1-line block ×3, first 2 shown]
	s_mov_b32 s4, exec_lo
	s_waitcnt vmcnt(13) lgkmcnt(2)
	v_mul_f32_e32 v54, v55, v67
	v_mul_f32_e32 v67, v56, v67
	s_waitcnt vmcnt(12)
	v_mul_f32_e32 v81, v57, v68
	v_mul_f32_e32 v68, v58, v68
	s_waitcnt vmcnt(11) lgkmcnt(1)
	v_mul_f32_e32 v82, v59, v69
	s_waitcnt vmcnt(10)
	v_mul_f32_e32 v83, v61, v70
	s_waitcnt vmcnt(7)
	v_fma_f32 v55, v55, v73, -v67
	v_fmac_f32_e32 v54, v56, v73
	v_mul_f32_e32 v56, v60, v69
	s_waitcnt vmcnt(6)
	v_fma_f32 v57, v57, v74, -v68
	v_fmac_f32_e32 v81, v58, v74
	v_add_f32_e32 v55, 0, v55
	v_add_f32_e32 v54, 0, v54
	v_mul_f32_e32 v58, v62, v70
	s_waitcnt vmcnt(5)
	v_fma_f32 v56, v59, v75, -v56
	v_fmac_f32_e32 v82, v60, v75
	v_add_f32_e32 v55, v55, v57
	v_add_f32_e32 v54, v54, v81
	s_waitcnt lgkmcnt(0)
	v_mul_f32_e32 v57, v64, v71
	s_waitcnt vmcnt(4)
	v_fma_f32 v58, v61, v76, -v58
	v_mul_f32_e32 v84, v63, v71
	v_add_f32_e32 v55, v55, v56
	v_fmac_f32_e32 v83, v62, v76
	v_add_f32_e32 v54, v54, v82
	v_mul_f32_e32 v56, v66, v72
	s_waitcnt vmcnt(3)
	v_fma_f32 v57, v63, v77, -v57
	v_add_f32_e32 v55, v55, v58
	v_mul_f32_e32 v85, v65, v72
	v_fmac_f32_e32 v84, v64, v77
	v_add_f32_e32 v54, v54, v83
	s_waitcnt vmcnt(2)
	v_fma_f32 v56, v65, v78, -v56
	v_add_f32_e32 v55, v55, v57
	v_fmac_f32_e32 v85, v66, v78
	v_add_f32_e32 v54, v54, v84
	v_add_f32_e32 v55, v55, v56
	v_add_f32_e32 v54, v54, v85
	s_waitcnt vmcnt(1)
	v_sub_f32_e32 v55, v79, v55
	s_waitcnt vmcnt(0)
	v_sub_f32_e32 v54, v80, v54
	buffer_store_dword v55, off, s[0:3], 0 offset:152
	buffer_store_dword v54, off, s[0:3], 0 offset:156
	v_cmpx_lt_u32_e32 18, v0
	s_cbranch_execz .LBB25_133
; %bb.132:
	s_clause 0x1
	buffer_load_dword v54, off, s[0:3], 0 offset:144
	buffer_load_dword v55, off, s[0:3], 0 offset:148
	v_mov_b32_e32 v56, 0
	buffer_store_dword v56, off, s[0:3], 0 offset:144
	buffer_store_dword v56, off, s[0:3], 0 offset:148
	s_waitcnt vmcnt(0)
	ds_write_b64 v53, v[54:55]
.LBB25_133:
	s_or_b32 exec_lo, exec_lo, s4
	s_waitcnt lgkmcnt(0)
	s_waitcnt_vscnt null, 0x0
	s_barrier
	buffer_gl0_inv
	s_clause 0xf
	buffer_load_dword v69, off, s[0:3], 0 offset:156
	buffer_load_dword v70, off, s[0:3], 0 offset:164
	;; [unrolled: 1-line block ×16, first 2 shown]
	v_mov_b32_e32 v54, 0
	ds_read2_b64 v[55:58], v54 offset0:45 offset1:46
	ds_read2_b64 v[59:62], v54 offset0:47 offset1:48
	;; [unrolled: 1-line block ×3, first 2 shown]
	ds_read_b64 v[67:68], v54 offset:408
	s_mov_b32 s4, exec_lo
	s_waitcnt vmcnt(15) lgkmcnt(3)
	v_mul_f32_e32 v85, v55, v69
	v_mul_f32_e32 v69, v56, v69
	s_waitcnt vmcnt(14)
	v_mul_f32_e32 v86, v57, v70
	v_mul_f32_e32 v70, v58, v70
	s_waitcnt vmcnt(13) lgkmcnt(2)
	v_mul_f32_e32 v87, v59, v71
	s_waitcnt vmcnt(12)
	v_mul_f32_e32 v88, v61, v72
	s_waitcnt vmcnt(11) lgkmcnt(1)
	v_mul_f32_e32 v89, v63, v73
	s_waitcnt vmcnt(8)
	v_fma_f32 v55, v55, v76, -v69
	v_fmac_f32_e32 v85, v56, v76
	v_mul_f32_e32 v56, v60, v71
	s_waitcnt vmcnt(7)
	v_fma_f32 v57, v57, v77, -v70
	v_fmac_f32_e32 v86, v58, v77
	v_add_f32_e32 v55, 0, v55
	v_add_f32_e32 v58, 0, v85
	v_mul_f32_e32 v69, v62, v72
	s_waitcnt vmcnt(6)
	v_fma_f32 v56, v59, v78, -v56
	v_fmac_f32_e32 v87, v60, v78
	v_add_f32_e32 v55, v55, v57
	v_add_f32_e32 v57, v58, v86
	;; [unrolled: 6-line block ×3, first 2 shown]
	v_mul_f32_e32 v57, v66, v74
	s_waitcnt vmcnt(4)
	v_fma_f32 v58, v63, v80, -v58
	v_mul_f32_e32 v90, v65, v74
	v_add_f32_e32 v55, v55, v59
	v_fmac_f32_e32 v89, v64, v80
	v_add_f32_e32 v56, v56, v88
	s_waitcnt lgkmcnt(0)
	v_mul_f32_e32 v59, v68, v75
	s_waitcnt vmcnt(3)
	v_fma_f32 v57, v65, v81, -v57
	v_add_f32_e32 v55, v55, v58
	v_mul_f32_e32 v91, v67, v75
	v_fmac_f32_e32 v90, v66, v81
	v_add_f32_e32 v56, v56, v89
	s_waitcnt vmcnt(2)
	v_fma_f32 v58, v67, v82, -v59
	v_add_f32_e32 v55, v55, v57
	v_fmac_f32_e32 v91, v68, v82
	v_add_f32_e32 v56, v56, v90
	v_add_f32_e32 v55, v55, v58
	;; [unrolled: 1-line block ×3, first 2 shown]
	s_waitcnt vmcnt(1)
	v_sub_f32_e32 v55, v83, v55
	s_waitcnt vmcnt(0)
	v_sub_f32_e32 v56, v84, v56
	buffer_store_dword v55, off, s[0:3], 0 offset:144
	buffer_store_dword v56, off, s[0:3], 0 offset:148
	v_cmpx_lt_u32_e32 17, v0
	s_cbranch_execz .LBB25_135
; %bb.134:
	s_clause 0x1
	buffer_load_dword v55, off, s[0:3], 0 offset:136
	buffer_load_dword v56, off, s[0:3], 0 offset:140
	buffer_store_dword v54, off, s[0:3], 0 offset:136
	buffer_store_dword v54, off, s[0:3], 0 offset:140
	s_waitcnt vmcnt(0)
	ds_write_b64 v53, v[55:56]
.LBB25_135:
	s_or_b32 exec_lo, exec_lo, s4
	s_waitcnt lgkmcnt(0)
	s_waitcnt_vscnt null, 0x0
	s_barrier
	buffer_gl0_inv
	s_clause 0x11
	buffer_load_dword v71, off, s[0:3], 0 offset:148
	buffer_load_dword v72, off, s[0:3], 0 offset:156
	;; [unrolled: 1-line block ×18, first 2 shown]
	ds_read_b128 v[55:58], v54 offset:352
	ds_read_b128 v[59:62], v54 offset:368
	;; [unrolled: 1-line block ×4, first 2 shown]
	s_mov_b32 s4, exec_lo
	s_waitcnt vmcnt(17) lgkmcnt(3)
	v_mul_f32_e32 v54, v55, v71
	v_mul_f32_e32 v71, v56, v71
	s_waitcnt vmcnt(16)
	v_mul_f32_e32 v89, v57, v72
	v_mul_f32_e32 v72, v58, v72
	s_waitcnt vmcnt(15) lgkmcnt(2)
	v_mul_f32_e32 v90, v59, v73
	s_waitcnt vmcnt(14)
	v_mul_f32_e32 v91, v61, v74
	s_waitcnt vmcnt(13) lgkmcnt(1)
	v_mul_f32_e32 v92, v63, v75
	s_waitcnt vmcnt(12)
	v_mul_f32_e32 v93, v65, v76
	s_waitcnt vmcnt(9)
	v_fma_f32 v55, v55, v79, -v71
	v_fmac_f32_e32 v54, v56, v79
	v_mul_f32_e32 v56, v60, v73
	s_waitcnt vmcnt(8)
	v_fma_f32 v57, v57, v80, -v72
	v_fmac_f32_e32 v89, v58, v80
	v_add_f32_e32 v55, 0, v55
	v_add_f32_e32 v54, 0, v54
	v_mul_f32_e32 v58, v62, v74
	s_waitcnt vmcnt(7)
	v_fma_f32 v56, v59, v81, -v56
	v_fmac_f32_e32 v90, v60, v81
	v_add_f32_e32 v55, v55, v57
	v_add_f32_e32 v54, v54, v89
	;; [unrolled: 6-line block ×4, first 2 shown]
	s_waitcnt lgkmcnt(0)
	v_mul_f32_e32 v58, v68, v77
	s_waitcnt vmcnt(4)
	v_fma_f32 v56, v65, v84, -v56
	v_mul_f32_e32 v94, v67, v77
	v_add_f32_e32 v55, v55, v57
	v_fmac_f32_e32 v93, v66, v84
	v_add_f32_e32 v54, v54, v92
	v_mul_f32_e32 v57, v70, v78
	s_waitcnt vmcnt(3)
	v_fma_f32 v58, v67, v85, -v58
	v_add_f32_e32 v55, v55, v56
	v_mul_f32_e32 v95, v69, v78
	v_fmac_f32_e32 v94, v68, v85
	v_add_f32_e32 v54, v54, v93
	s_waitcnt vmcnt(2)
	v_fma_f32 v56, v69, v86, -v57
	v_add_f32_e32 v55, v55, v58
	v_fmac_f32_e32 v95, v70, v86
	v_add_f32_e32 v54, v54, v94
	v_add_f32_e32 v55, v55, v56
	;; [unrolled: 1-line block ×3, first 2 shown]
	s_waitcnt vmcnt(1)
	v_sub_f32_e32 v55, v87, v55
	s_waitcnt vmcnt(0)
	v_sub_f32_e32 v54, v88, v54
	buffer_store_dword v55, off, s[0:3], 0 offset:136
	buffer_store_dword v54, off, s[0:3], 0 offset:140
	v_cmpx_lt_u32_e32 16, v0
	s_cbranch_execz .LBB25_137
; %bb.136:
	s_clause 0x1
	buffer_load_dword v54, off, s[0:3], 0 offset:128
	buffer_load_dword v55, off, s[0:3], 0 offset:132
	v_mov_b32_e32 v56, 0
	buffer_store_dword v56, off, s[0:3], 0 offset:128
	buffer_store_dword v56, off, s[0:3], 0 offset:132
	s_waitcnt vmcnt(0)
	ds_write_b64 v53, v[54:55]
.LBB25_137:
	s_or_b32 exec_lo, exec_lo, s4
	s_waitcnt lgkmcnt(0)
	s_waitcnt_vscnt null, 0x0
	s_barrier
	buffer_gl0_inv
	s_clause 0x13
	buffer_load_dword v73, off, s[0:3], 0 offset:140
	buffer_load_dword v74, off, s[0:3], 0 offset:148
	buffer_load_dword v75, off, s[0:3], 0 offset:156
	buffer_load_dword v76, off, s[0:3], 0 offset:164
	buffer_load_dword v77, off, s[0:3], 0 offset:172
	buffer_load_dword v78, off, s[0:3], 0 offset:180
	buffer_load_dword v79, off, s[0:3], 0 offset:188
	buffer_load_dword v80, off, s[0:3], 0 offset:196
	buffer_load_dword v81, off, s[0:3], 0 offset:204
	buffer_load_dword v82, off, s[0:3], 0 offset:136
	buffer_load_dword v83, off, s[0:3], 0 offset:144
	buffer_load_dword v84, off, s[0:3], 0 offset:152
	buffer_load_dword v85, off, s[0:3], 0 offset:160
	buffer_load_dword v86, off, s[0:3], 0 offset:168
	buffer_load_dword v87, off, s[0:3], 0 offset:176
	buffer_load_dword v88, off, s[0:3], 0 offset:184
	buffer_load_dword v89, off, s[0:3], 0 offset:192
	buffer_load_dword v90, off, s[0:3], 0 offset:200
	buffer_load_dword v91, off, s[0:3], 0 offset:128
	buffer_load_dword v92, off, s[0:3], 0 offset:132
	v_mov_b32_e32 v54, 0
	ds_read2_b64 v[55:58], v54 offset0:43 offset1:44
	ds_read2_b64 v[59:62], v54 offset0:45 offset1:46
	;; [unrolled: 1-line block ×4, first 2 shown]
	ds_read_b64 v[71:72], v54 offset:408
	s_mov_b32 s4, exec_lo
	s_waitcnt vmcnt(19) lgkmcnt(4)
	v_mul_f32_e32 v93, v55, v73
	v_mul_f32_e32 v73, v56, v73
	s_waitcnt vmcnt(18)
	v_mul_f32_e32 v94, v57, v74
	v_mul_f32_e32 v74, v58, v74
	s_waitcnt vmcnt(17) lgkmcnt(3)
	v_mul_f32_e32 v95, v59, v75
	s_waitcnt vmcnt(16)
	v_mul_f32_e32 v96, v61, v76
	s_waitcnt vmcnt(15) lgkmcnt(2)
	v_mul_f32_e32 v97, v63, v77
	s_waitcnt vmcnt(14)
	;; [unrolled: 4-line block ×3, first 2 shown]
	v_fma_f32 v55, v55, v82, -v73
	v_fmac_f32_e32 v93, v56, v82
	v_mul_f32_e32 v56, v60, v75
	s_waitcnt vmcnt(9)
	v_fma_f32 v57, v57, v83, -v74
	v_fmac_f32_e32 v94, v58, v83
	v_add_f32_e32 v55, 0, v55
	v_add_f32_e32 v58, 0, v93
	v_mul_f32_e32 v73, v62, v76
	s_waitcnt vmcnt(8)
	v_fma_f32 v56, v59, v84, -v56
	v_fmac_f32_e32 v95, v60, v84
	v_add_f32_e32 v55, v55, v57
	v_add_f32_e32 v57, v58, v94
	;; [unrolled: 6-line block ×5, first 2 shown]
	v_mul_f32_e32 v58, v70, v80
	s_waitcnt vmcnt(4)
	v_fma_f32 v59, v67, v88, -v59
	v_mul_f32_e32 v100, v69, v80
	v_add_f32_e32 v55, v55, v57
	v_fmac_f32_e32 v99, v68, v88
	v_add_f32_e32 v56, v56, v98
	s_waitcnt lgkmcnt(0)
	v_mul_f32_e32 v57, v72, v81
	s_waitcnt vmcnt(3)
	v_fma_f32 v58, v69, v89, -v58
	v_add_f32_e32 v55, v55, v59
	v_mul_f32_e32 v101, v71, v81
	v_fmac_f32_e32 v100, v70, v89
	v_add_f32_e32 v56, v56, v99
	s_waitcnt vmcnt(2)
	v_fma_f32 v57, v71, v90, -v57
	v_add_f32_e32 v55, v55, v58
	v_fmac_f32_e32 v101, v72, v90
	v_add_f32_e32 v56, v56, v100
	v_add_f32_e32 v55, v55, v57
	;; [unrolled: 1-line block ×3, first 2 shown]
	s_waitcnt vmcnt(1)
	v_sub_f32_e32 v55, v91, v55
	s_waitcnt vmcnt(0)
	v_sub_f32_e32 v56, v92, v56
	buffer_store_dword v55, off, s[0:3], 0 offset:128
	buffer_store_dword v56, off, s[0:3], 0 offset:132
	v_cmpx_lt_u32_e32 15, v0
	s_cbranch_execz .LBB25_139
; %bb.138:
	s_clause 0x1
	buffer_load_dword v55, off, s[0:3], 0 offset:120
	buffer_load_dword v56, off, s[0:3], 0 offset:124
	buffer_store_dword v54, off, s[0:3], 0 offset:120
	buffer_store_dword v54, off, s[0:3], 0 offset:124
	s_waitcnt vmcnt(0)
	ds_write_b64 v53, v[55:56]
.LBB25_139:
	s_or_b32 exec_lo, exec_lo, s4
	s_waitcnt lgkmcnt(0)
	s_waitcnt_vscnt null, 0x0
	s_barrier
	buffer_gl0_inv
	s_clause 0x15
	buffer_load_dword v75, off, s[0:3], 0 offset:132
	buffer_load_dword v76, off, s[0:3], 0 offset:140
	;; [unrolled: 1-line block ×22, first 2 shown]
	ds_read_b128 v[55:58], v54 offset:336
	ds_read_b128 v[59:62], v54 offset:352
	;; [unrolled: 1-line block ×5, first 2 shown]
	s_mov_b32 s4, exec_lo
	s_waitcnt vmcnt(21) lgkmcnt(4)
	v_mul_f32_e32 v54, v55, v75
	v_mul_f32_e32 v75, v56, v75
	s_waitcnt vmcnt(20)
	v_mul_f32_e32 v97, v57, v76
	v_mul_f32_e32 v76, v58, v76
	s_waitcnt vmcnt(19) lgkmcnt(3)
	v_mul_f32_e32 v98, v59, v77
	s_waitcnt vmcnt(18)
	v_mul_f32_e32 v99, v61, v78
	s_waitcnt vmcnt(17) lgkmcnt(2)
	v_mul_f32_e32 v100, v63, v79
	s_waitcnt vmcnt(16)
	;; [unrolled: 4-line block ×3, first 2 shown]
	v_mul_f32_e32 v103, v69, v82
	s_waitcnt vmcnt(11)
	v_fma_f32 v55, v55, v85, -v75
	v_fmac_f32_e32 v54, v56, v85
	v_mul_f32_e32 v56, v60, v77
	s_waitcnt vmcnt(10)
	v_fma_f32 v57, v57, v86, -v76
	v_fmac_f32_e32 v97, v58, v86
	v_add_f32_e32 v55, 0, v55
	v_add_f32_e32 v54, 0, v54
	v_mul_f32_e32 v58, v62, v78
	s_waitcnt vmcnt(9)
	v_fma_f32 v56, v59, v87, -v56
	v_fmac_f32_e32 v98, v60, v87
	v_add_f32_e32 v55, v55, v57
	v_add_f32_e32 v54, v54, v97
	;; [unrolled: 6-line block ×6, first 2 shown]
	s_waitcnt lgkmcnt(0)
	v_mul_f32_e32 v56, v72, v83
	s_waitcnt vmcnt(4)
	v_fma_f32 v57, v69, v92, -v57
	v_mul_f32_e32 v104, v71, v83
	v_add_f32_e32 v55, v55, v58
	v_fmac_f32_e32 v103, v70, v92
	v_add_f32_e32 v54, v54, v102
	v_mul_f32_e32 v58, v74, v84
	s_waitcnt vmcnt(3)
	v_fma_f32 v56, v71, v93, -v56
	v_add_f32_e32 v55, v55, v57
	v_mul_f32_e32 v105, v73, v84
	v_fmac_f32_e32 v104, v72, v93
	v_add_f32_e32 v54, v54, v103
	s_waitcnt vmcnt(2)
	v_fma_f32 v57, v73, v94, -v58
	v_add_f32_e32 v55, v55, v56
	v_fmac_f32_e32 v105, v74, v94
	v_add_f32_e32 v54, v54, v104
	v_add_f32_e32 v55, v55, v57
	v_add_f32_e32 v54, v54, v105
	s_waitcnt vmcnt(1)
	v_sub_f32_e32 v55, v95, v55
	s_waitcnt vmcnt(0)
	v_sub_f32_e32 v54, v96, v54
	buffer_store_dword v55, off, s[0:3], 0 offset:120
	buffer_store_dword v54, off, s[0:3], 0 offset:124
	v_cmpx_lt_u32_e32 14, v0
	s_cbranch_execz .LBB25_141
; %bb.140:
	s_clause 0x1
	buffer_load_dword v54, off, s[0:3], 0 offset:112
	buffer_load_dword v55, off, s[0:3], 0 offset:116
	v_mov_b32_e32 v56, 0
	buffer_store_dword v56, off, s[0:3], 0 offset:112
	buffer_store_dword v56, off, s[0:3], 0 offset:116
	s_waitcnt vmcnt(0)
	ds_write_b64 v53, v[54:55]
.LBB25_141:
	s_or_b32 exec_lo, exec_lo, s4
	s_waitcnt lgkmcnt(0)
	s_waitcnt_vscnt null, 0x0
	s_barrier
	buffer_gl0_inv
	s_clause 0x17
	buffer_load_dword v77, off, s[0:3], 0 offset:124
	buffer_load_dword v78, off, s[0:3], 0 offset:132
	;; [unrolled: 1-line block ×24, first 2 shown]
	v_mov_b32_e32 v54, 0
	ds_read2_b64 v[55:58], v54 offset0:41 offset1:42
	ds_read2_b64 v[59:62], v54 offset0:43 offset1:44
	;; [unrolled: 1-line block ×5, first 2 shown]
	ds_read_b64 v[75:76], v54 offset:408
	s_mov_b32 s4, exec_lo
	s_waitcnt vmcnt(23) lgkmcnt(5)
	v_mul_f32_e32 v101, v55, v77
	v_mul_f32_e32 v77, v56, v77
	s_waitcnt vmcnt(22)
	v_mul_f32_e32 v102, v57, v78
	v_mul_f32_e32 v78, v58, v78
	s_waitcnt vmcnt(21) lgkmcnt(4)
	v_mul_f32_e32 v103, v59, v79
	s_waitcnt vmcnt(20)
	v_mul_f32_e32 v104, v61, v80
	s_waitcnt vmcnt(19) lgkmcnt(3)
	v_mul_f32_e32 v105, v63, v81
	s_waitcnt vmcnt(18)
	;; [unrolled: 4-line block ×4, first 2 shown]
	v_fma_f32 v55, v55, v88, -v77
	v_fmac_f32_e32 v101, v56, v88
	v_mul_f32_e32 v56, v60, v79
	s_waitcnt vmcnt(11)
	v_fma_f32 v57, v57, v89, -v78
	v_fmac_f32_e32 v102, v58, v89
	v_add_f32_e32 v55, 0, v55
	v_add_f32_e32 v58, 0, v101
	v_mul_f32_e32 v77, v62, v80
	s_waitcnt vmcnt(10)
	v_fma_f32 v56, v59, v90, -v56
	v_fmac_f32_e32 v103, v60, v90
	v_add_f32_e32 v55, v55, v57
	v_add_f32_e32 v57, v58, v102
	;; [unrolled: 6-line block ×7, first 2 shown]
	v_mul_f32_e32 v59, v74, v86
	s_waitcnt vmcnt(4)
	v_fma_f32 v57, v71, v96, -v57
	v_mul_f32_e32 v110, v73, v86
	v_add_f32_e32 v55, v55, v58
	v_fmac_f32_e32 v109, v72, v96
	v_add_f32_e32 v56, v56, v108
	s_waitcnt lgkmcnt(0)
	v_mul_f32_e32 v58, v76, v87
	s_waitcnt vmcnt(3)
	v_fma_f32 v59, v73, v97, -v59
	v_add_f32_e32 v55, v55, v57
	v_mul_f32_e32 v111, v75, v87
	v_fmac_f32_e32 v110, v74, v97
	v_add_f32_e32 v56, v56, v109
	s_waitcnt vmcnt(2)
	v_fma_f32 v57, v75, v98, -v58
	v_add_f32_e32 v55, v55, v59
	v_fmac_f32_e32 v111, v76, v98
	v_add_f32_e32 v56, v56, v110
	v_add_f32_e32 v55, v55, v57
	;; [unrolled: 1-line block ×3, first 2 shown]
	s_waitcnt vmcnt(1)
	v_sub_f32_e32 v55, v99, v55
	s_waitcnt vmcnt(0)
	v_sub_f32_e32 v56, v100, v56
	buffer_store_dword v55, off, s[0:3], 0 offset:112
	buffer_store_dword v56, off, s[0:3], 0 offset:116
	v_cmpx_lt_u32_e32 13, v0
	s_cbranch_execz .LBB25_143
; %bb.142:
	s_clause 0x1
	buffer_load_dword v55, off, s[0:3], 0 offset:104
	buffer_load_dword v56, off, s[0:3], 0 offset:108
	buffer_store_dword v54, off, s[0:3], 0 offset:104
	buffer_store_dword v54, off, s[0:3], 0 offset:108
	s_waitcnt vmcnt(0)
	ds_write_b64 v53, v[55:56]
.LBB25_143:
	s_or_b32 exec_lo, exec_lo, s4
	s_waitcnt lgkmcnt(0)
	s_waitcnt_vscnt null, 0x0
	s_barrier
	buffer_gl0_inv
	s_clause 0x19
	buffer_load_dword v79, off, s[0:3], 0 offset:116
	buffer_load_dword v80, off, s[0:3], 0 offset:124
	;; [unrolled: 1-line block ×26, first 2 shown]
	ds_read_b128 v[55:58], v54 offset:320
	ds_read_b128 v[59:62], v54 offset:336
	;; [unrolled: 1-line block ×6, first 2 shown]
	s_mov_b32 s4, exec_lo
	s_waitcnt vmcnt(25) lgkmcnt(5)
	v_mul_f32_e32 v54, v55, v79
	v_mul_f32_e32 v79, v56, v79
	s_waitcnt vmcnt(24)
	v_mul_f32_e32 v105, v57, v80
	v_mul_f32_e32 v80, v58, v80
	s_waitcnt vmcnt(23) lgkmcnt(4)
	v_mul_f32_e32 v106, v59, v81
	s_waitcnt vmcnt(22)
	v_mul_f32_e32 v107, v61, v82
	s_waitcnt vmcnt(21) lgkmcnt(3)
	v_mul_f32_e32 v108, v63, v83
	s_waitcnt vmcnt(20)
	;; [unrolled: 4-line block ×4, first 2 shown]
	v_mul_f32_e32 v113, v73, v88
	s_waitcnt vmcnt(13)
	v_fma_f32 v55, v55, v91, -v79
	v_fmac_f32_e32 v54, v56, v91
	v_mul_f32_e32 v56, v60, v81
	s_waitcnt vmcnt(12)
	v_fma_f32 v57, v57, v92, -v80
	v_fmac_f32_e32 v105, v58, v92
	v_add_f32_e32 v55, 0, v55
	v_add_f32_e32 v54, 0, v54
	v_mul_f32_e32 v58, v62, v82
	s_waitcnt vmcnt(11)
	v_fma_f32 v56, v59, v93, -v56
	v_fmac_f32_e32 v106, v60, v93
	v_add_f32_e32 v55, v55, v57
	v_add_f32_e32 v54, v54, v105
	;; [unrolled: 6-line block ×8, first 2 shown]
	s_waitcnt lgkmcnt(0)
	v_mul_f32_e32 v57, v76, v89
	s_waitcnt vmcnt(4)
	v_fma_f32 v58, v73, v100, -v58
	v_mul_f32_e32 v114, v75, v89
	v_add_f32_e32 v55, v55, v56
	v_fmac_f32_e32 v113, v74, v100
	v_add_f32_e32 v54, v54, v112
	v_mul_f32_e32 v56, v78, v90
	s_waitcnt vmcnt(3)
	v_fma_f32 v57, v75, v101, -v57
	v_add_f32_e32 v55, v55, v58
	v_mul_f32_e32 v115, v77, v90
	v_fmac_f32_e32 v114, v76, v101
	v_add_f32_e32 v54, v54, v113
	s_waitcnt vmcnt(2)
	v_fma_f32 v56, v77, v102, -v56
	v_add_f32_e32 v55, v55, v57
	v_fmac_f32_e32 v115, v78, v102
	v_add_f32_e32 v54, v54, v114
	v_add_f32_e32 v55, v55, v56
	;; [unrolled: 1-line block ×3, first 2 shown]
	s_waitcnt vmcnt(1)
	v_sub_f32_e32 v55, v103, v55
	s_waitcnt vmcnt(0)
	v_sub_f32_e32 v54, v104, v54
	buffer_store_dword v55, off, s[0:3], 0 offset:104
	buffer_store_dword v54, off, s[0:3], 0 offset:108
	v_cmpx_lt_u32_e32 12, v0
	s_cbranch_execz .LBB25_145
; %bb.144:
	s_clause 0x1
	buffer_load_dword v54, off, s[0:3], 0 offset:96
	buffer_load_dword v55, off, s[0:3], 0 offset:100
	v_mov_b32_e32 v56, 0
	buffer_store_dword v56, off, s[0:3], 0 offset:96
	buffer_store_dword v56, off, s[0:3], 0 offset:100
	s_waitcnt vmcnt(0)
	ds_write_b64 v53, v[54:55]
.LBB25_145:
	s_or_b32 exec_lo, exec_lo, s4
	s_waitcnt lgkmcnt(0)
	s_waitcnt_vscnt null, 0x0
	s_barrier
	buffer_gl0_inv
	s_clause 0x1b
	buffer_load_dword v81, off, s[0:3], 0 offset:108
	buffer_load_dword v82, off, s[0:3], 0 offset:116
	;; [unrolled: 1-line block ×28, first 2 shown]
	v_mov_b32_e32 v54, 0
	ds_read2_b64 v[55:58], v54 offset0:39 offset1:40
	ds_read2_b64 v[59:62], v54 offset0:41 offset1:42
	;; [unrolled: 1-line block ×6, first 2 shown]
	ds_read_b64 v[79:80], v54 offset:408
	s_mov_b32 s4, exec_lo
	s_waitcnt vmcnt(27) lgkmcnt(6)
	v_mul_f32_e32 v109, v55, v81
	v_mul_f32_e32 v81, v56, v81
	s_waitcnt vmcnt(26)
	v_mul_f32_e32 v110, v57, v82
	v_mul_f32_e32 v82, v58, v82
	s_waitcnt vmcnt(25) lgkmcnt(5)
	v_mul_f32_e32 v111, v59, v83
	s_waitcnt vmcnt(24)
	v_mul_f32_e32 v112, v61, v84
	s_waitcnt vmcnt(23) lgkmcnt(4)
	v_mul_f32_e32 v113, v63, v85
	s_waitcnt vmcnt(22)
	v_mul_f32_e32 v114, v65, v86
	s_waitcnt vmcnt(21) lgkmcnt(3)
	v_mul_f32_e32 v115, v67, v87
	s_waitcnt vmcnt(20)
	v_mul_f32_e32 v116, v69, v88
	s_waitcnt vmcnt(19) lgkmcnt(2)
	v_mul_f32_e32 v117, v71, v89
	s_waitcnt vmcnt(18)
	v_mul_f32_e32 v118, v73, v90
	s_waitcnt vmcnt(17) lgkmcnt(1)
	v_mul_f32_e32 v119, v75, v91
	s_waitcnt vmcnt(14)
	v_fma_f32 v55, v55, v94, -v81
	v_fmac_f32_e32 v109, v56, v94
	v_mul_f32_e32 v56, v60, v83
	s_waitcnt vmcnt(13)
	v_fma_f32 v57, v57, v95, -v82
	v_fmac_f32_e32 v110, v58, v95
	v_add_f32_e32 v55, 0, v55
	v_add_f32_e32 v58, 0, v109
	v_mul_f32_e32 v81, v62, v84
	s_waitcnt vmcnt(12)
	v_fma_f32 v56, v59, v96, -v56
	v_fmac_f32_e32 v111, v60, v96
	v_add_f32_e32 v55, v55, v57
	v_add_f32_e32 v57, v58, v110
	;; [unrolled: 6-line block ×9, first 2 shown]
	v_mul_f32_e32 v57, v78, v92
	s_waitcnt vmcnt(4)
	v_fma_f32 v58, v75, v104, -v58
	v_mul_f32_e32 v120, v77, v92
	v_add_f32_e32 v55, v55, v59
	v_fmac_f32_e32 v119, v76, v104
	v_add_f32_e32 v56, v56, v118
	s_waitcnt lgkmcnt(0)
	v_mul_f32_e32 v59, v80, v93
	s_waitcnt vmcnt(3)
	v_fma_f32 v57, v77, v105, -v57
	v_add_f32_e32 v55, v55, v58
	v_mul_f32_e32 v121, v79, v93
	v_fmac_f32_e32 v120, v78, v105
	v_add_f32_e32 v56, v56, v119
	s_waitcnt vmcnt(2)
	v_fma_f32 v58, v79, v106, -v59
	v_add_f32_e32 v55, v55, v57
	v_fmac_f32_e32 v121, v80, v106
	v_add_f32_e32 v56, v56, v120
	v_add_f32_e32 v55, v55, v58
	;; [unrolled: 1-line block ×3, first 2 shown]
	s_waitcnt vmcnt(1)
	v_sub_f32_e32 v55, v107, v55
	s_waitcnt vmcnt(0)
	v_sub_f32_e32 v56, v108, v56
	buffer_store_dword v55, off, s[0:3], 0 offset:96
	buffer_store_dword v56, off, s[0:3], 0 offset:100
	v_cmpx_lt_u32_e32 11, v0
	s_cbranch_execz .LBB25_147
; %bb.146:
	s_clause 0x1
	buffer_load_dword v55, off, s[0:3], 0 offset:88
	buffer_load_dword v56, off, s[0:3], 0 offset:92
	buffer_store_dword v54, off, s[0:3], 0 offset:88
	buffer_store_dword v54, off, s[0:3], 0 offset:92
	s_waitcnt vmcnt(0)
	ds_write_b64 v53, v[55:56]
.LBB25_147:
	s_or_b32 exec_lo, exec_lo, s4
	s_waitcnt lgkmcnt(0)
	s_waitcnt_vscnt null, 0x0
	s_barrier
	buffer_gl0_inv
	s_clause 0x1d
	buffer_load_dword v83, off, s[0:3], 0 offset:100
	buffer_load_dword v84, off, s[0:3], 0 offset:108
	;; [unrolled: 1-line block ×30, first 2 shown]
	ds_read_b128 v[55:58], v54 offset:304
	ds_read_b128 v[59:62], v54 offset:320
	;; [unrolled: 1-line block ×7, first 2 shown]
	s_mov_b32 s4, exec_lo
	s_waitcnt vmcnt(29) lgkmcnt(6)
	v_mul_f32_e32 v54, v55, v83
	v_mul_f32_e32 v83, v56, v83
	s_waitcnt vmcnt(28)
	v_mul_f32_e32 v113, v57, v84
	v_mul_f32_e32 v84, v58, v84
	s_waitcnt vmcnt(27) lgkmcnt(5)
	v_mul_f32_e32 v114, v59, v85
	s_waitcnt vmcnt(26)
	v_mul_f32_e32 v115, v61, v86
	s_waitcnt vmcnt(25) lgkmcnt(4)
	v_mul_f32_e32 v116, v63, v87
	s_waitcnt vmcnt(24)
	v_mul_f32_e32 v117, v65, v88
	s_waitcnt vmcnt(23) lgkmcnt(3)
	v_mul_f32_e32 v118, v67, v89
	s_waitcnt vmcnt(22)
	v_mul_f32_e32 v119, v69, v90
	s_waitcnt vmcnt(21) lgkmcnt(2)
	v_mul_f32_e32 v120, v71, v91
	s_waitcnt vmcnt(20)
	v_mul_f32_e32 v121, v73, v92
	s_waitcnt vmcnt(19) lgkmcnt(1)
	v_mul_f32_e32 v122, v75, v93
	s_waitcnt vmcnt(18)
	v_mul_f32_e32 v123, v77, v94
	s_waitcnt vmcnt(15)
	v_fma_f32 v55, v55, v97, -v83
	v_fmac_f32_e32 v54, v56, v97
	v_mul_f32_e32 v56, v60, v85
	s_waitcnt vmcnt(14)
	v_fma_f32 v57, v57, v98, -v84
	v_fmac_f32_e32 v113, v58, v98
	v_add_f32_e32 v55, 0, v55
	v_add_f32_e32 v54, 0, v54
	v_mul_f32_e32 v58, v62, v86
	s_waitcnt vmcnt(13)
	v_fma_f32 v56, v59, v99, -v56
	v_fmac_f32_e32 v114, v60, v99
	v_add_f32_e32 v55, v55, v57
	v_add_f32_e32 v54, v54, v113
	;; [unrolled: 6-line block ×10, first 2 shown]
	s_waitcnt lgkmcnt(0)
	v_mul_f32_e32 v58, v80, v95
	s_waitcnt vmcnt(4)
	v_fma_f32 v56, v77, v108, -v56
	v_mul_f32_e32 v124, v79, v95
	v_add_f32_e32 v55, v55, v57
	v_fmac_f32_e32 v123, v78, v108
	v_add_f32_e32 v54, v54, v122
	v_mul_f32_e32 v57, v82, v96
	s_waitcnt vmcnt(3)
	v_fma_f32 v58, v79, v109, -v58
	v_add_f32_e32 v55, v55, v56
	v_mul_f32_e32 v125, v81, v96
	v_fmac_f32_e32 v124, v80, v109
	v_add_f32_e32 v54, v54, v123
	s_waitcnt vmcnt(2)
	v_fma_f32 v56, v81, v110, -v57
	v_add_f32_e32 v55, v55, v58
	v_fmac_f32_e32 v125, v82, v110
	v_add_f32_e32 v54, v54, v124
	v_add_f32_e32 v55, v55, v56
	;; [unrolled: 1-line block ×3, first 2 shown]
	s_waitcnt vmcnt(1)
	v_sub_f32_e32 v55, v111, v55
	s_waitcnt vmcnt(0)
	v_sub_f32_e32 v54, v112, v54
	buffer_store_dword v55, off, s[0:3], 0 offset:88
	buffer_store_dword v54, off, s[0:3], 0 offset:92
	v_cmpx_lt_u32_e32 10, v0
	s_cbranch_execz .LBB25_149
; %bb.148:
	s_clause 0x1
	buffer_load_dword v54, off, s[0:3], 0 offset:80
	buffer_load_dword v55, off, s[0:3], 0 offset:84
	v_mov_b32_e32 v56, 0
	buffer_store_dword v56, off, s[0:3], 0 offset:80
	buffer_store_dword v56, off, s[0:3], 0 offset:84
	s_waitcnt vmcnt(0)
	ds_write_b64 v53, v[54:55]
.LBB25_149:
	s_or_b32 exec_lo, exec_lo, s4
	s_waitcnt lgkmcnt(0)
	s_waitcnt_vscnt null, 0x0
	s_barrier
	buffer_gl0_inv
	s_clause 0x1f
	buffer_load_dword v85, off, s[0:3], 0 offset:92
	buffer_load_dword v86, off, s[0:3], 0 offset:100
	;; [unrolled: 1-line block ×32, first 2 shown]
	v_mov_b32_e32 v54, 0
	ds_read2_b64 v[55:58], v54 offset0:37 offset1:38
	ds_read2_b64 v[59:62], v54 offset0:39 offset1:40
	;; [unrolled: 1-line block ×7, first 2 shown]
	ds_read_b64 v[83:84], v54 offset:408
	s_mov_b32 s4, exec_lo
	s_waitcnt vmcnt(31) lgkmcnt(7)
	v_mul_f32_e32 v117, v55, v85
	v_mul_f32_e32 v85, v56, v85
	s_waitcnt vmcnt(30)
	v_mul_f32_e32 v118, v57, v86
	v_mul_f32_e32 v86, v58, v86
	s_waitcnt vmcnt(29) lgkmcnt(6)
	v_mul_f32_e32 v119, v59, v87
	s_waitcnt vmcnt(28)
	v_mul_f32_e32 v120, v61, v88
	s_waitcnt vmcnt(27) lgkmcnt(5)
	v_mul_f32_e32 v121, v63, v89
	s_waitcnt vmcnt(26)
	v_mul_f32_e32 v122, v65, v90
	s_waitcnt vmcnt(25) lgkmcnt(4)
	v_mul_f32_e32 v123, v67, v91
	s_waitcnt vmcnt(24)
	v_mul_f32_e32 v124, v69, v92
	s_waitcnt vmcnt(23) lgkmcnt(3)
	v_mul_f32_e32 v125, v71, v93
	s_waitcnt vmcnt(22)
	v_mul_f32_e32 v126, v73, v94
	s_waitcnt vmcnt(21) lgkmcnt(2)
	v_mul_f32_e32 v127, v75, v95
	s_waitcnt vmcnt(20)
	v_mul_f32_e32 v128, v77, v96
	s_waitcnt vmcnt(19) lgkmcnt(1)
	v_mul_f32_e32 v129, v79, v97
	s_waitcnt vmcnt(16)
	v_fma_f32 v55, v55, v100, -v85
	v_fmac_f32_e32 v117, v56, v100
	v_mul_f32_e32 v56, v60, v87
	s_waitcnt vmcnt(15)
	v_fma_f32 v57, v57, v101, -v86
	v_fmac_f32_e32 v118, v58, v101
	v_add_f32_e32 v55, 0, v55
	v_add_f32_e32 v58, 0, v117
	v_mul_f32_e32 v85, v62, v88
	s_waitcnt vmcnt(14)
	v_fma_f32 v56, v59, v102, -v56
	v_fmac_f32_e32 v119, v60, v102
	v_add_f32_e32 v55, v55, v57
	v_add_f32_e32 v57, v58, v118
	;; [unrolled: 6-line block ×11, first 2 shown]
	v_mul_f32_e32 v58, v82, v98
	s_waitcnt vmcnt(4)
	v_fma_f32 v59, v79, v112, -v59
	v_mul_f32_e32 v130, v81, v98
	v_add_f32_e32 v55, v55, v57
	v_fmac_f32_e32 v129, v80, v112
	v_add_f32_e32 v56, v56, v128
	s_waitcnt lgkmcnt(0)
	v_mul_f32_e32 v57, v84, v99
	s_waitcnt vmcnt(3)
	v_fma_f32 v58, v81, v113, -v58
	v_add_f32_e32 v55, v55, v59
	v_mul_f32_e32 v131, v83, v99
	v_fmac_f32_e32 v130, v82, v113
	v_add_f32_e32 v56, v56, v129
	s_waitcnt vmcnt(2)
	v_fma_f32 v57, v83, v114, -v57
	v_add_f32_e32 v55, v55, v58
	v_fmac_f32_e32 v131, v84, v114
	v_add_f32_e32 v56, v56, v130
	v_add_f32_e32 v55, v55, v57
	;; [unrolled: 1-line block ×3, first 2 shown]
	s_waitcnt vmcnt(1)
	v_sub_f32_e32 v55, v115, v55
	s_waitcnt vmcnt(0)
	v_sub_f32_e32 v56, v116, v56
	buffer_store_dword v55, off, s[0:3], 0 offset:80
	buffer_store_dword v56, off, s[0:3], 0 offset:84
	v_cmpx_lt_u32_e32 9, v0
	s_cbranch_execz .LBB25_151
; %bb.150:
	s_clause 0x1
	buffer_load_dword v55, off, s[0:3], 0 offset:72
	buffer_load_dword v56, off, s[0:3], 0 offset:76
	buffer_store_dword v54, off, s[0:3], 0 offset:72
	buffer_store_dword v54, off, s[0:3], 0 offset:76
	s_waitcnt vmcnt(0)
	ds_write_b64 v53, v[55:56]
.LBB25_151:
	s_or_b32 exec_lo, exec_lo, s4
	s_waitcnt lgkmcnt(0)
	s_waitcnt_vscnt null, 0x0
	s_barrier
	buffer_gl0_inv
	s_clause 0x21
	buffer_load_dword v87, off, s[0:3], 0 offset:84
	buffer_load_dword v88, off, s[0:3], 0 offset:92
	;; [unrolled: 1-line block ×34, first 2 shown]
	ds_read_b128 v[55:58], v54 offset:288
	ds_read_b128 v[59:62], v54 offset:304
	;; [unrolled: 1-line block ×8, first 2 shown]
	s_mov_b32 s4, exec_lo
	s_waitcnt vmcnt(33) lgkmcnt(7)
	v_mul_f32_e32 v54, v55, v87
	v_mul_f32_e32 v87, v56, v87
	s_waitcnt vmcnt(32)
	v_mul_f32_e32 v121, v57, v88
	v_mul_f32_e32 v88, v58, v88
	s_waitcnt vmcnt(31) lgkmcnt(6)
	v_mul_f32_e32 v122, v59, v89
	s_waitcnt vmcnt(30)
	v_mul_f32_e32 v123, v61, v90
	s_waitcnt vmcnt(29) lgkmcnt(5)
	v_mul_f32_e32 v124, v63, v91
	s_waitcnt vmcnt(28)
	;; [unrolled: 4-line block ×6, first 2 shown]
	v_mul_f32_e32 v133, v81, v100
	s_waitcnt vmcnt(17)
	v_fma_f32 v55, v55, v103, -v87
	v_fmac_f32_e32 v54, v56, v103
	v_mul_f32_e32 v56, v60, v89
	s_waitcnt vmcnt(16)
	v_fma_f32 v57, v57, v104, -v88
	v_fmac_f32_e32 v121, v58, v104
	v_add_f32_e32 v55, 0, v55
	v_add_f32_e32 v54, 0, v54
	v_mul_f32_e32 v58, v62, v90
	s_waitcnt vmcnt(15)
	v_fma_f32 v56, v59, v105, -v56
	v_fmac_f32_e32 v122, v60, v105
	v_add_f32_e32 v55, v55, v57
	v_add_f32_e32 v54, v54, v121
	v_mul_f32_e32 v57, v64, v91
	s_waitcnt vmcnt(14)
	v_fma_f32 v58, v61, v106, -v58
	v_fmac_f32_e32 v123, v62, v106
	v_add_f32_e32 v55, v55, v56
	v_add_f32_e32 v54, v54, v122
	v_mul_f32_e32 v56, v66, v92
	s_waitcnt vmcnt(13)
	v_fma_f32 v57, v63, v107, -v57
	v_fmac_f32_e32 v124, v64, v107
	v_add_f32_e32 v55, v55, v58
	v_add_f32_e32 v54, v54, v123
	v_mul_f32_e32 v58, v68, v93
	s_waitcnt vmcnt(12)
	v_fma_f32 v56, v65, v108, -v56
	v_fmac_f32_e32 v125, v66, v108
	v_add_f32_e32 v55, v55, v57
	v_add_f32_e32 v54, v54, v124
	v_mul_f32_e32 v57, v70, v94
	s_waitcnt vmcnt(11)
	v_fma_f32 v58, v67, v109, -v58
	v_fmac_f32_e32 v126, v68, v109
	v_add_f32_e32 v55, v55, v56
	v_add_f32_e32 v54, v54, v125
	v_mul_f32_e32 v56, v72, v95
	s_waitcnt vmcnt(10)
	v_fma_f32 v57, v69, v110, -v57
	v_fmac_f32_e32 v127, v70, v110
	v_add_f32_e32 v55, v55, v58
	v_add_f32_e32 v54, v54, v126
	v_mul_f32_e32 v58, v74, v96
	s_waitcnt vmcnt(9)
	v_fma_f32 v56, v71, v111, -v56
	v_fmac_f32_e32 v128, v72, v111
	v_add_f32_e32 v55, v55, v57
	v_add_f32_e32 v54, v54, v127
	v_mul_f32_e32 v57, v76, v97
	s_waitcnt vmcnt(8)
	v_fma_f32 v58, v73, v112, -v58
	v_fmac_f32_e32 v129, v74, v112
	v_add_f32_e32 v55, v55, v56
	v_add_f32_e32 v54, v54, v128
	v_mul_f32_e32 v56, v78, v98
	s_waitcnt vmcnt(7)
	v_fma_f32 v57, v75, v113, -v57
	v_fmac_f32_e32 v130, v76, v113
	v_add_f32_e32 v55, v55, v58
	v_add_f32_e32 v54, v54, v129
	v_mul_f32_e32 v58, v80, v99
	s_waitcnt vmcnt(6)
	v_fma_f32 v56, v77, v114, -v56
	v_fmac_f32_e32 v131, v78, v114
	v_add_f32_e32 v55, v55, v57
	v_add_f32_e32 v54, v54, v130
	v_mul_f32_e32 v57, v82, v100
	s_waitcnt vmcnt(5)
	v_fma_f32 v58, v79, v115, -v58
	v_fmac_f32_e32 v132, v80, v115
	v_add_f32_e32 v55, v55, v56
	v_add_f32_e32 v54, v54, v131
	s_waitcnt lgkmcnt(0)
	v_mul_f32_e32 v56, v84, v101
	s_waitcnt vmcnt(4)
	v_fma_f32 v57, v81, v116, -v57
	v_mul_f32_e32 v134, v83, v101
	v_add_f32_e32 v55, v55, v58
	v_fmac_f32_e32 v133, v82, v116
	v_add_f32_e32 v54, v54, v132
	v_mul_f32_e32 v58, v86, v102
	s_waitcnt vmcnt(3)
	v_fma_f32 v56, v83, v117, -v56
	v_add_f32_e32 v55, v55, v57
	v_mul_f32_e32 v135, v85, v102
	v_fmac_f32_e32 v134, v84, v117
	v_add_f32_e32 v54, v54, v133
	s_waitcnt vmcnt(2)
	v_fma_f32 v57, v85, v118, -v58
	v_add_f32_e32 v55, v55, v56
	v_fmac_f32_e32 v135, v86, v118
	v_add_f32_e32 v54, v54, v134
	v_add_f32_e32 v55, v55, v57
	;; [unrolled: 1-line block ×3, first 2 shown]
	s_waitcnt vmcnt(1)
	v_sub_f32_e32 v55, v119, v55
	s_waitcnt vmcnt(0)
	v_sub_f32_e32 v54, v120, v54
	buffer_store_dword v55, off, s[0:3], 0 offset:72
	buffer_store_dword v54, off, s[0:3], 0 offset:76
	v_cmpx_lt_u32_e32 8, v0
	s_cbranch_execz .LBB25_153
; %bb.152:
	s_clause 0x1
	buffer_load_dword v54, off, s[0:3], 0 offset:64
	buffer_load_dword v55, off, s[0:3], 0 offset:68
	v_mov_b32_e32 v56, 0
	buffer_store_dword v56, off, s[0:3], 0 offset:64
	buffer_store_dword v56, off, s[0:3], 0 offset:68
	s_waitcnt vmcnt(0)
	ds_write_b64 v53, v[54:55]
.LBB25_153:
	s_or_b32 exec_lo, exec_lo, s4
	s_waitcnt lgkmcnt(0)
	s_waitcnt_vscnt null, 0x0
	s_barrier
	buffer_gl0_inv
	s_clause 0x23
	buffer_load_dword v89, off, s[0:3], 0 offset:76
	buffer_load_dword v90, off, s[0:3], 0 offset:84
	;; [unrolled: 1-line block ×36, first 2 shown]
	v_mov_b32_e32 v54, 0
	ds_read2_b64 v[55:58], v54 offset0:35 offset1:36
	ds_read2_b64 v[59:62], v54 offset0:37 offset1:38
	;; [unrolled: 1-line block ×8, first 2 shown]
	ds_read_b64 v[87:88], v54 offset:408
	s_mov_b32 s4, exec_lo
	s_waitcnt vmcnt(35) lgkmcnt(8)
	v_mul_f32_e32 v125, v55, v89
	v_mul_f32_e32 v89, v56, v89
	s_waitcnt vmcnt(34)
	v_mul_f32_e32 v126, v57, v90
	v_mul_f32_e32 v90, v58, v90
	s_waitcnt vmcnt(33) lgkmcnt(7)
	v_mul_f32_e32 v127, v59, v91
	s_waitcnt vmcnt(32)
	v_mul_f32_e32 v128, v61, v92
	s_waitcnt vmcnt(31) lgkmcnt(6)
	v_mul_f32_e32 v129, v63, v93
	s_waitcnt vmcnt(30)
	;; [unrolled: 4-line block ×7, first 2 shown]
	v_fma_f32 v55, v55, v106, -v89
	v_fmac_f32_e32 v125, v56, v106
	v_mul_f32_e32 v56, v60, v91
	s_waitcnt vmcnt(17)
	v_fma_f32 v57, v57, v107, -v90
	v_fmac_f32_e32 v126, v58, v107
	v_add_f32_e32 v55, 0, v55
	v_add_f32_e32 v58, 0, v125
	v_mul_f32_e32 v89, v62, v92
	s_waitcnt vmcnt(16)
	v_fma_f32 v56, v59, v108, -v56
	v_fmac_f32_e32 v127, v60, v108
	v_add_f32_e32 v55, v55, v57
	v_add_f32_e32 v57, v58, v126
	;; [unrolled: 6-line block ×13, first 2 shown]
	v_mul_f32_e32 v59, v86, v104
	s_waitcnt vmcnt(4)
	v_fma_f32 v57, v83, v120, -v57
	v_mul_f32_e32 v140, v85, v104
	v_add_f32_e32 v55, v55, v58
	v_fmac_f32_e32 v139, v84, v120
	v_add_f32_e32 v56, v56, v138
	s_waitcnt lgkmcnt(0)
	v_mul_f32_e32 v58, v88, v105
	s_waitcnt vmcnt(3)
	v_fma_f32 v59, v85, v121, -v59
	v_add_f32_e32 v55, v55, v57
	v_mul_f32_e32 v141, v87, v105
	v_fmac_f32_e32 v140, v86, v121
	v_add_f32_e32 v56, v56, v139
	s_waitcnt vmcnt(2)
	v_fma_f32 v57, v87, v122, -v58
	v_add_f32_e32 v55, v55, v59
	v_fmac_f32_e32 v141, v88, v122
	v_add_f32_e32 v56, v56, v140
	v_add_f32_e32 v55, v55, v57
	;; [unrolled: 1-line block ×3, first 2 shown]
	s_waitcnt vmcnt(1)
	v_sub_f32_e32 v55, v123, v55
	s_waitcnt vmcnt(0)
	v_sub_f32_e32 v56, v124, v56
	buffer_store_dword v55, off, s[0:3], 0 offset:64
	buffer_store_dword v56, off, s[0:3], 0 offset:68
	v_cmpx_lt_u32_e32 7, v0
	s_cbranch_execz .LBB25_155
; %bb.154:
	s_clause 0x1
	buffer_load_dword v55, off, s[0:3], 0 offset:56
	buffer_load_dword v56, off, s[0:3], 0 offset:60
	buffer_store_dword v54, off, s[0:3], 0 offset:56
	buffer_store_dword v54, off, s[0:3], 0 offset:60
	s_waitcnt vmcnt(0)
	ds_write_b64 v53, v[55:56]
.LBB25_155:
	s_or_b32 exec_lo, exec_lo, s4
	s_waitcnt lgkmcnt(0)
	s_waitcnt_vscnt null, 0x0
	s_barrier
	buffer_gl0_inv
	s_clause 0x25
	buffer_load_dword v91, off, s[0:3], 0 offset:68
	buffer_load_dword v92, off, s[0:3], 0 offset:76
	;; [unrolled: 1-line block ×38, first 2 shown]
	ds_read_b128 v[55:58], v54 offset:272
	ds_read_b128 v[59:62], v54 offset:288
	;; [unrolled: 1-line block ×9, first 2 shown]
	s_mov_b32 s4, exec_lo
	s_waitcnt vmcnt(37) lgkmcnt(8)
	v_mul_f32_e32 v54, v55, v91
	v_mul_f32_e32 v91, v56, v91
	s_waitcnt vmcnt(36)
	v_mul_f32_e32 v129, v57, v92
	v_mul_f32_e32 v92, v58, v92
	s_waitcnt vmcnt(35) lgkmcnt(7)
	v_mul_f32_e32 v130, v59, v93
	s_waitcnt vmcnt(34)
	v_mul_f32_e32 v131, v61, v94
	s_waitcnt vmcnt(33) lgkmcnt(6)
	v_mul_f32_e32 v132, v63, v95
	s_waitcnt vmcnt(32)
	;; [unrolled: 4-line block ×7, first 2 shown]
	v_mul_f32_e32 v143, v85, v106
	s_waitcnt vmcnt(19)
	v_fma_f32 v55, v55, v109, -v91
	v_fmac_f32_e32 v54, v56, v109
	v_mul_f32_e32 v56, v60, v93
	s_waitcnt vmcnt(18)
	v_fma_f32 v57, v57, v110, -v92
	v_fmac_f32_e32 v129, v58, v110
	v_add_f32_e32 v55, 0, v55
	v_add_f32_e32 v54, 0, v54
	v_mul_f32_e32 v58, v62, v94
	s_waitcnt vmcnt(17)
	v_fma_f32 v56, v59, v111, -v56
	v_fmac_f32_e32 v130, v60, v111
	v_add_f32_e32 v55, v55, v57
	v_add_f32_e32 v54, v54, v129
	;; [unrolled: 6-line block ×14, first 2 shown]
	s_waitcnt lgkmcnt(0)
	v_mul_f32_e32 v57, v88, v107
	s_waitcnt vmcnt(4)
	v_fma_f32 v58, v85, v124, -v58
	v_mul_f32_e32 v144, v87, v107
	v_add_f32_e32 v55, v55, v56
	v_fmac_f32_e32 v143, v86, v124
	v_add_f32_e32 v54, v54, v142
	v_mul_f32_e32 v56, v90, v108
	s_waitcnt vmcnt(3)
	v_fma_f32 v57, v87, v125, -v57
	v_add_f32_e32 v55, v55, v58
	v_mul_f32_e32 v145, v89, v108
	v_fmac_f32_e32 v144, v88, v125
	v_add_f32_e32 v54, v54, v143
	s_waitcnt vmcnt(2)
	v_fma_f32 v56, v89, v126, -v56
	v_add_f32_e32 v55, v55, v57
	v_fmac_f32_e32 v145, v90, v126
	v_add_f32_e32 v54, v54, v144
	v_add_f32_e32 v55, v55, v56
	;; [unrolled: 1-line block ×3, first 2 shown]
	s_waitcnt vmcnt(1)
	v_sub_f32_e32 v55, v127, v55
	s_waitcnt vmcnt(0)
	v_sub_f32_e32 v54, v128, v54
	buffer_store_dword v55, off, s[0:3], 0 offset:56
	buffer_store_dword v54, off, s[0:3], 0 offset:60
	v_cmpx_lt_u32_e32 6, v0
	s_cbranch_execz .LBB25_157
; %bb.156:
	s_clause 0x1
	buffer_load_dword v54, off, s[0:3], 0 offset:48
	buffer_load_dword v55, off, s[0:3], 0 offset:52
	v_mov_b32_e32 v56, 0
	buffer_store_dword v56, off, s[0:3], 0 offset:48
	buffer_store_dword v56, off, s[0:3], 0 offset:52
	s_waitcnt vmcnt(0)
	ds_write_b64 v53, v[54:55]
.LBB25_157:
	s_or_b32 exec_lo, exec_lo, s4
	s_waitcnt lgkmcnt(0)
	s_waitcnt_vscnt null, 0x0
	s_barrier
	buffer_gl0_inv
	s_clause 0x27
	buffer_load_dword v93, off, s[0:3], 0 offset:60
	buffer_load_dword v94, off, s[0:3], 0 offset:68
	;; [unrolled: 1-line block ×40, first 2 shown]
	v_mov_b32_e32 v54, 0
	ds_read2_b64 v[55:58], v54 offset0:33 offset1:34
	ds_read2_b64 v[59:62], v54 offset0:35 offset1:36
	;; [unrolled: 1-line block ×9, first 2 shown]
	ds_read_b64 v[91:92], v54 offset:408
	s_mov_b32 s4, exec_lo
	s_waitcnt vmcnt(39) lgkmcnt(9)
	v_mul_f32_e32 v133, v55, v93
	v_mul_f32_e32 v93, v56, v93
	s_waitcnt vmcnt(38)
	v_mul_f32_e32 v134, v57, v94
	v_mul_f32_e32 v94, v58, v94
	s_waitcnt vmcnt(37) lgkmcnt(8)
	v_mul_f32_e32 v135, v59, v95
	s_waitcnt vmcnt(36)
	v_mul_f32_e32 v136, v61, v96
	s_waitcnt vmcnt(35) lgkmcnt(7)
	v_mul_f32_e32 v137, v63, v97
	s_waitcnt vmcnt(34)
	;; [unrolled: 4-line block ×8, first 2 shown]
	v_fma_f32 v55, v55, v112, -v93
	v_fmac_f32_e32 v133, v56, v112
	v_mul_f32_e32 v56, v60, v95
	s_waitcnt vmcnt(19)
	v_fma_f32 v57, v57, v113, -v94
	v_fmac_f32_e32 v134, v58, v113
	v_add_f32_e32 v55, 0, v55
	v_add_f32_e32 v58, 0, v133
	v_mul_f32_e32 v93, v62, v96
	s_waitcnt vmcnt(18)
	v_fma_f32 v56, v59, v114, -v56
	v_fmac_f32_e32 v135, v60, v114
	v_add_f32_e32 v55, v55, v57
	v_add_f32_e32 v57, v58, v134
	;; [unrolled: 6-line block ×15, first 2 shown]
	v_mul_f32_e32 v57, v90, v110
	s_waitcnt vmcnt(4)
	v_fma_f32 v58, v87, v128, -v58
	v_mul_f32_e32 v150, v89, v110
	v_add_f32_e32 v55, v55, v59
	v_fmac_f32_e32 v149, v88, v128
	v_add_f32_e32 v56, v56, v148
	s_waitcnt lgkmcnt(0)
	v_mul_f32_e32 v59, v92, v111
	s_waitcnt vmcnt(3)
	v_fma_f32 v57, v89, v129, -v57
	v_add_f32_e32 v55, v55, v58
	v_mul_f32_e32 v151, v91, v111
	v_fmac_f32_e32 v150, v90, v129
	v_add_f32_e32 v56, v56, v149
	s_waitcnt vmcnt(2)
	v_fma_f32 v58, v91, v130, -v59
	v_add_f32_e32 v55, v55, v57
	v_fmac_f32_e32 v151, v92, v130
	v_add_f32_e32 v56, v56, v150
	v_add_f32_e32 v55, v55, v58
	;; [unrolled: 1-line block ×3, first 2 shown]
	s_waitcnt vmcnt(1)
	v_sub_f32_e32 v55, v131, v55
	s_waitcnt vmcnt(0)
	v_sub_f32_e32 v56, v132, v56
	buffer_store_dword v55, off, s[0:3], 0 offset:48
	buffer_store_dword v56, off, s[0:3], 0 offset:52
	v_cmpx_lt_u32_e32 5, v0
	s_cbranch_execz .LBB25_159
; %bb.158:
	s_clause 0x1
	buffer_load_dword v55, off, s[0:3], 0 offset:40
	buffer_load_dword v56, off, s[0:3], 0 offset:44
	buffer_store_dword v54, off, s[0:3], 0 offset:40
	buffer_store_dword v54, off, s[0:3], 0 offset:44
	s_waitcnt vmcnt(0)
	ds_write_b64 v53, v[55:56]
.LBB25_159:
	s_or_b32 exec_lo, exec_lo, s4
	s_waitcnt lgkmcnt(0)
	s_waitcnt_vscnt null, 0x0
	s_barrier
	buffer_gl0_inv
	s_clause 0x29
	buffer_load_dword v95, off, s[0:3], 0 offset:52
	buffer_load_dword v96, off, s[0:3], 0 offset:60
	;; [unrolled: 1-line block ×42, first 2 shown]
	ds_read_b128 v[55:58], v54 offset:256
	ds_read_b128 v[59:62], v54 offset:272
	ds_read_b128 v[63:66], v54 offset:288
	ds_read_b128 v[67:70], v54 offset:304
	ds_read_b128 v[71:74], v54 offset:320
	ds_read_b128 v[75:78], v54 offset:336
	ds_read_b128 v[79:82], v54 offset:352
	ds_read_b128 v[83:86], v54 offset:368
	ds_read_b128 v[87:90], v54 offset:384
	ds_read_b128 v[91:94], v54 offset:400
	s_mov_b32 s4, exec_lo
	s_waitcnt vmcnt(41) lgkmcnt(9)
	v_mul_f32_e32 v54, v55, v95
	v_mul_f32_e32 v95, v56, v95
	s_waitcnt vmcnt(40)
	v_mul_f32_e32 v137, v57, v96
	v_mul_f32_e32 v96, v58, v96
	s_waitcnt vmcnt(39) lgkmcnt(8)
	v_mul_f32_e32 v138, v59, v97
	s_waitcnt vmcnt(38)
	v_mul_f32_e32 v139, v61, v98
	s_waitcnt vmcnt(37) lgkmcnt(7)
	v_mul_f32_e32 v140, v63, v99
	s_waitcnt vmcnt(36)
	;; [unrolled: 4-line block ×8, first 2 shown]
	v_mul_f32_e32 v153, v89, v112
	s_waitcnt vmcnt(21)
	v_fma_f32 v55, v55, v115, -v95
	v_fmac_f32_e32 v54, v56, v115
	v_mul_f32_e32 v56, v60, v97
	s_waitcnt vmcnt(20)
	v_fma_f32 v57, v57, v116, -v96
	v_fmac_f32_e32 v137, v58, v116
	v_add_f32_e32 v55, 0, v55
	v_add_f32_e32 v54, 0, v54
	v_mul_f32_e32 v58, v62, v98
	s_waitcnt vmcnt(19)
	v_fma_f32 v56, v59, v117, -v56
	v_fmac_f32_e32 v138, v60, v117
	v_add_f32_e32 v55, v55, v57
	v_add_f32_e32 v54, v54, v137
	;; [unrolled: 6-line block ×16, first 2 shown]
	s_waitcnt lgkmcnt(0)
	v_mul_f32_e32 v58, v92, v113
	s_waitcnt vmcnt(4)
	v_fma_f32 v56, v89, v132, -v56
	v_mul_f32_e32 v154, v91, v113
	v_add_f32_e32 v55, v55, v57
	v_fmac_f32_e32 v153, v90, v132
	v_add_f32_e32 v54, v54, v152
	v_mul_f32_e32 v57, v94, v114
	s_waitcnt vmcnt(3)
	v_fma_f32 v58, v91, v133, -v58
	v_add_f32_e32 v55, v55, v56
	v_mul_f32_e32 v155, v93, v114
	v_fmac_f32_e32 v154, v92, v133
	v_add_f32_e32 v54, v54, v153
	s_waitcnt vmcnt(2)
	v_fma_f32 v56, v93, v134, -v57
	v_add_f32_e32 v55, v55, v58
	v_fmac_f32_e32 v155, v94, v134
	v_add_f32_e32 v54, v54, v154
	v_add_f32_e32 v55, v55, v56
	;; [unrolled: 1-line block ×3, first 2 shown]
	s_waitcnt vmcnt(1)
	v_sub_f32_e32 v55, v135, v55
	s_waitcnt vmcnt(0)
	v_sub_f32_e32 v54, v136, v54
	buffer_store_dword v55, off, s[0:3], 0 offset:40
	buffer_store_dword v54, off, s[0:3], 0 offset:44
	v_cmpx_lt_u32_e32 4, v0
	s_cbranch_execz .LBB25_161
; %bb.160:
	s_clause 0x1
	buffer_load_dword v54, off, s[0:3], 0 offset:32
	buffer_load_dword v55, off, s[0:3], 0 offset:36
	v_mov_b32_e32 v56, 0
	buffer_store_dword v56, off, s[0:3], 0 offset:32
	buffer_store_dword v56, off, s[0:3], 0 offset:36
	s_waitcnt vmcnt(0)
	ds_write_b64 v53, v[54:55]
.LBB25_161:
	s_or_b32 exec_lo, exec_lo, s4
	s_waitcnt lgkmcnt(0)
	s_waitcnt_vscnt null, 0x0
	s_barrier
	buffer_gl0_inv
	s_clause 0x2b
	buffer_load_dword v97, off, s[0:3], 0 offset:44
	buffer_load_dword v98, off, s[0:3], 0 offset:52
	buffer_load_dword v99, off, s[0:3], 0 offset:60
	buffer_load_dword v100, off, s[0:3], 0 offset:68
	buffer_load_dword v101, off, s[0:3], 0 offset:76
	buffer_load_dword v102, off, s[0:3], 0 offset:84
	buffer_load_dword v103, off, s[0:3], 0 offset:92
	buffer_load_dword v104, off, s[0:3], 0 offset:100
	buffer_load_dword v105, off, s[0:3], 0 offset:108
	buffer_load_dword v106, off, s[0:3], 0 offset:116
	buffer_load_dword v107, off, s[0:3], 0 offset:124
	buffer_load_dword v108, off, s[0:3], 0 offset:132
	buffer_load_dword v109, off, s[0:3], 0 offset:140
	buffer_load_dword v110, off, s[0:3], 0 offset:148
	buffer_load_dword v111, off, s[0:3], 0 offset:156
	buffer_load_dword v112, off, s[0:3], 0 offset:164
	buffer_load_dword v113, off, s[0:3], 0 offset:172
	buffer_load_dword v114, off, s[0:3], 0 offset:180
	buffer_load_dword v115, off, s[0:3], 0 offset:188
	buffer_load_dword v116, off, s[0:3], 0 offset:196
	buffer_load_dword v117, off, s[0:3], 0 offset:204
	buffer_load_dword v118, off, s[0:3], 0 offset:40
	buffer_load_dword v119, off, s[0:3], 0 offset:48
	buffer_load_dword v120, off, s[0:3], 0 offset:56
	buffer_load_dword v121, off, s[0:3], 0 offset:64
	buffer_load_dword v122, off, s[0:3], 0 offset:72
	buffer_load_dword v123, off, s[0:3], 0 offset:80
	buffer_load_dword v124, off, s[0:3], 0 offset:88
	buffer_load_dword v125, off, s[0:3], 0 offset:96
	buffer_load_dword v126, off, s[0:3], 0 offset:104
	buffer_load_dword v127, off, s[0:3], 0 offset:112
	buffer_load_dword v128, off, s[0:3], 0 offset:120
	buffer_load_dword v129, off, s[0:3], 0 offset:128
	buffer_load_dword v130, off, s[0:3], 0 offset:136
	buffer_load_dword v131, off, s[0:3], 0 offset:144
	buffer_load_dword v132, off, s[0:3], 0 offset:152
	buffer_load_dword v133, off, s[0:3], 0 offset:160
	buffer_load_dword v134, off, s[0:3], 0 offset:168
	buffer_load_dword v135, off, s[0:3], 0 offset:176
	buffer_load_dword v136, off, s[0:3], 0 offset:184
	buffer_load_dword v137, off, s[0:3], 0 offset:192
	buffer_load_dword v138, off, s[0:3], 0 offset:200
	buffer_load_dword v139, off, s[0:3], 0 offset:32
	buffer_load_dword v140, off, s[0:3], 0 offset:36
	v_mov_b32_e32 v54, 0
	ds_read2_b64 v[55:58], v54 offset0:31 offset1:32
	ds_read2_b64 v[59:62], v54 offset0:33 offset1:34
	;; [unrolled: 1-line block ×10, first 2 shown]
	ds_read_b64 v[95:96], v54 offset:408
	s_mov_b32 s4, exec_lo
	s_waitcnt vmcnt(43) lgkmcnt(10)
	v_mul_f32_e32 v141, v55, v97
	v_mul_f32_e32 v97, v56, v97
	s_waitcnt vmcnt(42)
	v_mul_f32_e32 v142, v57, v98
	v_mul_f32_e32 v98, v58, v98
	s_waitcnt vmcnt(41) lgkmcnt(9)
	v_mul_f32_e32 v143, v59, v99
	s_waitcnt vmcnt(40)
	v_mul_f32_e32 v144, v61, v100
	s_waitcnt vmcnt(39) lgkmcnt(8)
	v_mul_f32_e32 v145, v63, v101
	s_waitcnt vmcnt(38)
	;; [unrolled: 4-line block ×9, first 2 shown]
	v_fma_f32 v55, v55, v118, -v97
	v_fmac_f32_e32 v141, v56, v118
	v_mul_f32_e32 v56, v60, v99
	s_waitcnt vmcnt(21)
	v_fma_f32 v57, v57, v119, -v98
	v_fmac_f32_e32 v142, v58, v119
	v_add_f32_e32 v55, 0, v55
	v_add_f32_e32 v58, 0, v141
	v_mul_f32_e32 v97, v62, v100
	s_waitcnt vmcnt(20)
	v_fma_f32 v56, v59, v120, -v56
	v_fmac_f32_e32 v143, v60, v120
	v_add_f32_e32 v55, v55, v57
	v_add_f32_e32 v57, v58, v142
	;; [unrolled: 6-line block ×17, first 2 shown]
	v_mul_f32_e32 v58, v94, v116
	s_waitcnt vmcnt(4)
	v_fma_f32 v59, v91, v136, -v59
	v_mul_f32_e32 v160, v93, v116
	v_add_f32_e32 v55, v55, v57
	v_fmac_f32_e32 v159, v92, v136
	v_add_f32_e32 v56, v56, v158
	s_waitcnt lgkmcnt(0)
	v_mul_f32_e32 v57, v96, v117
	s_waitcnt vmcnt(3)
	v_fma_f32 v58, v93, v137, -v58
	v_add_f32_e32 v55, v55, v59
	v_mul_f32_e32 v161, v95, v117
	v_fmac_f32_e32 v160, v94, v137
	v_add_f32_e32 v56, v56, v159
	s_waitcnt vmcnt(2)
	v_fma_f32 v57, v95, v138, -v57
	v_add_f32_e32 v55, v55, v58
	v_fmac_f32_e32 v161, v96, v138
	v_add_f32_e32 v56, v56, v160
	v_add_f32_e32 v55, v55, v57
	;; [unrolled: 1-line block ×3, first 2 shown]
	s_waitcnt vmcnt(1)
	v_sub_f32_e32 v55, v139, v55
	s_waitcnt vmcnt(0)
	v_sub_f32_e32 v56, v140, v56
	buffer_store_dword v55, off, s[0:3], 0 offset:32
	buffer_store_dword v56, off, s[0:3], 0 offset:36
	v_cmpx_lt_u32_e32 3, v0
	s_cbranch_execz .LBB25_163
; %bb.162:
	s_clause 0x1
	buffer_load_dword v55, off, s[0:3], 0 offset:24
	buffer_load_dword v56, off, s[0:3], 0 offset:28
	buffer_store_dword v54, off, s[0:3], 0 offset:24
	buffer_store_dword v54, off, s[0:3], 0 offset:28
	s_waitcnt vmcnt(0)
	ds_write_b64 v53, v[55:56]
.LBB25_163:
	s_or_b32 exec_lo, exec_lo, s4
	s_waitcnt lgkmcnt(0)
	s_waitcnt_vscnt null, 0x0
	s_barrier
	buffer_gl0_inv
	s_clause 0x2d
	buffer_load_dword v99, off, s[0:3], 0 offset:36
	buffer_load_dword v100, off, s[0:3], 0 offset:44
	;; [unrolled: 1-line block ×46, first 2 shown]
	ds_read_b128 v[55:58], v54 offset:240
	ds_read_b128 v[59:62], v54 offset:256
	ds_read_b128 v[63:66], v54 offset:272
	ds_read_b128 v[67:70], v54 offset:288
	ds_read_b128 v[71:74], v54 offset:304
	ds_read_b128 v[75:78], v54 offset:320
	ds_read_b128 v[79:82], v54 offset:336
	ds_read_b128 v[83:86], v54 offset:352
	ds_read_b128 v[87:90], v54 offset:368
	ds_read_b128 v[91:94], v54 offset:384
	ds_read_b128 v[95:98], v54 offset:400
	s_mov_b32 s4, exec_lo
	s_waitcnt vmcnt(45) lgkmcnt(10)
	v_mul_f32_e32 v54, v55, v99
	v_mul_f32_e32 v99, v56, v99
	s_waitcnt vmcnt(44)
	v_mul_f32_e32 v145, v57, v100
	v_mul_f32_e32 v100, v58, v100
	s_waitcnt vmcnt(43) lgkmcnt(9)
	v_mul_f32_e32 v146, v59, v101
	s_waitcnt vmcnt(42)
	v_mul_f32_e32 v147, v61, v102
	s_waitcnt vmcnt(41) lgkmcnt(8)
	v_mul_f32_e32 v148, v63, v103
	s_waitcnt vmcnt(40)
	;; [unrolled: 4-line block ×9, first 2 shown]
	v_mul_f32_e32 v163, v93, v118
	s_waitcnt vmcnt(23)
	v_fma_f32 v55, v55, v121, -v99
	v_fmac_f32_e32 v54, v56, v121
	v_mul_f32_e32 v56, v60, v101
	s_waitcnt vmcnt(22)
	v_fma_f32 v57, v57, v122, -v100
	v_fmac_f32_e32 v145, v58, v122
	v_add_f32_e32 v55, 0, v55
	v_add_f32_e32 v54, 0, v54
	v_mul_f32_e32 v58, v62, v102
	s_waitcnt vmcnt(21)
	v_fma_f32 v56, v59, v123, -v56
	v_fmac_f32_e32 v146, v60, v123
	v_add_f32_e32 v55, v55, v57
	v_add_f32_e32 v54, v54, v145
	;; [unrolled: 6-line block ×18, first 2 shown]
	s_waitcnt lgkmcnt(0)
	v_mul_f32_e32 v56, v96, v119
	s_waitcnt vmcnt(4)
	v_fma_f32 v57, v93, v140, -v57
	v_mul_f32_e32 v164, v95, v119
	v_add_f32_e32 v55, v55, v58
	v_fmac_f32_e32 v163, v94, v140
	v_add_f32_e32 v54, v54, v162
	v_mul_f32_e32 v58, v98, v120
	s_waitcnt vmcnt(3)
	v_fma_f32 v56, v95, v141, -v56
	v_add_f32_e32 v55, v55, v57
	v_mul_f32_e32 v165, v97, v120
	v_fmac_f32_e32 v164, v96, v141
	v_add_f32_e32 v54, v54, v163
	s_waitcnt vmcnt(2)
	v_fma_f32 v57, v97, v142, -v58
	v_add_f32_e32 v55, v55, v56
	v_fmac_f32_e32 v165, v98, v142
	v_add_f32_e32 v54, v54, v164
	v_add_f32_e32 v55, v55, v57
	;; [unrolled: 1-line block ×3, first 2 shown]
	s_waitcnt vmcnt(1)
	v_sub_f32_e32 v55, v143, v55
	s_waitcnt vmcnt(0)
	v_sub_f32_e32 v54, v144, v54
	buffer_store_dword v55, off, s[0:3], 0 offset:24
	buffer_store_dword v54, off, s[0:3], 0 offset:28
	v_cmpx_lt_u32_e32 2, v0
	s_cbranch_execz .LBB25_165
; %bb.164:
	s_clause 0x1
	buffer_load_dword v54, off, s[0:3], 0 offset:16
	buffer_load_dword v55, off, s[0:3], 0 offset:20
	v_mov_b32_e32 v56, 0
	buffer_store_dword v56, off, s[0:3], 0 offset:16
	buffer_store_dword v56, off, s[0:3], 0 offset:20
	s_waitcnt vmcnt(0)
	ds_write_b64 v53, v[54:55]
.LBB25_165:
	s_or_b32 exec_lo, exec_lo, s4
	s_waitcnt lgkmcnt(0)
	s_waitcnt_vscnt null, 0x0
	s_barrier
	buffer_gl0_inv
	s_clause 0x2f
	buffer_load_dword v101, off, s[0:3], 0 offset:28
	buffer_load_dword v102, off, s[0:3], 0 offset:36
	;; [unrolled: 1-line block ×48, first 2 shown]
	v_mov_b32_e32 v54, 0
	ds_read2_b64 v[55:58], v54 offset0:29 offset1:30
	ds_read2_b64 v[59:62], v54 offset0:31 offset1:32
	;; [unrolled: 1-line block ×11, first 2 shown]
	ds_read_b64 v[99:100], v54 offset:408
	s_mov_b32 s4, exec_lo
	s_waitcnt vmcnt(47) lgkmcnt(11)
	v_mul_f32_e32 v149, v55, v101
	v_mul_f32_e32 v101, v56, v101
	s_waitcnt vmcnt(46)
	v_mul_f32_e32 v150, v57, v102
	v_mul_f32_e32 v102, v58, v102
	s_waitcnt vmcnt(45) lgkmcnt(10)
	v_mul_f32_e32 v151, v59, v103
	s_waitcnt vmcnt(44)
	v_mul_f32_e32 v152, v61, v104
	s_waitcnt vmcnt(43) lgkmcnt(9)
	v_mul_f32_e32 v153, v63, v105
	s_waitcnt vmcnt(42)
	;; [unrolled: 4-line block ×10, first 2 shown]
	v_fma_f32 v55, v55, v124, -v101
	v_fmac_f32_e32 v149, v56, v124
	v_mul_f32_e32 v56, v60, v103
	s_waitcnt vmcnt(23)
	v_fma_f32 v57, v57, v125, -v102
	v_fmac_f32_e32 v150, v58, v125
	v_add_f32_e32 v55, 0, v55
	v_add_f32_e32 v58, 0, v149
	v_mul_f32_e32 v101, v62, v104
	s_waitcnt vmcnt(22)
	v_fma_f32 v56, v59, v126, -v56
	v_fmac_f32_e32 v151, v60, v126
	v_add_f32_e32 v55, v55, v57
	v_add_f32_e32 v57, v58, v150
	;; [unrolled: 6-line block ×19, first 2 shown]
	v_mul_f32_e32 v59, v98, v122
	s_waitcnt vmcnt(4)
	v_fma_f32 v57, v95, v144, -v57
	v_mul_f32_e32 v170, v97, v122
	v_add_f32_e32 v55, v55, v58
	v_fmac_f32_e32 v169, v96, v144
	v_add_f32_e32 v56, v56, v168
	s_waitcnt lgkmcnt(0)
	v_mul_f32_e32 v58, v100, v123
	s_waitcnt vmcnt(3)
	v_fma_f32 v59, v97, v145, -v59
	v_add_f32_e32 v55, v55, v57
	v_mul_f32_e32 v171, v99, v123
	v_fmac_f32_e32 v170, v98, v145
	v_add_f32_e32 v56, v56, v169
	s_waitcnt vmcnt(2)
	v_fma_f32 v57, v99, v146, -v58
	v_add_f32_e32 v55, v55, v59
	v_fmac_f32_e32 v171, v100, v146
	v_add_f32_e32 v56, v56, v170
	v_add_f32_e32 v55, v55, v57
	;; [unrolled: 1-line block ×3, first 2 shown]
	s_waitcnt vmcnt(1)
	v_sub_f32_e32 v55, v147, v55
	s_waitcnt vmcnt(0)
	v_sub_f32_e32 v56, v148, v56
	buffer_store_dword v55, off, s[0:3], 0 offset:16
	buffer_store_dword v56, off, s[0:3], 0 offset:20
	v_cmpx_lt_u32_e32 1, v0
	s_cbranch_execz .LBB25_167
; %bb.166:
	s_clause 0x1
	buffer_load_dword v55, off, s[0:3], 0 offset:8
	buffer_load_dword v56, off, s[0:3], 0 offset:12
	buffer_store_dword v54, off, s[0:3], 0 offset:8
	buffer_store_dword v54, off, s[0:3], 0 offset:12
	s_waitcnt vmcnt(0)
	ds_write_b64 v53, v[55:56]
.LBB25_167:
	s_or_b32 exec_lo, exec_lo, s4
	s_waitcnt lgkmcnt(0)
	s_waitcnt_vscnt null, 0x0
	s_barrier
	buffer_gl0_inv
	s_clause 0x31
	buffer_load_dword v103, off, s[0:3], 0 offset:20
	buffer_load_dword v104, off, s[0:3], 0 offset:28
	;; [unrolled: 1-line block ×50, first 2 shown]
	ds_read_b128 v[55:58], v54 offset:224
	ds_read_b128 v[59:62], v54 offset:240
	;; [unrolled: 1-line block ×12, first 2 shown]
	s_mov_b32 s4, exec_lo
	s_waitcnt vmcnt(49) lgkmcnt(11)
	v_mul_f32_e32 v54, v55, v103
	v_mul_f32_e32 v103, v56, v103
	s_waitcnt vmcnt(48)
	v_mul_f32_e32 v153, v57, v104
	v_mul_f32_e32 v104, v58, v104
	s_waitcnt vmcnt(47) lgkmcnt(10)
	v_mul_f32_e32 v154, v59, v105
	s_waitcnt vmcnt(46)
	v_mul_f32_e32 v155, v61, v106
	s_waitcnt vmcnt(45) lgkmcnt(9)
	v_mul_f32_e32 v156, v63, v107
	s_waitcnt vmcnt(44)
	;; [unrolled: 4-line block ×10, first 2 shown]
	v_mul_f32_e32 v173, v97, v124
	s_waitcnt vmcnt(25)
	v_fma_f32 v55, v55, v127, -v103
	v_fmac_f32_e32 v54, v56, v127
	v_mul_f32_e32 v56, v60, v105
	s_waitcnt vmcnt(24)
	v_fma_f32 v57, v57, v128, -v104
	v_fmac_f32_e32 v153, v58, v128
	v_add_f32_e32 v55, 0, v55
	v_add_f32_e32 v54, 0, v54
	v_mul_f32_e32 v58, v62, v106
	s_waitcnt vmcnt(23)
	v_fma_f32 v56, v59, v129, -v56
	v_fmac_f32_e32 v154, v60, v129
	v_add_f32_e32 v55, v55, v57
	v_add_f32_e32 v54, v54, v153
	;; [unrolled: 6-line block ×20, first 2 shown]
	s_waitcnt lgkmcnt(0)
	v_mul_f32_e32 v57, v100, v125
	s_waitcnt vmcnt(4)
	v_fma_f32 v58, v97, v148, -v58
	v_mul_f32_e32 v174, v99, v125
	v_add_f32_e32 v55, v55, v56
	v_fmac_f32_e32 v173, v98, v148
	v_add_f32_e32 v54, v54, v172
	v_mul_f32_e32 v56, v102, v126
	s_waitcnt vmcnt(3)
	v_fma_f32 v57, v99, v149, -v57
	v_add_f32_e32 v55, v55, v58
	v_mul_f32_e32 v175, v101, v126
	v_fmac_f32_e32 v174, v100, v149
	v_add_f32_e32 v54, v54, v173
	s_waitcnt vmcnt(2)
	v_fma_f32 v56, v101, v150, -v56
	v_add_f32_e32 v55, v55, v57
	v_fmac_f32_e32 v175, v102, v150
	v_add_f32_e32 v54, v54, v174
	v_add_f32_e32 v55, v55, v56
	;; [unrolled: 1-line block ×3, first 2 shown]
	s_waitcnt vmcnt(1)
	v_sub_f32_e32 v55, v151, v55
	s_waitcnt vmcnt(0)
	v_sub_f32_e32 v54, v152, v54
	buffer_store_dword v55, off, s[0:3], 0 offset:8
	buffer_store_dword v54, off, s[0:3], 0 offset:12
	v_cmpx_ne_u32_e32 0, v0
	s_cbranch_execz .LBB25_169
; %bb.168:
	s_clause 0x1
	buffer_load_dword v54, off, s[0:3], 0
	buffer_load_dword v55, off, s[0:3], 0 offset:4
	v_mov_b32_e32 v0, 0
	buffer_store_dword v0, off, s[0:3], 0
	buffer_store_dword v0, off, s[0:3], 0 offset:4
	s_waitcnt vmcnt(0)
	ds_write_b64 v53, v[54:55]
.LBB25_169:
	s_or_b32 exec_lo, exec_lo, s4
	s_waitcnt lgkmcnt(0)
	s_waitcnt_vscnt null, 0x0
	s_barrier
	buffer_gl0_inv
	s_clause 0x33
	buffer_load_dword v103, off, s[0:3], 0 offset:12
	buffer_load_dword v104, off, s[0:3], 0 offset:20
	;; [unrolled: 1-line block ×50, first 2 shown]
	buffer_load_dword v153, off, s[0:3], 0
	buffer_load_dword v154, off, s[0:3], 0 offset:4
	v_mov_b32_e32 v0, 0
	ds_read2_b64 v[53:56], v0 offset0:27 offset1:28
	ds_read2_b64 v[57:60], v0 offset0:29 offset1:30
	;; [unrolled: 1-line block ×12, first 2 shown]
	ds_read_b64 v[101:102], v0 offset:408
	s_and_b32 vcc_lo, exec_lo, s22
	s_waitcnt vmcnt(51) lgkmcnt(12)
	v_mul_f32_e32 v155, v53, v103
	v_mul_f32_e32 v103, v54, v103
	s_waitcnt vmcnt(50)
	v_mul_f32_e32 v156, v55, v104
	v_mul_f32_e32 v104, v56, v104
	s_waitcnt vmcnt(49) lgkmcnt(11)
	v_mul_f32_e32 v157, v57, v105
	s_waitcnt vmcnt(48)
	v_mul_f32_e32 v158, v59, v106
	s_waitcnt vmcnt(47) lgkmcnt(10)
	v_mul_f32_e32 v159, v61, v107
	s_waitcnt vmcnt(46)
	v_mul_f32_e32 v160, v63, v108
	s_waitcnt vmcnt(45) lgkmcnt(9)
	v_mul_f32_e32 v161, v65, v109
	s_waitcnt vmcnt(44)
	v_mul_f32_e32 v162, v67, v110
	s_waitcnt vmcnt(43) lgkmcnt(8)
	v_mul_f32_e32 v163, v69, v111
	s_waitcnt vmcnt(42)
	v_mul_f32_e32 v164, v71, v112
	s_waitcnt vmcnt(41) lgkmcnt(7)
	v_mul_f32_e32 v165, v73, v113
	s_waitcnt vmcnt(40)
	v_mul_f32_e32 v166, v75, v114
	s_waitcnt vmcnt(39) lgkmcnt(6)
	v_mul_f32_e32 v167, v77, v115
	s_waitcnt vmcnt(38)
	v_mul_f32_e32 v168, v79, v116
	s_waitcnt vmcnt(37) lgkmcnt(5)
	v_mul_f32_e32 v169, v81, v117
	s_waitcnt vmcnt(36)
	v_mul_f32_e32 v170, v83, v118
	s_waitcnt vmcnt(35) lgkmcnt(4)
	v_mul_f32_e32 v171, v85, v119
	s_waitcnt vmcnt(34)
	v_mul_f32_e32 v172, v87, v120
	s_waitcnt vmcnt(33) lgkmcnt(3)
	v_mul_f32_e32 v173, v89, v121
	s_waitcnt vmcnt(32)
	v_mul_f32_e32 v174, v91, v122
	s_waitcnt vmcnt(31) lgkmcnt(2)
	v_mul_f32_e32 v175, v93, v123
	s_waitcnt vmcnt(30)
	v_mul_f32_e32 v176, v95, v124
	s_waitcnt vmcnt(29) lgkmcnt(1)
	v_mul_f32_e32 v177, v97, v125
	s_waitcnt vmcnt(26)
	v_fma_f32 v53, v53, v128, -v103
	v_fmac_f32_e32 v155, v54, v128
	v_mul_f32_e32 v54, v58, v105
	s_waitcnt vmcnt(25)
	v_fma_f32 v55, v55, v129, -v104
	v_fmac_f32_e32 v156, v56, v129
	v_add_f32_e32 v53, 0, v53
	v_add_f32_e32 v56, 0, v155
	v_mul_f32_e32 v103, v60, v106
	s_waitcnt vmcnt(24)
	v_fma_f32 v54, v57, v130, -v54
	v_fmac_f32_e32 v157, v58, v130
	v_add_f32_e32 v53, v53, v55
	v_add_f32_e32 v55, v56, v156
	;; [unrolled: 6-line block ×21, first 2 shown]
	v_mul_f32_e32 v55, v100, v126
	s_waitcnt vmcnt(4)
	v_fma_f32 v56, v97, v150, -v56
	v_mul_f32_e32 v178, v99, v126
	v_add_f32_e32 v53, v53, v57
	v_fmac_f32_e32 v177, v98, v150
	v_add_f32_e32 v54, v54, v176
	s_waitcnt lgkmcnt(0)
	v_mul_f32_e32 v57, v102, v127
	s_waitcnt vmcnt(3)
	v_fma_f32 v55, v99, v151, -v55
	v_add_f32_e32 v53, v53, v56
	v_mul_f32_e32 v179, v101, v127
	v_fmac_f32_e32 v178, v100, v151
	v_add_f32_e32 v54, v54, v177
	s_waitcnt vmcnt(2)
	v_fma_f32 v56, v101, v152, -v57
	v_add_f32_e32 v53, v53, v55
	v_fmac_f32_e32 v179, v102, v152
	v_add_f32_e32 v54, v54, v178
	v_add_f32_e32 v53, v53, v56
	v_add_f32_e32 v54, v54, v179
	s_waitcnt vmcnt(1)
	v_sub_f32_e32 v53, v153, v53
	s_waitcnt vmcnt(0)
	v_sub_f32_e32 v54, v154, v54
	buffer_store_dword v53, off, s[0:3], 0
	buffer_store_dword v54, off, s[0:3], 0 offset:4
	s_cbranch_vccz .LBB25_220
; %bb.170:
	global_load_dword v0, v0, s[20:21] offset:96
	s_waitcnt vmcnt(0)
	v_add_nc_u32_e32 v0, -1, v0
	v_cmp_ne_u32_e32 vcc_lo, 24, v0
	s_cbranch_vccz .LBB25_172
; %bb.171:
	v_lshlrev_b32_e32 v0, 3, v0
	s_clause 0x3
	buffer_load_dword v53, v0, s[0:3], 0 offen
	buffer_load_dword v54, v0, s[0:3], 0 offen offset:4
	buffer_load_dword v55, off, s[0:3], 0 offset:196
	buffer_load_dword v56, off, s[0:3], 0 offset:192
	s_waitcnt vmcnt(3)
	buffer_store_dword v53, off, s[0:3], 0 offset:192
	s_waitcnt vmcnt(2)
	buffer_store_dword v54, off, s[0:3], 0 offset:196
	s_waitcnt vmcnt(1)
	buffer_store_dword v55, v0, s[0:3], 0 offen offset:4
	s_waitcnt vmcnt(0)
	buffer_store_dword v56, v0, s[0:3], 0 offen
.LBB25_172:
	v_mov_b32_e32 v0, 0
	global_load_dword v53, v0, s[20:21] offset:92
	s_waitcnt vmcnt(0)
	v_add_nc_u32_e32 v53, -1, v53
	v_cmp_eq_u32_e32 vcc_lo, 23, v53
	s_cbranch_vccnz .LBB25_174
; %bb.173:
	v_lshlrev_b32_e32 v53, 3, v53
	s_clause 0x3
	buffer_load_dword v54, v53, s[0:3], 0 offen
	buffer_load_dword v55, v53, s[0:3], 0 offen offset:4
	buffer_load_dword v56, off, s[0:3], 0 offset:184
	buffer_load_dword v57, off, s[0:3], 0 offset:188
	s_waitcnt vmcnt(3)
	buffer_store_dword v54, off, s[0:3], 0 offset:184
	s_waitcnt vmcnt(2)
	buffer_store_dword v55, off, s[0:3], 0 offset:188
	s_waitcnt vmcnt(1)
	buffer_store_dword v56, v53, s[0:3], 0 offen
	s_waitcnt vmcnt(0)
	buffer_store_dword v57, v53, s[0:3], 0 offen offset:4
.LBB25_174:
	global_load_dword v0, v0, s[20:21] offset:88
	s_waitcnt vmcnt(0)
	v_add_nc_u32_e32 v0, -1, v0
	v_cmp_eq_u32_e32 vcc_lo, 22, v0
	s_cbranch_vccnz .LBB25_176
; %bb.175:
	v_lshlrev_b32_e32 v0, 3, v0
	s_clause 0x3
	buffer_load_dword v53, v0, s[0:3], 0 offen
	buffer_load_dword v54, v0, s[0:3], 0 offen offset:4
	buffer_load_dword v55, off, s[0:3], 0 offset:180
	buffer_load_dword v56, off, s[0:3], 0 offset:176
	s_waitcnt vmcnt(3)
	buffer_store_dword v53, off, s[0:3], 0 offset:176
	s_waitcnt vmcnt(2)
	buffer_store_dword v54, off, s[0:3], 0 offset:180
	s_waitcnt vmcnt(1)
	buffer_store_dword v55, v0, s[0:3], 0 offen offset:4
	s_waitcnt vmcnt(0)
	buffer_store_dword v56, v0, s[0:3], 0 offen
.LBB25_176:
	v_mov_b32_e32 v0, 0
	global_load_dword v53, v0, s[20:21] offset:84
	s_waitcnt vmcnt(0)
	v_add_nc_u32_e32 v53, -1, v53
	v_cmp_eq_u32_e32 vcc_lo, 21, v53
	s_cbranch_vccnz .LBB25_178
; %bb.177:
	v_lshlrev_b32_e32 v53, 3, v53
	s_clause 0x3
	buffer_load_dword v54, v53, s[0:3], 0 offen
	buffer_load_dword v55, v53, s[0:3], 0 offen offset:4
	buffer_load_dword v56, off, s[0:3], 0 offset:168
	buffer_load_dword v57, off, s[0:3], 0 offset:172
	s_waitcnt vmcnt(3)
	buffer_store_dword v54, off, s[0:3], 0 offset:168
	s_waitcnt vmcnt(2)
	buffer_store_dword v55, off, s[0:3], 0 offset:172
	s_waitcnt vmcnt(1)
	buffer_store_dword v56, v53, s[0:3], 0 offen
	s_waitcnt vmcnt(0)
	buffer_store_dword v57, v53, s[0:3], 0 offen offset:4
.LBB25_178:
	global_load_dword v0, v0, s[20:21] offset:80
	s_waitcnt vmcnt(0)
	v_add_nc_u32_e32 v0, -1, v0
	v_cmp_eq_u32_e32 vcc_lo, 20, v0
	s_cbranch_vccnz .LBB25_180
; %bb.179:
	v_lshlrev_b32_e32 v0, 3, v0
	s_clause 0x3
	buffer_load_dword v53, v0, s[0:3], 0 offen
	buffer_load_dword v54, v0, s[0:3], 0 offen offset:4
	buffer_load_dword v55, off, s[0:3], 0 offset:164
	buffer_load_dword v56, off, s[0:3], 0 offset:160
	s_waitcnt vmcnt(3)
	buffer_store_dword v53, off, s[0:3], 0 offset:160
	s_waitcnt vmcnt(2)
	buffer_store_dword v54, off, s[0:3], 0 offset:164
	s_waitcnt vmcnt(1)
	buffer_store_dword v55, v0, s[0:3], 0 offen offset:4
	s_waitcnt vmcnt(0)
	buffer_store_dword v56, v0, s[0:3], 0 offen
.LBB25_180:
	;; [unrolled: 43-line block ×11, first 2 shown]
	v_mov_b32_e32 v0, 0
	global_load_dword v53, v0, s[20:21] offset:4
	s_waitcnt vmcnt(0)
	v_add_nc_u32_e32 v53, -1, v53
	v_cmp_eq_u32_e32 vcc_lo, 1, v53
	s_cbranch_vccnz .LBB25_218
; %bb.217:
	v_lshlrev_b32_e32 v53, 3, v53
	s_clause 0x3
	buffer_load_dword v54, v53, s[0:3], 0 offen
	buffer_load_dword v55, v53, s[0:3], 0 offen offset:4
	buffer_load_dword v56, off, s[0:3], 0 offset:8
	buffer_load_dword v57, off, s[0:3], 0 offset:12
	s_waitcnt vmcnt(3)
	buffer_store_dword v54, off, s[0:3], 0 offset:8
	s_waitcnt vmcnt(2)
	buffer_store_dword v55, off, s[0:3], 0 offset:12
	s_waitcnt vmcnt(1)
	buffer_store_dword v56, v53, s[0:3], 0 offen
	s_waitcnt vmcnt(0)
	buffer_store_dword v57, v53, s[0:3], 0 offen offset:4
.LBB25_218:
	global_load_dword v0, v0, s[20:21]
	s_waitcnt vmcnt(0)
	v_add_nc_u32_e32 v0, -1, v0
	v_cmp_eq_u32_e32 vcc_lo, 0, v0
	s_cbranch_vccnz .LBB25_220
; %bb.219:
	v_lshlrev_b32_e32 v0, 3, v0
	s_clause 0x3
	buffer_load_dword v53, v0, s[0:3], 0 offen
	buffer_load_dword v54, v0, s[0:3], 0 offen offset:4
	buffer_load_dword v55, off, s[0:3], 0 offset:4
	buffer_load_dword v56, off, s[0:3], 0
	s_waitcnt vmcnt(3)
	buffer_store_dword v53, off, s[0:3], 0
	s_waitcnt vmcnt(2)
	buffer_store_dword v54, off, s[0:3], 0 offset:4
	s_waitcnt vmcnt(1)
	buffer_store_dword v55, v0, s[0:3], 0 offen offset:4
	s_waitcnt vmcnt(0)
	buffer_store_dword v56, v0, s[0:3], 0 offen
.LBB25_220:
	s_clause 0x33
	buffer_load_dword v53, off, s[0:3], 0
	buffer_load_dword v54, off, s[0:3], 0 offset:4
	buffer_load_dword v55, off, s[0:3], 0 offset:8
	;; [unrolled: 1-line block ×51, first 2 shown]
	s_waitcnt vmcnt(50)
	global_store_dwordx2 v[1:2], v[53:54], off
	s_waitcnt vmcnt(48)
	global_store_dwordx2 v[3:4], v[55:56], off
	;; [unrolled: 2-line block ×9, first 2 shown]
	global_store_dwordx2 v[19:20], v[71:72], off
	global_store_dwordx2 v[21:22], v[73:74], off
	;; [unrolled: 1-line block ×3, first 2 shown]
	s_waitcnt vmcnt(26)
	global_store_dwordx2 v[25:26], v[77:78], off
	s_waitcnt vmcnt(24)
	global_store_dwordx2 v[27:28], v[79:80], off
	;; [unrolled: 2-line block ×14, first 2 shown]
	s_endpgm
	.section	.rodata,"a",@progbits
	.p2align	6, 0x0
	.amdhsa_kernel _ZN9rocsolver6v33100L18getri_kernel_smallILi26E19rocblas_complex_numIfEPS3_EEvT1_iilPiilS6_bb
		.amdhsa_group_segment_fixed_size 420
		.amdhsa_private_segment_fixed_size 224
		.amdhsa_kernarg_size 60
		.amdhsa_user_sgpr_count 6
		.amdhsa_user_sgpr_private_segment_buffer 1
		.amdhsa_user_sgpr_dispatch_ptr 0
		.amdhsa_user_sgpr_queue_ptr 0
		.amdhsa_user_sgpr_kernarg_segment_ptr 1
		.amdhsa_user_sgpr_dispatch_id 0
		.amdhsa_user_sgpr_flat_scratch_init 0
		.amdhsa_user_sgpr_private_segment_size 0
		.amdhsa_wavefront_size32 1
		.amdhsa_uses_dynamic_stack 0
		.amdhsa_system_sgpr_private_segment_wavefront_offset 1
		.amdhsa_system_sgpr_workgroup_id_x 1
		.amdhsa_system_sgpr_workgroup_id_y 0
		.amdhsa_system_sgpr_workgroup_id_z 0
		.amdhsa_system_sgpr_workgroup_info 0
		.amdhsa_system_vgpr_workitem_id 0
		.amdhsa_next_free_vgpr 180
		.amdhsa_next_free_sgpr 23
		.amdhsa_reserve_vcc 1
		.amdhsa_reserve_flat_scratch 0
		.amdhsa_float_round_mode_32 0
		.amdhsa_float_round_mode_16_64 0
		.amdhsa_float_denorm_mode_32 3
		.amdhsa_float_denorm_mode_16_64 3
		.amdhsa_dx10_clamp 1
		.amdhsa_ieee_mode 1
		.amdhsa_fp16_overflow 0
		.amdhsa_workgroup_processor_mode 1
		.amdhsa_memory_ordered 1
		.amdhsa_forward_progress 1
		.amdhsa_shared_vgpr_count 0
		.amdhsa_exception_fp_ieee_invalid_op 0
		.amdhsa_exception_fp_denorm_src 0
		.amdhsa_exception_fp_ieee_div_zero 0
		.amdhsa_exception_fp_ieee_overflow 0
		.amdhsa_exception_fp_ieee_underflow 0
		.amdhsa_exception_fp_ieee_inexact 0
		.amdhsa_exception_int_div_zero 0
	.end_amdhsa_kernel
	.section	.text._ZN9rocsolver6v33100L18getri_kernel_smallILi26E19rocblas_complex_numIfEPS3_EEvT1_iilPiilS6_bb,"axG",@progbits,_ZN9rocsolver6v33100L18getri_kernel_smallILi26E19rocblas_complex_numIfEPS3_EEvT1_iilPiilS6_bb,comdat
.Lfunc_end25:
	.size	_ZN9rocsolver6v33100L18getri_kernel_smallILi26E19rocblas_complex_numIfEPS3_EEvT1_iilPiilS6_bb, .Lfunc_end25-_ZN9rocsolver6v33100L18getri_kernel_smallILi26E19rocblas_complex_numIfEPS3_EEvT1_iilPiilS6_bb
                                        ; -- End function
	.set _ZN9rocsolver6v33100L18getri_kernel_smallILi26E19rocblas_complex_numIfEPS3_EEvT1_iilPiilS6_bb.num_vgpr, 180
	.set _ZN9rocsolver6v33100L18getri_kernel_smallILi26E19rocblas_complex_numIfEPS3_EEvT1_iilPiilS6_bb.num_agpr, 0
	.set _ZN9rocsolver6v33100L18getri_kernel_smallILi26E19rocblas_complex_numIfEPS3_EEvT1_iilPiilS6_bb.numbered_sgpr, 23
	.set _ZN9rocsolver6v33100L18getri_kernel_smallILi26E19rocblas_complex_numIfEPS3_EEvT1_iilPiilS6_bb.num_named_barrier, 0
	.set _ZN9rocsolver6v33100L18getri_kernel_smallILi26E19rocblas_complex_numIfEPS3_EEvT1_iilPiilS6_bb.private_seg_size, 224
	.set _ZN9rocsolver6v33100L18getri_kernel_smallILi26E19rocblas_complex_numIfEPS3_EEvT1_iilPiilS6_bb.uses_vcc, 1
	.set _ZN9rocsolver6v33100L18getri_kernel_smallILi26E19rocblas_complex_numIfEPS3_EEvT1_iilPiilS6_bb.uses_flat_scratch, 0
	.set _ZN9rocsolver6v33100L18getri_kernel_smallILi26E19rocblas_complex_numIfEPS3_EEvT1_iilPiilS6_bb.has_dyn_sized_stack, 0
	.set _ZN9rocsolver6v33100L18getri_kernel_smallILi26E19rocblas_complex_numIfEPS3_EEvT1_iilPiilS6_bb.has_recursion, 0
	.set _ZN9rocsolver6v33100L18getri_kernel_smallILi26E19rocblas_complex_numIfEPS3_EEvT1_iilPiilS6_bb.has_indirect_call, 0
	.section	.AMDGPU.csdata,"",@progbits
; Kernel info:
; codeLenInByte = 34248
; TotalNumSgprs: 25
; NumVgprs: 180
; ScratchSize: 224
; MemoryBound: 0
; FloatMode: 240
; IeeeMode: 1
; LDSByteSize: 420 bytes/workgroup (compile time only)
; SGPRBlocks: 0
; VGPRBlocks: 22
; NumSGPRsForWavesPerEU: 25
; NumVGPRsForWavesPerEU: 180
; Occupancy: 5
; WaveLimiterHint : 1
; COMPUTE_PGM_RSRC2:SCRATCH_EN: 1
; COMPUTE_PGM_RSRC2:USER_SGPR: 6
; COMPUTE_PGM_RSRC2:TRAP_HANDLER: 0
; COMPUTE_PGM_RSRC2:TGID_X_EN: 1
; COMPUTE_PGM_RSRC2:TGID_Y_EN: 0
; COMPUTE_PGM_RSRC2:TGID_Z_EN: 0
; COMPUTE_PGM_RSRC2:TIDIG_COMP_CNT: 0
	.section	.text._ZN9rocsolver6v33100L18getri_kernel_smallILi27E19rocblas_complex_numIfEPS3_EEvT1_iilPiilS6_bb,"axG",@progbits,_ZN9rocsolver6v33100L18getri_kernel_smallILi27E19rocblas_complex_numIfEPS3_EEvT1_iilPiilS6_bb,comdat
	.globl	_ZN9rocsolver6v33100L18getri_kernel_smallILi27E19rocblas_complex_numIfEPS3_EEvT1_iilPiilS6_bb ; -- Begin function _ZN9rocsolver6v33100L18getri_kernel_smallILi27E19rocblas_complex_numIfEPS3_EEvT1_iilPiilS6_bb
	.p2align	8
	.type	_ZN9rocsolver6v33100L18getri_kernel_smallILi27E19rocblas_complex_numIfEPS3_EEvT1_iilPiilS6_bb,@function
_ZN9rocsolver6v33100L18getri_kernel_smallILi27E19rocblas_complex_numIfEPS3_EEvT1_iilPiilS6_bb: ; @_ZN9rocsolver6v33100L18getri_kernel_smallILi27E19rocblas_complex_numIfEPS3_EEvT1_iilPiilS6_bb
; %bb.0:
	s_add_u32 s0, s0, s7
	s_addc_u32 s1, s1, 0
	s_mov_b32 s7, exec_lo
	v_cmpx_gt_u32_e32 27, v0
	s_cbranch_execz .LBB26_122
; %bb.1:
	s_clause 0x2
	s_load_dword s7, s[4:5], 0x38
	s_load_dwordx4 s[16:19], s[4:5], 0x10
	s_load_dwordx4 s[8:11], s[4:5], 0x28
                                        ; implicit-def: $sgpr20_sgpr21
	s_waitcnt lgkmcnt(0)
	s_bitcmp1_b32 s7, 8
	s_cselect_b32 s22, -1, 0
	s_bfe_u32 s12, s7, 0x10008
	s_ashr_i32 s7, s6, 31
	s_cmp_eq_u32 s12, 0
	s_cbranch_scc1 .LBB26_3
; %bb.2:
	s_load_dword s12, s[4:5], 0x20
	s_mul_i32 s13, s8, s7
	s_mul_hi_u32 s14, s8, s6
	s_mul_i32 s9, s9, s6
	s_add_i32 s13, s14, s13
	s_mul_i32 s8, s8, s6
	s_add_i32 s9, s13, s9
	s_lshl_b64 s[8:9], s[8:9], 2
	s_waitcnt lgkmcnt(0)
	s_ashr_i32 s13, s12, 31
	s_add_u32 s14, s18, s8
	s_addc_u32 s15, s19, s9
	s_lshl_b64 s[8:9], s[12:13], 2
	s_add_u32 s20, s14, s8
	s_addc_u32 s21, s15, s9
.LBB26_3:
	s_clause 0x1
	s_load_dwordx4 s[12:15], s[4:5], 0x0
	s_load_dword s8, s[4:5], 0x38
	s_mul_i32 s4, s16, s7
	s_mul_hi_u32 s5, s16, s6
	s_mul_i32 s9, s17, s6
	s_add_i32 s5, s5, s4
	s_mul_i32 s4, s16, s6
	s_add_i32 s5, s5, s9
	v_lshlrev_b32_e32 v57, 3, v0
	s_lshl_b64 s[4:5], s[4:5], 3
	s_waitcnt lgkmcnt(0)
	v_add3_u32 v3, s15, s15, v0
	s_ashr_i32 s17, s14, 31
	s_mov_b32 s16, s14
	s_add_u32 s9, s12, s4
	s_addc_u32 s13, s13, s5
	v_add_nc_u32_e32 v5, s15, v3
	s_lshl_b64 s[4:5], s[16:17], 3
	v_ashrrev_i32_e32 v4, 31, v3
	s_add_u32 s4, s9, s4
	s_addc_u32 s5, s13, s5
	v_add_nc_u32_e32 v9, s15, v5
	v_ashrrev_i32_e32 v6, 31, v5
	v_add_co_u32 v1, s9, s4, v57
	s_mov_b32 s12, s15
	s_ashr_i32 s13, s15, 31
	v_lshlrev_b64 v[7:8], 3, v[3:4]
	v_add_nc_u32_e32 v13, s15, v9
	v_add_co_ci_u32_e64 v2, null, s5, 0, s9
	s_lshl_b64 s[12:13], s[12:13], 3
	v_lshlrev_b64 v[11:12], 3, v[5:6]
	v_add_co_u32 v3, vcc_lo, v1, s12
	v_ashrrev_i32_e32 v14, 31, v13
	v_add_nc_u32_e32 v15, s15, v13
	v_add_co_ci_u32_e64 v4, null, s13, v2, vcc_lo
	v_add_co_u32 v5, vcc_lo, s4, v7
	v_add_co_ci_u32_e64 v6, null, s5, v8, vcc_lo
	v_add_co_u32 v7, vcc_lo, s4, v11
	v_add_co_ci_u32_e64 v8, null, s5, v12, vcc_lo
	v_lshlrev_b64 v[11:12], 3, v[13:14]
	v_add_nc_u32_e32 v13, s15, v15
	v_ashrrev_i32_e32 v10, 31, v9
	v_ashrrev_i32_e32 v16, 31, v15
	s_clause 0x3
	global_load_dwordx2 v[55:56], v57, s[4:5]
	global_load_dwordx2 v[58:59], v[3:4], off
	global_load_dwordx2 v[60:61], v[5:6], off
	;; [unrolled: 1-line block ×3, first 2 shown]
	v_add_nc_u32_e32 v17, s15, v13
	v_lshlrev_b64 v[9:10], 3, v[9:10]
	v_ashrrev_i32_e32 v14, 31, v13
	v_lshlrev_b64 v[15:16], 3, v[15:16]
	s_bitcmp0_b32 s8, 0
	v_add_nc_u32_e32 v21, s15, v17
	v_ashrrev_i32_e32 v18, 31, v17
	v_add_co_u32 v9, vcc_lo, s4, v9
	v_lshlrev_b64 v[19:20], 3, v[13:14]
	v_add_co_ci_u32_e64 v10, null, s5, v10, vcc_lo
	v_add_co_u32 v11, vcc_lo, s4, v11
	v_ashrrev_i32_e32 v22, 31, v21
	v_add_nc_u32_e32 v23, s15, v21
	v_add_co_ci_u32_e64 v12, null, s5, v12, vcc_lo
	v_add_co_u32 v13, vcc_lo, s4, v15
	v_add_co_ci_u32_e64 v14, null, s5, v16, vcc_lo
	v_add_co_u32 v15, vcc_lo, s4, v19
	v_add_co_ci_u32_e64 v16, null, s5, v20, vcc_lo
	v_lshlrev_b64 v[19:20], 3, v[21:22]
	v_add_nc_u32_e32 v21, s15, v23
	v_ashrrev_i32_e32 v24, 31, v23
	v_lshlrev_b64 v[17:18], 3, v[17:18]
	global_load_dwordx2 v[64:65], v[9:10], off
	v_add_nc_u32_e32 v25, s15, v21
	v_ashrrev_i32_e32 v22, 31, v21
	v_lshlrev_b64 v[23:24], 3, v[23:24]
	v_add_co_u32 v17, vcc_lo, s4, v17
	v_add_nc_u32_e32 v29, s15, v25
	v_lshlrev_b64 v[27:28], 3, v[21:22]
	v_add_co_ci_u32_e64 v18, null, s5, v18, vcc_lo
	v_add_co_u32 v19, vcc_lo, s4, v19
	v_ashrrev_i32_e32 v30, 31, v29
	v_add_nc_u32_e32 v31, s15, v29
	v_add_co_ci_u32_e64 v20, null, s5, v20, vcc_lo
	v_add_co_u32 v21, vcc_lo, s4, v23
	v_add_co_ci_u32_e64 v22, null, s5, v24, vcc_lo
	v_add_co_u32 v23, vcc_lo, s4, v27
	v_add_co_ci_u32_e64 v24, null, s5, v28, vcc_lo
	v_lshlrev_b64 v[27:28], 3, v[29:30]
	v_add_nc_u32_e32 v29, s15, v31
	v_ashrrev_i32_e32 v26, 31, v25
	v_ashrrev_i32_e32 v32, 31, v31
	s_clause 0x5
	global_load_dwordx2 v[68:69], v[11:12], off
	global_load_dwordx2 v[70:71], v[13:14], off
	;; [unrolled: 1-line block ×6, first 2 shown]
	v_add_nc_u32_e32 v33, s15, v29
	v_lshlrev_b64 v[25:26], 3, v[25:26]
	v_ashrrev_i32_e32 v30, 31, v29
	v_lshlrev_b64 v[31:32], 3, v[31:32]
	v_add_nc_u32_e32 v37, s15, v33
	v_ashrrev_i32_e32 v34, 31, v33
	v_add_co_u32 v25, vcc_lo, s4, v25
	v_lshlrev_b64 v[35:36], 3, v[29:30]
	v_add_co_ci_u32_e64 v26, null, s5, v26, vcc_lo
	v_add_co_u32 v27, vcc_lo, s4, v27
	v_ashrrev_i32_e32 v38, 31, v37
	v_add_nc_u32_e32 v39, s15, v37
	v_add_co_ci_u32_e64 v28, null, s5, v28, vcc_lo
	v_add_co_u32 v29, vcc_lo, s4, v31
	v_add_co_ci_u32_e64 v30, null, s5, v32, vcc_lo
	v_add_co_u32 v31, vcc_lo, s4, v35
	v_add_co_ci_u32_e64 v32, null, s5, v36, vcc_lo
	v_lshlrev_b64 v[35:36], 3, v[37:38]
	v_add_nc_u32_e32 v37, s15, v39
	v_ashrrev_i32_e32 v40, 31, v39
	v_lshlrev_b64 v[33:34], 3, v[33:34]
	s_clause 0x4
	global_load_dwordx2 v[80:81], v[23:24], off
	global_load_dwordx2 v[82:83], v[25:26], off
	;; [unrolled: 1-line block ×5, first 2 shown]
	v_add_nc_u32_e32 v41, s15, v37
	v_ashrrev_i32_e32 v38, 31, v37
	v_lshlrev_b64 v[39:40], 3, v[39:40]
	v_add_co_u32 v33, vcc_lo, s4, v33
	v_add_nc_u32_e32 v45, s15, v41
	v_lshlrev_b64 v[43:44], 3, v[37:38]
	v_add_co_ci_u32_e64 v34, null, s5, v34, vcc_lo
	v_add_co_u32 v35, vcc_lo, s4, v35
	v_ashrrev_i32_e32 v46, 31, v45
	v_add_nc_u32_e32 v47, s15, v45
	v_add_co_ci_u32_e64 v36, null, s5, v36, vcc_lo
	v_add_co_u32 v37, vcc_lo, s4, v39
	v_add_co_ci_u32_e64 v38, null, s5, v40, vcc_lo
	v_add_co_u32 v39, vcc_lo, s4, v43
	v_add_co_ci_u32_e64 v40, null, s5, v44, vcc_lo
	v_lshlrev_b64 v[43:44], 3, v[45:46]
	v_add_nc_u32_e32 v45, s15, v47
	v_ashrrev_i32_e32 v42, 31, v41
	v_ashrrev_i32_e32 v48, 31, v47
	v_add_nc_u32_e32 v49, s15, v45
	v_lshlrev_b64 v[41:42], 3, v[41:42]
	v_ashrrev_i32_e32 v46, 31, v45
	v_lshlrev_b64 v[47:48], 3, v[47:48]
	v_add_nc_u32_e32 v53, s15, v49
	v_ashrrev_i32_e32 v50, 31, v49
	v_add_co_u32 v41, vcc_lo, s4, v41
	v_lshlrev_b64 v[51:52], 3, v[45:46]
	v_add_nc_u32_e32 v66, s15, v53
	v_add_co_ci_u32_e64 v42, null, s5, v42, vcc_lo
	v_add_co_u32 v43, vcc_lo, s4, v43
	v_ashrrev_i32_e32 v54, 31, v53
	v_add_co_ci_u32_e64 v44, null, s5, v44, vcc_lo
	v_add_co_u32 v45, vcc_lo, s4, v47
	v_ashrrev_i32_e32 v67, 31, v66
	v_add_co_ci_u32_e64 v46, null, s5, v48, vcc_lo
	v_lshlrev_b64 v[49:50], 3, v[49:50]
	v_add_co_u32 v47, vcc_lo, s4, v51
	v_add_co_ci_u32_e64 v48, null, s5, v52, vcc_lo
	v_lshlrev_b64 v[51:52], 3, v[53:54]
	v_lshlrev_b64 v[53:54], 3, v[66:67]
	v_add_co_u32 v49, vcc_lo, s4, v49
	v_add_co_ci_u32_e64 v50, null, s5, v50, vcc_lo
	v_add_co_u32 v51, vcc_lo, s4, v51
	v_add_co_ci_u32_e64 v52, null, s5, v52, vcc_lo
	v_add_co_u32 v53, vcc_lo, s4, v53
	v_add_co_ci_u32_e64 v54, null, s5, v54, vcc_lo
	s_clause 0xa
	global_load_dwordx2 v[66:67], v[33:34], off
	global_load_dwordx2 v[90:91], v[35:36], off
	;; [unrolled: 1-line block ×11, first 2 shown]
	s_mov_b32 s5, -1
	s_waitcnt vmcnt(26)
	buffer_store_dword v56, off, s[0:3], 0 offset:4
	buffer_store_dword v55, off, s[0:3], 0
	s_waitcnt vmcnt(25)
	buffer_store_dword v59, off, s[0:3], 0 offset:12
	buffer_store_dword v58, off, s[0:3], 0 offset:8
	s_waitcnt vmcnt(24)
	buffer_store_dword v61, off, s[0:3], 0 offset:20
	buffer_store_dword v60, off, s[0:3], 0 offset:16
	;; [unrolled: 3-line block ×26, first 2 shown]
	s_cbranch_scc1 .LBB26_120
; %bb.4:
	v_cmp_eq_u32_e64 s4, 0, v0
	s_and_saveexec_b32 s5, s4
; %bb.5:
	v_mov_b32_e32 v55, 0
	ds_write_b32 v55, v55 offset:216
; %bb.6:
	s_or_b32 exec_lo, exec_lo, s5
	v_lshl_add_u32 v59, v0, 3, 0
	s_waitcnt lgkmcnt(0)
	s_waitcnt_vscnt null, 0x0
	s_barrier
	buffer_gl0_inv
	s_clause 0x1
	buffer_load_dword v55, v59, s[0:3], 0 offen
	buffer_load_dword v56, v59, s[0:3], 0 offen offset:4
	s_waitcnt vmcnt(1)
	v_cmp_eq_f32_e32 vcc_lo, 0, v55
	s_waitcnt vmcnt(0)
	v_cmp_eq_f32_e64 s5, 0, v56
	s_and_b32 s5, vcc_lo, s5
	s_and_saveexec_b32 s8, s5
	s_cbranch_execz .LBB26_10
; %bb.7:
	v_mov_b32_e32 v55, 0
	s_mov_b32 s9, 0
	ds_read_b32 v56, v55 offset:216
	s_waitcnt lgkmcnt(0)
	v_readfirstlane_b32 s5, v56
	v_add_nc_u32_e32 v56, 1, v0
	s_cmp_eq_u32 s5, 0
	v_cmp_gt_i32_e32 vcc_lo, s5, v56
	s_cselect_b32 s12, -1, 0
	s_or_b32 s12, s12, vcc_lo
	s_and_b32 exec_lo, exec_lo, s12
	s_cbranch_execz .LBB26_10
; %bb.8:
	v_mov_b32_e32 v58, s5
.LBB26_9:                               ; =>This Inner Loop Header: Depth=1
	ds_cmpst_rtn_b32 v58, v55, v58, v56 offset:216
	s_waitcnt lgkmcnt(0)
	v_cmp_ne_u32_e32 vcc_lo, 0, v58
	v_cmp_le_i32_e64 s5, v58, v56
	s_and_b32 s5, vcc_lo, s5
	s_and_b32 s5, exec_lo, s5
	s_or_b32 s9, s5, s9
	s_andn2_b32 exec_lo, exec_lo, s9
	s_cbranch_execnz .LBB26_9
.LBB26_10:
	s_or_b32 exec_lo, exec_lo, s8
	v_mov_b32_e32 v55, 0
	s_barrier
	buffer_gl0_inv
	ds_read_b32 v56, v55 offset:216
	s_and_saveexec_b32 s5, s4
	s_cbranch_execz .LBB26_12
; %bb.11:
	s_lshl_b64 s[8:9], s[6:7], 2
	s_add_u32 s8, s10, s8
	s_addc_u32 s9, s11, s9
	s_waitcnt lgkmcnt(0)
	global_store_dword v55, v56, s[8:9]
.LBB26_12:
	s_or_b32 exec_lo, exec_lo, s5
	s_waitcnt lgkmcnt(0)
	v_cmp_ne_u32_e32 vcc_lo, 0, v56
	s_mov_b32 s5, 0
	s_cbranch_vccnz .LBB26_120
; %bb.13:
	s_clause 0x1
	buffer_load_dword v56, v59, s[0:3], 0 offen
	buffer_load_dword v58, v59, s[0:3], 0 offen offset:4
                                        ; implicit-def: $vgpr61
                                        ; implicit-def: $vgpr60
                                        ; implicit-def: $vgpr55
	s_waitcnt vmcnt(0)
	v_cmp_ngt_f32_e64 s5, |v56|, |v58|
	s_and_saveexec_b32 s8, s5
	s_xor_b32 s5, exec_lo, s8
	s_cbranch_execz .LBB26_15
; %bb.14:
	v_div_scale_f32 v55, null, v58, v58, v56
	v_div_scale_f32 v62, vcc_lo, v56, v58, v56
	v_rcp_f32_e32 v60, v55
	v_fma_f32 v61, -v55, v60, 1.0
	v_fmac_f32_e32 v60, v61, v60
	v_mul_f32_e32 v61, v62, v60
	v_fma_f32 v63, -v55, v61, v62
	v_fmac_f32_e32 v61, v63, v60
	v_fma_f32 v55, -v55, v61, v62
	v_div_fmas_f32 v55, v55, v60, v61
	v_div_fixup_f32 v55, v55, v58, v56
	v_fmac_f32_e32 v58, v56, v55
	v_div_scale_f32 v56, null, v58, v58, 1.0
	v_rcp_f32_e32 v60, v56
	v_fma_f32 v61, -v56, v60, 1.0
	v_fmac_f32_e32 v60, v61, v60
	v_div_scale_f32 v61, vcc_lo, 1.0, v58, 1.0
	v_mul_f32_e32 v62, v61, v60
	v_fma_f32 v63, -v56, v62, v61
	v_fmac_f32_e32 v62, v63, v60
	v_fma_f32 v56, -v56, v62, v61
	v_div_fmas_f32 v56, v56, v60, v62
	v_div_fixup_f32 v56, v56, v58, 1.0
                                        ; implicit-def: $vgpr58
	v_mul_f32_e32 v61, v55, v56
	v_xor_b32_e32 v60, 0x80000000, v56
                                        ; implicit-def: $vgpr56
	v_xor_b32_e32 v55, 0x80000000, v61
.LBB26_15:
	s_andn2_saveexec_b32 s5, s5
	s_cbranch_execz .LBB26_17
; %bb.16:
	v_div_scale_f32 v55, null, v56, v56, v58
	v_div_scale_f32 v62, vcc_lo, v58, v56, v58
	v_rcp_f32_e32 v60, v55
	v_fma_f32 v61, -v55, v60, 1.0
	v_fmac_f32_e32 v60, v61, v60
	v_mul_f32_e32 v61, v62, v60
	v_fma_f32 v63, -v55, v61, v62
	v_fmac_f32_e32 v61, v63, v60
	v_fma_f32 v55, -v55, v61, v62
	v_div_fmas_f32 v55, v55, v60, v61
	v_div_fixup_f32 v60, v55, v56, v58
	v_fmac_f32_e32 v56, v58, v60
	v_div_scale_f32 v55, null, v56, v56, 1.0
	v_div_scale_f32 v62, vcc_lo, 1.0, v56, 1.0
	v_rcp_f32_e32 v58, v55
	v_fma_f32 v61, -v55, v58, 1.0
	v_fmac_f32_e32 v58, v61, v58
	v_mul_f32_e32 v61, v62, v58
	v_fma_f32 v63, -v55, v61, v62
	v_fmac_f32_e32 v61, v63, v58
	v_fma_f32 v55, -v55, v61, v62
	v_div_fmas_f32 v55, v55, v58, v61
	v_div_fixup_f32 v61, v55, v56, 1.0
	v_xor_b32_e32 v55, 0x80000000, v61
	v_mul_f32_e64 v60, v60, -v61
.LBB26_17:
	s_or_b32 exec_lo, exec_lo, s5
	buffer_store_dword v61, v59, s[0:3], 0 offen
	buffer_store_dword v60, v59, s[0:3], 0 offen offset:4
	s_clause 0x1
	buffer_load_dword v62, off, s[0:3], 0 offset:12
	buffer_load_dword v61, off, s[0:3], 0 offset:8
	v_xor_b32_e32 v56, 0x80000000, v60
	v_add_nc_u32_e32 v58, 0xe0, v57
	s_waitcnt vmcnt(0)
	ds_write2_b64 v57, v[55:56], v[61:62] offset1:28
	s_waitcnt lgkmcnt(0)
	s_waitcnt_vscnt null, 0x0
	s_barrier
	buffer_gl0_inv
	s_and_saveexec_b32 s5, s4
	s_cbranch_execz .LBB26_19
; %bb.18:
	s_clause 0x1
	buffer_load_dword v62, v59, s[0:3], 0 offen offset:4
	buffer_load_dword v63, v59, s[0:3], 0 offen
	ds_read_b64 v[55:56], v58
	v_mov_b32_e32 v60, 0
	ds_read_b64 v[60:61], v60 offset:8
	s_waitcnt vmcnt(1) lgkmcnt(1)
	v_mul_f32_e32 v64, v55, v62
	v_mul_f32_e32 v62, v56, v62
	s_waitcnt vmcnt(0)
	v_fmac_f32_e32 v64, v56, v63
	v_fma_f32 v55, v55, v63, -v62
	v_add_f32_e32 v56, 0, v64
	v_add_f32_e32 v55, 0, v55
	s_waitcnt lgkmcnt(0)
	v_mul_f32_e32 v62, v56, v61
	v_mul_f32_e32 v61, v55, v61
	v_fma_f32 v55, v55, v60, -v62
	v_fmac_f32_e32 v61, v56, v60
	buffer_store_dword v55, off, s[0:3], 0 offset:8
	buffer_store_dword v61, off, s[0:3], 0 offset:12
.LBB26_19:
	s_or_b32 exec_lo, exec_lo, s5
	s_waitcnt_vscnt null, 0x0
	s_barrier
	buffer_gl0_inv
	s_clause 0x1
	buffer_load_dword v55, off, s[0:3], 0 offset:16
	buffer_load_dword v56, off, s[0:3], 0 offset:20
	s_mov_b32 s5, exec_lo
	s_waitcnt vmcnt(0)
	ds_write_b64 v58, v[55:56]
	s_waitcnt lgkmcnt(0)
	s_barrier
	buffer_gl0_inv
	v_cmpx_gt_u32_e32 2, v0
	s_cbranch_execz .LBB26_23
; %bb.20:
	s_clause 0x1
	buffer_load_dword v60, v59, s[0:3], 0 offen offset:4
	buffer_load_dword v59, v59, s[0:3], 0 offen
	ds_read_b64 v[55:56], v58
	s_waitcnt vmcnt(1) lgkmcnt(0)
	v_mul_f32_e32 v61, v56, v60
	v_mul_f32_e32 v60, v55, v60
	s_waitcnt vmcnt(0)
	v_fma_f32 v55, v55, v59, -v61
	v_fmac_f32_e32 v60, v56, v59
	v_add_f32_e32 v56, 0, v55
	v_add_f32_e32 v55, 0, v60
	s_and_saveexec_b32 s8, s4
	s_cbranch_execz .LBB26_22
; %bb.21:
	s_clause 0x1
	buffer_load_dword v61, off, s[0:3], 0 offset:12
	buffer_load_dword v62, off, s[0:3], 0 offset:8
	v_mov_b32_e32 v59, 0
	ds_read_b64 v[59:60], v59 offset:232
	s_waitcnt vmcnt(1) lgkmcnt(0)
	v_mul_f32_e32 v63, v59, v61
	v_mul_f32_e32 v61, v60, v61
	s_waitcnt vmcnt(0)
	v_fmac_f32_e32 v63, v60, v62
	v_fma_f32 v59, v59, v62, -v61
	v_add_f32_e32 v55, v55, v63
	v_add_f32_e32 v56, v56, v59
.LBB26_22:
	s_or_b32 exec_lo, exec_lo, s8
	v_mov_b32_e32 v59, 0
	ds_read_b64 v[59:60], v59 offset:16
	s_waitcnt lgkmcnt(0)
	v_mul_f32_e32 v61, v55, v60
	v_mul_f32_e32 v60, v56, v60
	v_fma_f32 v56, v56, v59, -v61
	v_fmac_f32_e32 v60, v55, v59
	buffer_store_dword v56, off, s[0:3], 0 offset:16
	buffer_store_dword v60, off, s[0:3], 0 offset:20
.LBB26_23:
	s_or_b32 exec_lo, exec_lo, s5
	s_waitcnt_vscnt null, 0x0
	s_barrier
	buffer_gl0_inv
	s_clause 0x1
	buffer_load_dword v59, off, s[0:3], 0 offset:24
	buffer_load_dword v60, off, s[0:3], 0 offset:28
	v_add_nc_u32_e32 v55, -1, v0
	s_mov_b32 s4, exec_lo
	s_waitcnt vmcnt(0)
	ds_write_b64 v58, v[59:60]
	s_waitcnt lgkmcnt(0)
	s_barrier
	buffer_gl0_inv
	v_cmpx_gt_u32_e32 3, v0
	s_cbranch_execz .LBB26_27
; %bb.24:
	v_add_nc_u32_e32 v59, -1, v0
	v_add_nc_u32_e32 v60, 0xe0, v57
	v_mov_b32_e32 v61, v57
	v_mov_b32_e32 v56, 0
	;; [unrolled: 1-line block ×3, first 2 shown]
	s_mov_b32 s5, 0
	.p2align	6
.LBB26_25:                              ; =>This Inner Loop Header: Depth=1
	s_clause 0x1
	buffer_load_dword v65, v61, s[0:3], 0 offen offset:4
	buffer_load_dword v66, v61, s[0:3], 0 offen
	ds_read_b64 v[63:64], v60
	v_add_nc_u32_e32 v59, 1, v59
	v_add_nc_u32_e32 v60, 8, v60
	;; [unrolled: 1-line block ×3, first 2 shown]
	v_cmp_lt_u32_e32 vcc_lo, 1, v59
	s_or_b32 s5, vcc_lo, s5
	s_waitcnt vmcnt(1) lgkmcnt(0)
	v_mul_f32_e32 v67, v64, v65
	v_mul_f32_e32 v65, v63, v65
	s_waitcnt vmcnt(0)
	v_fma_f32 v63, v63, v66, -v67
	v_fmac_f32_e32 v65, v64, v66
	v_add_f32_e32 v62, v62, v63
	v_add_f32_e32 v56, v56, v65
	s_andn2_b32 exec_lo, exec_lo, s5
	s_cbranch_execnz .LBB26_25
; %bb.26:
	s_or_b32 exec_lo, exec_lo, s5
	v_mov_b32_e32 v59, 0
	ds_read_b64 v[59:60], v59 offset:24
	s_waitcnt lgkmcnt(0)
	v_mul_f32_e32 v61, v56, v60
	v_mul_f32_e32 v60, v62, v60
	v_fma_f32 v61, v62, v59, -v61
	v_fmac_f32_e32 v60, v56, v59
	buffer_store_dword v61, off, s[0:3], 0 offset:24
	buffer_store_dword v60, off, s[0:3], 0 offset:28
.LBB26_27:
	s_or_b32 exec_lo, exec_lo, s4
	s_waitcnt_vscnt null, 0x0
	s_barrier
	buffer_gl0_inv
	s_clause 0x1
	buffer_load_dword v59, off, s[0:3], 0 offset:32
	buffer_load_dword v60, off, s[0:3], 0 offset:36
	s_mov_b32 s4, exec_lo
	s_waitcnt vmcnt(0)
	ds_write_b64 v58, v[59:60]
	s_waitcnt lgkmcnt(0)
	s_barrier
	buffer_gl0_inv
	v_cmpx_gt_u32_e32 4, v0
	s_cbranch_execz .LBB26_31
; %bb.28:
	v_add_nc_u32_e32 v59, -1, v0
	v_add_nc_u32_e32 v60, 0xe0, v57
	v_mov_b32_e32 v61, v57
	v_mov_b32_e32 v56, 0
	;; [unrolled: 1-line block ×3, first 2 shown]
	s_mov_b32 s5, 0
	.p2align	6
.LBB26_29:                              ; =>This Inner Loop Header: Depth=1
	s_clause 0x1
	buffer_load_dword v65, v61, s[0:3], 0 offen offset:4
	buffer_load_dword v66, v61, s[0:3], 0 offen
	ds_read_b64 v[63:64], v60
	v_add_nc_u32_e32 v59, 1, v59
	v_add_nc_u32_e32 v60, 8, v60
	;; [unrolled: 1-line block ×3, first 2 shown]
	v_cmp_lt_u32_e32 vcc_lo, 2, v59
	s_or_b32 s5, vcc_lo, s5
	s_waitcnt vmcnt(1) lgkmcnt(0)
	v_mul_f32_e32 v67, v64, v65
	v_mul_f32_e32 v65, v63, v65
	s_waitcnt vmcnt(0)
	v_fma_f32 v63, v63, v66, -v67
	v_fmac_f32_e32 v65, v64, v66
	v_add_f32_e32 v62, v62, v63
	v_add_f32_e32 v56, v56, v65
	s_andn2_b32 exec_lo, exec_lo, s5
	s_cbranch_execnz .LBB26_29
; %bb.30:
	s_or_b32 exec_lo, exec_lo, s5
	v_mov_b32_e32 v59, 0
	ds_read_b64 v[59:60], v59 offset:32
	s_waitcnt lgkmcnt(0)
	v_mul_f32_e32 v61, v56, v60
	v_mul_f32_e32 v60, v62, v60
	v_fma_f32 v61, v62, v59, -v61
	v_fmac_f32_e32 v60, v56, v59
	buffer_store_dword v61, off, s[0:3], 0 offset:32
	buffer_store_dword v60, off, s[0:3], 0 offset:36
.LBB26_31:
	s_or_b32 exec_lo, exec_lo, s4
	s_waitcnt_vscnt null, 0x0
	s_barrier
	buffer_gl0_inv
	s_clause 0x1
	buffer_load_dword v59, off, s[0:3], 0 offset:40
	buffer_load_dword v60, off, s[0:3], 0 offset:44
	s_mov_b32 s4, exec_lo
	s_waitcnt vmcnt(0)
	ds_write_b64 v58, v[59:60]
	s_waitcnt lgkmcnt(0)
	s_barrier
	buffer_gl0_inv
	v_cmpx_gt_u32_e32 5, v0
	s_cbranch_execz .LBB26_35
; %bb.32:
	v_add_nc_u32_e32 v59, -1, v0
	v_add_nc_u32_e32 v60, 0xe0, v57
	v_mov_b32_e32 v61, v57
	v_mov_b32_e32 v56, 0
	;; [unrolled: 1-line block ×3, first 2 shown]
	s_mov_b32 s5, 0
	.p2align	6
.LBB26_33:                              ; =>This Inner Loop Header: Depth=1
	s_clause 0x1
	buffer_load_dword v65, v61, s[0:3], 0 offen offset:4
	buffer_load_dword v66, v61, s[0:3], 0 offen
	ds_read_b64 v[63:64], v60
	v_add_nc_u32_e32 v59, 1, v59
	v_add_nc_u32_e32 v60, 8, v60
	;; [unrolled: 1-line block ×3, first 2 shown]
	v_cmp_lt_u32_e32 vcc_lo, 3, v59
	s_or_b32 s5, vcc_lo, s5
	s_waitcnt vmcnt(1) lgkmcnt(0)
	v_mul_f32_e32 v67, v64, v65
	v_mul_f32_e32 v65, v63, v65
	s_waitcnt vmcnt(0)
	v_fma_f32 v63, v63, v66, -v67
	v_fmac_f32_e32 v65, v64, v66
	v_add_f32_e32 v62, v62, v63
	v_add_f32_e32 v56, v56, v65
	s_andn2_b32 exec_lo, exec_lo, s5
	s_cbranch_execnz .LBB26_33
; %bb.34:
	s_or_b32 exec_lo, exec_lo, s5
	v_mov_b32_e32 v59, 0
	ds_read_b64 v[59:60], v59 offset:40
	s_waitcnt lgkmcnt(0)
	v_mul_f32_e32 v61, v56, v60
	v_mul_f32_e32 v60, v62, v60
	v_fma_f32 v61, v62, v59, -v61
	v_fmac_f32_e32 v60, v56, v59
	buffer_store_dword v61, off, s[0:3], 0 offset:40
	buffer_store_dword v60, off, s[0:3], 0 offset:44
.LBB26_35:
	s_or_b32 exec_lo, exec_lo, s4
	s_waitcnt_vscnt null, 0x0
	s_barrier
	buffer_gl0_inv
	s_clause 0x1
	buffer_load_dword v59, off, s[0:3], 0 offset:48
	buffer_load_dword v60, off, s[0:3], 0 offset:52
	s_mov_b32 s4, exec_lo
	s_waitcnt vmcnt(0)
	ds_write_b64 v58, v[59:60]
	s_waitcnt lgkmcnt(0)
	s_barrier
	buffer_gl0_inv
	v_cmpx_gt_u32_e32 6, v0
	s_cbranch_execz .LBB26_39
; %bb.36:
	v_add_nc_u32_e32 v59, -1, v0
	v_add_nc_u32_e32 v60, 0xe0, v57
	v_mov_b32_e32 v61, v57
	v_mov_b32_e32 v56, 0
	;; [unrolled: 1-line block ×3, first 2 shown]
	s_mov_b32 s5, 0
	.p2align	6
.LBB26_37:                              ; =>This Inner Loop Header: Depth=1
	s_clause 0x1
	buffer_load_dword v65, v61, s[0:3], 0 offen offset:4
	buffer_load_dword v66, v61, s[0:3], 0 offen
	ds_read_b64 v[63:64], v60
	v_add_nc_u32_e32 v59, 1, v59
	v_add_nc_u32_e32 v60, 8, v60
	;; [unrolled: 1-line block ×3, first 2 shown]
	v_cmp_lt_u32_e32 vcc_lo, 4, v59
	s_or_b32 s5, vcc_lo, s5
	s_waitcnt vmcnt(1) lgkmcnt(0)
	v_mul_f32_e32 v67, v64, v65
	v_mul_f32_e32 v65, v63, v65
	s_waitcnt vmcnt(0)
	v_fma_f32 v63, v63, v66, -v67
	v_fmac_f32_e32 v65, v64, v66
	v_add_f32_e32 v62, v62, v63
	v_add_f32_e32 v56, v56, v65
	s_andn2_b32 exec_lo, exec_lo, s5
	s_cbranch_execnz .LBB26_37
; %bb.38:
	s_or_b32 exec_lo, exec_lo, s5
	v_mov_b32_e32 v59, 0
	ds_read_b64 v[59:60], v59 offset:48
	s_waitcnt lgkmcnt(0)
	v_mul_f32_e32 v61, v56, v60
	v_mul_f32_e32 v60, v62, v60
	v_fma_f32 v61, v62, v59, -v61
	v_fmac_f32_e32 v60, v56, v59
	buffer_store_dword v61, off, s[0:3], 0 offset:48
	buffer_store_dword v60, off, s[0:3], 0 offset:52
.LBB26_39:
	s_or_b32 exec_lo, exec_lo, s4
	s_waitcnt_vscnt null, 0x0
	s_barrier
	buffer_gl0_inv
	s_clause 0x1
	buffer_load_dword v59, off, s[0:3], 0 offset:56
	buffer_load_dword v60, off, s[0:3], 0 offset:60
	s_mov_b32 s4, exec_lo
	s_waitcnt vmcnt(0)
	ds_write_b64 v58, v[59:60]
	s_waitcnt lgkmcnt(0)
	s_barrier
	buffer_gl0_inv
	v_cmpx_gt_u32_e32 7, v0
	s_cbranch_execz .LBB26_43
; %bb.40:
	v_add_nc_u32_e32 v59, -1, v0
	v_add_nc_u32_e32 v60, 0xe0, v57
	v_mov_b32_e32 v61, v57
	v_mov_b32_e32 v56, 0
	;; [unrolled: 1-line block ×3, first 2 shown]
	s_mov_b32 s5, 0
	.p2align	6
.LBB26_41:                              ; =>This Inner Loop Header: Depth=1
	s_clause 0x1
	buffer_load_dword v65, v61, s[0:3], 0 offen offset:4
	buffer_load_dword v66, v61, s[0:3], 0 offen
	ds_read_b64 v[63:64], v60
	v_add_nc_u32_e32 v59, 1, v59
	v_add_nc_u32_e32 v60, 8, v60
	;; [unrolled: 1-line block ×3, first 2 shown]
	v_cmp_lt_u32_e32 vcc_lo, 5, v59
	s_or_b32 s5, vcc_lo, s5
	s_waitcnt vmcnt(1) lgkmcnt(0)
	v_mul_f32_e32 v67, v64, v65
	v_mul_f32_e32 v65, v63, v65
	s_waitcnt vmcnt(0)
	v_fma_f32 v63, v63, v66, -v67
	v_fmac_f32_e32 v65, v64, v66
	v_add_f32_e32 v62, v62, v63
	v_add_f32_e32 v56, v56, v65
	s_andn2_b32 exec_lo, exec_lo, s5
	s_cbranch_execnz .LBB26_41
; %bb.42:
	s_or_b32 exec_lo, exec_lo, s5
	v_mov_b32_e32 v59, 0
	ds_read_b64 v[59:60], v59 offset:56
	s_waitcnt lgkmcnt(0)
	v_mul_f32_e32 v61, v56, v60
	v_mul_f32_e32 v60, v62, v60
	v_fma_f32 v61, v62, v59, -v61
	v_fmac_f32_e32 v60, v56, v59
	buffer_store_dword v61, off, s[0:3], 0 offset:56
	buffer_store_dword v60, off, s[0:3], 0 offset:60
.LBB26_43:
	s_or_b32 exec_lo, exec_lo, s4
	s_waitcnt_vscnt null, 0x0
	s_barrier
	buffer_gl0_inv
	s_clause 0x1
	buffer_load_dword v59, off, s[0:3], 0 offset:64
	buffer_load_dword v60, off, s[0:3], 0 offset:68
	s_mov_b32 s4, exec_lo
	s_waitcnt vmcnt(0)
	ds_write_b64 v58, v[59:60]
	s_waitcnt lgkmcnt(0)
	s_barrier
	buffer_gl0_inv
	v_cmpx_gt_u32_e32 8, v0
	s_cbranch_execz .LBB26_47
; %bb.44:
	v_add_nc_u32_e32 v59, -1, v0
	v_add_nc_u32_e32 v60, 0xe0, v57
	v_mov_b32_e32 v61, v57
	v_mov_b32_e32 v56, 0
	;; [unrolled: 1-line block ×3, first 2 shown]
	s_mov_b32 s5, 0
	.p2align	6
.LBB26_45:                              ; =>This Inner Loop Header: Depth=1
	s_clause 0x1
	buffer_load_dword v65, v61, s[0:3], 0 offen offset:4
	buffer_load_dword v66, v61, s[0:3], 0 offen
	ds_read_b64 v[63:64], v60
	v_add_nc_u32_e32 v59, 1, v59
	v_add_nc_u32_e32 v60, 8, v60
	;; [unrolled: 1-line block ×3, first 2 shown]
	v_cmp_lt_u32_e32 vcc_lo, 6, v59
	s_or_b32 s5, vcc_lo, s5
	s_waitcnt vmcnt(1) lgkmcnt(0)
	v_mul_f32_e32 v67, v64, v65
	v_mul_f32_e32 v65, v63, v65
	s_waitcnt vmcnt(0)
	v_fma_f32 v63, v63, v66, -v67
	v_fmac_f32_e32 v65, v64, v66
	v_add_f32_e32 v62, v62, v63
	v_add_f32_e32 v56, v56, v65
	s_andn2_b32 exec_lo, exec_lo, s5
	s_cbranch_execnz .LBB26_45
; %bb.46:
	s_or_b32 exec_lo, exec_lo, s5
	v_mov_b32_e32 v59, 0
	ds_read_b64 v[59:60], v59 offset:64
	s_waitcnt lgkmcnt(0)
	v_mul_f32_e32 v61, v56, v60
	v_mul_f32_e32 v60, v62, v60
	v_fma_f32 v61, v62, v59, -v61
	v_fmac_f32_e32 v60, v56, v59
	buffer_store_dword v61, off, s[0:3], 0 offset:64
	buffer_store_dword v60, off, s[0:3], 0 offset:68
.LBB26_47:
	s_or_b32 exec_lo, exec_lo, s4
	s_waitcnt_vscnt null, 0x0
	s_barrier
	buffer_gl0_inv
	s_clause 0x1
	buffer_load_dword v59, off, s[0:3], 0 offset:72
	buffer_load_dword v60, off, s[0:3], 0 offset:76
	s_mov_b32 s4, exec_lo
	s_waitcnt vmcnt(0)
	ds_write_b64 v58, v[59:60]
	s_waitcnt lgkmcnt(0)
	s_barrier
	buffer_gl0_inv
	v_cmpx_gt_u32_e32 9, v0
	s_cbranch_execz .LBB26_51
; %bb.48:
	v_add_nc_u32_e32 v59, -1, v0
	v_add_nc_u32_e32 v60, 0xe0, v57
	v_mov_b32_e32 v61, v57
	v_mov_b32_e32 v56, 0
	;; [unrolled: 1-line block ×3, first 2 shown]
	s_mov_b32 s5, 0
	.p2align	6
.LBB26_49:                              ; =>This Inner Loop Header: Depth=1
	s_clause 0x1
	buffer_load_dword v65, v61, s[0:3], 0 offen offset:4
	buffer_load_dword v66, v61, s[0:3], 0 offen
	ds_read_b64 v[63:64], v60
	v_add_nc_u32_e32 v59, 1, v59
	v_add_nc_u32_e32 v60, 8, v60
	;; [unrolled: 1-line block ×3, first 2 shown]
	v_cmp_lt_u32_e32 vcc_lo, 7, v59
	s_or_b32 s5, vcc_lo, s5
	s_waitcnt vmcnt(1) lgkmcnt(0)
	v_mul_f32_e32 v67, v64, v65
	v_mul_f32_e32 v65, v63, v65
	s_waitcnt vmcnt(0)
	v_fma_f32 v63, v63, v66, -v67
	v_fmac_f32_e32 v65, v64, v66
	v_add_f32_e32 v62, v62, v63
	v_add_f32_e32 v56, v56, v65
	s_andn2_b32 exec_lo, exec_lo, s5
	s_cbranch_execnz .LBB26_49
; %bb.50:
	s_or_b32 exec_lo, exec_lo, s5
	v_mov_b32_e32 v59, 0
	ds_read_b64 v[59:60], v59 offset:72
	s_waitcnt lgkmcnt(0)
	v_mul_f32_e32 v61, v56, v60
	v_mul_f32_e32 v60, v62, v60
	v_fma_f32 v61, v62, v59, -v61
	v_fmac_f32_e32 v60, v56, v59
	buffer_store_dword v61, off, s[0:3], 0 offset:72
	buffer_store_dword v60, off, s[0:3], 0 offset:76
.LBB26_51:
	s_or_b32 exec_lo, exec_lo, s4
	s_waitcnt_vscnt null, 0x0
	s_barrier
	buffer_gl0_inv
	s_clause 0x1
	buffer_load_dword v59, off, s[0:3], 0 offset:80
	buffer_load_dword v60, off, s[0:3], 0 offset:84
	s_mov_b32 s4, exec_lo
	s_waitcnt vmcnt(0)
	ds_write_b64 v58, v[59:60]
	s_waitcnt lgkmcnt(0)
	s_barrier
	buffer_gl0_inv
	v_cmpx_gt_u32_e32 10, v0
	s_cbranch_execz .LBB26_55
; %bb.52:
	v_add_nc_u32_e32 v59, -1, v0
	v_add_nc_u32_e32 v60, 0xe0, v57
	v_mov_b32_e32 v61, v57
	v_mov_b32_e32 v56, 0
	;; [unrolled: 1-line block ×3, first 2 shown]
	s_mov_b32 s5, 0
	.p2align	6
.LBB26_53:                              ; =>This Inner Loop Header: Depth=1
	s_clause 0x1
	buffer_load_dword v65, v61, s[0:3], 0 offen offset:4
	buffer_load_dword v66, v61, s[0:3], 0 offen
	ds_read_b64 v[63:64], v60
	v_add_nc_u32_e32 v59, 1, v59
	v_add_nc_u32_e32 v60, 8, v60
	;; [unrolled: 1-line block ×3, first 2 shown]
	v_cmp_lt_u32_e32 vcc_lo, 8, v59
	s_or_b32 s5, vcc_lo, s5
	s_waitcnt vmcnt(1) lgkmcnt(0)
	v_mul_f32_e32 v67, v64, v65
	v_mul_f32_e32 v65, v63, v65
	s_waitcnt vmcnt(0)
	v_fma_f32 v63, v63, v66, -v67
	v_fmac_f32_e32 v65, v64, v66
	v_add_f32_e32 v62, v62, v63
	v_add_f32_e32 v56, v56, v65
	s_andn2_b32 exec_lo, exec_lo, s5
	s_cbranch_execnz .LBB26_53
; %bb.54:
	s_or_b32 exec_lo, exec_lo, s5
	v_mov_b32_e32 v59, 0
	ds_read_b64 v[59:60], v59 offset:80
	s_waitcnt lgkmcnt(0)
	v_mul_f32_e32 v61, v56, v60
	v_mul_f32_e32 v60, v62, v60
	v_fma_f32 v61, v62, v59, -v61
	v_fmac_f32_e32 v60, v56, v59
	buffer_store_dword v61, off, s[0:3], 0 offset:80
	buffer_store_dword v60, off, s[0:3], 0 offset:84
.LBB26_55:
	s_or_b32 exec_lo, exec_lo, s4
	s_waitcnt_vscnt null, 0x0
	s_barrier
	buffer_gl0_inv
	s_clause 0x1
	buffer_load_dword v59, off, s[0:3], 0 offset:88
	buffer_load_dword v60, off, s[0:3], 0 offset:92
	s_mov_b32 s4, exec_lo
	s_waitcnt vmcnt(0)
	ds_write_b64 v58, v[59:60]
	s_waitcnt lgkmcnt(0)
	s_barrier
	buffer_gl0_inv
	v_cmpx_gt_u32_e32 11, v0
	s_cbranch_execz .LBB26_59
; %bb.56:
	v_add_nc_u32_e32 v59, -1, v0
	v_add_nc_u32_e32 v60, 0xe0, v57
	v_mov_b32_e32 v61, v57
	v_mov_b32_e32 v56, 0
	;; [unrolled: 1-line block ×3, first 2 shown]
	s_mov_b32 s5, 0
	.p2align	6
.LBB26_57:                              ; =>This Inner Loop Header: Depth=1
	s_clause 0x1
	buffer_load_dword v65, v61, s[0:3], 0 offen offset:4
	buffer_load_dword v66, v61, s[0:3], 0 offen
	ds_read_b64 v[63:64], v60
	v_add_nc_u32_e32 v59, 1, v59
	v_add_nc_u32_e32 v60, 8, v60
	;; [unrolled: 1-line block ×3, first 2 shown]
	v_cmp_lt_u32_e32 vcc_lo, 9, v59
	s_or_b32 s5, vcc_lo, s5
	s_waitcnt vmcnt(1) lgkmcnt(0)
	v_mul_f32_e32 v67, v64, v65
	v_mul_f32_e32 v65, v63, v65
	s_waitcnt vmcnt(0)
	v_fma_f32 v63, v63, v66, -v67
	v_fmac_f32_e32 v65, v64, v66
	v_add_f32_e32 v62, v62, v63
	v_add_f32_e32 v56, v56, v65
	s_andn2_b32 exec_lo, exec_lo, s5
	s_cbranch_execnz .LBB26_57
; %bb.58:
	s_or_b32 exec_lo, exec_lo, s5
	v_mov_b32_e32 v59, 0
	ds_read_b64 v[59:60], v59 offset:88
	s_waitcnt lgkmcnt(0)
	v_mul_f32_e32 v61, v56, v60
	v_mul_f32_e32 v60, v62, v60
	v_fma_f32 v61, v62, v59, -v61
	v_fmac_f32_e32 v60, v56, v59
	buffer_store_dword v61, off, s[0:3], 0 offset:88
	buffer_store_dword v60, off, s[0:3], 0 offset:92
.LBB26_59:
	s_or_b32 exec_lo, exec_lo, s4
	s_waitcnt_vscnt null, 0x0
	s_barrier
	buffer_gl0_inv
	s_clause 0x1
	buffer_load_dword v59, off, s[0:3], 0 offset:96
	buffer_load_dword v60, off, s[0:3], 0 offset:100
	s_mov_b32 s4, exec_lo
	s_waitcnt vmcnt(0)
	ds_write_b64 v58, v[59:60]
	s_waitcnt lgkmcnt(0)
	s_barrier
	buffer_gl0_inv
	v_cmpx_gt_u32_e32 12, v0
	s_cbranch_execz .LBB26_63
; %bb.60:
	v_add_nc_u32_e32 v59, -1, v0
	v_add_nc_u32_e32 v60, 0xe0, v57
	v_mov_b32_e32 v61, v57
	v_mov_b32_e32 v56, 0
	v_mov_b32_e32 v62, 0
	s_mov_b32 s5, 0
	.p2align	6
.LBB26_61:                              ; =>This Inner Loop Header: Depth=1
	s_clause 0x1
	buffer_load_dword v65, v61, s[0:3], 0 offen offset:4
	buffer_load_dword v66, v61, s[0:3], 0 offen
	ds_read_b64 v[63:64], v60
	v_add_nc_u32_e32 v59, 1, v59
	v_add_nc_u32_e32 v60, 8, v60
	;; [unrolled: 1-line block ×3, first 2 shown]
	v_cmp_lt_u32_e32 vcc_lo, 10, v59
	s_or_b32 s5, vcc_lo, s5
	s_waitcnt vmcnt(1) lgkmcnt(0)
	v_mul_f32_e32 v67, v64, v65
	v_mul_f32_e32 v65, v63, v65
	s_waitcnt vmcnt(0)
	v_fma_f32 v63, v63, v66, -v67
	v_fmac_f32_e32 v65, v64, v66
	v_add_f32_e32 v62, v62, v63
	v_add_f32_e32 v56, v56, v65
	s_andn2_b32 exec_lo, exec_lo, s5
	s_cbranch_execnz .LBB26_61
; %bb.62:
	s_or_b32 exec_lo, exec_lo, s5
	v_mov_b32_e32 v59, 0
	ds_read_b64 v[59:60], v59 offset:96
	s_waitcnt lgkmcnt(0)
	v_mul_f32_e32 v61, v56, v60
	v_mul_f32_e32 v60, v62, v60
	v_fma_f32 v61, v62, v59, -v61
	v_fmac_f32_e32 v60, v56, v59
	buffer_store_dword v61, off, s[0:3], 0 offset:96
	buffer_store_dword v60, off, s[0:3], 0 offset:100
.LBB26_63:
	s_or_b32 exec_lo, exec_lo, s4
	s_waitcnt_vscnt null, 0x0
	s_barrier
	buffer_gl0_inv
	s_clause 0x1
	buffer_load_dword v59, off, s[0:3], 0 offset:104
	buffer_load_dword v60, off, s[0:3], 0 offset:108
	s_mov_b32 s4, exec_lo
	s_waitcnt vmcnt(0)
	ds_write_b64 v58, v[59:60]
	s_waitcnt lgkmcnt(0)
	s_barrier
	buffer_gl0_inv
	v_cmpx_gt_u32_e32 13, v0
	s_cbranch_execz .LBB26_67
; %bb.64:
	v_add_nc_u32_e32 v59, -1, v0
	v_add_nc_u32_e32 v60, 0xe0, v57
	v_mov_b32_e32 v61, v57
	v_mov_b32_e32 v56, 0
	v_mov_b32_e32 v62, 0
	s_mov_b32 s5, 0
	.p2align	6
.LBB26_65:                              ; =>This Inner Loop Header: Depth=1
	s_clause 0x1
	buffer_load_dword v65, v61, s[0:3], 0 offen offset:4
	buffer_load_dword v66, v61, s[0:3], 0 offen
	ds_read_b64 v[63:64], v60
	v_add_nc_u32_e32 v59, 1, v59
	v_add_nc_u32_e32 v60, 8, v60
	;; [unrolled: 1-line block ×3, first 2 shown]
	v_cmp_lt_u32_e32 vcc_lo, 11, v59
	s_or_b32 s5, vcc_lo, s5
	s_waitcnt vmcnt(1) lgkmcnt(0)
	v_mul_f32_e32 v67, v64, v65
	v_mul_f32_e32 v65, v63, v65
	s_waitcnt vmcnt(0)
	v_fma_f32 v63, v63, v66, -v67
	v_fmac_f32_e32 v65, v64, v66
	v_add_f32_e32 v62, v62, v63
	v_add_f32_e32 v56, v56, v65
	s_andn2_b32 exec_lo, exec_lo, s5
	s_cbranch_execnz .LBB26_65
; %bb.66:
	s_or_b32 exec_lo, exec_lo, s5
	v_mov_b32_e32 v59, 0
	ds_read_b64 v[59:60], v59 offset:104
	s_waitcnt lgkmcnt(0)
	v_mul_f32_e32 v61, v56, v60
	v_mul_f32_e32 v60, v62, v60
	v_fma_f32 v61, v62, v59, -v61
	v_fmac_f32_e32 v60, v56, v59
	buffer_store_dword v61, off, s[0:3], 0 offset:104
	buffer_store_dword v60, off, s[0:3], 0 offset:108
.LBB26_67:
	s_or_b32 exec_lo, exec_lo, s4
	s_waitcnt_vscnt null, 0x0
	s_barrier
	buffer_gl0_inv
	s_clause 0x1
	buffer_load_dword v59, off, s[0:3], 0 offset:112
	buffer_load_dword v60, off, s[0:3], 0 offset:116
	s_mov_b32 s4, exec_lo
	s_waitcnt vmcnt(0)
	ds_write_b64 v58, v[59:60]
	s_waitcnt lgkmcnt(0)
	s_barrier
	buffer_gl0_inv
	v_cmpx_gt_u32_e32 14, v0
	s_cbranch_execz .LBB26_71
; %bb.68:
	v_add_nc_u32_e32 v59, -1, v0
	v_add_nc_u32_e32 v60, 0xe0, v57
	v_mov_b32_e32 v61, v57
	v_mov_b32_e32 v56, 0
	;; [unrolled: 1-line block ×3, first 2 shown]
	s_mov_b32 s5, 0
	.p2align	6
.LBB26_69:                              ; =>This Inner Loop Header: Depth=1
	s_clause 0x1
	buffer_load_dword v65, v61, s[0:3], 0 offen offset:4
	buffer_load_dword v66, v61, s[0:3], 0 offen
	ds_read_b64 v[63:64], v60
	v_add_nc_u32_e32 v59, 1, v59
	v_add_nc_u32_e32 v60, 8, v60
	;; [unrolled: 1-line block ×3, first 2 shown]
	v_cmp_lt_u32_e32 vcc_lo, 12, v59
	s_or_b32 s5, vcc_lo, s5
	s_waitcnt vmcnt(1) lgkmcnt(0)
	v_mul_f32_e32 v67, v64, v65
	v_mul_f32_e32 v65, v63, v65
	s_waitcnt vmcnt(0)
	v_fma_f32 v63, v63, v66, -v67
	v_fmac_f32_e32 v65, v64, v66
	v_add_f32_e32 v62, v62, v63
	v_add_f32_e32 v56, v56, v65
	s_andn2_b32 exec_lo, exec_lo, s5
	s_cbranch_execnz .LBB26_69
; %bb.70:
	s_or_b32 exec_lo, exec_lo, s5
	v_mov_b32_e32 v59, 0
	ds_read_b64 v[59:60], v59 offset:112
	s_waitcnt lgkmcnt(0)
	v_mul_f32_e32 v61, v56, v60
	v_mul_f32_e32 v60, v62, v60
	v_fma_f32 v61, v62, v59, -v61
	v_fmac_f32_e32 v60, v56, v59
	buffer_store_dword v61, off, s[0:3], 0 offset:112
	buffer_store_dword v60, off, s[0:3], 0 offset:116
.LBB26_71:
	s_or_b32 exec_lo, exec_lo, s4
	s_waitcnt_vscnt null, 0x0
	s_barrier
	buffer_gl0_inv
	s_clause 0x1
	buffer_load_dword v59, off, s[0:3], 0 offset:120
	buffer_load_dword v60, off, s[0:3], 0 offset:124
	s_mov_b32 s4, exec_lo
	s_waitcnt vmcnt(0)
	ds_write_b64 v58, v[59:60]
	s_waitcnt lgkmcnt(0)
	s_barrier
	buffer_gl0_inv
	v_cmpx_gt_u32_e32 15, v0
	s_cbranch_execz .LBB26_75
; %bb.72:
	v_add_nc_u32_e32 v59, -1, v0
	v_add_nc_u32_e32 v60, 0xe0, v57
	v_mov_b32_e32 v61, v57
	v_mov_b32_e32 v56, 0
	;; [unrolled: 1-line block ×3, first 2 shown]
	s_mov_b32 s5, 0
	.p2align	6
.LBB26_73:                              ; =>This Inner Loop Header: Depth=1
	s_clause 0x1
	buffer_load_dword v65, v61, s[0:3], 0 offen offset:4
	buffer_load_dword v66, v61, s[0:3], 0 offen
	ds_read_b64 v[63:64], v60
	v_add_nc_u32_e32 v59, 1, v59
	v_add_nc_u32_e32 v60, 8, v60
	;; [unrolled: 1-line block ×3, first 2 shown]
	v_cmp_lt_u32_e32 vcc_lo, 13, v59
	s_or_b32 s5, vcc_lo, s5
	s_waitcnt vmcnt(1) lgkmcnt(0)
	v_mul_f32_e32 v67, v64, v65
	v_mul_f32_e32 v65, v63, v65
	s_waitcnt vmcnt(0)
	v_fma_f32 v63, v63, v66, -v67
	v_fmac_f32_e32 v65, v64, v66
	v_add_f32_e32 v62, v62, v63
	v_add_f32_e32 v56, v56, v65
	s_andn2_b32 exec_lo, exec_lo, s5
	s_cbranch_execnz .LBB26_73
; %bb.74:
	s_or_b32 exec_lo, exec_lo, s5
	v_mov_b32_e32 v59, 0
	ds_read_b64 v[59:60], v59 offset:120
	s_waitcnt lgkmcnt(0)
	v_mul_f32_e32 v61, v56, v60
	v_mul_f32_e32 v60, v62, v60
	v_fma_f32 v61, v62, v59, -v61
	v_fmac_f32_e32 v60, v56, v59
	buffer_store_dword v61, off, s[0:3], 0 offset:120
	buffer_store_dword v60, off, s[0:3], 0 offset:124
.LBB26_75:
	s_or_b32 exec_lo, exec_lo, s4
	s_waitcnt_vscnt null, 0x0
	s_barrier
	buffer_gl0_inv
	s_clause 0x1
	buffer_load_dword v59, off, s[0:3], 0 offset:128
	buffer_load_dword v60, off, s[0:3], 0 offset:132
	s_mov_b32 s4, exec_lo
	s_waitcnt vmcnt(0)
	ds_write_b64 v58, v[59:60]
	s_waitcnt lgkmcnt(0)
	s_barrier
	buffer_gl0_inv
	v_cmpx_gt_u32_e32 16, v0
	s_cbranch_execz .LBB26_79
; %bb.76:
	v_add_nc_u32_e32 v59, -1, v0
	v_add_nc_u32_e32 v60, 0xe0, v57
	v_mov_b32_e32 v61, v57
	v_mov_b32_e32 v56, 0
	;; [unrolled: 1-line block ×3, first 2 shown]
	s_mov_b32 s5, 0
	.p2align	6
.LBB26_77:                              ; =>This Inner Loop Header: Depth=1
	s_clause 0x1
	buffer_load_dword v65, v61, s[0:3], 0 offen offset:4
	buffer_load_dword v66, v61, s[0:3], 0 offen
	ds_read_b64 v[63:64], v60
	v_add_nc_u32_e32 v59, 1, v59
	v_add_nc_u32_e32 v60, 8, v60
	;; [unrolled: 1-line block ×3, first 2 shown]
	v_cmp_lt_u32_e32 vcc_lo, 14, v59
	s_or_b32 s5, vcc_lo, s5
	s_waitcnt vmcnt(1) lgkmcnt(0)
	v_mul_f32_e32 v67, v64, v65
	v_mul_f32_e32 v65, v63, v65
	s_waitcnt vmcnt(0)
	v_fma_f32 v63, v63, v66, -v67
	v_fmac_f32_e32 v65, v64, v66
	v_add_f32_e32 v62, v62, v63
	v_add_f32_e32 v56, v56, v65
	s_andn2_b32 exec_lo, exec_lo, s5
	s_cbranch_execnz .LBB26_77
; %bb.78:
	s_or_b32 exec_lo, exec_lo, s5
	v_mov_b32_e32 v59, 0
	ds_read_b64 v[59:60], v59 offset:128
	s_waitcnt lgkmcnt(0)
	v_mul_f32_e32 v61, v56, v60
	v_mul_f32_e32 v60, v62, v60
	v_fma_f32 v61, v62, v59, -v61
	v_fmac_f32_e32 v60, v56, v59
	buffer_store_dword v61, off, s[0:3], 0 offset:128
	buffer_store_dword v60, off, s[0:3], 0 offset:132
.LBB26_79:
	s_or_b32 exec_lo, exec_lo, s4
	s_waitcnt_vscnt null, 0x0
	s_barrier
	buffer_gl0_inv
	s_clause 0x1
	buffer_load_dword v59, off, s[0:3], 0 offset:136
	buffer_load_dword v60, off, s[0:3], 0 offset:140
	s_mov_b32 s4, exec_lo
	s_waitcnt vmcnt(0)
	ds_write_b64 v58, v[59:60]
	s_waitcnt lgkmcnt(0)
	s_barrier
	buffer_gl0_inv
	v_cmpx_gt_u32_e32 17, v0
	s_cbranch_execz .LBB26_83
; %bb.80:
	v_add_nc_u32_e32 v59, -1, v0
	v_add_nc_u32_e32 v60, 0xe0, v57
	v_mov_b32_e32 v61, v57
	v_mov_b32_e32 v56, 0
	;; [unrolled: 1-line block ×3, first 2 shown]
	s_mov_b32 s5, 0
	.p2align	6
.LBB26_81:                              ; =>This Inner Loop Header: Depth=1
	s_clause 0x1
	buffer_load_dword v65, v61, s[0:3], 0 offen offset:4
	buffer_load_dword v66, v61, s[0:3], 0 offen
	ds_read_b64 v[63:64], v60
	v_add_nc_u32_e32 v59, 1, v59
	v_add_nc_u32_e32 v60, 8, v60
	;; [unrolled: 1-line block ×3, first 2 shown]
	v_cmp_lt_u32_e32 vcc_lo, 15, v59
	s_or_b32 s5, vcc_lo, s5
	s_waitcnt vmcnt(1) lgkmcnt(0)
	v_mul_f32_e32 v67, v64, v65
	v_mul_f32_e32 v65, v63, v65
	s_waitcnt vmcnt(0)
	v_fma_f32 v63, v63, v66, -v67
	v_fmac_f32_e32 v65, v64, v66
	v_add_f32_e32 v62, v62, v63
	v_add_f32_e32 v56, v56, v65
	s_andn2_b32 exec_lo, exec_lo, s5
	s_cbranch_execnz .LBB26_81
; %bb.82:
	s_or_b32 exec_lo, exec_lo, s5
	v_mov_b32_e32 v59, 0
	ds_read_b64 v[59:60], v59 offset:136
	s_waitcnt lgkmcnt(0)
	v_mul_f32_e32 v61, v56, v60
	v_mul_f32_e32 v60, v62, v60
	v_fma_f32 v61, v62, v59, -v61
	v_fmac_f32_e32 v60, v56, v59
	buffer_store_dword v61, off, s[0:3], 0 offset:136
	buffer_store_dword v60, off, s[0:3], 0 offset:140
.LBB26_83:
	s_or_b32 exec_lo, exec_lo, s4
	s_waitcnt_vscnt null, 0x0
	s_barrier
	buffer_gl0_inv
	s_clause 0x1
	buffer_load_dword v59, off, s[0:3], 0 offset:144
	buffer_load_dword v60, off, s[0:3], 0 offset:148
	s_mov_b32 s4, exec_lo
	s_waitcnt vmcnt(0)
	ds_write_b64 v58, v[59:60]
	s_waitcnt lgkmcnt(0)
	s_barrier
	buffer_gl0_inv
	v_cmpx_gt_u32_e32 18, v0
	s_cbranch_execz .LBB26_87
; %bb.84:
	v_add_nc_u32_e32 v59, -1, v0
	v_add_nc_u32_e32 v60, 0xe0, v57
	v_mov_b32_e32 v61, v57
	v_mov_b32_e32 v56, 0
	;; [unrolled: 1-line block ×3, first 2 shown]
	s_mov_b32 s5, 0
	.p2align	6
.LBB26_85:                              ; =>This Inner Loop Header: Depth=1
	s_clause 0x1
	buffer_load_dword v65, v61, s[0:3], 0 offen offset:4
	buffer_load_dword v66, v61, s[0:3], 0 offen
	ds_read_b64 v[63:64], v60
	v_add_nc_u32_e32 v59, 1, v59
	v_add_nc_u32_e32 v60, 8, v60
	;; [unrolled: 1-line block ×3, first 2 shown]
	v_cmp_lt_u32_e32 vcc_lo, 16, v59
	s_or_b32 s5, vcc_lo, s5
	s_waitcnt vmcnt(1) lgkmcnt(0)
	v_mul_f32_e32 v67, v64, v65
	v_mul_f32_e32 v65, v63, v65
	s_waitcnt vmcnt(0)
	v_fma_f32 v63, v63, v66, -v67
	v_fmac_f32_e32 v65, v64, v66
	v_add_f32_e32 v62, v62, v63
	v_add_f32_e32 v56, v56, v65
	s_andn2_b32 exec_lo, exec_lo, s5
	s_cbranch_execnz .LBB26_85
; %bb.86:
	s_or_b32 exec_lo, exec_lo, s5
	v_mov_b32_e32 v59, 0
	ds_read_b64 v[59:60], v59 offset:144
	s_waitcnt lgkmcnt(0)
	v_mul_f32_e32 v61, v56, v60
	v_mul_f32_e32 v60, v62, v60
	v_fma_f32 v61, v62, v59, -v61
	v_fmac_f32_e32 v60, v56, v59
	buffer_store_dword v61, off, s[0:3], 0 offset:144
	buffer_store_dword v60, off, s[0:3], 0 offset:148
.LBB26_87:
	s_or_b32 exec_lo, exec_lo, s4
	s_waitcnt_vscnt null, 0x0
	s_barrier
	buffer_gl0_inv
	s_clause 0x1
	buffer_load_dword v59, off, s[0:3], 0 offset:152
	buffer_load_dword v60, off, s[0:3], 0 offset:156
	s_mov_b32 s4, exec_lo
	s_waitcnt vmcnt(0)
	ds_write_b64 v58, v[59:60]
	s_waitcnt lgkmcnt(0)
	s_barrier
	buffer_gl0_inv
	v_cmpx_gt_u32_e32 19, v0
	s_cbranch_execz .LBB26_91
; %bb.88:
	v_add_nc_u32_e32 v59, -1, v0
	v_add_nc_u32_e32 v60, 0xe0, v57
	v_mov_b32_e32 v61, v57
	v_mov_b32_e32 v56, 0
	;; [unrolled: 1-line block ×3, first 2 shown]
	s_mov_b32 s5, 0
	.p2align	6
.LBB26_89:                              ; =>This Inner Loop Header: Depth=1
	s_clause 0x1
	buffer_load_dword v65, v61, s[0:3], 0 offen offset:4
	buffer_load_dword v66, v61, s[0:3], 0 offen
	ds_read_b64 v[63:64], v60
	v_add_nc_u32_e32 v59, 1, v59
	v_add_nc_u32_e32 v60, 8, v60
	;; [unrolled: 1-line block ×3, first 2 shown]
	v_cmp_lt_u32_e32 vcc_lo, 17, v59
	s_or_b32 s5, vcc_lo, s5
	s_waitcnt vmcnt(1) lgkmcnt(0)
	v_mul_f32_e32 v67, v64, v65
	v_mul_f32_e32 v65, v63, v65
	s_waitcnt vmcnt(0)
	v_fma_f32 v63, v63, v66, -v67
	v_fmac_f32_e32 v65, v64, v66
	v_add_f32_e32 v62, v62, v63
	v_add_f32_e32 v56, v56, v65
	s_andn2_b32 exec_lo, exec_lo, s5
	s_cbranch_execnz .LBB26_89
; %bb.90:
	s_or_b32 exec_lo, exec_lo, s5
	v_mov_b32_e32 v59, 0
	ds_read_b64 v[59:60], v59 offset:152
	s_waitcnt lgkmcnt(0)
	v_mul_f32_e32 v61, v56, v60
	v_mul_f32_e32 v60, v62, v60
	v_fma_f32 v61, v62, v59, -v61
	v_fmac_f32_e32 v60, v56, v59
	buffer_store_dword v61, off, s[0:3], 0 offset:152
	buffer_store_dword v60, off, s[0:3], 0 offset:156
.LBB26_91:
	s_or_b32 exec_lo, exec_lo, s4
	s_waitcnt_vscnt null, 0x0
	s_barrier
	buffer_gl0_inv
	s_clause 0x1
	buffer_load_dword v59, off, s[0:3], 0 offset:160
	buffer_load_dword v60, off, s[0:3], 0 offset:164
	s_mov_b32 s4, exec_lo
	s_waitcnt vmcnt(0)
	ds_write_b64 v58, v[59:60]
	s_waitcnt lgkmcnt(0)
	s_barrier
	buffer_gl0_inv
	v_cmpx_gt_u32_e32 20, v0
	s_cbranch_execz .LBB26_95
; %bb.92:
	v_add_nc_u32_e32 v59, -1, v0
	v_add_nc_u32_e32 v60, 0xe0, v57
	v_mov_b32_e32 v61, v57
	v_mov_b32_e32 v56, 0
	;; [unrolled: 1-line block ×3, first 2 shown]
	s_mov_b32 s5, 0
	.p2align	6
.LBB26_93:                              ; =>This Inner Loop Header: Depth=1
	s_clause 0x1
	buffer_load_dword v65, v61, s[0:3], 0 offen offset:4
	buffer_load_dword v66, v61, s[0:3], 0 offen
	ds_read_b64 v[63:64], v60
	v_add_nc_u32_e32 v59, 1, v59
	v_add_nc_u32_e32 v60, 8, v60
	;; [unrolled: 1-line block ×3, first 2 shown]
	v_cmp_lt_u32_e32 vcc_lo, 18, v59
	s_or_b32 s5, vcc_lo, s5
	s_waitcnt vmcnt(1) lgkmcnt(0)
	v_mul_f32_e32 v67, v64, v65
	v_mul_f32_e32 v65, v63, v65
	s_waitcnt vmcnt(0)
	v_fma_f32 v63, v63, v66, -v67
	v_fmac_f32_e32 v65, v64, v66
	v_add_f32_e32 v62, v62, v63
	v_add_f32_e32 v56, v56, v65
	s_andn2_b32 exec_lo, exec_lo, s5
	s_cbranch_execnz .LBB26_93
; %bb.94:
	s_or_b32 exec_lo, exec_lo, s5
	v_mov_b32_e32 v59, 0
	ds_read_b64 v[59:60], v59 offset:160
	s_waitcnt lgkmcnt(0)
	v_mul_f32_e32 v61, v56, v60
	v_mul_f32_e32 v60, v62, v60
	v_fma_f32 v61, v62, v59, -v61
	v_fmac_f32_e32 v60, v56, v59
	buffer_store_dword v61, off, s[0:3], 0 offset:160
	buffer_store_dword v60, off, s[0:3], 0 offset:164
.LBB26_95:
	s_or_b32 exec_lo, exec_lo, s4
	s_waitcnt_vscnt null, 0x0
	s_barrier
	buffer_gl0_inv
	s_clause 0x1
	buffer_load_dword v59, off, s[0:3], 0 offset:168
	buffer_load_dword v60, off, s[0:3], 0 offset:172
	s_mov_b32 s4, exec_lo
	s_waitcnt vmcnt(0)
	ds_write_b64 v58, v[59:60]
	s_waitcnt lgkmcnt(0)
	s_barrier
	buffer_gl0_inv
	v_cmpx_gt_u32_e32 21, v0
	s_cbranch_execz .LBB26_99
; %bb.96:
	v_add_nc_u32_e32 v59, -1, v0
	v_add_nc_u32_e32 v60, 0xe0, v57
	v_mov_b32_e32 v61, v57
	v_mov_b32_e32 v56, 0
	;; [unrolled: 1-line block ×3, first 2 shown]
	s_mov_b32 s5, 0
	.p2align	6
.LBB26_97:                              ; =>This Inner Loop Header: Depth=1
	s_clause 0x1
	buffer_load_dword v65, v61, s[0:3], 0 offen offset:4
	buffer_load_dword v66, v61, s[0:3], 0 offen
	ds_read_b64 v[63:64], v60
	v_add_nc_u32_e32 v59, 1, v59
	v_add_nc_u32_e32 v60, 8, v60
	;; [unrolled: 1-line block ×3, first 2 shown]
	v_cmp_lt_u32_e32 vcc_lo, 19, v59
	s_or_b32 s5, vcc_lo, s5
	s_waitcnt vmcnt(1) lgkmcnt(0)
	v_mul_f32_e32 v67, v64, v65
	v_mul_f32_e32 v65, v63, v65
	s_waitcnt vmcnt(0)
	v_fma_f32 v63, v63, v66, -v67
	v_fmac_f32_e32 v65, v64, v66
	v_add_f32_e32 v62, v62, v63
	v_add_f32_e32 v56, v56, v65
	s_andn2_b32 exec_lo, exec_lo, s5
	s_cbranch_execnz .LBB26_97
; %bb.98:
	s_or_b32 exec_lo, exec_lo, s5
	v_mov_b32_e32 v59, 0
	ds_read_b64 v[59:60], v59 offset:168
	s_waitcnt lgkmcnt(0)
	v_mul_f32_e32 v61, v56, v60
	v_mul_f32_e32 v60, v62, v60
	v_fma_f32 v61, v62, v59, -v61
	v_fmac_f32_e32 v60, v56, v59
	buffer_store_dword v61, off, s[0:3], 0 offset:168
	buffer_store_dword v60, off, s[0:3], 0 offset:172
.LBB26_99:
	s_or_b32 exec_lo, exec_lo, s4
	s_waitcnt_vscnt null, 0x0
	s_barrier
	buffer_gl0_inv
	s_clause 0x1
	buffer_load_dword v59, off, s[0:3], 0 offset:176
	buffer_load_dword v60, off, s[0:3], 0 offset:180
	s_mov_b32 s4, exec_lo
	s_waitcnt vmcnt(0)
	ds_write_b64 v58, v[59:60]
	s_waitcnt lgkmcnt(0)
	s_barrier
	buffer_gl0_inv
	v_cmpx_gt_u32_e32 22, v0
	s_cbranch_execz .LBB26_103
; %bb.100:
	v_add_nc_u32_e32 v59, -1, v0
	v_add_nc_u32_e32 v60, 0xe0, v57
	v_mov_b32_e32 v61, v57
	v_mov_b32_e32 v56, 0
	;; [unrolled: 1-line block ×3, first 2 shown]
	s_mov_b32 s5, 0
	.p2align	6
.LBB26_101:                             ; =>This Inner Loop Header: Depth=1
	s_clause 0x1
	buffer_load_dword v65, v61, s[0:3], 0 offen offset:4
	buffer_load_dword v66, v61, s[0:3], 0 offen
	ds_read_b64 v[63:64], v60
	v_add_nc_u32_e32 v59, 1, v59
	v_add_nc_u32_e32 v60, 8, v60
	;; [unrolled: 1-line block ×3, first 2 shown]
	v_cmp_lt_u32_e32 vcc_lo, 20, v59
	s_or_b32 s5, vcc_lo, s5
	s_waitcnt vmcnt(1) lgkmcnt(0)
	v_mul_f32_e32 v67, v64, v65
	v_mul_f32_e32 v65, v63, v65
	s_waitcnt vmcnt(0)
	v_fma_f32 v63, v63, v66, -v67
	v_fmac_f32_e32 v65, v64, v66
	v_add_f32_e32 v62, v62, v63
	v_add_f32_e32 v56, v56, v65
	s_andn2_b32 exec_lo, exec_lo, s5
	s_cbranch_execnz .LBB26_101
; %bb.102:
	s_or_b32 exec_lo, exec_lo, s5
	v_mov_b32_e32 v59, 0
	ds_read_b64 v[59:60], v59 offset:176
	s_waitcnt lgkmcnt(0)
	v_mul_f32_e32 v61, v56, v60
	v_mul_f32_e32 v60, v62, v60
	v_fma_f32 v61, v62, v59, -v61
	v_fmac_f32_e32 v60, v56, v59
	buffer_store_dword v61, off, s[0:3], 0 offset:176
	buffer_store_dword v60, off, s[0:3], 0 offset:180
.LBB26_103:
	s_or_b32 exec_lo, exec_lo, s4
	s_waitcnt_vscnt null, 0x0
	s_barrier
	buffer_gl0_inv
	s_clause 0x1
	buffer_load_dword v59, off, s[0:3], 0 offset:184
	buffer_load_dword v60, off, s[0:3], 0 offset:188
	s_mov_b32 s4, exec_lo
	s_waitcnt vmcnt(0)
	ds_write_b64 v58, v[59:60]
	s_waitcnt lgkmcnt(0)
	s_barrier
	buffer_gl0_inv
	v_cmpx_gt_u32_e32 23, v0
	s_cbranch_execz .LBB26_107
; %bb.104:
	v_add_nc_u32_e32 v59, -1, v0
	v_add_nc_u32_e32 v60, 0xe0, v57
	v_mov_b32_e32 v61, v57
	v_mov_b32_e32 v56, 0
	;; [unrolled: 1-line block ×3, first 2 shown]
	s_mov_b32 s5, 0
	.p2align	6
.LBB26_105:                             ; =>This Inner Loop Header: Depth=1
	s_clause 0x1
	buffer_load_dword v65, v61, s[0:3], 0 offen offset:4
	buffer_load_dword v66, v61, s[0:3], 0 offen
	ds_read_b64 v[63:64], v60
	v_add_nc_u32_e32 v59, 1, v59
	v_add_nc_u32_e32 v60, 8, v60
	;; [unrolled: 1-line block ×3, first 2 shown]
	v_cmp_lt_u32_e32 vcc_lo, 21, v59
	s_or_b32 s5, vcc_lo, s5
	s_waitcnt vmcnt(1) lgkmcnt(0)
	v_mul_f32_e32 v67, v64, v65
	v_mul_f32_e32 v65, v63, v65
	s_waitcnt vmcnt(0)
	v_fma_f32 v63, v63, v66, -v67
	v_fmac_f32_e32 v65, v64, v66
	v_add_f32_e32 v62, v62, v63
	v_add_f32_e32 v56, v56, v65
	s_andn2_b32 exec_lo, exec_lo, s5
	s_cbranch_execnz .LBB26_105
; %bb.106:
	s_or_b32 exec_lo, exec_lo, s5
	v_mov_b32_e32 v59, 0
	ds_read_b64 v[59:60], v59 offset:184
	s_waitcnt lgkmcnt(0)
	v_mul_f32_e32 v61, v56, v60
	v_mul_f32_e32 v60, v62, v60
	v_fma_f32 v61, v62, v59, -v61
	v_fmac_f32_e32 v60, v56, v59
	buffer_store_dword v61, off, s[0:3], 0 offset:184
	buffer_store_dword v60, off, s[0:3], 0 offset:188
.LBB26_107:
	s_or_b32 exec_lo, exec_lo, s4
	s_waitcnt_vscnt null, 0x0
	s_barrier
	buffer_gl0_inv
	s_clause 0x1
	buffer_load_dword v59, off, s[0:3], 0 offset:192
	buffer_load_dword v60, off, s[0:3], 0 offset:196
	s_mov_b32 s4, exec_lo
	s_waitcnt vmcnt(0)
	ds_write_b64 v58, v[59:60]
	s_waitcnt lgkmcnt(0)
	s_barrier
	buffer_gl0_inv
	v_cmpx_gt_u32_e32 24, v0
	s_cbranch_execz .LBB26_111
; %bb.108:
	v_add_nc_u32_e32 v59, -1, v0
	v_add_nc_u32_e32 v60, 0xe0, v57
	v_mov_b32_e32 v61, v57
	v_mov_b32_e32 v56, 0
	;; [unrolled: 1-line block ×3, first 2 shown]
	s_mov_b32 s5, 0
	.p2align	6
.LBB26_109:                             ; =>This Inner Loop Header: Depth=1
	s_clause 0x1
	buffer_load_dword v65, v61, s[0:3], 0 offen offset:4
	buffer_load_dword v66, v61, s[0:3], 0 offen
	ds_read_b64 v[63:64], v60
	v_add_nc_u32_e32 v59, 1, v59
	v_add_nc_u32_e32 v60, 8, v60
	;; [unrolled: 1-line block ×3, first 2 shown]
	v_cmp_lt_u32_e32 vcc_lo, 22, v59
	s_or_b32 s5, vcc_lo, s5
	s_waitcnt vmcnt(1) lgkmcnt(0)
	v_mul_f32_e32 v67, v64, v65
	v_mul_f32_e32 v65, v63, v65
	s_waitcnt vmcnt(0)
	v_fma_f32 v63, v63, v66, -v67
	v_fmac_f32_e32 v65, v64, v66
	v_add_f32_e32 v62, v62, v63
	v_add_f32_e32 v56, v56, v65
	s_andn2_b32 exec_lo, exec_lo, s5
	s_cbranch_execnz .LBB26_109
; %bb.110:
	s_or_b32 exec_lo, exec_lo, s5
	v_mov_b32_e32 v59, 0
	ds_read_b64 v[59:60], v59 offset:192
	s_waitcnt lgkmcnt(0)
	v_mul_f32_e32 v61, v56, v60
	v_mul_f32_e32 v60, v62, v60
	v_fma_f32 v61, v62, v59, -v61
	v_fmac_f32_e32 v60, v56, v59
	buffer_store_dword v61, off, s[0:3], 0 offset:192
	buffer_store_dword v60, off, s[0:3], 0 offset:196
.LBB26_111:
	s_or_b32 exec_lo, exec_lo, s4
	s_waitcnt_vscnt null, 0x0
	s_barrier
	buffer_gl0_inv
	s_clause 0x1
	buffer_load_dword v59, off, s[0:3], 0 offset:200
	buffer_load_dword v60, off, s[0:3], 0 offset:204
	s_mov_b32 s4, exec_lo
	s_waitcnt vmcnt(0)
	ds_write_b64 v58, v[59:60]
	s_waitcnt lgkmcnt(0)
	s_barrier
	buffer_gl0_inv
	v_cmpx_gt_u32_e32 25, v0
	s_cbranch_execz .LBB26_115
; %bb.112:
	v_add_nc_u32_e32 v59, -1, v0
	v_add_nc_u32_e32 v60, 0xe0, v57
	v_mov_b32_e32 v61, v57
	v_mov_b32_e32 v56, 0
	;; [unrolled: 1-line block ×3, first 2 shown]
	s_mov_b32 s5, 0
	.p2align	6
.LBB26_113:                             ; =>This Inner Loop Header: Depth=1
	s_clause 0x1
	buffer_load_dword v65, v61, s[0:3], 0 offen offset:4
	buffer_load_dword v66, v61, s[0:3], 0 offen
	ds_read_b64 v[63:64], v60
	v_add_nc_u32_e32 v59, 1, v59
	v_add_nc_u32_e32 v60, 8, v60
	;; [unrolled: 1-line block ×3, first 2 shown]
	v_cmp_lt_u32_e32 vcc_lo, 23, v59
	s_or_b32 s5, vcc_lo, s5
	s_waitcnt vmcnt(1) lgkmcnt(0)
	v_mul_f32_e32 v67, v64, v65
	v_mul_f32_e32 v65, v63, v65
	s_waitcnt vmcnt(0)
	v_fma_f32 v63, v63, v66, -v67
	v_fmac_f32_e32 v65, v64, v66
	v_add_f32_e32 v62, v62, v63
	v_add_f32_e32 v56, v56, v65
	s_andn2_b32 exec_lo, exec_lo, s5
	s_cbranch_execnz .LBB26_113
; %bb.114:
	s_or_b32 exec_lo, exec_lo, s5
	v_mov_b32_e32 v59, 0
	ds_read_b64 v[59:60], v59 offset:200
	s_waitcnt lgkmcnt(0)
	v_mul_f32_e32 v61, v56, v60
	v_mul_f32_e32 v60, v62, v60
	v_fma_f32 v61, v62, v59, -v61
	v_fmac_f32_e32 v60, v56, v59
	buffer_store_dword v61, off, s[0:3], 0 offset:200
	buffer_store_dword v60, off, s[0:3], 0 offset:204
.LBB26_115:
	s_or_b32 exec_lo, exec_lo, s4
	s_waitcnt_vscnt null, 0x0
	s_barrier
	buffer_gl0_inv
	s_clause 0x1
	buffer_load_dword v59, off, s[0:3], 0 offset:208
	buffer_load_dword v60, off, s[0:3], 0 offset:212
	s_mov_b32 s4, exec_lo
	s_waitcnt vmcnt(0)
	ds_write_b64 v58, v[59:60]
	s_waitcnt lgkmcnt(0)
	s_barrier
	buffer_gl0_inv
	v_cmpx_ne_u32_e32 26, v0
	s_cbranch_execz .LBB26_119
; %bb.116:
	v_mov_b32_e32 v56, 0
	v_mov_b32_e32 v59, 0
	s_mov_b32 s5, 0
	.p2align	6
.LBB26_117:                             ; =>This Inner Loop Header: Depth=1
	s_clause 0x1
	buffer_load_dword v62, v57, s[0:3], 0 offen offset:4
	buffer_load_dword v63, v57, s[0:3], 0 offen
	ds_read_b64 v[60:61], v58
	v_add_nc_u32_e32 v55, 1, v55
	v_add_nc_u32_e32 v58, 8, v58
	;; [unrolled: 1-line block ×3, first 2 shown]
	v_cmp_lt_u32_e32 vcc_lo, 24, v55
	s_or_b32 s5, vcc_lo, s5
	s_waitcnt vmcnt(1) lgkmcnt(0)
	v_mul_f32_e32 v64, v61, v62
	v_mul_f32_e32 v62, v60, v62
	s_waitcnt vmcnt(0)
	v_fma_f32 v60, v60, v63, -v64
	v_fmac_f32_e32 v62, v61, v63
	v_add_f32_e32 v59, v59, v60
	v_add_f32_e32 v56, v56, v62
	s_andn2_b32 exec_lo, exec_lo, s5
	s_cbranch_execnz .LBB26_117
; %bb.118:
	s_or_b32 exec_lo, exec_lo, s5
	v_mov_b32_e32 v55, 0
	ds_read_b64 v[57:58], v55 offset:208
	s_waitcnt lgkmcnt(0)
	v_mul_f32_e32 v55, v56, v58
	v_mul_f32_e32 v58, v59, v58
	v_fma_f32 v55, v59, v57, -v55
	v_fmac_f32_e32 v58, v56, v57
	buffer_store_dword v55, off, s[0:3], 0 offset:208
	buffer_store_dword v58, off, s[0:3], 0 offset:212
.LBB26_119:
	s_or_b32 exec_lo, exec_lo, s4
	s_mov_b32 s5, -1
	s_waitcnt_vscnt null, 0x0
	s_barrier
	buffer_gl0_inv
.LBB26_120:
	s_and_b32 vcc_lo, exec_lo, s5
	s_cbranch_vccz .LBB26_122
; %bb.121:
	s_lshl_b64 s[4:5], s[6:7], 2
	v_mov_b32_e32 v55, 0
	s_add_u32 s4, s10, s4
	s_addc_u32 s5, s11, s5
	global_load_dword v55, v55, s[4:5]
	s_waitcnt vmcnt(0)
	v_cmp_ne_u32_e32 vcc_lo, 0, v55
	s_cbranch_vccz .LBB26_123
.LBB26_122:
	s_endpgm
.LBB26_123:
	v_lshl_add_u32 v55, v0, 3, 0xe0
	s_mov_b32 s4, exec_lo
	v_cmpx_eq_u32_e32 26, v0
	s_cbranch_execz .LBB26_125
; %bb.124:
	s_clause 0x1
	buffer_load_dword v56, off, s[0:3], 0 offset:200
	buffer_load_dword v57, off, s[0:3], 0 offset:204
	v_mov_b32_e32 v58, 0
	buffer_store_dword v58, off, s[0:3], 0 offset:200
	buffer_store_dword v58, off, s[0:3], 0 offset:204
	s_waitcnt vmcnt(0)
	ds_write_b64 v55, v[56:57]
.LBB26_125:
	s_or_b32 exec_lo, exec_lo, s4
	s_waitcnt lgkmcnt(0)
	s_waitcnt_vscnt null, 0x0
	s_barrier
	buffer_gl0_inv
	s_clause 0x3
	buffer_load_dword v59, off, s[0:3], 0 offset:212
	buffer_load_dword v60, off, s[0:3], 0 offset:208
	;; [unrolled: 1-line block ×4, first 2 shown]
	v_mov_b32_e32 v56, 0
	s_mov_b32 s4, exec_lo
	ds_read_b64 v[57:58], v56 offset:432
	s_waitcnt vmcnt(3) lgkmcnt(0)
	v_mul_f32_e32 v63, v58, v59
	v_mul_f32_e32 v59, v57, v59
	s_waitcnt vmcnt(2)
	v_fma_f32 v57, v57, v60, -v63
	v_fmac_f32_e32 v59, v58, v60
	v_add_f32_e32 v57, 0, v57
	v_add_f32_e32 v58, 0, v59
	s_waitcnt vmcnt(1)
	v_sub_f32_e32 v57, v61, v57
	s_waitcnt vmcnt(0)
	v_sub_f32_e32 v58, v62, v58
	buffer_store_dword v57, off, s[0:3], 0 offset:200
	buffer_store_dword v58, off, s[0:3], 0 offset:204
	v_cmpx_lt_u32_e32 24, v0
	s_cbranch_execz .LBB26_127
; %bb.126:
	s_clause 0x1
	buffer_load_dword v57, off, s[0:3], 0 offset:192
	buffer_load_dword v58, off, s[0:3], 0 offset:196
	buffer_store_dword v56, off, s[0:3], 0 offset:192
	buffer_store_dword v56, off, s[0:3], 0 offset:196
	s_waitcnt vmcnt(0)
	ds_write_b64 v55, v[57:58]
.LBB26_127:
	s_or_b32 exec_lo, exec_lo, s4
	s_waitcnt lgkmcnt(0)
	s_waitcnt_vscnt null, 0x0
	s_barrier
	buffer_gl0_inv
	s_clause 0x5
	buffer_load_dword v60, off, s[0:3], 0 offset:204
	buffer_load_dword v61, off, s[0:3], 0 offset:212
	buffer_load_dword v62, off, s[0:3], 0 offset:200
	buffer_load_dword v63, off, s[0:3], 0 offset:208
	buffer_load_dword v64, off, s[0:3], 0 offset:192
	buffer_load_dword v65, off, s[0:3], 0 offset:196
	ds_read2_b64 v[56:59], v56 offset0:53 offset1:54
	s_mov_b32 s4, exec_lo
	s_waitcnt vmcnt(5) lgkmcnt(0)
	v_mul_f32_e32 v66, v57, v60
	v_mul_f32_e32 v60, v56, v60
	s_waitcnt vmcnt(4)
	v_mul_f32_e32 v67, v58, v61
	v_mul_f32_e32 v61, v59, v61
	s_waitcnt vmcnt(3)
	v_fma_f32 v56, v56, v62, -v66
	v_fmac_f32_e32 v60, v57, v62
	s_waitcnt vmcnt(2)
	v_fmac_f32_e32 v67, v59, v63
	v_fma_f32 v57, v58, v63, -v61
	v_add_f32_e32 v56, 0, v56
	v_add_f32_e32 v58, 0, v60
	;; [unrolled: 1-line block ×4, first 2 shown]
	s_waitcnt vmcnt(1)
	v_sub_f32_e32 v56, v64, v56
	s_waitcnt vmcnt(0)
	v_sub_f32_e32 v57, v65, v57
	buffer_store_dword v56, off, s[0:3], 0 offset:192
	buffer_store_dword v57, off, s[0:3], 0 offset:196
	v_cmpx_lt_u32_e32 23, v0
	s_cbranch_execz .LBB26_129
; %bb.128:
	s_clause 0x1
	buffer_load_dword v56, off, s[0:3], 0 offset:184
	buffer_load_dword v57, off, s[0:3], 0 offset:188
	v_mov_b32_e32 v58, 0
	buffer_store_dword v58, off, s[0:3], 0 offset:184
	buffer_store_dword v58, off, s[0:3], 0 offset:188
	s_waitcnt vmcnt(0)
	ds_write_b64 v55, v[56:57]
.LBB26_129:
	s_or_b32 exec_lo, exec_lo, s4
	s_waitcnt lgkmcnt(0)
	s_waitcnt_vscnt null, 0x0
	s_barrier
	buffer_gl0_inv
	s_clause 0x7
	buffer_load_dword v63, off, s[0:3], 0 offset:196
	buffer_load_dword v64, off, s[0:3], 0 offset:204
	;; [unrolled: 1-line block ×8, first 2 shown]
	v_mov_b32_e32 v56, 0
	ds_read_b128 v[57:60], v56 offset:416
	ds_read_b64 v[61:62], v56 offset:432
	s_mov_b32 s4, exec_lo
	s_waitcnt vmcnt(7) lgkmcnt(1)
	v_mul_f32_e32 v71, v58, v63
	v_mul_f32_e32 v63, v57, v63
	s_waitcnt vmcnt(6)
	v_mul_f32_e32 v72, v59, v64
	v_mul_f32_e32 v64, v60, v64
	s_waitcnt vmcnt(5) lgkmcnt(0)
	v_mul_f32_e32 v73, v61, v65
	s_waitcnt vmcnt(4)
	v_fma_f32 v57, v57, v66, -v71
	v_fmac_f32_e32 v63, v58, v66
	v_mul_f32_e32 v58, v62, v65
	s_waitcnt vmcnt(3)
	v_fma_f32 v59, v59, v67, -v64
	v_fmac_f32_e32 v72, v60, v67
	v_add_f32_e32 v57, 0, v57
	v_add_f32_e32 v60, 0, v63
	s_waitcnt vmcnt(2)
	v_fma_f32 v58, v61, v68, -v58
	v_fmac_f32_e32 v73, v62, v68
	v_add_f32_e32 v57, v57, v59
	v_add_f32_e32 v59, v60, v72
	;; [unrolled: 1-line block ×4, first 2 shown]
	s_waitcnt vmcnt(1)
	v_sub_f32_e32 v57, v69, v57
	s_waitcnt vmcnt(0)
	v_sub_f32_e32 v58, v70, v58
	buffer_store_dword v57, off, s[0:3], 0 offset:184
	buffer_store_dword v58, off, s[0:3], 0 offset:188
	v_cmpx_lt_u32_e32 22, v0
	s_cbranch_execz .LBB26_131
; %bb.130:
	s_clause 0x1
	buffer_load_dword v57, off, s[0:3], 0 offset:176
	buffer_load_dword v58, off, s[0:3], 0 offset:180
	buffer_store_dword v56, off, s[0:3], 0 offset:176
	buffer_store_dword v56, off, s[0:3], 0 offset:180
	s_waitcnt vmcnt(0)
	ds_write_b64 v55, v[57:58]
.LBB26_131:
	s_or_b32 exec_lo, exec_lo, s4
	s_waitcnt lgkmcnt(0)
	s_waitcnt_vscnt null, 0x0
	s_barrier
	buffer_gl0_inv
	s_clause 0x9
	buffer_load_dword v65, off, s[0:3], 0 offset:188
	buffer_load_dword v66, off, s[0:3], 0 offset:196
	;; [unrolled: 1-line block ×10, first 2 shown]
	ds_read2_b64 v[57:60], v56 offset0:51 offset1:52
	ds_read2_b64 v[61:64], v56 offset0:53 offset1:54
	s_mov_b32 s4, exec_lo
	s_waitcnt vmcnt(9) lgkmcnt(1)
	v_mul_f32_e32 v56, v57, v65
	v_mul_f32_e32 v65, v58, v65
	s_waitcnt vmcnt(8)
	v_mul_f32_e32 v75, v59, v66
	v_mul_f32_e32 v66, v60, v66
	s_waitcnt vmcnt(7) lgkmcnt(0)
	v_mul_f32_e32 v76, v61, v67
	s_waitcnt vmcnt(5)
	v_fmac_f32_e32 v56, v58, v69
	v_fma_f32 v57, v57, v69, -v65
	v_mul_f32_e32 v58, v62, v67
	s_waitcnt vmcnt(4)
	v_fma_f32 v59, v59, v70, -v66
	v_fmac_f32_e32 v75, v60, v70
	v_add_f32_e32 v56, 0, v56
	v_add_f32_e32 v57, 0, v57
	v_mul_f32_e32 v60, v64, v68
	s_waitcnt vmcnt(3)
	v_fma_f32 v58, v61, v71, -v58
	v_mul_f32_e32 v77, v63, v68
	v_fmac_f32_e32 v76, v62, v71
	v_add_f32_e32 v57, v57, v59
	v_add_f32_e32 v56, v56, v75
	s_waitcnt vmcnt(2)
	v_fma_f32 v59, v63, v72, -v60
	v_fmac_f32_e32 v77, v64, v72
	v_add_f32_e32 v57, v57, v58
	v_add_f32_e32 v56, v56, v76
	;; [unrolled: 1-line block ×4, first 2 shown]
	s_waitcnt vmcnt(1)
	v_sub_f32_e32 v57, v73, v57
	s_waitcnt vmcnt(0)
	v_sub_f32_e32 v56, v74, v56
	buffer_store_dword v57, off, s[0:3], 0 offset:176
	buffer_store_dword v56, off, s[0:3], 0 offset:180
	v_cmpx_lt_u32_e32 21, v0
	s_cbranch_execz .LBB26_133
; %bb.132:
	s_clause 0x1
	buffer_load_dword v56, off, s[0:3], 0 offset:168
	buffer_load_dword v57, off, s[0:3], 0 offset:172
	v_mov_b32_e32 v58, 0
	buffer_store_dword v58, off, s[0:3], 0 offset:168
	buffer_store_dword v58, off, s[0:3], 0 offset:172
	s_waitcnt vmcnt(0)
	ds_write_b64 v55, v[56:57]
.LBB26_133:
	s_or_b32 exec_lo, exec_lo, s4
	s_waitcnt lgkmcnt(0)
	s_waitcnt_vscnt null, 0x0
	s_barrier
	buffer_gl0_inv
	s_clause 0xb
	buffer_load_dword v67, off, s[0:3], 0 offset:180
	buffer_load_dword v68, off, s[0:3], 0 offset:188
	;; [unrolled: 1-line block ×12, first 2 shown]
	v_mov_b32_e32 v56, 0
	ds_read_b128 v[57:60], v56 offset:400
	ds_read_b128 v[61:64], v56 offset:416
	ds_read_b64 v[65:66], v56 offset:432
	s_mov_b32 s4, exec_lo
	s_waitcnt vmcnt(11) lgkmcnt(2)
	v_mul_f32_e32 v79, v57, v67
	v_mul_f32_e32 v67, v58, v67
	s_waitcnt vmcnt(10)
	v_mul_f32_e32 v80, v59, v68
	v_mul_f32_e32 v68, v60, v68
	s_waitcnt vmcnt(9) lgkmcnt(1)
	v_mul_f32_e32 v81, v61, v69
	s_waitcnt vmcnt(6)
	v_fmac_f32_e32 v79, v58, v72
	v_fma_f32 v57, v57, v72, -v67
	v_mul_f32_e32 v58, v62, v69
	s_waitcnt vmcnt(5)
	v_fma_f32 v59, v59, v73, -v68
	v_fmac_f32_e32 v80, v60, v73
	v_add_f32_e32 v60, 0, v79
	v_add_f32_e32 v57, 0, v57
	v_mul_f32_e32 v67, v64, v70
	s_waitcnt vmcnt(4)
	v_fma_f32 v58, v61, v74, -v58
	v_mul_f32_e32 v82, v63, v70
	v_fmac_f32_e32 v81, v62, v74
	v_add_f32_e32 v57, v57, v59
	v_add_f32_e32 v59, v60, v80
	s_waitcnt lgkmcnt(0)
	v_mul_f32_e32 v60, v66, v71
	s_waitcnt vmcnt(3)
	v_fma_f32 v61, v63, v75, -v67
	v_mul_f32_e32 v83, v65, v71
	v_add_f32_e32 v57, v57, v58
	v_fmac_f32_e32 v82, v64, v75
	v_add_f32_e32 v58, v59, v81
	s_waitcnt vmcnt(2)
	v_fma_f32 v59, v65, v76, -v60
	v_fmac_f32_e32 v83, v66, v76
	v_add_f32_e32 v57, v57, v61
	v_add_f32_e32 v58, v58, v82
	;; [unrolled: 1-line block ×4, first 2 shown]
	s_waitcnt vmcnt(1)
	v_sub_f32_e32 v57, v77, v57
	s_waitcnt vmcnt(0)
	v_sub_f32_e32 v58, v78, v58
	buffer_store_dword v57, off, s[0:3], 0 offset:168
	buffer_store_dword v58, off, s[0:3], 0 offset:172
	v_cmpx_lt_u32_e32 20, v0
	s_cbranch_execz .LBB26_135
; %bb.134:
	s_clause 0x1
	buffer_load_dword v57, off, s[0:3], 0 offset:160
	buffer_load_dword v58, off, s[0:3], 0 offset:164
	buffer_store_dword v56, off, s[0:3], 0 offset:160
	buffer_store_dword v56, off, s[0:3], 0 offset:164
	s_waitcnt vmcnt(0)
	ds_write_b64 v55, v[57:58]
.LBB26_135:
	s_or_b32 exec_lo, exec_lo, s4
	s_waitcnt lgkmcnt(0)
	s_waitcnt_vscnt null, 0x0
	s_barrier
	buffer_gl0_inv
	s_clause 0xd
	buffer_load_dword v69, off, s[0:3], 0 offset:172
	buffer_load_dword v70, off, s[0:3], 0 offset:180
	buffer_load_dword v71, off, s[0:3], 0 offset:188
	buffer_load_dword v72, off, s[0:3], 0 offset:196
	buffer_load_dword v73, off, s[0:3], 0 offset:204
	buffer_load_dword v74, off, s[0:3], 0 offset:212
	buffer_load_dword v75, off, s[0:3], 0 offset:168
	buffer_load_dword v76, off, s[0:3], 0 offset:176
	buffer_load_dword v77, off, s[0:3], 0 offset:184
	buffer_load_dword v78, off, s[0:3], 0 offset:192
	buffer_load_dword v79, off, s[0:3], 0 offset:200
	buffer_load_dword v80, off, s[0:3], 0 offset:208
	buffer_load_dword v81, off, s[0:3], 0 offset:160
	buffer_load_dword v82, off, s[0:3], 0 offset:164
	ds_read2_b64 v[57:60], v56 offset0:49 offset1:50
	ds_read2_b64 v[61:64], v56 offset0:51 offset1:52
	;; [unrolled: 1-line block ×3, first 2 shown]
	s_mov_b32 s4, exec_lo
	s_waitcnt vmcnt(13) lgkmcnt(2)
	v_mul_f32_e32 v56, v57, v69
	v_mul_f32_e32 v69, v58, v69
	s_waitcnt vmcnt(12)
	v_mul_f32_e32 v83, v59, v70
	v_mul_f32_e32 v70, v60, v70
	s_waitcnt vmcnt(11) lgkmcnt(1)
	v_mul_f32_e32 v84, v61, v71
	s_waitcnt vmcnt(10)
	v_mul_f32_e32 v85, v63, v72
	s_waitcnt vmcnt(7)
	v_fma_f32 v57, v57, v75, -v69
	v_fmac_f32_e32 v56, v58, v75
	v_mul_f32_e32 v58, v62, v71
	s_waitcnt vmcnt(6)
	v_fma_f32 v59, v59, v76, -v70
	v_fmac_f32_e32 v83, v60, v76
	v_add_f32_e32 v57, 0, v57
	v_add_f32_e32 v56, 0, v56
	v_mul_f32_e32 v60, v64, v72
	s_waitcnt vmcnt(5)
	v_fma_f32 v58, v61, v77, -v58
	v_fmac_f32_e32 v84, v62, v77
	v_add_f32_e32 v57, v57, v59
	v_add_f32_e32 v56, v56, v83
	s_waitcnt lgkmcnt(0)
	v_mul_f32_e32 v59, v66, v73
	s_waitcnt vmcnt(4)
	v_fma_f32 v60, v63, v78, -v60
	v_mul_f32_e32 v86, v65, v73
	v_add_f32_e32 v57, v57, v58
	v_fmac_f32_e32 v85, v64, v78
	v_add_f32_e32 v56, v56, v84
	v_mul_f32_e32 v58, v68, v74
	s_waitcnt vmcnt(3)
	v_fma_f32 v59, v65, v79, -v59
	v_add_f32_e32 v57, v57, v60
	v_mul_f32_e32 v87, v67, v74
	v_fmac_f32_e32 v86, v66, v79
	v_add_f32_e32 v56, v56, v85
	s_waitcnt vmcnt(2)
	v_fma_f32 v58, v67, v80, -v58
	v_add_f32_e32 v57, v57, v59
	v_fmac_f32_e32 v87, v68, v80
	v_add_f32_e32 v56, v56, v86
	v_add_f32_e32 v57, v57, v58
	;; [unrolled: 1-line block ×3, first 2 shown]
	s_waitcnt vmcnt(1)
	v_sub_f32_e32 v57, v81, v57
	s_waitcnt vmcnt(0)
	v_sub_f32_e32 v56, v82, v56
	buffer_store_dword v57, off, s[0:3], 0 offset:160
	buffer_store_dword v56, off, s[0:3], 0 offset:164
	v_cmpx_lt_u32_e32 19, v0
	s_cbranch_execz .LBB26_137
; %bb.136:
	s_clause 0x1
	buffer_load_dword v56, off, s[0:3], 0 offset:152
	buffer_load_dword v57, off, s[0:3], 0 offset:156
	v_mov_b32_e32 v58, 0
	buffer_store_dword v58, off, s[0:3], 0 offset:152
	buffer_store_dword v58, off, s[0:3], 0 offset:156
	s_waitcnt vmcnt(0)
	ds_write_b64 v55, v[56:57]
.LBB26_137:
	s_or_b32 exec_lo, exec_lo, s4
	s_waitcnt lgkmcnt(0)
	s_waitcnt_vscnt null, 0x0
	s_barrier
	buffer_gl0_inv
	s_clause 0xf
	buffer_load_dword v71, off, s[0:3], 0 offset:164
	buffer_load_dword v72, off, s[0:3], 0 offset:172
	buffer_load_dword v73, off, s[0:3], 0 offset:180
	buffer_load_dword v74, off, s[0:3], 0 offset:188
	buffer_load_dword v75, off, s[0:3], 0 offset:196
	buffer_load_dword v76, off, s[0:3], 0 offset:204
	buffer_load_dword v77, off, s[0:3], 0 offset:212
	buffer_load_dword v78, off, s[0:3], 0 offset:160
	buffer_load_dword v79, off, s[0:3], 0 offset:168
	buffer_load_dword v80, off, s[0:3], 0 offset:176
	buffer_load_dword v81, off, s[0:3], 0 offset:184
	buffer_load_dword v82, off, s[0:3], 0 offset:192
	buffer_load_dword v83, off, s[0:3], 0 offset:200
	buffer_load_dword v84, off, s[0:3], 0 offset:208
	buffer_load_dword v85, off, s[0:3], 0 offset:152
	buffer_load_dword v86, off, s[0:3], 0 offset:156
	v_mov_b32_e32 v56, 0
	ds_read_b128 v[57:60], v56 offset:384
	ds_read_b128 v[61:64], v56 offset:400
	;; [unrolled: 1-line block ×3, first 2 shown]
	ds_read_b64 v[69:70], v56 offset:432
	s_mov_b32 s4, exec_lo
	s_waitcnt vmcnt(15) lgkmcnt(3)
	v_mul_f32_e32 v87, v57, v71
	v_mul_f32_e32 v71, v58, v71
	s_waitcnt vmcnt(14)
	v_mul_f32_e32 v88, v59, v72
	v_mul_f32_e32 v72, v60, v72
	s_waitcnt vmcnt(13) lgkmcnt(2)
	v_mul_f32_e32 v89, v61, v73
	s_waitcnt vmcnt(12)
	v_mul_f32_e32 v90, v63, v74
	s_waitcnt vmcnt(11) lgkmcnt(1)
	v_mul_f32_e32 v91, v65, v75
	s_waitcnt vmcnt(8)
	v_fma_f32 v57, v57, v78, -v71
	v_fmac_f32_e32 v87, v58, v78
	v_mul_f32_e32 v58, v62, v73
	s_waitcnt vmcnt(7)
	v_fma_f32 v59, v59, v79, -v72
	v_fmac_f32_e32 v88, v60, v79
	v_add_f32_e32 v57, 0, v57
	v_add_f32_e32 v60, 0, v87
	v_mul_f32_e32 v71, v64, v74
	s_waitcnt vmcnt(6)
	v_fma_f32 v58, v61, v80, -v58
	v_fmac_f32_e32 v89, v62, v80
	v_add_f32_e32 v57, v57, v59
	v_add_f32_e32 v59, v60, v88
	;; [unrolled: 6-line block ×3, first 2 shown]
	v_mul_f32_e32 v59, v68, v76
	s_waitcnt vmcnt(4)
	v_fma_f32 v60, v65, v82, -v60
	v_mul_f32_e32 v92, v67, v76
	v_add_f32_e32 v57, v57, v61
	v_fmac_f32_e32 v91, v66, v82
	v_add_f32_e32 v58, v58, v90
	s_waitcnt lgkmcnt(0)
	v_mul_f32_e32 v61, v70, v77
	s_waitcnt vmcnt(3)
	v_fma_f32 v59, v67, v83, -v59
	v_add_f32_e32 v57, v57, v60
	v_mul_f32_e32 v93, v69, v77
	v_fmac_f32_e32 v92, v68, v83
	v_add_f32_e32 v58, v58, v91
	s_waitcnt vmcnt(2)
	v_fma_f32 v60, v69, v84, -v61
	v_add_f32_e32 v57, v57, v59
	v_fmac_f32_e32 v93, v70, v84
	v_add_f32_e32 v58, v58, v92
	v_add_f32_e32 v57, v57, v60
	;; [unrolled: 1-line block ×3, first 2 shown]
	s_waitcnt vmcnt(1)
	v_sub_f32_e32 v57, v85, v57
	s_waitcnt vmcnt(0)
	v_sub_f32_e32 v58, v86, v58
	buffer_store_dword v57, off, s[0:3], 0 offset:152
	buffer_store_dword v58, off, s[0:3], 0 offset:156
	v_cmpx_lt_u32_e32 18, v0
	s_cbranch_execz .LBB26_139
; %bb.138:
	s_clause 0x1
	buffer_load_dword v57, off, s[0:3], 0 offset:144
	buffer_load_dword v58, off, s[0:3], 0 offset:148
	buffer_store_dword v56, off, s[0:3], 0 offset:144
	buffer_store_dword v56, off, s[0:3], 0 offset:148
	s_waitcnt vmcnt(0)
	ds_write_b64 v55, v[57:58]
.LBB26_139:
	s_or_b32 exec_lo, exec_lo, s4
	s_waitcnt lgkmcnt(0)
	s_waitcnt_vscnt null, 0x0
	s_barrier
	buffer_gl0_inv
	s_clause 0x11
	buffer_load_dword v73, off, s[0:3], 0 offset:156
	buffer_load_dword v74, off, s[0:3], 0 offset:164
	;; [unrolled: 1-line block ×18, first 2 shown]
	ds_read2_b64 v[57:60], v56 offset0:47 offset1:48
	ds_read2_b64 v[61:64], v56 offset0:49 offset1:50
	;; [unrolled: 1-line block ×4, first 2 shown]
	s_mov_b32 s4, exec_lo
	s_waitcnt vmcnt(17) lgkmcnt(3)
	v_mul_f32_e32 v56, v57, v73
	v_mul_f32_e32 v73, v58, v73
	s_waitcnt vmcnt(16)
	v_mul_f32_e32 v91, v59, v74
	v_mul_f32_e32 v74, v60, v74
	s_waitcnt vmcnt(15) lgkmcnt(2)
	v_mul_f32_e32 v92, v61, v75
	s_waitcnt vmcnt(14)
	v_mul_f32_e32 v93, v63, v76
	s_waitcnt vmcnt(13) lgkmcnt(1)
	v_mul_f32_e32 v94, v65, v77
	s_waitcnt vmcnt(12)
	v_mul_f32_e32 v95, v67, v78
	s_waitcnt vmcnt(9)
	v_fma_f32 v57, v57, v81, -v73
	v_fmac_f32_e32 v56, v58, v81
	v_mul_f32_e32 v58, v62, v75
	s_waitcnt vmcnt(8)
	v_fma_f32 v59, v59, v82, -v74
	v_fmac_f32_e32 v91, v60, v82
	v_add_f32_e32 v57, 0, v57
	v_add_f32_e32 v56, 0, v56
	v_mul_f32_e32 v60, v64, v76
	s_waitcnt vmcnt(7)
	v_fma_f32 v58, v61, v83, -v58
	v_fmac_f32_e32 v92, v62, v83
	v_add_f32_e32 v57, v57, v59
	v_add_f32_e32 v56, v56, v91
	;; [unrolled: 6-line block ×4, first 2 shown]
	s_waitcnt lgkmcnt(0)
	v_mul_f32_e32 v60, v70, v79
	s_waitcnt vmcnt(4)
	v_fma_f32 v58, v67, v86, -v58
	v_mul_f32_e32 v96, v69, v79
	v_add_f32_e32 v57, v57, v59
	v_fmac_f32_e32 v95, v68, v86
	v_add_f32_e32 v56, v56, v94
	v_mul_f32_e32 v59, v72, v80
	s_waitcnt vmcnt(3)
	v_fma_f32 v60, v69, v87, -v60
	v_add_f32_e32 v57, v57, v58
	v_mul_f32_e32 v97, v71, v80
	v_fmac_f32_e32 v96, v70, v87
	v_add_f32_e32 v56, v56, v95
	s_waitcnt vmcnt(2)
	v_fma_f32 v58, v71, v88, -v59
	v_add_f32_e32 v57, v57, v60
	v_fmac_f32_e32 v97, v72, v88
	v_add_f32_e32 v56, v56, v96
	v_add_f32_e32 v57, v57, v58
	;; [unrolled: 1-line block ×3, first 2 shown]
	s_waitcnt vmcnt(1)
	v_sub_f32_e32 v57, v89, v57
	s_waitcnt vmcnt(0)
	v_sub_f32_e32 v56, v90, v56
	buffer_store_dword v57, off, s[0:3], 0 offset:144
	buffer_store_dword v56, off, s[0:3], 0 offset:148
	v_cmpx_lt_u32_e32 17, v0
	s_cbranch_execz .LBB26_141
; %bb.140:
	s_clause 0x1
	buffer_load_dword v56, off, s[0:3], 0 offset:136
	buffer_load_dword v57, off, s[0:3], 0 offset:140
	v_mov_b32_e32 v58, 0
	buffer_store_dword v58, off, s[0:3], 0 offset:136
	buffer_store_dword v58, off, s[0:3], 0 offset:140
	s_waitcnt vmcnt(0)
	ds_write_b64 v55, v[56:57]
.LBB26_141:
	s_or_b32 exec_lo, exec_lo, s4
	s_waitcnt lgkmcnt(0)
	s_waitcnt_vscnt null, 0x0
	s_barrier
	buffer_gl0_inv
	s_clause 0x13
	buffer_load_dword v75, off, s[0:3], 0 offset:148
	buffer_load_dword v76, off, s[0:3], 0 offset:156
	;; [unrolled: 1-line block ×20, first 2 shown]
	v_mov_b32_e32 v56, 0
	ds_read_b128 v[57:60], v56 offset:368
	ds_read_b128 v[61:64], v56 offset:384
	;; [unrolled: 1-line block ×4, first 2 shown]
	ds_read_b64 v[73:74], v56 offset:432
	s_mov_b32 s4, exec_lo
	s_waitcnt vmcnt(19) lgkmcnt(4)
	v_mul_f32_e32 v95, v57, v75
	v_mul_f32_e32 v75, v58, v75
	s_waitcnt vmcnt(18)
	v_mul_f32_e32 v96, v59, v76
	v_mul_f32_e32 v76, v60, v76
	s_waitcnt vmcnt(17) lgkmcnt(3)
	v_mul_f32_e32 v97, v61, v77
	s_waitcnt vmcnt(16)
	v_mul_f32_e32 v98, v63, v78
	s_waitcnt vmcnt(15) lgkmcnt(2)
	v_mul_f32_e32 v99, v65, v79
	s_waitcnt vmcnt(14)
	;; [unrolled: 4-line block ×3, first 2 shown]
	v_fma_f32 v57, v57, v84, -v75
	v_fmac_f32_e32 v95, v58, v84
	v_mul_f32_e32 v58, v62, v77
	s_waitcnt vmcnt(9)
	v_fma_f32 v59, v59, v85, -v76
	v_fmac_f32_e32 v96, v60, v85
	v_add_f32_e32 v57, 0, v57
	v_add_f32_e32 v60, 0, v95
	v_mul_f32_e32 v75, v64, v78
	s_waitcnt vmcnt(8)
	v_fma_f32 v58, v61, v86, -v58
	v_fmac_f32_e32 v97, v62, v86
	v_add_f32_e32 v57, v57, v59
	v_add_f32_e32 v59, v60, v96
	v_mul_f32_e32 v60, v66, v79
	s_waitcnt vmcnt(7)
	v_fma_f32 v61, v63, v87, -v75
	v_fmac_f32_e32 v98, v64, v87
	v_add_f32_e32 v57, v57, v58
	v_add_f32_e32 v58, v59, v97
	v_mul_f32_e32 v59, v68, v80
	s_waitcnt vmcnt(6)
	v_fma_f32 v60, v65, v88, -v60
	v_fmac_f32_e32 v99, v66, v88
	v_add_f32_e32 v57, v57, v61
	v_add_f32_e32 v58, v58, v98
	v_mul_f32_e32 v61, v70, v81
	s_waitcnt vmcnt(5)
	v_fma_f32 v59, v67, v89, -v59
	v_fmac_f32_e32 v100, v68, v89
	v_add_f32_e32 v57, v57, v60
	v_add_f32_e32 v58, v58, v99
	v_mul_f32_e32 v60, v72, v82
	s_waitcnt vmcnt(4)
	v_fma_f32 v61, v69, v90, -v61
	v_mul_f32_e32 v102, v71, v82
	v_add_f32_e32 v57, v57, v59
	v_fmac_f32_e32 v101, v70, v90
	v_add_f32_e32 v58, v58, v100
	s_waitcnt lgkmcnt(0)
	v_mul_f32_e32 v59, v74, v83
	s_waitcnt vmcnt(3)
	v_fma_f32 v60, v71, v91, -v60
	v_add_f32_e32 v57, v57, v61
	v_mul_f32_e32 v103, v73, v83
	v_fmac_f32_e32 v102, v72, v91
	v_add_f32_e32 v58, v58, v101
	s_waitcnt vmcnt(2)
	v_fma_f32 v59, v73, v92, -v59
	v_add_f32_e32 v57, v57, v60
	v_fmac_f32_e32 v103, v74, v92
	v_add_f32_e32 v58, v58, v102
	v_add_f32_e32 v57, v57, v59
	;; [unrolled: 1-line block ×3, first 2 shown]
	s_waitcnt vmcnt(1)
	v_sub_f32_e32 v57, v93, v57
	s_waitcnt vmcnt(0)
	v_sub_f32_e32 v58, v94, v58
	buffer_store_dword v57, off, s[0:3], 0 offset:136
	buffer_store_dword v58, off, s[0:3], 0 offset:140
	v_cmpx_lt_u32_e32 16, v0
	s_cbranch_execz .LBB26_143
; %bb.142:
	s_clause 0x1
	buffer_load_dword v57, off, s[0:3], 0 offset:128
	buffer_load_dword v58, off, s[0:3], 0 offset:132
	buffer_store_dword v56, off, s[0:3], 0 offset:128
	buffer_store_dword v56, off, s[0:3], 0 offset:132
	s_waitcnt vmcnt(0)
	ds_write_b64 v55, v[57:58]
.LBB26_143:
	s_or_b32 exec_lo, exec_lo, s4
	s_waitcnt lgkmcnt(0)
	s_waitcnt_vscnt null, 0x0
	s_barrier
	buffer_gl0_inv
	s_clause 0x15
	buffer_load_dword v77, off, s[0:3], 0 offset:140
	buffer_load_dword v78, off, s[0:3], 0 offset:148
	;; [unrolled: 1-line block ×22, first 2 shown]
	ds_read2_b64 v[57:60], v56 offset0:45 offset1:46
	ds_read2_b64 v[61:64], v56 offset0:47 offset1:48
	;; [unrolled: 1-line block ×5, first 2 shown]
	s_mov_b32 s4, exec_lo
	s_waitcnt vmcnt(21) lgkmcnt(4)
	v_mul_f32_e32 v56, v57, v77
	v_mul_f32_e32 v77, v58, v77
	s_waitcnt vmcnt(20)
	v_mul_f32_e32 v99, v59, v78
	v_mul_f32_e32 v78, v60, v78
	s_waitcnt vmcnt(19) lgkmcnt(3)
	v_mul_f32_e32 v100, v61, v79
	s_waitcnt vmcnt(18)
	v_mul_f32_e32 v101, v63, v80
	s_waitcnt vmcnt(17) lgkmcnt(2)
	v_mul_f32_e32 v102, v65, v81
	s_waitcnt vmcnt(16)
	;; [unrolled: 4-line block ×3, first 2 shown]
	v_mul_f32_e32 v105, v71, v84
	s_waitcnt vmcnt(11)
	v_fma_f32 v57, v57, v87, -v77
	v_fmac_f32_e32 v56, v58, v87
	v_mul_f32_e32 v58, v62, v79
	s_waitcnt vmcnt(10)
	v_fma_f32 v59, v59, v88, -v78
	v_fmac_f32_e32 v99, v60, v88
	v_add_f32_e32 v57, 0, v57
	v_add_f32_e32 v56, 0, v56
	v_mul_f32_e32 v60, v64, v80
	s_waitcnt vmcnt(9)
	v_fma_f32 v58, v61, v89, -v58
	v_fmac_f32_e32 v100, v62, v89
	v_add_f32_e32 v57, v57, v59
	v_add_f32_e32 v56, v56, v99
	;; [unrolled: 6-line block ×6, first 2 shown]
	s_waitcnt lgkmcnt(0)
	v_mul_f32_e32 v58, v74, v85
	s_waitcnt vmcnt(4)
	v_fma_f32 v59, v71, v94, -v59
	v_mul_f32_e32 v106, v73, v85
	v_add_f32_e32 v57, v57, v60
	v_fmac_f32_e32 v105, v72, v94
	v_add_f32_e32 v56, v56, v104
	v_mul_f32_e32 v60, v76, v86
	s_waitcnt vmcnt(3)
	v_fma_f32 v58, v73, v95, -v58
	v_add_f32_e32 v57, v57, v59
	v_mul_f32_e32 v107, v75, v86
	v_fmac_f32_e32 v106, v74, v95
	v_add_f32_e32 v56, v56, v105
	s_waitcnt vmcnt(2)
	v_fma_f32 v59, v75, v96, -v60
	v_add_f32_e32 v57, v57, v58
	v_fmac_f32_e32 v107, v76, v96
	v_add_f32_e32 v56, v56, v106
	v_add_f32_e32 v57, v57, v59
	;; [unrolled: 1-line block ×3, first 2 shown]
	s_waitcnt vmcnt(1)
	v_sub_f32_e32 v57, v97, v57
	s_waitcnt vmcnt(0)
	v_sub_f32_e32 v56, v98, v56
	buffer_store_dword v57, off, s[0:3], 0 offset:128
	buffer_store_dword v56, off, s[0:3], 0 offset:132
	v_cmpx_lt_u32_e32 15, v0
	s_cbranch_execz .LBB26_145
; %bb.144:
	s_clause 0x1
	buffer_load_dword v56, off, s[0:3], 0 offset:120
	buffer_load_dword v57, off, s[0:3], 0 offset:124
	v_mov_b32_e32 v58, 0
	buffer_store_dword v58, off, s[0:3], 0 offset:120
	buffer_store_dword v58, off, s[0:3], 0 offset:124
	s_waitcnt vmcnt(0)
	ds_write_b64 v55, v[56:57]
.LBB26_145:
	s_or_b32 exec_lo, exec_lo, s4
	s_waitcnt lgkmcnt(0)
	s_waitcnt_vscnt null, 0x0
	s_barrier
	buffer_gl0_inv
	s_clause 0x17
	buffer_load_dword v79, off, s[0:3], 0 offset:132
	buffer_load_dword v80, off, s[0:3], 0 offset:140
	;; [unrolled: 1-line block ×24, first 2 shown]
	v_mov_b32_e32 v56, 0
	ds_read_b128 v[57:60], v56 offset:352
	ds_read_b128 v[61:64], v56 offset:368
	;; [unrolled: 1-line block ×5, first 2 shown]
	ds_read_b64 v[77:78], v56 offset:432
	s_mov_b32 s4, exec_lo
	s_waitcnt vmcnt(23) lgkmcnt(5)
	v_mul_f32_e32 v103, v57, v79
	v_mul_f32_e32 v79, v58, v79
	s_waitcnt vmcnt(22)
	v_mul_f32_e32 v104, v59, v80
	v_mul_f32_e32 v80, v60, v80
	s_waitcnt vmcnt(21) lgkmcnt(4)
	v_mul_f32_e32 v105, v61, v81
	s_waitcnt vmcnt(20)
	v_mul_f32_e32 v106, v63, v82
	s_waitcnt vmcnt(19) lgkmcnt(3)
	v_mul_f32_e32 v107, v65, v83
	s_waitcnt vmcnt(18)
	;; [unrolled: 4-line block ×4, first 2 shown]
	v_fma_f32 v57, v57, v90, -v79
	v_fmac_f32_e32 v103, v58, v90
	v_mul_f32_e32 v58, v62, v81
	s_waitcnt vmcnt(11)
	v_fma_f32 v59, v59, v91, -v80
	v_fmac_f32_e32 v104, v60, v91
	v_add_f32_e32 v57, 0, v57
	v_add_f32_e32 v60, 0, v103
	v_mul_f32_e32 v79, v64, v82
	s_waitcnt vmcnt(10)
	v_fma_f32 v58, v61, v92, -v58
	v_fmac_f32_e32 v105, v62, v92
	v_add_f32_e32 v57, v57, v59
	v_add_f32_e32 v59, v60, v104
	v_mul_f32_e32 v60, v66, v83
	s_waitcnt vmcnt(9)
	v_fma_f32 v61, v63, v93, -v79
	v_fmac_f32_e32 v106, v64, v93
	v_add_f32_e32 v57, v57, v58
	v_add_f32_e32 v58, v59, v105
	v_mul_f32_e32 v59, v68, v84
	s_waitcnt vmcnt(8)
	v_fma_f32 v60, v65, v94, -v60
	v_fmac_f32_e32 v107, v66, v94
	v_add_f32_e32 v57, v57, v61
	v_add_f32_e32 v58, v58, v106
	v_mul_f32_e32 v61, v70, v85
	s_waitcnt vmcnt(7)
	v_fma_f32 v59, v67, v95, -v59
	v_fmac_f32_e32 v108, v68, v95
	v_add_f32_e32 v57, v57, v60
	v_add_f32_e32 v58, v58, v107
	v_mul_f32_e32 v60, v72, v86
	s_waitcnt vmcnt(6)
	v_fma_f32 v61, v69, v96, -v61
	v_fmac_f32_e32 v109, v70, v96
	v_add_f32_e32 v57, v57, v59
	v_add_f32_e32 v58, v58, v108
	v_mul_f32_e32 v59, v74, v87
	s_waitcnt vmcnt(5)
	v_fma_f32 v60, v71, v97, -v60
	v_fmac_f32_e32 v110, v72, v97
	v_add_f32_e32 v57, v57, v61
	v_add_f32_e32 v58, v58, v109
	v_mul_f32_e32 v61, v76, v88
	s_waitcnt vmcnt(4)
	v_fma_f32 v59, v73, v98, -v59
	v_mul_f32_e32 v112, v75, v88
	v_add_f32_e32 v57, v57, v60
	v_fmac_f32_e32 v111, v74, v98
	v_add_f32_e32 v58, v58, v110
	s_waitcnt lgkmcnt(0)
	v_mul_f32_e32 v60, v78, v89
	s_waitcnt vmcnt(3)
	v_fma_f32 v61, v75, v99, -v61
	v_add_f32_e32 v57, v57, v59
	v_mul_f32_e32 v113, v77, v89
	v_fmac_f32_e32 v112, v76, v99
	v_add_f32_e32 v58, v58, v111
	s_waitcnt vmcnt(2)
	v_fma_f32 v59, v77, v100, -v60
	v_add_f32_e32 v57, v57, v61
	v_fmac_f32_e32 v113, v78, v100
	v_add_f32_e32 v58, v58, v112
	v_add_f32_e32 v57, v57, v59
	;; [unrolled: 1-line block ×3, first 2 shown]
	s_waitcnt vmcnt(1)
	v_sub_f32_e32 v57, v101, v57
	s_waitcnt vmcnt(0)
	v_sub_f32_e32 v58, v102, v58
	buffer_store_dword v57, off, s[0:3], 0 offset:120
	buffer_store_dword v58, off, s[0:3], 0 offset:124
	v_cmpx_lt_u32_e32 14, v0
	s_cbranch_execz .LBB26_147
; %bb.146:
	s_clause 0x1
	buffer_load_dword v57, off, s[0:3], 0 offset:112
	buffer_load_dword v58, off, s[0:3], 0 offset:116
	buffer_store_dword v56, off, s[0:3], 0 offset:112
	buffer_store_dword v56, off, s[0:3], 0 offset:116
	s_waitcnt vmcnt(0)
	ds_write_b64 v55, v[57:58]
.LBB26_147:
	s_or_b32 exec_lo, exec_lo, s4
	s_waitcnt lgkmcnt(0)
	s_waitcnt_vscnt null, 0x0
	s_barrier
	buffer_gl0_inv
	s_clause 0x19
	buffer_load_dword v81, off, s[0:3], 0 offset:124
	buffer_load_dword v82, off, s[0:3], 0 offset:132
	;; [unrolled: 1-line block ×26, first 2 shown]
	ds_read2_b64 v[57:60], v56 offset0:43 offset1:44
	ds_read2_b64 v[61:64], v56 offset0:45 offset1:46
	;; [unrolled: 1-line block ×6, first 2 shown]
	s_mov_b32 s4, exec_lo
	s_waitcnt vmcnt(25) lgkmcnt(5)
	v_mul_f32_e32 v56, v57, v81
	v_mul_f32_e32 v81, v58, v81
	s_waitcnt vmcnt(24)
	v_mul_f32_e32 v107, v59, v82
	v_mul_f32_e32 v82, v60, v82
	s_waitcnt vmcnt(23) lgkmcnt(4)
	v_mul_f32_e32 v108, v61, v83
	s_waitcnt vmcnt(22)
	v_mul_f32_e32 v109, v63, v84
	s_waitcnt vmcnt(21) lgkmcnt(3)
	v_mul_f32_e32 v110, v65, v85
	s_waitcnt vmcnt(20)
	;; [unrolled: 4-line block ×4, first 2 shown]
	v_mul_f32_e32 v115, v75, v90
	s_waitcnt vmcnt(13)
	v_fma_f32 v57, v57, v93, -v81
	v_fmac_f32_e32 v56, v58, v93
	v_mul_f32_e32 v58, v62, v83
	s_waitcnt vmcnt(12)
	v_fma_f32 v59, v59, v94, -v82
	v_fmac_f32_e32 v107, v60, v94
	v_add_f32_e32 v57, 0, v57
	v_add_f32_e32 v56, 0, v56
	v_mul_f32_e32 v60, v64, v84
	s_waitcnt vmcnt(11)
	v_fma_f32 v58, v61, v95, -v58
	v_fmac_f32_e32 v108, v62, v95
	v_add_f32_e32 v57, v57, v59
	v_add_f32_e32 v56, v56, v107
	v_mul_f32_e32 v59, v66, v85
	s_waitcnt vmcnt(10)
	v_fma_f32 v60, v63, v96, -v60
	v_fmac_f32_e32 v109, v64, v96
	v_add_f32_e32 v57, v57, v58
	v_add_f32_e32 v56, v56, v108
	v_mul_f32_e32 v58, v68, v86
	s_waitcnt vmcnt(9)
	v_fma_f32 v59, v65, v97, -v59
	v_fmac_f32_e32 v110, v66, v97
	v_add_f32_e32 v57, v57, v60
	v_add_f32_e32 v56, v56, v109
	v_mul_f32_e32 v60, v70, v87
	s_waitcnt vmcnt(8)
	v_fma_f32 v58, v67, v98, -v58
	v_fmac_f32_e32 v111, v68, v98
	v_add_f32_e32 v57, v57, v59
	v_add_f32_e32 v56, v56, v110
	v_mul_f32_e32 v59, v72, v88
	s_waitcnt vmcnt(7)
	v_fma_f32 v60, v69, v99, -v60
	v_fmac_f32_e32 v112, v70, v99
	v_add_f32_e32 v57, v57, v58
	v_add_f32_e32 v56, v56, v111
	v_mul_f32_e32 v58, v74, v89
	s_waitcnt vmcnt(6)
	v_fma_f32 v59, v71, v100, -v59
	v_fmac_f32_e32 v113, v72, v100
	v_add_f32_e32 v57, v57, v60
	v_add_f32_e32 v56, v56, v112
	v_mul_f32_e32 v60, v76, v90
	s_waitcnt vmcnt(5)
	v_fma_f32 v58, v73, v101, -v58
	v_fmac_f32_e32 v114, v74, v101
	v_add_f32_e32 v57, v57, v59
	v_add_f32_e32 v56, v56, v113
	s_waitcnt lgkmcnt(0)
	v_mul_f32_e32 v59, v78, v91
	s_waitcnt vmcnt(4)
	v_fma_f32 v60, v75, v102, -v60
	v_mul_f32_e32 v116, v77, v91
	v_add_f32_e32 v57, v57, v58
	v_fmac_f32_e32 v115, v76, v102
	v_add_f32_e32 v56, v56, v114
	v_mul_f32_e32 v58, v80, v92
	s_waitcnt vmcnt(3)
	v_fma_f32 v59, v77, v103, -v59
	v_add_f32_e32 v57, v57, v60
	v_mul_f32_e32 v117, v79, v92
	v_fmac_f32_e32 v116, v78, v103
	v_add_f32_e32 v56, v56, v115
	s_waitcnt vmcnt(2)
	v_fma_f32 v58, v79, v104, -v58
	v_add_f32_e32 v57, v57, v59
	v_fmac_f32_e32 v117, v80, v104
	v_add_f32_e32 v56, v56, v116
	v_add_f32_e32 v57, v57, v58
	;; [unrolled: 1-line block ×3, first 2 shown]
	s_waitcnt vmcnt(1)
	v_sub_f32_e32 v57, v105, v57
	s_waitcnt vmcnt(0)
	v_sub_f32_e32 v56, v106, v56
	buffer_store_dword v57, off, s[0:3], 0 offset:112
	buffer_store_dword v56, off, s[0:3], 0 offset:116
	v_cmpx_lt_u32_e32 13, v0
	s_cbranch_execz .LBB26_149
; %bb.148:
	s_clause 0x1
	buffer_load_dword v56, off, s[0:3], 0 offset:104
	buffer_load_dword v57, off, s[0:3], 0 offset:108
	v_mov_b32_e32 v58, 0
	buffer_store_dword v58, off, s[0:3], 0 offset:104
	buffer_store_dword v58, off, s[0:3], 0 offset:108
	s_waitcnt vmcnt(0)
	ds_write_b64 v55, v[56:57]
.LBB26_149:
	s_or_b32 exec_lo, exec_lo, s4
	s_waitcnt lgkmcnt(0)
	s_waitcnt_vscnt null, 0x0
	s_barrier
	buffer_gl0_inv
	s_clause 0x1b
	buffer_load_dword v83, off, s[0:3], 0 offset:116
	buffer_load_dword v84, off, s[0:3], 0 offset:124
	;; [unrolled: 1-line block ×28, first 2 shown]
	v_mov_b32_e32 v56, 0
	ds_read_b128 v[57:60], v56 offset:336
	ds_read_b128 v[61:64], v56 offset:352
	;; [unrolled: 1-line block ×6, first 2 shown]
	ds_read_b64 v[81:82], v56 offset:432
	s_mov_b32 s4, exec_lo
	s_waitcnt vmcnt(27) lgkmcnt(6)
	v_mul_f32_e32 v111, v57, v83
	v_mul_f32_e32 v83, v58, v83
	s_waitcnt vmcnt(26)
	v_mul_f32_e32 v112, v59, v84
	v_mul_f32_e32 v84, v60, v84
	s_waitcnt vmcnt(25) lgkmcnt(5)
	v_mul_f32_e32 v113, v61, v85
	s_waitcnt vmcnt(24)
	v_mul_f32_e32 v114, v63, v86
	s_waitcnt vmcnt(23) lgkmcnt(4)
	v_mul_f32_e32 v115, v65, v87
	s_waitcnt vmcnt(22)
	;; [unrolled: 4-line block ×5, first 2 shown]
	v_fma_f32 v57, v57, v96, -v83
	v_fmac_f32_e32 v111, v58, v96
	v_mul_f32_e32 v58, v62, v85
	s_waitcnt vmcnt(13)
	v_fma_f32 v59, v59, v97, -v84
	v_fmac_f32_e32 v112, v60, v97
	v_add_f32_e32 v57, 0, v57
	v_add_f32_e32 v60, 0, v111
	v_mul_f32_e32 v83, v64, v86
	s_waitcnt vmcnt(12)
	v_fma_f32 v58, v61, v98, -v58
	v_fmac_f32_e32 v113, v62, v98
	v_add_f32_e32 v57, v57, v59
	v_add_f32_e32 v59, v60, v112
	;; [unrolled: 6-line block ×9, first 2 shown]
	v_mul_f32_e32 v59, v80, v94
	s_waitcnt vmcnt(4)
	v_fma_f32 v60, v77, v106, -v60
	v_mul_f32_e32 v122, v79, v94
	v_add_f32_e32 v57, v57, v61
	v_fmac_f32_e32 v121, v78, v106
	v_add_f32_e32 v58, v58, v120
	s_waitcnt lgkmcnt(0)
	v_mul_f32_e32 v61, v82, v95
	s_waitcnt vmcnt(3)
	v_fma_f32 v59, v79, v107, -v59
	v_add_f32_e32 v57, v57, v60
	v_mul_f32_e32 v123, v81, v95
	v_fmac_f32_e32 v122, v80, v107
	v_add_f32_e32 v58, v58, v121
	s_waitcnt vmcnt(2)
	v_fma_f32 v60, v81, v108, -v61
	v_add_f32_e32 v57, v57, v59
	v_fmac_f32_e32 v123, v82, v108
	v_add_f32_e32 v58, v58, v122
	v_add_f32_e32 v57, v57, v60
	;; [unrolled: 1-line block ×3, first 2 shown]
	s_waitcnt vmcnt(1)
	v_sub_f32_e32 v57, v109, v57
	s_waitcnt vmcnt(0)
	v_sub_f32_e32 v58, v110, v58
	buffer_store_dword v57, off, s[0:3], 0 offset:104
	buffer_store_dword v58, off, s[0:3], 0 offset:108
	v_cmpx_lt_u32_e32 12, v0
	s_cbranch_execz .LBB26_151
; %bb.150:
	s_clause 0x1
	buffer_load_dword v57, off, s[0:3], 0 offset:96
	buffer_load_dword v58, off, s[0:3], 0 offset:100
	buffer_store_dword v56, off, s[0:3], 0 offset:96
	buffer_store_dword v56, off, s[0:3], 0 offset:100
	s_waitcnt vmcnt(0)
	ds_write_b64 v55, v[57:58]
.LBB26_151:
	s_or_b32 exec_lo, exec_lo, s4
	s_waitcnt lgkmcnt(0)
	s_waitcnt_vscnt null, 0x0
	s_barrier
	buffer_gl0_inv
	s_clause 0x1d
	buffer_load_dword v85, off, s[0:3], 0 offset:108
	buffer_load_dword v86, off, s[0:3], 0 offset:116
	;; [unrolled: 1-line block ×30, first 2 shown]
	ds_read2_b64 v[57:60], v56 offset0:41 offset1:42
	ds_read2_b64 v[61:64], v56 offset0:43 offset1:44
	;; [unrolled: 1-line block ×7, first 2 shown]
	s_mov_b32 s4, exec_lo
	s_waitcnt vmcnt(29) lgkmcnt(6)
	v_mul_f32_e32 v56, v57, v85
	v_mul_f32_e32 v85, v58, v85
	s_waitcnt vmcnt(28)
	v_mul_f32_e32 v115, v59, v86
	v_mul_f32_e32 v86, v60, v86
	s_waitcnt vmcnt(27) lgkmcnt(5)
	v_mul_f32_e32 v116, v61, v87
	s_waitcnt vmcnt(26)
	v_mul_f32_e32 v117, v63, v88
	s_waitcnt vmcnt(25) lgkmcnt(4)
	v_mul_f32_e32 v118, v65, v89
	s_waitcnt vmcnt(24)
	;; [unrolled: 4-line block ×5, first 2 shown]
	v_mul_f32_e32 v125, v79, v96
	s_waitcnt vmcnt(15)
	v_fma_f32 v57, v57, v99, -v85
	v_fmac_f32_e32 v56, v58, v99
	v_mul_f32_e32 v58, v62, v87
	s_waitcnt vmcnt(14)
	v_fma_f32 v59, v59, v100, -v86
	v_fmac_f32_e32 v115, v60, v100
	v_add_f32_e32 v57, 0, v57
	v_add_f32_e32 v56, 0, v56
	v_mul_f32_e32 v60, v64, v88
	s_waitcnt vmcnt(13)
	v_fma_f32 v58, v61, v101, -v58
	v_fmac_f32_e32 v116, v62, v101
	v_add_f32_e32 v57, v57, v59
	v_add_f32_e32 v56, v56, v115
	v_mul_f32_e32 v59, v66, v89
	s_waitcnt vmcnt(12)
	v_fma_f32 v60, v63, v102, -v60
	v_fmac_f32_e32 v117, v64, v102
	v_add_f32_e32 v57, v57, v58
	v_add_f32_e32 v56, v56, v116
	v_mul_f32_e32 v58, v68, v90
	s_waitcnt vmcnt(11)
	v_fma_f32 v59, v65, v103, -v59
	v_fmac_f32_e32 v118, v66, v103
	v_add_f32_e32 v57, v57, v60
	v_add_f32_e32 v56, v56, v117
	v_mul_f32_e32 v60, v70, v91
	s_waitcnt vmcnt(10)
	v_fma_f32 v58, v67, v104, -v58
	v_fmac_f32_e32 v119, v68, v104
	v_add_f32_e32 v57, v57, v59
	v_add_f32_e32 v56, v56, v118
	v_mul_f32_e32 v59, v72, v92
	s_waitcnt vmcnt(9)
	v_fma_f32 v60, v69, v105, -v60
	v_fmac_f32_e32 v120, v70, v105
	v_add_f32_e32 v57, v57, v58
	v_add_f32_e32 v56, v56, v119
	v_mul_f32_e32 v58, v74, v93
	s_waitcnt vmcnt(8)
	v_fma_f32 v59, v71, v106, -v59
	v_fmac_f32_e32 v121, v72, v106
	v_add_f32_e32 v57, v57, v60
	v_add_f32_e32 v56, v56, v120
	v_mul_f32_e32 v60, v76, v94
	s_waitcnt vmcnt(7)
	v_fma_f32 v58, v73, v107, -v58
	v_fmac_f32_e32 v122, v74, v107
	v_add_f32_e32 v57, v57, v59
	v_add_f32_e32 v56, v56, v121
	v_mul_f32_e32 v59, v78, v95
	s_waitcnt vmcnt(6)
	v_fma_f32 v60, v75, v108, -v60
	v_fmac_f32_e32 v123, v76, v108
	v_add_f32_e32 v57, v57, v58
	v_add_f32_e32 v56, v56, v122
	v_mul_f32_e32 v58, v80, v96
	s_waitcnt vmcnt(5)
	v_fma_f32 v59, v77, v109, -v59
	v_fmac_f32_e32 v124, v78, v109
	v_add_f32_e32 v57, v57, v60
	v_add_f32_e32 v56, v56, v123
	s_waitcnt lgkmcnt(0)
	v_mul_f32_e32 v60, v82, v97
	s_waitcnt vmcnt(4)
	v_fma_f32 v58, v79, v110, -v58
	v_mul_f32_e32 v126, v81, v97
	v_add_f32_e32 v57, v57, v59
	v_fmac_f32_e32 v125, v80, v110
	v_add_f32_e32 v56, v56, v124
	v_mul_f32_e32 v59, v84, v98
	s_waitcnt vmcnt(3)
	v_fma_f32 v60, v81, v111, -v60
	v_add_f32_e32 v57, v57, v58
	v_mul_f32_e32 v127, v83, v98
	v_fmac_f32_e32 v126, v82, v111
	v_add_f32_e32 v56, v56, v125
	s_waitcnt vmcnt(2)
	v_fma_f32 v58, v83, v112, -v59
	v_add_f32_e32 v57, v57, v60
	v_fmac_f32_e32 v127, v84, v112
	v_add_f32_e32 v56, v56, v126
	v_add_f32_e32 v57, v57, v58
	;; [unrolled: 1-line block ×3, first 2 shown]
	s_waitcnt vmcnt(1)
	v_sub_f32_e32 v57, v113, v57
	s_waitcnt vmcnt(0)
	v_sub_f32_e32 v56, v114, v56
	buffer_store_dword v57, off, s[0:3], 0 offset:96
	buffer_store_dword v56, off, s[0:3], 0 offset:100
	v_cmpx_lt_u32_e32 11, v0
	s_cbranch_execz .LBB26_153
; %bb.152:
	s_clause 0x1
	buffer_load_dword v56, off, s[0:3], 0 offset:88
	buffer_load_dword v57, off, s[0:3], 0 offset:92
	v_mov_b32_e32 v58, 0
	buffer_store_dword v58, off, s[0:3], 0 offset:88
	buffer_store_dword v58, off, s[0:3], 0 offset:92
	s_waitcnt vmcnt(0)
	ds_write_b64 v55, v[56:57]
.LBB26_153:
	s_or_b32 exec_lo, exec_lo, s4
	s_waitcnt lgkmcnt(0)
	s_waitcnt_vscnt null, 0x0
	s_barrier
	buffer_gl0_inv
	s_clause 0x1f
	buffer_load_dword v87, off, s[0:3], 0 offset:100
	buffer_load_dword v88, off, s[0:3], 0 offset:108
	;; [unrolled: 1-line block ×32, first 2 shown]
	v_mov_b32_e32 v56, 0
	ds_read_b128 v[57:60], v56 offset:320
	ds_read_b128 v[61:64], v56 offset:336
	;; [unrolled: 1-line block ×7, first 2 shown]
	ds_read_b64 v[85:86], v56 offset:432
	s_mov_b32 s4, exec_lo
	s_waitcnt vmcnt(31) lgkmcnt(7)
	v_mul_f32_e32 v119, v57, v87
	v_mul_f32_e32 v87, v58, v87
	s_waitcnt vmcnt(30)
	v_mul_f32_e32 v120, v59, v88
	v_mul_f32_e32 v88, v60, v88
	s_waitcnt vmcnt(29) lgkmcnt(6)
	v_mul_f32_e32 v121, v61, v89
	s_waitcnt vmcnt(28)
	v_mul_f32_e32 v122, v63, v90
	s_waitcnt vmcnt(27) lgkmcnt(5)
	v_mul_f32_e32 v123, v65, v91
	s_waitcnt vmcnt(26)
	;; [unrolled: 4-line block ×6, first 2 shown]
	v_fma_f32 v57, v57, v102, -v87
	v_fmac_f32_e32 v119, v58, v102
	v_mul_f32_e32 v58, v62, v89
	s_waitcnt vmcnt(15)
	v_fma_f32 v59, v59, v103, -v88
	v_fmac_f32_e32 v120, v60, v103
	v_add_f32_e32 v57, 0, v57
	v_add_f32_e32 v60, 0, v119
	v_mul_f32_e32 v87, v64, v90
	s_waitcnt vmcnt(14)
	v_fma_f32 v58, v61, v104, -v58
	v_fmac_f32_e32 v121, v62, v104
	v_add_f32_e32 v57, v57, v59
	v_add_f32_e32 v59, v60, v120
	;; [unrolled: 6-line block ×11, first 2 shown]
	v_mul_f32_e32 v60, v84, v100
	s_waitcnt vmcnt(4)
	v_fma_f32 v61, v81, v114, -v61
	v_mul_f32_e32 v132, v83, v100
	v_add_f32_e32 v57, v57, v59
	v_fmac_f32_e32 v131, v82, v114
	v_add_f32_e32 v58, v58, v130
	s_waitcnt lgkmcnt(0)
	v_mul_f32_e32 v59, v86, v101
	s_waitcnt vmcnt(3)
	v_fma_f32 v60, v83, v115, -v60
	v_add_f32_e32 v57, v57, v61
	v_mul_f32_e32 v133, v85, v101
	v_fmac_f32_e32 v132, v84, v115
	v_add_f32_e32 v58, v58, v131
	s_waitcnt vmcnt(2)
	v_fma_f32 v59, v85, v116, -v59
	v_add_f32_e32 v57, v57, v60
	v_fmac_f32_e32 v133, v86, v116
	v_add_f32_e32 v58, v58, v132
	v_add_f32_e32 v57, v57, v59
	;; [unrolled: 1-line block ×3, first 2 shown]
	s_waitcnt vmcnt(1)
	v_sub_f32_e32 v57, v117, v57
	s_waitcnt vmcnt(0)
	v_sub_f32_e32 v58, v118, v58
	buffer_store_dword v57, off, s[0:3], 0 offset:88
	buffer_store_dword v58, off, s[0:3], 0 offset:92
	v_cmpx_lt_u32_e32 10, v0
	s_cbranch_execz .LBB26_155
; %bb.154:
	s_clause 0x1
	buffer_load_dword v57, off, s[0:3], 0 offset:80
	buffer_load_dword v58, off, s[0:3], 0 offset:84
	buffer_store_dword v56, off, s[0:3], 0 offset:80
	buffer_store_dword v56, off, s[0:3], 0 offset:84
	s_waitcnt vmcnt(0)
	ds_write_b64 v55, v[57:58]
.LBB26_155:
	s_or_b32 exec_lo, exec_lo, s4
	s_waitcnt lgkmcnt(0)
	s_waitcnt_vscnt null, 0x0
	s_barrier
	buffer_gl0_inv
	s_clause 0x21
	buffer_load_dword v89, off, s[0:3], 0 offset:92
	buffer_load_dword v90, off, s[0:3], 0 offset:100
	;; [unrolled: 1-line block ×34, first 2 shown]
	ds_read2_b64 v[57:60], v56 offset0:39 offset1:40
	ds_read2_b64 v[61:64], v56 offset0:41 offset1:42
	;; [unrolled: 1-line block ×8, first 2 shown]
	s_mov_b32 s4, exec_lo
	s_waitcnt vmcnt(33) lgkmcnt(7)
	v_mul_f32_e32 v56, v57, v89
	v_mul_f32_e32 v89, v58, v89
	s_waitcnt vmcnt(32)
	v_mul_f32_e32 v123, v59, v90
	v_mul_f32_e32 v90, v60, v90
	s_waitcnt vmcnt(31) lgkmcnt(6)
	v_mul_f32_e32 v124, v61, v91
	s_waitcnt vmcnt(30)
	v_mul_f32_e32 v125, v63, v92
	s_waitcnt vmcnt(29) lgkmcnt(5)
	v_mul_f32_e32 v126, v65, v93
	s_waitcnt vmcnt(28)
	;; [unrolled: 4-line block ×6, first 2 shown]
	v_mul_f32_e32 v135, v83, v102
	s_waitcnt vmcnt(17)
	v_fma_f32 v57, v57, v105, -v89
	v_fmac_f32_e32 v56, v58, v105
	v_mul_f32_e32 v58, v62, v91
	s_waitcnt vmcnt(16)
	v_fma_f32 v59, v59, v106, -v90
	v_fmac_f32_e32 v123, v60, v106
	v_add_f32_e32 v57, 0, v57
	v_add_f32_e32 v56, 0, v56
	v_mul_f32_e32 v60, v64, v92
	s_waitcnt vmcnt(15)
	v_fma_f32 v58, v61, v107, -v58
	v_fmac_f32_e32 v124, v62, v107
	v_add_f32_e32 v57, v57, v59
	v_add_f32_e32 v56, v56, v123
	;; [unrolled: 6-line block ×12, first 2 shown]
	s_waitcnt lgkmcnt(0)
	v_mul_f32_e32 v58, v86, v103
	s_waitcnt vmcnt(4)
	v_fma_f32 v59, v83, v118, -v59
	v_mul_f32_e32 v136, v85, v103
	v_add_f32_e32 v57, v57, v60
	v_fmac_f32_e32 v135, v84, v118
	v_add_f32_e32 v56, v56, v134
	v_mul_f32_e32 v60, v88, v104
	s_waitcnt vmcnt(3)
	v_fma_f32 v58, v85, v119, -v58
	v_add_f32_e32 v57, v57, v59
	v_mul_f32_e32 v137, v87, v104
	v_fmac_f32_e32 v136, v86, v119
	v_add_f32_e32 v56, v56, v135
	s_waitcnt vmcnt(2)
	v_fma_f32 v59, v87, v120, -v60
	v_add_f32_e32 v57, v57, v58
	v_fmac_f32_e32 v137, v88, v120
	v_add_f32_e32 v56, v56, v136
	v_add_f32_e32 v57, v57, v59
	;; [unrolled: 1-line block ×3, first 2 shown]
	s_waitcnt vmcnt(1)
	v_sub_f32_e32 v57, v121, v57
	s_waitcnt vmcnt(0)
	v_sub_f32_e32 v56, v122, v56
	buffer_store_dword v57, off, s[0:3], 0 offset:80
	buffer_store_dword v56, off, s[0:3], 0 offset:84
	v_cmpx_lt_u32_e32 9, v0
	s_cbranch_execz .LBB26_157
; %bb.156:
	s_clause 0x1
	buffer_load_dword v56, off, s[0:3], 0 offset:72
	buffer_load_dword v57, off, s[0:3], 0 offset:76
	v_mov_b32_e32 v58, 0
	buffer_store_dword v58, off, s[0:3], 0 offset:72
	buffer_store_dword v58, off, s[0:3], 0 offset:76
	s_waitcnt vmcnt(0)
	ds_write_b64 v55, v[56:57]
.LBB26_157:
	s_or_b32 exec_lo, exec_lo, s4
	s_waitcnt lgkmcnt(0)
	s_waitcnt_vscnt null, 0x0
	s_barrier
	buffer_gl0_inv
	s_clause 0x23
	buffer_load_dword v91, off, s[0:3], 0 offset:84
	buffer_load_dword v92, off, s[0:3], 0 offset:92
	;; [unrolled: 1-line block ×36, first 2 shown]
	v_mov_b32_e32 v56, 0
	ds_read_b128 v[57:60], v56 offset:304
	ds_read_b128 v[61:64], v56 offset:320
	;; [unrolled: 1-line block ×8, first 2 shown]
	ds_read_b64 v[89:90], v56 offset:432
	s_mov_b32 s4, exec_lo
	s_waitcnt vmcnt(35) lgkmcnt(8)
	v_mul_f32_e32 v127, v57, v91
	v_mul_f32_e32 v91, v58, v91
	s_waitcnt vmcnt(34)
	v_mul_f32_e32 v128, v59, v92
	v_mul_f32_e32 v92, v60, v92
	s_waitcnt vmcnt(33) lgkmcnt(7)
	v_mul_f32_e32 v129, v61, v93
	s_waitcnt vmcnt(32)
	v_mul_f32_e32 v130, v63, v94
	s_waitcnt vmcnt(31) lgkmcnt(6)
	v_mul_f32_e32 v131, v65, v95
	s_waitcnt vmcnt(30)
	;; [unrolled: 4-line block ×7, first 2 shown]
	v_fma_f32 v57, v57, v108, -v91
	v_fmac_f32_e32 v127, v58, v108
	v_mul_f32_e32 v58, v62, v93
	s_waitcnt vmcnt(17)
	v_fma_f32 v59, v59, v109, -v92
	v_fmac_f32_e32 v128, v60, v109
	v_add_f32_e32 v57, 0, v57
	v_add_f32_e32 v60, 0, v127
	v_mul_f32_e32 v91, v64, v94
	s_waitcnt vmcnt(16)
	v_fma_f32 v58, v61, v110, -v58
	v_fmac_f32_e32 v129, v62, v110
	v_add_f32_e32 v57, v57, v59
	v_add_f32_e32 v59, v60, v128
	;; [unrolled: 6-line block ×13, first 2 shown]
	v_mul_f32_e32 v61, v88, v106
	s_waitcnt vmcnt(4)
	v_fma_f32 v59, v85, v122, -v59
	v_mul_f32_e32 v142, v87, v106
	v_add_f32_e32 v57, v57, v60
	v_fmac_f32_e32 v141, v86, v122
	v_add_f32_e32 v58, v58, v140
	s_waitcnt lgkmcnt(0)
	v_mul_f32_e32 v60, v90, v107
	s_waitcnt vmcnt(3)
	v_fma_f32 v61, v87, v123, -v61
	v_add_f32_e32 v57, v57, v59
	v_mul_f32_e32 v143, v89, v107
	v_fmac_f32_e32 v142, v88, v123
	v_add_f32_e32 v58, v58, v141
	s_waitcnt vmcnt(2)
	v_fma_f32 v59, v89, v124, -v60
	v_add_f32_e32 v57, v57, v61
	v_fmac_f32_e32 v143, v90, v124
	v_add_f32_e32 v58, v58, v142
	v_add_f32_e32 v57, v57, v59
	;; [unrolled: 1-line block ×3, first 2 shown]
	s_waitcnt vmcnt(1)
	v_sub_f32_e32 v57, v125, v57
	s_waitcnt vmcnt(0)
	v_sub_f32_e32 v58, v126, v58
	buffer_store_dword v57, off, s[0:3], 0 offset:72
	buffer_store_dword v58, off, s[0:3], 0 offset:76
	v_cmpx_lt_u32_e32 8, v0
	s_cbranch_execz .LBB26_159
; %bb.158:
	s_clause 0x1
	buffer_load_dword v57, off, s[0:3], 0 offset:64
	buffer_load_dword v58, off, s[0:3], 0 offset:68
	buffer_store_dword v56, off, s[0:3], 0 offset:64
	buffer_store_dword v56, off, s[0:3], 0 offset:68
	s_waitcnt vmcnt(0)
	ds_write_b64 v55, v[57:58]
.LBB26_159:
	s_or_b32 exec_lo, exec_lo, s4
	s_waitcnt lgkmcnt(0)
	s_waitcnt_vscnt null, 0x0
	s_barrier
	buffer_gl0_inv
	s_clause 0x25
	buffer_load_dword v93, off, s[0:3], 0 offset:76
	buffer_load_dword v94, off, s[0:3], 0 offset:84
	buffer_load_dword v95, off, s[0:3], 0 offset:92
	buffer_load_dword v96, off, s[0:3], 0 offset:100
	buffer_load_dword v97, off, s[0:3], 0 offset:108
	buffer_load_dword v98, off, s[0:3], 0 offset:116
	buffer_load_dword v99, off, s[0:3], 0 offset:124
	buffer_load_dword v100, off, s[0:3], 0 offset:132
	buffer_load_dword v101, off, s[0:3], 0 offset:140
	buffer_load_dword v102, off, s[0:3], 0 offset:148
	buffer_load_dword v103, off, s[0:3], 0 offset:156
	buffer_load_dword v104, off, s[0:3], 0 offset:164
	buffer_load_dword v105, off, s[0:3], 0 offset:172
	buffer_load_dword v106, off, s[0:3], 0 offset:180
	buffer_load_dword v107, off, s[0:3], 0 offset:188
	buffer_load_dword v108, off, s[0:3], 0 offset:196
	buffer_load_dword v109, off, s[0:3], 0 offset:204
	buffer_load_dword v110, off, s[0:3], 0 offset:212
	buffer_load_dword v111, off, s[0:3], 0 offset:72
	buffer_load_dword v112, off, s[0:3], 0 offset:80
	buffer_load_dword v113, off, s[0:3], 0 offset:88
	buffer_load_dword v114, off, s[0:3], 0 offset:96
	buffer_load_dword v115, off, s[0:3], 0 offset:104
	buffer_load_dword v116, off, s[0:3], 0 offset:112
	buffer_load_dword v117, off, s[0:3], 0 offset:120
	buffer_load_dword v118, off, s[0:3], 0 offset:128
	buffer_load_dword v119, off, s[0:3], 0 offset:136
	buffer_load_dword v120, off, s[0:3], 0 offset:144
	buffer_load_dword v121, off, s[0:3], 0 offset:152
	buffer_load_dword v122, off, s[0:3], 0 offset:160
	buffer_load_dword v123, off, s[0:3], 0 offset:168
	buffer_load_dword v124, off, s[0:3], 0 offset:176
	buffer_load_dword v125, off, s[0:3], 0 offset:184
	buffer_load_dword v126, off, s[0:3], 0 offset:192
	buffer_load_dword v127, off, s[0:3], 0 offset:200
	buffer_load_dword v128, off, s[0:3], 0 offset:208
	buffer_load_dword v129, off, s[0:3], 0 offset:64
	buffer_load_dword v130, off, s[0:3], 0 offset:68
	ds_read2_b64 v[57:60], v56 offset0:37 offset1:38
	ds_read2_b64 v[61:64], v56 offset0:39 offset1:40
	;; [unrolled: 1-line block ×9, first 2 shown]
	s_mov_b32 s4, exec_lo
	s_waitcnt vmcnt(37) lgkmcnt(8)
	v_mul_f32_e32 v56, v57, v93
	v_mul_f32_e32 v93, v58, v93
	s_waitcnt vmcnt(36)
	v_mul_f32_e32 v131, v59, v94
	v_mul_f32_e32 v94, v60, v94
	s_waitcnt vmcnt(35) lgkmcnt(7)
	v_mul_f32_e32 v132, v61, v95
	s_waitcnt vmcnt(34)
	v_mul_f32_e32 v133, v63, v96
	s_waitcnt vmcnt(33) lgkmcnt(6)
	v_mul_f32_e32 v134, v65, v97
	s_waitcnt vmcnt(32)
	;; [unrolled: 4-line block ×7, first 2 shown]
	v_mul_f32_e32 v145, v87, v108
	s_waitcnt vmcnt(19)
	v_fma_f32 v57, v57, v111, -v93
	v_fmac_f32_e32 v56, v58, v111
	v_mul_f32_e32 v58, v62, v95
	s_waitcnt vmcnt(18)
	v_fma_f32 v59, v59, v112, -v94
	v_fmac_f32_e32 v131, v60, v112
	v_add_f32_e32 v57, 0, v57
	v_add_f32_e32 v56, 0, v56
	v_mul_f32_e32 v60, v64, v96
	s_waitcnt vmcnt(17)
	v_fma_f32 v58, v61, v113, -v58
	v_fmac_f32_e32 v132, v62, v113
	v_add_f32_e32 v57, v57, v59
	v_add_f32_e32 v56, v56, v131
	;; [unrolled: 6-line block ×14, first 2 shown]
	s_waitcnt lgkmcnt(0)
	v_mul_f32_e32 v59, v90, v109
	s_waitcnt vmcnt(4)
	v_fma_f32 v60, v87, v126, -v60
	v_mul_f32_e32 v146, v89, v109
	v_add_f32_e32 v57, v57, v58
	v_fmac_f32_e32 v145, v88, v126
	v_add_f32_e32 v56, v56, v144
	v_mul_f32_e32 v58, v92, v110
	s_waitcnt vmcnt(3)
	v_fma_f32 v59, v89, v127, -v59
	v_add_f32_e32 v57, v57, v60
	v_mul_f32_e32 v147, v91, v110
	v_fmac_f32_e32 v146, v90, v127
	v_add_f32_e32 v56, v56, v145
	s_waitcnt vmcnt(2)
	v_fma_f32 v58, v91, v128, -v58
	v_add_f32_e32 v57, v57, v59
	v_fmac_f32_e32 v147, v92, v128
	v_add_f32_e32 v56, v56, v146
	v_add_f32_e32 v57, v57, v58
	;; [unrolled: 1-line block ×3, first 2 shown]
	s_waitcnt vmcnt(1)
	v_sub_f32_e32 v57, v129, v57
	s_waitcnt vmcnt(0)
	v_sub_f32_e32 v56, v130, v56
	buffer_store_dword v57, off, s[0:3], 0 offset:64
	buffer_store_dword v56, off, s[0:3], 0 offset:68
	v_cmpx_lt_u32_e32 7, v0
	s_cbranch_execz .LBB26_161
; %bb.160:
	s_clause 0x1
	buffer_load_dword v56, off, s[0:3], 0 offset:56
	buffer_load_dword v57, off, s[0:3], 0 offset:60
	v_mov_b32_e32 v58, 0
	buffer_store_dword v58, off, s[0:3], 0 offset:56
	buffer_store_dword v58, off, s[0:3], 0 offset:60
	s_waitcnt vmcnt(0)
	ds_write_b64 v55, v[56:57]
.LBB26_161:
	s_or_b32 exec_lo, exec_lo, s4
	s_waitcnt lgkmcnt(0)
	s_waitcnt_vscnt null, 0x0
	s_barrier
	buffer_gl0_inv
	s_clause 0x27
	buffer_load_dword v95, off, s[0:3], 0 offset:68
	buffer_load_dword v96, off, s[0:3], 0 offset:76
	;; [unrolled: 1-line block ×40, first 2 shown]
	v_mov_b32_e32 v56, 0
	ds_read_b128 v[57:60], v56 offset:288
	ds_read_b128 v[61:64], v56 offset:304
	;; [unrolled: 1-line block ×9, first 2 shown]
	ds_read_b64 v[93:94], v56 offset:432
	s_mov_b32 s4, exec_lo
	s_waitcnt vmcnt(39) lgkmcnt(9)
	v_mul_f32_e32 v135, v57, v95
	v_mul_f32_e32 v95, v58, v95
	s_waitcnt vmcnt(38)
	v_mul_f32_e32 v136, v59, v96
	v_mul_f32_e32 v96, v60, v96
	s_waitcnt vmcnt(37) lgkmcnt(8)
	v_mul_f32_e32 v137, v61, v97
	s_waitcnt vmcnt(36)
	v_mul_f32_e32 v138, v63, v98
	s_waitcnt vmcnt(35) lgkmcnt(7)
	v_mul_f32_e32 v139, v65, v99
	s_waitcnt vmcnt(34)
	;; [unrolled: 4-line block ×8, first 2 shown]
	v_fma_f32 v57, v57, v114, -v95
	v_fmac_f32_e32 v135, v58, v114
	v_mul_f32_e32 v58, v62, v97
	s_waitcnt vmcnt(19)
	v_fma_f32 v59, v59, v115, -v96
	v_fmac_f32_e32 v136, v60, v115
	v_add_f32_e32 v57, 0, v57
	v_add_f32_e32 v60, 0, v135
	v_mul_f32_e32 v95, v64, v98
	s_waitcnt vmcnt(18)
	v_fma_f32 v58, v61, v116, -v58
	v_fmac_f32_e32 v137, v62, v116
	v_add_f32_e32 v57, v57, v59
	v_add_f32_e32 v59, v60, v136
	;; [unrolled: 6-line block ×15, first 2 shown]
	v_mul_f32_e32 v59, v92, v112
	s_waitcnt vmcnt(4)
	v_fma_f32 v60, v89, v130, -v60
	v_mul_f32_e32 v152, v91, v112
	v_add_f32_e32 v57, v57, v61
	v_fmac_f32_e32 v151, v90, v130
	v_add_f32_e32 v58, v58, v150
	s_waitcnt lgkmcnt(0)
	v_mul_f32_e32 v61, v94, v113
	s_waitcnt vmcnt(3)
	v_fma_f32 v59, v91, v131, -v59
	v_add_f32_e32 v57, v57, v60
	v_mul_f32_e32 v153, v93, v113
	v_fmac_f32_e32 v152, v92, v131
	v_add_f32_e32 v58, v58, v151
	s_waitcnt vmcnt(2)
	v_fma_f32 v60, v93, v132, -v61
	v_add_f32_e32 v57, v57, v59
	v_fmac_f32_e32 v153, v94, v132
	v_add_f32_e32 v58, v58, v152
	v_add_f32_e32 v57, v57, v60
	;; [unrolled: 1-line block ×3, first 2 shown]
	s_waitcnt vmcnt(1)
	v_sub_f32_e32 v57, v133, v57
	s_waitcnt vmcnt(0)
	v_sub_f32_e32 v58, v134, v58
	buffer_store_dword v57, off, s[0:3], 0 offset:56
	buffer_store_dword v58, off, s[0:3], 0 offset:60
	v_cmpx_lt_u32_e32 6, v0
	s_cbranch_execz .LBB26_163
; %bb.162:
	s_clause 0x1
	buffer_load_dword v57, off, s[0:3], 0 offset:48
	buffer_load_dword v58, off, s[0:3], 0 offset:52
	buffer_store_dword v56, off, s[0:3], 0 offset:48
	buffer_store_dword v56, off, s[0:3], 0 offset:52
	s_waitcnt vmcnt(0)
	ds_write_b64 v55, v[57:58]
.LBB26_163:
	s_or_b32 exec_lo, exec_lo, s4
	s_waitcnt lgkmcnt(0)
	s_waitcnt_vscnt null, 0x0
	s_barrier
	buffer_gl0_inv
	s_clause 0x29
	buffer_load_dword v97, off, s[0:3], 0 offset:60
	buffer_load_dword v98, off, s[0:3], 0 offset:68
	;; [unrolled: 1-line block ×42, first 2 shown]
	ds_read2_b64 v[57:60], v56 offset0:35 offset1:36
	ds_read2_b64 v[61:64], v56 offset0:37 offset1:38
	ds_read2_b64 v[65:68], v56 offset0:39 offset1:40
	ds_read2_b64 v[69:72], v56 offset0:41 offset1:42
	ds_read2_b64 v[73:76], v56 offset0:43 offset1:44
	ds_read2_b64 v[77:80], v56 offset0:45 offset1:46
	ds_read2_b64 v[81:84], v56 offset0:47 offset1:48
	ds_read2_b64 v[85:88], v56 offset0:49 offset1:50
	ds_read2_b64 v[89:92], v56 offset0:51 offset1:52
	ds_read2_b64 v[93:96], v56 offset0:53 offset1:54
	s_mov_b32 s4, exec_lo
	s_waitcnt vmcnt(41) lgkmcnt(9)
	v_mul_f32_e32 v56, v57, v97
	v_mul_f32_e32 v97, v58, v97
	s_waitcnt vmcnt(40)
	v_mul_f32_e32 v139, v59, v98
	v_mul_f32_e32 v98, v60, v98
	s_waitcnt vmcnt(39) lgkmcnt(8)
	v_mul_f32_e32 v140, v61, v99
	s_waitcnt vmcnt(38)
	v_mul_f32_e32 v141, v63, v100
	s_waitcnt vmcnt(37) lgkmcnt(7)
	v_mul_f32_e32 v142, v65, v101
	s_waitcnt vmcnt(36)
	;; [unrolled: 4-line block ×8, first 2 shown]
	v_mul_f32_e32 v155, v91, v114
	s_waitcnt vmcnt(21)
	v_fma_f32 v57, v57, v117, -v97
	v_fmac_f32_e32 v56, v58, v117
	v_mul_f32_e32 v58, v62, v99
	s_waitcnt vmcnt(20)
	v_fma_f32 v59, v59, v118, -v98
	v_fmac_f32_e32 v139, v60, v118
	v_add_f32_e32 v57, 0, v57
	v_add_f32_e32 v56, 0, v56
	v_mul_f32_e32 v60, v64, v100
	s_waitcnt vmcnt(19)
	v_fma_f32 v58, v61, v119, -v58
	v_fmac_f32_e32 v140, v62, v119
	v_add_f32_e32 v57, v57, v59
	v_add_f32_e32 v56, v56, v139
	;; [unrolled: 6-line block ×16, first 2 shown]
	s_waitcnt lgkmcnt(0)
	v_mul_f32_e32 v60, v94, v115
	s_waitcnt vmcnt(4)
	v_fma_f32 v58, v91, v134, -v58
	v_mul_f32_e32 v156, v93, v115
	v_add_f32_e32 v57, v57, v59
	v_fmac_f32_e32 v155, v92, v134
	v_add_f32_e32 v56, v56, v154
	v_mul_f32_e32 v59, v96, v116
	s_waitcnt vmcnt(3)
	v_fma_f32 v60, v93, v135, -v60
	v_add_f32_e32 v57, v57, v58
	v_mul_f32_e32 v157, v95, v116
	v_fmac_f32_e32 v156, v94, v135
	v_add_f32_e32 v56, v56, v155
	s_waitcnt vmcnt(2)
	v_fma_f32 v58, v95, v136, -v59
	v_add_f32_e32 v57, v57, v60
	v_fmac_f32_e32 v157, v96, v136
	v_add_f32_e32 v56, v56, v156
	v_add_f32_e32 v57, v57, v58
	;; [unrolled: 1-line block ×3, first 2 shown]
	s_waitcnt vmcnt(1)
	v_sub_f32_e32 v57, v137, v57
	s_waitcnt vmcnt(0)
	v_sub_f32_e32 v56, v138, v56
	buffer_store_dword v57, off, s[0:3], 0 offset:48
	buffer_store_dword v56, off, s[0:3], 0 offset:52
	v_cmpx_lt_u32_e32 5, v0
	s_cbranch_execz .LBB26_165
; %bb.164:
	s_clause 0x1
	buffer_load_dword v56, off, s[0:3], 0 offset:40
	buffer_load_dword v57, off, s[0:3], 0 offset:44
	v_mov_b32_e32 v58, 0
	buffer_store_dword v58, off, s[0:3], 0 offset:40
	buffer_store_dword v58, off, s[0:3], 0 offset:44
	s_waitcnt vmcnt(0)
	ds_write_b64 v55, v[56:57]
.LBB26_165:
	s_or_b32 exec_lo, exec_lo, s4
	s_waitcnt lgkmcnt(0)
	s_waitcnt_vscnt null, 0x0
	s_barrier
	buffer_gl0_inv
	s_clause 0x2b
	buffer_load_dword v99, off, s[0:3], 0 offset:52
	buffer_load_dword v100, off, s[0:3], 0 offset:60
	;; [unrolled: 1-line block ×44, first 2 shown]
	v_mov_b32_e32 v56, 0
	ds_read_b128 v[57:60], v56 offset:272
	ds_read_b128 v[61:64], v56 offset:288
	;; [unrolled: 1-line block ×10, first 2 shown]
	ds_read_b64 v[97:98], v56 offset:432
	s_mov_b32 s4, exec_lo
	s_waitcnt vmcnt(43) lgkmcnt(10)
	v_mul_f32_e32 v143, v57, v99
	v_mul_f32_e32 v99, v58, v99
	s_waitcnt vmcnt(42)
	v_mul_f32_e32 v144, v59, v100
	v_mul_f32_e32 v100, v60, v100
	s_waitcnt vmcnt(41) lgkmcnt(9)
	v_mul_f32_e32 v145, v61, v101
	s_waitcnt vmcnt(40)
	v_mul_f32_e32 v146, v63, v102
	s_waitcnt vmcnt(39) lgkmcnt(8)
	v_mul_f32_e32 v147, v65, v103
	s_waitcnt vmcnt(38)
	;; [unrolled: 4-line block ×9, first 2 shown]
	v_fma_f32 v57, v57, v120, -v99
	v_fmac_f32_e32 v143, v58, v120
	v_mul_f32_e32 v58, v62, v101
	s_waitcnt vmcnt(21)
	v_fma_f32 v59, v59, v121, -v100
	v_fmac_f32_e32 v144, v60, v121
	v_add_f32_e32 v57, 0, v57
	v_add_f32_e32 v60, 0, v143
	v_mul_f32_e32 v99, v64, v102
	s_waitcnt vmcnt(20)
	v_fma_f32 v58, v61, v122, -v58
	v_fmac_f32_e32 v145, v62, v122
	v_add_f32_e32 v57, v57, v59
	v_add_f32_e32 v59, v60, v144
	v_mul_f32_e32 v60, v66, v103
	s_waitcnt vmcnt(19)
	v_fma_f32 v61, v63, v123, -v99
	v_fmac_f32_e32 v146, v64, v123
	v_add_f32_e32 v57, v57, v58
	v_add_f32_e32 v58, v59, v145
	v_mul_f32_e32 v59, v68, v104
	s_waitcnt vmcnt(18)
	v_fma_f32 v60, v65, v124, -v60
	v_fmac_f32_e32 v147, v66, v124
	v_add_f32_e32 v57, v57, v61
	v_add_f32_e32 v58, v58, v146
	v_mul_f32_e32 v61, v70, v105
	s_waitcnt vmcnt(17)
	v_fma_f32 v59, v67, v125, -v59
	v_fmac_f32_e32 v148, v68, v125
	v_add_f32_e32 v57, v57, v60
	v_add_f32_e32 v58, v58, v147
	v_mul_f32_e32 v60, v72, v106
	s_waitcnt vmcnt(16)
	v_fma_f32 v61, v69, v126, -v61
	v_fmac_f32_e32 v149, v70, v126
	v_add_f32_e32 v57, v57, v59
	v_add_f32_e32 v58, v58, v148
	v_mul_f32_e32 v59, v74, v107
	s_waitcnt vmcnt(15)
	v_fma_f32 v60, v71, v127, -v60
	v_fmac_f32_e32 v150, v72, v127
	v_add_f32_e32 v57, v57, v61
	v_add_f32_e32 v58, v58, v149
	v_mul_f32_e32 v61, v76, v108
	s_waitcnt vmcnt(14)
	v_fma_f32 v59, v73, v128, -v59
	v_fmac_f32_e32 v151, v74, v128
	v_add_f32_e32 v57, v57, v60
	v_add_f32_e32 v58, v58, v150
	v_mul_f32_e32 v60, v78, v109
	s_waitcnt vmcnt(13)
	v_fma_f32 v61, v75, v129, -v61
	v_fmac_f32_e32 v152, v76, v129
	v_add_f32_e32 v57, v57, v59
	v_add_f32_e32 v58, v58, v151
	v_mul_f32_e32 v59, v80, v110
	s_waitcnt vmcnt(12)
	v_fma_f32 v60, v77, v130, -v60
	v_fmac_f32_e32 v153, v78, v130
	v_add_f32_e32 v57, v57, v61
	v_add_f32_e32 v58, v58, v152
	v_mul_f32_e32 v61, v82, v111
	s_waitcnt vmcnt(11)
	v_fma_f32 v59, v79, v131, -v59
	v_fmac_f32_e32 v154, v80, v131
	v_add_f32_e32 v57, v57, v60
	v_add_f32_e32 v58, v58, v153
	v_mul_f32_e32 v60, v84, v112
	s_waitcnt vmcnt(10)
	v_fma_f32 v61, v81, v132, -v61
	v_fmac_f32_e32 v155, v82, v132
	v_add_f32_e32 v57, v57, v59
	v_add_f32_e32 v58, v58, v154
	v_mul_f32_e32 v59, v86, v113
	s_waitcnt vmcnt(9)
	v_fma_f32 v60, v83, v133, -v60
	v_fmac_f32_e32 v156, v84, v133
	v_add_f32_e32 v57, v57, v61
	v_add_f32_e32 v58, v58, v155
	v_mul_f32_e32 v61, v88, v114
	s_waitcnt vmcnt(8)
	v_fma_f32 v59, v85, v134, -v59
	v_fmac_f32_e32 v157, v86, v134
	v_add_f32_e32 v57, v57, v60
	v_add_f32_e32 v58, v58, v156
	v_mul_f32_e32 v60, v90, v115
	s_waitcnt vmcnt(7)
	v_fma_f32 v61, v87, v135, -v61
	v_fmac_f32_e32 v158, v88, v135
	v_add_f32_e32 v57, v57, v59
	v_add_f32_e32 v58, v58, v157
	v_mul_f32_e32 v59, v92, v116
	s_waitcnt vmcnt(6)
	v_fma_f32 v60, v89, v136, -v60
	v_fmac_f32_e32 v159, v90, v136
	v_add_f32_e32 v57, v57, v61
	v_add_f32_e32 v58, v58, v158
	v_mul_f32_e32 v61, v94, v117
	s_waitcnt vmcnt(5)
	v_fma_f32 v59, v91, v137, -v59
	v_fmac_f32_e32 v160, v92, v137
	v_add_f32_e32 v57, v57, v60
	v_add_f32_e32 v58, v58, v159
	v_mul_f32_e32 v60, v96, v118
	s_waitcnt vmcnt(4)
	v_fma_f32 v61, v93, v138, -v61
	v_mul_f32_e32 v162, v95, v118
	v_add_f32_e32 v57, v57, v59
	v_fmac_f32_e32 v161, v94, v138
	v_add_f32_e32 v58, v58, v160
	s_waitcnt lgkmcnt(0)
	v_mul_f32_e32 v59, v98, v119
	s_waitcnt vmcnt(3)
	v_fma_f32 v60, v95, v139, -v60
	v_add_f32_e32 v57, v57, v61
	v_mul_f32_e32 v163, v97, v119
	v_fmac_f32_e32 v162, v96, v139
	v_add_f32_e32 v58, v58, v161
	s_waitcnt vmcnt(2)
	v_fma_f32 v59, v97, v140, -v59
	v_add_f32_e32 v57, v57, v60
	v_fmac_f32_e32 v163, v98, v140
	v_add_f32_e32 v58, v58, v162
	v_add_f32_e32 v57, v57, v59
	;; [unrolled: 1-line block ×3, first 2 shown]
	s_waitcnt vmcnt(1)
	v_sub_f32_e32 v57, v141, v57
	s_waitcnt vmcnt(0)
	v_sub_f32_e32 v58, v142, v58
	buffer_store_dword v57, off, s[0:3], 0 offset:40
	buffer_store_dword v58, off, s[0:3], 0 offset:44
	v_cmpx_lt_u32_e32 4, v0
	s_cbranch_execz .LBB26_167
; %bb.166:
	s_clause 0x1
	buffer_load_dword v57, off, s[0:3], 0 offset:32
	buffer_load_dword v58, off, s[0:3], 0 offset:36
	buffer_store_dword v56, off, s[0:3], 0 offset:32
	buffer_store_dword v56, off, s[0:3], 0 offset:36
	s_waitcnt vmcnt(0)
	ds_write_b64 v55, v[57:58]
.LBB26_167:
	s_or_b32 exec_lo, exec_lo, s4
	s_waitcnt lgkmcnt(0)
	s_waitcnt_vscnt null, 0x0
	s_barrier
	buffer_gl0_inv
	s_clause 0x2d
	buffer_load_dword v101, off, s[0:3], 0 offset:44
	buffer_load_dword v102, off, s[0:3], 0 offset:52
	;; [unrolled: 1-line block ×46, first 2 shown]
	ds_read2_b64 v[57:60], v56 offset0:33 offset1:34
	ds_read2_b64 v[61:64], v56 offset0:35 offset1:36
	ds_read2_b64 v[65:68], v56 offset0:37 offset1:38
	ds_read2_b64 v[69:72], v56 offset0:39 offset1:40
	ds_read2_b64 v[73:76], v56 offset0:41 offset1:42
	ds_read2_b64 v[77:80], v56 offset0:43 offset1:44
	ds_read2_b64 v[81:84], v56 offset0:45 offset1:46
	ds_read2_b64 v[85:88], v56 offset0:47 offset1:48
	ds_read2_b64 v[89:92], v56 offset0:49 offset1:50
	ds_read2_b64 v[93:96], v56 offset0:51 offset1:52
	ds_read2_b64 v[97:100], v56 offset0:53 offset1:54
	s_mov_b32 s4, exec_lo
	s_waitcnt vmcnt(45) lgkmcnt(10)
	v_mul_f32_e32 v56, v57, v101
	v_mul_f32_e32 v101, v58, v101
	s_waitcnt vmcnt(44)
	v_mul_f32_e32 v147, v59, v102
	v_mul_f32_e32 v102, v60, v102
	s_waitcnt vmcnt(43) lgkmcnt(9)
	v_mul_f32_e32 v148, v61, v103
	s_waitcnt vmcnt(42)
	v_mul_f32_e32 v149, v63, v104
	s_waitcnt vmcnt(41) lgkmcnt(8)
	v_mul_f32_e32 v150, v65, v105
	s_waitcnt vmcnt(40)
	;; [unrolled: 4-line block ×9, first 2 shown]
	v_mul_f32_e32 v165, v95, v120
	s_waitcnt vmcnt(23)
	v_fma_f32 v57, v57, v123, -v101
	v_fmac_f32_e32 v56, v58, v123
	v_mul_f32_e32 v58, v62, v103
	s_waitcnt vmcnt(22)
	v_fma_f32 v59, v59, v124, -v102
	v_fmac_f32_e32 v147, v60, v124
	v_add_f32_e32 v57, 0, v57
	v_add_f32_e32 v56, 0, v56
	v_mul_f32_e32 v60, v64, v104
	s_waitcnt vmcnt(21)
	v_fma_f32 v58, v61, v125, -v58
	v_fmac_f32_e32 v148, v62, v125
	v_add_f32_e32 v57, v57, v59
	v_add_f32_e32 v56, v56, v147
	;; [unrolled: 6-line block ×18, first 2 shown]
	s_waitcnt lgkmcnt(0)
	v_mul_f32_e32 v58, v98, v121
	s_waitcnt vmcnt(4)
	v_fma_f32 v59, v95, v142, -v59
	v_mul_f32_e32 v166, v97, v121
	v_add_f32_e32 v57, v57, v60
	v_fmac_f32_e32 v165, v96, v142
	v_add_f32_e32 v56, v56, v164
	v_mul_f32_e32 v60, v100, v122
	s_waitcnt vmcnt(3)
	v_fma_f32 v58, v97, v143, -v58
	v_add_f32_e32 v57, v57, v59
	v_mul_f32_e32 v167, v99, v122
	v_fmac_f32_e32 v166, v98, v143
	v_add_f32_e32 v56, v56, v165
	s_waitcnt vmcnt(2)
	v_fma_f32 v59, v99, v144, -v60
	v_add_f32_e32 v57, v57, v58
	v_fmac_f32_e32 v167, v100, v144
	v_add_f32_e32 v56, v56, v166
	v_add_f32_e32 v57, v57, v59
	;; [unrolled: 1-line block ×3, first 2 shown]
	s_waitcnt vmcnt(1)
	v_sub_f32_e32 v57, v145, v57
	s_waitcnt vmcnt(0)
	v_sub_f32_e32 v56, v146, v56
	buffer_store_dword v57, off, s[0:3], 0 offset:32
	buffer_store_dword v56, off, s[0:3], 0 offset:36
	v_cmpx_lt_u32_e32 3, v0
	s_cbranch_execz .LBB26_169
; %bb.168:
	s_clause 0x1
	buffer_load_dword v56, off, s[0:3], 0 offset:24
	buffer_load_dword v57, off, s[0:3], 0 offset:28
	v_mov_b32_e32 v58, 0
	buffer_store_dword v58, off, s[0:3], 0 offset:24
	buffer_store_dword v58, off, s[0:3], 0 offset:28
	s_waitcnt vmcnt(0)
	ds_write_b64 v55, v[56:57]
.LBB26_169:
	s_or_b32 exec_lo, exec_lo, s4
	s_waitcnt lgkmcnt(0)
	s_waitcnt_vscnt null, 0x0
	s_barrier
	buffer_gl0_inv
	s_clause 0x2f
	buffer_load_dword v103, off, s[0:3], 0 offset:36
	buffer_load_dword v104, off, s[0:3], 0 offset:44
	;; [unrolled: 1-line block ×48, first 2 shown]
	v_mov_b32_e32 v56, 0
	ds_read_b128 v[57:60], v56 offset:256
	ds_read_b128 v[61:64], v56 offset:272
	;; [unrolled: 1-line block ×11, first 2 shown]
	ds_read_b64 v[101:102], v56 offset:432
	s_mov_b32 s4, exec_lo
	s_waitcnt vmcnt(47) lgkmcnt(11)
	v_mul_f32_e32 v151, v57, v103
	v_mul_f32_e32 v103, v58, v103
	s_waitcnt vmcnt(46)
	v_mul_f32_e32 v152, v59, v104
	v_mul_f32_e32 v104, v60, v104
	s_waitcnt vmcnt(45) lgkmcnt(10)
	v_mul_f32_e32 v153, v61, v105
	s_waitcnt vmcnt(44)
	v_mul_f32_e32 v154, v63, v106
	s_waitcnt vmcnt(43) lgkmcnt(9)
	v_mul_f32_e32 v155, v65, v107
	s_waitcnt vmcnt(42)
	;; [unrolled: 4-line block ×10, first 2 shown]
	v_fma_f32 v57, v57, v126, -v103
	v_fmac_f32_e32 v151, v58, v126
	v_mul_f32_e32 v58, v62, v105
	s_waitcnt vmcnt(23)
	v_fma_f32 v59, v59, v127, -v104
	v_fmac_f32_e32 v152, v60, v127
	v_add_f32_e32 v57, 0, v57
	v_add_f32_e32 v60, 0, v151
	v_mul_f32_e32 v103, v64, v106
	s_waitcnt vmcnt(22)
	v_fma_f32 v58, v61, v128, -v58
	v_fmac_f32_e32 v153, v62, v128
	v_add_f32_e32 v57, v57, v59
	v_add_f32_e32 v59, v60, v152
	;; [unrolled: 6-line block ×19, first 2 shown]
	v_mul_f32_e32 v61, v100, v124
	s_waitcnt vmcnt(4)
	v_fma_f32 v59, v97, v146, -v59
	v_mul_f32_e32 v172, v99, v124
	v_add_f32_e32 v57, v57, v60
	v_fmac_f32_e32 v171, v98, v146
	v_add_f32_e32 v58, v58, v170
	s_waitcnt lgkmcnt(0)
	v_mul_f32_e32 v60, v102, v125
	s_waitcnt vmcnt(3)
	v_fma_f32 v61, v99, v147, -v61
	v_add_f32_e32 v57, v57, v59
	v_mul_f32_e32 v173, v101, v125
	v_fmac_f32_e32 v172, v100, v147
	v_add_f32_e32 v58, v58, v171
	s_waitcnt vmcnt(2)
	v_fma_f32 v59, v101, v148, -v60
	v_add_f32_e32 v57, v57, v61
	v_fmac_f32_e32 v173, v102, v148
	v_add_f32_e32 v58, v58, v172
	v_add_f32_e32 v57, v57, v59
	;; [unrolled: 1-line block ×3, first 2 shown]
	s_waitcnt vmcnt(1)
	v_sub_f32_e32 v57, v149, v57
	s_waitcnt vmcnt(0)
	v_sub_f32_e32 v58, v150, v58
	buffer_store_dword v57, off, s[0:3], 0 offset:24
	buffer_store_dword v58, off, s[0:3], 0 offset:28
	v_cmpx_lt_u32_e32 2, v0
	s_cbranch_execz .LBB26_171
; %bb.170:
	s_clause 0x1
	buffer_load_dword v57, off, s[0:3], 0 offset:16
	buffer_load_dword v58, off, s[0:3], 0 offset:20
	buffer_store_dword v56, off, s[0:3], 0 offset:16
	buffer_store_dword v56, off, s[0:3], 0 offset:20
	s_waitcnt vmcnt(0)
	ds_write_b64 v55, v[57:58]
.LBB26_171:
	s_or_b32 exec_lo, exec_lo, s4
	s_waitcnt lgkmcnt(0)
	s_waitcnt_vscnt null, 0x0
	s_barrier
	buffer_gl0_inv
	s_clause 0x31
	buffer_load_dword v105, off, s[0:3], 0 offset:28
	buffer_load_dword v106, off, s[0:3], 0 offset:36
	;; [unrolled: 1-line block ×50, first 2 shown]
	ds_read2_b64 v[57:60], v56 offset0:31 offset1:32
	ds_read2_b64 v[61:64], v56 offset0:33 offset1:34
	;; [unrolled: 1-line block ×12, first 2 shown]
	s_mov_b32 s4, exec_lo
	s_waitcnt vmcnt(49) lgkmcnt(11)
	v_mul_f32_e32 v56, v57, v105
	v_mul_f32_e32 v105, v58, v105
	s_waitcnt vmcnt(48)
	v_mul_f32_e32 v155, v59, v106
	v_mul_f32_e32 v106, v60, v106
	s_waitcnt vmcnt(47) lgkmcnt(10)
	v_mul_f32_e32 v156, v61, v107
	s_waitcnt vmcnt(46)
	v_mul_f32_e32 v157, v63, v108
	s_waitcnt vmcnt(45) lgkmcnt(9)
	v_mul_f32_e32 v158, v65, v109
	s_waitcnt vmcnt(44)
	;; [unrolled: 4-line block ×10, first 2 shown]
	v_mul_f32_e32 v175, v99, v126
	s_waitcnt vmcnt(25)
	v_fma_f32 v57, v57, v129, -v105
	v_fmac_f32_e32 v56, v58, v129
	v_mul_f32_e32 v58, v62, v107
	s_waitcnt vmcnt(24)
	v_fma_f32 v59, v59, v130, -v106
	v_fmac_f32_e32 v155, v60, v130
	v_add_f32_e32 v57, 0, v57
	v_add_f32_e32 v56, 0, v56
	v_mul_f32_e32 v60, v64, v108
	s_waitcnt vmcnt(23)
	v_fma_f32 v58, v61, v131, -v58
	v_fmac_f32_e32 v156, v62, v131
	v_add_f32_e32 v57, v57, v59
	v_add_f32_e32 v56, v56, v155
	;; [unrolled: 6-line block ×20, first 2 shown]
	s_waitcnt lgkmcnt(0)
	v_mul_f32_e32 v59, v102, v127
	s_waitcnt vmcnt(4)
	v_fma_f32 v60, v99, v150, -v60
	v_mul_f32_e32 v176, v101, v127
	v_add_f32_e32 v57, v57, v58
	v_fmac_f32_e32 v175, v100, v150
	v_add_f32_e32 v56, v56, v174
	v_mul_f32_e32 v58, v104, v128
	s_waitcnt vmcnt(3)
	v_fma_f32 v59, v101, v151, -v59
	v_add_f32_e32 v57, v57, v60
	v_mul_f32_e32 v177, v103, v128
	v_fmac_f32_e32 v176, v102, v151
	v_add_f32_e32 v56, v56, v175
	s_waitcnt vmcnt(2)
	v_fma_f32 v58, v103, v152, -v58
	v_add_f32_e32 v57, v57, v59
	v_fmac_f32_e32 v177, v104, v152
	v_add_f32_e32 v56, v56, v176
	v_add_f32_e32 v57, v57, v58
	v_add_f32_e32 v56, v56, v177
	s_waitcnt vmcnt(1)
	v_sub_f32_e32 v57, v153, v57
	s_waitcnt vmcnt(0)
	v_sub_f32_e32 v56, v154, v56
	buffer_store_dword v57, off, s[0:3], 0 offset:16
	buffer_store_dword v56, off, s[0:3], 0 offset:20
	v_cmpx_lt_u32_e32 1, v0
	s_cbranch_execz .LBB26_173
; %bb.172:
	s_clause 0x1
	buffer_load_dword v56, off, s[0:3], 0 offset:8
	buffer_load_dword v57, off, s[0:3], 0 offset:12
	v_mov_b32_e32 v58, 0
	buffer_store_dword v58, off, s[0:3], 0 offset:8
	buffer_store_dword v58, off, s[0:3], 0 offset:12
	s_waitcnt vmcnt(0)
	ds_write_b64 v55, v[56:57]
.LBB26_173:
	s_or_b32 exec_lo, exec_lo, s4
	s_waitcnt lgkmcnt(0)
	s_waitcnt_vscnt null, 0x0
	s_barrier
	buffer_gl0_inv
	s_clause 0x33
	buffer_load_dword v107, off, s[0:3], 0 offset:20
	buffer_load_dword v108, off, s[0:3], 0 offset:28
	;; [unrolled: 1-line block ×52, first 2 shown]
	v_mov_b32_e32 v56, 0
	ds_read_b128 v[57:60], v56 offset:240
	ds_read_b128 v[61:64], v56 offset:256
	;; [unrolled: 1-line block ×12, first 2 shown]
	ds_read_b64 v[105:106], v56 offset:432
	s_mov_b32 s4, exec_lo
	s_waitcnt vmcnt(51) lgkmcnt(12)
	v_mul_f32_e32 v159, v57, v107
	v_mul_f32_e32 v107, v58, v107
	s_waitcnt vmcnt(50)
	v_mul_f32_e32 v160, v59, v108
	v_mul_f32_e32 v108, v60, v108
	s_waitcnt vmcnt(49) lgkmcnt(11)
	v_mul_f32_e32 v161, v61, v109
	s_waitcnt vmcnt(48)
	v_mul_f32_e32 v162, v63, v110
	s_waitcnt vmcnt(47) lgkmcnt(10)
	v_mul_f32_e32 v163, v65, v111
	s_waitcnt vmcnt(46)
	;; [unrolled: 4-line block ×11, first 2 shown]
	v_fma_f32 v57, v57, v132, -v107
	v_fmac_f32_e32 v159, v58, v132
	v_mul_f32_e32 v58, v62, v109
	s_waitcnt vmcnt(25)
	v_fma_f32 v59, v59, v133, -v108
	v_fmac_f32_e32 v160, v60, v133
	v_add_f32_e32 v57, 0, v57
	v_add_f32_e32 v60, 0, v159
	v_mul_f32_e32 v107, v64, v110
	s_waitcnt vmcnt(24)
	v_fma_f32 v58, v61, v134, -v58
	v_fmac_f32_e32 v161, v62, v134
	v_add_f32_e32 v57, v57, v59
	v_add_f32_e32 v59, v60, v160
	;; [unrolled: 6-line block ×21, first 2 shown]
	v_mul_f32_e32 v59, v104, v130
	s_waitcnt vmcnt(4)
	v_fma_f32 v60, v101, v154, -v60
	v_mul_f32_e32 v182, v103, v130
	v_add_f32_e32 v57, v57, v61
	v_fmac_f32_e32 v181, v102, v154
	v_add_f32_e32 v58, v58, v180
	s_waitcnt lgkmcnt(0)
	v_mul_f32_e32 v61, v106, v131
	s_waitcnt vmcnt(3)
	v_fma_f32 v59, v103, v155, -v59
	v_add_f32_e32 v57, v57, v60
	v_mul_f32_e32 v183, v105, v131
	v_fmac_f32_e32 v182, v104, v155
	v_add_f32_e32 v58, v58, v181
	s_waitcnt vmcnt(2)
	v_fma_f32 v60, v105, v156, -v61
	v_add_f32_e32 v57, v57, v59
	v_fmac_f32_e32 v183, v106, v156
	v_add_f32_e32 v58, v58, v182
	v_add_f32_e32 v57, v57, v60
	;; [unrolled: 1-line block ×3, first 2 shown]
	s_waitcnt vmcnt(1)
	v_sub_f32_e32 v57, v157, v57
	s_waitcnt vmcnt(0)
	v_sub_f32_e32 v58, v158, v58
	buffer_store_dword v57, off, s[0:3], 0 offset:8
	buffer_store_dword v58, off, s[0:3], 0 offset:12
	v_cmpx_ne_u32_e32 0, v0
	s_cbranch_execz .LBB26_175
; %bb.174:
	s_clause 0x1
	buffer_load_dword v57, off, s[0:3], 0
	buffer_load_dword v58, off, s[0:3], 0 offset:4
	buffer_store_dword v56, off, s[0:3], 0
	buffer_store_dword v56, off, s[0:3], 0 offset:4
	s_waitcnt vmcnt(0)
	ds_write_b64 v55, v[57:58]
.LBB26_175:
	s_or_b32 exec_lo, exec_lo, s4
	s_waitcnt lgkmcnt(0)
	s_waitcnt_vscnt null, 0x0
	s_barrier
	buffer_gl0_inv
	s_clause 0x35
	buffer_load_dword v0, off, s[0:3], 0 offset:12
	buffer_load_dword v55, off, s[0:3], 0 offset:20
	buffer_load_dword v109, off, s[0:3], 0 offset:28
	buffer_load_dword v110, off, s[0:3], 0 offset:36
	buffer_load_dword v111, off, s[0:3], 0 offset:44
	buffer_load_dword v112, off, s[0:3], 0 offset:52
	buffer_load_dword v113, off, s[0:3], 0 offset:60
	buffer_load_dword v114, off, s[0:3], 0 offset:68
	buffer_load_dword v115, off, s[0:3], 0 offset:76
	buffer_load_dword v116, off, s[0:3], 0 offset:84
	buffer_load_dword v117, off, s[0:3], 0 offset:92
	buffer_load_dword v118, off, s[0:3], 0 offset:100
	buffer_load_dword v119, off, s[0:3], 0 offset:108
	buffer_load_dword v120, off, s[0:3], 0 offset:116
	buffer_load_dword v121, off, s[0:3], 0 offset:124
	buffer_load_dword v122, off, s[0:3], 0 offset:132
	buffer_load_dword v123, off, s[0:3], 0 offset:140
	buffer_load_dword v124, off, s[0:3], 0 offset:148
	buffer_load_dword v125, off, s[0:3], 0 offset:156
	buffer_load_dword v126, off, s[0:3], 0 offset:164
	buffer_load_dword v127, off, s[0:3], 0 offset:172
	buffer_load_dword v128, off, s[0:3], 0 offset:180
	buffer_load_dword v129, off, s[0:3], 0 offset:188
	buffer_load_dword v130, off, s[0:3], 0 offset:196
	buffer_load_dword v131, off, s[0:3], 0 offset:204
	buffer_load_dword v132, off, s[0:3], 0 offset:212
	buffer_load_dword v133, off, s[0:3], 0 offset:8
	buffer_load_dword v134, off, s[0:3], 0 offset:16
	buffer_load_dword v135, off, s[0:3], 0 offset:24
	buffer_load_dword v136, off, s[0:3], 0 offset:32
	buffer_load_dword v137, off, s[0:3], 0 offset:40
	buffer_load_dword v138, off, s[0:3], 0 offset:48
	buffer_load_dword v139, off, s[0:3], 0 offset:56
	buffer_load_dword v140, off, s[0:3], 0 offset:64
	buffer_load_dword v141, off, s[0:3], 0 offset:72
	buffer_load_dword v142, off, s[0:3], 0 offset:80
	buffer_load_dword v143, off, s[0:3], 0 offset:88
	buffer_load_dword v144, off, s[0:3], 0 offset:96
	buffer_load_dword v145, off, s[0:3], 0 offset:104
	buffer_load_dword v146, off, s[0:3], 0 offset:112
	buffer_load_dword v147, off, s[0:3], 0 offset:120
	buffer_load_dword v148, off, s[0:3], 0 offset:128
	buffer_load_dword v149, off, s[0:3], 0 offset:136
	buffer_load_dword v150, off, s[0:3], 0 offset:144
	buffer_load_dword v151, off, s[0:3], 0 offset:152
	buffer_load_dword v152, off, s[0:3], 0 offset:160
	buffer_load_dword v153, off, s[0:3], 0 offset:168
	buffer_load_dword v154, off, s[0:3], 0 offset:176
	buffer_load_dword v155, off, s[0:3], 0 offset:184
	buffer_load_dword v156, off, s[0:3], 0 offset:192
	buffer_load_dword v157, off, s[0:3], 0 offset:200
	buffer_load_dword v158, off, s[0:3], 0 offset:208
	buffer_load_dword v159, off, s[0:3], 0
	buffer_load_dword v160, off, s[0:3], 0 offset:4
	ds_read2_b64 v[57:60], v56 offset0:29 offset1:30
	ds_read2_b64 v[61:64], v56 offset0:31 offset1:32
	;; [unrolled: 1-line block ×13, first 2 shown]
	s_and_b32 vcc_lo, exec_lo, s22
	s_waitcnt vmcnt(53) lgkmcnt(12)
	v_mul_f32_e32 v56, v57, v0
	v_mul_f32_e32 v0, v58, v0
	s_waitcnt vmcnt(52)
	v_mul_f32_e32 v161, v59, v55
	v_mul_f32_e32 v55, v60, v55
	s_waitcnt vmcnt(51) lgkmcnt(11)
	v_mul_f32_e32 v162, v61, v109
	s_waitcnt vmcnt(50)
	v_mul_f32_e32 v163, v63, v110
	s_waitcnt vmcnt(49) lgkmcnt(10)
	v_mul_f32_e32 v164, v65, v111
	s_waitcnt vmcnt(48)
	;; [unrolled: 4-line block ×11, first 2 shown]
	v_mul_f32_e32 v183, v103, v130
	s_waitcnt vmcnt(27)
	v_fma_f32 v0, v57, v133, -v0
	v_fmac_f32_e32 v56, v58, v133
	v_mul_f32_e32 v57, v62, v109
	s_waitcnt vmcnt(26)
	v_fma_f32 v55, v59, v134, -v55
	v_fmac_f32_e32 v161, v60, v134
	v_add_f32_e32 v0, 0, v0
	v_add_f32_e32 v56, 0, v56
	v_mul_f32_e32 v58, v64, v110
	s_waitcnt vmcnt(25)
	v_fma_f32 v57, v61, v135, -v57
	v_fmac_f32_e32 v162, v62, v135
	v_add_f32_e32 v0, v0, v55
	v_add_f32_e32 v55, v56, v161
	;; [unrolled: 6-line block ×22, first 2 shown]
	s_waitcnt lgkmcnt(0)
	v_mul_f32_e32 v58, v106, v131
	s_waitcnt vmcnt(4)
	v_fma_f32 v57, v103, v156, -v57
	v_mul_f32_e32 v184, v105, v131
	v_add_f32_e32 v0, v0, v56
	v_fmac_f32_e32 v183, v104, v156
	v_add_f32_e32 v55, v55, v182
	v_mul_f32_e32 v56, v108, v132
	s_waitcnt vmcnt(3)
	v_fma_f32 v58, v105, v157, -v58
	v_add_f32_e32 v0, v0, v57
	v_mul_f32_e32 v185, v107, v132
	v_fmac_f32_e32 v184, v106, v157
	v_add_f32_e32 v55, v55, v183
	s_waitcnt vmcnt(2)
	v_fma_f32 v56, v107, v158, -v56
	v_add_f32_e32 v0, v0, v58
	v_fmac_f32_e32 v185, v108, v158
	v_add_f32_e32 v55, v55, v184
	v_add_f32_e32 v0, v0, v56
	;; [unrolled: 1-line block ×3, first 2 shown]
	s_waitcnt vmcnt(1)
	v_sub_f32_e32 v0, v159, v0
	s_waitcnt vmcnt(0)
	v_sub_f32_e32 v55, v160, v55
	buffer_store_dword v0, off, s[0:3], 0
	buffer_store_dword v55, off, s[0:3], 0 offset:4
	s_cbranch_vccz .LBB26_228
; %bb.176:
	v_mov_b32_e32 v0, 0
	global_load_dword v55, v0, s[20:21] offset:100
	s_waitcnt vmcnt(0)
	v_add_nc_u32_e32 v55, -1, v55
	v_cmp_ne_u32_e32 vcc_lo, 25, v55
	s_cbranch_vccz .LBB26_178
; %bb.177:
	v_lshlrev_b32_e32 v55, 3, v55
	s_clause 0x3
	buffer_load_dword v56, v55, s[0:3], 0 offen
	buffer_load_dword v57, v55, s[0:3], 0 offen offset:4
	buffer_load_dword v58, off, s[0:3], 0 offset:200
	buffer_load_dword v59, off, s[0:3], 0 offset:204
	s_waitcnt vmcnt(3)
	buffer_store_dword v56, off, s[0:3], 0 offset:200
	s_waitcnt vmcnt(2)
	buffer_store_dword v57, off, s[0:3], 0 offset:204
	s_waitcnt vmcnt(1)
	buffer_store_dword v58, v55, s[0:3], 0 offen
	s_waitcnt vmcnt(0)
	buffer_store_dword v59, v55, s[0:3], 0 offen offset:4
.LBB26_178:
	global_load_dword v0, v0, s[20:21] offset:96
	s_waitcnt vmcnt(0)
	v_add_nc_u32_e32 v0, -1, v0
	v_cmp_eq_u32_e32 vcc_lo, 24, v0
	s_cbranch_vccnz .LBB26_180
; %bb.179:
	v_lshlrev_b32_e32 v0, 3, v0
	s_clause 0x3
	buffer_load_dword v55, v0, s[0:3], 0 offen
	buffer_load_dword v56, v0, s[0:3], 0 offen offset:4
	buffer_load_dword v57, off, s[0:3], 0 offset:196
	buffer_load_dword v58, off, s[0:3], 0 offset:192
	s_waitcnt vmcnt(3)
	buffer_store_dword v55, off, s[0:3], 0 offset:192
	s_waitcnt vmcnt(2)
	buffer_store_dword v56, off, s[0:3], 0 offset:196
	s_waitcnt vmcnt(1)
	buffer_store_dword v57, v0, s[0:3], 0 offen offset:4
	s_waitcnt vmcnt(0)
	buffer_store_dword v58, v0, s[0:3], 0 offen
.LBB26_180:
	v_mov_b32_e32 v0, 0
	global_load_dword v55, v0, s[20:21] offset:92
	s_waitcnt vmcnt(0)
	v_add_nc_u32_e32 v55, -1, v55
	v_cmp_eq_u32_e32 vcc_lo, 23, v55
	s_cbranch_vccnz .LBB26_182
; %bb.181:
	v_lshlrev_b32_e32 v55, 3, v55
	s_clause 0x3
	buffer_load_dword v56, v55, s[0:3], 0 offen
	buffer_load_dword v57, v55, s[0:3], 0 offen offset:4
	buffer_load_dword v58, off, s[0:3], 0 offset:184
	buffer_load_dword v59, off, s[0:3], 0 offset:188
	s_waitcnt vmcnt(3)
	buffer_store_dword v56, off, s[0:3], 0 offset:184
	s_waitcnt vmcnt(2)
	buffer_store_dword v57, off, s[0:3], 0 offset:188
	s_waitcnt vmcnt(1)
	buffer_store_dword v58, v55, s[0:3], 0 offen
	s_waitcnt vmcnt(0)
	buffer_store_dword v59, v55, s[0:3], 0 offen offset:4
.LBB26_182:
	global_load_dword v0, v0, s[20:21] offset:88
	s_waitcnt vmcnt(0)
	v_add_nc_u32_e32 v0, -1, v0
	v_cmp_eq_u32_e32 vcc_lo, 22, v0
	s_cbranch_vccnz .LBB26_184
; %bb.183:
	v_lshlrev_b32_e32 v0, 3, v0
	s_clause 0x3
	buffer_load_dword v55, v0, s[0:3], 0 offen
	buffer_load_dword v56, v0, s[0:3], 0 offen offset:4
	buffer_load_dword v57, off, s[0:3], 0 offset:180
	buffer_load_dword v58, off, s[0:3], 0 offset:176
	s_waitcnt vmcnt(3)
	buffer_store_dword v55, off, s[0:3], 0 offset:176
	s_waitcnt vmcnt(2)
	buffer_store_dword v56, off, s[0:3], 0 offset:180
	s_waitcnt vmcnt(1)
	buffer_store_dword v57, v0, s[0:3], 0 offen offset:4
	s_waitcnt vmcnt(0)
	buffer_store_dword v58, v0, s[0:3], 0 offen
.LBB26_184:
	v_mov_b32_e32 v0, 0
	global_load_dword v55, v0, s[20:21] offset:84
	s_waitcnt vmcnt(0)
	v_add_nc_u32_e32 v55, -1, v55
	v_cmp_eq_u32_e32 vcc_lo, 21, v55
	s_cbranch_vccnz .LBB26_186
; %bb.185:
	v_lshlrev_b32_e32 v55, 3, v55
	s_clause 0x3
	buffer_load_dword v56, v55, s[0:3], 0 offen
	buffer_load_dword v57, v55, s[0:3], 0 offen offset:4
	buffer_load_dword v58, off, s[0:3], 0 offset:168
	buffer_load_dword v59, off, s[0:3], 0 offset:172
	s_waitcnt vmcnt(3)
	buffer_store_dword v56, off, s[0:3], 0 offset:168
	s_waitcnt vmcnt(2)
	buffer_store_dword v57, off, s[0:3], 0 offset:172
	s_waitcnt vmcnt(1)
	buffer_store_dword v58, v55, s[0:3], 0 offen
	s_waitcnt vmcnt(0)
	buffer_store_dword v59, v55, s[0:3], 0 offen offset:4
.LBB26_186:
	global_load_dword v0, v0, s[20:21] offset:80
	s_waitcnt vmcnt(0)
	v_add_nc_u32_e32 v0, -1, v0
	v_cmp_eq_u32_e32 vcc_lo, 20, v0
	s_cbranch_vccnz .LBB26_188
; %bb.187:
	v_lshlrev_b32_e32 v0, 3, v0
	s_clause 0x3
	buffer_load_dword v55, v0, s[0:3], 0 offen
	buffer_load_dword v56, v0, s[0:3], 0 offen offset:4
	buffer_load_dword v57, off, s[0:3], 0 offset:164
	buffer_load_dword v58, off, s[0:3], 0 offset:160
	s_waitcnt vmcnt(3)
	buffer_store_dword v55, off, s[0:3], 0 offset:160
	s_waitcnt vmcnt(2)
	buffer_store_dword v56, off, s[0:3], 0 offset:164
	s_waitcnt vmcnt(1)
	buffer_store_dword v57, v0, s[0:3], 0 offen offset:4
	s_waitcnt vmcnt(0)
	buffer_store_dword v58, v0, s[0:3], 0 offen
.LBB26_188:
	v_mov_b32_e32 v0, 0
	global_load_dword v55, v0, s[20:21] offset:76
	s_waitcnt vmcnt(0)
	v_add_nc_u32_e32 v55, -1, v55
	v_cmp_eq_u32_e32 vcc_lo, 19, v55
	s_cbranch_vccnz .LBB26_190
; %bb.189:
	v_lshlrev_b32_e32 v55, 3, v55
	s_clause 0x3
	buffer_load_dword v56, v55, s[0:3], 0 offen
	buffer_load_dword v57, v55, s[0:3], 0 offen offset:4
	buffer_load_dword v58, off, s[0:3], 0 offset:152
	buffer_load_dword v59, off, s[0:3], 0 offset:156
	s_waitcnt vmcnt(3)
	buffer_store_dword v56, off, s[0:3], 0 offset:152
	s_waitcnt vmcnt(2)
	buffer_store_dword v57, off, s[0:3], 0 offset:156
	s_waitcnt vmcnt(1)
	buffer_store_dword v58, v55, s[0:3], 0 offen
	s_waitcnt vmcnt(0)
	buffer_store_dword v59, v55, s[0:3], 0 offen offset:4
.LBB26_190:
	global_load_dword v0, v0, s[20:21] offset:72
	s_waitcnt vmcnt(0)
	v_add_nc_u32_e32 v0, -1, v0
	v_cmp_eq_u32_e32 vcc_lo, 18, v0
	s_cbranch_vccnz .LBB26_192
; %bb.191:
	v_lshlrev_b32_e32 v0, 3, v0
	s_clause 0x3
	buffer_load_dword v55, v0, s[0:3], 0 offen
	buffer_load_dword v56, v0, s[0:3], 0 offen offset:4
	buffer_load_dword v57, off, s[0:3], 0 offset:148
	buffer_load_dword v58, off, s[0:3], 0 offset:144
	s_waitcnt vmcnt(3)
	buffer_store_dword v55, off, s[0:3], 0 offset:144
	s_waitcnt vmcnt(2)
	buffer_store_dword v56, off, s[0:3], 0 offset:148
	s_waitcnt vmcnt(1)
	buffer_store_dword v57, v0, s[0:3], 0 offen offset:4
	s_waitcnt vmcnt(0)
	buffer_store_dword v58, v0, s[0:3], 0 offen
.LBB26_192:
	v_mov_b32_e32 v0, 0
	global_load_dword v55, v0, s[20:21] offset:68
	s_waitcnt vmcnt(0)
	v_add_nc_u32_e32 v55, -1, v55
	v_cmp_eq_u32_e32 vcc_lo, 17, v55
	s_cbranch_vccnz .LBB26_194
; %bb.193:
	v_lshlrev_b32_e32 v55, 3, v55
	s_clause 0x3
	buffer_load_dword v56, v55, s[0:3], 0 offen
	buffer_load_dword v57, v55, s[0:3], 0 offen offset:4
	buffer_load_dword v58, off, s[0:3], 0 offset:136
	buffer_load_dword v59, off, s[0:3], 0 offset:140
	s_waitcnt vmcnt(3)
	buffer_store_dword v56, off, s[0:3], 0 offset:136
	s_waitcnt vmcnt(2)
	buffer_store_dword v57, off, s[0:3], 0 offset:140
	s_waitcnt vmcnt(1)
	buffer_store_dword v58, v55, s[0:3], 0 offen
	s_waitcnt vmcnt(0)
	buffer_store_dword v59, v55, s[0:3], 0 offen offset:4
.LBB26_194:
	global_load_dword v0, v0, s[20:21] offset:64
	s_waitcnt vmcnt(0)
	v_add_nc_u32_e32 v0, -1, v0
	v_cmp_eq_u32_e32 vcc_lo, 16, v0
	s_cbranch_vccnz .LBB26_196
; %bb.195:
	v_lshlrev_b32_e32 v0, 3, v0
	s_clause 0x3
	buffer_load_dword v55, v0, s[0:3], 0 offen
	buffer_load_dword v56, v0, s[0:3], 0 offen offset:4
	buffer_load_dword v57, off, s[0:3], 0 offset:132
	buffer_load_dword v58, off, s[0:3], 0 offset:128
	s_waitcnt vmcnt(3)
	buffer_store_dword v55, off, s[0:3], 0 offset:128
	s_waitcnt vmcnt(2)
	buffer_store_dword v56, off, s[0:3], 0 offset:132
	s_waitcnt vmcnt(1)
	buffer_store_dword v57, v0, s[0:3], 0 offen offset:4
	s_waitcnt vmcnt(0)
	buffer_store_dword v58, v0, s[0:3], 0 offen
.LBB26_196:
	v_mov_b32_e32 v0, 0
	global_load_dword v55, v0, s[20:21] offset:60
	s_waitcnt vmcnt(0)
	v_add_nc_u32_e32 v55, -1, v55
	v_cmp_eq_u32_e32 vcc_lo, 15, v55
	s_cbranch_vccnz .LBB26_198
; %bb.197:
	v_lshlrev_b32_e32 v55, 3, v55
	s_clause 0x3
	buffer_load_dword v56, v55, s[0:3], 0 offen
	buffer_load_dword v57, v55, s[0:3], 0 offen offset:4
	buffer_load_dword v58, off, s[0:3], 0 offset:120
	buffer_load_dword v59, off, s[0:3], 0 offset:124
	s_waitcnt vmcnt(3)
	buffer_store_dword v56, off, s[0:3], 0 offset:120
	s_waitcnt vmcnt(2)
	buffer_store_dword v57, off, s[0:3], 0 offset:124
	s_waitcnt vmcnt(1)
	buffer_store_dword v58, v55, s[0:3], 0 offen
	s_waitcnt vmcnt(0)
	buffer_store_dword v59, v55, s[0:3], 0 offen offset:4
.LBB26_198:
	global_load_dword v0, v0, s[20:21] offset:56
	s_waitcnt vmcnt(0)
	v_add_nc_u32_e32 v0, -1, v0
	v_cmp_eq_u32_e32 vcc_lo, 14, v0
	s_cbranch_vccnz .LBB26_200
; %bb.199:
	v_lshlrev_b32_e32 v0, 3, v0
	s_clause 0x3
	buffer_load_dword v55, v0, s[0:3], 0 offen
	buffer_load_dword v56, v0, s[0:3], 0 offen offset:4
	buffer_load_dword v57, off, s[0:3], 0 offset:116
	buffer_load_dword v58, off, s[0:3], 0 offset:112
	s_waitcnt vmcnt(3)
	buffer_store_dword v55, off, s[0:3], 0 offset:112
	s_waitcnt vmcnt(2)
	buffer_store_dword v56, off, s[0:3], 0 offset:116
	s_waitcnt vmcnt(1)
	buffer_store_dword v57, v0, s[0:3], 0 offen offset:4
	s_waitcnt vmcnt(0)
	buffer_store_dword v58, v0, s[0:3], 0 offen
.LBB26_200:
	v_mov_b32_e32 v0, 0
	global_load_dword v55, v0, s[20:21] offset:52
	s_waitcnt vmcnt(0)
	v_add_nc_u32_e32 v55, -1, v55
	v_cmp_eq_u32_e32 vcc_lo, 13, v55
	s_cbranch_vccnz .LBB26_202
; %bb.201:
	v_lshlrev_b32_e32 v55, 3, v55
	s_clause 0x3
	buffer_load_dword v56, v55, s[0:3], 0 offen
	buffer_load_dword v57, v55, s[0:3], 0 offen offset:4
	buffer_load_dword v58, off, s[0:3], 0 offset:104
	buffer_load_dword v59, off, s[0:3], 0 offset:108
	s_waitcnt vmcnt(3)
	buffer_store_dword v56, off, s[0:3], 0 offset:104
	s_waitcnt vmcnt(2)
	buffer_store_dword v57, off, s[0:3], 0 offset:108
	s_waitcnt vmcnt(1)
	buffer_store_dword v58, v55, s[0:3], 0 offen
	s_waitcnt vmcnt(0)
	buffer_store_dword v59, v55, s[0:3], 0 offen offset:4
.LBB26_202:
	global_load_dword v0, v0, s[20:21] offset:48
	s_waitcnt vmcnt(0)
	v_add_nc_u32_e32 v0, -1, v0
	v_cmp_eq_u32_e32 vcc_lo, 12, v0
	s_cbranch_vccnz .LBB26_204
; %bb.203:
	v_lshlrev_b32_e32 v0, 3, v0
	s_clause 0x3
	buffer_load_dword v55, v0, s[0:3], 0 offen
	buffer_load_dword v56, v0, s[0:3], 0 offen offset:4
	buffer_load_dword v57, off, s[0:3], 0 offset:100
	buffer_load_dword v58, off, s[0:3], 0 offset:96
	s_waitcnt vmcnt(3)
	buffer_store_dword v55, off, s[0:3], 0 offset:96
	s_waitcnt vmcnt(2)
	buffer_store_dword v56, off, s[0:3], 0 offset:100
	s_waitcnt vmcnt(1)
	buffer_store_dword v57, v0, s[0:3], 0 offen offset:4
	s_waitcnt vmcnt(0)
	buffer_store_dword v58, v0, s[0:3], 0 offen
.LBB26_204:
	v_mov_b32_e32 v0, 0
	global_load_dword v55, v0, s[20:21] offset:44
	s_waitcnt vmcnt(0)
	v_add_nc_u32_e32 v55, -1, v55
	v_cmp_eq_u32_e32 vcc_lo, 11, v55
	s_cbranch_vccnz .LBB26_206
; %bb.205:
	v_lshlrev_b32_e32 v55, 3, v55
	s_clause 0x3
	buffer_load_dword v56, v55, s[0:3], 0 offen
	buffer_load_dword v57, v55, s[0:3], 0 offen offset:4
	buffer_load_dword v58, off, s[0:3], 0 offset:88
	buffer_load_dword v59, off, s[0:3], 0 offset:92
	s_waitcnt vmcnt(3)
	buffer_store_dword v56, off, s[0:3], 0 offset:88
	s_waitcnt vmcnt(2)
	buffer_store_dword v57, off, s[0:3], 0 offset:92
	s_waitcnt vmcnt(1)
	buffer_store_dword v58, v55, s[0:3], 0 offen
	s_waitcnt vmcnt(0)
	buffer_store_dword v59, v55, s[0:3], 0 offen offset:4
.LBB26_206:
	global_load_dword v0, v0, s[20:21] offset:40
	s_waitcnt vmcnt(0)
	v_add_nc_u32_e32 v0, -1, v0
	v_cmp_eq_u32_e32 vcc_lo, 10, v0
	s_cbranch_vccnz .LBB26_208
; %bb.207:
	v_lshlrev_b32_e32 v0, 3, v0
	s_clause 0x3
	buffer_load_dword v55, v0, s[0:3], 0 offen
	buffer_load_dword v56, v0, s[0:3], 0 offen offset:4
	buffer_load_dword v57, off, s[0:3], 0 offset:84
	buffer_load_dword v58, off, s[0:3], 0 offset:80
	s_waitcnt vmcnt(3)
	buffer_store_dword v55, off, s[0:3], 0 offset:80
	s_waitcnt vmcnt(2)
	buffer_store_dword v56, off, s[0:3], 0 offset:84
	s_waitcnt vmcnt(1)
	buffer_store_dword v57, v0, s[0:3], 0 offen offset:4
	s_waitcnt vmcnt(0)
	buffer_store_dword v58, v0, s[0:3], 0 offen
.LBB26_208:
	v_mov_b32_e32 v0, 0
	global_load_dword v55, v0, s[20:21] offset:36
	s_waitcnt vmcnt(0)
	v_add_nc_u32_e32 v55, -1, v55
	v_cmp_eq_u32_e32 vcc_lo, 9, v55
	s_cbranch_vccnz .LBB26_210
; %bb.209:
	v_lshlrev_b32_e32 v55, 3, v55
	s_clause 0x3
	buffer_load_dword v56, v55, s[0:3], 0 offen
	buffer_load_dword v57, v55, s[0:3], 0 offen offset:4
	buffer_load_dword v58, off, s[0:3], 0 offset:72
	buffer_load_dword v59, off, s[0:3], 0 offset:76
	s_waitcnt vmcnt(3)
	buffer_store_dword v56, off, s[0:3], 0 offset:72
	s_waitcnt vmcnt(2)
	buffer_store_dword v57, off, s[0:3], 0 offset:76
	s_waitcnt vmcnt(1)
	buffer_store_dword v58, v55, s[0:3], 0 offen
	s_waitcnt vmcnt(0)
	buffer_store_dword v59, v55, s[0:3], 0 offen offset:4
.LBB26_210:
	global_load_dword v0, v0, s[20:21] offset:32
	s_waitcnt vmcnt(0)
	v_add_nc_u32_e32 v0, -1, v0
	v_cmp_eq_u32_e32 vcc_lo, 8, v0
	s_cbranch_vccnz .LBB26_212
; %bb.211:
	v_lshlrev_b32_e32 v0, 3, v0
	s_clause 0x3
	buffer_load_dword v55, v0, s[0:3], 0 offen
	buffer_load_dword v56, v0, s[0:3], 0 offen offset:4
	buffer_load_dword v57, off, s[0:3], 0 offset:68
	buffer_load_dword v58, off, s[0:3], 0 offset:64
	s_waitcnt vmcnt(3)
	buffer_store_dword v55, off, s[0:3], 0 offset:64
	s_waitcnt vmcnt(2)
	buffer_store_dword v56, off, s[0:3], 0 offset:68
	s_waitcnt vmcnt(1)
	buffer_store_dword v57, v0, s[0:3], 0 offen offset:4
	s_waitcnt vmcnt(0)
	buffer_store_dword v58, v0, s[0:3], 0 offen
.LBB26_212:
	v_mov_b32_e32 v0, 0
	global_load_dword v55, v0, s[20:21] offset:28
	s_waitcnt vmcnt(0)
	v_add_nc_u32_e32 v55, -1, v55
	v_cmp_eq_u32_e32 vcc_lo, 7, v55
	s_cbranch_vccnz .LBB26_214
; %bb.213:
	v_lshlrev_b32_e32 v55, 3, v55
	s_clause 0x3
	buffer_load_dword v56, v55, s[0:3], 0 offen
	buffer_load_dword v57, v55, s[0:3], 0 offen offset:4
	buffer_load_dword v58, off, s[0:3], 0 offset:56
	buffer_load_dword v59, off, s[0:3], 0 offset:60
	s_waitcnt vmcnt(3)
	buffer_store_dword v56, off, s[0:3], 0 offset:56
	s_waitcnt vmcnt(2)
	buffer_store_dword v57, off, s[0:3], 0 offset:60
	s_waitcnt vmcnt(1)
	buffer_store_dword v58, v55, s[0:3], 0 offen
	s_waitcnt vmcnt(0)
	buffer_store_dword v59, v55, s[0:3], 0 offen offset:4
.LBB26_214:
	global_load_dword v0, v0, s[20:21] offset:24
	s_waitcnt vmcnt(0)
	v_add_nc_u32_e32 v0, -1, v0
	v_cmp_eq_u32_e32 vcc_lo, 6, v0
	s_cbranch_vccnz .LBB26_216
; %bb.215:
	v_lshlrev_b32_e32 v0, 3, v0
	s_clause 0x3
	buffer_load_dword v55, v0, s[0:3], 0 offen
	buffer_load_dword v56, v0, s[0:3], 0 offen offset:4
	buffer_load_dword v57, off, s[0:3], 0 offset:52
	buffer_load_dword v58, off, s[0:3], 0 offset:48
	s_waitcnt vmcnt(3)
	buffer_store_dword v55, off, s[0:3], 0 offset:48
	s_waitcnt vmcnt(2)
	buffer_store_dword v56, off, s[0:3], 0 offset:52
	s_waitcnt vmcnt(1)
	buffer_store_dword v57, v0, s[0:3], 0 offen offset:4
	s_waitcnt vmcnt(0)
	buffer_store_dword v58, v0, s[0:3], 0 offen
.LBB26_216:
	v_mov_b32_e32 v0, 0
	global_load_dword v55, v0, s[20:21] offset:20
	s_waitcnt vmcnt(0)
	v_add_nc_u32_e32 v55, -1, v55
	v_cmp_eq_u32_e32 vcc_lo, 5, v55
	s_cbranch_vccnz .LBB26_218
; %bb.217:
	v_lshlrev_b32_e32 v55, 3, v55
	s_clause 0x3
	buffer_load_dword v56, v55, s[0:3], 0 offen
	buffer_load_dword v57, v55, s[0:3], 0 offen offset:4
	buffer_load_dword v58, off, s[0:3], 0 offset:40
	buffer_load_dword v59, off, s[0:3], 0 offset:44
	s_waitcnt vmcnt(3)
	buffer_store_dword v56, off, s[0:3], 0 offset:40
	s_waitcnt vmcnt(2)
	buffer_store_dword v57, off, s[0:3], 0 offset:44
	s_waitcnt vmcnt(1)
	buffer_store_dword v58, v55, s[0:3], 0 offen
	s_waitcnt vmcnt(0)
	buffer_store_dword v59, v55, s[0:3], 0 offen offset:4
.LBB26_218:
	global_load_dword v0, v0, s[20:21] offset:16
	s_waitcnt vmcnt(0)
	v_add_nc_u32_e32 v0, -1, v0
	v_cmp_eq_u32_e32 vcc_lo, 4, v0
	s_cbranch_vccnz .LBB26_220
; %bb.219:
	v_lshlrev_b32_e32 v0, 3, v0
	s_clause 0x3
	buffer_load_dword v55, v0, s[0:3], 0 offen
	buffer_load_dword v56, v0, s[0:3], 0 offen offset:4
	buffer_load_dword v57, off, s[0:3], 0 offset:36
	buffer_load_dword v58, off, s[0:3], 0 offset:32
	s_waitcnt vmcnt(3)
	buffer_store_dword v55, off, s[0:3], 0 offset:32
	s_waitcnt vmcnt(2)
	buffer_store_dword v56, off, s[0:3], 0 offset:36
	s_waitcnt vmcnt(1)
	buffer_store_dword v57, v0, s[0:3], 0 offen offset:4
	s_waitcnt vmcnt(0)
	buffer_store_dword v58, v0, s[0:3], 0 offen
.LBB26_220:
	v_mov_b32_e32 v0, 0
	global_load_dword v55, v0, s[20:21] offset:12
	s_waitcnt vmcnt(0)
	v_add_nc_u32_e32 v55, -1, v55
	v_cmp_eq_u32_e32 vcc_lo, 3, v55
	s_cbranch_vccnz .LBB26_222
; %bb.221:
	v_lshlrev_b32_e32 v55, 3, v55
	s_clause 0x3
	buffer_load_dword v56, v55, s[0:3], 0 offen
	buffer_load_dword v57, v55, s[0:3], 0 offen offset:4
	buffer_load_dword v58, off, s[0:3], 0 offset:24
	buffer_load_dword v59, off, s[0:3], 0 offset:28
	s_waitcnt vmcnt(3)
	buffer_store_dword v56, off, s[0:3], 0 offset:24
	s_waitcnt vmcnt(2)
	buffer_store_dword v57, off, s[0:3], 0 offset:28
	s_waitcnt vmcnt(1)
	buffer_store_dword v58, v55, s[0:3], 0 offen
	s_waitcnt vmcnt(0)
	buffer_store_dword v59, v55, s[0:3], 0 offen offset:4
.LBB26_222:
	global_load_dword v0, v0, s[20:21] offset:8
	s_waitcnt vmcnt(0)
	v_add_nc_u32_e32 v0, -1, v0
	v_cmp_eq_u32_e32 vcc_lo, 2, v0
	s_cbranch_vccnz .LBB26_224
; %bb.223:
	v_lshlrev_b32_e32 v0, 3, v0
	s_clause 0x3
	buffer_load_dword v55, v0, s[0:3], 0 offen
	buffer_load_dword v56, v0, s[0:3], 0 offen offset:4
	buffer_load_dword v57, off, s[0:3], 0 offset:20
	buffer_load_dword v58, off, s[0:3], 0 offset:16
	s_waitcnt vmcnt(3)
	buffer_store_dword v55, off, s[0:3], 0 offset:16
	s_waitcnt vmcnt(2)
	buffer_store_dword v56, off, s[0:3], 0 offset:20
	s_waitcnt vmcnt(1)
	buffer_store_dword v57, v0, s[0:3], 0 offen offset:4
	s_waitcnt vmcnt(0)
	buffer_store_dword v58, v0, s[0:3], 0 offen
.LBB26_224:
	v_mov_b32_e32 v0, 0
	global_load_dword v55, v0, s[20:21] offset:4
	s_waitcnt vmcnt(0)
	v_add_nc_u32_e32 v55, -1, v55
	v_cmp_eq_u32_e32 vcc_lo, 1, v55
	s_cbranch_vccnz .LBB26_226
; %bb.225:
	v_lshlrev_b32_e32 v55, 3, v55
	s_clause 0x3
	buffer_load_dword v56, v55, s[0:3], 0 offen
	buffer_load_dword v57, v55, s[0:3], 0 offen offset:4
	buffer_load_dword v58, off, s[0:3], 0 offset:8
	buffer_load_dword v59, off, s[0:3], 0 offset:12
	s_waitcnt vmcnt(3)
	buffer_store_dword v56, off, s[0:3], 0 offset:8
	s_waitcnt vmcnt(2)
	buffer_store_dword v57, off, s[0:3], 0 offset:12
	s_waitcnt vmcnt(1)
	buffer_store_dword v58, v55, s[0:3], 0 offen
	s_waitcnt vmcnt(0)
	buffer_store_dword v59, v55, s[0:3], 0 offen offset:4
.LBB26_226:
	global_load_dword v0, v0, s[20:21]
	s_waitcnt vmcnt(0)
	v_add_nc_u32_e32 v0, -1, v0
	v_cmp_eq_u32_e32 vcc_lo, 0, v0
	s_cbranch_vccnz .LBB26_228
; %bb.227:
	v_lshlrev_b32_e32 v0, 3, v0
	s_clause 0x3
	buffer_load_dword v55, v0, s[0:3], 0 offen
	buffer_load_dword v56, v0, s[0:3], 0 offen offset:4
	buffer_load_dword v57, off, s[0:3], 0 offset:4
	buffer_load_dword v58, off, s[0:3], 0
	s_waitcnt vmcnt(3)
	buffer_store_dword v55, off, s[0:3], 0
	s_waitcnt vmcnt(2)
	buffer_store_dword v56, off, s[0:3], 0 offset:4
	s_waitcnt vmcnt(1)
	buffer_store_dword v57, v0, s[0:3], 0 offen offset:4
	s_waitcnt vmcnt(0)
	buffer_store_dword v58, v0, s[0:3], 0 offen
.LBB26_228:
	s_clause 0x35
	buffer_load_dword v55, off, s[0:3], 0
	buffer_load_dword v56, off, s[0:3], 0 offset:4
	buffer_load_dword v57, off, s[0:3], 0 offset:8
	;; [unrolled: 1-line block ×53, first 2 shown]
	s_waitcnt vmcnt(52)
	global_store_dwordx2 v[1:2], v[55:56], off
	s_waitcnt vmcnt(50)
	global_store_dwordx2 v[3:4], v[57:58], off
	;; [unrolled: 2-line block ×9, first 2 shown]
	global_store_dwordx2 v[19:20], v[73:74], off
	global_store_dwordx2 v[21:22], v[75:76], off
	global_store_dwordx2 v[23:24], v[77:78], off
	s_waitcnt vmcnt(28)
	global_store_dwordx2 v[25:26], v[79:80], off
	s_waitcnt vmcnt(26)
	global_store_dwordx2 v[27:28], v[81:82], off
	;; [unrolled: 2-line block ×15, first 2 shown]
	s_endpgm
	.section	.rodata,"a",@progbits
	.p2align	6, 0x0
	.amdhsa_kernel _ZN9rocsolver6v33100L18getri_kernel_smallILi27E19rocblas_complex_numIfEPS3_EEvT1_iilPiilS6_bb
		.amdhsa_group_segment_fixed_size 440
		.amdhsa_private_segment_fixed_size 224
		.amdhsa_kernarg_size 60
		.amdhsa_user_sgpr_count 6
		.amdhsa_user_sgpr_private_segment_buffer 1
		.amdhsa_user_sgpr_dispatch_ptr 0
		.amdhsa_user_sgpr_queue_ptr 0
		.amdhsa_user_sgpr_kernarg_segment_ptr 1
		.amdhsa_user_sgpr_dispatch_id 0
		.amdhsa_user_sgpr_flat_scratch_init 0
		.amdhsa_user_sgpr_private_segment_size 0
		.amdhsa_wavefront_size32 1
		.amdhsa_uses_dynamic_stack 0
		.amdhsa_system_sgpr_private_segment_wavefront_offset 1
		.amdhsa_system_sgpr_workgroup_id_x 1
		.amdhsa_system_sgpr_workgroup_id_y 0
		.amdhsa_system_sgpr_workgroup_id_z 0
		.amdhsa_system_sgpr_workgroup_info 0
		.amdhsa_system_vgpr_workitem_id 0
		.amdhsa_next_free_vgpr 186
		.amdhsa_next_free_sgpr 23
		.amdhsa_reserve_vcc 1
		.amdhsa_reserve_flat_scratch 0
		.amdhsa_float_round_mode_32 0
		.amdhsa_float_round_mode_16_64 0
		.amdhsa_float_denorm_mode_32 3
		.amdhsa_float_denorm_mode_16_64 3
		.amdhsa_dx10_clamp 1
		.amdhsa_ieee_mode 1
		.amdhsa_fp16_overflow 0
		.amdhsa_workgroup_processor_mode 1
		.amdhsa_memory_ordered 1
		.amdhsa_forward_progress 1
		.amdhsa_shared_vgpr_count 0
		.amdhsa_exception_fp_ieee_invalid_op 0
		.amdhsa_exception_fp_denorm_src 0
		.amdhsa_exception_fp_ieee_div_zero 0
		.amdhsa_exception_fp_ieee_overflow 0
		.amdhsa_exception_fp_ieee_underflow 0
		.amdhsa_exception_fp_ieee_inexact 0
		.amdhsa_exception_int_div_zero 0
	.end_amdhsa_kernel
	.section	.text._ZN9rocsolver6v33100L18getri_kernel_smallILi27E19rocblas_complex_numIfEPS3_EEvT1_iilPiilS6_bb,"axG",@progbits,_ZN9rocsolver6v33100L18getri_kernel_smallILi27E19rocblas_complex_numIfEPS3_EEvT1_iilPiilS6_bb,comdat
.Lfunc_end26:
	.size	_ZN9rocsolver6v33100L18getri_kernel_smallILi27E19rocblas_complex_numIfEPS3_EEvT1_iilPiilS6_bb, .Lfunc_end26-_ZN9rocsolver6v33100L18getri_kernel_smallILi27E19rocblas_complex_numIfEPS3_EEvT1_iilPiilS6_bb
                                        ; -- End function
	.set _ZN9rocsolver6v33100L18getri_kernel_smallILi27E19rocblas_complex_numIfEPS3_EEvT1_iilPiilS6_bb.num_vgpr, 186
	.set _ZN9rocsolver6v33100L18getri_kernel_smallILi27E19rocblas_complex_numIfEPS3_EEvT1_iilPiilS6_bb.num_agpr, 0
	.set _ZN9rocsolver6v33100L18getri_kernel_smallILi27E19rocblas_complex_numIfEPS3_EEvT1_iilPiilS6_bb.numbered_sgpr, 23
	.set _ZN9rocsolver6v33100L18getri_kernel_smallILi27E19rocblas_complex_numIfEPS3_EEvT1_iilPiilS6_bb.num_named_barrier, 0
	.set _ZN9rocsolver6v33100L18getri_kernel_smallILi27E19rocblas_complex_numIfEPS3_EEvT1_iilPiilS6_bb.private_seg_size, 224
	.set _ZN9rocsolver6v33100L18getri_kernel_smallILi27E19rocblas_complex_numIfEPS3_EEvT1_iilPiilS6_bb.uses_vcc, 1
	.set _ZN9rocsolver6v33100L18getri_kernel_smallILi27E19rocblas_complex_numIfEPS3_EEvT1_iilPiilS6_bb.uses_flat_scratch, 0
	.set _ZN9rocsolver6v33100L18getri_kernel_smallILi27E19rocblas_complex_numIfEPS3_EEvT1_iilPiilS6_bb.has_dyn_sized_stack, 0
	.set _ZN9rocsolver6v33100L18getri_kernel_smallILi27E19rocblas_complex_numIfEPS3_EEvT1_iilPiilS6_bb.has_recursion, 0
	.set _ZN9rocsolver6v33100L18getri_kernel_smallILi27E19rocblas_complex_numIfEPS3_EEvT1_iilPiilS6_bb.has_indirect_call, 0
	.section	.AMDGPU.csdata,"",@progbits
; Kernel info:
; codeLenInByte = 36236
; TotalNumSgprs: 25
; NumVgprs: 186
; ScratchSize: 224
; MemoryBound: 0
; FloatMode: 240
; IeeeMode: 1
; LDSByteSize: 440 bytes/workgroup (compile time only)
; SGPRBlocks: 0
; VGPRBlocks: 23
; NumSGPRsForWavesPerEU: 25
; NumVGPRsForWavesPerEU: 186
; Occupancy: 5
; WaveLimiterHint : 1
; COMPUTE_PGM_RSRC2:SCRATCH_EN: 1
; COMPUTE_PGM_RSRC2:USER_SGPR: 6
; COMPUTE_PGM_RSRC2:TRAP_HANDLER: 0
; COMPUTE_PGM_RSRC2:TGID_X_EN: 1
; COMPUTE_PGM_RSRC2:TGID_Y_EN: 0
; COMPUTE_PGM_RSRC2:TGID_Z_EN: 0
; COMPUTE_PGM_RSRC2:TIDIG_COMP_CNT: 0
	.section	.text._ZN9rocsolver6v33100L18getri_kernel_smallILi28E19rocblas_complex_numIfEPS3_EEvT1_iilPiilS6_bb,"axG",@progbits,_ZN9rocsolver6v33100L18getri_kernel_smallILi28E19rocblas_complex_numIfEPS3_EEvT1_iilPiilS6_bb,comdat
	.globl	_ZN9rocsolver6v33100L18getri_kernel_smallILi28E19rocblas_complex_numIfEPS3_EEvT1_iilPiilS6_bb ; -- Begin function _ZN9rocsolver6v33100L18getri_kernel_smallILi28E19rocblas_complex_numIfEPS3_EEvT1_iilPiilS6_bb
	.p2align	8
	.type	_ZN9rocsolver6v33100L18getri_kernel_smallILi28E19rocblas_complex_numIfEPS3_EEvT1_iilPiilS6_bb,@function
_ZN9rocsolver6v33100L18getri_kernel_smallILi28E19rocblas_complex_numIfEPS3_EEvT1_iilPiilS6_bb: ; @_ZN9rocsolver6v33100L18getri_kernel_smallILi28E19rocblas_complex_numIfEPS3_EEvT1_iilPiilS6_bb
; %bb.0:
	s_add_u32 s0, s0, s7
	s_addc_u32 s1, s1, 0
	s_mov_b32 s7, exec_lo
	v_cmpx_gt_u32_e32 28, v0
	s_cbranch_execz .LBB27_126
; %bb.1:
	s_clause 0x2
	s_load_dword s7, s[4:5], 0x38
	s_load_dwordx4 s[16:19], s[4:5], 0x10
	s_load_dwordx4 s[8:11], s[4:5], 0x28
                                        ; implicit-def: $sgpr20_sgpr21
	s_waitcnt lgkmcnt(0)
	s_bitcmp1_b32 s7, 8
	s_cselect_b32 s22, -1, 0
	s_bfe_u32 s12, s7, 0x10008
	s_ashr_i32 s7, s6, 31
	s_cmp_eq_u32 s12, 0
	s_cbranch_scc1 .LBB27_3
; %bb.2:
	s_load_dword s12, s[4:5], 0x20
	s_mul_i32 s13, s8, s7
	s_mul_hi_u32 s14, s8, s6
	s_mul_i32 s9, s9, s6
	s_add_i32 s13, s14, s13
	s_mul_i32 s8, s8, s6
	s_add_i32 s9, s13, s9
	s_lshl_b64 s[8:9], s[8:9], 2
	s_waitcnt lgkmcnt(0)
	s_ashr_i32 s13, s12, 31
	s_add_u32 s14, s18, s8
	s_addc_u32 s15, s19, s9
	s_lshl_b64 s[8:9], s[12:13], 2
	s_add_u32 s20, s14, s8
	s_addc_u32 s21, s15, s9
.LBB27_3:
	s_clause 0x1
	s_load_dwordx4 s[12:15], s[4:5], 0x0
	s_load_dword s18, s[4:5], 0x38
	s_mul_i32 s4, s16, s7
	s_mul_hi_u32 s5, s16, s6
	s_mul_i32 s8, s17, s6
	s_add_i32 s5, s5, s4
	s_mul_i32 s4, s16, s6
	s_add_i32 s5, s5, s8
	v_lshlrev_b32_e32 v59, 3, v0
	s_lshl_b64 s[4:5], s[4:5], 3
	s_waitcnt lgkmcnt(0)
	v_add3_u32 v3, s15, s15, v0
	s_ashr_i32 s9, s14, 31
	s_mov_b32 s8, s14
	s_add_u32 s12, s12, s4
	s_addc_u32 s13, s13, s5
	v_add_nc_u32_e32 v5, s15, v3
	v_ashrrev_i32_e32 v4, 31, v3
	s_lshl_b64 s[4:5], s[8:9], 3
	s_mov_b32 s8, s15
	s_add_u32 s4, s12, s4
	v_add_nc_u32_e32 v7, s15, v5
	v_ashrrev_i32_e32 v6, 31, v5
	v_lshlrev_b64 v[3:4], 3, v[3:4]
	s_addc_u32 s5, s13, s5
	v_add_co_u32 v1, s12, s4, v59
	v_add_nc_u32_e32 v9, s15, v7
	v_ashrrev_i32_e32 v8, 31, v7
	v_lshlrev_b64 v[5:6], 3, v[5:6]
	v_add_co_u32 v3, vcc_lo, s4, v3
	v_add_nc_u32_e32 v11, s15, v9
	v_ashrrev_i32_e32 v10, 31, v9
	v_lshlrev_b64 v[7:8], 3, v[7:8]
	v_add_co_ci_u32_e64 v4, null, s5, v4, vcc_lo
	v_add_nc_u32_e32 v13, s15, v11
	v_ashrrev_i32_e32 v12, 31, v11
	v_lshlrev_b64 v[9:10], 3, v[9:10]
	v_add_co_u32 v5, vcc_lo, s4, v5
	v_add_nc_u32_e32 v15, s15, v13
	v_ashrrev_i32_e32 v14, 31, v13
	v_lshlrev_b64 v[11:12], 3, v[11:12]
	v_add_co_ci_u32_e64 v6, null, s5, v6, vcc_lo
	v_add_nc_u32_e32 v17, s15, v15
	v_ashrrev_i32_e32 v16, 31, v15
	v_add_co_u32 v7, vcc_lo, s4, v7
	v_lshlrev_b64 v[13:14], 3, v[13:14]
	v_add_nc_u32_e32 v19, s15, v17
	v_ashrrev_i32_e32 v18, 31, v17
	v_add_co_ci_u32_e64 v8, null, s5, v8, vcc_lo
	v_add_co_u32 v9, vcc_lo, s4, v9
	v_add_nc_u32_e32 v21, s15, v19
	v_ashrrev_i32_e32 v20, 31, v19
	v_lshlrev_b64 v[15:16], 3, v[15:16]
	v_add_co_ci_u32_e64 v10, null, s5, v10, vcc_lo
	v_add_nc_u32_e32 v23, s15, v21
	v_ashrrev_i32_e32 v22, 31, v21
	v_add_co_u32 v11, vcc_lo, s4, v11
	v_lshlrev_b64 v[17:18], 3, v[17:18]
	v_add_nc_u32_e32 v25, s15, v23
	v_ashrrev_i32_e32 v24, 31, v23
	v_add_co_ci_u32_e64 v12, null, s5, v12, vcc_lo
	v_add_co_u32 v13, vcc_lo, s4, v13
	v_add_nc_u32_e32 v27, s15, v25
	v_lshlrev_b64 v[19:20], 3, v[19:20]
	v_ashrrev_i32_e32 v26, 31, v25
	v_add_co_ci_u32_e64 v14, null, s5, v14, vcc_lo
	v_add_nc_u32_e32 v29, s15, v27
	v_add_co_u32 v15, vcc_lo, s4, v15
	v_lshlrev_b64 v[21:22], 3, v[21:22]
	v_ashrrev_i32_e32 v28, 31, v27
	v_add_nc_u32_e32 v31, s15, v29
	v_add_co_ci_u32_e64 v16, null, s5, v16, vcc_lo
	v_add_co_u32 v17, vcc_lo, s4, v17
	v_add_nc_u32_e32 v33, s15, v31
	v_lshlrev_b64 v[23:24], 3, v[23:24]
	v_ashrrev_i32_e32 v30, 31, v29
	v_add_co_ci_u32_e64 v18, null, s5, v18, vcc_lo
	v_add_nc_u32_e32 v35, s15, v33
	v_add_co_u32 v19, vcc_lo, s4, v19
	v_lshlrev_b64 v[25:26], 3, v[25:26]
	v_ashrrev_i32_e32 v32, 31, v31
	v_add_nc_u32_e32 v37, s15, v35
	;; [unrolled: 11-line block ×3, first 2 shown]
	v_add_co_ci_u32_e64 v24, null, s5, v24, vcc_lo
	v_add_co_u32 v25, vcc_lo, s4, v25
	v_add_nc_u32_e32 v45, s15, v43
	v_lshlrev_b64 v[31:32], 3, v[31:32]
	v_ashrrev_i32_e32 v38, 31, v37
	v_add_co_ci_u32_e64 v26, null, s5, v26, vcc_lo
	v_add_nc_u32_e32 v49, s15, v45
	v_add_co_u32 v27, vcc_lo, s4, v27
	v_lshlrev_b64 v[33:34], 3, v[33:34]
	v_ashrrev_i32_e32 v40, 31, v39
	v_add_co_ci_u32_e64 v28, null, s5, v28, vcc_lo
	v_add_co_u32 v29, vcc_lo, s4, v29
	v_lshlrev_b64 v[35:36], 3, v[35:36]
	v_add_nc_u32_e32 v51, s15, v49
	v_ashrrev_i32_e32 v42, 31, v41
	v_add_co_ci_u32_e64 v30, null, s5, v30, vcc_lo
	v_add_co_u32 v31, vcc_lo, s4, v31
	v_lshlrev_b64 v[37:38], 3, v[37:38]
	v_add_co_ci_u32_e64 v32, null, s5, v32, vcc_lo
	v_add_co_u32 v33, vcc_lo, s4, v33
	v_lshlrev_b64 v[39:40], 3, v[39:40]
	v_ashrrev_i32_e32 v44, 31, v43
	v_add_nc_u32_e32 v53, s15, v51
	v_add_co_ci_u32_e64 v34, null, s5, v34, vcc_lo
	v_add_co_u32 v35, vcc_lo, s4, v35
	v_lshlrev_b64 v[41:42], 3, v[41:42]
	v_ashrrev_i32_e32 v46, 31, v45
	v_add_co_ci_u32_e64 v36, null, s5, v36, vcc_lo
	v_add_co_u32 v37, vcc_lo, s4, v37
	v_ashrrev_i32_e32 v50, 31, v49
	s_ashr_i32 s9, s15, 31
	v_add_co_ci_u32_e64 v38, null, s5, v38, vcc_lo
	v_add_co_u32 v39, vcc_lo, s4, v39
	v_lshlrev_b64 v[43:44], 3, v[43:44]
	v_add_nc_u32_e32 v55, s15, v53
	v_add_co_ci_u32_e64 v2, null, s5, 0, s12
	v_ashrrev_i32_e32 v52, 31, v51
	s_lshl_b64 s[8:9], s[8:9], 3
	v_add_co_ci_u32_e64 v40, null, s5, v40, vcc_lo
	v_add_co_u32 v41, vcc_lo, s4, v41
	v_lshlrev_b64 v[45:46], 3, v[45:46]
	v_ashrrev_i32_e32 v54, 31, v53
	v_add_co_ci_u32_e64 v42, null, s5, v42, vcc_lo
	v_add_co_u32 v47, vcc_lo, v1, s8
	v_lshlrev_b64 v[49:50], 3, v[49:50]
	v_ashrrev_i32_e32 v56, 31, v55
	v_add_co_ci_u32_e64 v48, null, s9, v2, vcc_lo
	v_add_co_u32 v43, vcc_lo, s4, v43
	v_lshlrev_b64 v[51:52], 3, v[51:52]
	v_add_co_ci_u32_e64 v44, null, s5, v44, vcc_lo
	v_add_co_u32 v45, vcc_lo, s4, v45
	v_lshlrev_b64 v[53:54], 3, v[53:54]
	;; [unrolled: 3-line block ×3, first 2 shown]
	v_add_co_ci_u32_e64 v50, null, s5, v50, vcc_lo
	v_add_co_u32 v51, vcc_lo, s4, v51
	v_add_co_ci_u32_e64 v52, null, s5, v52, vcc_lo
	v_add_co_u32 v53, vcc_lo, s4, v53
	;; [unrolled: 2-line block ×3, first 2 shown]
	v_add_co_ci_u32_e64 v56, null, s5, v56, vcc_lo
	s_clause 0x1b
	global_load_dwordx2 v[57:58], v59, s[4:5]
	global_load_dwordx2 v[60:61], v[47:48], off
	global_load_dwordx2 v[62:63], v[3:4], off
	;; [unrolled: 1-line block ×27, first 2 shown]
	s_mov_b32 s5, -1
	s_bitcmp0_b32 s18, 0
	s_waitcnt vmcnt(27)
	buffer_store_dword v58, off, s[0:3], 0 offset:4
	buffer_store_dword v57, off, s[0:3], 0
	s_waitcnt vmcnt(26)
	buffer_store_dword v61, off, s[0:3], 0 offset:12
	buffer_store_dword v60, off, s[0:3], 0 offset:8
	s_waitcnt vmcnt(25)
	buffer_store_dword v63, off, s[0:3], 0 offset:20
	buffer_store_dword v62, off, s[0:3], 0 offset:16
	;; [unrolled: 3-line block ×27, first 2 shown]
	s_cbranch_scc1 .LBB27_124
; %bb.4:
	v_cmp_eq_u32_e64 s4, 0, v0
	s_and_saveexec_b32 s5, s4
; %bb.5:
	v_mov_b32_e32 v57, 0
	ds_write_b32 v57, v57 offset:448
; %bb.6:
	s_or_b32 exec_lo, exec_lo, s5
	v_lshl_add_u32 v61, v0, 3, 0
	s_waitcnt lgkmcnt(0)
	s_waitcnt_vscnt null, 0x0
	s_barrier
	buffer_gl0_inv
	s_clause 0x1
	buffer_load_dword v57, v61, s[0:3], 0 offen
	buffer_load_dword v58, v61, s[0:3], 0 offen offset:4
	s_waitcnt vmcnt(1)
	v_cmp_eq_f32_e32 vcc_lo, 0, v57
	s_waitcnt vmcnt(0)
	v_cmp_eq_f32_e64 s5, 0, v58
	s_and_b32 s5, vcc_lo, s5
	s_and_saveexec_b32 s8, s5
	s_cbranch_execz .LBB27_10
; %bb.7:
	v_mov_b32_e32 v57, 0
	s_mov_b32 s9, 0
	ds_read_b32 v58, v57 offset:448
	s_waitcnt lgkmcnt(0)
	v_readfirstlane_b32 s5, v58
	v_add_nc_u32_e32 v58, 1, v0
	s_cmp_eq_u32 s5, 0
	v_cmp_gt_i32_e32 vcc_lo, s5, v58
	s_cselect_b32 s12, -1, 0
	s_or_b32 s12, s12, vcc_lo
	s_and_b32 exec_lo, exec_lo, s12
	s_cbranch_execz .LBB27_10
; %bb.8:
	v_mov_b32_e32 v60, s5
.LBB27_9:                               ; =>This Inner Loop Header: Depth=1
	ds_cmpst_rtn_b32 v60, v57, v60, v58 offset:448
	s_waitcnt lgkmcnt(0)
	v_cmp_ne_u32_e32 vcc_lo, 0, v60
	v_cmp_le_i32_e64 s5, v60, v58
	s_and_b32 s5, vcc_lo, s5
	s_and_b32 s5, exec_lo, s5
	s_or_b32 s9, s5, s9
	s_andn2_b32 exec_lo, exec_lo, s9
	s_cbranch_execnz .LBB27_9
.LBB27_10:
	s_or_b32 exec_lo, exec_lo, s8
	v_mov_b32_e32 v57, 0
	s_barrier
	buffer_gl0_inv
	ds_read_b32 v58, v57 offset:448
	s_and_saveexec_b32 s5, s4
	s_cbranch_execz .LBB27_12
; %bb.11:
	s_lshl_b64 s[8:9], s[6:7], 2
	s_add_u32 s8, s10, s8
	s_addc_u32 s9, s11, s9
	s_waitcnt lgkmcnt(0)
	global_store_dword v57, v58, s[8:9]
.LBB27_12:
	s_or_b32 exec_lo, exec_lo, s5
	s_waitcnt lgkmcnt(0)
	v_cmp_ne_u32_e32 vcc_lo, 0, v58
	s_mov_b32 s5, 0
	s_cbranch_vccnz .LBB27_124
; %bb.13:
	s_clause 0x1
	buffer_load_dword v58, v61, s[0:3], 0 offen
	buffer_load_dword v60, v61, s[0:3], 0 offen offset:4
                                        ; implicit-def: $vgpr63
                                        ; implicit-def: $vgpr62
                                        ; implicit-def: $vgpr57
	s_waitcnt vmcnt(0)
	v_cmp_ngt_f32_e64 s5, |v58|, |v60|
	s_and_saveexec_b32 s8, s5
	s_xor_b32 s5, exec_lo, s8
	s_cbranch_execz .LBB27_15
; %bb.14:
	v_div_scale_f32 v57, null, v60, v60, v58
	v_div_scale_f32 v64, vcc_lo, v58, v60, v58
	v_rcp_f32_e32 v62, v57
	v_fma_f32 v63, -v57, v62, 1.0
	v_fmac_f32_e32 v62, v63, v62
	v_mul_f32_e32 v63, v64, v62
	v_fma_f32 v65, -v57, v63, v64
	v_fmac_f32_e32 v63, v65, v62
	v_fma_f32 v57, -v57, v63, v64
	v_div_fmas_f32 v57, v57, v62, v63
	v_div_fixup_f32 v57, v57, v60, v58
	v_fmac_f32_e32 v60, v58, v57
	v_div_scale_f32 v58, null, v60, v60, 1.0
	v_rcp_f32_e32 v62, v58
	v_fma_f32 v63, -v58, v62, 1.0
	v_fmac_f32_e32 v62, v63, v62
	v_div_scale_f32 v63, vcc_lo, 1.0, v60, 1.0
	v_mul_f32_e32 v64, v63, v62
	v_fma_f32 v65, -v58, v64, v63
	v_fmac_f32_e32 v64, v65, v62
	v_fma_f32 v58, -v58, v64, v63
	v_div_fmas_f32 v58, v58, v62, v64
	v_div_fixup_f32 v58, v58, v60, 1.0
                                        ; implicit-def: $vgpr60
	v_mul_f32_e32 v63, v57, v58
	v_xor_b32_e32 v62, 0x80000000, v58
                                        ; implicit-def: $vgpr58
	v_xor_b32_e32 v57, 0x80000000, v63
.LBB27_15:
	s_andn2_saveexec_b32 s5, s5
	s_cbranch_execz .LBB27_17
; %bb.16:
	v_div_scale_f32 v57, null, v58, v58, v60
	v_div_scale_f32 v64, vcc_lo, v60, v58, v60
	v_rcp_f32_e32 v62, v57
	v_fma_f32 v63, -v57, v62, 1.0
	v_fmac_f32_e32 v62, v63, v62
	v_mul_f32_e32 v63, v64, v62
	v_fma_f32 v65, -v57, v63, v64
	v_fmac_f32_e32 v63, v65, v62
	v_fma_f32 v57, -v57, v63, v64
	v_div_fmas_f32 v57, v57, v62, v63
	v_div_fixup_f32 v62, v57, v58, v60
	v_fmac_f32_e32 v58, v60, v62
	v_div_scale_f32 v57, null, v58, v58, 1.0
	v_div_scale_f32 v64, vcc_lo, 1.0, v58, 1.0
	v_rcp_f32_e32 v60, v57
	v_fma_f32 v63, -v57, v60, 1.0
	v_fmac_f32_e32 v60, v63, v60
	v_mul_f32_e32 v63, v64, v60
	v_fma_f32 v65, -v57, v63, v64
	v_fmac_f32_e32 v63, v65, v60
	v_fma_f32 v57, -v57, v63, v64
	v_div_fmas_f32 v57, v57, v60, v63
	v_div_fixup_f32 v63, v57, v58, 1.0
	v_xor_b32_e32 v57, 0x80000000, v63
	v_mul_f32_e64 v62, v62, -v63
.LBB27_17:
	s_or_b32 exec_lo, exec_lo, s5
	buffer_store_dword v63, v61, s[0:3], 0 offen
	buffer_store_dword v62, v61, s[0:3], 0 offen offset:4
	s_clause 0x1
	buffer_load_dword v64, off, s[0:3], 0 offset:12
	buffer_load_dword v63, off, s[0:3], 0 offset:8
	v_xor_b32_e32 v58, 0x80000000, v62
	v_add_nc_u32_e32 v60, 0xe0, v59
	s_waitcnt vmcnt(0)
	ds_write2_b64 v59, v[57:58], v[63:64] offset1:28
	s_waitcnt lgkmcnt(0)
	s_waitcnt_vscnt null, 0x0
	s_barrier
	buffer_gl0_inv
	s_and_saveexec_b32 s5, s4
	s_cbranch_execz .LBB27_19
; %bb.18:
	s_clause 0x1
	buffer_load_dword v64, v61, s[0:3], 0 offen offset:4
	buffer_load_dword v65, v61, s[0:3], 0 offen
	ds_read_b64 v[57:58], v60
	v_mov_b32_e32 v62, 0
	ds_read_b64 v[62:63], v62 offset:8
	s_waitcnt vmcnt(1) lgkmcnt(1)
	v_mul_f32_e32 v66, v57, v64
	v_mul_f32_e32 v64, v58, v64
	s_waitcnt vmcnt(0)
	v_fmac_f32_e32 v66, v58, v65
	v_fma_f32 v57, v57, v65, -v64
	v_add_f32_e32 v58, 0, v66
	v_add_f32_e32 v57, 0, v57
	s_waitcnt lgkmcnt(0)
	v_mul_f32_e32 v64, v58, v63
	v_mul_f32_e32 v63, v57, v63
	v_fma_f32 v57, v57, v62, -v64
	v_fmac_f32_e32 v63, v58, v62
	buffer_store_dword v57, off, s[0:3], 0 offset:8
	buffer_store_dword v63, off, s[0:3], 0 offset:12
.LBB27_19:
	s_or_b32 exec_lo, exec_lo, s5
	s_waitcnt_vscnt null, 0x0
	s_barrier
	buffer_gl0_inv
	s_clause 0x1
	buffer_load_dword v57, off, s[0:3], 0 offset:16
	buffer_load_dword v58, off, s[0:3], 0 offset:20
	s_mov_b32 s5, exec_lo
	s_waitcnt vmcnt(0)
	ds_write_b64 v60, v[57:58]
	s_waitcnt lgkmcnt(0)
	s_barrier
	buffer_gl0_inv
	v_cmpx_gt_u32_e32 2, v0
	s_cbranch_execz .LBB27_23
; %bb.20:
	s_clause 0x1
	buffer_load_dword v62, v61, s[0:3], 0 offen offset:4
	buffer_load_dword v61, v61, s[0:3], 0 offen
	ds_read_b64 v[57:58], v60
	s_waitcnt vmcnt(1) lgkmcnt(0)
	v_mul_f32_e32 v63, v58, v62
	v_mul_f32_e32 v62, v57, v62
	s_waitcnt vmcnt(0)
	v_fma_f32 v57, v57, v61, -v63
	v_fmac_f32_e32 v62, v58, v61
	v_add_f32_e32 v58, 0, v57
	v_add_f32_e32 v57, 0, v62
	s_and_saveexec_b32 s8, s4
	s_cbranch_execz .LBB27_22
; %bb.21:
	s_clause 0x1
	buffer_load_dword v63, off, s[0:3], 0 offset:12
	buffer_load_dword v64, off, s[0:3], 0 offset:8
	v_mov_b32_e32 v61, 0
	ds_read_b64 v[61:62], v61 offset:232
	s_waitcnt vmcnt(1) lgkmcnt(0)
	v_mul_f32_e32 v65, v61, v63
	v_mul_f32_e32 v63, v62, v63
	s_waitcnt vmcnt(0)
	v_fmac_f32_e32 v65, v62, v64
	v_fma_f32 v61, v61, v64, -v63
	v_add_f32_e32 v57, v57, v65
	v_add_f32_e32 v58, v58, v61
.LBB27_22:
	s_or_b32 exec_lo, exec_lo, s8
	v_mov_b32_e32 v61, 0
	ds_read_b64 v[61:62], v61 offset:16
	s_waitcnt lgkmcnt(0)
	v_mul_f32_e32 v63, v57, v62
	v_mul_f32_e32 v62, v58, v62
	v_fma_f32 v58, v58, v61, -v63
	v_fmac_f32_e32 v62, v57, v61
	buffer_store_dword v58, off, s[0:3], 0 offset:16
	buffer_store_dword v62, off, s[0:3], 0 offset:20
.LBB27_23:
	s_or_b32 exec_lo, exec_lo, s5
	s_waitcnt_vscnt null, 0x0
	s_barrier
	buffer_gl0_inv
	s_clause 0x1
	buffer_load_dword v61, off, s[0:3], 0 offset:24
	buffer_load_dword v62, off, s[0:3], 0 offset:28
	v_add_nc_u32_e32 v57, -1, v0
	s_mov_b32 s4, exec_lo
	s_waitcnt vmcnt(0)
	ds_write_b64 v60, v[61:62]
	s_waitcnt lgkmcnt(0)
	s_barrier
	buffer_gl0_inv
	v_cmpx_gt_u32_e32 3, v0
	s_cbranch_execz .LBB27_27
; %bb.24:
	v_add_nc_u32_e32 v61, -1, v0
	v_add_nc_u32_e32 v62, 0xe0, v59
	v_mov_b32_e32 v63, v59
	v_mov_b32_e32 v58, 0
	;; [unrolled: 1-line block ×3, first 2 shown]
	s_mov_b32 s5, 0
	.p2align	6
.LBB27_25:                              ; =>This Inner Loop Header: Depth=1
	s_clause 0x1
	buffer_load_dword v67, v63, s[0:3], 0 offen offset:4
	buffer_load_dword v68, v63, s[0:3], 0 offen
	ds_read_b64 v[65:66], v62
	v_add_nc_u32_e32 v61, 1, v61
	v_add_nc_u32_e32 v62, 8, v62
	v_add_nc_u32_e32 v63, 8, v63
	v_cmp_lt_u32_e32 vcc_lo, 1, v61
	s_or_b32 s5, vcc_lo, s5
	s_waitcnt vmcnt(1) lgkmcnt(0)
	v_mul_f32_e32 v69, v66, v67
	v_mul_f32_e32 v67, v65, v67
	s_waitcnt vmcnt(0)
	v_fma_f32 v65, v65, v68, -v69
	v_fmac_f32_e32 v67, v66, v68
	v_add_f32_e32 v64, v64, v65
	v_add_f32_e32 v58, v58, v67
	s_andn2_b32 exec_lo, exec_lo, s5
	s_cbranch_execnz .LBB27_25
; %bb.26:
	s_or_b32 exec_lo, exec_lo, s5
	v_mov_b32_e32 v61, 0
	ds_read_b64 v[61:62], v61 offset:24
	s_waitcnt lgkmcnt(0)
	v_mul_f32_e32 v63, v58, v62
	v_mul_f32_e32 v62, v64, v62
	v_fma_f32 v63, v64, v61, -v63
	v_fmac_f32_e32 v62, v58, v61
	buffer_store_dword v63, off, s[0:3], 0 offset:24
	buffer_store_dword v62, off, s[0:3], 0 offset:28
.LBB27_27:
	s_or_b32 exec_lo, exec_lo, s4
	s_waitcnt_vscnt null, 0x0
	s_barrier
	buffer_gl0_inv
	s_clause 0x1
	buffer_load_dword v61, off, s[0:3], 0 offset:32
	buffer_load_dword v62, off, s[0:3], 0 offset:36
	s_mov_b32 s4, exec_lo
	s_waitcnt vmcnt(0)
	ds_write_b64 v60, v[61:62]
	s_waitcnt lgkmcnt(0)
	s_barrier
	buffer_gl0_inv
	v_cmpx_gt_u32_e32 4, v0
	s_cbranch_execz .LBB27_31
; %bb.28:
	v_add_nc_u32_e32 v61, -1, v0
	v_add_nc_u32_e32 v62, 0xe0, v59
	v_mov_b32_e32 v63, v59
	v_mov_b32_e32 v58, 0
	;; [unrolled: 1-line block ×3, first 2 shown]
	s_mov_b32 s5, 0
	.p2align	6
.LBB27_29:                              ; =>This Inner Loop Header: Depth=1
	s_clause 0x1
	buffer_load_dword v67, v63, s[0:3], 0 offen offset:4
	buffer_load_dword v68, v63, s[0:3], 0 offen
	ds_read_b64 v[65:66], v62
	v_add_nc_u32_e32 v61, 1, v61
	v_add_nc_u32_e32 v62, 8, v62
	;; [unrolled: 1-line block ×3, first 2 shown]
	v_cmp_lt_u32_e32 vcc_lo, 2, v61
	s_or_b32 s5, vcc_lo, s5
	s_waitcnt vmcnt(1) lgkmcnt(0)
	v_mul_f32_e32 v69, v66, v67
	v_mul_f32_e32 v67, v65, v67
	s_waitcnt vmcnt(0)
	v_fma_f32 v65, v65, v68, -v69
	v_fmac_f32_e32 v67, v66, v68
	v_add_f32_e32 v64, v64, v65
	v_add_f32_e32 v58, v58, v67
	s_andn2_b32 exec_lo, exec_lo, s5
	s_cbranch_execnz .LBB27_29
; %bb.30:
	s_or_b32 exec_lo, exec_lo, s5
	v_mov_b32_e32 v61, 0
	ds_read_b64 v[61:62], v61 offset:32
	s_waitcnt lgkmcnt(0)
	v_mul_f32_e32 v63, v58, v62
	v_mul_f32_e32 v62, v64, v62
	v_fma_f32 v63, v64, v61, -v63
	v_fmac_f32_e32 v62, v58, v61
	buffer_store_dword v63, off, s[0:3], 0 offset:32
	buffer_store_dword v62, off, s[0:3], 0 offset:36
.LBB27_31:
	s_or_b32 exec_lo, exec_lo, s4
	s_waitcnt_vscnt null, 0x0
	s_barrier
	buffer_gl0_inv
	s_clause 0x1
	buffer_load_dword v61, off, s[0:3], 0 offset:40
	buffer_load_dword v62, off, s[0:3], 0 offset:44
	s_mov_b32 s4, exec_lo
	s_waitcnt vmcnt(0)
	ds_write_b64 v60, v[61:62]
	s_waitcnt lgkmcnt(0)
	s_barrier
	buffer_gl0_inv
	v_cmpx_gt_u32_e32 5, v0
	s_cbranch_execz .LBB27_35
; %bb.32:
	v_add_nc_u32_e32 v61, -1, v0
	v_add_nc_u32_e32 v62, 0xe0, v59
	v_mov_b32_e32 v63, v59
	v_mov_b32_e32 v58, 0
	;; [unrolled: 1-line block ×3, first 2 shown]
	s_mov_b32 s5, 0
	.p2align	6
.LBB27_33:                              ; =>This Inner Loop Header: Depth=1
	s_clause 0x1
	buffer_load_dword v67, v63, s[0:3], 0 offen offset:4
	buffer_load_dword v68, v63, s[0:3], 0 offen
	ds_read_b64 v[65:66], v62
	v_add_nc_u32_e32 v61, 1, v61
	v_add_nc_u32_e32 v62, 8, v62
	;; [unrolled: 1-line block ×3, first 2 shown]
	v_cmp_lt_u32_e32 vcc_lo, 3, v61
	s_or_b32 s5, vcc_lo, s5
	s_waitcnt vmcnt(1) lgkmcnt(0)
	v_mul_f32_e32 v69, v66, v67
	v_mul_f32_e32 v67, v65, v67
	s_waitcnt vmcnt(0)
	v_fma_f32 v65, v65, v68, -v69
	v_fmac_f32_e32 v67, v66, v68
	v_add_f32_e32 v64, v64, v65
	v_add_f32_e32 v58, v58, v67
	s_andn2_b32 exec_lo, exec_lo, s5
	s_cbranch_execnz .LBB27_33
; %bb.34:
	s_or_b32 exec_lo, exec_lo, s5
	v_mov_b32_e32 v61, 0
	ds_read_b64 v[61:62], v61 offset:40
	s_waitcnt lgkmcnt(0)
	v_mul_f32_e32 v63, v58, v62
	v_mul_f32_e32 v62, v64, v62
	v_fma_f32 v63, v64, v61, -v63
	v_fmac_f32_e32 v62, v58, v61
	buffer_store_dword v63, off, s[0:3], 0 offset:40
	buffer_store_dword v62, off, s[0:3], 0 offset:44
.LBB27_35:
	s_or_b32 exec_lo, exec_lo, s4
	s_waitcnt_vscnt null, 0x0
	s_barrier
	buffer_gl0_inv
	s_clause 0x1
	buffer_load_dword v61, off, s[0:3], 0 offset:48
	buffer_load_dword v62, off, s[0:3], 0 offset:52
	s_mov_b32 s4, exec_lo
	s_waitcnt vmcnt(0)
	ds_write_b64 v60, v[61:62]
	s_waitcnt lgkmcnt(0)
	s_barrier
	buffer_gl0_inv
	v_cmpx_gt_u32_e32 6, v0
	s_cbranch_execz .LBB27_39
; %bb.36:
	v_add_nc_u32_e32 v61, -1, v0
	v_add_nc_u32_e32 v62, 0xe0, v59
	v_mov_b32_e32 v63, v59
	v_mov_b32_e32 v58, 0
	;; [unrolled: 1-line block ×3, first 2 shown]
	s_mov_b32 s5, 0
	.p2align	6
.LBB27_37:                              ; =>This Inner Loop Header: Depth=1
	s_clause 0x1
	buffer_load_dword v67, v63, s[0:3], 0 offen offset:4
	buffer_load_dword v68, v63, s[0:3], 0 offen
	ds_read_b64 v[65:66], v62
	v_add_nc_u32_e32 v61, 1, v61
	v_add_nc_u32_e32 v62, 8, v62
	;; [unrolled: 1-line block ×3, first 2 shown]
	v_cmp_lt_u32_e32 vcc_lo, 4, v61
	s_or_b32 s5, vcc_lo, s5
	s_waitcnt vmcnt(1) lgkmcnt(0)
	v_mul_f32_e32 v69, v66, v67
	v_mul_f32_e32 v67, v65, v67
	s_waitcnt vmcnt(0)
	v_fma_f32 v65, v65, v68, -v69
	v_fmac_f32_e32 v67, v66, v68
	v_add_f32_e32 v64, v64, v65
	v_add_f32_e32 v58, v58, v67
	s_andn2_b32 exec_lo, exec_lo, s5
	s_cbranch_execnz .LBB27_37
; %bb.38:
	s_or_b32 exec_lo, exec_lo, s5
	v_mov_b32_e32 v61, 0
	ds_read_b64 v[61:62], v61 offset:48
	s_waitcnt lgkmcnt(0)
	v_mul_f32_e32 v63, v58, v62
	v_mul_f32_e32 v62, v64, v62
	v_fma_f32 v63, v64, v61, -v63
	v_fmac_f32_e32 v62, v58, v61
	buffer_store_dword v63, off, s[0:3], 0 offset:48
	buffer_store_dword v62, off, s[0:3], 0 offset:52
.LBB27_39:
	s_or_b32 exec_lo, exec_lo, s4
	s_waitcnt_vscnt null, 0x0
	s_barrier
	buffer_gl0_inv
	s_clause 0x1
	buffer_load_dword v61, off, s[0:3], 0 offset:56
	buffer_load_dword v62, off, s[0:3], 0 offset:60
	s_mov_b32 s4, exec_lo
	s_waitcnt vmcnt(0)
	ds_write_b64 v60, v[61:62]
	s_waitcnt lgkmcnt(0)
	s_barrier
	buffer_gl0_inv
	v_cmpx_gt_u32_e32 7, v0
	s_cbranch_execz .LBB27_43
; %bb.40:
	v_add_nc_u32_e32 v61, -1, v0
	v_add_nc_u32_e32 v62, 0xe0, v59
	v_mov_b32_e32 v63, v59
	v_mov_b32_e32 v58, 0
	;; [unrolled: 1-line block ×3, first 2 shown]
	s_mov_b32 s5, 0
	.p2align	6
.LBB27_41:                              ; =>This Inner Loop Header: Depth=1
	s_clause 0x1
	buffer_load_dword v67, v63, s[0:3], 0 offen offset:4
	buffer_load_dword v68, v63, s[0:3], 0 offen
	ds_read_b64 v[65:66], v62
	v_add_nc_u32_e32 v61, 1, v61
	v_add_nc_u32_e32 v62, 8, v62
	;; [unrolled: 1-line block ×3, first 2 shown]
	v_cmp_lt_u32_e32 vcc_lo, 5, v61
	s_or_b32 s5, vcc_lo, s5
	s_waitcnt vmcnt(1) lgkmcnt(0)
	v_mul_f32_e32 v69, v66, v67
	v_mul_f32_e32 v67, v65, v67
	s_waitcnt vmcnt(0)
	v_fma_f32 v65, v65, v68, -v69
	v_fmac_f32_e32 v67, v66, v68
	v_add_f32_e32 v64, v64, v65
	v_add_f32_e32 v58, v58, v67
	s_andn2_b32 exec_lo, exec_lo, s5
	s_cbranch_execnz .LBB27_41
; %bb.42:
	s_or_b32 exec_lo, exec_lo, s5
	v_mov_b32_e32 v61, 0
	ds_read_b64 v[61:62], v61 offset:56
	s_waitcnt lgkmcnt(0)
	v_mul_f32_e32 v63, v58, v62
	v_mul_f32_e32 v62, v64, v62
	v_fma_f32 v63, v64, v61, -v63
	v_fmac_f32_e32 v62, v58, v61
	buffer_store_dword v63, off, s[0:3], 0 offset:56
	buffer_store_dword v62, off, s[0:3], 0 offset:60
.LBB27_43:
	s_or_b32 exec_lo, exec_lo, s4
	s_waitcnt_vscnt null, 0x0
	s_barrier
	buffer_gl0_inv
	s_clause 0x1
	buffer_load_dword v61, off, s[0:3], 0 offset:64
	buffer_load_dword v62, off, s[0:3], 0 offset:68
	s_mov_b32 s4, exec_lo
	s_waitcnt vmcnt(0)
	ds_write_b64 v60, v[61:62]
	s_waitcnt lgkmcnt(0)
	s_barrier
	buffer_gl0_inv
	v_cmpx_gt_u32_e32 8, v0
	s_cbranch_execz .LBB27_47
; %bb.44:
	v_add_nc_u32_e32 v61, -1, v0
	v_add_nc_u32_e32 v62, 0xe0, v59
	v_mov_b32_e32 v63, v59
	v_mov_b32_e32 v58, 0
	;; [unrolled: 1-line block ×3, first 2 shown]
	s_mov_b32 s5, 0
	.p2align	6
.LBB27_45:                              ; =>This Inner Loop Header: Depth=1
	s_clause 0x1
	buffer_load_dword v67, v63, s[0:3], 0 offen offset:4
	buffer_load_dword v68, v63, s[0:3], 0 offen
	ds_read_b64 v[65:66], v62
	v_add_nc_u32_e32 v61, 1, v61
	v_add_nc_u32_e32 v62, 8, v62
	;; [unrolled: 1-line block ×3, first 2 shown]
	v_cmp_lt_u32_e32 vcc_lo, 6, v61
	s_or_b32 s5, vcc_lo, s5
	s_waitcnt vmcnt(1) lgkmcnt(0)
	v_mul_f32_e32 v69, v66, v67
	v_mul_f32_e32 v67, v65, v67
	s_waitcnt vmcnt(0)
	v_fma_f32 v65, v65, v68, -v69
	v_fmac_f32_e32 v67, v66, v68
	v_add_f32_e32 v64, v64, v65
	v_add_f32_e32 v58, v58, v67
	s_andn2_b32 exec_lo, exec_lo, s5
	s_cbranch_execnz .LBB27_45
; %bb.46:
	s_or_b32 exec_lo, exec_lo, s5
	v_mov_b32_e32 v61, 0
	ds_read_b64 v[61:62], v61 offset:64
	s_waitcnt lgkmcnt(0)
	v_mul_f32_e32 v63, v58, v62
	v_mul_f32_e32 v62, v64, v62
	v_fma_f32 v63, v64, v61, -v63
	v_fmac_f32_e32 v62, v58, v61
	buffer_store_dword v63, off, s[0:3], 0 offset:64
	buffer_store_dword v62, off, s[0:3], 0 offset:68
.LBB27_47:
	s_or_b32 exec_lo, exec_lo, s4
	s_waitcnt_vscnt null, 0x0
	s_barrier
	buffer_gl0_inv
	s_clause 0x1
	buffer_load_dword v61, off, s[0:3], 0 offset:72
	buffer_load_dword v62, off, s[0:3], 0 offset:76
	s_mov_b32 s4, exec_lo
	s_waitcnt vmcnt(0)
	ds_write_b64 v60, v[61:62]
	s_waitcnt lgkmcnt(0)
	s_barrier
	buffer_gl0_inv
	v_cmpx_gt_u32_e32 9, v0
	s_cbranch_execz .LBB27_51
; %bb.48:
	v_add_nc_u32_e32 v61, -1, v0
	v_add_nc_u32_e32 v62, 0xe0, v59
	v_mov_b32_e32 v63, v59
	v_mov_b32_e32 v58, 0
	;; [unrolled: 1-line block ×3, first 2 shown]
	s_mov_b32 s5, 0
	.p2align	6
.LBB27_49:                              ; =>This Inner Loop Header: Depth=1
	s_clause 0x1
	buffer_load_dword v67, v63, s[0:3], 0 offen offset:4
	buffer_load_dword v68, v63, s[0:3], 0 offen
	ds_read_b64 v[65:66], v62
	v_add_nc_u32_e32 v61, 1, v61
	v_add_nc_u32_e32 v62, 8, v62
	v_add_nc_u32_e32 v63, 8, v63
	v_cmp_lt_u32_e32 vcc_lo, 7, v61
	s_or_b32 s5, vcc_lo, s5
	s_waitcnt vmcnt(1) lgkmcnt(0)
	v_mul_f32_e32 v69, v66, v67
	v_mul_f32_e32 v67, v65, v67
	s_waitcnt vmcnt(0)
	v_fma_f32 v65, v65, v68, -v69
	v_fmac_f32_e32 v67, v66, v68
	v_add_f32_e32 v64, v64, v65
	v_add_f32_e32 v58, v58, v67
	s_andn2_b32 exec_lo, exec_lo, s5
	s_cbranch_execnz .LBB27_49
; %bb.50:
	s_or_b32 exec_lo, exec_lo, s5
	v_mov_b32_e32 v61, 0
	ds_read_b64 v[61:62], v61 offset:72
	s_waitcnt lgkmcnt(0)
	v_mul_f32_e32 v63, v58, v62
	v_mul_f32_e32 v62, v64, v62
	v_fma_f32 v63, v64, v61, -v63
	v_fmac_f32_e32 v62, v58, v61
	buffer_store_dword v63, off, s[0:3], 0 offset:72
	buffer_store_dword v62, off, s[0:3], 0 offset:76
.LBB27_51:
	s_or_b32 exec_lo, exec_lo, s4
	s_waitcnt_vscnt null, 0x0
	s_barrier
	buffer_gl0_inv
	s_clause 0x1
	buffer_load_dword v61, off, s[0:3], 0 offset:80
	buffer_load_dword v62, off, s[0:3], 0 offset:84
	s_mov_b32 s4, exec_lo
	s_waitcnt vmcnt(0)
	ds_write_b64 v60, v[61:62]
	s_waitcnt lgkmcnt(0)
	s_barrier
	buffer_gl0_inv
	v_cmpx_gt_u32_e32 10, v0
	s_cbranch_execz .LBB27_55
; %bb.52:
	v_add_nc_u32_e32 v61, -1, v0
	v_add_nc_u32_e32 v62, 0xe0, v59
	v_mov_b32_e32 v63, v59
	v_mov_b32_e32 v58, 0
	;; [unrolled: 1-line block ×3, first 2 shown]
	s_mov_b32 s5, 0
	.p2align	6
.LBB27_53:                              ; =>This Inner Loop Header: Depth=1
	s_clause 0x1
	buffer_load_dword v67, v63, s[0:3], 0 offen offset:4
	buffer_load_dword v68, v63, s[0:3], 0 offen
	ds_read_b64 v[65:66], v62
	v_add_nc_u32_e32 v61, 1, v61
	v_add_nc_u32_e32 v62, 8, v62
	;; [unrolled: 1-line block ×3, first 2 shown]
	v_cmp_lt_u32_e32 vcc_lo, 8, v61
	s_or_b32 s5, vcc_lo, s5
	s_waitcnt vmcnt(1) lgkmcnt(0)
	v_mul_f32_e32 v69, v66, v67
	v_mul_f32_e32 v67, v65, v67
	s_waitcnt vmcnt(0)
	v_fma_f32 v65, v65, v68, -v69
	v_fmac_f32_e32 v67, v66, v68
	v_add_f32_e32 v64, v64, v65
	v_add_f32_e32 v58, v58, v67
	s_andn2_b32 exec_lo, exec_lo, s5
	s_cbranch_execnz .LBB27_53
; %bb.54:
	s_or_b32 exec_lo, exec_lo, s5
	v_mov_b32_e32 v61, 0
	ds_read_b64 v[61:62], v61 offset:80
	s_waitcnt lgkmcnt(0)
	v_mul_f32_e32 v63, v58, v62
	v_mul_f32_e32 v62, v64, v62
	v_fma_f32 v63, v64, v61, -v63
	v_fmac_f32_e32 v62, v58, v61
	buffer_store_dword v63, off, s[0:3], 0 offset:80
	buffer_store_dword v62, off, s[0:3], 0 offset:84
.LBB27_55:
	s_or_b32 exec_lo, exec_lo, s4
	s_waitcnt_vscnt null, 0x0
	s_barrier
	buffer_gl0_inv
	s_clause 0x1
	buffer_load_dword v61, off, s[0:3], 0 offset:88
	buffer_load_dword v62, off, s[0:3], 0 offset:92
	s_mov_b32 s4, exec_lo
	s_waitcnt vmcnt(0)
	ds_write_b64 v60, v[61:62]
	s_waitcnt lgkmcnt(0)
	s_barrier
	buffer_gl0_inv
	v_cmpx_gt_u32_e32 11, v0
	s_cbranch_execz .LBB27_59
; %bb.56:
	v_add_nc_u32_e32 v61, -1, v0
	v_add_nc_u32_e32 v62, 0xe0, v59
	v_mov_b32_e32 v63, v59
	v_mov_b32_e32 v58, 0
	;; [unrolled: 1-line block ×3, first 2 shown]
	s_mov_b32 s5, 0
	.p2align	6
.LBB27_57:                              ; =>This Inner Loop Header: Depth=1
	s_clause 0x1
	buffer_load_dword v67, v63, s[0:3], 0 offen offset:4
	buffer_load_dword v68, v63, s[0:3], 0 offen
	ds_read_b64 v[65:66], v62
	v_add_nc_u32_e32 v61, 1, v61
	v_add_nc_u32_e32 v62, 8, v62
	;; [unrolled: 1-line block ×3, first 2 shown]
	v_cmp_lt_u32_e32 vcc_lo, 9, v61
	s_or_b32 s5, vcc_lo, s5
	s_waitcnt vmcnt(1) lgkmcnt(0)
	v_mul_f32_e32 v69, v66, v67
	v_mul_f32_e32 v67, v65, v67
	s_waitcnt vmcnt(0)
	v_fma_f32 v65, v65, v68, -v69
	v_fmac_f32_e32 v67, v66, v68
	v_add_f32_e32 v64, v64, v65
	v_add_f32_e32 v58, v58, v67
	s_andn2_b32 exec_lo, exec_lo, s5
	s_cbranch_execnz .LBB27_57
; %bb.58:
	s_or_b32 exec_lo, exec_lo, s5
	v_mov_b32_e32 v61, 0
	ds_read_b64 v[61:62], v61 offset:88
	s_waitcnt lgkmcnt(0)
	v_mul_f32_e32 v63, v58, v62
	v_mul_f32_e32 v62, v64, v62
	v_fma_f32 v63, v64, v61, -v63
	v_fmac_f32_e32 v62, v58, v61
	buffer_store_dword v63, off, s[0:3], 0 offset:88
	buffer_store_dword v62, off, s[0:3], 0 offset:92
.LBB27_59:
	s_or_b32 exec_lo, exec_lo, s4
	s_waitcnt_vscnt null, 0x0
	s_barrier
	buffer_gl0_inv
	s_clause 0x1
	buffer_load_dword v61, off, s[0:3], 0 offset:96
	buffer_load_dword v62, off, s[0:3], 0 offset:100
	s_mov_b32 s4, exec_lo
	s_waitcnt vmcnt(0)
	ds_write_b64 v60, v[61:62]
	s_waitcnt lgkmcnt(0)
	s_barrier
	buffer_gl0_inv
	v_cmpx_gt_u32_e32 12, v0
	s_cbranch_execz .LBB27_63
; %bb.60:
	v_add_nc_u32_e32 v61, -1, v0
	v_add_nc_u32_e32 v62, 0xe0, v59
	v_mov_b32_e32 v63, v59
	v_mov_b32_e32 v58, 0
	;; [unrolled: 1-line block ×3, first 2 shown]
	s_mov_b32 s5, 0
	.p2align	6
.LBB27_61:                              ; =>This Inner Loop Header: Depth=1
	s_clause 0x1
	buffer_load_dword v67, v63, s[0:3], 0 offen offset:4
	buffer_load_dword v68, v63, s[0:3], 0 offen
	ds_read_b64 v[65:66], v62
	v_add_nc_u32_e32 v61, 1, v61
	v_add_nc_u32_e32 v62, 8, v62
	;; [unrolled: 1-line block ×3, first 2 shown]
	v_cmp_lt_u32_e32 vcc_lo, 10, v61
	s_or_b32 s5, vcc_lo, s5
	s_waitcnt vmcnt(1) lgkmcnt(0)
	v_mul_f32_e32 v69, v66, v67
	v_mul_f32_e32 v67, v65, v67
	s_waitcnt vmcnt(0)
	v_fma_f32 v65, v65, v68, -v69
	v_fmac_f32_e32 v67, v66, v68
	v_add_f32_e32 v64, v64, v65
	v_add_f32_e32 v58, v58, v67
	s_andn2_b32 exec_lo, exec_lo, s5
	s_cbranch_execnz .LBB27_61
; %bb.62:
	s_or_b32 exec_lo, exec_lo, s5
	v_mov_b32_e32 v61, 0
	ds_read_b64 v[61:62], v61 offset:96
	s_waitcnt lgkmcnt(0)
	v_mul_f32_e32 v63, v58, v62
	v_mul_f32_e32 v62, v64, v62
	v_fma_f32 v63, v64, v61, -v63
	v_fmac_f32_e32 v62, v58, v61
	buffer_store_dword v63, off, s[0:3], 0 offset:96
	buffer_store_dword v62, off, s[0:3], 0 offset:100
.LBB27_63:
	s_or_b32 exec_lo, exec_lo, s4
	s_waitcnt_vscnt null, 0x0
	s_barrier
	buffer_gl0_inv
	s_clause 0x1
	buffer_load_dword v61, off, s[0:3], 0 offset:104
	buffer_load_dword v62, off, s[0:3], 0 offset:108
	s_mov_b32 s4, exec_lo
	s_waitcnt vmcnt(0)
	ds_write_b64 v60, v[61:62]
	s_waitcnt lgkmcnt(0)
	s_barrier
	buffer_gl0_inv
	v_cmpx_gt_u32_e32 13, v0
	s_cbranch_execz .LBB27_67
; %bb.64:
	v_add_nc_u32_e32 v61, -1, v0
	v_add_nc_u32_e32 v62, 0xe0, v59
	v_mov_b32_e32 v63, v59
	v_mov_b32_e32 v58, 0
	v_mov_b32_e32 v64, 0
	s_mov_b32 s5, 0
	.p2align	6
.LBB27_65:                              ; =>This Inner Loop Header: Depth=1
	s_clause 0x1
	buffer_load_dword v67, v63, s[0:3], 0 offen offset:4
	buffer_load_dword v68, v63, s[0:3], 0 offen
	ds_read_b64 v[65:66], v62
	v_add_nc_u32_e32 v61, 1, v61
	v_add_nc_u32_e32 v62, 8, v62
	;; [unrolled: 1-line block ×3, first 2 shown]
	v_cmp_lt_u32_e32 vcc_lo, 11, v61
	s_or_b32 s5, vcc_lo, s5
	s_waitcnt vmcnt(1) lgkmcnt(0)
	v_mul_f32_e32 v69, v66, v67
	v_mul_f32_e32 v67, v65, v67
	s_waitcnt vmcnt(0)
	v_fma_f32 v65, v65, v68, -v69
	v_fmac_f32_e32 v67, v66, v68
	v_add_f32_e32 v64, v64, v65
	v_add_f32_e32 v58, v58, v67
	s_andn2_b32 exec_lo, exec_lo, s5
	s_cbranch_execnz .LBB27_65
; %bb.66:
	s_or_b32 exec_lo, exec_lo, s5
	v_mov_b32_e32 v61, 0
	ds_read_b64 v[61:62], v61 offset:104
	s_waitcnt lgkmcnt(0)
	v_mul_f32_e32 v63, v58, v62
	v_mul_f32_e32 v62, v64, v62
	v_fma_f32 v63, v64, v61, -v63
	v_fmac_f32_e32 v62, v58, v61
	buffer_store_dword v63, off, s[0:3], 0 offset:104
	buffer_store_dword v62, off, s[0:3], 0 offset:108
.LBB27_67:
	s_or_b32 exec_lo, exec_lo, s4
	s_waitcnt_vscnt null, 0x0
	s_barrier
	buffer_gl0_inv
	s_clause 0x1
	buffer_load_dword v61, off, s[0:3], 0 offset:112
	buffer_load_dword v62, off, s[0:3], 0 offset:116
	s_mov_b32 s4, exec_lo
	s_waitcnt vmcnt(0)
	ds_write_b64 v60, v[61:62]
	s_waitcnt lgkmcnt(0)
	s_barrier
	buffer_gl0_inv
	v_cmpx_gt_u32_e32 14, v0
	s_cbranch_execz .LBB27_71
; %bb.68:
	v_add_nc_u32_e32 v61, -1, v0
	v_add_nc_u32_e32 v62, 0xe0, v59
	v_mov_b32_e32 v63, v59
	v_mov_b32_e32 v58, 0
	;; [unrolled: 1-line block ×3, first 2 shown]
	s_mov_b32 s5, 0
	.p2align	6
.LBB27_69:                              ; =>This Inner Loop Header: Depth=1
	s_clause 0x1
	buffer_load_dword v67, v63, s[0:3], 0 offen offset:4
	buffer_load_dword v68, v63, s[0:3], 0 offen
	ds_read_b64 v[65:66], v62
	v_add_nc_u32_e32 v61, 1, v61
	v_add_nc_u32_e32 v62, 8, v62
	;; [unrolled: 1-line block ×3, first 2 shown]
	v_cmp_lt_u32_e32 vcc_lo, 12, v61
	s_or_b32 s5, vcc_lo, s5
	s_waitcnt vmcnt(1) lgkmcnt(0)
	v_mul_f32_e32 v69, v66, v67
	v_mul_f32_e32 v67, v65, v67
	s_waitcnt vmcnt(0)
	v_fma_f32 v65, v65, v68, -v69
	v_fmac_f32_e32 v67, v66, v68
	v_add_f32_e32 v64, v64, v65
	v_add_f32_e32 v58, v58, v67
	s_andn2_b32 exec_lo, exec_lo, s5
	s_cbranch_execnz .LBB27_69
; %bb.70:
	s_or_b32 exec_lo, exec_lo, s5
	v_mov_b32_e32 v61, 0
	ds_read_b64 v[61:62], v61 offset:112
	s_waitcnt lgkmcnt(0)
	v_mul_f32_e32 v63, v58, v62
	v_mul_f32_e32 v62, v64, v62
	v_fma_f32 v63, v64, v61, -v63
	v_fmac_f32_e32 v62, v58, v61
	buffer_store_dword v63, off, s[0:3], 0 offset:112
	buffer_store_dword v62, off, s[0:3], 0 offset:116
.LBB27_71:
	s_or_b32 exec_lo, exec_lo, s4
	s_waitcnt_vscnt null, 0x0
	s_barrier
	buffer_gl0_inv
	s_clause 0x1
	buffer_load_dword v61, off, s[0:3], 0 offset:120
	buffer_load_dword v62, off, s[0:3], 0 offset:124
	s_mov_b32 s4, exec_lo
	s_waitcnt vmcnt(0)
	ds_write_b64 v60, v[61:62]
	s_waitcnt lgkmcnt(0)
	s_barrier
	buffer_gl0_inv
	v_cmpx_gt_u32_e32 15, v0
	s_cbranch_execz .LBB27_75
; %bb.72:
	v_add_nc_u32_e32 v61, -1, v0
	v_add_nc_u32_e32 v62, 0xe0, v59
	v_mov_b32_e32 v63, v59
	v_mov_b32_e32 v58, 0
	;; [unrolled: 1-line block ×3, first 2 shown]
	s_mov_b32 s5, 0
	.p2align	6
.LBB27_73:                              ; =>This Inner Loop Header: Depth=1
	s_clause 0x1
	buffer_load_dword v67, v63, s[0:3], 0 offen offset:4
	buffer_load_dword v68, v63, s[0:3], 0 offen
	ds_read_b64 v[65:66], v62
	v_add_nc_u32_e32 v61, 1, v61
	v_add_nc_u32_e32 v62, 8, v62
	;; [unrolled: 1-line block ×3, first 2 shown]
	v_cmp_lt_u32_e32 vcc_lo, 13, v61
	s_or_b32 s5, vcc_lo, s5
	s_waitcnt vmcnt(1) lgkmcnt(0)
	v_mul_f32_e32 v69, v66, v67
	v_mul_f32_e32 v67, v65, v67
	s_waitcnt vmcnt(0)
	v_fma_f32 v65, v65, v68, -v69
	v_fmac_f32_e32 v67, v66, v68
	v_add_f32_e32 v64, v64, v65
	v_add_f32_e32 v58, v58, v67
	s_andn2_b32 exec_lo, exec_lo, s5
	s_cbranch_execnz .LBB27_73
; %bb.74:
	s_or_b32 exec_lo, exec_lo, s5
	v_mov_b32_e32 v61, 0
	ds_read_b64 v[61:62], v61 offset:120
	s_waitcnt lgkmcnt(0)
	v_mul_f32_e32 v63, v58, v62
	v_mul_f32_e32 v62, v64, v62
	v_fma_f32 v63, v64, v61, -v63
	v_fmac_f32_e32 v62, v58, v61
	buffer_store_dword v63, off, s[0:3], 0 offset:120
	buffer_store_dword v62, off, s[0:3], 0 offset:124
.LBB27_75:
	s_or_b32 exec_lo, exec_lo, s4
	s_waitcnt_vscnt null, 0x0
	s_barrier
	buffer_gl0_inv
	s_clause 0x1
	buffer_load_dword v61, off, s[0:3], 0 offset:128
	buffer_load_dword v62, off, s[0:3], 0 offset:132
	s_mov_b32 s4, exec_lo
	s_waitcnt vmcnt(0)
	ds_write_b64 v60, v[61:62]
	s_waitcnt lgkmcnt(0)
	s_barrier
	buffer_gl0_inv
	v_cmpx_gt_u32_e32 16, v0
	s_cbranch_execz .LBB27_79
; %bb.76:
	v_add_nc_u32_e32 v61, -1, v0
	v_add_nc_u32_e32 v62, 0xe0, v59
	v_mov_b32_e32 v63, v59
	v_mov_b32_e32 v58, 0
	;; [unrolled: 1-line block ×3, first 2 shown]
	s_mov_b32 s5, 0
	.p2align	6
.LBB27_77:                              ; =>This Inner Loop Header: Depth=1
	s_clause 0x1
	buffer_load_dword v67, v63, s[0:3], 0 offen offset:4
	buffer_load_dword v68, v63, s[0:3], 0 offen
	ds_read_b64 v[65:66], v62
	v_add_nc_u32_e32 v61, 1, v61
	v_add_nc_u32_e32 v62, 8, v62
	;; [unrolled: 1-line block ×3, first 2 shown]
	v_cmp_lt_u32_e32 vcc_lo, 14, v61
	s_or_b32 s5, vcc_lo, s5
	s_waitcnt vmcnt(1) lgkmcnt(0)
	v_mul_f32_e32 v69, v66, v67
	v_mul_f32_e32 v67, v65, v67
	s_waitcnt vmcnt(0)
	v_fma_f32 v65, v65, v68, -v69
	v_fmac_f32_e32 v67, v66, v68
	v_add_f32_e32 v64, v64, v65
	v_add_f32_e32 v58, v58, v67
	s_andn2_b32 exec_lo, exec_lo, s5
	s_cbranch_execnz .LBB27_77
; %bb.78:
	s_or_b32 exec_lo, exec_lo, s5
	v_mov_b32_e32 v61, 0
	ds_read_b64 v[61:62], v61 offset:128
	s_waitcnt lgkmcnt(0)
	v_mul_f32_e32 v63, v58, v62
	v_mul_f32_e32 v62, v64, v62
	v_fma_f32 v63, v64, v61, -v63
	v_fmac_f32_e32 v62, v58, v61
	buffer_store_dword v63, off, s[0:3], 0 offset:128
	buffer_store_dword v62, off, s[0:3], 0 offset:132
.LBB27_79:
	s_or_b32 exec_lo, exec_lo, s4
	s_waitcnt_vscnt null, 0x0
	s_barrier
	buffer_gl0_inv
	s_clause 0x1
	buffer_load_dword v61, off, s[0:3], 0 offset:136
	buffer_load_dword v62, off, s[0:3], 0 offset:140
	s_mov_b32 s4, exec_lo
	s_waitcnt vmcnt(0)
	ds_write_b64 v60, v[61:62]
	s_waitcnt lgkmcnt(0)
	s_barrier
	buffer_gl0_inv
	v_cmpx_gt_u32_e32 17, v0
	s_cbranch_execz .LBB27_83
; %bb.80:
	v_add_nc_u32_e32 v61, -1, v0
	v_add_nc_u32_e32 v62, 0xe0, v59
	v_mov_b32_e32 v63, v59
	v_mov_b32_e32 v58, 0
	;; [unrolled: 1-line block ×3, first 2 shown]
	s_mov_b32 s5, 0
	.p2align	6
.LBB27_81:                              ; =>This Inner Loop Header: Depth=1
	s_clause 0x1
	buffer_load_dword v67, v63, s[0:3], 0 offen offset:4
	buffer_load_dword v68, v63, s[0:3], 0 offen
	ds_read_b64 v[65:66], v62
	v_add_nc_u32_e32 v61, 1, v61
	v_add_nc_u32_e32 v62, 8, v62
	;; [unrolled: 1-line block ×3, first 2 shown]
	v_cmp_lt_u32_e32 vcc_lo, 15, v61
	s_or_b32 s5, vcc_lo, s5
	s_waitcnt vmcnt(1) lgkmcnt(0)
	v_mul_f32_e32 v69, v66, v67
	v_mul_f32_e32 v67, v65, v67
	s_waitcnt vmcnt(0)
	v_fma_f32 v65, v65, v68, -v69
	v_fmac_f32_e32 v67, v66, v68
	v_add_f32_e32 v64, v64, v65
	v_add_f32_e32 v58, v58, v67
	s_andn2_b32 exec_lo, exec_lo, s5
	s_cbranch_execnz .LBB27_81
; %bb.82:
	s_or_b32 exec_lo, exec_lo, s5
	v_mov_b32_e32 v61, 0
	ds_read_b64 v[61:62], v61 offset:136
	s_waitcnt lgkmcnt(0)
	v_mul_f32_e32 v63, v58, v62
	v_mul_f32_e32 v62, v64, v62
	v_fma_f32 v63, v64, v61, -v63
	v_fmac_f32_e32 v62, v58, v61
	buffer_store_dword v63, off, s[0:3], 0 offset:136
	buffer_store_dword v62, off, s[0:3], 0 offset:140
.LBB27_83:
	s_or_b32 exec_lo, exec_lo, s4
	s_waitcnt_vscnt null, 0x0
	s_barrier
	buffer_gl0_inv
	s_clause 0x1
	buffer_load_dword v61, off, s[0:3], 0 offset:144
	buffer_load_dword v62, off, s[0:3], 0 offset:148
	s_mov_b32 s4, exec_lo
	s_waitcnt vmcnt(0)
	ds_write_b64 v60, v[61:62]
	s_waitcnt lgkmcnt(0)
	s_barrier
	buffer_gl0_inv
	v_cmpx_gt_u32_e32 18, v0
	s_cbranch_execz .LBB27_87
; %bb.84:
	v_add_nc_u32_e32 v61, -1, v0
	v_add_nc_u32_e32 v62, 0xe0, v59
	v_mov_b32_e32 v63, v59
	v_mov_b32_e32 v58, 0
	;; [unrolled: 1-line block ×3, first 2 shown]
	s_mov_b32 s5, 0
	.p2align	6
.LBB27_85:                              ; =>This Inner Loop Header: Depth=1
	s_clause 0x1
	buffer_load_dword v67, v63, s[0:3], 0 offen offset:4
	buffer_load_dword v68, v63, s[0:3], 0 offen
	ds_read_b64 v[65:66], v62
	v_add_nc_u32_e32 v61, 1, v61
	v_add_nc_u32_e32 v62, 8, v62
	;; [unrolled: 1-line block ×3, first 2 shown]
	v_cmp_lt_u32_e32 vcc_lo, 16, v61
	s_or_b32 s5, vcc_lo, s5
	s_waitcnt vmcnt(1) lgkmcnt(0)
	v_mul_f32_e32 v69, v66, v67
	v_mul_f32_e32 v67, v65, v67
	s_waitcnt vmcnt(0)
	v_fma_f32 v65, v65, v68, -v69
	v_fmac_f32_e32 v67, v66, v68
	v_add_f32_e32 v64, v64, v65
	v_add_f32_e32 v58, v58, v67
	s_andn2_b32 exec_lo, exec_lo, s5
	s_cbranch_execnz .LBB27_85
; %bb.86:
	s_or_b32 exec_lo, exec_lo, s5
	v_mov_b32_e32 v61, 0
	ds_read_b64 v[61:62], v61 offset:144
	s_waitcnt lgkmcnt(0)
	v_mul_f32_e32 v63, v58, v62
	v_mul_f32_e32 v62, v64, v62
	v_fma_f32 v63, v64, v61, -v63
	v_fmac_f32_e32 v62, v58, v61
	buffer_store_dword v63, off, s[0:3], 0 offset:144
	buffer_store_dword v62, off, s[0:3], 0 offset:148
.LBB27_87:
	s_or_b32 exec_lo, exec_lo, s4
	s_waitcnt_vscnt null, 0x0
	s_barrier
	buffer_gl0_inv
	s_clause 0x1
	buffer_load_dword v61, off, s[0:3], 0 offset:152
	buffer_load_dword v62, off, s[0:3], 0 offset:156
	s_mov_b32 s4, exec_lo
	s_waitcnt vmcnt(0)
	ds_write_b64 v60, v[61:62]
	s_waitcnt lgkmcnt(0)
	s_barrier
	buffer_gl0_inv
	v_cmpx_gt_u32_e32 19, v0
	s_cbranch_execz .LBB27_91
; %bb.88:
	v_add_nc_u32_e32 v61, -1, v0
	v_add_nc_u32_e32 v62, 0xe0, v59
	v_mov_b32_e32 v63, v59
	v_mov_b32_e32 v58, 0
	v_mov_b32_e32 v64, 0
	s_mov_b32 s5, 0
	.p2align	6
.LBB27_89:                              ; =>This Inner Loop Header: Depth=1
	s_clause 0x1
	buffer_load_dword v67, v63, s[0:3], 0 offen offset:4
	buffer_load_dword v68, v63, s[0:3], 0 offen
	ds_read_b64 v[65:66], v62
	v_add_nc_u32_e32 v61, 1, v61
	v_add_nc_u32_e32 v62, 8, v62
	;; [unrolled: 1-line block ×3, first 2 shown]
	v_cmp_lt_u32_e32 vcc_lo, 17, v61
	s_or_b32 s5, vcc_lo, s5
	s_waitcnt vmcnt(1) lgkmcnt(0)
	v_mul_f32_e32 v69, v66, v67
	v_mul_f32_e32 v67, v65, v67
	s_waitcnt vmcnt(0)
	v_fma_f32 v65, v65, v68, -v69
	v_fmac_f32_e32 v67, v66, v68
	v_add_f32_e32 v64, v64, v65
	v_add_f32_e32 v58, v58, v67
	s_andn2_b32 exec_lo, exec_lo, s5
	s_cbranch_execnz .LBB27_89
; %bb.90:
	s_or_b32 exec_lo, exec_lo, s5
	v_mov_b32_e32 v61, 0
	ds_read_b64 v[61:62], v61 offset:152
	s_waitcnt lgkmcnt(0)
	v_mul_f32_e32 v63, v58, v62
	v_mul_f32_e32 v62, v64, v62
	v_fma_f32 v63, v64, v61, -v63
	v_fmac_f32_e32 v62, v58, v61
	buffer_store_dword v63, off, s[0:3], 0 offset:152
	buffer_store_dword v62, off, s[0:3], 0 offset:156
.LBB27_91:
	s_or_b32 exec_lo, exec_lo, s4
	s_waitcnt_vscnt null, 0x0
	s_barrier
	buffer_gl0_inv
	s_clause 0x1
	buffer_load_dword v61, off, s[0:3], 0 offset:160
	buffer_load_dword v62, off, s[0:3], 0 offset:164
	s_mov_b32 s4, exec_lo
	s_waitcnt vmcnt(0)
	ds_write_b64 v60, v[61:62]
	s_waitcnt lgkmcnt(0)
	s_barrier
	buffer_gl0_inv
	v_cmpx_gt_u32_e32 20, v0
	s_cbranch_execz .LBB27_95
; %bb.92:
	v_add_nc_u32_e32 v61, -1, v0
	v_add_nc_u32_e32 v62, 0xe0, v59
	v_mov_b32_e32 v63, v59
	v_mov_b32_e32 v58, 0
	;; [unrolled: 1-line block ×3, first 2 shown]
	s_mov_b32 s5, 0
	.p2align	6
.LBB27_93:                              ; =>This Inner Loop Header: Depth=1
	s_clause 0x1
	buffer_load_dword v67, v63, s[0:3], 0 offen offset:4
	buffer_load_dword v68, v63, s[0:3], 0 offen
	ds_read_b64 v[65:66], v62
	v_add_nc_u32_e32 v61, 1, v61
	v_add_nc_u32_e32 v62, 8, v62
	;; [unrolled: 1-line block ×3, first 2 shown]
	v_cmp_lt_u32_e32 vcc_lo, 18, v61
	s_or_b32 s5, vcc_lo, s5
	s_waitcnt vmcnt(1) lgkmcnt(0)
	v_mul_f32_e32 v69, v66, v67
	v_mul_f32_e32 v67, v65, v67
	s_waitcnt vmcnt(0)
	v_fma_f32 v65, v65, v68, -v69
	v_fmac_f32_e32 v67, v66, v68
	v_add_f32_e32 v64, v64, v65
	v_add_f32_e32 v58, v58, v67
	s_andn2_b32 exec_lo, exec_lo, s5
	s_cbranch_execnz .LBB27_93
; %bb.94:
	s_or_b32 exec_lo, exec_lo, s5
	v_mov_b32_e32 v61, 0
	ds_read_b64 v[61:62], v61 offset:160
	s_waitcnt lgkmcnt(0)
	v_mul_f32_e32 v63, v58, v62
	v_mul_f32_e32 v62, v64, v62
	v_fma_f32 v63, v64, v61, -v63
	v_fmac_f32_e32 v62, v58, v61
	buffer_store_dword v63, off, s[0:3], 0 offset:160
	buffer_store_dword v62, off, s[0:3], 0 offset:164
.LBB27_95:
	s_or_b32 exec_lo, exec_lo, s4
	s_waitcnt_vscnt null, 0x0
	s_barrier
	buffer_gl0_inv
	s_clause 0x1
	buffer_load_dword v61, off, s[0:3], 0 offset:168
	buffer_load_dword v62, off, s[0:3], 0 offset:172
	s_mov_b32 s4, exec_lo
	s_waitcnt vmcnt(0)
	ds_write_b64 v60, v[61:62]
	s_waitcnt lgkmcnt(0)
	s_barrier
	buffer_gl0_inv
	v_cmpx_gt_u32_e32 21, v0
	s_cbranch_execz .LBB27_99
; %bb.96:
	v_add_nc_u32_e32 v61, -1, v0
	v_add_nc_u32_e32 v62, 0xe0, v59
	v_mov_b32_e32 v63, v59
	v_mov_b32_e32 v58, 0
	;; [unrolled: 1-line block ×3, first 2 shown]
	s_mov_b32 s5, 0
	.p2align	6
.LBB27_97:                              ; =>This Inner Loop Header: Depth=1
	s_clause 0x1
	buffer_load_dword v67, v63, s[0:3], 0 offen offset:4
	buffer_load_dword v68, v63, s[0:3], 0 offen
	ds_read_b64 v[65:66], v62
	v_add_nc_u32_e32 v61, 1, v61
	v_add_nc_u32_e32 v62, 8, v62
	;; [unrolled: 1-line block ×3, first 2 shown]
	v_cmp_lt_u32_e32 vcc_lo, 19, v61
	s_or_b32 s5, vcc_lo, s5
	s_waitcnt vmcnt(1) lgkmcnt(0)
	v_mul_f32_e32 v69, v66, v67
	v_mul_f32_e32 v67, v65, v67
	s_waitcnt vmcnt(0)
	v_fma_f32 v65, v65, v68, -v69
	v_fmac_f32_e32 v67, v66, v68
	v_add_f32_e32 v64, v64, v65
	v_add_f32_e32 v58, v58, v67
	s_andn2_b32 exec_lo, exec_lo, s5
	s_cbranch_execnz .LBB27_97
; %bb.98:
	s_or_b32 exec_lo, exec_lo, s5
	v_mov_b32_e32 v61, 0
	ds_read_b64 v[61:62], v61 offset:168
	s_waitcnt lgkmcnt(0)
	v_mul_f32_e32 v63, v58, v62
	v_mul_f32_e32 v62, v64, v62
	v_fma_f32 v63, v64, v61, -v63
	v_fmac_f32_e32 v62, v58, v61
	buffer_store_dword v63, off, s[0:3], 0 offset:168
	buffer_store_dword v62, off, s[0:3], 0 offset:172
.LBB27_99:
	s_or_b32 exec_lo, exec_lo, s4
	s_waitcnt_vscnt null, 0x0
	s_barrier
	buffer_gl0_inv
	s_clause 0x1
	buffer_load_dword v61, off, s[0:3], 0 offset:176
	buffer_load_dword v62, off, s[0:3], 0 offset:180
	s_mov_b32 s4, exec_lo
	s_waitcnt vmcnt(0)
	ds_write_b64 v60, v[61:62]
	s_waitcnt lgkmcnt(0)
	s_barrier
	buffer_gl0_inv
	v_cmpx_gt_u32_e32 22, v0
	s_cbranch_execz .LBB27_103
; %bb.100:
	v_add_nc_u32_e32 v61, -1, v0
	v_add_nc_u32_e32 v62, 0xe0, v59
	v_mov_b32_e32 v63, v59
	v_mov_b32_e32 v58, 0
	;; [unrolled: 1-line block ×3, first 2 shown]
	s_mov_b32 s5, 0
	.p2align	6
.LBB27_101:                             ; =>This Inner Loop Header: Depth=1
	s_clause 0x1
	buffer_load_dword v67, v63, s[0:3], 0 offen offset:4
	buffer_load_dword v68, v63, s[0:3], 0 offen
	ds_read_b64 v[65:66], v62
	v_add_nc_u32_e32 v61, 1, v61
	v_add_nc_u32_e32 v62, 8, v62
	v_add_nc_u32_e32 v63, 8, v63
	v_cmp_lt_u32_e32 vcc_lo, 20, v61
	s_or_b32 s5, vcc_lo, s5
	s_waitcnt vmcnt(1) lgkmcnt(0)
	v_mul_f32_e32 v69, v66, v67
	v_mul_f32_e32 v67, v65, v67
	s_waitcnt vmcnt(0)
	v_fma_f32 v65, v65, v68, -v69
	v_fmac_f32_e32 v67, v66, v68
	v_add_f32_e32 v64, v64, v65
	v_add_f32_e32 v58, v58, v67
	s_andn2_b32 exec_lo, exec_lo, s5
	s_cbranch_execnz .LBB27_101
; %bb.102:
	s_or_b32 exec_lo, exec_lo, s5
	v_mov_b32_e32 v61, 0
	ds_read_b64 v[61:62], v61 offset:176
	s_waitcnt lgkmcnt(0)
	v_mul_f32_e32 v63, v58, v62
	v_mul_f32_e32 v62, v64, v62
	v_fma_f32 v63, v64, v61, -v63
	v_fmac_f32_e32 v62, v58, v61
	buffer_store_dword v63, off, s[0:3], 0 offset:176
	buffer_store_dword v62, off, s[0:3], 0 offset:180
.LBB27_103:
	s_or_b32 exec_lo, exec_lo, s4
	s_waitcnt_vscnt null, 0x0
	s_barrier
	buffer_gl0_inv
	s_clause 0x1
	buffer_load_dword v61, off, s[0:3], 0 offset:184
	buffer_load_dword v62, off, s[0:3], 0 offset:188
	s_mov_b32 s4, exec_lo
	s_waitcnt vmcnt(0)
	ds_write_b64 v60, v[61:62]
	s_waitcnt lgkmcnt(0)
	s_barrier
	buffer_gl0_inv
	v_cmpx_gt_u32_e32 23, v0
	s_cbranch_execz .LBB27_107
; %bb.104:
	v_add_nc_u32_e32 v61, -1, v0
	v_add_nc_u32_e32 v62, 0xe0, v59
	v_mov_b32_e32 v63, v59
	v_mov_b32_e32 v58, 0
	;; [unrolled: 1-line block ×3, first 2 shown]
	s_mov_b32 s5, 0
	.p2align	6
.LBB27_105:                             ; =>This Inner Loop Header: Depth=1
	s_clause 0x1
	buffer_load_dword v67, v63, s[0:3], 0 offen offset:4
	buffer_load_dword v68, v63, s[0:3], 0 offen
	ds_read_b64 v[65:66], v62
	v_add_nc_u32_e32 v61, 1, v61
	v_add_nc_u32_e32 v62, 8, v62
	;; [unrolled: 1-line block ×3, first 2 shown]
	v_cmp_lt_u32_e32 vcc_lo, 21, v61
	s_or_b32 s5, vcc_lo, s5
	s_waitcnt vmcnt(1) lgkmcnt(0)
	v_mul_f32_e32 v69, v66, v67
	v_mul_f32_e32 v67, v65, v67
	s_waitcnt vmcnt(0)
	v_fma_f32 v65, v65, v68, -v69
	v_fmac_f32_e32 v67, v66, v68
	v_add_f32_e32 v64, v64, v65
	v_add_f32_e32 v58, v58, v67
	s_andn2_b32 exec_lo, exec_lo, s5
	s_cbranch_execnz .LBB27_105
; %bb.106:
	s_or_b32 exec_lo, exec_lo, s5
	v_mov_b32_e32 v61, 0
	ds_read_b64 v[61:62], v61 offset:184
	s_waitcnt lgkmcnt(0)
	v_mul_f32_e32 v63, v58, v62
	v_mul_f32_e32 v62, v64, v62
	v_fma_f32 v63, v64, v61, -v63
	v_fmac_f32_e32 v62, v58, v61
	buffer_store_dword v63, off, s[0:3], 0 offset:184
	buffer_store_dword v62, off, s[0:3], 0 offset:188
.LBB27_107:
	s_or_b32 exec_lo, exec_lo, s4
	s_waitcnt_vscnt null, 0x0
	s_barrier
	buffer_gl0_inv
	s_clause 0x1
	buffer_load_dword v61, off, s[0:3], 0 offset:192
	buffer_load_dword v62, off, s[0:3], 0 offset:196
	s_mov_b32 s4, exec_lo
	s_waitcnt vmcnt(0)
	ds_write_b64 v60, v[61:62]
	s_waitcnt lgkmcnt(0)
	s_barrier
	buffer_gl0_inv
	v_cmpx_gt_u32_e32 24, v0
	s_cbranch_execz .LBB27_111
; %bb.108:
	v_add_nc_u32_e32 v61, -1, v0
	v_add_nc_u32_e32 v62, 0xe0, v59
	v_mov_b32_e32 v63, v59
	v_mov_b32_e32 v58, 0
	;; [unrolled: 1-line block ×3, first 2 shown]
	s_mov_b32 s5, 0
	.p2align	6
.LBB27_109:                             ; =>This Inner Loop Header: Depth=1
	s_clause 0x1
	buffer_load_dword v67, v63, s[0:3], 0 offen offset:4
	buffer_load_dword v68, v63, s[0:3], 0 offen
	ds_read_b64 v[65:66], v62
	v_add_nc_u32_e32 v61, 1, v61
	v_add_nc_u32_e32 v62, 8, v62
	;; [unrolled: 1-line block ×3, first 2 shown]
	v_cmp_lt_u32_e32 vcc_lo, 22, v61
	s_or_b32 s5, vcc_lo, s5
	s_waitcnt vmcnt(1) lgkmcnt(0)
	v_mul_f32_e32 v69, v66, v67
	v_mul_f32_e32 v67, v65, v67
	s_waitcnt vmcnt(0)
	v_fma_f32 v65, v65, v68, -v69
	v_fmac_f32_e32 v67, v66, v68
	v_add_f32_e32 v64, v64, v65
	v_add_f32_e32 v58, v58, v67
	s_andn2_b32 exec_lo, exec_lo, s5
	s_cbranch_execnz .LBB27_109
; %bb.110:
	s_or_b32 exec_lo, exec_lo, s5
	v_mov_b32_e32 v61, 0
	ds_read_b64 v[61:62], v61 offset:192
	s_waitcnt lgkmcnt(0)
	v_mul_f32_e32 v63, v58, v62
	v_mul_f32_e32 v62, v64, v62
	v_fma_f32 v63, v64, v61, -v63
	v_fmac_f32_e32 v62, v58, v61
	buffer_store_dword v63, off, s[0:3], 0 offset:192
	buffer_store_dword v62, off, s[0:3], 0 offset:196
.LBB27_111:
	s_or_b32 exec_lo, exec_lo, s4
	s_waitcnt_vscnt null, 0x0
	s_barrier
	buffer_gl0_inv
	s_clause 0x1
	buffer_load_dword v61, off, s[0:3], 0 offset:200
	buffer_load_dword v62, off, s[0:3], 0 offset:204
	s_mov_b32 s4, exec_lo
	s_waitcnt vmcnt(0)
	ds_write_b64 v60, v[61:62]
	s_waitcnt lgkmcnt(0)
	s_barrier
	buffer_gl0_inv
	v_cmpx_gt_u32_e32 25, v0
	s_cbranch_execz .LBB27_115
; %bb.112:
	v_add_nc_u32_e32 v61, -1, v0
	v_add_nc_u32_e32 v62, 0xe0, v59
	v_mov_b32_e32 v63, v59
	v_mov_b32_e32 v58, 0
	;; [unrolled: 1-line block ×3, first 2 shown]
	s_mov_b32 s5, 0
	.p2align	6
.LBB27_113:                             ; =>This Inner Loop Header: Depth=1
	s_clause 0x1
	buffer_load_dword v67, v63, s[0:3], 0 offen offset:4
	buffer_load_dword v68, v63, s[0:3], 0 offen
	ds_read_b64 v[65:66], v62
	v_add_nc_u32_e32 v61, 1, v61
	v_add_nc_u32_e32 v62, 8, v62
	v_add_nc_u32_e32 v63, 8, v63
	v_cmp_lt_u32_e32 vcc_lo, 23, v61
	s_or_b32 s5, vcc_lo, s5
	s_waitcnt vmcnt(1) lgkmcnt(0)
	v_mul_f32_e32 v69, v66, v67
	v_mul_f32_e32 v67, v65, v67
	s_waitcnt vmcnt(0)
	v_fma_f32 v65, v65, v68, -v69
	v_fmac_f32_e32 v67, v66, v68
	v_add_f32_e32 v64, v64, v65
	v_add_f32_e32 v58, v58, v67
	s_andn2_b32 exec_lo, exec_lo, s5
	s_cbranch_execnz .LBB27_113
; %bb.114:
	s_or_b32 exec_lo, exec_lo, s5
	v_mov_b32_e32 v61, 0
	ds_read_b64 v[61:62], v61 offset:200
	s_waitcnt lgkmcnt(0)
	v_mul_f32_e32 v63, v58, v62
	v_mul_f32_e32 v62, v64, v62
	v_fma_f32 v63, v64, v61, -v63
	v_fmac_f32_e32 v62, v58, v61
	buffer_store_dword v63, off, s[0:3], 0 offset:200
	buffer_store_dword v62, off, s[0:3], 0 offset:204
.LBB27_115:
	s_or_b32 exec_lo, exec_lo, s4
	s_waitcnt_vscnt null, 0x0
	s_barrier
	buffer_gl0_inv
	s_clause 0x1
	buffer_load_dword v61, off, s[0:3], 0 offset:208
	buffer_load_dword v62, off, s[0:3], 0 offset:212
	s_mov_b32 s4, exec_lo
	s_waitcnt vmcnt(0)
	ds_write_b64 v60, v[61:62]
	s_waitcnt lgkmcnt(0)
	s_barrier
	buffer_gl0_inv
	v_cmpx_gt_u32_e32 26, v0
	s_cbranch_execz .LBB27_119
; %bb.116:
	v_add_nc_u32_e32 v61, -1, v0
	v_add_nc_u32_e32 v62, 0xe0, v59
	v_mov_b32_e32 v63, v59
	v_mov_b32_e32 v58, 0
	;; [unrolled: 1-line block ×3, first 2 shown]
	s_mov_b32 s5, 0
	.p2align	6
.LBB27_117:                             ; =>This Inner Loop Header: Depth=1
	s_clause 0x1
	buffer_load_dword v67, v63, s[0:3], 0 offen offset:4
	buffer_load_dword v68, v63, s[0:3], 0 offen
	ds_read_b64 v[65:66], v62
	v_add_nc_u32_e32 v61, 1, v61
	v_add_nc_u32_e32 v62, 8, v62
	;; [unrolled: 1-line block ×3, first 2 shown]
	v_cmp_lt_u32_e32 vcc_lo, 24, v61
	s_or_b32 s5, vcc_lo, s5
	s_waitcnt vmcnt(1) lgkmcnt(0)
	v_mul_f32_e32 v69, v66, v67
	v_mul_f32_e32 v67, v65, v67
	s_waitcnt vmcnt(0)
	v_fma_f32 v65, v65, v68, -v69
	v_fmac_f32_e32 v67, v66, v68
	v_add_f32_e32 v64, v64, v65
	v_add_f32_e32 v58, v58, v67
	s_andn2_b32 exec_lo, exec_lo, s5
	s_cbranch_execnz .LBB27_117
; %bb.118:
	s_or_b32 exec_lo, exec_lo, s5
	v_mov_b32_e32 v61, 0
	ds_read_b64 v[61:62], v61 offset:208
	s_waitcnt lgkmcnt(0)
	v_mul_f32_e32 v63, v58, v62
	v_mul_f32_e32 v62, v64, v62
	v_fma_f32 v63, v64, v61, -v63
	v_fmac_f32_e32 v62, v58, v61
	buffer_store_dword v63, off, s[0:3], 0 offset:208
	buffer_store_dword v62, off, s[0:3], 0 offset:212
.LBB27_119:
	s_or_b32 exec_lo, exec_lo, s4
	s_waitcnt_vscnt null, 0x0
	s_barrier
	buffer_gl0_inv
	s_clause 0x1
	buffer_load_dword v61, off, s[0:3], 0 offset:216
	buffer_load_dword v62, off, s[0:3], 0 offset:220
	s_mov_b32 s4, exec_lo
	s_waitcnt vmcnt(0)
	ds_write_b64 v60, v[61:62]
	s_waitcnt lgkmcnt(0)
	s_barrier
	buffer_gl0_inv
	v_cmpx_ne_u32_e32 27, v0
	s_cbranch_execz .LBB27_123
; %bb.120:
	v_mov_b32_e32 v58, 0
	v_mov_b32_e32 v61, 0
	s_mov_b32 s5, 0
	.p2align	6
.LBB27_121:                             ; =>This Inner Loop Header: Depth=1
	s_clause 0x1
	buffer_load_dword v64, v59, s[0:3], 0 offen offset:4
	buffer_load_dword v65, v59, s[0:3], 0 offen
	ds_read_b64 v[62:63], v60
	v_add_nc_u32_e32 v57, 1, v57
	v_add_nc_u32_e32 v60, 8, v60
	;; [unrolled: 1-line block ×3, first 2 shown]
	v_cmp_lt_u32_e32 vcc_lo, 25, v57
	s_or_b32 s5, vcc_lo, s5
	s_waitcnt vmcnt(1) lgkmcnt(0)
	v_mul_f32_e32 v66, v63, v64
	v_mul_f32_e32 v64, v62, v64
	s_waitcnt vmcnt(0)
	v_fma_f32 v62, v62, v65, -v66
	v_fmac_f32_e32 v64, v63, v65
	v_add_f32_e32 v61, v61, v62
	v_add_f32_e32 v58, v58, v64
	s_andn2_b32 exec_lo, exec_lo, s5
	s_cbranch_execnz .LBB27_121
; %bb.122:
	s_or_b32 exec_lo, exec_lo, s5
	v_mov_b32_e32 v57, 0
	ds_read_b64 v[59:60], v57 offset:216
	s_waitcnt lgkmcnt(0)
	v_mul_f32_e32 v57, v58, v60
	v_mul_f32_e32 v60, v61, v60
	v_fma_f32 v57, v61, v59, -v57
	v_fmac_f32_e32 v60, v58, v59
	buffer_store_dword v57, off, s[0:3], 0 offset:216
	buffer_store_dword v60, off, s[0:3], 0 offset:220
.LBB27_123:
	s_or_b32 exec_lo, exec_lo, s4
	s_mov_b32 s5, -1
	s_waitcnt_vscnt null, 0x0
	s_barrier
	buffer_gl0_inv
.LBB27_124:
	s_and_b32 vcc_lo, exec_lo, s5
	s_cbranch_vccz .LBB27_126
; %bb.125:
	s_lshl_b64 s[4:5], s[6:7], 2
	v_mov_b32_e32 v57, 0
	s_add_u32 s4, s10, s4
	s_addc_u32 s5, s11, s5
	global_load_dword v57, v57, s[4:5]
	s_waitcnt vmcnt(0)
	v_cmp_ne_u32_e32 vcc_lo, 0, v57
	s_cbranch_vccz .LBB27_127
.LBB27_126:
	s_endpgm
.LBB27_127:
	v_lshl_add_u32 v57, v0, 3, 0xe0
	s_mov_b32 s4, exec_lo
	v_cmpx_eq_u32_e32 27, v0
	s_cbranch_execz .LBB27_129
; %bb.128:
	s_clause 0x1
	buffer_load_dword v58, off, s[0:3], 0 offset:208
	buffer_load_dword v59, off, s[0:3], 0 offset:212
	v_mov_b32_e32 v60, 0
	buffer_store_dword v60, off, s[0:3], 0 offset:208
	buffer_store_dword v60, off, s[0:3], 0 offset:212
	s_waitcnt vmcnt(0)
	ds_write_b64 v57, v[58:59]
.LBB27_129:
	s_or_b32 exec_lo, exec_lo, s4
	s_waitcnt lgkmcnt(0)
	s_waitcnt_vscnt null, 0x0
	s_barrier
	buffer_gl0_inv
	s_clause 0x3
	buffer_load_dword v61, off, s[0:3], 0 offset:220
	buffer_load_dword v62, off, s[0:3], 0 offset:216
	;; [unrolled: 1-line block ×4, first 2 shown]
	v_mov_b32_e32 v58, 0
	s_mov_b32 s4, exec_lo
	ds_read_b64 v[59:60], v58 offset:440
	s_waitcnt vmcnt(3) lgkmcnt(0)
	v_mul_f32_e32 v65, v60, v61
	v_mul_f32_e32 v61, v59, v61
	s_waitcnt vmcnt(2)
	v_fma_f32 v59, v59, v62, -v65
	v_fmac_f32_e32 v61, v60, v62
	v_add_f32_e32 v59, 0, v59
	v_add_f32_e32 v60, 0, v61
	s_waitcnt vmcnt(1)
	v_sub_f32_e32 v59, v63, v59
	s_waitcnt vmcnt(0)
	v_sub_f32_e32 v60, v64, v60
	buffer_store_dword v59, off, s[0:3], 0 offset:208
	buffer_store_dword v60, off, s[0:3], 0 offset:212
	v_cmpx_lt_u32_e32 25, v0
	s_cbranch_execz .LBB27_131
; %bb.130:
	s_clause 0x1
	buffer_load_dword v59, off, s[0:3], 0 offset:200
	buffer_load_dword v60, off, s[0:3], 0 offset:204
	buffer_store_dword v58, off, s[0:3], 0 offset:200
	buffer_store_dword v58, off, s[0:3], 0 offset:204
	s_waitcnt vmcnt(0)
	ds_write_b64 v57, v[59:60]
.LBB27_131:
	s_or_b32 exec_lo, exec_lo, s4
	s_waitcnt lgkmcnt(0)
	s_waitcnt_vscnt null, 0x0
	s_barrier
	buffer_gl0_inv
	s_clause 0x5
	buffer_load_dword v62, off, s[0:3], 0 offset:212
	buffer_load_dword v63, off, s[0:3], 0 offset:220
	;; [unrolled: 1-line block ×6, first 2 shown]
	ds_read_b128 v[58:61], v58 offset:432
	s_mov_b32 s4, exec_lo
	s_waitcnt vmcnt(5) lgkmcnt(0)
	v_mul_f32_e32 v68, v59, v62
	v_mul_f32_e32 v62, v58, v62
	s_waitcnt vmcnt(4)
	v_mul_f32_e32 v69, v60, v63
	v_mul_f32_e32 v63, v61, v63
	s_waitcnt vmcnt(3)
	v_fma_f32 v58, v58, v64, -v68
	v_fmac_f32_e32 v62, v59, v64
	s_waitcnt vmcnt(2)
	v_fmac_f32_e32 v69, v61, v65
	v_fma_f32 v59, v60, v65, -v63
	v_add_f32_e32 v58, 0, v58
	v_add_f32_e32 v60, 0, v62
	;; [unrolled: 1-line block ×4, first 2 shown]
	s_waitcnt vmcnt(1)
	v_sub_f32_e32 v58, v66, v58
	s_waitcnt vmcnt(0)
	v_sub_f32_e32 v59, v67, v59
	buffer_store_dword v58, off, s[0:3], 0 offset:200
	buffer_store_dword v59, off, s[0:3], 0 offset:204
	v_cmpx_lt_u32_e32 24, v0
	s_cbranch_execz .LBB27_133
; %bb.132:
	s_clause 0x1
	buffer_load_dword v58, off, s[0:3], 0 offset:192
	buffer_load_dword v59, off, s[0:3], 0 offset:196
	v_mov_b32_e32 v60, 0
	buffer_store_dword v60, off, s[0:3], 0 offset:192
	buffer_store_dword v60, off, s[0:3], 0 offset:196
	s_waitcnt vmcnt(0)
	ds_write_b64 v57, v[58:59]
.LBB27_133:
	s_or_b32 exec_lo, exec_lo, s4
	s_waitcnt lgkmcnt(0)
	s_waitcnt_vscnt null, 0x0
	s_barrier
	buffer_gl0_inv
	s_clause 0x7
	buffer_load_dword v65, off, s[0:3], 0 offset:204
	buffer_load_dword v66, off, s[0:3], 0 offset:212
	;; [unrolled: 1-line block ×8, first 2 shown]
	v_mov_b32_e32 v58, 0
	ds_read2_b64 v[59:62], v58 offset0:53 offset1:54
	ds_read_b64 v[63:64], v58 offset:440
	s_mov_b32 s4, exec_lo
	s_waitcnt vmcnt(7) lgkmcnt(1)
	v_mul_f32_e32 v73, v60, v65
	v_mul_f32_e32 v65, v59, v65
	s_waitcnt vmcnt(6)
	v_mul_f32_e32 v74, v61, v66
	v_mul_f32_e32 v66, v62, v66
	s_waitcnt vmcnt(5) lgkmcnt(0)
	v_mul_f32_e32 v75, v63, v67
	s_waitcnt vmcnt(4)
	v_fma_f32 v59, v59, v68, -v73
	v_fmac_f32_e32 v65, v60, v68
	v_mul_f32_e32 v60, v64, v67
	s_waitcnt vmcnt(3)
	v_fma_f32 v61, v61, v69, -v66
	v_fmac_f32_e32 v74, v62, v69
	v_add_f32_e32 v59, 0, v59
	v_add_f32_e32 v62, 0, v65
	s_waitcnt vmcnt(2)
	v_fma_f32 v60, v63, v70, -v60
	v_fmac_f32_e32 v75, v64, v70
	v_add_f32_e32 v59, v59, v61
	v_add_f32_e32 v61, v62, v74
	;; [unrolled: 1-line block ×4, first 2 shown]
	s_waitcnt vmcnt(1)
	v_sub_f32_e32 v59, v71, v59
	s_waitcnt vmcnt(0)
	v_sub_f32_e32 v60, v72, v60
	buffer_store_dword v59, off, s[0:3], 0 offset:192
	buffer_store_dword v60, off, s[0:3], 0 offset:196
	v_cmpx_lt_u32_e32 23, v0
	s_cbranch_execz .LBB27_135
; %bb.134:
	s_clause 0x1
	buffer_load_dword v59, off, s[0:3], 0 offset:184
	buffer_load_dword v60, off, s[0:3], 0 offset:188
	buffer_store_dword v58, off, s[0:3], 0 offset:184
	buffer_store_dword v58, off, s[0:3], 0 offset:188
	s_waitcnt vmcnt(0)
	ds_write_b64 v57, v[59:60]
.LBB27_135:
	s_or_b32 exec_lo, exec_lo, s4
	s_waitcnt lgkmcnt(0)
	s_waitcnt_vscnt null, 0x0
	s_barrier
	buffer_gl0_inv
	s_clause 0x9
	buffer_load_dword v67, off, s[0:3], 0 offset:196
	buffer_load_dword v68, off, s[0:3], 0 offset:204
	;; [unrolled: 1-line block ×10, first 2 shown]
	ds_read_b128 v[59:62], v58 offset:416
	ds_read_b128 v[63:66], v58 offset:432
	s_mov_b32 s4, exec_lo
	s_waitcnt vmcnt(9) lgkmcnt(1)
	v_mul_f32_e32 v58, v59, v67
	v_mul_f32_e32 v67, v60, v67
	s_waitcnt vmcnt(8)
	v_mul_f32_e32 v77, v61, v68
	v_mul_f32_e32 v68, v62, v68
	s_waitcnt vmcnt(7) lgkmcnt(0)
	v_mul_f32_e32 v78, v63, v69
	s_waitcnt vmcnt(5)
	v_fmac_f32_e32 v58, v60, v71
	v_fma_f32 v59, v59, v71, -v67
	v_mul_f32_e32 v60, v64, v69
	s_waitcnt vmcnt(4)
	v_fma_f32 v61, v61, v72, -v68
	v_fmac_f32_e32 v77, v62, v72
	v_add_f32_e32 v58, 0, v58
	v_add_f32_e32 v59, 0, v59
	v_mul_f32_e32 v62, v66, v70
	s_waitcnt vmcnt(3)
	v_fma_f32 v60, v63, v73, -v60
	v_mul_f32_e32 v79, v65, v70
	v_fmac_f32_e32 v78, v64, v73
	v_add_f32_e32 v59, v59, v61
	v_add_f32_e32 v58, v58, v77
	s_waitcnt vmcnt(2)
	v_fma_f32 v61, v65, v74, -v62
	v_fmac_f32_e32 v79, v66, v74
	v_add_f32_e32 v59, v59, v60
	v_add_f32_e32 v58, v58, v78
	;; [unrolled: 1-line block ×4, first 2 shown]
	s_waitcnt vmcnt(1)
	v_sub_f32_e32 v59, v75, v59
	s_waitcnt vmcnt(0)
	v_sub_f32_e32 v58, v76, v58
	buffer_store_dword v59, off, s[0:3], 0 offset:184
	buffer_store_dword v58, off, s[0:3], 0 offset:188
	v_cmpx_lt_u32_e32 22, v0
	s_cbranch_execz .LBB27_137
; %bb.136:
	s_clause 0x1
	buffer_load_dword v58, off, s[0:3], 0 offset:176
	buffer_load_dword v59, off, s[0:3], 0 offset:180
	v_mov_b32_e32 v60, 0
	buffer_store_dword v60, off, s[0:3], 0 offset:176
	buffer_store_dword v60, off, s[0:3], 0 offset:180
	s_waitcnt vmcnt(0)
	ds_write_b64 v57, v[58:59]
.LBB27_137:
	s_or_b32 exec_lo, exec_lo, s4
	s_waitcnt lgkmcnt(0)
	s_waitcnt_vscnt null, 0x0
	s_barrier
	buffer_gl0_inv
	s_clause 0xb
	buffer_load_dword v69, off, s[0:3], 0 offset:188
	buffer_load_dword v70, off, s[0:3], 0 offset:196
	;; [unrolled: 1-line block ×12, first 2 shown]
	v_mov_b32_e32 v58, 0
	ds_read2_b64 v[59:62], v58 offset0:51 offset1:52
	ds_read2_b64 v[63:66], v58 offset0:53 offset1:54
	ds_read_b64 v[67:68], v58 offset:440
	s_mov_b32 s4, exec_lo
	s_waitcnt vmcnt(11) lgkmcnt(2)
	v_mul_f32_e32 v81, v59, v69
	v_mul_f32_e32 v69, v60, v69
	s_waitcnt vmcnt(10)
	v_mul_f32_e32 v82, v61, v70
	v_mul_f32_e32 v70, v62, v70
	s_waitcnt vmcnt(9) lgkmcnt(1)
	v_mul_f32_e32 v83, v63, v71
	s_waitcnt vmcnt(6)
	v_fmac_f32_e32 v81, v60, v74
	v_fma_f32 v59, v59, v74, -v69
	v_mul_f32_e32 v60, v64, v71
	s_waitcnt vmcnt(5)
	v_fma_f32 v61, v61, v75, -v70
	v_fmac_f32_e32 v82, v62, v75
	v_add_f32_e32 v62, 0, v81
	v_add_f32_e32 v59, 0, v59
	v_mul_f32_e32 v69, v66, v72
	s_waitcnt vmcnt(4)
	v_fma_f32 v60, v63, v76, -v60
	v_mul_f32_e32 v84, v65, v72
	v_fmac_f32_e32 v83, v64, v76
	v_add_f32_e32 v59, v59, v61
	v_add_f32_e32 v61, v62, v82
	s_waitcnt lgkmcnt(0)
	v_mul_f32_e32 v62, v68, v73
	s_waitcnt vmcnt(3)
	v_fma_f32 v63, v65, v77, -v69
	v_mul_f32_e32 v85, v67, v73
	v_add_f32_e32 v59, v59, v60
	v_fmac_f32_e32 v84, v66, v77
	v_add_f32_e32 v60, v61, v83
	s_waitcnt vmcnt(2)
	v_fma_f32 v61, v67, v78, -v62
	v_fmac_f32_e32 v85, v68, v78
	v_add_f32_e32 v59, v59, v63
	v_add_f32_e32 v60, v60, v84
	;; [unrolled: 1-line block ×4, first 2 shown]
	s_waitcnt vmcnt(1)
	v_sub_f32_e32 v59, v79, v59
	s_waitcnt vmcnt(0)
	v_sub_f32_e32 v60, v80, v60
	buffer_store_dword v59, off, s[0:3], 0 offset:176
	buffer_store_dword v60, off, s[0:3], 0 offset:180
	v_cmpx_lt_u32_e32 21, v0
	s_cbranch_execz .LBB27_139
; %bb.138:
	s_clause 0x1
	buffer_load_dword v59, off, s[0:3], 0 offset:168
	buffer_load_dword v60, off, s[0:3], 0 offset:172
	buffer_store_dword v58, off, s[0:3], 0 offset:168
	buffer_store_dword v58, off, s[0:3], 0 offset:172
	s_waitcnt vmcnt(0)
	ds_write_b64 v57, v[59:60]
.LBB27_139:
	s_or_b32 exec_lo, exec_lo, s4
	s_waitcnt lgkmcnt(0)
	s_waitcnt_vscnt null, 0x0
	s_barrier
	buffer_gl0_inv
	s_clause 0xd
	buffer_load_dword v71, off, s[0:3], 0 offset:180
	buffer_load_dword v72, off, s[0:3], 0 offset:188
	;; [unrolled: 1-line block ×14, first 2 shown]
	ds_read_b128 v[59:62], v58 offset:400
	ds_read_b128 v[63:66], v58 offset:416
	;; [unrolled: 1-line block ×3, first 2 shown]
	s_mov_b32 s4, exec_lo
	s_waitcnt vmcnt(13) lgkmcnt(2)
	v_mul_f32_e32 v58, v59, v71
	v_mul_f32_e32 v71, v60, v71
	s_waitcnt vmcnt(12)
	v_mul_f32_e32 v85, v61, v72
	v_mul_f32_e32 v72, v62, v72
	s_waitcnt vmcnt(11) lgkmcnt(1)
	v_mul_f32_e32 v86, v63, v73
	s_waitcnt vmcnt(10)
	v_mul_f32_e32 v87, v65, v74
	s_waitcnt vmcnt(7)
	v_fma_f32 v59, v59, v77, -v71
	v_fmac_f32_e32 v58, v60, v77
	v_mul_f32_e32 v60, v64, v73
	s_waitcnt vmcnt(6)
	v_fma_f32 v61, v61, v78, -v72
	v_fmac_f32_e32 v85, v62, v78
	v_add_f32_e32 v59, 0, v59
	v_add_f32_e32 v58, 0, v58
	v_mul_f32_e32 v62, v66, v74
	s_waitcnt vmcnt(5)
	v_fma_f32 v60, v63, v79, -v60
	v_fmac_f32_e32 v86, v64, v79
	v_add_f32_e32 v59, v59, v61
	v_add_f32_e32 v58, v58, v85
	s_waitcnt lgkmcnt(0)
	v_mul_f32_e32 v61, v68, v75
	s_waitcnt vmcnt(4)
	v_fma_f32 v62, v65, v80, -v62
	v_mul_f32_e32 v88, v67, v75
	v_add_f32_e32 v59, v59, v60
	v_fmac_f32_e32 v87, v66, v80
	v_add_f32_e32 v58, v58, v86
	v_mul_f32_e32 v60, v70, v76
	s_waitcnt vmcnt(3)
	v_fma_f32 v61, v67, v81, -v61
	v_add_f32_e32 v59, v59, v62
	v_mul_f32_e32 v89, v69, v76
	v_fmac_f32_e32 v88, v68, v81
	v_add_f32_e32 v58, v58, v87
	s_waitcnt vmcnt(2)
	v_fma_f32 v60, v69, v82, -v60
	v_add_f32_e32 v59, v59, v61
	v_fmac_f32_e32 v89, v70, v82
	v_add_f32_e32 v58, v58, v88
	v_add_f32_e32 v59, v59, v60
	;; [unrolled: 1-line block ×3, first 2 shown]
	s_waitcnt vmcnt(1)
	v_sub_f32_e32 v59, v83, v59
	s_waitcnt vmcnt(0)
	v_sub_f32_e32 v58, v84, v58
	buffer_store_dword v59, off, s[0:3], 0 offset:168
	buffer_store_dword v58, off, s[0:3], 0 offset:172
	v_cmpx_lt_u32_e32 20, v0
	s_cbranch_execz .LBB27_141
; %bb.140:
	s_clause 0x1
	buffer_load_dword v58, off, s[0:3], 0 offset:160
	buffer_load_dword v59, off, s[0:3], 0 offset:164
	v_mov_b32_e32 v60, 0
	buffer_store_dword v60, off, s[0:3], 0 offset:160
	buffer_store_dword v60, off, s[0:3], 0 offset:164
	s_waitcnt vmcnt(0)
	ds_write_b64 v57, v[58:59]
.LBB27_141:
	s_or_b32 exec_lo, exec_lo, s4
	s_waitcnt lgkmcnt(0)
	s_waitcnt_vscnt null, 0x0
	s_barrier
	buffer_gl0_inv
	s_clause 0xf
	buffer_load_dword v73, off, s[0:3], 0 offset:172
	buffer_load_dword v74, off, s[0:3], 0 offset:180
	;; [unrolled: 1-line block ×16, first 2 shown]
	v_mov_b32_e32 v58, 0
	ds_read2_b64 v[59:62], v58 offset0:49 offset1:50
	ds_read2_b64 v[63:66], v58 offset0:51 offset1:52
	;; [unrolled: 1-line block ×3, first 2 shown]
	ds_read_b64 v[71:72], v58 offset:440
	s_mov_b32 s4, exec_lo
	s_waitcnt vmcnt(15) lgkmcnt(3)
	v_mul_f32_e32 v89, v59, v73
	v_mul_f32_e32 v73, v60, v73
	s_waitcnt vmcnt(14)
	v_mul_f32_e32 v90, v61, v74
	v_mul_f32_e32 v74, v62, v74
	s_waitcnt vmcnt(13) lgkmcnt(2)
	v_mul_f32_e32 v91, v63, v75
	s_waitcnt vmcnt(12)
	v_mul_f32_e32 v92, v65, v76
	s_waitcnt vmcnt(11) lgkmcnt(1)
	v_mul_f32_e32 v93, v67, v77
	s_waitcnt vmcnt(8)
	v_fma_f32 v59, v59, v80, -v73
	v_fmac_f32_e32 v89, v60, v80
	v_mul_f32_e32 v60, v64, v75
	s_waitcnt vmcnt(7)
	v_fma_f32 v61, v61, v81, -v74
	v_fmac_f32_e32 v90, v62, v81
	v_add_f32_e32 v59, 0, v59
	v_add_f32_e32 v62, 0, v89
	v_mul_f32_e32 v73, v66, v76
	s_waitcnt vmcnt(6)
	v_fma_f32 v60, v63, v82, -v60
	v_fmac_f32_e32 v91, v64, v82
	v_add_f32_e32 v59, v59, v61
	v_add_f32_e32 v61, v62, v90
	;; [unrolled: 6-line block ×3, first 2 shown]
	v_mul_f32_e32 v61, v70, v78
	s_waitcnt vmcnt(4)
	v_fma_f32 v62, v67, v84, -v62
	v_mul_f32_e32 v94, v69, v78
	v_add_f32_e32 v59, v59, v63
	v_fmac_f32_e32 v93, v68, v84
	v_add_f32_e32 v60, v60, v92
	s_waitcnt lgkmcnt(0)
	v_mul_f32_e32 v63, v72, v79
	s_waitcnt vmcnt(3)
	v_fma_f32 v61, v69, v85, -v61
	v_add_f32_e32 v59, v59, v62
	v_mul_f32_e32 v95, v71, v79
	v_fmac_f32_e32 v94, v70, v85
	v_add_f32_e32 v60, v60, v93
	s_waitcnt vmcnt(2)
	v_fma_f32 v62, v71, v86, -v63
	v_add_f32_e32 v59, v59, v61
	v_fmac_f32_e32 v95, v72, v86
	v_add_f32_e32 v60, v60, v94
	v_add_f32_e32 v59, v59, v62
	;; [unrolled: 1-line block ×3, first 2 shown]
	s_waitcnt vmcnt(1)
	v_sub_f32_e32 v59, v87, v59
	s_waitcnt vmcnt(0)
	v_sub_f32_e32 v60, v88, v60
	buffer_store_dword v59, off, s[0:3], 0 offset:160
	buffer_store_dword v60, off, s[0:3], 0 offset:164
	v_cmpx_lt_u32_e32 19, v0
	s_cbranch_execz .LBB27_143
; %bb.142:
	s_clause 0x1
	buffer_load_dword v59, off, s[0:3], 0 offset:152
	buffer_load_dword v60, off, s[0:3], 0 offset:156
	buffer_store_dword v58, off, s[0:3], 0 offset:152
	buffer_store_dword v58, off, s[0:3], 0 offset:156
	s_waitcnt vmcnt(0)
	ds_write_b64 v57, v[59:60]
.LBB27_143:
	s_or_b32 exec_lo, exec_lo, s4
	s_waitcnt lgkmcnt(0)
	s_waitcnt_vscnt null, 0x0
	s_barrier
	buffer_gl0_inv
	s_clause 0x11
	buffer_load_dword v75, off, s[0:3], 0 offset:164
	buffer_load_dword v76, off, s[0:3], 0 offset:172
	;; [unrolled: 1-line block ×18, first 2 shown]
	ds_read_b128 v[59:62], v58 offset:384
	ds_read_b128 v[63:66], v58 offset:400
	;; [unrolled: 1-line block ×4, first 2 shown]
	s_mov_b32 s4, exec_lo
	s_waitcnt vmcnt(17) lgkmcnt(3)
	v_mul_f32_e32 v58, v59, v75
	v_mul_f32_e32 v75, v60, v75
	s_waitcnt vmcnt(16)
	v_mul_f32_e32 v93, v61, v76
	v_mul_f32_e32 v76, v62, v76
	s_waitcnt vmcnt(15) lgkmcnt(2)
	v_mul_f32_e32 v94, v63, v77
	s_waitcnt vmcnt(14)
	v_mul_f32_e32 v95, v65, v78
	s_waitcnt vmcnt(13) lgkmcnt(1)
	v_mul_f32_e32 v96, v67, v79
	s_waitcnt vmcnt(12)
	v_mul_f32_e32 v97, v69, v80
	s_waitcnt vmcnt(9)
	v_fma_f32 v59, v59, v83, -v75
	v_fmac_f32_e32 v58, v60, v83
	v_mul_f32_e32 v60, v64, v77
	s_waitcnt vmcnt(8)
	v_fma_f32 v61, v61, v84, -v76
	v_fmac_f32_e32 v93, v62, v84
	v_add_f32_e32 v59, 0, v59
	v_add_f32_e32 v58, 0, v58
	v_mul_f32_e32 v62, v66, v78
	s_waitcnt vmcnt(7)
	v_fma_f32 v60, v63, v85, -v60
	v_fmac_f32_e32 v94, v64, v85
	v_add_f32_e32 v59, v59, v61
	v_add_f32_e32 v58, v58, v93
	;; [unrolled: 6-line block ×4, first 2 shown]
	s_waitcnt lgkmcnt(0)
	v_mul_f32_e32 v62, v72, v81
	s_waitcnt vmcnt(4)
	v_fma_f32 v60, v69, v88, -v60
	v_mul_f32_e32 v98, v71, v81
	v_add_f32_e32 v59, v59, v61
	v_fmac_f32_e32 v97, v70, v88
	v_add_f32_e32 v58, v58, v96
	v_mul_f32_e32 v61, v74, v82
	s_waitcnt vmcnt(3)
	v_fma_f32 v62, v71, v89, -v62
	v_add_f32_e32 v59, v59, v60
	v_mul_f32_e32 v99, v73, v82
	v_fmac_f32_e32 v98, v72, v89
	v_add_f32_e32 v58, v58, v97
	s_waitcnt vmcnt(2)
	v_fma_f32 v60, v73, v90, -v61
	v_add_f32_e32 v59, v59, v62
	v_fmac_f32_e32 v99, v74, v90
	v_add_f32_e32 v58, v58, v98
	v_add_f32_e32 v59, v59, v60
	;; [unrolled: 1-line block ×3, first 2 shown]
	s_waitcnt vmcnt(1)
	v_sub_f32_e32 v59, v91, v59
	s_waitcnt vmcnt(0)
	v_sub_f32_e32 v58, v92, v58
	buffer_store_dword v59, off, s[0:3], 0 offset:152
	buffer_store_dword v58, off, s[0:3], 0 offset:156
	v_cmpx_lt_u32_e32 18, v0
	s_cbranch_execz .LBB27_145
; %bb.144:
	s_clause 0x1
	buffer_load_dword v58, off, s[0:3], 0 offset:144
	buffer_load_dword v59, off, s[0:3], 0 offset:148
	v_mov_b32_e32 v60, 0
	buffer_store_dword v60, off, s[0:3], 0 offset:144
	buffer_store_dword v60, off, s[0:3], 0 offset:148
	s_waitcnt vmcnt(0)
	ds_write_b64 v57, v[58:59]
.LBB27_145:
	s_or_b32 exec_lo, exec_lo, s4
	s_waitcnt lgkmcnt(0)
	s_waitcnt_vscnt null, 0x0
	s_barrier
	buffer_gl0_inv
	s_clause 0x13
	buffer_load_dword v77, off, s[0:3], 0 offset:156
	buffer_load_dword v78, off, s[0:3], 0 offset:164
	;; [unrolled: 1-line block ×20, first 2 shown]
	v_mov_b32_e32 v58, 0
	ds_read2_b64 v[59:62], v58 offset0:47 offset1:48
	ds_read2_b64 v[63:66], v58 offset0:49 offset1:50
	;; [unrolled: 1-line block ×4, first 2 shown]
	ds_read_b64 v[75:76], v58 offset:440
	s_mov_b32 s4, exec_lo
	s_waitcnt vmcnt(19) lgkmcnt(4)
	v_mul_f32_e32 v97, v59, v77
	v_mul_f32_e32 v77, v60, v77
	s_waitcnt vmcnt(18)
	v_mul_f32_e32 v98, v61, v78
	v_mul_f32_e32 v78, v62, v78
	s_waitcnt vmcnt(17) lgkmcnt(3)
	v_mul_f32_e32 v99, v63, v79
	s_waitcnt vmcnt(16)
	v_mul_f32_e32 v100, v65, v80
	s_waitcnt vmcnt(15) lgkmcnt(2)
	v_mul_f32_e32 v101, v67, v81
	s_waitcnt vmcnt(14)
	;; [unrolled: 4-line block ×3, first 2 shown]
	v_fma_f32 v59, v59, v86, -v77
	v_fmac_f32_e32 v97, v60, v86
	v_mul_f32_e32 v60, v64, v79
	s_waitcnt vmcnt(9)
	v_fma_f32 v61, v61, v87, -v78
	v_fmac_f32_e32 v98, v62, v87
	v_add_f32_e32 v59, 0, v59
	v_add_f32_e32 v62, 0, v97
	v_mul_f32_e32 v77, v66, v80
	s_waitcnt vmcnt(8)
	v_fma_f32 v60, v63, v88, -v60
	v_fmac_f32_e32 v99, v64, v88
	v_add_f32_e32 v59, v59, v61
	v_add_f32_e32 v61, v62, v98
	;; [unrolled: 6-line block ×5, first 2 shown]
	v_mul_f32_e32 v62, v74, v84
	s_waitcnt vmcnt(4)
	v_fma_f32 v63, v71, v92, -v63
	v_mul_f32_e32 v104, v73, v84
	v_add_f32_e32 v59, v59, v61
	v_fmac_f32_e32 v103, v72, v92
	v_add_f32_e32 v60, v60, v102
	s_waitcnt lgkmcnt(0)
	v_mul_f32_e32 v61, v76, v85
	s_waitcnt vmcnt(3)
	v_fma_f32 v62, v73, v93, -v62
	v_add_f32_e32 v59, v59, v63
	v_mul_f32_e32 v105, v75, v85
	v_fmac_f32_e32 v104, v74, v93
	v_add_f32_e32 v60, v60, v103
	s_waitcnt vmcnt(2)
	v_fma_f32 v61, v75, v94, -v61
	v_add_f32_e32 v59, v59, v62
	v_fmac_f32_e32 v105, v76, v94
	v_add_f32_e32 v60, v60, v104
	v_add_f32_e32 v59, v59, v61
	;; [unrolled: 1-line block ×3, first 2 shown]
	s_waitcnt vmcnt(1)
	v_sub_f32_e32 v59, v95, v59
	s_waitcnt vmcnt(0)
	v_sub_f32_e32 v60, v96, v60
	buffer_store_dword v59, off, s[0:3], 0 offset:144
	buffer_store_dword v60, off, s[0:3], 0 offset:148
	v_cmpx_lt_u32_e32 17, v0
	s_cbranch_execz .LBB27_147
; %bb.146:
	s_clause 0x1
	buffer_load_dword v59, off, s[0:3], 0 offset:136
	buffer_load_dword v60, off, s[0:3], 0 offset:140
	buffer_store_dword v58, off, s[0:3], 0 offset:136
	buffer_store_dword v58, off, s[0:3], 0 offset:140
	s_waitcnt vmcnt(0)
	ds_write_b64 v57, v[59:60]
.LBB27_147:
	s_or_b32 exec_lo, exec_lo, s4
	s_waitcnt lgkmcnt(0)
	s_waitcnt_vscnt null, 0x0
	s_barrier
	buffer_gl0_inv
	s_clause 0x15
	buffer_load_dword v79, off, s[0:3], 0 offset:148
	buffer_load_dword v80, off, s[0:3], 0 offset:156
	;; [unrolled: 1-line block ×22, first 2 shown]
	ds_read_b128 v[59:62], v58 offset:368
	ds_read_b128 v[63:66], v58 offset:384
	;; [unrolled: 1-line block ×5, first 2 shown]
	s_mov_b32 s4, exec_lo
	s_waitcnt vmcnt(21) lgkmcnt(4)
	v_mul_f32_e32 v58, v59, v79
	v_mul_f32_e32 v79, v60, v79
	s_waitcnt vmcnt(20)
	v_mul_f32_e32 v101, v61, v80
	v_mul_f32_e32 v80, v62, v80
	s_waitcnt vmcnt(19) lgkmcnt(3)
	v_mul_f32_e32 v102, v63, v81
	s_waitcnt vmcnt(18)
	v_mul_f32_e32 v103, v65, v82
	s_waitcnt vmcnt(17) lgkmcnt(2)
	v_mul_f32_e32 v104, v67, v83
	s_waitcnt vmcnt(16)
	;; [unrolled: 4-line block ×3, first 2 shown]
	v_mul_f32_e32 v107, v73, v86
	s_waitcnt vmcnt(11)
	v_fma_f32 v59, v59, v89, -v79
	v_fmac_f32_e32 v58, v60, v89
	v_mul_f32_e32 v60, v64, v81
	s_waitcnt vmcnt(10)
	v_fma_f32 v61, v61, v90, -v80
	v_fmac_f32_e32 v101, v62, v90
	v_add_f32_e32 v59, 0, v59
	v_add_f32_e32 v58, 0, v58
	v_mul_f32_e32 v62, v66, v82
	s_waitcnt vmcnt(9)
	v_fma_f32 v60, v63, v91, -v60
	v_fmac_f32_e32 v102, v64, v91
	v_add_f32_e32 v59, v59, v61
	v_add_f32_e32 v58, v58, v101
	v_mul_f32_e32 v61, v68, v83
	s_waitcnt vmcnt(8)
	v_fma_f32 v62, v65, v92, -v62
	v_fmac_f32_e32 v103, v66, v92
	v_add_f32_e32 v59, v59, v60
	v_add_f32_e32 v58, v58, v102
	v_mul_f32_e32 v60, v70, v84
	s_waitcnt vmcnt(7)
	v_fma_f32 v61, v67, v93, -v61
	v_fmac_f32_e32 v104, v68, v93
	v_add_f32_e32 v59, v59, v62
	v_add_f32_e32 v58, v58, v103
	v_mul_f32_e32 v62, v72, v85
	s_waitcnt vmcnt(6)
	v_fma_f32 v60, v69, v94, -v60
	v_fmac_f32_e32 v105, v70, v94
	v_add_f32_e32 v59, v59, v61
	v_add_f32_e32 v58, v58, v104
	v_mul_f32_e32 v61, v74, v86
	s_waitcnt vmcnt(5)
	v_fma_f32 v62, v71, v95, -v62
	v_fmac_f32_e32 v106, v72, v95
	v_add_f32_e32 v59, v59, v60
	v_add_f32_e32 v58, v58, v105
	s_waitcnt lgkmcnt(0)
	v_mul_f32_e32 v60, v76, v87
	s_waitcnt vmcnt(4)
	v_fma_f32 v61, v73, v96, -v61
	v_mul_f32_e32 v108, v75, v87
	v_add_f32_e32 v59, v59, v62
	v_fmac_f32_e32 v107, v74, v96
	v_add_f32_e32 v58, v58, v106
	v_mul_f32_e32 v62, v78, v88
	s_waitcnt vmcnt(3)
	v_fma_f32 v60, v75, v97, -v60
	v_add_f32_e32 v59, v59, v61
	v_mul_f32_e32 v109, v77, v88
	v_fmac_f32_e32 v108, v76, v97
	v_add_f32_e32 v58, v58, v107
	s_waitcnt vmcnt(2)
	v_fma_f32 v61, v77, v98, -v62
	v_add_f32_e32 v59, v59, v60
	v_fmac_f32_e32 v109, v78, v98
	v_add_f32_e32 v58, v58, v108
	v_add_f32_e32 v59, v59, v61
	;; [unrolled: 1-line block ×3, first 2 shown]
	s_waitcnt vmcnt(1)
	v_sub_f32_e32 v59, v99, v59
	s_waitcnt vmcnt(0)
	v_sub_f32_e32 v58, v100, v58
	buffer_store_dword v59, off, s[0:3], 0 offset:136
	buffer_store_dword v58, off, s[0:3], 0 offset:140
	v_cmpx_lt_u32_e32 16, v0
	s_cbranch_execz .LBB27_149
; %bb.148:
	s_clause 0x1
	buffer_load_dword v58, off, s[0:3], 0 offset:128
	buffer_load_dword v59, off, s[0:3], 0 offset:132
	v_mov_b32_e32 v60, 0
	buffer_store_dword v60, off, s[0:3], 0 offset:128
	buffer_store_dword v60, off, s[0:3], 0 offset:132
	s_waitcnt vmcnt(0)
	ds_write_b64 v57, v[58:59]
.LBB27_149:
	s_or_b32 exec_lo, exec_lo, s4
	s_waitcnt lgkmcnt(0)
	s_waitcnt_vscnt null, 0x0
	s_barrier
	buffer_gl0_inv
	s_clause 0x17
	buffer_load_dword v81, off, s[0:3], 0 offset:140
	buffer_load_dword v82, off, s[0:3], 0 offset:148
	;; [unrolled: 1-line block ×24, first 2 shown]
	v_mov_b32_e32 v58, 0
	ds_read2_b64 v[59:62], v58 offset0:45 offset1:46
	ds_read2_b64 v[63:66], v58 offset0:47 offset1:48
	;; [unrolled: 1-line block ×5, first 2 shown]
	ds_read_b64 v[79:80], v58 offset:440
	s_mov_b32 s4, exec_lo
	s_waitcnt vmcnt(23) lgkmcnt(5)
	v_mul_f32_e32 v105, v59, v81
	v_mul_f32_e32 v81, v60, v81
	s_waitcnt vmcnt(22)
	v_mul_f32_e32 v106, v61, v82
	v_mul_f32_e32 v82, v62, v82
	s_waitcnt vmcnt(21) lgkmcnt(4)
	v_mul_f32_e32 v107, v63, v83
	s_waitcnt vmcnt(20)
	v_mul_f32_e32 v108, v65, v84
	s_waitcnt vmcnt(19) lgkmcnt(3)
	v_mul_f32_e32 v109, v67, v85
	s_waitcnt vmcnt(18)
	;; [unrolled: 4-line block ×4, first 2 shown]
	v_fma_f32 v59, v59, v92, -v81
	v_fmac_f32_e32 v105, v60, v92
	v_mul_f32_e32 v60, v64, v83
	s_waitcnt vmcnt(11)
	v_fma_f32 v61, v61, v93, -v82
	v_fmac_f32_e32 v106, v62, v93
	v_add_f32_e32 v59, 0, v59
	v_add_f32_e32 v62, 0, v105
	v_mul_f32_e32 v81, v66, v84
	s_waitcnt vmcnt(10)
	v_fma_f32 v60, v63, v94, -v60
	v_fmac_f32_e32 v107, v64, v94
	v_add_f32_e32 v59, v59, v61
	v_add_f32_e32 v61, v62, v106
	;; [unrolled: 6-line block ×7, first 2 shown]
	v_mul_f32_e32 v63, v78, v90
	s_waitcnt vmcnt(4)
	v_fma_f32 v61, v75, v100, -v61
	v_mul_f32_e32 v114, v77, v90
	v_add_f32_e32 v59, v59, v62
	v_fmac_f32_e32 v113, v76, v100
	v_add_f32_e32 v60, v60, v112
	s_waitcnt lgkmcnt(0)
	v_mul_f32_e32 v62, v80, v91
	s_waitcnt vmcnt(3)
	v_fma_f32 v63, v77, v101, -v63
	v_add_f32_e32 v59, v59, v61
	v_mul_f32_e32 v115, v79, v91
	v_fmac_f32_e32 v114, v78, v101
	v_add_f32_e32 v60, v60, v113
	s_waitcnt vmcnt(2)
	v_fma_f32 v61, v79, v102, -v62
	v_add_f32_e32 v59, v59, v63
	v_fmac_f32_e32 v115, v80, v102
	v_add_f32_e32 v60, v60, v114
	v_add_f32_e32 v59, v59, v61
	;; [unrolled: 1-line block ×3, first 2 shown]
	s_waitcnt vmcnt(1)
	v_sub_f32_e32 v59, v103, v59
	s_waitcnt vmcnt(0)
	v_sub_f32_e32 v60, v104, v60
	buffer_store_dword v59, off, s[0:3], 0 offset:128
	buffer_store_dword v60, off, s[0:3], 0 offset:132
	v_cmpx_lt_u32_e32 15, v0
	s_cbranch_execz .LBB27_151
; %bb.150:
	s_clause 0x1
	buffer_load_dword v59, off, s[0:3], 0 offset:120
	buffer_load_dword v60, off, s[0:3], 0 offset:124
	buffer_store_dword v58, off, s[0:3], 0 offset:120
	buffer_store_dword v58, off, s[0:3], 0 offset:124
	s_waitcnt vmcnt(0)
	ds_write_b64 v57, v[59:60]
.LBB27_151:
	s_or_b32 exec_lo, exec_lo, s4
	s_waitcnt lgkmcnt(0)
	s_waitcnt_vscnt null, 0x0
	s_barrier
	buffer_gl0_inv
	s_clause 0x19
	buffer_load_dword v83, off, s[0:3], 0 offset:132
	buffer_load_dword v84, off, s[0:3], 0 offset:140
	;; [unrolled: 1-line block ×26, first 2 shown]
	ds_read_b128 v[59:62], v58 offset:352
	ds_read_b128 v[63:66], v58 offset:368
	;; [unrolled: 1-line block ×6, first 2 shown]
	s_mov_b32 s4, exec_lo
	s_waitcnt vmcnt(25) lgkmcnt(5)
	v_mul_f32_e32 v58, v59, v83
	v_mul_f32_e32 v83, v60, v83
	s_waitcnt vmcnt(24)
	v_mul_f32_e32 v109, v61, v84
	v_mul_f32_e32 v84, v62, v84
	s_waitcnt vmcnt(23) lgkmcnt(4)
	v_mul_f32_e32 v110, v63, v85
	s_waitcnt vmcnt(22)
	v_mul_f32_e32 v111, v65, v86
	s_waitcnt vmcnt(21) lgkmcnt(3)
	v_mul_f32_e32 v112, v67, v87
	s_waitcnt vmcnt(20)
	;; [unrolled: 4-line block ×4, first 2 shown]
	v_mul_f32_e32 v117, v77, v92
	s_waitcnt vmcnt(13)
	v_fma_f32 v59, v59, v95, -v83
	v_fmac_f32_e32 v58, v60, v95
	v_mul_f32_e32 v60, v64, v85
	s_waitcnt vmcnt(12)
	v_fma_f32 v61, v61, v96, -v84
	v_fmac_f32_e32 v109, v62, v96
	v_add_f32_e32 v59, 0, v59
	v_add_f32_e32 v58, 0, v58
	v_mul_f32_e32 v62, v66, v86
	s_waitcnt vmcnt(11)
	v_fma_f32 v60, v63, v97, -v60
	v_fmac_f32_e32 v110, v64, v97
	v_add_f32_e32 v59, v59, v61
	v_add_f32_e32 v58, v58, v109
	;; [unrolled: 6-line block ×8, first 2 shown]
	s_waitcnt lgkmcnt(0)
	v_mul_f32_e32 v61, v80, v93
	s_waitcnt vmcnt(4)
	v_fma_f32 v62, v77, v104, -v62
	v_mul_f32_e32 v118, v79, v93
	v_add_f32_e32 v59, v59, v60
	v_fmac_f32_e32 v117, v78, v104
	v_add_f32_e32 v58, v58, v116
	v_mul_f32_e32 v60, v82, v94
	s_waitcnt vmcnt(3)
	v_fma_f32 v61, v79, v105, -v61
	v_add_f32_e32 v59, v59, v62
	v_mul_f32_e32 v119, v81, v94
	v_fmac_f32_e32 v118, v80, v105
	v_add_f32_e32 v58, v58, v117
	s_waitcnt vmcnt(2)
	v_fma_f32 v60, v81, v106, -v60
	v_add_f32_e32 v59, v59, v61
	v_fmac_f32_e32 v119, v82, v106
	v_add_f32_e32 v58, v58, v118
	v_add_f32_e32 v59, v59, v60
	;; [unrolled: 1-line block ×3, first 2 shown]
	s_waitcnt vmcnt(1)
	v_sub_f32_e32 v59, v107, v59
	s_waitcnt vmcnt(0)
	v_sub_f32_e32 v58, v108, v58
	buffer_store_dword v59, off, s[0:3], 0 offset:120
	buffer_store_dword v58, off, s[0:3], 0 offset:124
	v_cmpx_lt_u32_e32 14, v0
	s_cbranch_execz .LBB27_153
; %bb.152:
	s_clause 0x1
	buffer_load_dword v58, off, s[0:3], 0 offset:112
	buffer_load_dword v59, off, s[0:3], 0 offset:116
	v_mov_b32_e32 v60, 0
	buffer_store_dword v60, off, s[0:3], 0 offset:112
	buffer_store_dword v60, off, s[0:3], 0 offset:116
	s_waitcnt vmcnt(0)
	ds_write_b64 v57, v[58:59]
.LBB27_153:
	s_or_b32 exec_lo, exec_lo, s4
	s_waitcnt lgkmcnt(0)
	s_waitcnt_vscnt null, 0x0
	s_barrier
	buffer_gl0_inv
	s_clause 0x1b
	buffer_load_dword v85, off, s[0:3], 0 offset:124
	buffer_load_dword v86, off, s[0:3], 0 offset:132
	buffer_load_dword v87, off, s[0:3], 0 offset:140
	buffer_load_dword v88, off, s[0:3], 0 offset:148
	buffer_load_dword v89, off, s[0:3], 0 offset:156
	buffer_load_dword v90, off, s[0:3], 0 offset:164
	buffer_load_dword v91, off, s[0:3], 0 offset:172
	buffer_load_dword v92, off, s[0:3], 0 offset:180
	buffer_load_dword v93, off, s[0:3], 0 offset:188
	buffer_load_dword v94, off, s[0:3], 0 offset:196
	buffer_load_dword v95, off, s[0:3], 0 offset:204
	buffer_load_dword v96, off, s[0:3], 0 offset:212
	buffer_load_dword v97, off, s[0:3], 0 offset:220
	buffer_load_dword v98, off, s[0:3], 0 offset:120
	buffer_load_dword v99, off, s[0:3], 0 offset:128
	buffer_load_dword v100, off, s[0:3], 0 offset:136
	buffer_load_dword v101, off, s[0:3], 0 offset:144
	buffer_load_dword v102, off, s[0:3], 0 offset:152
	buffer_load_dword v103, off, s[0:3], 0 offset:160
	buffer_load_dword v104, off, s[0:3], 0 offset:168
	buffer_load_dword v105, off, s[0:3], 0 offset:176
	buffer_load_dword v106, off, s[0:3], 0 offset:184
	buffer_load_dword v107, off, s[0:3], 0 offset:192
	buffer_load_dword v108, off, s[0:3], 0 offset:200
	buffer_load_dword v109, off, s[0:3], 0 offset:208
	buffer_load_dword v110, off, s[0:3], 0 offset:216
	buffer_load_dword v111, off, s[0:3], 0 offset:112
	buffer_load_dword v112, off, s[0:3], 0 offset:116
	v_mov_b32_e32 v58, 0
	ds_read2_b64 v[59:62], v58 offset0:43 offset1:44
	ds_read2_b64 v[63:66], v58 offset0:45 offset1:46
	ds_read2_b64 v[67:70], v58 offset0:47 offset1:48
	ds_read2_b64 v[71:74], v58 offset0:49 offset1:50
	ds_read2_b64 v[75:78], v58 offset0:51 offset1:52
	ds_read2_b64 v[79:82], v58 offset0:53 offset1:54
	ds_read_b64 v[83:84], v58 offset:440
	s_mov_b32 s4, exec_lo
	s_waitcnt vmcnt(27) lgkmcnt(6)
	v_mul_f32_e32 v113, v59, v85
	v_mul_f32_e32 v85, v60, v85
	s_waitcnt vmcnt(26)
	v_mul_f32_e32 v114, v61, v86
	v_mul_f32_e32 v86, v62, v86
	s_waitcnt vmcnt(25) lgkmcnt(5)
	v_mul_f32_e32 v115, v63, v87
	s_waitcnt vmcnt(24)
	v_mul_f32_e32 v116, v65, v88
	s_waitcnt vmcnt(23) lgkmcnt(4)
	v_mul_f32_e32 v117, v67, v89
	s_waitcnt vmcnt(22)
	v_mul_f32_e32 v118, v69, v90
	s_waitcnt vmcnt(21) lgkmcnt(3)
	v_mul_f32_e32 v119, v71, v91
	s_waitcnt vmcnt(20)
	v_mul_f32_e32 v120, v73, v92
	s_waitcnt vmcnt(19) lgkmcnt(2)
	v_mul_f32_e32 v121, v75, v93
	s_waitcnt vmcnt(18)
	v_mul_f32_e32 v122, v77, v94
	s_waitcnt vmcnt(17) lgkmcnt(1)
	v_mul_f32_e32 v123, v79, v95
	s_waitcnt vmcnt(14)
	v_fma_f32 v59, v59, v98, -v85
	v_fmac_f32_e32 v113, v60, v98
	v_mul_f32_e32 v60, v64, v87
	s_waitcnt vmcnt(13)
	v_fma_f32 v61, v61, v99, -v86
	v_fmac_f32_e32 v114, v62, v99
	v_add_f32_e32 v59, 0, v59
	v_add_f32_e32 v62, 0, v113
	v_mul_f32_e32 v85, v66, v88
	s_waitcnt vmcnt(12)
	v_fma_f32 v60, v63, v100, -v60
	v_fmac_f32_e32 v115, v64, v100
	v_add_f32_e32 v59, v59, v61
	v_add_f32_e32 v61, v62, v114
	;; [unrolled: 6-line block ×9, first 2 shown]
	v_mul_f32_e32 v61, v82, v96
	s_waitcnt vmcnt(4)
	v_fma_f32 v62, v79, v108, -v62
	v_mul_f32_e32 v124, v81, v96
	v_add_f32_e32 v59, v59, v63
	v_fmac_f32_e32 v123, v80, v108
	v_add_f32_e32 v60, v60, v122
	s_waitcnt lgkmcnt(0)
	v_mul_f32_e32 v63, v84, v97
	s_waitcnt vmcnt(3)
	v_fma_f32 v61, v81, v109, -v61
	v_add_f32_e32 v59, v59, v62
	v_mul_f32_e32 v125, v83, v97
	v_fmac_f32_e32 v124, v82, v109
	v_add_f32_e32 v60, v60, v123
	s_waitcnt vmcnt(2)
	v_fma_f32 v62, v83, v110, -v63
	v_add_f32_e32 v59, v59, v61
	v_fmac_f32_e32 v125, v84, v110
	v_add_f32_e32 v60, v60, v124
	v_add_f32_e32 v59, v59, v62
	v_add_f32_e32 v60, v60, v125
	s_waitcnt vmcnt(1)
	v_sub_f32_e32 v59, v111, v59
	s_waitcnt vmcnt(0)
	v_sub_f32_e32 v60, v112, v60
	buffer_store_dword v59, off, s[0:3], 0 offset:112
	buffer_store_dword v60, off, s[0:3], 0 offset:116
	v_cmpx_lt_u32_e32 13, v0
	s_cbranch_execz .LBB27_155
; %bb.154:
	s_clause 0x1
	buffer_load_dword v59, off, s[0:3], 0 offset:104
	buffer_load_dword v60, off, s[0:3], 0 offset:108
	buffer_store_dword v58, off, s[0:3], 0 offset:104
	buffer_store_dword v58, off, s[0:3], 0 offset:108
	s_waitcnt vmcnt(0)
	ds_write_b64 v57, v[59:60]
.LBB27_155:
	s_or_b32 exec_lo, exec_lo, s4
	s_waitcnt lgkmcnt(0)
	s_waitcnt_vscnt null, 0x0
	s_barrier
	buffer_gl0_inv
	s_clause 0x1d
	buffer_load_dword v87, off, s[0:3], 0 offset:116
	buffer_load_dword v88, off, s[0:3], 0 offset:124
	;; [unrolled: 1-line block ×30, first 2 shown]
	ds_read_b128 v[59:62], v58 offset:336
	ds_read_b128 v[63:66], v58 offset:352
	;; [unrolled: 1-line block ×7, first 2 shown]
	s_mov_b32 s4, exec_lo
	s_waitcnt vmcnt(29) lgkmcnt(6)
	v_mul_f32_e32 v58, v59, v87
	v_mul_f32_e32 v87, v60, v87
	s_waitcnt vmcnt(28)
	v_mul_f32_e32 v117, v61, v88
	v_mul_f32_e32 v88, v62, v88
	s_waitcnt vmcnt(27) lgkmcnt(5)
	v_mul_f32_e32 v118, v63, v89
	s_waitcnt vmcnt(26)
	v_mul_f32_e32 v119, v65, v90
	s_waitcnt vmcnt(25) lgkmcnt(4)
	v_mul_f32_e32 v120, v67, v91
	s_waitcnt vmcnt(24)
	;; [unrolled: 4-line block ×5, first 2 shown]
	v_mul_f32_e32 v127, v81, v98
	s_waitcnt vmcnt(15)
	v_fma_f32 v59, v59, v101, -v87
	v_fmac_f32_e32 v58, v60, v101
	v_mul_f32_e32 v60, v64, v89
	s_waitcnt vmcnt(14)
	v_fma_f32 v61, v61, v102, -v88
	v_fmac_f32_e32 v117, v62, v102
	v_add_f32_e32 v59, 0, v59
	v_add_f32_e32 v58, 0, v58
	v_mul_f32_e32 v62, v66, v90
	s_waitcnt vmcnt(13)
	v_fma_f32 v60, v63, v103, -v60
	v_fmac_f32_e32 v118, v64, v103
	v_add_f32_e32 v59, v59, v61
	v_add_f32_e32 v58, v58, v117
	;; [unrolled: 6-line block ×10, first 2 shown]
	s_waitcnt lgkmcnt(0)
	v_mul_f32_e32 v62, v84, v99
	s_waitcnt vmcnt(4)
	v_fma_f32 v60, v81, v112, -v60
	v_mul_f32_e32 v128, v83, v99
	v_add_f32_e32 v59, v59, v61
	v_fmac_f32_e32 v127, v82, v112
	v_add_f32_e32 v58, v58, v126
	v_mul_f32_e32 v61, v86, v100
	s_waitcnt vmcnt(3)
	v_fma_f32 v62, v83, v113, -v62
	v_add_f32_e32 v59, v59, v60
	v_mul_f32_e32 v129, v85, v100
	v_fmac_f32_e32 v128, v84, v113
	v_add_f32_e32 v58, v58, v127
	s_waitcnt vmcnt(2)
	v_fma_f32 v60, v85, v114, -v61
	v_add_f32_e32 v59, v59, v62
	v_fmac_f32_e32 v129, v86, v114
	v_add_f32_e32 v58, v58, v128
	v_add_f32_e32 v59, v59, v60
	;; [unrolled: 1-line block ×3, first 2 shown]
	s_waitcnt vmcnt(1)
	v_sub_f32_e32 v59, v115, v59
	s_waitcnt vmcnt(0)
	v_sub_f32_e32 v58, v116, v58
	buffer_store_dword v59, off, s[0:3], 0 offset:104
	buffer_store_dword v58, off, s[0:3], 0 offset:108
	v_cmpx_lt_u32_e32 12, v0
	s_cbranch_execz .LBB27_157
; %bb.156:
	s_clause 0x1
	buffer_load_dword v58, off, s[0:3], 0 offset:96
	buffer_load_dword v59, off, s[0:3], 0 offset:100
	v_mov_b32_e32 v60, 0
	buffer_store_dword v60, off, s[0:3], 0 offset:96
	buffer_store_dword v60, off, s[0:3], 0 offset:100
	s_waitcnt vmcnt(0)
	ds_write_b64 v57, v[58:59]
.LBB27_157:
	s_or_b32 exec_lo, exec_lo, s4
	s_waitcnt lgkmcnt(0)
	s_waitcnt_vscnt null, 0x0
	s_barrier
	buffer_gl0_inv
	s_clause 0x1f
	buffer_load_dword v89, off, s[0:3], 0 offset:108
	buffer_load_dword v90, off, s[0:3], 0 offset:116
	;; [unrolled: 1-line block ×32, first 2 shown]
	v_mov_b32_e32 v58, 0
	ds_read2_b64 v[59:62], v58 offset0:41 offset1:42
	ds_read2_b64 v[63:66], v58 offset0:43 offset1:44
	;; [unrolled: 1-line block ×7, first 2 shown]
	ds_read_b64 v[87:88], v58 offset:440
	s_mov_b32 s4, exec_lo
	s_waitcnt vmcnt(31) lgkmcnt(7)
	v_mul_f32_e32 v121, v59, v89
	v_mul_f32_e32 v89, v60, v89
	s_waitcnt vmcnt(30)
	v_mul_f32_e32 v122, v61, v90
	v_mul_f32_e32 v90, v62, v90
	s_waitcnt vmcnt(29) lgkmcnt(6)
	v_mul_f32_e32 v123, v63, v91
	s_waitcnt vmcnt(28)
	v_mul_f32_e32 v124, v65, v92
	s_waitcnt vmcnt(27) lgkmcnt(5)
	v_mul_f32_e32 v125, v67, v93
	s_waitcnt vmcnt(26)
	;; [unrolled: 4-line block ×6, first 2 shown]
	v_fma_f32 v59, v59, v104, -v89
	v_fmac_f32_e32 v121, v60, v104
	v_mul_f32_e32 v60, v64, v91
	s_waitcnt vmcnt(15)
	v_fma_f32 v61, v61, v105, -v90
	v_fmac_f32_e32 v122, v62, v105
	v_add_f32_e32 v59, 0, v59
	v_add_f32_e32 v62, 0, v121
	v_mul_f32_e32 v89, v66, v92
	s_waitcnt vmcnt(14)
	v_fma_f32 v60, v63, v106, -v60
	v_fmac_f32_e32 v123, v64, v106
	v_add_f32_e32 v59, v59, v61
	v_add_f32_e32 v61, v62, v122
	;; [unrolled: 6-line block ×11, first 2 shown]
	v_mul_f32_e32 v62, v86, v102
	s_waitcnt vmcnt(4)
	v_fma_f32 v63, v83, v116, -v63
	v_mul_f32_e32 v134, v85, v102
	v_add_f32_e32 v59, v59, v61
	v_fmac_f32_e32 v133, v84, v116
	v_add_f32_e32 v60, v60, v132
	s_waitcnt lgkmcnt(0)
	v_mul_f32_e32 v61, v88, v103
	s_waitcnt vmcnt(3)
	v_fma_f32 v62, v85, v117, -v62
	v_add_f32_e32 v59, v59, v63
	v_mul_f32_e32 v135, v87, v103
	v_fmac_f32_e32 v134, v86, v117
	v_add_f32_e32 v60, v60, v133
	s_waitcnt vmcnt(2)
	v_fma_f32 v61, v87, v118, -v61
	v_add_f32_e32 v59, v59, v62
	v_fmac_f32_e32 v135, v88, v118
	v_add_f32_e32 v60, v60, v134
	v_add_f32_e32 v59, v59, v61
	;; [unrolled: 1-line block ×3, first 2 shown]
	s_waitcnt vmcnt(1)
	v_sub_f32_e32 v59, v119, v59
	s_waitcnt vmcnt(0)
	v_sub_f32_e32 v60, v120, v60
	buffer_store_dword v59, off, s[0:3], 0 offset:96
	buffer_store_dword v60, off, s[0:3], 0 offset:100
	v_cmpx_lt_u32_e32 11, v0
	s_cbranch_execz .LBB27_159
; %bb.158:
	s_clause 0x1
	buffer_load_dword v59, off, s[0:3], 0 offset:88
	buffer_load_dword v60, off, s[0:3], 0 offset:92
	buffer_store_dword v58, off, s[0:3], 0 offset:88
	buffer_store_dword v58, off, s[0:3], 0 offset:92
	s_waitcnt vmcnt(0)
	ds_write_b64 v57, v[59:60]
.LBB27_159:
	s_or_b32 exec_lo, exec_lo, s4
	s_waitcnt lgkmcnt(0)
	s_waitcnt_vscnt null, 0x0
	s_barrier
	buffer_gl0_inv
	s_clause 0x21
	buffer_load_dword v91, off, s[0:3], 0 offset:100
	buffer_load_dword v92, off, s[0:3], 0 offset:108
	;; [unrolled: 1-line block ×34, first 2 shown]
	ds_read_b128 v[59:62], v58 offset:320
	ds_read_b128 v[63:66], v58 offset:336
	;; [unrolled: 1-line block ×8, first 2 shown]
	s_mov_b32 s4, exec_lo
	s_waitcnt vmcnt(33) lgkmcnt(7)
	v_mul_f32_e32 v58, v59, v91
	v_mul_f32_e32 v91, v60, v91
	s_waitcnt vmcnt(32)
	v_mul_f32_e32 v125, v61, v92
	v_mul_f32_e32 v92, v62, v92
	s_waitcnt vmcnt(31) lgkmcnt(6)
	v_mul_f32_e32 v126, v63, v93
	s_waitcnt vmcnt(30)
	v_mul_f32_e32 v127, v65, v94
	s_waitcnt vmcnt(29) lgkmcnt(5)
	v_mul_f32_e32 v128, v67, v95
	s_waitcnt vmcnt(28)
	;; [unrolled: 4-line block ×6, first 2 shown]
	v_mul_f32_e32 v137, v85, v104
	s_waitcnt vmcnt(17)
	v_fma_f32 v59, v59, v107, -v91
	v_fmac_f32_e32 v58, v60, v107
	v_mul_f32_e32 v60, v64, v93
	s_waitcnt vmcnt(16)
	v_fma_f32 v61, v61, v108, -v92
	v_fmac_f32_e32 v125, v62, v108
	v_add_f32_e32 v59, 0, v59
	v_add_f32_e32 v58, 0, v58
	v_mul_f32_e32 v62, v66, v94
	s_waitcnt vmcnt(15)
	v_fma_f32 v60, v63, v109, -v60
	v_fmac_f32_e32 v126, v64, v109
	v_add_f32_e32 v59, v59, v61
	v_add_f32_e32 v58, v58, v125
	;; [unrolled: 6-line block ×12, first 2 shown]
	s_waitcnt lgkmcnt(0)
	v_mul_f32_e32 v60, v88, v105
	s_waitcnt vmcnt(4)
	v_fma_f32 v61, v85, v120, -v61
	v_mul_f32_e32 v138, v87, v105
	v_add_f32_e32 v59, v59, v62
	v_fmac_f32_e32 v137, v86, v120
	v_add_f32_e32 v58, v58, v136
	v_mul_f32_e32 v62, v90, v106
	s_waitcnt vmcnt(3)
	v_fma_f32 v60, v87, v121, -v60
	v_add_f32_e32 v59, v59, v61
	v_mul_f32_e32 v139, v89, v106
	v_fmac_f32_e32 v138, v88, v121
	v_add_f32_e32 v58, v58, v137
	s_waitcnt vmcnt(2)
	v_fma_f32 v61, v89, v122, -v62
	v_add_f32_e32 v59, v59, v60
	v_fmac_f32_e32 v139, v90, v122
	v_add_f32_e32 v58, v58, v138
	v_add_f32_e32 v59, v59, v61
	;; [unrolled: 1-line block ×3, first 2 shown]
	s_waitcnt vmcnt(1)
	v_sub_f32_e32 v59, v123, v59
	s_waitcnt vmcnt(0)
	v_sub_f32_e32 v58, v124, v58
	buffer_store_dword v59, off, s[0:3], 0 offset:88
	buffer_store_dword v58, off, s[0:3], 0 offset:92
	v_cmpx_lt_u32_e32 10, v0
	s_cbranch_execz .LBB27_161
; %bb.160:
	s_clause 0x1
	buffer_load_dword v58, off, s[0:3], 0 offset:80
	buffer_load_dword v59, off, s[0:3], 0 offset:84
	v_mov_b32_e32 v60, 0
	buffer_store_dword v60, off, s[0:3], 0 offset:80
	buffer_store_dword v60, off, s[0:3], 0 offset:84
	s_waitcnt vmcnt(0)
	ds_write_b64 v57, v[58:59]
.LBB27_161:
	s_or_b32 exec_lo, exec_lo, s4
	s_waitcnt lgkmcnt(0)
	s_waitcnt_vscnt null, 0x0
	s_barrier
	buffer_gl0_inv
	s_clause 0x23
	buffer_load_dword v93, off, s[0:3], 0 offset:92
	buffer_load_dword v94, off, s[0:3], 0 offset:100
	;; [unrolled: 1-line block ×36, first 2 shown]
	v_mov_b32_e32 v58, 0
	ds_read2_b64 v[59:62], v58 offset0:39 offset1:40
	ds_read2_b64 v[63:66], v58 offset0:41 offset1:42
	;; [unrolled: 1-line block ×8, first 2 shown]
	ds_read_b64 v[91:92], v58 offset:440
	s_mov_b32 s4, exec_lo
	s_waitcnt vmcnt(35) lgkmcnt(8)
	v_mul_f32_e32 v129, v59, v93
	v_mul_f32_e32 v93, v60, v93
	s_waitcnt vmcnt(34)
	v_mul_f32_e32 v130, v61, v94
	v_mul_f32_e32 v94, v62, v94
	s_waitcnt vmcnt(33) lgkmcnt(7)
	v_mul_f32_e32 v131, v63, v95
	s_waitcnt vmcnt(32)
	v_mul_f32_e32 v132, v65, v96
	s_waitcnt vmcnt(31) lgkmcnt(6)
	v_mul_f32_e32 v133, v67, v97
	s_waitcnt vmcnt(30)
	;; [unrolled: 4-line block ×7, first 2 shown]
	v_fma_f32 v59, v59, v110, -v93
	v_fmac_f32_e32 v129, v60, v110
	v_mul_f32_e32 v60, v64, v95
	s_waitcnt vmcnt(17)
	v_fma_f32 v61, v61, v111, -v94
	v_fmac_f32_e32 v130, v62, v111
	v_add_f32_e32 v59, 0, v59
	v_add_f32_e32 v62, 0, v129
	v_mul_f32_e32 v93, v66, v96
	s_waitcnt vmcnt(16)
	v_fma_f32 v60, v63, v112, -v60
	v_fmac_f32_e32 v131, v64, v112
	v_add_f32_e32 v59, v59, v61
	v_add_f32_e32 v61, v62, v130
	;; [unrolled: 6-line block ×13, first 2 shown]
	v_mul_f32_e32 v63, v90, v108
	s_waitcnt vmcnt(4)
	v_fma_f32 v61, v87, v124, -v61
	v_mul_f32_e32 v144, v89, v108
	v_add_f32_e32 v59, v59, v62
	v_fmac_f32_e32 v143, v88, v124
	v_add_f32_e32 v60, v60, v142
	s_waitcnt lgkmcnt(0)
	v_mul_f32_e32 v62, v92, v109
	s_waitcnt vmcnt(3)
	v_fma_f32 v63, v89, v125, -v63
	v_add_f32_e32 v59, v59, v61
	v_mul_f32_e32 v145, v91, v109
	v_fmac_f32_e32 v144, v90, v125
	v_add_f32_e32 v60, v60, v143
	s_waitcnt vmcnt(2)
	v_fma_f32 v61, v91, v126, -v62
	v_add_f32_e32 v59, v59, v63
	v_fmac_f32_e32 v145, v92, v126
	v_add_f32_e32 v60, v60, v144
	v_add_f32_e32 v59, v59, v61
	v_add_f32_e32 v60, v60, v145
	s_waitcnt vmcnt(1)
	v_sub_f32_e32 v59, v127, v59
	s_waitcnt vmcnt(0)
	v_sub_f32_e32 v60, v128, v60
	buffer_store_dword v59, off, s[0:3], 0 offset:80
	buffer_store_dword v60, off, s[0:3], 0 offset:84
	v_cmpx_lt_u32_e32 9, v0
	s_cbranch_execz .LBB27_163
; %bb.162:
	s_clause 0x1
	buffer_load_dword v59, off, s[0:3], 0 offset:72
	buffer_load_dword v60, off, s[0:3], 0 offset:76
	buffer_store_dword v58, off, s[0:3], 0 offset:72
	buffer_store_dword v58, off, s[0:3], 0 offset:76
	s_waitcnt vmcnt(0)
	ds_write_b64 v57, v[59:60]
.LBB27_163:
	s_or_b32 exec_lo, exec_lo, s4
	s_waitcnt lgkmcnt(0)
	s_waitcnt_vscnt null, 0x0
	s_barrier
	buffer_gl0_inv
	s_clause 0x25
	buffer_load_dword v95, off, s[0:3], 0 offset:84
	buffer_load_dword v96, off, s[0:3], 0 offset:92
	;; [unrolled: 1-line block ×38, first 2 shown]
	ds_read_b128 v[59:62], v58 offset:304
	ds_read_b128 v[63:66], v58 offset:320
	ds_read_b128 v[67:70], v58 offset:336
	ds_read_b128 v[71:74], v58 offset:352
	ds_read_b128 v[75:78], v58 offset:368
	ds_read_b128 v[79:82], v58 offset:384
	ds_read_b128 v[83:86], v58 offset:400
	ds_read_b128 v[87:90], v58 offset:416
	ds_read_b128 v[91:94], v58 offset:432
	s_mov_b32 s4, exec_lo
	s_waitcnt vmcnt(37) lgkmcnt(8)
	v_mul_f32_e32 v58, v59, v95
	v_mul_f32_e32 v95, v60, v95
	s_waitcnt vmcnt(36)
	v_mul_f32_e32 v133, v61, v96
	v_mul_f32_e32 v96, v62, v96
	s_waitcnt vmcnt(35) lgkmcnt(7)
	v_mul_f32_e32 v134, v63, v97
	s_waitcnt vmcnt(34)
	v_mul_f32_e32 v135, v65, v98
	s_waitcnt vmcnt(33) lgkmcnt(6)
	v_mul_f32_e32 v136, v67, v99
	s_waitcnt vmcnt(32)
	;; [unrolled: 4-line block ×7, first 2 shown]
	v_mul_f32_e32 v147, v89, v110
	s_waitcnt vmcnt(19)
	v_fma_f32 v59, v59, v113, -v95
	v_fmac_f32_e32 v58, v60, v113
	v_mul_f32_e32 v60, v64, v97
	s_waitcnt vmcnt(18)
	v_fma_f32 v61, v61, v114, -v96
	v_fmac_f32_e32 v133, v62, v114
	v_add_f32_e32 v59, 0, v59
	v_add_f32_e32 v58, 0, v58
	v_mul_f32_e32 v62, v66, v98
	s_waitcnt vmcnt(17)
	v_fma_f32 v60, v63, v115, -v60
	v_fmac_f32_e32 v134, v64, v115
	v_add_f32_e32 v59, v59, v61
	v_add_f32_e32 v58, v58, v133
	;; [unrolled: 6-line block ×14, first 2 shown]
	s_waitcnt lgkmcnt(0)
	v_mul_f32_e32 v61, v92, v111
	s_waitcnt vmcnt(4)
	v_fma_f32 v62, v89, v128, -v62
	v_mul_f32_e32 v148, v91, v111
	v_add_f32_e32 v59, v59, v60
	v_fmac_f32_e32 v147, v90, v128
	v_add_f32_e32 v58, v58, v146
	v_mul_f32_e32 v60, v94, v112
	s_waitcnt vmcnt(3)
	v_fma_f32 v61, v91, v129, -v61
	v_add_f32_e32 v59, v59, v62
	v_mul_f32_e32 v149, v93, v112
	v_fmac_f32_e32 v148, v92, v129
	v_add_f32_e32 v58, v58, v147
	s_waitcnt vmcnt(2)
	v_fma_f32 v60, v93, v130, -v60
	v_add_f32_e32 v59, v59, v61
	v_fmac_f32_e32 v149, v94, v130
	v_add_f32_e32 v58, v58, v148
	v_add_f32_e32 v59, v59, v60
	;; [unrolled: 1-line block ×3, first 2 shown]
	s_waitcnt vmcnt(1)
	v_sub_f32_e32 v59, v131, v59
	s_waitcnt vmcnt(0)
	v_sub_f32_e32 v58, v132, v58
	buffer_store_dword v59, off, s[0:3], 0 offset:72
	buffer_store_dword v58, off, s[0:3], 0 offset:76
	v_cmpx_lt_u32_e32 8, v0
	s_cbranch_execz .LBB27_165
; %bb.164:
	s_clause 0x1
	buffer_load_dword v58, off, s[0:3], 0 offset:64
	buffer_load_dword v59, off, s[0:3], 0 offset:68
	v_mov_b32_e32 v60, 0
	buffer_store_dword v60, off, s[0:3], 0 offset:64
	buffer_store_dword v60, off, s[0:3], 0 offset:68
	s_waitcnt vmcnt(0)
	ds_write_b64 v57, v[58:59]
.LBB27_165:
	s_or_b32 exec_lo, exec_lo, s4
	s_waitcnt lgkmcnt(0)
	s_waitcnt_vscnt null, 0x0
	s_barrier
	buffer_gl0_inv
	s_clause 0x27
	buffer_load_dword v97, off, s[0:3], 0 offset:76
	buffer_load_dword v98, off, s[0:3], 0 offset:84
	;; [unrolled: 1-line block ×40, first 2 shown]
	v_mov_b32_e32 v58, 0
	ds_read2_b64 v[59:62], v58 offset0:37 offset1:38
	ds_read2_b64 v[63:66], v58 offset0:39 offset1:40
	ds_read2_b64 v[67:70], v58 offset0:41 offset1:42
	ds_read2_b64 v[71:74], v58 offset0:43 offset1:44
	ds_read2_b64 v[75:78], v58 offset0:45 offset1:46
	ds_read2_b64 v[79:82], v58 offset0:47 offset1:48
	ds_read2_b64 v[83:86], v58 offset0:49 offset1:50
	ds_read2_b64 v[87:90], v58 offset0:51 offset1:52
	ds_read2_b64 v[91:94], v58 offset0:53 offset1:54
	ds_read_b64 v[95:96], v58 offset:440
	s_mov_b32 s4, exec_lo
	s_waitcnt vmcnt(39) lgkmcnt(9)
	v_mul_f32_e32 v137, v59, v97
	v_mul_f32_e32 v97, v60, v97
	s_waitcnt vmcnt(38)
	v_mul_f32_e32 v138, v61, v98
	v_mul_f32_e32 v98, v62, v98
	s_waitcnt vmcnt(37) lgkmcnt(8)
	v_mul_f32_e32 v139, v63, v99
	s_waitcnt vmcnt(36)
	v_mul_f32_e32 v140, v65, v100
	s_waitcnt vmcnt(35) lgkmcnt(7)
	v_mul_f32_e32 v141, v67, v101
	s_waitcnt vmcnt(34)
	;; [unrolled: 4-line block ×8, first 2 shown]
	v_fma_f32 v59, v59, v116, -v97
	v_fmac_f32_e32 v137, v60, v116
	v_mul_f32_e32 v60, v64, v99
	s_waitcnt vmcnt(19)
	v_fma_f32 v61, v61, v117, -v98
	v_fmac_f32_e32 v138, v62, v117
	v_add_f32_e32 v59, 0, v59
	v_add_f32_e32 v62, 0, v137
	v_mul_f32_e32 v97, v66, v100
	s_waitcnt vmcnt(18)
	v_fma_f32 v60, v63, v118, -v60
	v_fmac_f32_e32 v139, v64, v118
	v_add_f32_e32 v59, v59, v61
	v_add_f32_e32 v61, v62, v138
	;; [unrolled: 6-line block ×15, first 2 shown]
	v_mul_f32_e32 v61, v94, v114
	s_waitcnt vmcnt(4)
	v_fma_f32 v62, v91, v132, -v62
	v_mul_f32_e32 v154, v93, v114
	v_add_f32_e32 v59, v59, v63
	v_fmac_f32_e32 v153, v92, v132
	v_add_f32_e32 v60, v60, v152
	s_waitcnt lgkmcnt(0)
	v_mul_f32_e32 v63, v96, v115
	s_waitcnt vmcnt(3)
	v_fma_f32 v61, v93, v133, -v61
	v_add_f32_e32 v59, v59, v62
	v_mul_f32_e32 v155, v95, v115
	v_fmac_f32_e32 v154, v94, v133
	v_add_f32_e32 v60, v60, v153
	s_waitcnt vmcnt(2)
	v_fma_f32 v62, v95, v134, -v63
	v_add_f32_e32 v59, v59, v61
	v_fmac_f32_e32 v155, v96, v134
	v_add_f32_e32 v60, v60, v154
	v_add_f32_e32 v59, v59, v62
	;; [unrolled: 1-line block ×3, first 2 shown]
	s_waitcnt vmcnt(1)
	v_sub_f32_e32 v59, v135, v59
	s_waitcnt vmcnt(0)
	v_sub_f32_e32 v60, v136, v60
	buffer_store_dword v59, off, s[0:3], 0 offset:64
	buffer_store_dword v60, off, s[0:3], 0 offset:68
	v_cmpx_lt_u32_e32 7, v0
	s_cbranch_execz .LBB27_167
; %bb.166:
	s_clause 0x1
	buffer_load_dword v59, off, s[0:3], 0 offset:56
	buffer_load_dword v60, off, s[0:3], 0 offset:60
	buffer_store_dword v58, off, s[0:3], 0 offset:56
	buffer_store_dword v58, off, s[0:3], 0 offset:60
	s_waitcnt vmcnt(0)
	ds_write_b64 v57, v[59:60]
.LBB27_167:
	s_or_b32 exec_lo, exec_lo, s4
	s_waitcnt lgkmcnt(0)
	s_waitcnt_vscnt null, 0x0
	s_barrier
	buffer_gl0_inv
	s_clause 0x29
	buffer_load_dword v99, off, s[0:3], 0 offset:68
	buffer_load_dword v100, off, s[0:3], 0 offset:76
	;; [unrolled: 1-line block ×42, first 2 shown]
	ds_read_b128 v[59:62], v58 offset:288
	ds_read_b128 v[63:66], v58 offset:304
	;; [unrolled: 1-line block ×10, first 2 shown]
	s_mov_b32 s4, exec_lo
	s_waitcnt vmcnt(41) lgkmcnt(9)
	v_mul_f32_e32 v58, v59, v99
	v_mul_f32_e32 v99, v60, v99
	s_waitcnt vmcnt(40)
	v_mul_f32_e32 v141, v61, v100
	v_mul_f32_e32 v100, v62, v100
	s_waitcnt vmcnt(39) lgkmcnt(8)
	v_mul_f32_e32 v142, v63, v101
	s_waitcnt vmcnt(38)
	v_mul_f32_e32 v143, v65, v102
	s_waitcnt vmcnt(37) lgkmcnt(7)
	v_mul_f32_e32 v144, v67, v103
	s_waitcnt vmcnt(36)
	;; [unrolled: 4-line block ×8, first 2 shown]
	v_mul_f32_e32 v157, v93, v116
	s_waitcnt vmcnt(21)
	v_fma_f32 v59, v59, v119, -v99
	v_fmac_f32_e32 v58, v60, v119
	v_mul_f32_e32 v60, v64, v101
	s_waitcnt vmcnt(20)
	v_fma_f32 v61, v61, v120, -v100
	v_fmac_f32_e32 v141, v62, v120
	v_add_f32_e32 v59, 0, v59
	v_add_f32_e32 v58, 0, v58
	v_mul_f32_e32 v62, v66, v102
	s_waitcnt vmcnt(19)
	v_fma_f32 v60, v63, v121, -v60
	v_fmac_f32_e32 v142, v64, v121
	v_add_f32_e32 v59, v59, v61
	v_add_f32_e32 v58, v58, v141
	;; [unrolled: 6-line block ×16, first 2 shown]
	s_waitcnt lgkmcnt(0)
	v_mul_f32_e32 v62, v96, v117
	s_waitcnt vmcnt(4)
	v_fma_f32 v60, v93, v136, -v60
	v_mul_f32_e32 v158, v95, v117
	v_add_f32_e32 v59, v59, v61
	v_fmac_f32_e32 v157, v94, v136
	v_add_f32_e32 v58, v58, v156
	v_mul_f32_e32 v61, v98, v118
	s_waitcnt vmcnt(3)
	v_fma_f32 v62, v95, v137, -v62
	v_add_f32_e32 v59, v59, v60
	v_mul_f32_e32 v159, v97, v118
	v_fmac_f32_e32 v158, v96, v137
	v_add_f32_e32 v58, v58, v157
	s_waitcnt vmcnt(2)
	v_fma_f32 v60, v97, v138, -v61
	v_add_f32_e32 v59, v59, v62
	v_fmac_f32_e32 v159, v98, v138
	v_add_f32_e32 v58, v58, v158
	v_add_f32_e32 v59, v59, v60
	;; [unrolled: 1-line block ×3, first 2 shown]
	s_waitcnt vmcnt(1)
	v_sub_f32_e32 v59, v139, v59
	s_waitcnt vmcnt(0)
	v_sub_f32_e32 v58, v140, v58
	buffer_store_dword v59, off, s[0:3], 0 offset:56
	buffer_store_dword v58, off, s[0:3], 0 offset:60
	v_cmpx_lt_u32_e32 6, v0
	s_cbranch_execz .LBB27_169
; %bb.168:
	s_clause 0x1
	buffer_load_dword v58, off, s[0:3], 0 offset:48
	buffer_load_dword v59, off, s[0:3], 0 offset:52
	v_mov_b32_e32 v60, 0
	buffer_store_dword v60, off, s[0:3], 0 offset:48
	buffer_store_dword v60, off, s[0:3], 0 offset:52
	s_waitcnt vmcnt(0)
	ds_write_b64 v57, v[58:59]
.LBB27_169:
	s_or_b32 exec_lo, exec_lo, s4
	s_waitcnt lgkmcnt(0)
	s_waitcnt_vscnt null, 0x0
	s_barrier
	buffer_gl0_inv
	s_clause 0x2b
	buffer_load_dword v101, off, s[0:3], 0 offset:60
	buffer_load_dword v102, off, s[0:3], 0 offset:68
	;; [unrolled: 1-line block ×44, first 2 shown]
	v_mov_b32_e32 v58, 0
	ds_read2_b64 v[59:62], v58 offset0:35 offset1:36
	ds_read2_b64 v[63:66], v58 offset0:37 offset1:38
	ds_read2_b64 v[67:70], v58 offset0:39 offset1:40
	ds_read2_b64 v[71:74], v58 offset0:41 offset1:42
	ds_read2_b64 v[75:78], v58 offset0:43 offset1:44
	ds_read2_b64 v[79:82], v58 offset0:45 offset1:46
	ds_read2_b64 v[83:86], v58 offset0:47 offset1:48
	ds_read2_b64 v[87:90], v58 offset0:49 offset1:50
	ds_read2_b64 v[91:94], v58 offset0:51 offset1:52
	ds_read2_b64 v[95:98], v58 offset0:53 offset1:54
	ds_read_b64 v[99:100], v58 offset:440
	s_mov_b32 s4, exec_lo
	s_waitcnt vmcnt(43) lgkmcnt(10)
	v_mul_f32_e32 v145, v59, v101
	v_mul_f32_e32 v101, v60, v101
	s_waitcnt vmcnt(42)
	v_mul_f32_e32 v146, v61, v102
	v_mul_f32_e32 v102, v62, v102
	s_waitcnt vmcnt(41) lgkmcnt(9)
	v_mul_f32_e32 v147, v63, v103
	s_waitcnt vmcnt(40)
	v_mul_f32_e32 v148, v65, v104
	s_waitcnt vmcnt(39) lgkmcnt(8)
	v_mul_f32_e32 v149, v67, v105
	s_waitcnt vmcnt(38)
	;; [unrolled: 4-line block ×9, first 2 shown]
	v_fma_f32 v59, v59, v122, -v101
	v_fmac_f32_e32 v145, v60, v122
	v_mul_f32_e32 v60, v64, v103
	s_waitcnt vmcnt(21)
	v_fma_f32 v61, v61, v123, -v102
	v_fmac_f32_e32 v146, v62, v123
	v_add_f32_e32 v59, 0, v59
	v_add_f32_e32 v62, 0, v145
	v_mul_f32_e32 v101, v66, v104
	s_waitcnt vmcnt(20)
	v_fma_f32 v60, v63, v124, -v60
	v_fmac_f32_e32 v147, v64, v124
	v_add_f32_e32 v59, v59, v61
	v_add_f32_e32 v61, v62, v146
	v_mul_f32_e32 v62, v68, v105
	s_waitcnt vmcnt(19)
	v_fma_f32 v63, v65, v125, -v101
	v_fmac_f32_e32 v148, v66, v125
	v_add_f32_e32 v59, v59, v60
	v_add_f32_e32 v60, v61, v147
	v_mul_f32_e32 v61, v70, v106
	s_waitcnt vmcnt(18)
	v_fma_f32 v62, v67, v126, -v62
	v_fmac_f32_e32 v149, v68, v126
	v_add_f32_e32 v59, v59, v63
	v_add_f32_e32 v60, v60, v148
	v_mul_f32_e32 v63, v72, v107
	s_waitcnt vmcnt(17)
	v_fma_f32 v61, v69, v127, -v61
	v_fmac_f32_e32 v150, v70, v127
	v_add_f32_e32 v59, v59, v62
	v_add_f32_e32 v60, v60, v149
	v_mul_f32_e32 v62, v74, v108
	s_waitcnt vmcnt(16)
	v_fma_f32 v63, v71, v128, -v63
	v_fmac_f32_e32 v151, v72, v128
	v_add_f32_e32 v59, v59, v61
	v_add_f32_e32 v60, v60, v150
	v_mul_f32_e32 v61, v76, v109
	s_waitcnt vmcnt(15)
	v_fma_f32 v62, v73, v129, -v62
	v_fmac_f32_e32 v152, v74, v129
	v_add_f32_e32 v59, v59, v63
	v_add_f32_e32 v60, v60, v151
	v_mul_f32_e32 v63, v78, v110
	s_waitcnt vmcnt(14)
	v_fma_f32 v61, v75, v130, -v61
	v_fmac_f32_e32 v153, v76, v130
	v_add_f32_e32 v59, v59, v62
	v_add_f32_e32 v60, v60, v152
	v_mul_f32_e32 v62, v80, v111
	s_waitcnt vmcnt(13)
	v_fma_f32 v63, v77, v131, -v63
	v_fmac_f32_e32 v154, v78, v131
	v_add_f32_e32 v59, v59, v61
	v_add_f32_e32 v60, v60, v153
	v_mul_f32_e32 v61, v82, v112
	s_waitcnt vmcnt(12)
	v_fma_f32 v62, v79, v132, -v62
	v_fmac_f32_e32 v155, v80, v132
	v_add_f32_e32 v59, v59, v63
	v_add_f32_e32 v60, v60, v154
	v_mul_f32_e32 v63, v84, v113
	s_waitcnt vmcnt(11)
	v_fma_f32 v61, v81, v133, -v61
	v_fmac_f32_e32 v156, v82, v133
	v_add_f32_e32 v59, v59, v62
	v_add_f32_e32 v60, v60, v155
	v_mul_f32_e32 v62, v86, v114
	s_waitcnt vmcnt(10)
	v_fma_f32 v63, v83, v134, -v63
	v_fmac_f32_e32 v157, v84, v134
	v_add_f32_e32 v59, v59, v61
	v_add_f32_e32 v60, v60, v156
	v_mul_f32_e32 v61, v88, v115
	s_waitcnt vmcnt(9)
	v_fma_f32 v62, v85, v135, -v62
	v_fmac_f32_e32 v158, v86, v135
	v_add_f32_e32 v59, v59, v63
	v_add_f32_e32 v60, v60, v157
	v_mul_f32_e32 v63, v90, v116
	s_waitcnt vmcnt(8)
	v_fma_f32 v61, v87, v136, -v61
	v_fmac_f32_e32 v159, v88, v136
	v_add_f32_e32 v59, v59, v62
	v_add_f32_e32 v60, v60, v158
	v_mul_f32_e32 v62, v92, v117
	s_waitcnt vmcnt(7)
	v_fma_f32 v63, v89, v137, -v63
	v_fmac_f32_e32 v160, v90, v137
	v_add_f32_e32 v59, v59, v61
	v_add_f32_e32 v60, v60, v159
	v_mul_f32_e32 v61, v94, v118
	s_waitcnt vmcnt(6)
	v_fma_f32 v62, v91, v138, -v62
	v_fmac_f32_e32 v161, v92, v138
	v_add_f32_e32 v59, v59, v63
	v_add_f32_e32 v60, v60, v160
	v_mul_f32_e32 v63, v96, v119
	s_waitcnt vmcnt(5)
	v_fma_f32 v61, v93, v139, -v61
	v_fmac_f32_e32 v162, v94, v139
	v_add_f32_e32 v59, v59, v62
	v_add_f32_e32 v60, v60, v161
	v_mul_f32_e32 v62, v98, v120
	s_waitcnt vmcnt(4)
	v_fma_f32 v63, v95, v140, -v63
	v_mul_f32_e32 v164, v97, v120
	v_add_f32_e32 v59, v59, v61
	v_fmac_f32_e32 v163, v96, v140
	v_add_f32_e32 v60, v60, v162
	s_waitcnt lgkmcnt(0)
	v_mul_f32_e32 v61, v100, v121
	s_waitcnt vmcnt(3)
	v_fma_f32 v62, v97, v141, -v62
	v_add_f32_e32 v59, v59, v63
	v_mul_f32_e32 v165, v99, v121
	v_fmac_f32_e32 v164, v98, v141
	v_add_f32_e32 v60, v60, v163
	s_waitcnt vmcnt(2)
	v_fma_f32 v61, v99, v142, -v61
	v_add_f32_e32 v59, v59, v62
	v_fmac_f32_e32 v165, v100, v142
	v_add_f32_e32 v60, v60, v164
	v_add_f32_e32 v59, v59, v61
	;; [unrolled: 1-line block ×3, first 2 shown]
	s_waitcnt vmcnt(1)
	v_sub_f32_e32 v59, v143, v59
	s_waitcnt vmcnt(0)
	v_sub_f32_e32 v60, v144, v60
	buffer_store_dword v59, off, s[0:3], 0 offset:48
	buffer_store_dword v60, off, s[0:3], 0 offset:52
	v_cmpx_lt_u32_e32 5, v0
	s_cbranch_execz .LBB27_171
; %bb.170:
	s_clause 0x1
	buffer_load_dword v59, off, s[0:3], 0 offset:40
	buffer_load_dword v60, off, s[0:3], 0 offset:44
	buffer_store_dword v58, off, s[0:3], 0 offset:40
	buffer_store_dword v58, off, s[0:3], 0 offset:44
	s_waitcnt vmcnt(0)
	ds_write_b64 v57, v[59:60]
.LBB27_171:
	s_or_b32 exec_lo, exec_lo, s4
	s_waitcnt lgkmcnt(0)
	s_waitcnt_vscnt null, 0x0
	s_barrier
	buffer_gl0_inv
	s_clause 0x2d
	buffer_load_dword v103, off, s[0:3], 0 offset:52
	buffer_load_dword v104, off, s[0:3], 0 offset:60
	;; [unrolled: 1-line block ×46, first 2 shown]
	ds_read_b128 v[59:62], v58 offset:272
	ds_read_b128 v[63:66], v58 offset:288
	;; [unrolled: 1-line block ×11, first 2 shown]
	s_mov_b32 s4, exec_lo
	s_waitcnt vmcnt(45) lgkmcnt(10)
	v_mul_f32_e32 v58, v59, v103
	v_mul_f32_e32 v103, v60, v103
	s_waitcnt vmcnt(44)
	v_mul_f32_e32 v149, v61, v104
	v_mul_f32_e32 v104, v62, v104
	s_waitcnt vmcnt(43) lgkmcnt(9)
	v_mul_f32_e32 v150, v63, v105
	s_waitcnt vmcnt(42)
	v_mul_f32_e32 v151, v65, v106
	s_waitcnt vmcnt(41) lgkmcnt(8)
	v_mul_f32_e32 v152, v67, v107
	s_waitcnt vmcnt(40)
	;; [unrolled: 4-line block ×9, first 2 shown]
	v_mul_f32_e32 v167, v97, v122
	s_waitcnt vmcnt(23)
	v_fma_f32 v59, v59, v125, -v103
	v_fmac_f32_e32 v58, v60, v125
	v_mul_f32_e32 v60, v64, v105
	s_waitcnt vmcnt(22)
	v_fma_f32 v61, v61, v126, -v104
	v_fmac_f32_e32 v149, v62, v126
	v_add_f32_e32 v59, 0, v59
	v_add_f32_e32 v58, 0, v58
	v_mul_f32_e32 v62, v66, v106
	s_waitcnt vmcnt(21)
	v_fma_f32 v60, v63, v127, -v60
	v_fmac_f32_e32 v150, v64, v127
	v_add_f32_e32 v59, v59, v61
	v_add_f32_e32 v58, v58, v149
	;; [unrolled: 6-line block ×18, first 2 shown]
	s_waitcnt lgkmcnt(0)
	v_mul_f32_e32 v60, v100, v123
	s_waitcnt vmcnt(4)
	v_fma_f32 v61, v97, v144, -v61
	v_mul_f32_e32 v168, v99, v123
	v_add_f32_e32 v59, v59, v62
	v_fmac_f32_e32 v167, v98, v144
	v_add_f32_e32 v58, v58, v166
	v_mul_f32_e32 v62, v102, v124
	s_waitcnt vmcnt(3)
	v_fma_f32 v60, v99, v145, -v60
	v_add_f32_e32 v59, v59, v61
	v_mul_f32_e32 v169, v101, v124
	v_fmac_f32_e32 v168, v100, v145
	v_add_f32_e32 v58, v58, v167
	s_waitcnt vmcnt(2)
	v_fma_f32 v61, v101, v146, -v62
	v_add_f32_e32 v59, v59, v60
	v_fmac_f32_e32 v169, v102, v146
	v_add_f32_e32 v58, v58, v168
	v_add_f32_e32 v59, v59, v61
	;; [unrolled: 1-line block ×3, first 2 shown]
	s_waitcnt vmcnt(1)
	v_sub_f32_e32 v59, v147, v59
	s_waitcnt vmcnt(0)
	v_sub_f32_e32 v58, v148, v58
	buffer_store_dword v59, off, s[0:3], 0 offset:40
	buffer_store_dword v58, off, s[0:3], 0 offset:44
	v_cmpx_lt_u32_e32 4, v0
	s_cbranch_execz .LBB27_173
; %bb.172:
	s_clause 0x1
	buffer_load_dword v58, off, s[0:3], 0 offset:32
	buffer_load_dword v59, off, s[0:3], 0 offset:36
	v_mov_b32_e32 v60, 0
	buffer_store_dword v60, off, s[0:3], 0 offset:32
	buffer_store_dword v60, off, s[0:3], 0 offset:36
	s_waitcnt vmcnt(0)
	ds_write_b64 v57, v[58:59]
.LBB27_173:
	s_or_b32 exec_lo, exec_lo, s4
	s_waitcnt lgkmcnt(0)
	s_waitcnt_vscnt null, 0x0
	s_barrier
	buffer_gl0_inv
	s_clause 0x2f
	buffer_load_dword v105, off, s[0:3], 0 offset:44
	buffer_load_dword v106, off, s[0:3], 0 offset:52
	;; [unrolled: 1-line block ×48, first 2 shown]
	v_mov_b32_e32 v58, 0
	ds_read2_b64 v[59:62], v58 offset0:33 offset1:34
	ds_read2_b64 v[63:66], v58 offset0:35 offset1:36
	;; [unrolled: 1-line block ×11, first 2 shown]
	ds_read_b64 v[103:104], v58 offset:440
	s_mov_b32 s4, exec_lo
	s_waitcnt vmcnt(47) lgkmcnt(11)
	v_mul_f32_e32 v153, v59, v105
	v_mul_f32_e32 v105, v60, v105
	s_waitcnt vmcnt(46)
	v_mul_f32_e32 v154, v61, v106
	v_mul_f32_e32 v106, v62, v106
	s_waitcnt vmcnt(45) lgkmcnt(10)
	v_mul_f32_e32 v155, v63, v107
	s_waitcnt vmcnt(44)
	v_mul_f32_e32 v156, v65, v108
	s_waitcnt vmcnt(43) lgkmcnt(9)
	v_mul_f32_e32 v157, v67, v109
	s_waitcnt vmcnt(42)
	;; [unrolled: 4-line block ×10, first 2 shown]
	v_fma_f32 v59, v59, v128, -v105
	v_fmac_f32_e32 v153, v60, v128
	v_mul_f32_e32 v60, v64, v107
	s_waitcnt vmcnt(23)
	v_fma_f32 v61, v61, v129, -v106
	v_fmac_f32_e32 v154, v62, v129
	v_add_f32_e32 v59, 0, v59
	v_add_f32_e32 v62, 0, v153
	v_mul_f32_e32 v105, v66, v108
	s_waitcnt vmcnt(22)
	v_fma_f32 v60, v63, v130, -v60
	v_fmac_f32_e32 v155, v64, v130
	v_add_f32_e32 v59, v59, v61
	v_add_f32_e32 v61, v62, v154
	;; [unrolled: 6-line block ×19, first 2 shown]
	v_mul_f32_e32 v63, v102, v126
	s_waitcnt vmcnt(4)
	v_fma_f32 v61, v99, v148, -v61
	v_mul_f32_e32 v174, v101, v126
	v_add_f32_e32 v59, v59, v62
	v_fmac_f32_e32 v173, v100, v148
	v_add_f32_e32 v60, v60, v172
	s_waitcnt lgkmcnt(0)
	v_mul_f32_e32 v62, v104, v127
	s_waitcnt vmcnt(3)
	v_fma_f32 v63, v101, v149, -v63
	v_add_f32_e32 v59, v59, v61
	v_mul_f32_e32 v175, v103, v127
	v_fmac_f32_e32 v174, v102, v149
	v_add_f32_e32 v60, v60, v173
	s_waitcnt vmcnt(2)
	v_fma_f32 v61, v103, v150, -v62
	v_add_f32_e32 v59, v59, v63
	v_fmac_f32_e32 v175, v104, v150
	v_add_f32_e32 v60, v60, v174
	v_add_f32_e32 v59, v59, v61
	;; [unrolled: 1-line block ×3, first 2 shown]
	s_waitcnt vmcnt(1)
	v_sub_f32_e32 v59, v151, v59
	s_waitcnt vmcnt(0)
	v_sub_f32_e32 v60, v152, v60
	buffer_store_dword v59, off, s[0:3], 0 offset:32
	buffer_store_dword v60, off, s[0:3], 0 offset:36
	v_cmpx_lt_u32_e32 3, v0
	s_cbranch_execz .LBB27_175
; %bb.174:
	s_clause 0x1
	buffer_load_dword v59, off, s[0:3], 0 offset:24
	buffer_load_dword v60, off, s[0:3], 0 offset:28
	buffer_store_dword v58, off, s[0:3], 0 offset:24
	buffer_store_dword v58, off, s[0:3], 0 offset:28
	s_waitcnt vmcnt(0)
	ds_write_b64 v57, v[59:60]
.LBB27_175:
	s_or_b32 exec_lo, exec_lo, s4
	s_waitcnt lgkmcnt(0)
	s_waitcnt_vscnt null, 0x0
	s_barrier
	buffer_gl0_inv
	s_clause 0x31
	buffer_load_dword v107, off, s[0:3], 0 offset:36
	buffer_load_dword v108, off, s[0:3], 0 offset:44
	;; [unrolled: 1-line block ×50, first 2 shown]
	ds_read_b128 v[59:62], v58 offset:256
	ds_read_b128 v[63:66], v58 offset:272
	;; [unrolled: 1-line block ×12, first 2 shown]
	s_mov_b32 s4, exec_lo
	s_waitcnt vmcnt(49) lgkmcnt(11)
	v_mul_f32_e32 v58, v59, v107
	v_mul_f32_e32 v107, v60, v107
	s_waitcnt vmcnt(48)
	v_mul_f32_e32 v157, v61, v108
	v_mul_f32_e32 v108, v62, v108
	s_waitcnt vmcnt(47) lgkmcnt(10)
	v_mul_f32_e32 v158, v63, v109
	s_waitcnt vmcnt(46)
	v_mul_f32_e32 v159, v65, v110
	s_waitcnt vmcnt(45) lgkmcnt(9)
	v_mul_f32_e32 v160, v67, v111
	s_waitcnt vmcnt(44)
	;; [unrolled: 4-line block ×10, first 2 shown]
	v_mul_f32_e32 v177, v101, v128
	s_waitcnt vmcnt(25)
	v_fma_f32 v59, v59, v131, -v107
	v_fmac_f32_e32 v58, v60, v131
	v_mul_f32_e32 v60, v64, v109
	s_waitcnt vmcnt(24)
	v_fma_f32 v61, v61, v132, -v108
	v_fmac_f32_e32 v157, v62, v132
	v_add_f32_e32 v59, 0, v59
	v_add_f32_e32 v58, 0, v58
	v_mul_f32_e32 v62, v66, v110
	s_waitcnt vmcnt(23)
	v_fma_f32 v60, v63, v133, -v60
	v_fmac_f32_e32 v158, v64, v133
	v_add_f32_e32 v59, v59, v61
	v_add_f32_e32 v58, v58, v157
	;; [unrolled: 6-line block ×20, first 2 shown]
	s_waitcnt lgkmcnt(0)
	v_mul_f32_e32 v61, v104, v129
	s_waitcnt vmcnt(4)
	v_fma_f32 v62, v101, v152, -v62
	v_mul_f32_e32 v178, v103, v129
	v_add_f32_e32 v59, v59, v60
	v_fmac_f32_e32 v177, v102, v152
	v_add_f32_e32 v58, v58, v176
	v_mul_f32_e32 v60, v106, v130
	s_waitcnt vmcnt(3)
	v_fma_f32 v61, v103, v153, -v61
	v_add_f32_e32 v59, v59, v62
	v_mul_f32_e32 v179, v105, v130
	v_fmac_f32_e32 v178, v104, v153
	v_add_f32_e32 v58, v58, v177
	s_waitcnt vmcnt(2)
	v_fma_f32 v60, v105, v154, -v60
	v_add_f32_e32 v59, v59, v61
	v_fmac_f32_e32 v179, v106, v154
	v_add_f32_e32 v58, v58, v178
	v_add_f32_e32 v59, v59, v60
	;; [unrolled: 1-line block ×3, first 2 shown]
	s_waitcnt vmcnt(1)
	v_sub_f32_e32 v59, v155, v59
	s_waitcnt vmcnt(0)
	v_sub_f32_e32 v58, v156, v58
	buffer_store_dword v59, off, s[0:3], 0 offset:24
	buffer_store_dword v58, off, s[0:3], 0 offset:28
	v_cmpx_lt_u32_e32 2, v0
	s_cbranch_execz .LBB27_177
; %bb.176:
	s_clause 0x1
	buffer_load_dword v58, off, s[0:3], 0 offset:16
	buffer_load_dword v59, off, s[0:3], 0 offset:20
	v_mov_b32_e32 v60, 0
	buffer_store_dword v60, off, s[0:3], 0 offset:16
	buffer_store_dword v60, off, s[0:3], 0 offset:20
	s_waitcnt vmcnt(0)
	ds_write_b64 v57, v[58:59]
.LBB27_177:
	s_or_b32 exec_lo, exec_lo, s4
	s_waitcnt lgkmcnt(0)
	s_waitcnt_vscnt null, 0x0
	s_barrier
	buffer_gl0_inv
	s_clause 0x33
	buffer_load_dword v109, off, s[0:3], 0 offset:28
	buffer_load_dword v110, off, s[0:3], 0 offset:36
	;; [unrolled: 1-line block ×52, first 2 shown]
	v_mov_b32_e32 v58, 0
	ds_read2_b64 v[59:62], v58 offset0:31 offset1:32
	ds_read2_b64 v[63:66], v58 offset0:33 offset1:34
	;; [unrolled: 1-line block ×12, first 2 shown]
	ds_read_b64 v[107:108], v58 offset:440
	s_mov_b32 s4, exec_lo
	s_waitcnt vmcnt(51) lgkmcnt(12)
	v_mul_f32_e32 v161, v59, v109
	v_mul_f32_e32 v109, v60, v109
	s_waitcnt vmcnt(50)
	v_mul_f32_e32 v162, v61, v110
	v_mul_f32_e32 v110, v62, v110
	s_waitcnt vmcnt(49) lgkmcnt(11)
	v_mul_f32_e32 v163, v63, v111
	s_waitcnt vmcnt(48)
	v_mul_f32_e32 v164, v65, v112
	s_waitcnt vmcnt(47) lgkmcnt(10)
	v_mul_f32_e32 v165, v67, v113
	s_waitcnt vmcnt(46)
	v_mul_f32_e32 v166, v69, v114
	s_waitcnt vmcnt(45) lgkmcnt(9)
	v_mul_f32_e32 v167, v71, v115
	s_waitcnt vmcnt(44)
	v_mul_f32_e32 v168, v73, v116
	s_waitcnt vmcnt(43) lgkmcnt(8)
	v_mul_f32_e32 v169, v75, v117
	s_waitcnt vmcnt(42)
	v_mul_f32_e32 v170, v77, v118
	s_waitcnt vmcnt(41) lgkmcnt(7)
	v_mul_f32_e32 v171, v79, v119
	s_waitcnt vmcnt(40)
	v_mul_f32_e32 v172, v81, v120
	s_waitcnt vmcnt(39) lgkmcnt(6)
	v_mul_f32_e32 v173, v83, v121
	s_waitcnt vmcnt(38)
	v_mul_f32_e32 v174, v85, v122
	s_waitcnt vmcnt(37) lgkmcnt(5)
	v_mul_f32_e32 v175, v87, v123
	s_waitcnt vmcnt(36)
	v_mul_f32_e32 v176, v89, v124
	s_waitcnt vmcnt(35) lgkmcnt(4)
	v_mul_f32_e32 v177, v91, v125
	s_waitcnt vmcnt(34)
	v_mul_f32_e32 v178, v93, v126
	s_waitcnt vmcnt(33) lgkmcnt(3)
	v_mul_f32_e32 v179, v95, v127
	s_waitcnt vmcnt(32)
	v_mul_f32_e32 v180, v97, v128
	s_waitcnt vmcnt(31) lgkmcnt(2)
	v_mul_f32_e32 v181, v99, v129
	s_waitcnt vmcnt(30)
	v_mul_f32_e32 v182, v101, v130
	s_waitcnt vmcnt(29) lgkmcnt(1)
	v_mul_f32_e32 v183, v103, v131
	s_waitcnt vmcnt(26)
	v_fma_f32 v59, v59, v134, -v109
	v_fmac_f32_e32 v161, v60, v134
	v_mul_f32_e32 v60, v64, v111
	s_waitcnt vmcnt(25)
	v_fma_f32 v61, v61, v135, -v110
	v_fmac_f32_e32 v162, v62, v135
	v_add_f32_e32 v59, 0, v59
	v_add_f32_e32 v62, 0, v161
	v_mul_f32_e32 v109, v66, v112
	s_waitcnt vmcnt(24)
	v_fma_f32 v60, v63, v136, -v60
	v_fmac_f32_e32 v163, v64, v136
	v_add_f32_e32 v59, v59, v61
	v_add_f32_e32 v61, v62, v162
	;; [unrolled: 6-line block ×21, first 2 shown]
	v_mul_f32_e32 v61, v106, v132
	s_waitcnt vmcnt(4)
	v_fma_f32 v62, v103, v156, -v62
	v_mul_f32_e32 v184, v105, v132
	v_add_f32_e32 v59, v59, v63
	v_fmac_f32_e32 v183, v104, v156
	v_add_f32_e32 v60, v60, v182
	s_waitcnt lgkmcnt(0)
	v_mul_f32_e32 v63, v108, v133
	s_waitcnt vmcnt(3)
	v_fma_f32 v61, v105, v157, -v61
	v_add_f32_e32 v59, v59, v62
	v_mul_f32_e32 v185, v107, v133
	v_fmac_f32_e32 v184, v106, v157
	v_add_f32_e32 v60, v60, v183
	s_waitcnt vmcnt(2)
	v_fma_f32 v62, v107, v158, -v63
	v_add_f32_e32 v59, v59, v61
	v_fmac_f32_e32 v185, v108, v158
	v_add_f32_e32 v60, v60, v184
	v_add_f32_e32 v59, v59, v62
	;; [unrolled: 1-line block ×3, first 2 shown]
	s_waitcnt vmcnt(1)
	v_sub_f32_e32 v59, v159, v59
	s_waitcnt vmcnt(0)
	v_sub_f32_e32 v60, v160, v60
	buffer_store_dword v59, off, s[0:3], 0 offset:16
	buffer_store_dword v60, off, s[0:3], 0 offset:20
	v_cmpx_lt_u32_e32 1, v0
	s_cbranch_execz .LBB27_179
; %bb.178:
	s_clause 0x1
	buffer_load_dword v59, off, s[0:3], 0 offset:8
	buffer_load_dword v60, off, s[0:3], 0 offset:12
	buffer_store_dword v58, off, s[0:3], 0 offset:8
	buffer_store_dword v58, off, s[0:3], 0 offset:12
	s_waitcnt vmcnt(0)
	ds_write_b64 v57, v[59:60]
.LBB27_179:
	s_or_b32 exec_lo, exec_lo, s4
	s_waitcnt lgkmcnt(0)
	s_waitcnt_vscnt null, 0x0
	s_barrier
	buffer_gl0_inv
	s_clause 0x35
	buffer_load_dword v111, off, s[0:3], 0 offset:20
	buffer_load_dword v112, off, s[0:3], 0 offset:28
	;; [unrolled: 1-line block ×54, first 2 shown]
	ds_read_b128 v[59:62], v58 offset:240
	ds_read_b128 v[63:66], v58 offset:256
	;; [unrolled: 1-line block ×13, first 2 shown]
	s_mov_b32 s4, exec_lo
	s_waitcnt vmcnt(53) lgkmcnt(12)
	v_mul_f32_e32 v58, v59, v111
	v_mul_f32_e32 v111, v60, v111
	s_waitcnt vmcnt(52)
	v_mul_f32_e32 v165, v61, v112
	v_mul_f32_e32 v112, v62, v112
	s_waitcnt vmcnt(51) lgkmcnt(11)
	v_mul_f32_e32 v166, v63, v113
	s_waitcnt vmcnt(50)
	v_mul_f32_e32 v167, v65, v114
	s_waitcnt vmcnt(49) lgkmcnt(10)
	v_mul_f32_e32 v168, v67, v115
	s_waitcnt vmcnt(48)
	;; [unrolled: 4-line block ×11, first 2 shown]
	v_mul_f32_e32 v187, v105, v134
	s_waitcnt vmcnt(27)
	v_fma_f32 v59, v59, v137, -v111
	v_fmac_f32_e32 v58, v60, v137
	v_mul_f32_e32 v60, v64, v113
	s_waitcnt vmcnt(26)
	v_fma_f32 v61, v61, v138, -v112
	v_fmac_f32_e32 v165, v62, v138
	v_add_f32_e32 v59, 0, v59
	v_add_f32_e32 v58, 0, v58
	v_mul_f32_e32 v62, v66, v114
	s_waitcnt vmcnt(25)
	v_fma_f32 v60, v63, v139, -v60
	v_fmac_f32_e32 v166, v64, v139
	v_add_f32_e32 v59, v59, v61
	v_add_f32_e32 v58, v58, v165
	;; [unrolled: 6-line block ×22, first 2 shown]
	s_waitcnt lgkmcnt(0)
	v_mul_f32_e32 v62, v108, v135
	s_waitcnt vmcnt(4)
	v_fma_f32 v60, v105, v160, -v60
	v_mul_f32_e32 v188, v107, v135
	v_add_f32_e32 v59, v59, v61
	v_fmac_f32_e32 v187, v106, v160
	v_add_f32_e32 v58, v58, v186
	v_mul_f32_e32 v61, v110, v136
	s_waitcnt vmcnt(3)
	v_fma_f32 v62, v107, v161, -v62
	v_add_f32_e32 v59, v59, v60
	v_mul_f32_e32 v189, v109, v136
	v_fmac_f32_e32 v188, v108, v161
	v_add_f32_e32 v58, v58, v187
	s_waitcnt vmcnt(2)
	v_fma_f32 v60, v109, v162, -v61
	v_add_f32_e32 v59, v59, v62
	v_fmac_f32_e32 v189, v110, v162
	v_add_f32_e32 v58, v58, v188
	v_add_f32_e32 v59, v59, v60
	;; [unrolled: 1-line block ×3, first 2 shown]
	s_waitcnt vmcnt(1)
	v_sub_f32_e32 v59, v163, v59
	s_waitcnt vmcnt(0)
	v_sub_f32_e32 v58, v164, v58
	buffer_store_dword v59, off, s[0:3], 0 offset:8
	buffer_store_dword v58, off, s[0:3], 0 offset:12
	v_cmpx_ne_u32_e32 0, v0
	s_cbranch_execz .LBB27_181
; %bb.180:
	s_clause 0x1
	buffer_load_dword v58, off, s[0:3], 0
	buffer_load_dword v59, off, s[0:3], 0 offset:4
	v_mov_b32_e32 v0, 0
	buffer_store_dword v0, off, s[0:3], 0
	buffer_store_dword v0, off, s[0:3], 0 offset:4
	s_waitcnt vmcnt(0)
	ds_write_b64 v57, v[58:59]
.LBB27_181:
	s_or_b32 exec_lo, exec_lo, s4
	s_waitcnt lgkmcnt(0)
	s_waitcnt_vscnt null, 0x0
	s_barrier
	buffer_gl0_inv
	s_clause 0x37
	buffer_load_dword v111, off, s[0:3], 0 offset:12
	buffer_load_dword v112, off, s[0:3], 0 offset:20
	;; [unrolled: 1-line block ×54, first 2 shown]
	buffer_load_dword v165, off, s[0:3], 0
	buffer_load_dword v166, off, s[0:3], 0 offset:4
	v_mov_b32_e32 v0, 0
	ds_read2_b64 v[57:60], v0 offset0:29 offset1:30
	ds_read2_b64 v[61:64], v0 offset0:31 offset1:32
	ds_read2_b64 v[65:68], v0 offset0:33 offset1:34
	ds_read2_b64 v[69:72], v0 offset0:35 offset1:36
	ds_read2_b64 v[73:76], v0 offset0:37 offset1:38
	ds_read2_b64 v[77:80], v0 offset0:39 offset1:40
	ds_read2_b64 v[81:84], v0 offset0:41 offset1:42
	ds_read2_b64 v[85:88], v0 offset0:43 offset1:44
	ds_read2_b64 v[89:92], v0 offset0:45 offset1:46
	ds_read2_b64 v[93:96], v0 offset0:47 offset1:48
	ds_read2_b64 v[97:100], v0 offset0:49 offset1:50
	ds_read2_b64 v[101:104], v0 offset0:51 offset1:52
	ds_read2_b64 v[105:108], v0 offset0:53 offset1:54
	ds_read_b64 v[109:110], v0 offset:440
	s_and_b32 vcc_lo, exec_lo, s22
	s_waitcnt vmcnt(55) lgkmcnt(13)
	v_mul_f32_e32 v167, v57, v111
	v_mul_f32_e32 v111, v58, v111
	s_waitcnt vmcnt(54)
	v_mul_f32_e32 v168, v59, v112
	v_mul_f32_e32 v112, v60, v112
	s_waitcnt vmcnt(53) lgkmcnt(12)
	v_mul_f32_e32 v169, v61, v113
	s_waitcnt vmcnt(52)
	v_mul_f32_e32 v170, v63, v114
	s_waitcnt vmcnt(51) lgkmcnt(11)
	v_mul_f32_e32 v171, v65, v115
	s_waitcnt vmcnt(50)
	;; [unrolled: 4-line block ×12, first 2 shown]
	v_fma_f32 v57, v57, v138, -v111
	v_fmac_f32_e32 v167, v58, v138
	v_mul_f32_e32 v58, v62, v113
	s_waitcnt vmcnt(27)
	v_fma_f32 v59, v59, v139, -v112
	v_fmac_f32_e32 v168, v60, v139
	v_add_f32_e32 v57, 0, v57
	v_add_f32_e32 v60, 0, v167
	v_mul_f32_e32 v111, v64, v114
	s_waitcnt vmcnt(26)
	v_fma_f32 v58, v61, v140, -v58
	v_fmac_f32_e32 v169, v62, v140
	v_add_f32_e32 v57, v57, v59
	v_add_f32_e32 v59, v60, v168
	;; [unrolled: 6-line block ×23, first 2 shown]
	v_mul_f32_e32 v60, v108, v136
	s_waitcnt vmcnt(4)
	v_fma_f32 v61, v105, v162, -v61
	v_mul_f32_e32 v192, v107, v136
	v_add_f32_e32 v57, v57, v59
	v_fmac_f32_e32 v191, v106, v162
	v_add_f32_e32 v58, v58, v190
	s_waitcnt lgkmcnt(0)
	v_mul_f32_e32 v59, v110, v137
	s_waitcnt vmcnt(3)
	v_fma_f32 v60, v107, v163, -v60
	v_add_f32_e32 v57, v57, v61
	v_mul_f32_e32 v193, v109, v137
	v_fmac_f32_e32 v192, v108, v163
	v_add_f32_e32 v58, v58, v191
	s_waitcnt vmcnt(2)
	v_fma_f32 v59, v109, v164, -v59
	v_add_f32_e32 v57, v57, v60
	v_fmac_f32_e32 v193, v110, v164
	v_add_f32_e32 v58, v58, v192
	v_add_f32_e32 v57, v57, v59
	;; [unrolled: 1-line block ×3, first 2 shown]
	s_waitcnt vmcnt(1)
	v_sub_f32_e32 v57, v165, v57
	s_waitcnt vmcnt(0)
	v_sub_f32_e32 v58, v166, v58
	buffer_store_dword v57, off, s[0:3], 0
	buffer_store_dword v58, off, s[0:3], 0 offset:4
	s_cbranch_vccz .LBB27_236
; %bb.182:
	global_load_dword v0, v0, s[20:21] offset:104
	s_waitcnt vmcnt(0)
	v_add_nc_u32_e32 v0, -1, v0
	v_cmp_ne_u32_e32 vcc_lo, 26, v0
	s_cbranch_vccz .LBB27_184
; %bb.183:
	v_lshlrev_b32_e32 v0, 3, v0
	s_clause 0x3
	buffer_load_dword v57, v0, s[0:3], 0 offen
	buffer_load_dword v58, v0, s[0:3], 0 offen offset:4
	buffer_load_dword v59, off, s[0:3], 0 offset:212
	buffer_load_dword v60, off, s[0:3], 0 offset:208
	s_waitcnt vmcnt(3)
	buffer_store_dword v57, off, s[0:3], 0 offset:208
	s_waitcnt vmcnt(2)
	buffer_store_dword v58, off, s[0:3], 0 offset:212
	s_waitcnt vmcnt(1)
	buffer_store_dword v59, v0, s[0:3], 0 offen offset:4
	s_waitcnt vmcnt(0)
	buffer_store_dword v60, v0, s[0:3], 0 offen
.LBB27_184:
	v_mov_b32_e32 v0, 0
	global_load_dword v57, v0, s[20:21] offset:100
	s_waitcnt vmcnt(0)
	v_add_nc_u32_e32 v57, -1, v57
	v_cmp_eq_u32_e32 vcc_lo, 25, v57
	s_cbranch_vccnz .LBB27_186
; %bb.185:
	v_lshlrev_b32_e32 v57, 3, v57
	s_clause 0x3
	buffer_load_dword v58, v57, s[0:3], 0 offen
	buffer_load_dword v59, v57, s[0:3], 0 offen offset:4
	buffer_load_dword v60, off, s[0:3], 0 offset:200
	buffer_load_dword v61, off, s[0:3], 0 offset:204
	s_waitcnt vmcnt(3)
	buffer_store_dword v58, off, s[0:3], 0 offset:200
	s_waitcnt vmcnt(2)
	buffer_store_dword v59, off, s[0:3], 0 offset:204
	s_waitcnt vmcnt(1)
	buffer_store_dword v60, v57, s[0:3], 0 offen
	s_waitcnt vmcnt(0)
	buffer_store_dword v61, v57, s[0:3], 0 offen offset:4
.LBB27_186:
	global_load_dword v0, v0, s[20:21] offset:96
	s_waitcnt vmcnt(0)
	v_add_nc_u32_e32 v0, -1, v0
	v_cmp_eq_u32_e32 vcc_lo, 24, v0
	s_cbranch_vccnz .LBB27_188
; %bb.187:
	v_lshlrev_b32_e32 v0, 3, v0
	s_clause 0x3
	buffer_load_dword v57, v0, s[0:3], 0 offen
	buffer_load_dword v58, v0, s[0:3], 0 offen offset:4
	buffer_load_dword v59, off, s[0:3], 0 offset:196
	buffer_load_dword v60, off, s[0:3], 0 offset:192
	s_waitcnt vmcnt(3)
	buffer_store_dword v57, off, s[0:3], 0 offset:192
	s_waitcnt vmcnt(2)
	buffer_store_dword v58, off, s[0:3], 0 offset:196
	s_waitcnt vmcnt(1)
	buffer_store_dword v59, v0, s[0:3], 0 offen offset:4
	s_waitcnt vmcnt(0)
	buffer_store_dword v60, v0, s[0:3], 0 offen
.LBB27_188:
	v_mov_b32_e32 v0, 0
	global_load_dword v57, v0, s[20:21] offset:92
	s_waitcnt vmcnt(0)
	v_add_nc_u32_e32 v57, -1, v57
	v_cmp_eq_u32_e32 vcc_lo, 23, v57
	s_cbranch_vccnz .LBB27_190
; %bb.189:
	v_lshlrev_b32_e32 v57, 3, v57
	s_clause 0x3
	buffer_load_dword v58, v57, s[0:3], 0 offen
	buffer_load_dword v59, v57, s[0:3], 0 offen offset:4
	buffer_load_dword v60, off, s[0:3], 0 offset:184
	buffer_load_dword v61, off, s[0:3], 0 offset:188
	s_waitcnt vmcnt(3)
	buffer_store_dword v58, off, s[0:3], 0 offset:184
	s_waitcnt vmcnt(2)
	buffer_store_dword v59, off, s[0:3], 0 offset:188
	s_waitcnt vmcnt(1)
	buffer_store_dword v60, v57, s[0:3], 0 offen
	s_waitcnt vmcnt(0)
	buffer_store_dword v61, v57, s[0:3], 0 offen offset:4
.LBB27_190:
	global_load_dword v0, v0, s[20:21] offset:88
	s_waitcnt vmcnt(0)
	v_add_nc_u32_e32 v0, -1, v0
	v_cmp_eq_u32_e32 vcc_lo, 22, v0
	s_cbranch_vccnz .LBB27_192
; %bb.191:
	v_lshlrev_b32_e32 v0, 3, v0
	s_clause 0x3
	buffer_load_dword v57, v0, s[0:3], 0 offen
	buffer_load_dword v58, v0, s[0:3], 0 offen offset:4
	buffer_load_dword v59, off, s[0:3], 0 offset:180
	buffer_load_dword v60, off, s[0:3], 0 offset:176
	s_waitcnt vmcnt(3)
	buffer_store_dword v57, off, s[0:3], 0 offset:176
	s_waitcnt vmcnt(2)
	buffer_store_dword v58, off, s[0:3], 0 offset:180
	s_waitcnt vmcnt(1)
	buffer_store_dword v59, v0, s[0:3], 0 offen offset:4
	s_waitcnt vmcnt(0)
	buffer_store_dword v60, v0, s[0:3], 0 offen
.LBB27_192:
	;; [unrolled: 43-line block ×12, first 2 shown]
	v_mov_b32_e32 v0, 0
	global_load_dword v57, v0, s[20:21] offset:4
	s_waitcnt vmcnt(0)
	v_add_nc_u32_e32 v57, -1, v57
	v_cmp_eq_u32_e32 vcc_lo, 1, v57
	s_cbranch_vccnz .LBB27_234
; %bb.233:
	v_lshlrev_b32_e32 v57, 3, v57
	s_clause 0x3
	buffer_load_dword v58, v57, s[0:3], 0 offen
	buffer_load_dword v59, v57, s[0:3], 0 offen offset:4
	buffer_load_dword v60, off, s[0:3], 0 offset:8
	buffer_load_dword v61, off, s[0:3], 0 offset:12
	s_waitcnt vmcnt(3)
	buffer_store_dword v58, off, s[0:3], 0 offset:8
	s_waitcnt vmcnt(2)
	buffer_store_dword v59, off, s[0:3], 0 offset:12
	s_waitcnt vmcnt(1)
	buffer_store_dword v60, v57, s[0:3], 0 offen
	s_waitcnt vmcnt(0)
	buffer_store_dword v61, v57, s[0:3], 0 offen offset:4
.LBB27_234:
	global_load_dword v0, v0, s[20:21]
	s_waitcnt vmcnt(0)
	v_add_nc_u32_e32 v0, -1, v0
	v_cmp_eq_u32_e32 vcc_lo, 0, v0
	s_cbranch_vccnz .LBB27_236
; %bb.235:
	v_lshlrev_b32_e32 v0, 3, v0
	s_clause 0x3
	buffer_load_dword v57, v0, s[0:3], 0 offen
	buffer_load_dword v58, v0, s[0:3], 0 offen offset:4
	buffer_load_dword v59, off, s[0:3], 0 offset:4
	buffer_load_dword v60, off, s[0:3], 0
	s_waitcnt vmcnt(3)
	buffer_store_dword v57, off, s[0:3], 0
	s_waitcnt vmcnt(2)
	buffer_store_dword v58, off, s[0:3], 0 offset:4
	s_waitcnt vmcnt(1)
	buffer_store_dword v59, v0, s[0:3], 0 offen offset:4
	s_waitcnt vmcnt(0)
	buffer_store_dword v60, v0, s[0:3], 0 offen
.LBB27_236:
	s_clause 0x37
	buffer_load_dword v57, off, s[0:3], 0
	buffer_load_dword v58, off, s[0:3], 0 offset:4
	buffer_load_dword v59, off, s[0:3], 0 offset:8
	;; [unrolled: 1-line block ×55, first 2 shown]
	s_waitcnt vmcnt(54)
	global_store_dwordx2 v[1:2], v[57:58], off
	s_waitcnt vmcnt(52)
	global_store_dwordx2 v[47:48], v[59:60], off
	;; [unrolled: 2-line block ×9, first 2 shown]
	global_store_dwordx2 v[17:18], v[75:76], off
	global_store_dwordx2 v[19:20], v[77:78], off
	;; [unrolled: 1-line block ×3, first 2 shown]
	s_waitcnt vmcnt(30)
	global_store_dwordx2 v[23:24], v[81:82], off
	s_waitcnt vmcnt(28)
	global_store_dwordx2 v[25:26], v[83:84], off
	;; [unrolled: 2-line block ×16, first 2 shown]
	s_endpgm
	.section	.rodata,"a",@progbits
	.p2align	6, 0x0
	.amdhsa_kernel _ZN9rocsolver6v33100L18getri_kernel_smallILi28E19rocblas_complex_numIfEPS3_EEvT1_iilPiilS6_bb
		.amdhsa_group_segment_fixed_size 452
		.amdhsa_private_segment_fixed_size 240
		.amdhsa_kernarg_size 60
		.amdhsa_user_sgpr_count 6
		.amdhsa_user_sgpr_private_segment_buffer 1
		.amdhsa_user_sgpr_dispatch_ptr 0
		.amdhsa_user_sgpr_queue_ptr 0
		.amdhsa_user_sgpr_kernarg_segment_ptr 1
		.amdhsa_user_sgpr_dispatch_id 0
		.amdhsa_user_sgpr_flat_scratch_init 0
		.amdhsa_user_sgpr_private_segment_size 0
		.amdhsa_wavefront_size32 1
		.amdhsa_uses_dynamic_stack 0
		.amdhsa_system_sgpr_private_segment_wavefront_offset 1
		.amdhsa_system_sgpr_workgroup_id_x 1
		.amdhsa_system_sgpr_workgroup_id_y 0
		.amdhsa_system_sgpr_workgroup_id_z 0
		.amdhsa_system_sgpr_workgroup_info 0
		.amdhsa_system_vgpr_workitem_id 0
		.amdhsa_next_free_vgpr 194
		.amdhsa_next_free_sgpr 23
		.amdhsa_reserve_vcc 1
		.amdhsa_reserve_flat_scratch 0
		.amdhsa_float_round_mode_32 0
		.amdhsa_float_round_mode_16_64 0
		.amdhsa_float_denorm_mode_32 3
		.amdhsa_float_denorm_mode_16_64 3
		.amdhsa_dx10_clamp 1
		.amdhsa_ieee_mode 1
		.amdhsa_fp16_overflow 0
		.amdhsa_workgroup_processor_mode 1
		.amdhsa_memory_ordered 1
		.amdhsa_forward_progress 1
		.amdhsa_shared_vgpr_count 0
		.amdhsa_exception_fp_ieee_invalid_op 0
		.amdhsa_exception_fp_denorm_src 0
		.amdhsa_exception_fp_ieee_div_zero 0
		.amdhsa_exception_fp_ieee_overflow 0
		.amdhsa_exception_fp_ieee_underflow 0
		.amdhsa_exception_fp_ieee_inexact 0
		.amdhsa_exception_int_div_zero 0
	.end_amdhsa_kernel
	.section	.text._ZN9rocsolver6v33100L18getri_kernel_smallILi28E19rocblas_complex_numIfEPS3_EEvT1_iilPiilS6_bb,"axG",@progbits,_ZN9rocsolver6v33100L18getri_kernel_smallILi28E19rocblas_complex_numIfEPS3_EEvT1_iilPiilS6_bb,comdat
.Lfunc_end27:
	.size	_ZN9rocsolver6v33100L18getri_kernel_smallILi28E19rocblas_complex_numIfEPS3_EEvT1_iilPiilS6_bb, .Lfunc_end27-_ZN9rocsolver6v33100L18getri_kernel_smallILi28E19rocblas_complex_numIfEPS3_EEvT1_iilPiilS6_bb
                                        ; -- End function
	.set _ZN9rocsolver6v33100L18getri_kernel_smallILi28E19rocblas_complex_numIfEPS3_EEvT1_iilPiilS6_bb.num_vgpr, 194
	.set _ZN9rocsolver6v33100L18getri_kernel_smallILi28E19rocblas_complex_numIfEPS3_EEvT1_iilPiilS6_bb.num_agpr, 0
	.set _ZN9rocsolver6v33100L18getri_kernel_smallILi28E19rocblas_complex_numIfEPS3_EEvT1_iilPiilS6_bb.numbered_sgpr, 23
	.set _ZN9rocsolver6v33100L18getri_kernel_smallILi28E19rocblas_complex_numIfEPS3_EEvT1_iilPiilS6_bb.num_named_barrier, 0
	.set _ZN9rocsolver6v33100L18getri_kernel_smallILi28E19rocblas_complex_numIfEPS3_EEvT1_iilPiilS6_bb.private_seg_size, 240
	.set _ZN9rocsolver6v33100L18getri_kernel_smallILi28E19rocblas_complex_numIfEPS3_EEvT1_iilPiilS6_bb.uses_vcc, 1
	.set _ZN9rocsolver6v33100L18getri_kernel_smallILi28E19rocblas_complex_numIfEPS3_EEvT1_iilPiilS6_bb.uses_flat_scratch, 0
	.set _ZN9rocsolver6v33100L18getri_kernel_smallILi28E19rocblas_complex_numIfEPS3_EEvT1_iilPiilS6_bb.has_dyn_sized_stack, 0
	.set _ZN9rocsolver6v33100L18getri_kernel_smallILi28E19rocblas_complex_numIfEPS3_EEvT1_iilPiilS6_bb.has_recursion, 0
	.set _ZN9rocsolver6v33100L18getri_kernel_smallILi28E19rocblas_complex_numIfEPS3_EEvT1_iilPiilS6_bb.has_indirect_call, 0
	.section	.AMDGPU.csdata,"",@progbits
; Kernel info:
; codeLenInByte = 38352
; TotalNumSgprs: 25
; NumVgprs: 194
; ScratchSize: 240
; MemoryBound: 0
; FloatMode: 240
; IeeeMode: 1
; LDSByteSize: 452 bytes/workgroup (compile time only)
; SGPRBlocks: 0
; VGPRBlocks: 24
; NumSGPRsForWavesPerEU: 25
; NumVGPRsForWavesPerEU: 194
; Occupancy: 4
; WaveLimiterHint : 1
; COMPUTE_PGM_RSRC2:SCRATCH_EN: 1
; COMPUTE_PGM_RSRC2:USER_SGPR: 6
; COMPUTE_PGM_RSRC2:TRAP_HANDLER: 0
; COMPUTE_PGM_RSRC2:TGID_X_EN: 1
; COMPUTE_PGM_RSRC2:TGID_Y_EN: 0
; COMPUTE_PGM_RSRC2:TGID_Z_EN: 0
; COMPUTE_PGM_RSRC2:TIDIG_COMP_CNT: 0
	.section	.text._ZN9rocsolver6v33100L18getri_kernel_smallILi29E19rocblas_complex_numIfEPS3_EEvT1_iilPiilS6_bb,"axG",@progbits,_ZN9rocsolver6v33100L18getri_kernel_smallILi29E19rocblas_complex_numIfEPS3_EEvT1_iilPiilS6_bb,comdat
	.globl	_ZN9rocsolver6v33100L18getri_kernel_smallILi29E19rocblas_complex_numIfEPS3_EEvT1_iilPiilS6_bb ; -- Begin function _ZN9rocsolver6v33100L18getri_kernel_smallILi29E19rocblas_complex_numIfEPS3_EEvT1_iilPiilS6_bb
	.p2align	8
	.type	_ZN9rocsolver6v33100L18getri_kernel_smallILi29E19rocblas_complex_numIfEPS3_EEvT1_iilPiilS6_bb,@function
_ZN9rocsolver6v33100L18getri_kernel_smallILi29E19rocblas_complex_numIfEPS3_EEvT1_iilPiilS6_bb: ; @_ZN9rocsolver6v33100L18getri_kernel_smallILi29E19rocblas_complex_numIfEPS3_EEvT1_iilPiilS6_bb
; %bb.0:
	s_add_u32 s0, s0, s7
	s_addc_u32 s1, s1, 0
	s_mov_b32 s7, exec_lo
	v_cmpx_gt_u32_e32 29, v0
	s_cbranch_execz .LBB28_130
; %bb.1:
	s_clause 0x2
	s_load_dword s7, s[4:5], 0x38
	s_load_dwordx4 s[16:19], s[4:5], 0x10
	s_load_dwordx4 s[8:11], s[4:5], 0x28
                                        ; implicit-def: $sgpr20_sgpr21
	s_waitcnt lgkmcnt(0)
	s_bitcmp1_b32 s7, 8
	s_cselect_b32 s22, -1, 0
	s_bfe_u32 s12, s7, 0x10008
	s_ashr_i32 s7, s6, 31
	s_cmp_eq_u32 s12, 0
	s_cbranch_scc1 .LBB28_3
; %bb.2:
	s_load_dword s12, s[4:5], 0x20
	s_mul_i32 s13, s8, s7
	s_mul_hi_u32 s14, s8, s6
	s_mul_i32 s9, s9, s6
	s_add_i32 s13, s14, s13
	s_mul_i32 s8, s8, s6
	s_add_i32 s9, s13, s9
	s_lshl_b64 s[8:9], s[8:9], 2
	s_waitcnt lgkmcnt(0)
	s_ashr_i32 s13, s12, 31
	s_add_u32 s14, s18, s8
	s_addc_u32 s15, s19, s9
	s_lshl_b64 s[8:9], s[12:13], 2
	s_add_u32 s20, s14, s8
	s_addc_u32 s21, s15, s9
.LBB28_3:
	s_clause 0x1
	s_load_dwordx4 s[12:15], s[4:5], 0x0
	s_load_dword s18, s[4:5], 0x38
	s_mul_i32 s4, s16, s7
	s_mul_hi_u32 s5, s16, s6
	s_mul_i32 s8, s17, s6
	s_add_i32 s5, s5, s4
	s_mul_i32 s4, s16, s6
	s_add_i32 s5, s5, s8
	v_lshlrev_b32_e32 v61, 3, v0
	s_lshl_b64 s[4:5], s[4:5], 3
	s_waitcnt lgkmcnt(0)
	v_add3_u32 v1, s15, s15, v0
	s_ashr_i32 s9, s14, 31
	s_mov_b32 s8, s14
	s_add_u32 s12, s12, s4
	s_addc_u32 s13, s13, s5
	v_add_nc_u32_e32 v3, s15, v1
	v_ashrrev_i32_e32 v2, 31, v1
	s_lshl_b64 s[4:5], s[8:9], 3
	s_mov_b32 s8, s15
	s_add_u32 s4, s12, s4
	v_add_nc_u32_e32 v5, s15, v3
	v_ashrrev_i32_e32 v4, 31, v3
	v_lshlrev_b64 v[1:2], 3, v[1:2]
	s_addc_u32 s5, s13, s5
	v_add_co_u32 v47, s12, s4, v61
	v_add_nc_u32_e32 v7, s15, v5
	v_ashrrev_i32_e32 v6, 31, v5
	v_lshlrev_b64 v[3:4], 3, v[3:4]
	v_add_co_u32 v1, vcc_lo, s4, v1
	v_add_nc_u32_e32 v9, s15, v7
	v_ashrrev_i32_e32 v8, 31, v7
	v_lshlrev_b64 v[5:6], 3, v[5:6]
	v_add_co_ci_u32_e64 v2, null, s5, v2, vcc_lo
	v_add_nc_u32_e32 v11, s15, v9
	v_ashrrev_i32_e32 v10, 31, v9
	v_lshlrev_b64 v[7:8], 3, v[7:8]
	v_add_co_u32 v3, vcc_lo, s4, v3
	v_add_nc_u32_e32 v13, s15, v11
	v_ashrrev_i32_e32 v12, 31, v11
	v_lshlrev_b64 v[9:10], 3, v[9:10]
	v_add_co_ci_u32_e64 v4, null, s5, v4, vcc_lo
	v_add_nc_u32_e32 v15, s15, v13
	v_ashrrev_i32_e32 v14, 31, v13
	v_add_co_u32 v5, vcc_lo, s4, v5
	v_lshlrev_b64 v[11:12], 3, v[11:12]
	v_add_nc_u32_e32 v17, s15, v15
	v_ashrrev_i32_e32 v16, 31, v15
	v_add_co_ci_u32_e64 v6, null, s5, v6, vcc_lo
	v_add_co_u32 v7, vcc_lo, s4, v7
	v_add_nc_u32_e32 v19, s15, v17
	v_ashrrev_i32_e32 v18, 31, v17
	v_lshlrev_b64 v[13:14], 3, v[13:14]
	v_add_co_ci_u32_e64 v8, null, s5, v8, vcc_lo
	v_add_nc_u32_e32 v21, s15, v19
	v_ashrrev_i32_e32 v20, 31, v19
	v_add_co_u32 v9, vcc_lo, s4, v9
	v_lshlrev_b64 v[15:16], 3, v[15:16]
	v_add_nc_u32_e32 v23, s15, v21
	v_ashrrev_i32_e32 v22, 31, v21
	v_add_co_ci_u32_e64 v10, null, s5, v10, vcc_lo
	v_add_co_u32 v11, vcc_lo, s4, v11
	v_add_nc_u32_e32 v25, s15, v23
	v_lshlrev_b64 v[17:18], 3, v[17:18]
	v_ashrrev_i32_e32 v24, 31, v23
	v_add_co_ci_u32_e64 v12, null, s5, v12, vcc_lo
	v_add_nc_u32_e32 v27, s15, v25
	v_add_co_u32 v13, vcc_lo, s4, v13
	v_lshlrev_b64 v[19:20], 3, v[19:20]
	v_ashrrev_i32_e32 v26, 31, v25
	v_add_nc_u32_e32 v29, s15, v27
	v_add_co_ci_u32_e64 v14, null, s5, v14, vcc_lo
	v_add_co_u32 v15, vcc_lo, s4, v15
	v_add_nc_u32_e32 v31, s15, v29
	v_lshlrev_b64 v[21:22], 3, v[21:22]
	v_ashrrev_i32_e32 v28, 31, v27
	v_add_co_ci_u32_e64 v16, null, s5, v16, vcc_lo
	v_add_nc_u32_e32 v33, s15, v31
	v_add_co_u32 v17, vcc_lo, s4, v17
	v_lshlrev_b64 v[23:24], 3, v[23:24]
	v_ashrrev_i32_e32 v30, 31, v29
	v_add_nc_u32_e32 v35, s15, v33
	;; [unrolled: 11-line block ×4, first 2 shown]
	v_add_co_ci_u32_e64 v26, null, s5, v26, vcc_lo
	v_add_co_u32 v27, vcc_lo, s4, v27
	v_lshlrev_b64 v[33:34], 3, v[33:34]
	v_ashrrev_i32_e32 v40, 31, v39
	v_add_co_ci_u32_e64 v28, null, s5, v28, vcc_lo
	v_add_co_u32 v29, vcc_lo, s4, v29
	v_lshlrev_b64 v[35:36], 3, v[35:36]
	v_add_nc_u32_e32 v53, s15, v51
	v_ashrrev_i32_e32 v42, 31, v41
	v_add_co_ci_u32_e64 v30, null, s5, v30, vcc_lo
	v_add_co_u32 v31, vcc_lo, s4, v31
	v_lshlrev_b64 v[37:38], 3, v[37:38]
	v_add_co_ci_u32_e64 v32, null, s5, v32, vcc_lo
	v_add_co_u32 v33, vcc_lo, s4, v33
	v_lshlrev_b64 v[39:40], 3, v[39:40]
	v_ashrrev_i32_e32 v44, 31, v43
	v_add_nc_u32_e32 v55, s15, v53
	v_add_co_ci_u32_e64 v34, null, s5, v34, vcc_lo
	v_add_co_u32 v35, vcc_lo, s4, v35
	v_lshlrev_b64 v[41:42], 3, v[41:42]
	v_ashrrev_i32_e32 v46, 31, v45
	v_add_co_ci_u32_e64 v36, null, s5, v36, vcc_lo
	v_add_co_u32 v37, vcc_lo, s4, v37
	v_ashrrev_i32_e32 v52, 31, v51
	s_ashr_i32 s9, s15, 31
	v_add_co_ci_u32_e64 v38, null, s5, v38, vcc_lo
	v_add_co_u32 v39, vcc_lo, s4, v39
	v_lshlrev_b64 v[43:44], 3, v[43:44]
	v_add_nc_u32_e32 v57, s15, v55
	v_add_co_ci_u32_e64 v48, null, s5, 0, s12
	v_ashrrev_i32_e32 v54, 31, v53
	v_add_co_ci_u32_e64 v40, null, s5, v40, vcc_lo
	v_add_co_u32 v41, vcc_lo, s4, v41
	v_lshlrev_b64 v[45:46], 3, v[45:46]
	s_lshl_b64 s[8:9], s[8:9], 3
	v_ashrrev_i32_e32 v56, 31, v55
	v_add_co_ci_u32_e64 v42, null, s5, v42, vcc_lo
	v_add_co_u32 v49, vcc_lo, v47, s8
	v_lshlrev_b64 v[51:52], 3, v[51:52]
	v_ashrrev_i32_e32 v58, 31, v57
	v_add_co_ci_u32_e64 v50, null, s9, v48, vcc_lo
	v_add_co_u32 v43, vcc_lo, s4, v43
	v_lshlrev_b64 v[53:54], 3, v[53:54]
	v_add_co_ci_u32_e64 v44, null, s5, v44, vcc_lo
	v_add_co_u32 v45, vcc_lo, s4, v45
	v_lshlrev_b64 v[55:56], 3, v[55:56]
	;; [unrolled: 3-line block ×3, first 2 shown]
	v_add_co_ci_u32_e64 v52, null, s5, v52, vcc_lo
	v_add_co_u32 v53, vcc_lo, s4, v53
	v_add_co_ci_u32_e64 v54, null, s5, v54, vcc_lo
	v_add_co_u32 v55, vcc_lo, s4, v55
	;; [unrolled: 2-line block ×3, first 2 shown]
	v_add_co_ci_u32_e64 v58, null, s5, v58, vcc_lo
	s_clause 0x1c
	global_load_dwordx2 v[59:60], v61, s[4:5]
	global_load_dwordx2 v[62:63], v[49:50], off
	global_load_dwordx2 v[64:65], v[1:2], off
	;; [unrolled: 1-line block ×28, first 2 shown]
	s_mov_b32 s5, -1
	s_bitcmp0_b32 s18, 0
	s_waitcnt vmcnt(28)
	buffer_store_dword v60, off, s[0:3], 0 offset:4
	buffer_store_dword v59, off, s[0:3], 0
	s_waitcnt vmcnt(27)
	buffer_store_dword v63, off, s[0:3], 0 offset:12
	buffer_store_dword v62, off, s[0:3], 0 offset:8
	s_waitcnt vmcnt(26)
	buffer_store_dword v65, off, s[0:3], 0 offset:20
	buffer_store_dword v64, off, s[0:3], 0 offset:16
	;; [unrolled: 3-line block ×28, first 2 shown]
	s_cbranch_scc1 .LBB28_128
; %bb.4:
	v_cmp_eq_u32_e64 s4, 0, v0
	s_and_saveexec_b32 s5, s4
; %bb.5:
	v_mov_b32_e32 v59, 0
	ds_write_b32 v59, v59 offset:232
; %bb.6:
	s_or_b32 exec_lo, exec_lo, s5
	v_lshl_add_u32 v63, v0, 3, 0
	s_waitcnt lgkmcnt(0)
	s_waitcnt_vscnt null, 0x0
	s_barrier
	buffer_gl0_inv
	s_clause 0x1
	buffer_load_dword v59, v63, s[0:3], 0 offen
	buffer_load_dword v60, v63, s[0:3], 0 offen offset:4
	s_waitcnt vmcnt(1)
	v_cmp_eq_f32_e32 vcc_lo, 0, v59
	s_waitcnt vmcnt(0)
	v_cmp_eq_f32_e64 s5, 0, v60
	s_and_b32 s5, vcc_lo, s5
	s_and_saveexec_b32 s8, s5
	s_cbranch_execz .LBB28_10
; %bb.7:
	v_mov_b32_e32 v59, 0
	s_mov_b32 s9, 0
	ds_read_b32 v60, v59 offset:232
	s_waitcnt lgkmcnt(0)
	v_readfirstlane_b32 s5, v60
	v_add_nc_u32_e32 v60, 1, v0
	s_cmp_eq_u32 s5, 0
	v_cmp_gt_i32_e32 vcc_lo, s5, v60
	s_cselect_b32 s12, -1, 0
	s_or_b32 s12, s12, vcc_lo
	s_and_b32 exec_lo, exec_lo, s12
	s_cbranch_execz .LBB28_10
; %bb.8:
	v_mov_b32_e32 v62, s5
.LBB28_9:                               ; =>This Inner Loop Header: Depth=1
	ds_cmpst_rtn_b32 v62, v59, v62, v60 offset:232
	s_waitcnt lgkmcnt(0)
	v_cmp_ne_u32_e32 vcc_lo, 0, v62
	v_cmp_le_i32_e64 s5, v62, v60
	s_and_b32 s5, vcc_lo, s5
	s_and_b32 s5, exec_lo, s5
	s_or_b32 s9, s5, s9
	s_andn2_b32 exec_lo, exec_lo, s9
	s_cbranch_execnz .LBB28_9
.LBB28_10:
	s_or_b32 exec_lo, exec_lo, s8
	v_mov_b32_e32 v59, 0
	s_barrier
	buffer_gl0_inv
	ds_read_b32 v60, v59 offset:232
	s_and_saveexec_b32 s5, s4
	s_cbranch_execz .LBB28_12
; %bb.11:
	s_lshl_b64 s[8:9], s[6:7], 2
	s_add_u32 s8, s10, s8
	s_addc_u32 s9, s11, s9
	s_waitcnt lgkmcnt(0)
	global_store_dword v59, v60, s[8:9]
.LBB28_12:
	s_or_b32 exec_lo, exec_lo, s5
	s_waitcnt lgkmcnt(0)
	v_cmp_ne_u32_e32 vcc_lo, 0, v60
	s_mov_b32 s5, 0
	s_cbranch_vccnz .LBB28_128
; %bb.13:
	s_clause 0x1
	buffer_load_dword v60, v63, s[0:3], 0 offen
	buffer_load_dword v62, v63, s[0:3], 0 offen offset:4
                                        ; implicit-def: $vgpr65
                                        ; implicit-def: $vgpr64
                                        ; implicit-def: $vgpr59
	s_waitcnt vmcnt(0)
	v_cmp_ngt_f32_e64 s5, |v60|, |v62|
	s_and_saveexec_b32 s8, s5
	s_xor_b32 s5, exec_lo, s8
	s_cbranch_execz .LBB28_15
; %bb.14:
	v_div_scale_f32 v59, null, v62, v62, v60
	v_div_scale_f32 v66, vcc_lo, v60, v62, v60
	v_rcp_f32_e32 v64, v59
	v_fma_f32 v65, -v59, v64, 1.0
	v_fmac_f32_e32 v64, v65, v64
	v_mul_f32_e32 v65, v66, v64
	v_fma_f32 v67, -v59, v65, v66
	v_fmac_f32_e32 v65, v67, v64
	v_fma_f32 v59, -v59, v65, v66
	v_div_fmas_f32 v59, v59, v64, v65
	v_div_fixup_f32 v59, v59, v62, v60
	v_fmac_f32_e32 v62, v60, v59
	v_div_scale_f32 v60, null, v62, v62, 1.0
	v_rcp_f32_e32 v64, v60
	v_fma_f32 v65, -v60, v64, 1.0
	v_fmac_f32_e32 v64, v65, v64
	v_div_scale_f32 v65, vcc_lo, 1.0, v62, 1.0
	v_mul_f32_e32 v66, v65, v64
	v_fma_f32 v67, -v60, v66, v65
	v_fmac_f32_e32 v66, v67, v64
	v_fma_f32 v60, -v60, v66, v65
	v_div_fmas_f32 v60, v60, v64, v66
	v_div_fixup_f32 v60, v60, v62, 1.0
                                        ; implicit-def: $vgpr62
	v_mul_f32_e32 v65, v59, v60
	v_xor_b32_e32 v64, 0x80000000, v60
                                        ; implicit-def: $vgpr60
	v_xor_b32_e32 v59, 0x80000000, v65
.LBB28_15:
	s_andn2_saveexec_b32 s5, s5
	s_cbranch_execz .LBB28_17
; %bb.16:
	v_div_scale_f32 v59, null, v60, v60, v62
	v_div_scale_f32 v66, vcc_lo, v62, v60, v62
	v_rcp_f32_e32 v64, v59
	v_fma_f32 v65, -v59, v64, 1.0
	v_fmac_f32_e32 v64, v65, v64
	v_mul_f32_e32 v65, v66, v64
	v_fma_f32 v67, -v59, v65, v66
	v_fmac_f32_e32 v65, v67, v64
	v_fma_f32 v59, -v59, v65, v66
	v_div_fmas_f32 v59, v59, v64, v65
	v_div_fixup_f32 v64, v59, v60, v62
	v_fmac_f32_e32 v60, v62, v64
	v_div_scale_f32 v59, null, v60, v60, 1.0
	v_div_scale_f32 v66, vcc_lo, 1.0, v60, 1.0
	v_rcp_f32_e32 v62, v59
	v_fma_f32 v65, -v59, v62, 1.0
	v_fmac_f32_e32 v62, v65, v62
	v_mul_f32_e32 v65, v66, v62
	v_fma_f32 v67, -v59, v65, v66
	v_fmac_f32_e32 v65, v67, v62
	v_fma_f32 v59, -v59, v65, v66
	v_div_fmas_f32 v59, v59, v62, v65
	v_div_fixup_f32 v65, v59, v60, 1.0
	v_xor_b32_e32 v59, 0x80000000, v65
	v_mul_f32_e64 v64, v64, -v65
.LBB28_17:
	s_or_b32 exec_lo, exec_lo, s5
	buffer_store_dword v65, v63, s[0:3], 0 offen
	buffer_store_dword v64, v63, s[0:3], 0 offen offset:4
	s_clause 0x1
	buffer_load_dword v66, off, s[0:3], 0 offset:12
	buffer_load_dword v65, off, s[0:3], 0 offset:8
	v_xor_b32_e32 v60, 0x80000000, v64
	v_add_nc_u32_e32 v62, 0xf0, v61
	s_waitcnt vmcnt(0)
	ds_write2_b64 v61, v[59:60], v[65:66] offset1:30
	s_waitcnt lgkmcnt(0)
	s_waitcnt_vscnt null, 0x0
	s_barrier
	buffer_gl0_inv
	s_and_saveexec_b32 s5, s4
	s_cbranch_execz .LBB28_19
; %bb.18:
	s_clause 0x1
	buffer_load_dword v66, v63, s[0:3], 0 offen offset:4
	buffer_load_dword v67, v63, s[0:3], 0 offen
	ds_read_b64 v[59:60], v62
	v_mov_b32_e32 v64, 0
	ds_read_b64 v[64:65], v64 offset:8
	s_waitcnt vmcnt(1) lgkmcnt(1)
	v_mul_f32_e32 v68, v59, v66
	v_mul_f32_e32 v66, v60, v66
	s_waitcnt vmcnt(0)
	v_fmac_f32_e32 v68, v60, v67
	v_fma_f32 v59, v59, v67, -v66
	v_add_f32_e32 v60, 0, v68
	v_add_f32_e32 v59, 0, v59
	s_waitcnt lgkmcnt(0)
	v_mul_f32_e32 v66, v60, v65
	v_mul_f32_e32 v65, v59, v65
	v_fma_f32 v59, v59, v64, -v66
	v_fmac_f32_e32 v65, v60, v64
	buffer_store_dword v59, off, s[0:3], 0 offset:8
	buffer_store_dword v65, off, s[0:3], 0 offset:12
.LBB28_19:
	s_or_b32 exec_lo, exec_lo, s5
	s_waitcnt_vscnt null, 0x0
	s_barrier
	buffer_gl0_inv
	s_clause 0x1
	buffer_load_dword v59, off, s[0:3], 0 offset:16
	buffer_load_dword v60, off, s[0:3], 0 offset:20
	s_mov_b32 s5, exec_lo
	s_waitcnt vmcnt(0)
	ds_write_b64 v62, v[59:60]
	s_waitcnt lgkmcnt(0)
	s_barrier
	buffer_gl0_inv
	v_cmpx_gt_u32_e32 2, v0
	s_cbranch_execz .LBB28_23
; %bb.20:
	s_clause 0x1
	buffer_load_dword v64, v63, s[0:3], 0 offen offset:4
	buffer_load_dword v63, v63, s[0:3], 0 offen
	ds_read_b64 v[59:60], v62
	s_waitcnt vmcnt(1) lgkmcnt(0)
	v_mul_f32_e32 v65, v60, v64
	v_mul_f32_e32 v64, v59, v64
	s_waitcnt vmcnt(0)
	v_fma_f32 v59, v59, v63, -v65
	v_fmac_f32_e32 v64, v60, v63
	v_add_f32_e32 v60, 0, v59
	v_add_f32_e32 v59, 0, v64
	s_and_saveexec_b32 s8, s4
	s_cbranch_execz .LBB28_22
; %bb.21:
	s_clause 0x1
	buffer_load_dword v65, off, s[0:3], 0 offset:12
	buffer_load_dword v66, off, s[0:3], 0 offset:8
	v_mov_b32_e32 v63, 0
	ds_read_b64 v[63:64], v63 offset:248
	s_waitcnt vmcnt(1) lgkmcnt(0)
	v_mul_f32_e32 v67, v63, v65
	v_mul_f32_e32 v65, v64, v65
	s_waitcnt vmcnt(0)
	v_fmac_f32_e32 v67, v64, v66
	v_fma_f32 v63, v63, v66, -v65
	v_add_f32_e32 v59, v59, v67
	v_add_f32_e32 v60, v60, v63
.LBB28_22:
	s_or_b32 exec_lo, exec_lo, s8
	v_mov_b32_e32 v63, 0
	ds_read_b64 v[63:64], v63 offset:16
	s_waitcnt lgkmcnt(0)
	v_mul_f32_e32 v65, v59, v64
	v_mul_f32_e32 v64, v60, v64
	v_fma_f32 v60, v60, v63, -v65
	v_fmac_f32_e32 v64, v59, v63
	buffer_store_dword v60, off, s[0:3], 0 offset:16
	buffer_store_dword v64, off, s[0:3], 0 offset:20
.LBB28_23:
	s_or_b32 exec_lo, exec_lo, s5
	s_waitcnt_vscnt null, 0x0
	s_barrier
	buffer_gl0_inv
	s_clause 0x1
	buffer_load_dword v63, off, s[0:3], 0 offset:24
	buffer_load_dword v64, off, s[0:3], 0 offset:28
	v_add_nc_u32_e32 v59, -1, v0
	s_mov_b32 s4, exec_lo
	s_waitcnt vmcnt(0)
	ds_write_b64 v62, v[63:64]
	s_waitcnt lgkmcnt(0)
	s_barrier
	buffer_gl0_inv
	v_cmpx_gt_u32_e32 3, v0
	s_cbranch_execz .LBB28_27
; %bb.24:
	v_add_nc_u32_e32 v63, -1, v0
	v_add_nc_u32_e32 v64, 0xf0, v61
	v_mov_b32_e32 v65, v61
	v_mov_b32_e32 v60, 0
	;; [unrolled: 1-line block ×3, first 2 shown]
	s_mov_b32 s5, 0
	.p2align	6
.LBB28_25:                              ; =>This Inner Loop Header: Depth=1
	s_clause 0x1
	buffer_load_dword v69, v65, s[0:3], 0 offen offset:4
	buffer_load_dword v70, v65, s[0:3], 0 offen
	ds_read_b64 v[67:68], v64
	v_add_nc_u32_e32 v63, 1, v63
	v_add_nc_u32_e32 v64, 8, v64
	;; [unrolled: 1-line block ×3, first 2 shown]
	v_cmp_lt_u32_e32 vcc_lo, 1, v63
	s_or_b32 s5, vcc_lo, s5
	s_waitcnt vmcnt(1) lgkmcnt(0)
	v_mul_f32_e32 v71, v68, v69
	v_mul_f32_e32 v69, v67, v69
	s_waitcnt vmcnt(0)
	v_fma_f32 v67, v67, v70, -v71
	v_fmac_f32_e32 v69, v68, v70
	v_add_f32_e32 v66, v66, v67
	v_add_f32_e32 v60, v60, v69
	s_andn2_b32 exec_lo, exec_lo, s5
	s_cbranch_execnz .LBB28_25
; %bb.26:
	s_or_b32 exec_lo, exec_lo, s5
	v_mov_b32_e32 v63, 0
	ds_read_b64 v[63:64], v63 offset:24
	s_waitcnt lgkmcnt(0)
	v_mul_f32_e32 v65, v60, v64
	v_mul_f32_e32 v64, v66, v64
	v_fma_f32 v65, v66, v63, -v65
	v_fmac_f32_e32 v64, v60, v63
	buffer_store_dword v65, off, s[0:3], 0 offset:24
	buffer_store_dword v64, off, s[0:3], 0 offset:28
.LBB28_27:
	s_or_b32 exec_lo, exec_lo, s4
	s_waitcnt_vscnt null, 0x0
	s_barrier
	buffer_gl0_inv
	s_clause 0x1
	buffer_load_dword v63, off, s[0:3], 0 offset:32
	buffer_load_dword v64, off, s[0:3], 0 offset:36
	s_mov_b32 s4, exec_lo
	s_waitcnt vmcnt(0)
	ds_write_b64 v62, v[63:64]
	s_waitcnt lgkmcnt(0)
	s_barrier
	buffer_gl0_inv
	v_cmpx_gt_u32_e32 4, v0
	s_cbranch_execz .LBB28_31
; %bb.28:
	v_add_nc_u32_e32 v63, -1, v0
	v_add_nc_u32_e32 v64, 0xf0, v61
	v_mov_b32_e32 v65, v61
	v_mov_b32_e32 v60, 0
	;; [unrolled: 1-line block ×3, first 2 shown]
	s_mov_b32 s5, 0
	.p2align	6
.LBB28_29:                              ; =>This Inner Loop Header: Depth=1
	s_clause 0x1
	buffer_load_dword v69, v65, s[0:3], 0 offen offset:4
	buffer_load_dword v70, v65, s[0:3], 0 offen
	ds_read_b64 v[67:68], v64
	v_add_nc_u32_e32 v63, 1, v63
	v_add_nc_u32_e32 v64, 8, v64
	;; [unrolled: 1-line block ×3, first 2 shown]
	v_cmp_lt_u32_e32 vcc_lo, 2, v63
	s_or_b32 s5, vcc_lo, s5
	s_waitcnt vmcnt(1) lgkmcnt(0)
	v_mul_f32_e32 v71, v68, v69
	v_mul_f32_e32 v69, v67, v69
	s_waitcnt vmcnt(0)
	v_fma_f32 v67, v67, v70, -v71
	v_fmac_f32_e32 v69, v68, v70
	v_add_f32_e32 v66, v66, v67
	v_add_f32_e32 v60, v60, v69
	s_andn2_b32 exec_lo, exec_lo, s5
	s_cbranch_execnz .LBB28_29
; %bb.30:
	s_or_b32 exec_lo, exec_lo, s5
	v_mov_b32_e32 v63, 0
	ds_read_b64 v[63:64], v63 offset:32
	s_waitcnt lgkmcnt(0)
	v_mul_f32_e32 v65, v60, v64
	v_mul_f32_e32 v64, v66, v64
	v_fma_f32 v65, v66, v63, -v65
	v_fmac_f32_e32 v64, v60, v63
	buffer_store_dword v65, off, s[0:3], 0 offset:32
	buffer_store_dword v64, off, s[0:3], 0 offset:36
.LBB28_31:
	s_or_b32 exec_lo, exec_lo, s4
	s_waitcnt_vscnt null, 0x0
	s_barrier
	buffer_gl0_inv
	s_clause 0x1
	buffer_load_dword v63, off, s[0:3], 0 offset:40
	buffer_load_dword v64, off, s[0:3], 0 offset:44
	s_mov_b32 s4, exec_lo
	s_waitcnt vmcnt(0)
	ds_write_b64 v62, v[63:64]
	s_waitcnt lgkmcnt(0)
	s_barrier
	buffer_gl0_inv
	v_cmpx_gt_u32_e32 5, v0
	s_cbranch_execz .LBB28_35
; %bb.32:
	v_add_nc_u32_e32 v63, -1, v0
	v_add_nc_u32_e32 v64, 0xf0, v61
	v_mov_b32_e32 v65, v61
	v_mov_b32_e32 v60, 0
	;; [unrolled: 1-line block ×3, first 2 shown]
	s_mov_b32 s5, 0
	.p2align	6
.LBB28_33:                              ; =>This Inner Loop Header: Depth=1
	s_clause 0x1
	buffer_load_dword v69, v65, s[0:3], 0 offen offset:4
	buffer_load_dword v70, v65, s[0:3], 0 offen
	ds_read_b64 v[67:68], v64
	v_add_nc_u32_e32 v63, 1, v63
	v_add_nc_u32_e32 v64, 8, v64
	v_add_nc_u32_e32 v65, 8, v65
	v_cmp_lt_u32_e32 vcc_lo, 3, v63
	s_or_b32 s5, vcc_lo, s5
	s_waitcnt vmcnt(1) lgkmcnt(0)
	v_mul_f32_e32 v71, v68, v69
	v_mul_f32_e32 v69, v67, v69
	s_waitcnt vmcnt(0)
	v_fma_f32 v67, v67, v70, -v71
	v_fmac_f32_e32 v69, v68, v70
	v_add_f32_e32 v66, v66, v67
	v_add_f32_e32 v60, v60, v69
	s_andn2_b32 exec_lo, exec_lo, s5
	s_cbranch_execnz .LBB28_33
; %bb.34:
	s_or_b32 exec_lo, exec_lo, s5
	v_mov_b32_e32 v63, 0
	ds_read_b64 v[63:64], v63 offset:40
	s_waitcnt lgkmcnt(0)
	v_mul_f32_e32 v65, v60, v64
	v_mul_f32_e32 v64, v66, v64
	v_fma_f32 v65, v66, v63, -v65
	v_fmac_f32_e32 v64, v60, v63
	buffer_store_dword v65, off, s[0:3], 0 offset:40
	buffer_store_dword v64, off, s[0:3], 0 offset:44
.LBB28_35:
	s_or_b32 exec_lo, exec_lo, s4
	s_waitcnt_vscnt null, 0x0
	s_barrier
	buffer_gl0_inv
	s_clause 0x1
	buffer_load_dword v63, off, s[0:3], 0 offset:48
	buffer_load_dword v64, off, s[0:3], 0 offset:52
	s_mov_b32 s4, exec_lo
	s_waitcnt vmcnt(0)
	ds_write_b64 v62, v[63:64]
	s_waitcnt lgkmcnt(0)
	s_barrier
	buffer_gl0_inv
	v_cmpx_gt_u32_e32 6, v0
	s_cbranch_execz .LBB28_39
; %bb.36:
	v_add_nc_u32_e32 v63, -1, v0
	v_add_nc_u32_e32 v64, 0xf0, v61
	v_mov_b32_e32 v65, v61
	v_mov_b32_e32 v60, 0
	;; [unrolled: 1-line block ×3, first 2 shown]
	s_mov_b32 s5, 0
	.p2align	6
.LBB28_37:                              ; =>This Inner Loop Header: Depth=1
	s_clause 0x1
	buffer_load_dword v69, v65, s[0:3], 0 offen offset:4
	buffer_load_dword v70, v65, s[0:3], 0 offen
	ds_read_b64 v[67:68], v64
	v_add_nc_u32_e32 v63, 1, v63
	v_add_nc_u32_e32 v64, 8, v64
	;; [unrolled: 1-line block ×3, first 2 shown]
	v_cmp_lt_u32_e32 vcc_lo, 4, v63
	s_or_b32 s5, vcc_lo, s5
	s_waitcnt vmcnt(1) lgkmcnt(0)
	v_mul_f32_e32 v71, v68, v69
	v_mul_f32_e32 v69, v67, v69
	s_waitcnt vmcnt(0)
	v_fma_f32 v67, v67, v70, -v71
	v_fmac_f32_e32 v69, v68, v70
	v_add_f32_e32 v66, v66, v67
	v_add_f32_e32 v60, v60, v69
	s_andn2_b32 exec_lo, exec_lo, s5
	s_cbranch_execnz .LBB28_37
; %bb.38:
	s_or_b32 exec_lo, exec_lo, s5
	v_mov_b32_e32 v63, 0
	ds_read_b64 v[63:64], v63 offset:48
	s_waitcnt lgkmcnt(0)
	v_mul_f32_e32 v65, v60, v64
	v_mul_f32_e32 v64, v66, v64
	v_fma_f32 v65, v66, v63, -v65
	v_fmac_f32_e32 v64, v60, v63
	buffer_store_dword v65, off, s[0:3], 0 offset:48
	buffer_store_dword v64, off, s[0:3], 0 offset:52
.LBB28_39:
	s_or_b32 exec_lo, exec_lo, s4
	s_waitcnt_vscnt null, 0x0
	s_barrier
	buffer_gl0_inv
	s_clause 0x1
	buffer_load_dword v63, off, s[0:3], 0 offset:56
	buffer_load_dword v64, off, s[0:3], 0 offset:60
	s_mov_b32 s4, exec_lo
	s_waitcnt vmcnt(0)
	ds_write_b64 v62, v[63:64]
	s_waitcnt lgkmcnt(0)
	s_barrier
	buffer_gl0_inv
	v_cmpx_gt_u32_e32 7, v0
	s_cbranch_execz .LBB28_43
; %bb.40:
	v_add_nc_u32_e32 v63, -1, v0
	v_add_nc_u32_e32 v64, 0xf0, v61
	v_mov_b32_e32 v65, v61
	v_mov_b32_e32 v60, 0
	;; [unrolled: 1-line block ×3, first 2 shown]
	s_mov_b32 s5, 0
	.p2align	6
.LBB28_41:                              ; =>This Inner Loop Header: Depth=1
	s_clause 0x1
	buffer_load_dword v69, v65, s[0:3], 0 offen offset:4
	buffer_load_dword v70, v65, s[0:3], 0 offen
	ds_read_b64 v[67:68], v64
	v_add_nc_u32_e32 v63, 1, v63
	v_add_nc_u32_e32 v64, 8, v64
	v_add_nc_u32_e32 v65, 8, v65
	v_cmp_lt_u32_e32 vcc_lo, 5, v63
	s_or_b32 s5, vcc_lo, s5
	s_waitcnt vmcnt(1) lgkmcnt(0)
	v_mul_f32_e32 v71, v68, v69
	v_mul_f32_e32 v69, v67, v69
	s_waitcnt vmcnt(0)
	v_fma_f32 v67, v67, v70, -v71
	v_fmac_f32_e32 v69, v68, v70
	v_add_f32_e32 v66, v66, v67
	v_add_f32_e32 v60, v60, v69
	s_andn2_b32 exec_lo, exec_lo, s5
	s_cbranch_execnz .LBB28_41
; %bb.42:
	s_or_b32 exec_lo, exec_lo, s5
	v_mov_b32_e32 v63, 0
	ds_read_b64 v[63:64], v63 offset:56
	s_waitcnt lgkmcnt(0)
	v_mul_f32_e32 v65, v60, v64
	v_mul_f32_e32 v64, v66, v64
	v_fma_f32 v65, v66, v63, -v65
	v_fmac_f32_e32 v64, v60, v63
	buffer_store_dword v65, off, s[0:3], 0 offset:56
	buffer_store_dword v64, off, s[0:3], 0 offset:60
.LBB28_43:
	s_or_b32 exec_lo, exec_lo, s4
	s_waitcnt_vscnt null, 0x0
	s_barrier
	buffer_gl0_inv
	s_clause 0x1
	buffer_load_dword v63, off, s[0:3], 0 offset:64
	buffer_load_dword v64, off, s[0:3], 0 offset:68
	s_mov_b32 s4, exec_lo
	s_waitcnt vmcnt(0)
	ds_write_b64 v62, v[63:64]
	s_waitcnt lgkmcnt(0)
	s_barrier
	buffer_gl0_inv
	v_cmpx_gt_u32_e32 8, v0
	s_cbranch_execz .LBB28_47
; %bb.44:
	v_add_nc_u32_e32 v63, -1, v0
	v_add_nc_u32_e32 v64, 0xf0, v61
	v_mov_b32_e32 v65, v61
	v_mov_b32_e32 v60, 0
	;; [unrolled: 1-line block ×3, first 2 shown]
	s_mov_b32 s5, 0
	.p2align	6
.LBB28_45:                              ; =>This Inner Loop Header: Depth=1
	s_clause 0x1
	buffer_load_dword v69, v65, s[0:3], 0 offen offset:4
	buffer_load_dword v70, v65, s[0:3], 0 offen
	ds_read_b64 v[67:68], v64
	v_add_nc_u32_e32 v63, 1, v63
	v_add_nc_u32_e32 v64, 8, v64
	;; [unrolled: 1-line block ×3, first 2 shown]
	v_cmp_lt_u32_e32 vcc_lo, 6, v63
	s_or_b32 s5, vcc_lo, s5
	s_waitcnt vmcnt(1) lgkmcnt(0)
	v_mul_f32_e32 v71, v68, v69
	v_mul_f32_e32 v69, v67, v69
	s_waitcnt vmcnt(0)
	v_fma_f32 v67, v67, v70, -v71
	v_fmac_f32_e32 v69, v68, v70
	v_add_f32_e32 v66, v66, v67
	v_add_f32_e32 v60, v60, v69
	s_andn2_b32 exec_lo, exec_lo, s5
	s_cbranch_execnz .LBB28_45
; %bb.46:
	s_or_b32 exec_lo, exec_lo, s5
	v_mov_b32_e32 v63, 0
	ds_read_b64 v[63:64], v63 offset:64
	s_waitcnt lgkmcnt(0)
	v_mul_f32_e32 v65, v60, v64
	v_mul_f32_e32 v64, v66, v64
	v_fma_f32 v65, v66, v63, -v65
	v_fmac_f32_e32 v64, v60, v63
	buffer_store_dword v65, off, s[0:3], 0 offset:64
	buffer_store_dword v64, off, s[0:3], 0 offset:68
.LBB28_47:
	s_or_b32 exec_lo, exec_lo, s4
	s_waitcnt_vscnt null, 0x0
	s_barrier
	buffer_gl0_inv
	s_clause 0x1
	buffer_load_dword v63, off, s[0:3], 0 offset:72
	buffer_load_dword v64, off, s[0:3], 0 offset:76
	s_mov_b32 s4, exec_lo
	s_waitcnt vmcnt(0)
	ds_write_b64 v62, v[63:64]
	s_waitcnt lgkmcnt(0)
	s_barrier
	buffer_gl0_inv
	v_cmpx_gt_u32_e32 9, v0
	s_cbranch_execz .LBB28_51
; %bb.48:
	v_add_nc_u32_e32 v63, -1, v0
	v_add_nc_u32_e32 v64, 0xf0, v61
	v_mov_b32_e32 v65, v61
	v_mov_b32_e32 v60, 0
	;; [unrolled: 1-line block ×3, first 2 shown]
	s_mov_b32 s5, 0
	.p2align	6
.LBB28_49:                              ; =>This Inner Loop Header: Depth=1
	s_clause 0x1
	buffer_load_dword v69, v65, s[0:3], 0 offen offset:4
	buffer_load_dword v70, v65, s[0:3], 0 offen
	ds_read_b64 v[67:68], v64
	v_add_nc_u32_e32 v63, 1, v63
	v_add_nc_u32_e32 v64, 8, v64
	;; [unrolled: 1-line block ×3, first 2 shown]
	v_cmp_lt_u32_e32 vcc_lo, 7, v63
	s_or_b32 s5, vcc_lo, s5
	s_waitcnt vmcnt(1) lgkmcnt(0)
	v_mul_f32_e32 v71, v68, v69
	v_mul_f32_e32 v69, v67, v69
	s_waitcnt vmcnt(0)
	v_fma_f32 v67, v67, v70, -v71
	v_fmac_f32_e32 v69, v68, v70
	v_add_f32_e32 v66, v66, v67
	v_add_f32_e32 v60, v60, v69
	s_andn2_b32 exec_lo, exec_lo, s5
	s_cbranch_execnz .LBB28_49
; %bb.50:
	s_or_b32 exec_lo, exec_lo, s5
	v_mov_b32_e32 v63, 0
	ds_read_b64 v[63:64], v63 offset:72
	s_waitcnt lgkmcnt(0)
	v_mul_f32_e32 v65, v60, v64
	v_mul_f32_e32 v64, v66, v64
	v_fma_f32 v65, v66, v63, -v65
	v_fmac_f32_e32 v64, v60, v63
	buffer_store_dword v65, off, s[0:3], 0 offset:72
	buffer_store_dword v64, off, s[0:3], 0 offset:76
.LBB28_51:
	s_or_b32 exec_lo, exec_lo, s4
	s_waitcnt_vscnt null, 0x0
	s_barrier
	buffer_gl0_inv
	s_clause 0x1
	buffer_load_dword v63, off, s[0:3], 0 offset:80
	buffer_load_dword v64, off, s[0:3], 0 offset:84
	s_mov_b32 s4, exec_lo
	s_waitcnt vmcnt(0)
	ds_write_b64 v62, v[63:64]
	s_waitcnt lgkmcnt(0)
	s_barrier
	buffer_gl0_inv
	v_cmpx_gt_u32_e32 10, v0
	s_cbranch_execz .LBB28_55
; %bb.52:
	v_add_nc_u32_e32 v63, -1, v0
	v_add_nc_u32_e32 v64, 0xf0, v61
	v_mov_b32_e32 v65, v61
	v_mov_b32_e32 v60, 0
	v_mov_b32_e32 v66, 0
	s_mov_b32 s5, 0
	.p2align	6
.LBB28_53:                              ; =>This Inner Loop Header: Depth=1
	s_clause 0x1
	buffer_load_dword v69, v65, s[0:3], 0 offen offset:4
	buffer_load_dword v70, v65, s[0:3], 0 offen
	ds_read_b64 v[67:68], v64
	v_add_nc_u32_e32 v63, 1, v63
	v_add_nc_u32_e32 v64, 8, v64
	;; [unrolled: 1-line block ×3, first 2 shown]
	v_cmp_lt_u32_e32 vcc_lo, 8, v63
	s_or_b32 s5, vcc_lo, s5
	s_waitcnt vmcnt(1) lgkmcnt(0)
	v_mul_f32_e32 v71, v68, v69
	v_mul_f32_e32 v69, v67, v69
	s_waitcnt vmcnt(0)
	v_fma_f32 v67, v67, v70, -v71
	v_fmac_f32_e32 v69, v68, v70
	v_add_f32_e32 v66, v66, v67
	v_add_f32_e32 v60, v60, v69
	s_andn2_b32 exec_lo, exec_lo, s5
	s_cbranch_execnz .LBB28_53
; %bb.54:
	s_or_b32 exec_lo, exec_lo, s5
	v_mov_b32_e32 v63, 0
	ds_read_b64 v[63:64], v63 offset:80
	s_waitcnt lgkmcnt(0)
	v_mul_f32_e32 v65, v60, v64
	v_mul_f32_e32 v64, v66, v64
	v_fma_f32 v65, v66, v63, -v65
	v_fmac_f32_e32 v64, v60, v63
	buffer_store_dword v65, off, s[0:3], 0 offset:80
	buffer_store_dword v64, off, s[0:3], 0 offset:84
.LBB28_55:
	s_or_b32 exec_lo, exec_lo, s4
	s_waitcnt_vscnt null, 0x0
	s_barrier
	buffer_gl0_inv
	s_clause 0x1
	buffer_load_dword v63, off, s[0:3], 0 offset:88
	buffer_load_dword v64, off, s[0:3], 0 offset:92
	s_mov_b32 s4, exec_lo
	s_waitcnt vmcnt(0)
	ds_write_b64 v62, v[63:64]
	s_waitcnt lgkmcnt(0)
	s_barrier
	buffer_gl0_inv
	v_cmpx_gt_u32_e32 11, v0
	s_cbranch_execz .LBB28_59
; %bb.56:
	v_add_nc_u32_e32 v63, -1, v0
	v_add_nc_u32_e32 v64, 0xf0, v61
	v_mov_b32_e32 v65, v61
	v_mov_b32_e32 v60, 0
	;; [unrolled: 1-line block ×3, first 2 shown]
	s_mov_b32 s5, 0
	.p2align	6
.LBB28_57:                              ; =>This Inner Loop Header: Depth=1
	s_clause 0x1
	buffer_load_dword v69, v65, s[0:3], 0 offen offset:4
	buffer_load_dword v70, v65, s[0:3], 0 offen
	ds_read_b64 v[67:68], v64
	v_add_nc_u32_e32 v63, 1, v63
	v_add_nc_u32_e32 v64, 8, v64
	;; [unrolled: 1-line block ×3, first 2 shown]
	v_cmp_lt_u32_e32 vcc_lo, 9, v63
	s_or_b32 s5, vcc_lo, s5
	s_waitcnt vmcnt(1) lgkmcnt(0)
	v_mul_f32_e32 v71, v68, v69
	v_mul_f32_e32 v69, v67, v69
	s_waitcnt vmcnt(0)
	v_fma_f32 v67, v67, v70, -v71
	v_fmac_f32_e32 v69, v68, v70
	v_add_f32_e32 v66, v66, v67
	v_add_f32_e32 v60, v60, v69
	s_andn2_b32 exec_lo, exec_lo, s5
	s_cbranch_execnz .LBB28_57
; %bb.58:
	s_or_b32 exec_lo, exec_lo, s5
	v_mov_b32_e32 v63, 0
	ds_read_b64 v[63:64], v63 offset:88
	s_waitcnt lgkmcnt(0)
	v_mul_f32_e32 v65, v60, v64
	v_mul_f32_e32 v64, v66, v64
	v_fma_f32 v65, v66, v63, -v65
	v_fmac_f32_e32 v64, v60, v63
	buffer_store_dword v65, off, s[0:3], 0 offset:88
	buffer_store_dword v64, off, s[0:3], 0 offset:92
.LBB28_59:
	s_or_b32 exec_lo, exec_lo, s4
	s_waitcnt_vscnt null, 0x0
	s_barrier
	buffer_gl0_inv
	s_clause 0x1
	buffer_load_dword v63, off, s[0:3], 0 offset:96
	buffer_load_dword v64, off, s[0:3], 0 offset:100
	s_mov_b32 s4, exec_lo
	s_waitcnt vmcnt(0)
	ds_write_b64 v62, v[63:64]
	s_waitcnt lgkmcnt(0)
	s_barrier
	buffer_gl0_inv
	v_cmpx_gt_u32_e32 12, v0
	s_cbranch_execz .LBB28_63
; %bb.60:
	v_add_nc_u32_e32 v63, -1, v0
	v_add_nc_u32_e32 v64, 0xf0, v61
	v_mov_b32_e32 v65, v61
	v_mov_b32_e32 v60, 0
	;; [unrolled: 1-line block ×3, first 2 shown]
	s_mov_b32 s5, 0
	.p2align	6
.LBB28_61:                              ; =>This Inner Loop Header: Depth=1
	s_clause 0x1
	buffer_load_dword v69, v65, s[0:3], 0 offen offset:4
	buffer_load_dword v70, v65, s[0:3], 0 offen
	ds_read_b64 v[67:68], v64
	v_add_nc_u32_e32 v63, 1, v63
	v_add_nc_u32_e32 v64, 8, v64
	;; [unrolled: 1-line block ×3, first 2 shown]
	v_cmp_lt_u32_e32 vcc_lo, 10, v63
	s_or_b32 s5, vcc_lo, s5
	s_waitcnt vmcnt(1) lgkmcnt(0)
	v_mul_f32_e32 v71, v68, v69
	v_mul_f32_e32 v69, v67, v69
	s_waitcnt vmcnt(0)
	v_fma_f32 v67, v67, v70, -v71
	v_fmac_f32_e32 v69, v68, v70
	v_add_f32_e32 v66, v66, v67
	v_add_f32_e32 v60, v60, v69
	s_andn2_b32 exec_lo, exec_lo, s5
	s_cbranch_execnz .LBB28_61
; %bb.62:
	s_or_b32 exec_lo, exec_lo, s5
	v_mov_b32_e32 v63, 0
	ds_read_b64 v[63:64], v63 offset:96
	s_waitcnt lgkmcnt(0)
	v_mul_f32_e32 v65, v60, v64
	v_mul_f32_e32 v64, v66, v64
	v_fma_f32 v65, v66, v63, -v65
	v_fmac_f32_e32 v64, v60, v63
	buffer_store_dword v65, off, s[0:3], 0 offset:96
	buffer_store_dword v64, off, s[0:3], 0 offset:100
.LBB28_63:
	s_or_b32 exec_lo, exec_lo, s4
	s_waitcnt_vscnt null, 0x0
	s_barrier
	buffer_gl0_inv
	s_clause 0x1
	buffer_load_dword v63, off, s[0:3], 0 offset:104
	buffer_load_dword v64, off, s[0:3], 0 offset:108
	s_mov_b32 s4, exec_lo
	s_waitcnt vmcnt(0)
	ds_write_b64 v62, v[63:64]
	s_waitcnt lgkmcnt(0)
	s_barrier
	buffer_gl0_inv
	v_cmpx_gt_u32_e32 13, v0
	s_cbranch_execz .LBB28_67
; %bb.64:
	v_add_nc_u32_e32 v63, -1, v0
	v_add_nc_u32_e32 v64, 0xf0, v61
	v_mov_b32_e32 v65, v61
	v_mov_b32_e32 v60, 0
	v_mov_b32_e32 v66, 0
	s_mov_b32 s5, 0
	.p2align	6
.LBB28_65:                              ; =>This Inner Loop Header: Depth=1
	s_clause 0x1
	buffer_load_dword v69, v65, s[0:3], 0 offen offset:4
	buffer_load_dword v70, v65, s[0:3], 0 offen
	ds_read_b64 v[67:68], v64
	v_add_nc_u32_e32 v63, 1, v63
	v_add_nc_u32_e32 v64, 8, v64
	;; [unrolled: 1-line block ×3, first 2 shown]
	v_cmp_lt_u32_e32 vcc_lo, 11, v63
	s_or_b32 s5, vcc_lo, s5
	s_waitcnt vmcnt(1) lgkmcnt(0)
	v_mul_f32_e32 v71, v68, v69
	v_mul_f32_e32 v69, v67, v69
	s_waitcnt vmcnt(0)
	v_fma_f32 v67, v67, v70, -v71
	v_fmac_f32_e32 v69, v68, v70
	v_add_f32_e32 v66, v66, v67
	v_add_f32_e32 v60, v60, v69
	s_andn2_b32 exec_lo, exec_lo, s5
	s_cbranch_execnz .LBB28_65
; %bb.66:
	s_or_b32 exec_lo, exec_lo, s5
	v_mov_b32_e32 v63, 0
	ds_read_b64 v[63:64], v63 offset:104
	s_waitcnt lgkmcnt(0)
	v_mul_f32_e32 v65, v60, v64
	v_mul_f32_e32 v64, v66, v64
	v_fma_f32 v65, v66, v63, -v65
	v_fmac_f32_e32 v64, v60, v63
	buffer_store_dword v65, off, s[0:3], 0 offset:104
	buffer_store_dword v64, off, s[0:3], 0 offset:108
.LBB28_67:
	s_or_b32 exec_lo, exec_lo, s4
	s_waitcnt_vscnt null, 0x0
	s_barrier
	buffer_gl0_inv
	s_clause 0x1
	buffer_load_dword v63, off, s[0:3], 0 offset:112
	buffer_load_dword v64, off, s[0:3], 0 offset:116
	s_mov_b32 s4, exec_lo
	s_waitcnt vmcnt(0)
	ds_write_b64 v62, v[63:64]
	s_waitcnt lgkmcnt(0)
	s_barrier
	buffer_gl0_inv
	v_cmpx_gt_u32_e32 14, v0
	s_cbranch_execz .LBB28_71
; %bb.68:
	v_add_nc_u32_e32 v63, -1, v0
	v_add_nc_u32_e32 v64, 0xf0, v61
	v_mov_b32_e32 v65, v61
	v_mov_b32_e32 v60, 0
	;; [unrolled: 1-line block ×3, first 2 shown]
	s_mov_b32 s5, 0
	.p2align	6
.LBB28_69:                              ; =>This Inner Loop Header: Depth=1
	s_clause 0x1
	buffer_load_dword v69, v65, s[0:3], 0 offen offset:4
	buffer_load_dword v70, v65, s[0:3], 0 offen
	ds_read_b64 v[67:68], v64
	v_add_nc_u32_e32 v63, 1, v63
	v_add_nc_u32_e32 v64, 8, v64
	;; [unrolled: 1-line block ×3, first 2 shown]
	v_cmp_lt_u32_e32 vcc_lo, 12, v63
	s_or_b32 s5, vcc_lo, s5
	s_waitcnt vmcnt(1) lgkmcnt(0)
	v_mul_f32_e32 v71, v68, v69
	v_mul_f32_e32 v69, v67, v69
	s_waitcnt vmcnt(0)
	v_fma_f32 v67, v67, v70, -v71
	v_fmac_f32_e32 v69, v68, v70
	v_add_f32_e32 v66, v66, v67
	v_add_f32_e32 v60, v60, v69
	s_andn2_b32 exec_lo, exec_lo, s5
	s_cbranch_execnz .LBB28_69
; %bb.70:
	s_or_b32 exec_lo, exec_lo, s5
	v_mov_b32_e32 v63, 0
	ds_read_b64 v[63:64], v63 offset:112
	s_waitcnt lgkmcnt(0)
	v_mul_f32_e32 v65, v60, v64
	v_mul_f32_e32 v64, v66, v64
	v_fma_f32 v65, v66, v63, -v65
	v_fmac_f32_e32 v64, v60, v63
	buffer_store_dword v65, off, s[0:3], 0 offset:112
	buffer_store_dword v64, off, s[0:3], 0 offset:116
.LBB28_71:
	s_or_b32 exec_lo, exec_lo, s4
	s_waitcnt_vscnt null, 0x0
	s_barrier
	buffer_gl0_inv
	s_clause 0x1
	buffer_load_dword v63, off, s[0:3], 0 offset:120
	buffer_load_dword v64, off, s[0:3], 0 offset:124
	s_mov_b32 s4, exec_lo
	s_waitcnt vmcnt(0)
	ds_write_b64 v62, v[63:64]
	s_waitcnt lgkmcnt(0)
	s_barrier
	buffer_gl0_inv
	v_cmpx_gt_u32_e32 15, v0
	s_cbranch_execz .LBB28_75
; %bb.72:
	v_add_nc_u32_e32 v63, -1, v0
	v_add_nc_u32_e32 v64, 0xf0, v61
	v_mov_b32_e32 v65, v61
	v_mov_b32_e32 v60, 0
	;; [unrolled: 1-line block ×3, first 2 shown]
	s_mov_b32 s5, 0
	.p2align	6
.LBB28_73:                              ; =>This Inner Loop Header: Depth=1
	s_clause 0x1
	buffer_load_dword v69, v65, s[0:3], 0 offen offset:4
	buffer_load_dword v70, v65, s[0:3], 0 offen
	ds_read_b64 v[67:68], v64
	v_add_nc_u32_e32 v63, 1, v63
	v_add_nc_u32_e32 v64, 8, v64
	;; [unrolled: 1-line block ×3, first 2 shown]
	v_cmp_lt_u32_e32 vcc_lo, 13, v63
	s_or_b32 s5, vcc_lo, s5
	s_waitcnt vmcnt(1) lgkmcnt(0)
	v_mul_f32_e32 v71, v68, v69
	v_mul_f32_e32 v69, v67, v69
	s_waitcnt vmcnt(0)
	v_fma_f32 v67, v67, v70, -v71
	v_fmac_f32_e32 v69, v68, v70
	v_add_f32_e32 v66, v66, v67
	v_add_f32_e32 v60, v60, v69
	s_andn2_b32 exec_lo, exec_lo, s5
	s_cbranch_execnz .LBB28_73
; %bb.74:
	s_or_b32 exec_lo, exec_lo, s5
	v_mov_b32_e32 v63, 0
	ds_read_b64 v[63:64], v63 offset:120
	s_waitcnt lgkmcnt(0)
	v_mul_f32_e32 v65, v60, v64
	v_mul_f32_e32 v64, v66, v64
	v_fma_f32 v65, v66, v63, -v65
	v_fmac_f32_e32 v64, v60, v63
	buffer_store_dword v65, off, s[0:3], 0 offset:120
	buffer_store_dword v64, off, s[0:3], 0 offset:124
.LBB28_75:
	s_or_b32 exec_lo, exec_lo, s4
	s_waitcnt_vscnt null, 0x0
	s_barrier
	buffer_gl0_inv
	s_clause 0x1
	buffer_load_dword v63, off, s[0:3], 0 offset:128
	buffer_load_dword v64, off, s[0:3], 0 offset:132
	s_mov_b32 s4, exec_lo
	s_waitcnt vmcnt(0)
	ds_write_b64 v62, v[63:64]
	s_waitcnt lgkmcnt(0)
	s_barrier
	buffer_gl0_inv
	v_cmpx_gt_u32_e32 16, v0
	s_cbranch_execz .LBB28_79
; %bb.76:
	v_add_nc_u32_e32 v63, -1, v0
	v_add_nc_u32_e32 v64, 0xf0, v61
	v_mov_b32_e32 v65, v61
	v_mov_b32_e32 v60, 0
	;; [unrolled: 1-line block ×3, first 2 shown]
	s_mov_b32 s5, 0
	.p2align	6
.LBB28_77:                              ; =>This Inner Loop Header: Depth=1
	s_clause 0x1
	buffer_load_dword v69, v65, s[0:3], 0 offen offset:4
	buffer_load_dword v70, v65, s[0:3], 0 offen
	ds_read_b64 v[67:68], v64
	v_add_nc_u32_e32 v63, 1, v63
	v_add_nc_u32_e32 v64, 8, v64
	;; [unrolled: 1-line block ×3, first 2 shown]
	v_cmp_lt_u32_e32 vcc_lo, 14, v63
	s_or_b32 s5, vcc_lo, s5
	s_waitcnt vmcnt(1) lgkmcnt(0)
	v_mul_f32_e32 v71, v68, v69
	v_mul_f32_e32 v69, v67, v69
	s_waitcnt vmcnt(0)
	v_fma_f32 v67, v67, v70, -v71
	v_fmac_f32_e32 v69, v68, v70
	v_add_f32_e32 v66, v66, v67
	v_add_f32_e32 v60, v60, v69
	s_andn2_b32 exec_lo, exec_lo, s5
	s_cbranch_execnz .LBB28_77
; %bb.78:
	s_or_b32 exec_lo, exec_lo, s5
	v_mov_b32_e32 v63, 0
	ds_read_b64 v[63:64], v63 offset:128
	s_waitcnt lgkmcnt(0)
	v_mul_f32_e32 v65, v60, v64
	v_mul_f32_e32 v64, v66, v64
	v_fma_f32 v65, v66, v63, -v65
	v_fmac_f32_e32 v64, v60, v63
	buffer_store_dword v65, off, s[0:3], 0 offset:128
	buffer_store_dword v64, off, s[0:3], 0 offset:132
.LBB28_79:
	s_or_b32 exec_lo, exec_lo, s4
	s_waitcnt_vscnt null, 0x0
	s_barrier
	buffer_gl0_inv
	s_clause 0x1
	buffer_load_dword v63, off, s[0:3], 0 offset:136
	buffer_load_dword v64, off, s[0:3], 0 offset:140
	s_mov_b32 s4, exec_lo
	s_waitcnt vmcnt(0)
	ds_write_b64 v62, v[63:64]
	s_waitcnt lgkmcnt(0)
	s_barrier
	buffer_gl0_inv
	v_cmpx_gt_u32_e32 17, v0
	s_cbranch_execz .LBB28_83
; %bb.80:
	v_add_nc_u32_e32 v63, -1, v0
	v_add_nc_u32_e32 v64, 0xf0, v61
	v_mov_b32_e32 v65, v61
	v_mov_b32_e32 v60, 0
	;; [unrolled: 1-line block ×3, first 2 shown]
	s_mov_b32 s5, 0
	.p2align	6
.LBB28_81:                              ; =>This Inner Loop Header: Depth=1
	s_clause 0x1
	buffer_load_dword v69, v65, s[0:3], 0 offen offset:4
	buffer_load_dword v70, v65, s[0:3], 0 offen
	ds_read_b64 v[67:68], v64
	v_add_nc_u32_e32 v63, 1, v63
	v_add_nc_u32_e32 v64, 8, v64
	;; [unrolled: 1-line block ×3, first 2 shown]
	v_cmp_lt_u32_e32 vcc_lo, 15, v63
	s_or_b32 s5, vcc_lo, s5
	s_waitcnt vmcnt(1) lgkmcnt(0)
	v_mul_f32_e32 v71, v68, v69
	v_mul_f32_e32 v69, v67, v69
	s_waitcnt vmcnt(0)
	v_fma_f32 v67, v67, v70, -v71
	v_fmac_f32_e32 v69, v68, v70
	v_add_f32_e32 v66, v66, v67
	v_add_f32_e32 v60, v60, v69
	s_andn2_b32 exec_lo, exec_lo, s5
	s_cbranch_execnz .LBB28_81
; %bb.82:
	s_or_b32 exec_lo, exec_lo, s5
	v_mov_b32_e32 v63, 0
	ds_read_b64 v[63:64], v63 offset:136
	s_waitcnt lgkmcnt(0)
	v_mul_f32_e32 v65, v60, v64
	v_mul_f32_e32 v64, v66, v64
	v_fma_f32 v65, v66, v63, -v65
	v_fmac_f32_e32 v64, v60, v63
	buffer_store_dword v65, off, s[0:3], 0 offset:136
	buffer_store_dword v64, off, s[0:3], 0 offset:140
.LBB28_83:
	s_or_b32 exec_lo, exec_lo, s4
	s_waitcnt_vscnt null, 0x0
	s_barrier
	buffer_gl0_inv
	s_clause 0x1
	buffer_load_dword v63, off, s[0:3], 0 offset:144
	buffer_load_dword v64, off, s[0:3], 0 offset:148
	s_mov_b32 s4, exec_lo
	s_waitcnt vmcnt(0)
	ds_write_b64 v62, v[63:64]
	s_waitcnt lgkmcnt(0)
	s_barrier
	buffer_gl0_inv
	v_cmpx_gt_u32_e32 18, v0
	s_cbranch_execz .LBB28_87
; %bb.84:
	v_add_nc_u32_e32 v63, -1, v0
	v_add_nc_u32_e32 v64, 0xf0, v61
	v_mov_b32_e32 v65, v61
	v_mov_b32_e32 v60, 0
	;; [unrolled: 1-line block ×3, first 2 shown]
	s_mov_b32 s5, 0
	.p2align	6
.LBB28_85:                              ; =>This Inner Loop Header: Depth=1
	s_clause 0x1
	buffer_load_dword v69, v65, s[0:3], 0 offen offset:4
	buffer_load_dword v70, v65, s[0:3], 0 offen
	ds_read_b64 v[67:68], v64
	v_add_nc_u32_e32 v63, 1, v63
	v_add_nc_u32_e32 v64, 8, v64
	;; [unrolled: 1-line block ×3, first 2 shown]
	v_cmp_lt_u32_e32 vcc_lo, 16, v63
	s_or_b32 s5, vcc_lo, s5
	s_waitcnt vmcnt(1) lgkmcnt(0)
	v_mul_f32_e32 v71, v68, v69
	v_mul_f32_e32 v69, v67, v69
	s_waitcnt vmcnt(0)
	v_fma_f32 v67, v67, v70, -v71
	v_fmac_f32_e32 v69, v68, v70
	v_add_f32_e32 v66, v66, v67
	v_add_f32_e32 v60, v60, v69
	s_andn2_b32 exec_lo, exec_lo, s5
	s_cbranch_execnz .LBB28_85
; %bb.86:
	s_or_b32 exec_lo, exec_lo, s5
	v_mov_b32_e32 v63, 0
	ds_read_b64 v[63:64], v63 offset:144
	s_waitcnt lgkmcnt(0)
	v_mul_f32_e32 v65, v60, v64
	v_mul_f32_e32 v64, v66, v64
	v_fma_f32 v65, v66, v63, -v65
	v_fmac_f32_e32 v64, v60, v63
	buffer_store_dword v65, off, s[0:3], 0 offset:144
	buffer_store_dword v64, off, s[0:3], 0 offset:148
.LBB28_87:
	s_or_b32 exec_lo, exec_lo, s4
	s_waitcnt_vscnt null, 0x0
	s_barrier
	buffer_gl0_inv
	s_clause 0x1
	buffer_load_dword v63, off, s[0:3], 0 offset:152
	buffer_load_dword v64, off, s[0:3], 0 offset:156
	s_mov_b32 s4, exec_lo
	s_waitcnt vmcnt(0)
	ds_write_b64 v62, v[63:64]
	s_waitcnt lgkmcnt(0)
	s_barrier
	buffer_gl0_inv
	v_cmpx_gt_u32_e32 19, v0
	s_cbranch_execz .LBB28_91
; %bb.88:
	v_add_nc_u32_e32 v63, -1, v0
	v_add_nc_u32_e32 v64, 0xf0, v61
	v_mov_b32_e32 v65, v61
	v_mov_b32_e32 v60, 0
	;; [unrolled: 1-line block ×3, first 2 shown]
	s_mov_b32 s5, 0
	.p2align	6
.LBB28_89:                              ; =>This Inner Loop Header: Depth=1
	s_clause 0x1
	buffer_load_dword v69, v65, s[0:3], 0 offen offset:4
	buffer_load_dword v70, v65, s[0:3], 0 offen
	ds_read_b64 v[67:68], v64
	v_add_nc_u32_e32 v63, 1, v63
	v_add_nc_u32_e32 v64, 8, v64
	;; [unrolled: 1-line block ×3, first 2 shown]
	v_cmp_lt_u32_e32 vcc_lo, 17, v63
	s_or_b32 s5, vcc_lo, s5
	s_waitcnt vmcnt(1) lgkmcnt(0)
	v_mul_f32_e32 v71, v68, v69
	v_mul_f32_e32 v69, v67, v69
	s_waitcnt vmcnt(0)
	v_fma_f32 v67, v67, v70, -v71
	v_fmac_f32_e32 v69, v68, v70
	v_add_f32_e32 v66, v66, v67
	v_add_f32_e32 v60, v60, v69
	s_andn2_b32 exec_lo, exec_lo, s5
	s_cbranch_execnz .LBB28_89
; %bb.90:
	s_or_b32 exec_lo, exec_lo, s5
	v_mov_b32_e32 v63, 0
	ds_read_b64 v[63:64], v63 offset:152
	s_waitcnt lgkmcnt(0)
	v_mul_f32_e32 v65, v60, v64
	v_mul_f32_e32 v64, v66, v64
	v_fma_f32 v65, v66, v63, -v65
	v_fmac_f32_e32 v64, v60, v63
	buffer_store_dword v65, off, s[0:3], 0 offset:152
	buffer_store_dword v64, off, s[0:3], 0 offset:156
.LBB28_91:
	s_or_b32 exec_lo, exec_lo, s4
	s_waitcnt_vscnt null, 0x0
	s_barrier
	buffer_gl0_inv
	s_clause 0x1
	buffer_load_dword v63, off, s[0:3], 0 offset:160
	buffer_load_dword v64, off, s[0:3], 0 offset:164
	s_mov_b32 s4, exec_lo
	s_waitcnt vmcnt(0)
	ds_write_b64 v62, v[63:64]
	s_waitcnt lgkmcnt(0)
	s_barrier
	buffer_gl0_inv
	v_cmpx_gt_u32_e32 20, v0
	s_cbranch_execz .LBB28_95
; %bb.92:
	v_add_nc_u32_e32 v63, -1, v0
	v_add_nc_u32_e32 v64, 0xf0, v61
	v_mov_b32_e32 v65, v61
	v_mov_b32_e32 v60, 0
	v_mov_b32_e32 v66, 0
	s_mov_b32 s5, 0
	.p2align	6
.LBB28_93:                              ; =>This Inner Loop Header: Depth=1
	s_clause 0x1
	buffer_load_dword v69, v65, s[0:3], 0 offen offset:4
	buffer_load_dword v70, v65, s[0:3], 0 offen
	ds_read_b64 v[67:68], v64
	v_add_nc_u32_e32 v63, 1, v63
	v_add_nc_u32_e32 v64, 8, v64
	;; [unrolled: 1-line block ×3, first 2 shown]
	v_cmp_lt_u32_e32 vcc_lo, 18, v63
	s_or_b32 s5, vcc_lo, s5
	s_waitcnt vmcnt(1) lgkmcnt(0)
	v_mul_f32_e32 v71, v68, v69
	v_mul_f32_e32 v69, v67, v69
	s_waitcnt vmcnt(0)
	v_fma_f32 v67, v67, v70, -v71
	v_fmac_f32_e32 v69, v68, v70
	v_add_f32_e32 v66, v66, v67
	v_add_f32_e32 v60, v60, v69
	s_andn2_b32 exec_lo, exec_lo, s5
	s_cbranch_execnz .LBB28_93
; %bb.94:
	s_or_b32 exec_lo, exec_lo, s5
	v_mov_b32_e32 v63, 0
	ds_read_b64 v[63:64], v63 offset:160
	s_waitcnt lgkmcnt(0)
	v_mul_f32_e32 v65, v60, v64
	v_mul_f32_e32 v64, v66, v64
	v_fma_f32 v65, v66, v63, -v65
	v_fmac_f32_e32 v64, v60, v63
	buffer_store_dword v65, off, s[0:3], 0 offset:160
	buffer_store_dword v64, off, s[0:3], 0 offset:164
.LBB28_95:
	s_or_b32 exec_lo, exec_lo, s4
	s_waitcnt_vscnt null, 0x0
	s_barrier
	buffer_gl0_inv
	s_clause 0x1
	buffer_load_dword v63, off, s[0:3], 0 offset:168
	buffer_load_dword v64, off, s[0:3], 0 offset:172
	s_mov_b32 s4, exec_lo
	s_waitcnt vmcnt(0)
	ds_write_b64 v62, v[63:64]
	s_waitcnt lgkmcnt(0)
	s_barrier
	buffer_gl0_inv
	v_cmpx_gt_u32_e32 21, v0
	s_cbranch_execz .LBB28_99
; %bb.96:
	v_add_nc_u32_e32 v63, -1, v0
	v_add_nc_u32_e32 v64, 0xf0, v61
	v_mov_b32_e32 v65, v61
	v_mov_b32_e32 v60, 0
	;; [unrolled: 1-line block ×3, first 2 shown]
	s_mov_b32 s5, 0
	.p2align	6
.LBB28_97:                              ; =>This Inner Loop Header: Depth=1
	s_clause 0x1
	buffer_load_dword v69, v65, s[0:3], 0 offen offset:4
	buffer_load_dword v70, v65, s[0:3], 0 offen
	ds_read_b64 v[67:68], v64
	v_add_nc_u32_e32 v63, 1, v63
	v_add_nc_u32_e32 v64, 8, v64
	;; [unrolled: 1-line block ×3, first 2 shown]
	v_cmp_lt_u32_e32 vcc_lo, 19, v63
	s_or_b32 s5, vcc_lo, s5
	s_waitcnt vmcnt(1) lgkmcnt(0)
	v_mul_f32_e32 v71, v68, v69
	v_mul_f32_e32 v69, v67, v69
	s_waitcnt vmcnt(0)
	v_fma_f32 v67, v67, v70, -v71
	v_fmac_f32_e32 v69, v68, v70
	v_add_f32_e32 v66, v66, v67
	v_add_f32_e32 v60, v60, v69
	s_andn2_b32 exec_lo, exec_lo, s5
	s_cbranch_execnz .LBB28_97
; %bb.98:
	s_or_b32 exec_lo, exec_lo, s5
	v_mov_b32_e32 v63, 0
	ds_read_b64 v[63:64], v63 offset:168
	s_waitcnt lgkmcnt(0)
	v_mul_f32_e32 v65, v60, v64
	v_mul_f32_e32 v64, v66, v64
	v_fma_f32 v65, v66, v63, -v65
	v_fmac_f32_e32 v64, v60, v63
	buffer_store_dword v65, off, s[0:3], 0 offset:168
	buffer_store_dword v64, off, s[0:3], 0 offset:172
.LBB28_99:
	s_or_b32 exec_lo, exec_lo, s4
	s_waitcnt_vscnt null, 0x0
	s_barrier
	buffer_gl0_inv
	s_clause 0x1
	buffer_load_dword v63, off, s[0:3], 0 offset:176
	buffer_load_dword v64, off, s[0:3], 0 offset:180
	s_mov_b32 s4, exec_lo
	s_waitcnt vmcnt(0)
	ds_write_b64 v62, v[63:64]
	s_waitcnt lgkmcnt(0)
	s_barrier
	buffer_gl0_inv
	v_cmpx_gt_u32_e32 22, v0
	s_cbranch_execz .LBB28_103
; %bb.100:
	v_add_nc_u32_e32 v63, -1, v0
	v_add_nc_u32_e32 v64, 0xf0, v61
	v_mov_b32_e32 v65, v61
	v_mov_b32_e32 v60, 0
	;; [unrolled: 1-line block ×3, first 2 shown]
	s_mov_b32 s5, 0
	.p2align	6
.LBB28_101:                             ; =>This Inner Loop Header: Depth=1
	s_clause 0x1
	buffer_load_dword v69, v65, s[0:3], 0 offen offset:4
	buffer_load_dword v70, v65, s[0:3], 0 offen
	ds_read_b64 v[67:68], v64
	v_add_nc_u32_e32 v63, 1, v63
	v_add_nc_u32_e32 v64, 8, v64
	;; [unrolled: 1-line block ×3, first 2 shown]
	v_cmp_lt_u32_e32 vcc_lo, 20, v63
	s_or_b32 s5, vcc_lo, s5
	s_waitcnt vmcnt(1) lgkmcnt(0)
	v_mul_f32_e32 v71, v68, v69
	v_mul_f32_e32 v69, v67, v69
	s_waitcnt vmcnt(0)
	v_fma_f32 v67, v67, v70, -v71
	v_fmac_f32_e32 v69, v68, v70
	v_add_f32_e32 v66, v66, v67
	v_add_f32_e32 v60, v60, v69
	s_andn2_b32 exec_lo, exec_lo, s5
	s_cbranch_execnz .LBB28_101
; %bb.102:
	s_or_b32 exec_lo, exec_lo, s5
	v_mov_b32_e32 v63, 0
	ds_read_b64 v[63:64], v63 offset:176
	s_waitcnt lgkmcnt(0)
	v_mul_f32_e32 v65, v60, v64
	v_mul_f32_e32 v64, v66, v64
	v_fma_f32 v65, v66, v63, -v65
	v_fmac_f32_e32 v64, v60, v63
	buffer_store_dword v65, off, s[0:3], 0 offset:176
	buffer_store_dword v64, off, s[0:3], 0 offset:180
.LBB28_103:
	s_or_b32 exec_lo, exec_lo, s4
	s_waitcnt_vscnt null, 0x0
	s_barrier
	buffer_gl0_inv
	s_clause 0x1
	buffer_load_dword v63, off, s[0:3], 0 offset:184
	buffer_load_dword v64, off, s[0:3], 0 offset:188
	s_mov_b32 s4, exec_lo
	s_waitcnt vmcnt(0)
	ds_write_b64 v62, v[63:64]
	s_waitcnt lgkmcnt(0)
	s_barrier
	buffer_gl0_inv
	v_cmpx_gt_u32_e32 23, v0
	s_cbranch_execz .LBB28_107
; %bb.104:
	v_add_nc_u32_e32 v63, -1, v0
	v_add_nc_u32_e32 v64, 0xf0, v61
	v_mov_b32_e32 v65, v61
	v_mov_b32_e32 v60, 0
	;; [unrolled: 1-line block ×3, first 2 shown]
	s_mov_b32 s5, 0
	.p2align	6
.LBB28_105:                             ; =>This Inner Loop Header: Depth=1
	s_clause 0x1
	buffer_load_dword v69, v65, s[0:3], 0 offen offset:4
	buffer_load_dword v70, v65, s[0:3], 0 offen
	ds_read_b64 v[67:68], v64
	v_add_nc_u32_e32 v63, 1, v63
	v_add_nc_u32_e32 v64, 8, v64
	;; [unrolled: 1-line block ×3, first 2 shown]
	v_cmp_lt_u32_e32 vcc_lo, 21, v63
	s_or_b32 s5, vcc_lo, s5
	s_waitcnt vmcnt(1) lgkmcnt(0)
	v_mul_f32_e32 v71, v68, v69
	v_mul_f32_e32 v69, v67, v69
	s_waitcnt vmcnt(0)
	v_fma_f32 v67, v67, v70, -v71
	v_fmac_f32_e32 v69, v68, v70
	v_add_f32_e32 v66, v66, v67
	v_add_f32_e32 v60, v60, v69
	s_andn2_b32 exec_lo, exec_lo, s5
	s_cbranch_execnz .LBB28_105
; %bb.106:
	s_or_b32 exec_lo, exec_lo, s5
	v_mov_b32_e32 v63, 0
	ds_read_b64 v[63:64], v63 offset:184
	s_waitcnt lgkmcnt(0)
	v_mul_f32_e32 v65, v60, v64
	v_mul_f32_e32 v64, v66, v64
	v_fma_f32 v65, v66, v63, -v65
	v_fmac_f32_e32 v64, v60, v63
	buffer_store_dword v65, off, s[0:3], 0 offset:184
	buffer_store_dword v64, off, s[0:3], 0 offset:188
.LBB28_107:
	s_or_b32 exec_lo, exec_lo, s4
	s_waitcnt_vscnt null, 0x0
	s_barrier
	buffer_gl0_inv
	s_clause 0x1
	buffer_load_dword v63, off, s[0:3], 0 offset:192
	buffer_load_dword v64, off, s[0:3], 0 offset:196
	s_mov_b32 s4, exec_lo
	s_waitcnt vmcnt(0)
	ds_write_b64 v62, v[63:64]
	s_waitcnt lgkmcnt(0)
	s_barrier
	buffer_gl0_inv
	v_cmpx_gt_u32_e32 24, v0
	s_cbranch_execz .LBB28_111
; %bb.108:
	v_add_nc_u32_e32 v63, -1, v0
	v_add_nc_u32_e32 v64, 0xf0, v61
	v_mov_b32_e32 v65, v61
	v_mov_b32_e32 v60, 0
	;; [unrolled: 1-line block ×3, first 2 shown]
	s_mov_b32 s5, 0
	.p2align	6
.LBB28_109:                             ; =>This Inner Loop Header: Depth=1
	s_clause 0x1
	buffer_load_dword v69, v65, s[0:3], 0 offen offset:4
	buffer_load_dword v70, v65, s[0:3], 0 offen
	ds_read_b64 v[67:68], v64
	v_add_nc_u32_e32 v63, 1, v63
	v_add_nc_u32_e32 v64, 8, v64
	;; [unrolled: 1-line block ×3, first 2 shown]
	v_cmp_lt_u32_e32 vcc_lo, 22, v63
	s_or_b32 s5, vcc_lo, s5
	s_waitcnt vmcnt(1) lgkmcnt(0)
	v_mul_f32_e32 v71, v68, v69
	v_mul_f32_e32 v69, v67, v69
	s_waitcnt vmcnt(0)
	v_fma_f32 v67, v67, v70, -v71
	v_fmac_f32_e32 v69, v68, v70
	v_add_f32_e32 v66, v66, v67
	v_add_f32_e32 v60, v60, v69
	s_andn2_b32 exec_lo, exec_lo, s5
	s_cbranch_execnz .LBB28_109
; %bb.110:
	s_or_b32 exec_lo, exec_lo, s5
	v_mov_b32_e32 v63, 0
	ds_read_b64 v[63:64], v63 offset:192
	s_waitcnt lgkmcnt(0)
	v_mul_f32_e32 v65, v60, v64
	v_mul_f32_e32 v64, v66, v64
	v_fma_f32 v65, v66, v63, -v65
	v_fmac_f32_e32 v64, v60, v63
	buffer_store_dword v65, off, s[0:3], 0 offset:192
	buffer_store_dword v64, off, s[0:3], 0 offset:196
.LBB28_111:
	s_or_b32 exec_lo, exec_lo, s4
	s_waitcnt_vscnt null, 0x0
	s_barrier
	buffer_gl0_inv
	s_clause 0x1
	buffer_load_dword v63, off, s[0:3], 0 offset:200
	buffer_load_dword v64, off, s[0:3], 0 offset:204
	s_mov_b32 s4, exec_lo
	s_waitcnt vmcnt(0)
	ds_write_b64 v62, v[63:64]
	s_waitcnt lgkmcnt(0)
	s_barrier
	buffer_gl0_inv
	v_cmpx_gt_u32_e32 25, v0
	s_cbranch_execz .LBB28_115
; %bb.112:
	v_add_nc_u32_e32 v63, -1, v0
	v_add_nc_u32_e32 v64, 0xf0, v61
	v_mov_b32_e32 v65, v61
	v_mov_b32_e32 v60, 0
	;; [unrolled: 1-line block ×3, first 2 shown]
	s_mov_b32 s5, 0
	.p2align	6
.LBB28_113:                             ; =>This Inner Loop Header: Depth=1
	s_clause 0x1
	buffer_load_dword v69, v65, s[0:3], 0 offen offset:4
	buffer_load_dword v70, v65, s[0:3], 0 offen
	ds_read_b64 v[67:68], v64
	v_add_nc_u32_e32 v63, 1, v63
	v_add_nc_u32_e32 v64, 8, v64
	;; [unrolled: 1-line block ×3, first 2 shown]
	v_cmp_lt_u32_e32 vcc_lo, 23, v63
	s_or_b32 s5, vcc_lo, s5
	s_waitcnt vmcnt(1) lgkmcnt(0)
	v_mul_f32_e32 v71, v68, v69
	v_mul_f32_e32 v69, v67, v69
	s_waitcnt vmcnt(0)
	v_fma_f32 v67, v67, v70, -v71
	v_fmac_f32_e32 v69, v68, v70
	v_add_f32_e32 v66, v66, v67
	v_add_f32_e32 v60, v60, v69
	s_andn2_b32 exec_lo, exec_lo, s5
	s_cbranch_execnz .LBB28_113
; %bb.114:
	s_or_b32 exec_lo, exec_lo, s5
	v_mov_b32_e32 v63, 0
	ds_read_b64 v[63:64], v63 offset:200
	s_waitcnt lgkmcnt(0)
	v_mul_f32_e32 v65, v60, v64
	v_mul_f32_e32 v64, v66, v64
	v_fma_f32 v65, v66, v63, -v65
	v_fmac_f32_e32 v64, v60, v63
	buffer_store_dword v65, off, s[0:3], 0 offset:200
	buffer_store_dword v64, off, s[0:3], 0 offset:204
.LBB28_115:
	s_or_b32 exec_lo, exec_lo, s4
	s_waitcnt_vscnt null, 0x0
	s_barrier
	buffer_gl0_inv
	s_clause 0x1
	buffer_load_dword v63, off, s[0:3], 0 offset:208
	buffer_load_dword v64, off, s[0:3], 0 offset:212
	s_mov_b32 s4, exec_lo
	s_waitcnt vmcnt(0)
	ds_write_b64 v62, v[63:64]
	s_waitcnt lgkmcnt(0)
	s_barrier
	buffer_gl0_inv
	v_cmpx_gt_u32_e32 26, v0
	s_cbranch_execz .LBB28_119
; %bb.116:
	v_add_nc_u32_e32 v63, -1, v0
	v_add_nc_u32_e32 v64, 0xf0, v61
	v_mov_b32_e32 v65, v61
	v_mov_b32_e32 v60, 0
	;; [unrolled: 1-line block ×3, first 2 shown]
	s_mov_b32 s5, 0
	.p2align	6
.LBB28_117:                             ; =>This Inner Loop Header: Depth=1
	s_clause 0x1
	buffer_load_dword v69, v65, s[0:3], 0 offen offset:4
	buffer_load_dword v70, v65, s[0:3], 0 offen
	ds_read_b64 v[67:68], v64
	v_add_nc_u32_e32 v63, 1, v63
	v_add_nc_u32_e32 v64, 8, v64
	;; [unrolled: 1-line block ×3, first 2 shown]
	v_cmp_lt_u32_e32 vcc_lo, 24, v63
	s_or_b32 s5, vcc_lo, s5
	s_waitcnt vmcnt(1) lgkmcnt(0)
	v_mul_f32_e32 v71, v68, v69
	v_mul_f32_e32 v69, v67, v69
	s_waitcnt vmcnt(0)
	v_fma_f32 v67, v67, v70, -v71
	v_fmac_f32_e32 v69, v68, v70
	v_add_f32_e32 v66, v66, v67
	v_add_f32_e32 v60, v60, v69
	s_andn2_b32 exec_lo, exec_lo, s5
	s_cbranch_execnz .LBB28_117
; %bb.118:
	s_or_b32 exec_lo, exec_lo, s5
	v_mov_b32_e32 v63, 0
	ds_read_b64 v[63:64], v63 offset:208
	s_waitcnt lgkmcnt(0)
	v_mul_f32_e32 v65, v60, v64
	v_mul_f32_e32 v64, v66, v64
	v_fma_f32 v65, v66, v63, -v65
	v_fmac_f32_e32 v64, v60, v63
	buffer_store_dword v65, off, s[0:3], 0 offset:208
	buffer_store_dword v64, off, s[0:3], 0 offset:212
.LBB28_119:
	s_or_b32 exec_lo, exec_lo, s4
	s_waitcnt_vscnt null, 0x0
	s_barrier
	buffer_gl0_inv
	s_clause 0x1
	buffer_load_dword v63, off, s[0:3], 0 offset:216
	buffer_load_dword v64, off, s[0:3], 0 offset:220
	s_mov_b32 s4, exec_lo
	s_waitcnt vmcnt(0)
	ds_write_b64 v62, v[63:64]
	s_waitcnt lgkmcnt(0)
	s_barrier
	buffer_gl0_inv
	v_cmpx_gt_u32_e32 27, v0
	s_cbranch_execz .LBB28_123
; %bb.120:
	v_add_nc_u32_e32 v63, -1, v0
	v_add_nc_u32_e32 v64, 0xf0, v61
	v_mov_b32_e32 v65, v61
	v_mov_b32_e32 v60, 0
	;; [unrolled: 1-line block ×3, first 2 shown]
	s_mov_b32 s5, 0
	.p2align	6
.LBB28_121:                             ; =>This Inner Loop Header: Depth=1
	s_clause 0x1
	buffer_load_dword v69, v65, s[0:3], 0 offen offset:4
	buffer_load_dword v70, v65, s[0:3], 0 offen
	ds_read_b64 v[67:68], v64
	v_add_nc_u32_e32 v63, 1, v63
	v_add_nc_u32_e32 v64, 8, v64
	;; [unrolled: 1-line block ×3, first 2 shown]
	v_cmp_lt_u32_e32 vcc_lo, 25, v63
	s_or_b32 s5, vcc_lo, s5
	s_waitcnt vmcnt(1) lgkmcnt(0)
	v_mul_f32_e32 v71, v68, v69
	v_mul_f32_e32 v69, v67, v69
	s_waitcnt vmcnt(0)
	v_fma_f32 v67, v67, v70, -v71
	v_fmac_f32_e32 v69, v68, v70
	v_add_f32_e32 v66, v66, v67
	v_add_f32_e32 v60, v60, v69
	s_andn2_b32 exec_lo, exec_lo, s5
	s_cbranch_execnz .LBB28_121
; %bb.122:
	s_or_b32 exec_lo, exec_lo, s5
	v_mov_b32_e32 v63, 0
	ds_read_b64 v[63:64], v63 offset:216
	s_waitcnt lgkmcnt(0)
	v_mul_f32_e32 v65, v60, v64
	v_mul_f32_e32 v64, v66, v64
	v_fma_f32 v65, v66, v63, -v65
	v_fmac_f32_e32 v64, v60, v63
	buffer_store_dword v65, off, s[0:3], 0 offset:216
	buffer_store_dword v64, off, s[0:3], 0 offset:220
.LBB28_123:
	s_or_b32 exec_lo, exec_lo, s4
	s_waitcnt_vscnt null, 0x0
	s_barrier
	buffer_gl0_inv
	s_clause 0x1
	buffer_load_dword v63, off, s[0:3], 0 offset:224
	buffer_load_dword v64, off, s[0:3], 0 offset:228
	s_mov_b32 s4, exec_lo
	s_waitcnt vmcnt(0)
	ds_write_b64 v62, v[63:64]
	s_waitcnt lgkmcnt(0)
	s_barrier
	buffer_gl0_inv
	v_cmpx_ne_u32_e32 28, v0
	s_cbranch_execz .LBB28_127
; %bb.124:
	v_mov_b32_e32 v60, 0
	v_mov_b32_e32 v63, 0
	s_mov_b32 s5, 0
	.p2align	6
.LBB28_125:                             ; =>This Inner Loop Header: Depth=1
	s_clause 0x1
	buffer_load_dword v66, v61, s[0:3], 0 offen offset:4
	buffer_load_dword v67, v61, s[0:3], 0 offen
	ds_read_b64 v[64:65], v62
	v_add_nc_u32_e32 v59, 1, v59
	v_add_nc_u32_e32 v62, 8, v62
	v_add_nc_u32_e32 v61, 8, v61
	v_cmp_lt_u32_e32 vcc_lo, 26, v59
	s_or_b32 s5, vcc_lo, s5
	s_waitcnt vmcnt(1) lgkmcnt(0)
	v_mul_f32_e32 v68, v65, v66
	v_mul_f32_e32 v66, v64, v66
	s_waitcnt vmcnt(0)
	v_fma_f32 v64, v64, v67, -v68
	v_fmac_f32_e32 v66, v65, v67
	v_add_f32_e32 v63, v63, v64
	v_add_f32_e32 v60, v60, v66
	s_andn2_b32 exec_lo, exec_lo, s5
	s_cbranch_execnz .LBB28_125
; %bb.126:
	s_or_b32 exec_lo, exec_lo, s5
	v_mov_b32_e32 v59, 0
	ds_read_b64 v[61:62], v59 offset:224
	s_waitcnt lgkmcnt(0)
	v_mul_f32_e32 v59, v60, v62
	v_mul_f32_e32 v62, v63, v62
	v_fma_f32 v59, v63, v61, -v59
	v_fmac_f32_e32 v62, v60, v61
	buffer_store_dword v59, off, s[0:3], 0 offset:224
	buffer_store_dword v62, off, s[0:3], 0 offset:228
.LBB28_127:
	s_or_b32 exec_lo, exec_lo, s4
	s_mov_b32 s5, -1
	s_waitcnt_vscnt null, 0x0
	s_barrier
	buffer_gl0_inv
.LBB28_128:
	s_and_b32 vcc_lo, exec_lo, s5
	s_cbranch_vccz .LBB28_130
; %bb.129:
	s_lshl_b64 s[4:5], s[6:7], 2
	v_mov_b32_e32 v59, 0
	s_add_u32 s4, s10, s4
	s_addc_u32 s5, s11, s5
	global_load_dword v59, v59, s[4:5]
	s_waitcnt vmcnt(0)
	v_cmp_ne_u32_e32 vcc_lo, 0, v59
	s_cbranch_vccz .LBB28_131
.LBB28_130:
	s_endpgm
.LBB28_131:
	v_lshl_add_u32 v59, v0, 3, 0xf0
	s_mov_b32 s4, exec_lo
	v_cmpx_eq_u32_e32 28, v0
	s_cbranch_execz .LBB28_133
; %bb.132:
	s_clause 0x1
	buffer_load_dword v60, off, s[0:3], 0 offset:216
	buffer_load_dword v61, off, s[0:3], 0 offset:220
	v_mov_b32_e32 v62, 0
	buffer_store_dword v62, off, s[0:3], 0 offset:216
	buffer_store_dword v62, off, s[0:3], 0 offset:220
	s_waitcnt vmcnt(0)
	ds_write_b64 v59, v[60:61]
.LBB28_133:
	s_or_b32 exec_lo, exec_lo, s4
	s_waitcnt lgkmcnt(0)
	s_waitcnt_vscnt null, 0x0
	s_barrier
	buffer_gl0_inv
	s_clause 0x3
	buffer_load_dword v63, off, s[0:3], 0 offset:228
	buffer_load_dword v64, off, s[0:3], 0 offset:224
	;; [unrolled: 1-line block ×4, first 2 shown]
	v_mov_b32_e32 v60, 0
	s_mov_b32 s4, exec_lo
	ds_read_b64 v[61:62], v60 offset:464
	s_waitcnt vmcnt(3) lgkmcnt(0)
	v_mul_f32_e32 v67, v62, v63
	v_mul_f32_e32 v63, v61, v63
	s_waitcnt vmcnt(2)
	v_fma_f32 v61, v61, v64, -v67
	v_fmac_f32_e32 v63, v62, v64
	v_add_f32_e32 v61, 0, v61
	v_add_f32_e32 v62, 0, v63
	s_waitcnt vmcnt(1)
	v_sub_f32_e32 v61, v65, v61
	s_waitcnt vmcnt(0)
	v_sub_f32_e32 v62, v66, v62
	buffer_store_dword v61, off, s[0:3], 0 offset:216
	buffer_store_dword v62, off, s[0:3], 0 offset:220
	v_cmpx_lt_u32_e32 26, v0
	s_cbranch_execz .LBB28_135
; %bb.134:
	s_clause 0x1
	buffer_load_dword v61, off, s[0:3], 0 offset:208
	buffer_load_dword v62, off, s[0:3], 0 offset:212
	buffer_store_dword v60, off, s[0:3], 0 offset:208
	buffer_store_dword v60, off, s[0:3], 0 offset:212
	s_waitcnt vmcnt(0)
	ds_write_b64 v59, v[61:62]
.LBB28_135:
	s_or_b32 exec_lo, exec_lo, s4
	s_waitcnt lgkmcnt(0)
	s_waitcnt_vscnt null, 0x0
	s_barrier
	buffer_gl0_inv
	s_clause 0x5
	buffer_load_dword v64, off, s[0:3], 0 offset:220
	buffer_load_dword v65, off, s[0:3], 0 offset:228
	;; [unrolled: 1-line block ×6, first 2 shown]
	ds_read2_b64 v[60:63], v60 offset0:57 offset1:58
	s_mov_b32 s4, exec_lo
	s_waitcnt vmcnt(5) lgkmcnt(0)
	v_mul_f32_e32 v70, v61, v64
	v_mul_f32_e32 v64, v60, v64
	s_waitcnt vmcnt(4)
	v_mul_f32_e32 v71, v62, v65
	v_mul_f32_e32 v65, v63, v65
	s_waitcnt vmcnt(3)
	v_fma_f32 v60, v60, v66, -v70
	v_fmac_f32_e32 v64, v61, v66
	s_waitcnt vmcnt(2)
	v_fmac_f32_e32 v71, v63, v67
	v_fma_f32 v61, v62, v67, -v65
	v_add_f32_e32 v60, 0, v60
	v_add_f32_e32 v62, 0, v64
	v_add_f32_e32 v60, v60, v61
	v_add_f32_e32 v61, v62, v71
	s_waitcnt vmcnt(1)
	v_sub_f32_e32 v60, v68, v60
	s_waitcnt vmcnt(0)
	v_sub_f32_e32 v61, v69, v61
	buffer_store_dword v60, off, s[0:3], 0 offset:208
	buffer_store_dword v61, off, s[0:3], 0 offset:212
	v_cmpx_lt_u32_e32 25, v0
	s_cbranch_execz .LBB28_137
; %bb.136:
	s_clause 0x1
	buffer_load_dword v60, off, s[0:3], 0 offset:200
	buffer_load_dword v61, off, s[0:3], 0 offset:204
	v_mov_b32_e32 v62, 0
	buffer_store_dword v62, off, s[0:3], 0 offset:200
	buffer_store_dword v62, off, s[0:3], 0 offset:204
	s_waitcnt vmcnt(0)
	ds_write_b64 v59, v[60:61]
.LBB28_137:
	s_or_b32 exec_lo, exec_lo, s4
	s_waitcnt lgkmcnt(0)
	s_waitcnt_vscnt null, 0x0
	s_barrier
	buffer_gl0_inv
	s_clause 0x7
	buffer_load_dword v67, off, s[0:3], 0 offset:212
	buffer_load_dword v68, off, s[0:3], 0 offset:220
	;; [unrolled: 1-line block ×8, first 2 shown]
	v_mov_b32_e32 v60, 0
	ds_read_b128 v[61:64], v60 offset:448
	ds_read_b64 v[65:66], v60 offset:464
	s_mov_b32 s4, exec_lo
	s_waitcnt vmcnt(7) lgkmcnt(1)
	v_mul_f32_e32 v75, v62, v67
	v_mul_f32_e32 v67, v61, v67
	s_waitcnt vmcnt(6)
	v_mul_f32_e32 v76, v63, v68
	v_mul_f32_e32 v68, v64, v68
	s_waitcnt vmcnt(5) lgkmcnt(0)
	v_mul_f32_e32 v77, v65, v69
	s_waitcnt vmcnt(4)
	v_fma_f32 v61, v61, v70, -v75
	v_fmac_f32_e32 v67, v62, v70
	v_mul_f32_e32 v62, v66, v69
	s_waitcnt vmcnt(3)
	v_fma_f32 v63, v63, v71, -v68
	v_fmac_f32_e32 v76, v64, v71
	v_add_f32_e32 v61, 0, v61
	v_add_f32_e32 v64, 0, v67
	s_waitcnt vmcnt(2)
	v_fma_f32 v62, v65, v72, -v62
	v_fmac_f32_e32 v77, v66, v72
	v_add_f32_e32 v61, v61, v63
	v_add_f32_e32 v63, v64, v76
	;; [unrolled: 1-line block ×4, first 2 shown]
	s_waitcnt vmcnt(1)
	v_sub_f32_e32 v61, v73, v61
	s_waitcnt vmcnt(0)
	v_sub_f32_e32 v62, v74, v62
	buffer_store_dword v61, off, s[0:3], 0 offset:200
	buffer_store_dword v62, off, s[0:3], 0 offset:204
	v_cmpx_lt_u32_e32 24, v0
	s_cbranch_execz .LBB28_139
; %bb.138:
	s_clause 0x1
	buffer_load_dword v61, off, s[0:3], 0 offset:192
	buffer_load_dword v62, off, s[0:3], 0 offset:196
	buffer_store_dword v60, off, s[0:3], 0 offset:192
	buffer_store_dword v60, off, s[0:3], 0 offset:196
	s_waitcnt vmcnt(0)
	ds_write_b64 v59, v[61:62]
.LBB28_139:
	s_or_b32 exec_lo, exec_lo, s4
	s_waitcnt lgkmcnt(0)
	s_waitcnt_vscnt null, 0x0
	s_barrier
	buffer_gl0_inv
	s_clause 0x9
	buffer_load_dword v69, off, s[0:3], 0 offset:204
	buffer_load_dword v70, off, s[0:3], 0 offset:212
	;; [unrolled: 1-line block ×10, first 2 shown]
	ds_read2_b64 v[61:64], v60 offset0:55 offset1:56
	ds_read2_b64 v[65:68], v60 offset0:57 offset1:58
	s_mov_b32 s4, exec_lo
	s_waitcnt vmcnt(9) lgkmcnt(1)
	v_mul_f32_e32 v60, v61, v69
	v_mul_f32_e32 v69, v62, v69
	s_waitcnt vmcnt(8)
	v_mul_f32_e32 v79, v63, v70
	v_mul_f32_e32 v70, v64, v70
	s_waitcnt vmcnt(7) lgkmcnt(0)
	v_mul_f32_e32 v80, v65, v71
	s_waitcnt vmcnt(5)
	v_fmac_f32_e32 v60, v62, v73
	v_fma_f32 v61, v61, v73, -v69
	v_mul_f32_e32 v62, v66, v71
	s_waitcnt vmcnt(4)
	v_fma_f32 v63, v63, v74, -v70
	v_fmac_f32_e32 v79, v64, v74
	v_add_f32_e32 v60, 0, v60
	v_add_f32_e32 v61, 0, v61
	v_mul_f32_e32 v64, v68, v72
	s_waitcnt vmcnt(3)
	v_fma_f32 v62, v65, v75, -v62
	v_mul_f32_e32 v81, v67, v72
	v_fmac_f32_e32 v80, v66, v75
	v_add_f32_e32 v61, v61, v63
	v_add_f32_e32 v60, v60, v79
	s_waitcnt vmcnt(2)
	v_fma_f32 v63, v67, v76, -v64
	v_fmac_f32_e32 v81, v68, v76
	v_add_f32_e32 v61, v61, v62
	v_add_f32_e32 v60, v60, v80
	;; [unrolled: 1-line block ×4, first 2 shown]
	s_waitcnt vmcnt(1)
	v_sub_f32_e32 v61, v77, v61
	s_waitcnt vmcnt(0)
	v_sub_f32_e32 v60, v78, v60
	buffer_store_dword v61, off, s[0:3], 0 offset:192
	buffer_store_dword v60, off, s[0:3], 0 offset:196
	v_cmpx_lt_u32_e32 23, v0
	s_cbranch_execz .LBB28_141
; %bb.140:
	s_clause 0x1
	buffer_load_dword v60, off, s[0:3], 0 offset:184
	buffer_load_dword v61, off, s[0:3], 0 offset:188
	v_mov_b32_e32 v62, 0
	buffer_store_dword v62, off, s[0:3], 0 offset:184
	buffer_store_dword v62, off, s[0:3], 0 offset:188
	s_waitcnt vmcnt(0)
	ds_write_b64 v59, v[60:61]
.LBB28_141:
	s_or_b32 exec_lo, exec_lo, s4
	s_waitcnt lgkmcnt(0)
	s_waitcnt_vscnt null, 0x0
	s_barrier
	buffer_gl0_inv
	s_clause 0xb
	buffer_load_dword v71, off, s[0:3], 0 offset:196
	buffer_load_dword v72, off, s[0:3], 0 offset:204
	;; [unrolled: 1-line block ×12, first 2 shown]
	v_mov_b32_e32 v60, 0
	ds_read_b128 v[61:64], v60 offset:432
	ds_read_b128 v[65:68], v60 offset:448
	ds_read_b64 v[69:70], v60 offset:464
	s_mov_b32 s4, exec_lo
	s_waitcnt vmcnt(11) lgkmcnt(2)
	v_mul_f32_e32 v83, v61, v71
	v_mul_f32_e32 v71, v62, v71
	s_waitcnt vmcnt(10)
	v_mul_f32_e32 v84, v63, v72
	v_mul_f32_e32 v72, v64, v72
	s_waitcnt vmcnt(9) lgkmcnt(1)
	v_mul_f32_e32 v85, v65, v73
	s_waitcnt vmcnt(6)
	v_fmac_f32_e32 v83, v62, v76
	v_fma_f32 v61, v61, v76, -v71
	v_mul_f32_e32 v62, v66, v73
	s_waitcnt vmcnt(5)
	v_fma_f32 v63, v63, v77, -v72
	v_fmac_f32_e32 v84, v64, v77
	v_add_f32_e32 v64, 0, v83
	v_add_f32_e32 v61, 0, v61
	v_mul_f32_e32 v71, v68, v74
	s_waitcnt vmcnt(4)
	v_fma_f32 v62, v65, v78, -v62
	v_mul_f32_e32 v86, v67, v74
	v_fmac_f32_e32 v85, v66, v78
	v_add_f32_e32 v61, v61, v63
	v_add_f32_e32 v63, v64, v84
	s_waitcnt lgkmcnt(0)
	v_mul_f32_e32 v64, v70, v75
	s_waitcnt vmcnt(3)
	v_fma_f32 v65, v67, v79, -v71
	v_mul_f32_e32 v87, v69, v75
	v_add_f32_e32 v61, v61, v62
	v_fmac_f32_e32 v86, v68, v79
	v_add_f32_e32 v62, v63, v85
	s_waitcnt vmcnt(2)
	v_fma_f32 v63, v69, v80, -v64
	v_fmac_f32_e32 v87, v70, v80
	v_add_f32_e32 v61, v61, v65
	v_add_f32_e32 v62, v62, v86
	;; [unrolled: 1-line block ×4, first 2 shown]
	s_waitcnt vmcnt(1)
	v_sub_f32_e32 v61, v81, v61
	s_waitcnt vmcnt(0)
	v_sub_f32_e32 v62, v82, v62
	buffer_store_dword v61, off, s[0:3], 0 offset:184
	buffer_store_dword v62, off, s[0:3], 0 offset:188
	v_cmpx_lt_u32_e32 22, v0
	s_cbranch_execz .LBB28_143
; %bb.142:
	s_clause 0x1
	buffer_load_dword v61, off, s[0:3], 0 offset:176
	buffer_load_dword v62, off, s[0:3], 0 offset:180
	buffer_store_dword v60, off, s[0:3], 0 offset:176
	buffer_store_dword v60, off, s[0:3], 0 offset:180
	s_waitcnt vmcnt(0)
	ds_write_b64 v59, v[61:62]
.LBB28_143:
	s_or_b32 exec_lo, exec_lo, s4
	s_waitcnt lgkmcnt(0)
	s_waitcnt_vscnt null, 0x0
	s_barrier
	buffer_gl0_inv
	s_clause 0xd
	buffer_load_dword v73, off, s[0:3], 0 offset:188
	buffer_load_dword v74, off, s[0:3], 0 offset:196
	;; [unrolled: 1-line block ×14, first 2 shown]
	ds_read2_b64 v[61:64], v60 offset0:53 offset1:54
	ds_read2_b64 v[65:68], v60 offset0:55 offset1:56
	ds_read2_b64 v[69:72], v60 offset0:57 offset1:58
	s_mov_b32 s4, exec_lo
	s_waitcnt vmcnt(13) lgkmcnt(2)
	v_mul_f32_e32 v60, v61, v73
	v_mul_f32_e32 v73, v62, v73
	s_waitcnt vmcnt(12)
	v_mul_f32_e32 v87, v63, v74
	v_mul_f32_e32 v74, v64, v74
	s_waitcnt vmcnt(11) lgkmcnt(1)
	v_mul_f32_e32 v88, v65, v75
	s_waitcnt vmcnt(10)
	v_mul_f32_e32 v89, v67, v76
	s_waitcnt vmcnt(7)
	v_fma_f32 v61, v61, v79, -v73
	v_fmac_f32_e32 v60, v62, v79
	v_mul_f32_e32 v62, v66, v75
	s_waitcnt vmcnt(6)
	v_fma_f32 v63, v63, v80, -v74
	v_fmac_f32_e32 v87, v64, v80
	v_add_f32_e32 v61, 0, v61
	v_add_f32_e32 v60, 0, v60
	v_mul_f32_e32 v64, v68, v76
	s_waitcnt vmcnt(5)
	v_fma_f32 v62, v65, v81, -v62
	v_fmac_f32_e32 v88, v66, v81
	v_add_f32_e32 v61, v61, v63
	v_add_f32_e32 v60, v60, v87
	s_waitcnt lgkmcnt(0)
	v_mul_f32_e32 v63, v70, v77
	s_waitcnt vmcnt(4)
	v_fma_f32 v64, v67, v82, -v64
	v_mul_f32_e32 v90, v69, v77
	v_add_f32_e32 v61, v61, v62
	v_fmac_f32_e32 v89, v68, v82
	v_add_f32_e32 v60, v60, v88
	v_mul_f32_e32 v62, v72, v78
	s_waitcnt vmcnt(3)
	v_fma_f32 v63, v69, v83, -v63
	v_add_f32_e32 v61, v61, v64
	v_mul_f32_e32 v91, v71, v78
	v_fmac_f32_e32 v90, v70, v83
	v_add_f32_e32 v60, v60, v89
	s_waitcnt vmcnt(2)
	v_fma_f32 v62, v71, v84, -v62
	v_add_f32_e32 v61, v61, v63
	v_fmac_f32_e32 v91, v72, v84
	v_add_f32_e32 v60, v60, v90
	v_add_f32_e32 v61, v61, v62
	v_add_f32_e32 v60, v60, v91
	s_waitcnt vmcnt(1)
	v_sub_f32_e32 v61, v85, v61
	s_waitcnt vmcnt(0)
	v_sub_f32_e32 v60, v86, v60
	buffer_store_dword v61, off, s[0:3], 0 offset:176
	buffer_store_dword v60, off, s[0:3], 0 offset:180
	v_cmpx_lt_u32_e32 21, v0
	s_cbranch_execz .LBB28_145
; %bb.144:
	s_clause 0x1
	buffer_load_dword v60, off, s[0:3], 0 offset:168
	buffer_load_dword v61, off, s[0:3], 0 offset:172
	v_mov_b32_e32 v62, 0
	buffer_store_dword v62, off, s[0:3], 0 offset:168
	buffer_store_dword v62, off, s[0:3], 0 offset:172
	s_waitcnt vmcnt(0)
	ds_write_b64 v59, v[60:61]
.LBB28_145:
	s_or_b32 exec_lo, exec_lo, s4
	s_waitcnt lgkmcnt(0)
	s_waitcnt_vscnt null, 0x0
	s_barrier
	buffer_gl0_inv
	s_clause 0xf
	buffer_load_dword v75, off, s[0:3], 0 offset:180
	buffer_load_dword v76, off, s[0:3], 0 offset:188
	;; [unrolled: 1-line block ×16, first 2 shown]
	v_mov_b32_e32 v60, 0
	ds_read_b128 v[61:64], v60 offset:416
	ds_read_b128 v[65:68], v60 offset:432
	;; [unrolled: 1-line block ×3, first 2 shown]
	ds_read_b64 v[73:74], v60 offset:464
	s_mov_b32 s4, exec_lo
	s_waitcnt vmcnt(15) lgkmcnt(3)
	v_mul_f32_e32 v91, v61, v75
	v_mul_f32_e32 v75, v62, v75
	s_waitcnt vmcnt(14)
	v_mul_f32_e32 v92, v63, v76
	v_mul_f32_e32 v76, v64, v76
	s_waitcnt vmcnt(13) lgkmcnt(2)
	v_mul_f32_e32 v93, v65, v77
	s_waitcnt vmcnt(12)
	v_mul_f32_e32 v94, v67, v78
	s_waitcnt vmcnt(11) lgkmcnt(1)
	v_mul_f32_e32 v95, v69, v79
	s_waitcnt vmcnt(8)
	v_fma_f32 v61, v61, v82, -v75
	v_fmac_f32_e32 v91, v62, v82
	v_mul_f32_e32 v62, v66, v77
	s_waitcnt vmcnt(7)
	v_fma_f32 v63, v63, v83, -v76
	v_fmac_f32_e32 v92, v64, v83
	v_add_f32_e32 v61, 0, v61
	v_add_f32_e32 v64, 0, v91
	v_mul_f32_e32 v75, v68, v78
	s_waitcnt vmcnt(6)
	v_fma_f32 v62, v65, v84, -v62
	v_fmac_f32_e32 v93, v66, v84
	v_add_f32_e32 v61, v61, v63
	v_add_f32_e32 v63, v64, v92
	;; [unrolled: 6-line block ×3, first 2 shown]
	v_mul_f32_e32 v63, v72, v80
	s_waitcnt vmcnt(4)
	v_fma_f32 v64, v69, v86, -v64
	v_mul_f32_e32 v96, v71, v80
	v_add_f32_e32 v61, v61, v65
	v_fmac_f32_e32 v95, v70, v86
	v_add_f32_e32 v62, v62, v94
	s_waitcnt lgkmcnt(0)
	v_mul_f32_e32 v65, v74, v81
	s_waitcnt vmcnt(3)
	v_fma_f32 v63, v71, v87, -v63
	v_add_f32_e32 v61, v61, v64
	v_mul_f32_e32 v97, v73, v81
	v_fmac_f32_e32 v96, v72, v87
	v_add_f32_e32 v62, v62, v95
	s_waitcnt vmcnt(2)
	v_fma_f32 v64, v73, v88, -v65
	v_add_f32_e32 v61, v61, v63
	v_fmac_f32_e32 v97, v74, v88
	v_add_f32_e32 v62, v62, v96
	v_add_f32_e32 v61, v61, v64
	v_add_f32_e32 v62, v62, v97
	s_waitcnt vmcnt(1)
	v_sub_f32_e32 v61, v89, v61
	s_waitcnt vmcnt(0)
	v_sub_f32_e32 v62, v90, v62
	buffer_store_dword v61, off, s[0:3], 0 offset:168
	buffer_store_dword v62, off, s[0:3], 0 offset:172
	v_cmpx_lt_u32_e32 20, v0
	s_cbranch_execz .LBB28_147
; %bb.146:
	s_clause 0x1
	buffer_load_dword v61, off, s[0:3], 0 offset:160
	buffer_load_dword v62, off, s[0:3], 0 offset:164
	buffer_store_dword v60, off, s[0:3], 0 offset:160
	buffer_store_dword v60, off, s[0:3], 0 offset:164
	s_waitcnt vmcnt(0)
	ds_write_b64 v59, v[61:62]
.LBB28_147:
	s_or_b32 exec_lo, exec_lo, s4
	s_waitcnt lgkmcnt(0)
	s_waitcnt_vscnt null, 0x0
	s_barrier
	buffer_gl0_inv
	s_clause 0x11
	buffer_load_dword v77, off, s[0:3], 0 offset:172
	buffer_load_dword v78, off, s[0:3], 0 offset:180
	;; [unrolled: 1-line block ×18, first 2 shown]
	ds_read2_b64 v[61:64], v60 offset0:51 offset1:52
	ds_read2_b64 v[65:68], v60 offset0:53 offset1:54
	ds_read2_b64 v[69:72], v60 offset0:55 offset1:56
	ds_read2_b64 v[73:76], v60 offset0:57 offset1:58
	s_mov_b32 s4, exec_lo
	s_waitcnt vmcnt(17) lgkmcnt(3)
	v_mul_f32_e32 v60, v61, v77
	v_mul_f32_e32 v77, v62, v77
	s_waitcnt vmcnt(16)
	v_mul_f32_e32 v95, v63, v78
	v_mul_f32_e32 v78, v64, v78
	s_waitcnt vmcnt(15) lgkmcnt(2)
	v_mul_f32_e32 v96, v65, v79
	s_waitcnt vmcnt(14)
	v_mul_f32_e32 v97, v67, v80
	s_waitcnt vmcnt(13) lgkmcnt(1)
	v_mul_f32_e32 v98, v69, v81
	s_waitcnt vmcnt(12)
	v_mul_f32_e32 v99, v71, v82
	s_waitcnt vmcnt(9)
	v_fma_f32 v61, v61, v85, -v77
	v_fmac_f32_e32 v60, v62, v85
	v_mul_f32_e32 v62, v66, v79
	s_waitcnt vmcnt(8)
	v_fma_f32 v63, v63, v86, -v78
	v_fmac_f32_e32 v95, v64, v86
	v_add_f32_e32 v61, 0, v61
	v_add_f32_e32 v60, 0, v60
	v_mul_f32_e32 v64, v68, v80
	s_waitcnt vmcnt(7)
	v_fma_f32 v62, v65, v87, -v62
	v_fmac_f32_e32 v96, v66, v87
	v_add_f32_e32 v61, v61, v63
	v_add_f32_e32 v60, v60, v95
	;; [unrolled: 6-line block ×4, first 2 shown]
	s_waitcnt lgkmcnt(0)
	v_mul_f32_e32 v64, v74, v83
	s_waitcnt vmcnt(4)
	v_fma_f32 v62, v71, v90, -v62
	v_mul_f32_e32 v100, v73, v83
	v_add_f32_e32 v61, v61, v63
	v_fmac_f32_e32 v99, v72, v90
	v_add_f32_e32 v60, v60, v98
	v_mul_f32_e32 v63, v76, v84
	s_waitcnt vmcnt(3)
	v_fma_f32 v64, v73, v91, -v64
	v_add_f32_e32 v61, v61, v62
	v_mul_f32_e32 v101, v75, v84
	v_fmac_f32_e32 v100, v74, v91
	v_add_f32_e32 v60, v60, v99
	s_waitcnt vmcnt(2)
	v_fma_f32 v62, v75, v92, -v63
	v_add_f32_e32 v61, v61, v64
	v_fmac_f32_e32 v101, v76, v92
	v_add_f32_e32 v60, v60, v100
	v_add_f32_e32 v61, v61, v62
	;; [unrolled: 1-line block ×3, first 2 shown]
	s_waitcnt vmcnt(1)
	v_sub_f32_e32 v61, v93, v61
	s_waitcnt vmcnt(0)
	v_sub_f32_e32 v60, v94, v60
	buffer_store_dword v61, off, s[0:3], 0 offset:160
	buffer_store_dword v60, off, s[0:3], 0 offset:164
	v_cmpx_lt_u32_e32 19, v0
	s_cbranch_execz .LBB28_149
; %bb.148:
	s_clause 0x1
	buffer_load_dword v60, off, s[0:3], 0 offset:152
	buffer_load_dword v61, off, s[0:3], 0 offset:156
	v_mov_b32_e32 v62, 0
	buffer_store_dword v62, off, s[0:3], 0 offset:152
	buffer_store_dword v62, off, s[0:3], 0 offset:156
	s_waitcnt vmcnt(0)
	ds_write_b64 v59, v[60:61]
.LBB28_149:
	s_or_b32 exec_lo, exec_lo, s4
	s_waitcnt lgkmcnt(0)
	s_waitcnt_vscnt null, 0x0
	s_barrier
	buffer_gl0_inv
	s_clause 0x13
	buffer_load_dword v79, off, s[0:3], 0 offset:164
	buffer_load_dword v80, off, s[0:3], 0 offset:172
	;; [unrolled: 1-line block ×20, first 2 shown]
	v_mov_b32_e32 v60, 0
	ds_read_b128 v[61:64], v60 offset:400
	ds_read_b128 v[65:68], v60 offset:416
	;; [unrolled: 1-line block ×4, first 2 shown]
	ds_read_b64 v[77:78], v60 offset:464
	s_mov_b32 s4, exec_lo
	s_waitcnt vmcnt(19) lgkmcnt(4)
	v_mul_f32_e32 v99, v61, v79
	v_mul_f32_e32 v79, v62, v79
	s_waitcnt vmcnt(18)
	v_mul_f32_e32 v100, v63, v80
	v_mul_f32_e32 v80, v64, v80
	s_waitcnt vmcnt(17) lgkmcnt(3)
	v_mul_f32_e32 v101, v65, v81
	s_waitcnt vmcnt(16)
	v_mul_f32_e32 v102, v67, v82
	s_waitcnt vmcnt(15) lgkmcnt(2)
	v_mul_f32_e32 v103, v69, v83
	s_waitcnt vmcnt(14)
	;; [unrolled: 4-line block ×3, first 2 shown]
	v_fma_f32 v61, v61, v88, -v79
	v_fmac_f32_e32 v99, v62, v88
	v_mul_f32_e32 v62, v66, v81
	s_waitcnt vmcnt(9)
	v_fma_f32 v63, v63, v89, -v80
	v_fmac_f32_e32 v100, v64, v89
	v_add_f32_e32 v61, 0, v61
	v_add_f32_e32 v64, 0, v99
	v_mul_f32_e32 v79, v68, v82
	s_waitcnt vmcnt(8)
	v_fma_f32 v62, v65, v90, -v62
	v_fmac_f32_e32 v101, v66, v90
	v_add_f32_e32 v61, v61, v63
	v_add_f32_e32 v63, v64, v100
	;; [unrolled: 6-line block ×5, first 2 shown]
	v_mul_f32_e32 v64, v76, v86
	s_waitcnt vmcnt(4)
	v_fma_f32 v65, v73, v94, -v65
	v_mul_f32_e32 v106, v75, v86
	v_add_f32_e32 v61, v61, v63
	v_fmac_f32_e32 v105, v74, v94
	v_add_f32_e32 v62, v62, v104
	s_waitcnt lgkmcnt(0)
	v_mul_f32_e32 v63, v78, v87
	s_waitcnt vmcnt(3)
	v_fma_f32 v64, v75, v95, -v64
	v_add_f32_e32 v61, v61, v65
	v_mul_f32_e32 v107, v77, v87
	v_fmac_f32_e32 v106, v76, v95
	v_add_f32_e32 v62, v62, v105
	s_waitcnt vmcnt(2)
	v_fma_f32 v63, v77, v96, -v63
	v_add_f32_e32 v61, v61, v64
	v_fmac_f32_e32 v107, v78, v96
	v_add_f32_e32 v62, v62, v106
	v_add_f32_e32 v61, v61, v63
	;; [unrolled: 1-line block ×3, first 2 shown]
	s_waitcnt vmcnt(1)
	v_sub_f32_e32 v61, v97, v61
	s_waitcnt vmcnt(0)
	v_sub_f32_e32 v62, v98, v62
	buffer_store_dword v61, off, s[0:3], 0 offset:152
	buffer_store_dword v62, off, s[0:3], 0 offset:156
	v_cmpx_lt_u32_e32 18, v0
	s_cbranch_execz .LBB28_151
; %bb.150:
	s_clause 0x1
	buffer_load_dword v61, off, s[0:3], 0 offset:144
	buffer_load_dword v62, off, s[0:3], 0 offset:148
	buffer_store_dword v60, off, s[0:3], 0 offset:144
	buffer_store_dword v60, off, s[0:3], 0 offset:148
	s_waitcnt vmcnt(0)
	ds_write_b64 v59, v[61:62]
.LBB28_151:
	s_or_b32 exec_lo, exec_lo, s4
	s_waitcnt lgkmcnt(0)
	s_waitcnt_vscnt null, 0x0
	s_barrier
	buffer_gl0_inv
	s_clause 0x15
	buffer_load_dword v81, off, s[0:3], 0 offset:156
	buffer_load_dword v82, off, s[0:3], 0 offset:164
	;; [unrolled: 1-line block ×22, first 2 shown]
	ds_read2_b64 v[61:64], v60 offset0:49 offset1:50
	ds_read2_b64 v[65:68], v60 offset0:51 offset1:52
	;; [unrolled: 1-line block ×5, first 2 shown]
	s_mov_b32 s4, exec_lo
	s_waitcnt vmcnt(21) lgkmcnt(4)
	v_mul_f32_e32 v60, v61, v81
	v_mul_f32_e32 v81, v62, v81
	s_waitcnt vmcnt(20)
	v_mul_f32_e32 v103, v63, v82
	v_mul_f32_e32 v82, v64, v82
	s_waitcnt vmcnt(19) lgkmcnt(3)
	v_mul_f32_e32 v104, v65, v83
	s_waitcnt vmcnt(18)
	v_mul_f32_e32 v105, v67, v84
	s_waitcnt vmcnt(17) lgkmcnt(2)
	v_mul_f32_e32 v106, v69, v85
	s_waitcnt vmcnt(16)
	;; [unrolled: 4-line block ×3, first 2 shown]
	v_mul_f32_e32 v109, v75, v88
	s_waitcnt vmcnt(11)
	v_fma_f32 v61, v61, v91, -v81
	v_fmac_f32_e32 v60, v62, v91
	v_mul_f32_e32 v62, v66, v83
	s_waitcnt vmcnt(10)
	v_fma_f32 v63, v63, v92, -v82
	v_fmac_f32_e32 v103, v64, v92
	v_add_f32_e32 v61, 0, v61
	v_add_f32_e32 v60, 0, v60
	v_mul_f32_e32 v64, v68, v84
	s_waitcnt vmcnt(9)
	v_fma_f32 v62, v65, v93, -v62
	v_fmac_f32_e32 v104, v66, v93
	v_add_f32_e32 v61, v61, v63
	v_add_f32_e32 v60, v60, v103
	;; [unrolled: 6-line block ×6, first 2 shown]
	s_waitcnt lgkmcnt(0)
	v_mul_f32_e32 v62, v78, v89
	s_waitcnt vmcnt(4)
	v_fma_f32 v63, v75, v98, -v63
	v_mul_f32_e32 v110, v77, v89
	v_add_f32_e32 v61, v61, v64
	v_fmac_f32_e32 v109, v76, v98
	v_add_f32_e32 v60, v60, v108
	v_mul_f32_e32 v64, v80, v90
	s_waitcnt vmcnt(3)
	v_fma_f32 v62, v77, v99, -v62
	v_add_f32_e32 v61, v61, v63
	v_mul_f32_e32 v111, v79, v90
	v_fmac_f32_e32 v110, v78, v99
	v_add_f32_e32 v60, v60, v109
	s_waitcnt vmcnt(2)
	v_fma_f32 v63, v79, v100, -v64
	v_add_f32_e32 v61, v61, v62
	v_fmac_f32_e32 v111, v80, v100
	v_add_f32_e32 v60, v60, v110
	v_add_f32_e32 v61, v61, v63
	;; [unrolled: 1-line block ×3, first 2 shown]
	s_waitcnt vmcnt(1)
	v_sub_f32_e32 v61, v101, v61
	s_waitcnt vmcnt(0)
	v_sub_f32_e32 v60, v102, v60
	buffer_store_dword v61, off, s[0:3], 0 offset:144
	buffer_store_dword v60, off, s[0:3], 0 offset:148
	v_cmpx_lt_u32_e32 17, v0
	s_cbranch_execz .LBB28_153
; %bb.152:
	s_clause 0x1
	buffer_load_dword v60, off, s[0:3], 0 offset:136
	buffer_load_dword v61, off, s[0:3], 0 offset:140
	v_mov_b32_e32 v62, 0
	buffer_store_dword v62, off, s[0:3], 0 offset:136
	buffer_store_dword v62, off, s[0:3], 0 offset:140
	s_waitcnt vmcnt(0)
	ds_write_b64 v59, v[60:61]
.LBB28_153:
	s_or_b32 exec_lo, exec_lo, s4
	s_waitcnt lgkmcnt(0)
	s_waitcnt_vscnt null, 0x0
	s_barrier
	buffer_gl0_inv
	s_clause 0x17
	buffer_load_dword v83, off, s[0:3], 0 offset:148
	buffer_load_dword v84, off, s[0:3], 0 offset:156
	;; [unrolled: 1-line block ×24, first 2 shown]
	v_mov_b32_e32 v60, 0
	ds_read_b128 v[61:64], v60 offset:384
	ds_read_b128 v[65:68], v60 offset:400
	;; [unrolled: 1-line block ×5, first 2 shown]
	ds_read_b64 v[81:82], v60 offset:464
	s_mov_b32 s4, exec_lo
	s_waitcnt vmcnt(23) lgkmcnt(5)
	v_mul_f32_e32 v107, v61, v83
	v_mul_f32_e32 v83, v62, v83
	s_waitcnt vmcnt(22)
	v_mul_f32_e32 v108, v63, v84
	v_mul_f32_e32 v84, v64, v84
	s_waitcnt vmcnt(21) lgkmcnt(4)
	v_mul_f32_e32 v109, v65, v85
	s_waitcnt vmcnt(20)
	v_mul_f32_e32 v110, v67, v86
	s_waitcnt vmcnt(19) lgkmcnt(3)
	v_mul_f32_e32 v111, v69, v87
	s_waitcnt vmcnt(18)
	;; [unrolled: 4-line block ×4, first 2 shown]
	v_fma_f32 v61, v61, v94, -v83
	v_fmac_f32_e32 v107, v62, v94
	v_mul_f32_e32 v62, v66, v85
	s_waitcnt vmcnt(11)
	v_fma_f32 v63, v63, v95, -v84
	v_fmac_f32_e32 v108, v64, v95
	v_add_f32_e32 v61, 0, v61
	v_add_f32_e32 v64, 0, v107
	v_mul_f32_e32 v83, v68, v86
	s_waitcnt vmcnt(10)
	v_fma_f32 v62, v65, v96, -v62
	v_fmac_f32_e32 v109, v66, v96
	v_add_f32_e32 v61, v61, v63
	v_add_f32_e32 v63, v64, v108
	v_mul_f32_e32 v64, v70, v87
	s_waitcnt vmcnt(9)
	v_fma_f32 v65, v67, v97, -v83
	v_fmac_f32_e32 v110, v68, v97
	v_add_f32_e32 v61, v61, v62
	v_add_f32_e32 v62, v63, v109
	v_mul_f32_e32 v63, v72, v88
	s_waitcnt vmcnt(8)
	v_fma_f32 v64, v69, v98, -v64
	v_fmac_f32_e32 v111, v70, v98
	v_add_f32_e32 v61, v61, v65
	v_add_f32_e32 v62, v62, v110
	v_mul_f32_e32 v65, v74, v89
	s_waitcnt vmcnt(7)
	v_fma_f32 v63, v71, v99, -v63
	v_fmac_f32_e32 v112, v72, v99
	v_add_f32_e32 v61, v61, v64
	v_add_f32_e32 v62, v62, v111
	v_mul_f32_e32 v64, v76, v90
	s_waitcnt vmcnt(6)
	v_fma_f32 v65, v73, v100, -v65
	v_fmac_f32_e32 v113, v74, v100
	v_add_f32_e32 v61, v61, v63
	v_add_f32_e32 v62, v62, v112
	v_mul_f32_e32 v63, v78, v91
	s_waitcnt vmcnt(5)
	v_fma_f32 v64, v75, v101, -v64
	v_fmac_f32_e32 v114, v76, v101
	v_add_f32_e32 v61, v61, v65
	v_add_f32_e32 v62, v62, v113
	v_mul_f32_e32 v65, v80, v92
	s_waitcnt vmcnt(4)
	v_fma_f32 v63, v77, v102, -v63
	v_mul_f32_e32 v116, v79, v92
	v_add_f32_e32 v61, v61, v64
	v_fmac_f32_e32 v115, v78, v102
	v_add_f32_e32 v62, v62, v114
	s_waitcnt lgkmcnt(0)
	v_mul_f32_e32 v64, v82, v93
	s_waitcnt vmcnt(3)
	v_fma_f32 v65, v79, v103, -v65
	v_add_f32_e32 v61, v61, v63
	v_mul_f32_e32 v117, v81, v93
	v_fmac_f32_e32 v116, v80, v103
	v_add_f32_e32 v62, v62, v115
	s_waitcnt vmcnt(2)
	v_fma_f32 v63, v81, v104, -v64
	v_add_f32_e32 v61, v61, v65
	v_fmac_f32_e32 v117, v82, v104
	v_add_f32_e32 v62, v62, v116
	v_add_f32_e32 v61, v61, v63
	;; [unrolled: 1-line block ×3, first 2 shown]
	s_waitcnt vmcnt(1)
	v_sub_f32_e32 v61, v105, v61
	s_waitcnt vmcnt(0)
	v_sub_f32_e32 v62, v106, v62
	buffer_store_dword v61, off, s[0:3], 0 offset:136
	buffer_store_dword v62, off, s[0:3], 0 offset:140
	v_cmpx_lt_u32_e32 16, v0
	s_cbranch_execz .LBB28_155
; %bb.154:
	s_clause 0x1
	buffer_load_dword v61, off, s[0:3], 0 offset:128
	buffer_load_dword v62, off, s[0:3], 0 offset:132
	buffer_store_dword v60, off, s[0:3], 0 offset:128
	buffer_store_dword v60, off, s[0:3], 0 offset:132
	s_waitcnt vmcnt(0)
	ds_write_b64 v59, v[61:62]
.LBB28_155:
	s_or_b32 exec_lo, exec_lo, s4
	s_waitcnt lgkmcnt(0)
	s_waitcnt_vscnt null, 0x0
	s_barrier
	buffer_gl0_inv
	s_clause 0x19
	buffer_load_dword v85, off, s[0:3], 0 offset:140
	buffer_load_dword v86, off, s[0:3], 0 offset:148
	;; [unrolled: 1-line block ×26, first 2 shown]
	ds_read2_b64 v[61:64], v60 offset0:47 offset1:48
	ds_read2_b64 v[65:68], v60 offset0:49 offset1:50
	;; [unrolled: 1-line block ×6, first 2 shown]
	s_mov_b32 s4, exec_lo
	s_waitcnt vmcnt(25) lgkmcnt(5)
	v_mul_f32_e32 v60, v61, v85
	v_mul_f32_e32 v85, v62, v85
	s_waitcnt vmcnt(24)
	v_mul_f32_e32 v111, v63, v86
	v_mul_f32_e32 v86, v64, v86
	s_waitcnt vmcnt(23) lgkmcnt(4)
	v_mul_f32_e32 v112, v65, v87
	s_waitcnt vmcnt(22)
	v_mul_f32_e32 v113, v67, v88
	s_waitcnt vmcnt(21) lgkmcnt(3)
	v_mul_f32_e32 v114, v69, v89
	s_waitcnt vmcnt(20)
	;; [unrolled: 4-line block ×4, first 2 shown]
	v_mul_f32_e32 v119, v79, v94
	s_waitcnt vmcnt(13)
	v_fma_f32 v61, v61, v97, -v85
	v_fmac_f32_e32 v60, v62, v97
	v_mul_f32_e32 v62, v66, v87
	s_waitcnt vmcnt(12)
	v_fma_f32 v63, v63, v98, -v86
	v_fmac_f32_e32 v111, v64, v98
	v_add_f32_e32 v61, 0, v61
	v_add_f32_e32 v60, 0, v60
	v_mul_f32_e32 v64, v68, v88
	s_waitcnt vmcnt(11)
	v_fma_f32 v62, v65, v99, -v62
	v_fmac_f32_e32 v112, v66, v99
	v_add_f32_e32 v61, v61, v63
	v_add_f32_e32 v60, v60, v111
	;; [unrolled: 6-line block ×8, first 2 shown]
	s_waitcnt lgkmcnt(0)
	v_mul_f32_e32 v63, v82, v95
	s_waitcnt vmcnt(4)
	v_fma_f32 v64, v79, v106, -v64
	v_mul_f32_e32 v120, v81, v95
	v_add_f32_e32 v61, v61, v62
	v_fmac_f32_e32 v119, v80, v106
	v_add_f32_e32 v60, v60, v118
	v_mul_f32_e32 v62, v84, v96
	s_waitcnt vmcnt(3)
	v_fma_f32 v63, v81, v107, -v63
	v_add_f32_e32 v61, v61, v64
	v_mul_f32_e32 v121, v83, v96
	v_fmac_f32_e32 v120, v82, v107
	v_add_f32_e32 v60, v60, v119
	s_waitcnt vmcnt(2)
	v_fma_f32 v62, v83, v108, -v62
	v_add_f32_e32 v61, v61, v63
	v_fmac_f32_e32 v121, v84, v108
	v_add_f32_e32 v60, v60, v120
	v_add_f32_e32 v61, v61, v62
	;; [unrolled: 1-line block ×3, first 2 shown]
	s_waitcnt vmcnt(1)
	v_sub_f32_e32 v61, v109, v61
	s_waitcnt vmcnt(0)
	v_sub_f32_e32 v60, v110, v60
	buffer_store_dword v61, off, s[0:3], 0 offset:128
	buffer_store_dword v60, off, s[0:3], 0 offset:132
	v_cmpx_lt_u32_e32 15, v0
	s_cbranch_execz .LBB28_157
; %bb.156:
	s_clause 0x1
	buffer_load_dword v60, off, s[0:3], 0 offset:120
	buffer_load_dword v61, off, s[0:3], 0 offset:124
	v_mov_b32_e32 v62, 0
	buffer_store_dword v62, off, s[0:3], 0 offset:120
	buffer_store_dword v62, off, s[0:3], 0 offset:124
	s_waitcnt vmcnt(0)
	ds_write_b64 v59, v[60:61]
.LBB28_157:
	s_or_b32 exec_lo, exec_lo, s4
	s_waitcnt lgkmcnt(0)
	s_waitcnt_vscnt null, 0x0
	s_barrier
	buffer_gl0_inv
	s_clause 0x1b
	buffer_load_dword v87, off, s[0:3], 0 offset:132
	buffer_load_dword v88, off, s[0:3], 0 offset:140
	;; [unrolled: 1-line block ×28, first 2 shown]
	v_mov_b32_e32 v60, 0
	ds_read_b128 v[61:64], v60 offset:368
	ds_read_b128 v[65:68], v60 offset:384
	;; [unrolled: 1-line block ×6, first 2 shown]
	ds_read_b64 v[85:86], v60 offset:464
	s_mov_b32 s4, exec_lo
	s_waitcnt vmcnt(27) lgkmcnt(6)
	v_mul_f32_e32 v115, v61, v87
	v_mul_f32_e32 v87, v62, v87
	s_waitcnt vmcnt(26)
	v_mul_f32_e32 v116, v63, v88
	v_mul_f32_e32 v88, v64, v88
	s_waitcnt vmcnt(25) lgkmcnt(5)
	v_mul_f32_e32 v117, v65, v89
	s_waitcnt vmcnt(24)
	v_mul_f32_e32 v118, v67, v90
	s_waitcnt vmcnt(23) lgkmcnt(4)
	v_mul_f32_e32 v119, v69, v91
	s_waitcnt vmcnt(22)
	;; [unrolled: 4-line block ×5, first 2 shown]
	v_fma_f32 v61, v61, v100, -v87
	v_fmac_f32_e32 v115, v62, v100
	v_mul_f32_e32 v62, v66, v89
	s_waitcnt vmcnt(13)
	v_fma_f32 v63, v63, v101, -v88
	v_fmac_f32_e32 v116, v64, v101
	v_add_f32_e32 v61, 0, v61
	v_add_f32_e32 v64, 0, v115
	v_mul_f32_e32 v87, v68, v90
	s_waitcnt vmcnt(12)
	v_fma_f32 v62, v65, v102, -v62
	v_fmac_f32_e32 v117, v66, v102
	v_add_f32_e32 v61, v61, v63
	v_add_f32_e32 v63, v64, v116
	;; [unrolled: 6-line block ×9, first 2 shown]
	v_mul_f32_e32 v63, v84, v98
	s_waitcnt vmcnt(4)
	v_fma_f32 v64, v81, v110, -v64
	v_mul_f32_e32 v126, v83, v98
	v_add_f32_e32 v61, v61, v65
	v_fmac_f32_e32 v125, v82, v110
	v_add_f32_e32 v62, v62, v124
	s_waitcnt lgkmcnt(0)
	v_mul_f32_e32 v65, v86, v99
	s_waitcnt vmcnt(3)
	v_fma_f32 v63, v83, v111, -v63
	v_add_f32_e32 v61, v61, v64
	v_mul_f32_e32 v127, v85, v99
	v_fmac_f32_e32 v126, v84, v111
	v_add_f32_e32 v62, v62, v125
	s_waitcnt vmcnt(2)
	v_fma_f32 v64, v85, v112, -v65
	v_add_f32_e32 v61, v61, v63
	v_fmac_f32_e32 v127, v86, v112
	v_add_f32_e32 v62, v62, v126
	v_add_f32_e32 v61, v61, v64
	;; [unrolled: 1-line block ×3, first 2 shown]
	s_waitcnt vmcnt(1)
	v_sub_f32_e32 v61, v113, v61
	s_waitcnt vmcnt(0)
	v_sub_f32_e32 v62, v114, v62
	buffer_store_dword v61, off, s[0:3], 0 offset:120
	buffer_store_dword v62, off, s[0:3], 0 offset:124
	v_cmpx_lt_u32_e32 14, v0
	s_cbranch_execz .LBB28_159
; %bb.158:
	s_clause 0x1
	buffer_load_dword v61, off, s[0:3], 0 offset:112
	buffer_load_dword v62, off, s[0:3], 0 offset:116
	buffer_store_dword v60, off, s[0:3], 0 offset:112
	buffer_store_dword v60, off, s[0:3], 0 offset:116
	s_waitcnt vmcnt(0)
	ds_write_b64 v59, v[61:62]
.LBB28_159:
	s_or_b32 exec_lo, exec_lo, s4
	s_waitcnt lgkmcnt(0)
	s_waitcnt_vscnt null, 0x0
	s_barrier
	buffer_gl0_inv
	s_clause 0x1d
	buffer_load_dword v89, off, s[0:3], 0 offset:124
	buffer_load_dword v90, off, s[0:3], 0 offset:132
	buffer_load_dword v91, off, s[0:3], 0 offset:140
	buffer_load_dword v92, off, s[0:3], 0 offset:148
	buffer_load_dword v93, off, s[0:3], 0 offset:156
	buffer_load_dword v94, off, s[0:3], 0 offset:164
	buffer_load_dword v95, off, s[0:3], 0 offset:172
	buffer_load_dword v96, off, s[0:3], 0 offset:180
	buffer_load_dword v97, off, s[0:3], 0 offset:188
	buffer_load_dword v98, off, s[0:3], 0 offset:196
	buffer_load_dword v99, off, s[0:3], 0 offset:204
	buffer_load_dword v100, off, s[0:3], 0 offset:212
	buffer_load_dword v101, off, s[0:3], 0 offset:220
	buffer_load_dword v102, off, s[0:3], 0 offset:228
	buffer_load_dword v103, off, s[0:3], 0 offset:120
	buffer_load_dword v104, off, s[0:3], 0 offset:128
	buffer_load_dword v105, off, s[0:3], 0 offset:136
	buffer_load_dword v106, off, s[0:3], 0 offset:144
	buffer_load_dword v107, off, s[0:3], 0 offset:152
	buffer_load_dword v108, off, s[0:3], 0 offset:160
	buffer_load_dword v109, off, s[0:3], 0 offset:168
	buffer_load_dword v110, off, s[0:3], 0 offset:176
	buffer_load_dword v111, off, s[0:3], 0 offset:184
	buffer_load_dword v112, off, s[0:3], 0 offset:192
	buffer_load_dword v113, off, s[0:3], 0 offset:200
	buffer_load_dword v114, off, s[0:3], 0 offset:208
	buffer_load_dword v115, off, s[0:3], 0 offset:216
	buffer_load_dword v116, off, s[0:3], 0 offset:224
	buffer_load_dword v117, off, s[0:3], 0 offset:112
	buffer_load_dword v118, off, s[0:3], 0 offset:116
	ds_read2_b64 v[61:64], v60 offset0:45 offset1:46
	ds_read2_b64 v[65:68], v60 offset0:47 offset1:48
	;; [unrolled: 1-line block ×7, first 2 shown]
	s_mov_b32 s4, exec_lo
	s_waitcnt vmcnt(29) lgkmcnt(6)
	v_mul_f32_e32 v60, v61, v89
	v_mul_f32_e32 v89, v62, v89
	s_waitcnt vmcnt(28)
	v_mul_f32_e32 v119, v63, v90
	v_mul_f32_e32 v90, v64, v90
	s_waitcnt vmcnt(27) lgkmcnt(5)
	v_mul_f32_e32 v120, v65, v91
	s_waitcnt vmcnt(26)
	v_mul_f32_e32 v121, v67, v92
	s_waitcnt vmcnt(25) lgkmcnt(4)
	v_mul_f32_e32 v122, v69, v93
	s_waitcnt vmcnt(24)
	;; [unrolled: 4-line block ×5, first 2 shown]
	v_mul_f32_e32 v129, v83, v100
	s_waitcnt vmcnt(15)
	v_fma_f32 v61, v61, v103, -v89
	v_fmac_f32_e32 v60, v62, v103
	v_mul_f32_e32 v62, v66, v91
	s_waitcnt vmcnt(14)
	v_fma_f32 v63, v63, v104, -v90
	v_fmac_f32_e32 v119, v64, v104
	v_add_f32_e32 v61, 0, v61
	v_add_f32_e32 v60, 0, v60
	v_mul_f32_e32 v64, v68, v92
	s_waitcnt vmcnt(13)
	v_fma_f32 v62, v65, v105, -v62
	v_fmac_f32_e32 v120, v66, v105
	v_add_f32_e32 v61, v61, v63
	v_add_f32_e32 v60, v60, v119
	;; [unrolled: 6-line block ×10, first 2 shown]
	s_waitcnt lgkmcnt(0)
	v_mul_f32_e32 v64, v86, v101
	s_waitcnt vmcnt(4)
	v_fma_f32 v62, v83, v114, -v62
	v_mul_f32_e32 v130, v85, v101
	v_add_f32_e32 v61, v61, v63
	v_fmac_f32_e32 v129, v84, v114
	v_add_f32_e32 v60, v60, v128
	v_mul_f32_e32 v63, v88, v102
	s_waitcnt vmcnt(3)
	v_fma_f32 v64, v85, v115, -v64
	v_add_f32_e32 v61, v61, v62
	v_mul_f32_e32 v131, v87, v102
	v_fmac_f32_e32 v130, v86, v115
	v_add_f32_e32 v60, v60, v129
	s_waitcnt vmcnt(2)
	v_fma_f32 v62, v87, v116, -v63
	v_add_f32_e32 v61, v61, v64
	v_fmac_f32_e32 v131, v88, v116
	v_add_f32_e32 v60, v60, v130
	v_add_f32_e32 v61, v61, v62
	;; [unrolled: 1-line block ×3, first 2 shown]
	s_waitcnt vmcnt(1)
	v_sub_f32_e32 v61, v117, v61
	s_waitcnt vmcnt(0)
	v_sub_f32_e32 v60, v118, v60
	buffer_store_dword v61, off, s[0:3], 0 offset:112
	buffer_store_dword v60, off, s[0:3], 0 offset:116
	v_cmpx_lt_u32_e32 13, v0
	s_cbranch_execz .LBB28_161
; %bb.160:
	s_clause 0x1
	buffer_load_dword v60, off, s[0:3], 0 offset:104
	buffer_load_dword v61, off, s[0:3], 0 offset:108
	v_mov_b32_e32 v62, 0
	buffer_store_dword v62, off, s[0:3], 0 offset:104
	buffer_store_dword v62, off, s[0:3], 0 offset:108
	s_waitcnt vmcnt(0)
	ds_write_b64 v59, v[60:61]
.LBB28_161:
	s_or_b32 exec_lo, exec_lo, s4
	s_waitcnt lgkmcnt(0)
	s_waitcnt_vscnt null, 0x0
	s_barrier
	buffer_gl0_inv
	s_clause 0x1f
	buffer_load_dword v91, off, s[0:3], 0 offset:116
	buffer_load_dword v92, off, s[0:3], 0 offset:124
	;; [unrolled: 1-line block ×32, first 2 shown]
	v_mov_b32_e32 v60, 0
	ds_read_b128 v[61:64], v60 offset:352
	ds_read_b128 v[65:68], v60 offset:368
	;; [unrolled: 1-line block ×7, first 2 shown]
	ds_read_b64 v[89:90], v60 offset:464
	s_mov_b32 s4, exec_lo
	s_waitcnt vmcnt(31) lgkmcnt(7)
	v_mul_f32_e32 v123, v61, v91
	v_mul_f32_e32 v91, v62, v91
	s_waitcnt vmcnt(30)
	v_mul_f32_e32 v124, v63, v92
	v_mul_f32_e32 v92, v64, v92
	s_waitcnt vmcnt(29) lgkmcnt(6)
	v_mul_f32_e32 v125, v65, v93
	s_waitcnt vmcnt(28)
	v_mul_f32_e32 v126, v67, v94
	s_waitcnt vmcnt(27) lgkmcnt(5)
	v_mul_f32_e32 v127, v69, v95
	s_waitcnt vmcnt(26)
	v_mul_f32_e32 v128, v71, v96
	s_waitcnt vmcnt(25) lgkmcnt(4)
	v_mul_f32_e32 v129, v73, v97
	s_waitcnt vmcnt(24)
	v_mul_f32_e32 v130, v75, v98
	s_waitcnt vmcnt(23) lgkmcnt(3)
	v_mul_f32_e32 v131, v77, v99
	s_waitcnt vmcnt(22)
	v_mul_f32_e32 v132, v79, v100
	s_waitcnt vmcnt(21) lgkmcnt(2)
	v_mul_f32_e32 v133, v81, v101
	s_waitcnt vmcnt(20)
	v_mul_f32_e32 v134, v83, v102
	s_waitcnt vmcnt(19) lgkmcnt(1)
	v_mul_f32_e32 v135, v85, v103
	s_waitcnt vmcnt(16)
	v_fma_f32 v61, v61, v106, -v91
	v_fmac_f32_e32 v123, v62, v106
	v_mul_f32_e32 v62, v66, v93
	s_waitcnt vmcnt(15)
	v_fma_f32 v63, v63, v107, -v92
	v_fmac_f32_e32 v124, v64, v107
	v_add_f32_e32 v61, 0, v61
	v_add_f32_e32 v64, 0, v123
	v_mul_f32_e32 v91, v68, v94
	s_waitcnt vmcnt(14)
	v_fma_f32 v62, v65, v108, -v62
	v_fmac_f32_e32 v125, v66, v108
	v_add_f32_e32 v61, v61, v63
	v_add_f32_e32 v63, v64, v124
	;; [unrolled: 6-line block ×11, first 2 shown]
	v_mul_f32_e32 v64, v88, v104
	s_waitcnt vmcnt(4)
	v_fma_f32 v65, v85, v118, -v65
	v_mul_f32_e32 v136, v87, v104
	v_add_f32_e32 v61, v61, v63
	v_fmac_f32_e32 v135, v86, v118
	v_add_f32_e32 v62, v62, v134
	s_waitcnt lgkmcnt(0)
	v_mul_f32_e32 v63, v90, v105
	s_waitcnt vmcnt(3)
	v_fma_f32 v64, v87, v119, -v64
	v_add_f32_e32 v61, v61, v65
	v_mul_f32_e32 v137, v89, v105
	v_fmac_f32_e32 v136, v88, v119
	v_add_f32_e32 v62, v62, v135
	s_waitcnt vmcnt(2)
	v_fma_f32 v63, v89, v120, -v63
	v_add_f32_e32 v61, v61, v64
	v_fmac_f32_e32 v137, v90, v120
	v_add_f32_e32 v62, v62, v136
	v_add_f32_e32 v61, v61, v63
	;; [unrolled: 1-line block ×3, first 2 shown]
	s_waitcnt vmcnt(1)
	v_sub_f32_e32 v61, v121, v61
	s_waitcnt vmcnt(0)
	v_sub_f32_e32 v62, v122, v62
	buffer_store_dword v61, off, s[0:3], 0 offset:104
	buffer_store_dword v62, off, s[0:3], 0 offset:108
	v_cmpx_lt_u32_e32 12, v0
	s_cbranch_execz .LBB28_163
; %bb.162:
	s_clause 0x1
	buffer_load_dword v61, off, s[0:3], 0 offset:96
	buffer_load_dword v62, off, s[0:3], 0 offset:100
	buffer_store_dword v60, off, s[0:3], 0 offset:96
	buffer_store_dword v60, off, s[0:3], 0 offset:100
	s_waitcnt vmcnt(0)
	ds_write_b64 v59, v[61:62]
.LBB28_163:
	s_or_b32 exec_lo, exec_lo, s4
	s_waitcnt lgkmcnt(0)
	s_waitcnt_vscnt null, 0x0
	s_barrier
	buffer_gl0_inv
	s_clause 0x21
	buffer_load_dword v93, off, s[0:3], 0 offset:108
	buffer_load_dword v94, off, s[0:3], 0 offset:116
	buffer_load_dword v95, off, s[0:3], 0 offset:124
	buffer_load_dword v96, off, s[0:3], 0 offset:132
	buffer_load_dword v97, off, s[0:3], 0 offset:140
	buffer_load_dword v98, off, s[0:3], 0 offset:148
	buffer_load_dword v99, off, s[0:3], 0 offset:156
	buffer_load_dword v100, off, s[0:3], 0 offset:164
	buffer_load_dword v101, off, s[0:3], 0 offset:172
	buffer_load_dword v102, off, s[0:3], 0 offset:180
	buffer_load_dword v103, off, s[0:3], 0 offset:188
	buffer_load_dword v104, off, s[0:3], 0 offset:196
	buffer_load_dword v105, off, s[0:3], 0 offset:204
	buffer_load_dword v106, off, s[0:3], 0 offset:212
	buffer_load_dword v107, off, s[0:3], 0 offset:220
	buffer_load_dword v108, off, s[0:3], 0 offset:228
	buffer_load_dword v109, off, s[0:3], 0 offset:104
	buffer_load_dword v110, off, s[0:3], 0 offset:112
	buffer_load_dword v111, off, s[0:3], 0 offset:120
	buffer_load_dword v112, off, s[0:3], 0 offset:128
	buffer_load_dword v113, off, s[0:3], 0 offset:136
	buffer_load_dword v114, off, s[0:3], 0 offset:144
	buffer_load_dword v115, off, s[0:3], 0 offset:152
	buffer_load_dword v116, off, s[0:3], 0 offset:160
	buffer_load_dword v117, off, s[0:3], 0 offset:168
	buffer_load_dword v118, off, s[0:3], 0 offset:176
	buffer_load_dword v119, off, s[0:3], 0 offset:184
	buffer_load_dword v120, off, s[0:3], 0 offset:192
	buffer_load_dword v121, off, s[0:3], 0 offset:200
	buffer_load_dword v122, off, s[0:3], 0 offset:208
	buffer_load_dword v123, off, s[0:3], 0 offset:216
	buffer_load_dword v124, off, s[0:3], 0 offset:224
	buffer_load_dword v125, off, s[0:3], 0 offset:96
	buffer_load_dword v126, off, s[0:3], 0 offset:100
	ds_read2_b64 v[61:64], v60 offset0:43 offset1:44
	ds_read2_b64 v[65:68], v60 offset0:45 offset1:46
	;; [unrolled: 1-line block ×8, first 2 shown]
	s_mov_b32 s4, exec_lo
	s_waitcnt vmcnt(33) lgkmcnt(7)
	v_mul_f32_e32 v60, v61, v93
	v_mul_f32_e32 v93, v62, v93
	s_waitcnt vmcnt(32)
	v_mul_f32_e32 v127, v63, v94
	v_mul_f32_e32 v94, v64, v94
	s_waitcnt vmcnt(31) lgkmcnt(6)
	v_mul_f32_e32 v128, v65, v95
	s_waitcnt vmcnt(30)
	v_mul_f32_e32 v129, v67, v96
	s_waitcnt vmcnt(29) lgkmcnt(5)
	v_mul_f32_e32 v130, v69, v97
	s_waitcnt vmcnt(28)
	v_mul_f32_e32 v131, v71, v98
	s_waitcnt vmcnt(27) lgkmcnt(4)
	v_mul_f32_e32 v132, v73, v99
	s_waitcnt vmcnt(26)
	v_mul_f32_e32 v133, v75, v100
	s_waitcnt vmcnt(25) lgkmcnt(3)
	v_mul_f32_e32 v134, v77, v101
	s_waitcnt vmcnt(24)
	v_mul_f32_e32 v135, v79, v102
	s_waitcnt vmcnt(23) lgkmcnt(2)
	v_mul_f32_e32 v136, v81, v103
	s_waitcnt vmcnt(22)
	v_mul_f32_e32 v137, v83, v104
	s_waitcnt vmcnt(21) lgkmcnt(1)
	v_mul_f32_e32 v138, v85, v105
	s_waitcnt vmcnt(20)
	v_mul_f32_e32 v139, v87, v106
	s_waitcnt vmcnt(17)
	v_fma_f32 v61, v61, v109, -v93
	v_fmac_f32_e32 v60, v62, v109
	v_mul_f32_e32 v62, v66, v95
	s_waitcnt vmcnt(16)
	v_fma_f32 v63, v63, v110, -v94
	v_fmac_f32_e32 v127, v64, v110
	v_add_f32_e32 v61, 0, v61
	v_add_f32_e32 v60, 0, v60
	v_mul_f32_e32 v64, v68, v96
	s_waitcnt vmcnt(15)
	v_fma_f32 v62, v65, v111, -v62
	v_fmac_f32_e32 v128, v66, v111
	v_add_f32_e32 v61, v61, v63
	v_add_f32_e32 v60, v60, v127
	;; [unrolled: 6-line block ×12, first 2 shown]
	s_waitcnt lgkmcnt(0)
	v_mul_f32_e32 v62, v90, v107
	s_waitcnt vmcnt(4)
	v_fma_f32 v63, v87, v122, -v63
	v_mul_f32_e32 v140, v89, v107
	v_add_f32_e32 v61, v61, v64
	v_fmac_f32_e32 v139, v88, v122
	v_add_f32_e32 v60, v60, v138
	v_mul_f32_e32 v64, v92, v108
	s_waitcnt vmcnt(3)
	v_fma_f32 v62, v89, v123, -v62
	v_add_f32_e32 v61, v61, v63
	v_mul_f32_e32 v141, v91, v108
	v_fmac_f32_e32 v140, v90, v123
	v_add_f32_e32 v60, v60, v139
	s_waitcnt vmcnt(2)
	v_fma_f32 v63, v91, v124, -v64
	v_add_f32_e32 v61, v61, v62
	v_fmac_f32_e32 v141, v92, v124
	v_add_f32_e32 v60, v60, v140
	v_add_f32_e32 v61, v61, v63
	;; [unrolled: 1-line block ×3, first 2 shown]
	s_waitcnt vmcnt(1)
	v_sub_f32_e32 v61, v125, v61
	s_waitcnt vmcnt(0)
	v_sub_f32_e32 v60, v126, v60
	buffer_store_dword v61, off, s[0:3], 0 offset:96
	buffer_store_dword v60, off, s[0:3], 0 offset:100
	v_cmpx_lt_u32_e32 11, v0
	s_cbranch_execz .LBB28_165
; %bb.164:
	s_clause 0x1
	buffer_load_dword v60, off, s[0:3], 0 offset:88
	buffer_load_dword v61, off, s[0:3], 0 offset:92
	v_mov_b32_e32 v62, 0
	buffer_store_dword v62, off, s[0:3], 0 offset:88
	buffer_store_dword v62, off, s[0:3], 0 offset:92
	s_waitcnt vmcnt(0)
	ds_write_b64 v59, v[60:61]
.LBB28_165:
	s_or_b32 exec_lo, exec_lo, s4
	s_waitcnt lgkmcnt(0)
	s_waitcnt_vscnt null, 0x0
	s_barrier
	buffer_gl0_inv
	s_clause 0x23
	buffer_load_dword v95, off, s[0:3], 0 offset:100
	buffer_load_dword v96, off, s[0:3], 0 offset:108
	;; [unrolled: 1-line block ×36, first 2 shown]
	v_mov_b32_e32 v60, 0
	ds_read_b128 v[61:64], v60 offset:336
	ds_read_b128 v[65:68], v60 offset:352
	;; [unrolled: 1-line block ×8, first 2 shown]
	ds_read_b64 v[93:94], v60 offset:464
	s_mov_b32 s4, exec_lo
	s_waitcnt vmcnt(35) lgkmcnt(8)
	v_mul_f32_e32 v131, v61, v95
	v_mul_f32_e32 v95, v62, v95
	s_waitcnt vmcnt(34)
	v_mul_f32_e32 v132, v63, v96
	v_mul_f32_e32 v96, v64, v96
	s_waitcnt vmcnt(33) lgkmcnt(7)
	v_mul_f32_e32 v133, v65, v97
	s_waitcnt vmcnt(32)
	v_mul_f32_e32 v134, v67, v98
	s_waitcnt vmcnt(31) lgkmcnt(6)
	v_mul_f32_e32 v135, v69, v99
	s_waitcnt vmcnt(30)
	;; [unrolled: 4-line block ×7, first 2 shown]
	v_fma_f32 v61, v61, v112, -v95
	v_fmac_f32_e32 v131, v62, v112
	v_mul_f32_e32 v62, v66, v97
	s_waitcnt vmcnt(17)
	v_fma_f32 v63, v63, v113, -v96
	v_fmac_f32_e32 v132, v64, v113
	v_add_f32_e32 v61, 0, v61
	v_add_f32_e32 v64, 0, v131
	v_mul_f32_e32 v95, v68, v98
	s_waitcnt vmcnt(16)
	v_fma_f32 v62, v65, v114, -v62
	v_fmac_f32_e32 v133, v66, v114
	v_add_f32_e32 v61, v61, v63
	v_add_f32_e32 v63, v64, v132
	;; [unrolled: 6-line block ×13, first 2 shown]
	v_mul_f32_e32 v65, v92, v110
	s_waitcnt vmcnt(4)
	v_fma_f32 v63, v89, v126, -v63
	v_mul_f32_e32 v146, v91, v110
	v_add_f32_e32 v61, v61, v64
	v_fmac_f32_e32 v145, v90, v126
	v_add_f32_e32 v62, v62, v144
	s_waitcnt lgkmcnt(0)
	v_mul_f32_e32 v64, v94, v111
	s_waitcnt vmcnt(3)
	v_fma_f32 v65, v91, v127, -v65
	v_add_f32_e32 v61, v61, v63
	v_mul_f32_e32 v147, v93, v111
	v_fmac_f32_e32 v146, v92, v127
	v_add_f32_e32 v62, v62, v145
	s_waitcnt vmcnt(2)
	v_fma_f32 v63, v93, v128, -v64
	v_add_f32_e32 v61, v61, v65
	v_fmac_f32_e32 v147, v94, v128
	v_add_f32_e32 v62, v62, v146
	v_add_f32_e32 v61, v61, v63
	;; [unrolled: 1-line block ×3, first 2 shown]
	s_waitcnt vmcnt(1)
	v_sub_f32_e32 v61, v129, v61
	s_waitcnt vmcnt(0)
	v_sub_f32_e32 v62, v130, v62
	buffer_store_dword v61, off, s[0:3], 0 offset:88
	buffer_store_dword v62, off, s[0:3], 0 offset:92
	v_cmpx_lt_u32_e32 10, v0
	s_cbranch_execz .LBB28_167
; %bb.166:
	s_clause 0x1
	buffer_load_dword v61, off, s[0:3], 0 offset:80
	buffer_load_dword v62, off, s[0:3], 0 offset:84
	buffer_store_dword v60, off, s[0:3], 0 offset:80
	buffer_store_dword v60, off, s[0:3], 0 offset:84
	s_waitcnt vmcnt(0)
	ds_write_b64 v59, v[61:62]
.LBB28_167:
	s_or_b32 exec_lo, exec_lo, s4
	s_waitcnt lgkmcnt(0)
	s_waitcnt_vscnt null, 0x0
	s_barrier
	buffer_gl0_inv
	s_clause 0x25
	buffer_load_dword v97, off, s[0:3], 0 offset:92
	buffer_load_dword v98, off, s[0:3], 0 offset:100
	buffer_load_dword v99, off, s[0:3], 0 offset:108
	buffer_load_dword v100, off, s[0:3], 0 offset:116
	buffer_load_dword v101, off, s[0:3], 0 offset:124
	buffer_load_dword v102, off, s[0:3], 0 offset:132
	buffer_load_dword v103, off, s[0:3], 0 offset:140
	buffer_load_dword v104, off, s[0:3], 0 offset:148
	buffer_load_dword v105, off, s[0:3], 0 offset:156
	buffer_load_dword v106, off, s[0:3], 0 offset:164
	buffer_load_dword v107, off, s[0:3], 0 offset:172
	buffer_load_dword v108, off, s[0:3], 0 offset:180
	buffer_load_dword v109, off, s[0:3], 0 offset:188
	buffer_load_dword v110, off, s[0:3], 0 offset:196
	buffer_load_dword v111, off, s[0:3], 0 offset:204
	buffer_load_dword v112, off, s[0:3], 0 offset:212
	buffer_load_dword v113, off, s[0:3], 0 offset:220
	buffer_load_dword v114, off, s[0:3], 0 offset:228
	buffer_load_dword v115, off, s[0:3], 0 offset:88
	buffer_load_dword v116, off, s[0:3], 0 offset:96
	buffer_load_dword v117, off, s[0:3], 0 offset:104
	buffer_load_dword v118, off, s[0:3], 0 offset:112
	buffer_load_dword v119, off, s[0:3], 0 offset:120
	buffer_load_dword v120, off, s[0:3], 0 offset:128
	buffer_load_dword v121, off, s[0:3], 0 offset:136
	buffer_load_dword v122, off, s[0:3], 0 offset:144
	buffer_load_dword v123, off, s[0:3], 0 offset:152
	buffer_load_dword v124, off, s[0:3], 0 offset:160
	buffer_load_dword v125, off, s[0:3], 0 offset:168
	buffer_load_dword v126, off, s[0:3], 0 offset:176
	buffer_load_dword v127, off, s[0:3], 0 offset:184
	buffer_load_dword v128, off, s[0:3], 0 offset:192
	buffer_load_dword v129, off, s[0:3], 0 offset:200
	buffer_load_dword v130, off, s[0:3], 0 offset:208
	buffer_load_dword v131, off, s[0:3], 0 offset:216
	buffer_load_dword v132, off, s[0:3], 0 offset:224
	buffer_load_dword v133, off, s[0:3], 0 offset:80
	buffer_load_dword v134, off, s[0:3], 0 offset:84
	ds_read2_b64 v[61:64], v60 offset0:41 offset1:42
	ds_read2_b64 v[65:68], v60 offset0:43 offset1:44
	;; [unrolled: 1-line block ×9, first 2 shown]
	s_mov_b32 s4, exec_lo
	s_waitcnt vmcnt(37) lgkmcnt(8)
	v_mul_f32_e32 v60, v61, v97
	v_mul_f32_e32 v97, v62, v97
	s_waitcnt vmcnt(36)
	v_mul_f32_e32 v135, v63, v98
	v_mul_f32_e32 v98, v64, v98
	s_waitcnt vmcnt(35) lgkmcnt(7)
	v_mul_f32_e32 v136, v65, v99
	s_waitcnt vmcnt(34)
	v_mul_f32_e32 v137, v67, v100
	s_waitcnt vmcnt(33) lgkmcnt(6)
	v_mul_f32_e32 v138, v69, v101
	s_waitcnt vmcnt(32)
	;; [unrolled: 4-line block ×7, first 2 shown]
	v_mul_f32_e32 v149, v91, v112
	s_waitcnt vmcnt(19)
	v_fma_f32 v61, v61, v115, -v97
	v_fmac_f32_e32 v60, v62, v115
	v_mul_f32_e32 v62, v66, v99
	s_waitcnt vmcnt(18)
	v_fma_f32 v63, v63, v116, -v98
	v_fmac_f32_e32 v135, v64, v116
	v_add_f32_e32 v61, 0, v61
	v_add_f32_e32 v60, 0, v60
	v_mul_f32_e32 v64, v68, v100
	s_waitcnt vmcnt(17)
	v_fma_f32 v62, v65, v117, -v62
	v_fmac_f32_e32 v136, v66, v117
	v_add_f32_e32 v61, v61, v63
	v_add_f32_e32 v60, v60, v135
	;; [unrolled: 6-line block ×14, first 2 shown]
	s_waitcnt lgkmcnt(0)
	v_mul_f32_e32 v63, v94, v113
	s_waitcnt vmcnt(4)
	v_fma_f32 v64, v91, v130, -v64
	v_mul_f32_e32 v150, v93, v113
	v_add_f32_e32 v61, v61, v62
	v_fmac_f32_e32 v149, v92, v130
	v_add_f32_e32 v60, v60, v148
	v_mul_f32_e32 v62, v96, v114
	s_waitcnt vmcnt(3)
	v_fma_f32 v63, v93, v131, -v63
	v_add_f32_e32 v61, v61, v64
	v_mul_f32_e32 v151, v95, v114
	v_fmac_f32_e32 v150, v94, v131
	v_add_f32_e32 v60, v60, v149
	s_waitcnt vmcnt(2)
	v_fma_f32 v62, v95, v132, -v62
	v_add_f32_e32 v61, v61, v63
	v_fmac_f32_e32 v151, v96, v132
	v_add_f32_e32 v60, v60, v150
	v_add_f32_e32 v61, v61, v62
	;; [unrolled: 1-line block ×3, first 2 shown]
	s_waitcnt vmcnt(1)
	v_sub_f32_e32 v61, v133, v61
	s_waitcnt vmcnt(0)
	v_sub_f32_e32 v60, v134, v60
	buffer_store_dword v61, off, s[0:3], 0 offset:80
	buffer_store_dword v60, off, s[0:3], 0 offset:84
	v_cmpx_lt_u32_e32 9, v0
	s_cbranch_execz .LBB28_169
; %bb.168:
	s_clause 0x1
	buffer_load_dword v60, off, s[0:3], 0 offset:72
	buffer_load_dword v61, off, s[0:3], 0 offset:76
	v_mov_b32_e32 v62, 0
	buffer_store_dword v62, off, s[0:3], 0 offset:72
	buffer_store_dword v62, off, s[0:3], 0 offset:76
	s_waitcnt vmcnt(0)
	ds_write_b64 v59, v[60:61]
.LBB28_169:
	s_or_b32 exec_lo, exec_lo, s4
	s_waitcnt lgkmcnt(0)
	s_waitcnt_vscnt null, 0x0
	s_barrier
	buffer_gl0_inv
	s_clause 0x27
	buffer_load_dword v99, off, s[0:3], 0 offset:84
	buffer_load_dword v100, off, s[0:3], 0 offset:92
	;; [unrolled: 1-line block ×40, first 2 shown]
	v_mov_b32_e32 v60, 0
	ds_read_b128 v[61:64], v60 offset:320
	ds_read_b128 v[65:68], v60 offset:336
	;; [unrolled: 1-line block ×9, first 2 shown]
	ds_read_b64 v[97:98], v60 offset:464
	s_mov_b32 s4, exec_lo
	s_waitcnt vmcnt(39) lgkmcnt(9)
	v_mul_f32_e32 v139, v61, v99
	v_mul_f32_e32 v99, v62, v99
	s_waitcnt vmcnt(38)
	v_mul_f32_e32 v140, v63, v100
	v_mul_f32_e32 v100, v64, v100
	s_waitcnt vmcnt(37) lgkmcnt(8)
	v_mul_f32_e32 v141, v65, v101
	s_waitcnt vmcnt(36)
	v_mul_f32_e32 v142, v67, v102
	s_waitcnt vmcnt(35) lgkmcnt(7)
	v_mul_f32_e32 v143, v69, v103
	s_waitcnt vmcnt(34)
	;; [unrolled: 4-line block ×8, first 2 shown]
	v_fma_f32 v61, v61, v118, -v99
	v_fmac_f32_e32 v139, v62, v118
	v_mul_f32_e32 v62, v66, v101
	s_waitcnt vmcnt(19)
	v_fma_f32 v63, v63, v119, -v100
	v_fmac_f32_e32 v140, v64, v119
	v_add_f32_e32 v61, 0, v61
	v_add_f32_e32 v64, 0, v139
	v_mul_f32_e32 v99, v68, v102
	s_waitcnt vmcnt(18)
	v_fma_f32 v62, v65, v120, -v62
	v_fmac_f32_e32 v141, v66, v120
	v_add_f32_e32 v61, v61, v63
	v_add_f32_e32 v63, v64, v140
	;; [unrolled: 6-line block ×15, first 2 shown]
	v_mul_f32_e32 v63, v96, v116
	s_waitcnt vmcnt(4)
	v_fma_f32 v64, v93, v134, -v64
	v_mul_f32_e32 v156, v95, v116
	v_add_f32_e32 v61, v61, v65
	v_fmac_f32_e32 v155, v94, v134
	v_add_f32_e32 v62, v62, v154
	s_waitcnt lgkmcnt(0)
	v_mul_f32_e32 v65, v98, v117
	s_waitcnt vmcnt(3)
	v_fma_f32 v63, v95, v135, -v63
	v_add_f32_e32 v61, v61, v64
	v_mul_f32_e32 v157, v97, v117
	v_fmac_f32_e32 v156, v96, v135
	v_add_f32_e32 v62, v62, v155
	s_waitcnt vmcnt(2)
	v_fma_f32 v64, v97, v136, -v65
	v_add_f32_e32 v61, v61, v63
	v_fmac_f32_e32 v157, v98, v136
	v_add_f32_e32 v62, v62, v156
	v_add_f32_e32 v61, v61, v64
	v_add_f32_e32 v62, v62, v157
	s_waitcnt vmcnt(1)
	v_sub_f32_e32 v61, v137, v61
	s_waitcnt vmcnt(0)
	v_sub_f32_e32 v62, v138, v62
	buffer_store_dword v61, off, s[0:3], 0 offset:72
	buffer_store_dword v62, off, s[0:3], 0 offset:76
	v_cmpx_lt_u32_e32 8, v0
	s_cbranch_execz .LBB28_171
; %bb.170:
	s_clause 0x1
	buffer_load_dword v61, off, s[0:3], 0 offset:64
	buffer_load_dword v62, off, s[0:3], 0 offset:68
	buffer_store_dword v60, off, s[0:3], 0 offset:64
	buffer_store_dword v60, off, s[0:3], 0 offset:68
	s_waitcnt vmcnt(0)
	ds_write_b64 v59, v[61:62]
.LBB28_171:
	s_or_b32 exec_lo, exec_lo, s4
	s_waitcnt lgkmcnt(0)
	s_waitcnt_vscnt null, 0x0
	s_barrier
	buffer_gl0_inv
	s_clause 0x29
	buffer_load_dword v101, off, s[0:3], 0 offset:76
	buffer_load_dword v102, off, s[0:3], 0 offset:84
	;; [unrolled: 1-line block ×42, first 2 shown]
	ds_read2_b64 v[61:64], v60 offset0:39 offset1:40
	ds_read2_b64 v[65:68], v60 offset0:41 offset1:42
	;; [unrolled: 1-line block ×10, first 2 shown]
	s_mov_b32 s4, exec_lo
	s_waitcnt vmcnt(41) lgkmcnt(9)
	v_mul_f32_e32 v60, v61, v101
	v_mul_f32_e32 v101, v62, v101
	s_waitcnt vmcnt(40)
	v_mul_f32_e32 v143, v63, v102
	v_mul_f32_e32 v102, v64, v102
	s_waitcnt vmcnt(39) lgkmcnt(8)
	v_mul_f32_e32 v144, v65, v103
	s_waitcnt vmcnt(38)
	v_mul_f32_e32 v145, v67, v104
	s_waitcnt vmcnt(37) lgkmcnt(7)
	v_mul_f32_e32 v146, v69, v105
	s_waitcnt vmcnt(36)
	;; [unrolled: 4-line block ×8, first 2 shown]
	v_mul_f32_e32 v159, v95, v118
	s_waitcnt vmcnt(21)
	v_fma_f32 v61, v61, v121, -v101
	v_fmac_f32_e32 v60, v62, v121
	v_mul_f32_e32 v62, v66, v103
	s_waitcnt vmcnt(20)
	v_fma_f32 v63, v63, v122, -v102
	v_fmac_f32_e32 v143, v64, v122
	v_add_f32_e32 v61, 0, v61
	v_add_f32_e32 v60, 0, v60
	v_mul_f32_e32 v64, v68, v104
	s_waitcnt vmcnt(19)
	v_fma_f32 v62, v65, v123, -v62
	v_fmac_f32_e32 v144, v66, v123
	v_add_f32_e32 v61, v61, v63
	v_add_f32_e32 v60, v60, v143
	;; [unrolled: 6-line block ×16, first 2 shown]
	s_waitcnt lgkmcnt(0)
	v_mul_f32_e32 v64, v98, v119
	s_waitcnt vmcnt(4)
	v_fma_f32 v62, v95, v138, -v62
	v_mul_f32_e32 v160, v97, v119
	v_add_f32_e32 v61, v61, v63
	v_fmac_f32_e32 v159, v96, v138
	v_add_f32_e32 v60, v60, v158
	v_mul_f32_e32 v63, v100, v120
	s_waitcnt vmcnt(3)
	v_fma_f32 v64, v97, v139, -v64
	v_add_f32_e32 v61, v61, v62
	v_mul_f32_e32 v161, v99, v120
	v_fmac_f32_e32 v160, v98, v139
	v_add_f32_e32 v60, v60, v159
	s_waitcnt vmcnt(2)
	v_fma_f32 v62, v99, v140, -v63
	v_add_f32_e32 v61, v61, v64
	v_fmac_f32_e32 v161, v100, v140
	v_add_f32_e32 v60, v60, v160
	v_add_f32_e32 v61, v61, v62
	;; [unrolled: 1-line block ×3, first 2 shown]
	s_waitcnt vmcnt(1)
	v_sub_f32_e32 v61, v141, v61
	s_waitcnt vmcnt(0)
	v_sub_f32_e32 v60, v142, v60
	buffer_store_dword v61, off, s[0:3], 0 offset:64
	buffer_store_dword v60, off, s[0:3], 0 offset:68
	v_cmpx_lt_u32_e32 7, v0
	s_cbranch_execz .LBB28_173
; %bb.172:
	s_clause 0x1
	buffer_load_dword v60, off, s[0:3], 0 offset:56
	buffer_load_dword v61, off, s[0:3], 0 offset:60
	v_mov_b32_e32 v62, 0
	buffer_store_dword v62, off, s[0:3], 0 offset:56
	buffer_store_dword v62, off, s[0:3], 0 offset:60
	s_waitcnt vmcnt(0)
	ds_write_b64 v59, v[60:61]
.LBB28_173:
	s_or_b32 exec_lo, exec_lo, s4
	s_waitcnt lgkmcnt(0)
	s_waitcnt_vscnt null, 0x0
	s_barrier
	buffer_gl0_inv
	s_clause 0x2b
	buffer_load_dword v103, off, s[0:3], 0 offset:68
	buffer_load_dword v104, off, s[0:3], 0 offset:76
	;; [unrolled: 1-line block ×44, first 2 shown]
	v_mov_b32_e32 v60, 0
	ds_read_b128 v[61:64], v60 offset:304
	ds_read_b128 v[65:68], v60 offset:320
	;; [unrolled: 1-line block ×10, first 2 shown]
	ds_read_b64 v[101:102], v60 offset:464
	s_mov_b32 s4, exec_lo
	s_waitcnt vmcnt(43) lgkmcnt(10)
	v_mul_f32_e32 v147, v61, v103
	v_mul_f32_e32 v103, v62, v103
	s_waitcnt vmcnt(42)
	v_mul_f32_e32 v148, v63, v104
	v_mul_f32_e32 v104, v64, v104
	s_waitcnt vmcnt(41) lgkmcnt(9)
	v_mul_f32_e32 v149, v65, v105
	s_waitcnt vmcnt(40)
	v_mul_f32_e32 v150, v67, v106
	s_waitcnt vmcnt(39) lgkmcnt(8)
	v_mul_f32_e32 v151, v69, v107
	s_waitcnt vmcnt(38)
	;; [unrolled: 4-line block ×9, first 2 shown]
	v_fma_f32 v61, v61, v124, -v103
	v_fmac_f32_e32 v147, v62, v124
	v_mul_f32_e32 v62, v66, v105
	s_waitcnt vmcnt(21)
	v_fma_f32 v63, v63, v125, -v104
	v_fmac_f32_e32 v148, v64, v125
	v_add_f32_e32 v61, 0, v61
	v_add_f32_e32 v64, 0, v147
	v_mul_f32_e32 v103, v68, v106
	s_waitcnt vmcnt(20)
	v_fma_f32 v62, v65, v126, -v62
	v_fmac_f32_e32 v149, v66, v126
	v_add_f32_e32 v61, v61, v63
	v_add_f32_e32 v63, v64, v148
	;; [unrolled: 6-line block ×17, first 2 shown]
	v_mul_f32_e32 v64, v100, v122
	s_waitcnt vmcnt(4)
	v_fma_f32 v65, v97, v142, -v65
	v_mul_f32_e32 v166, v99, v122
	v_add_f32_e32 v61, v61, v63
	v_fmac_f32_e32 v165, v98, v142
	v_add_f32_e32 v62, v62, v164
	s_waitcnt lgkmcnt(0)
	v_mul_f32_e32 v63, v102, v123
	s_waitcnt vmcnt(3)
	v_fma_f32 v64, v99, v143, -v64
	v_add_f32_e32 v61, v61, v65
	v_mul_f32_e32 v167, v101, v123
	v_fmac_f32_e32 v166, v100, v143
	v_add_f32_e32 v62, v62, v165
	s_waitcnt vmcnt(2)
	v_fma_f32 v63, v101, v144, -v63
	v_add_f32_e32 v61, v61, v64
	v_fmac_f32_e32 v167, v102, v144
	v_add_f32_e32 v62, v62, v166
	v_add_f32_e32 v61, v61, v63
	;; [unrolled: 1-line block ×3, first 2 shown]
	s_waitcnt vmcnt(1)
	v_sub_f32_e32 v61, v145, v61
	s_waitcnt vmcnt(0)
	v_sub_f32_e32 v62, v146, v62
	buffer_store_dword v61, off, s[0:3], 0 offset:56
	buffer_store_dword v62, off, s[0:3], 0 offset:60
	v_cmpx_lt_u32_e32 6, v0
	s_cbranch_execz .LBB28_175
; %bb.174:
	s_clause 0x1
	buffer_load_dword v61, off, s[0:3], 0 offset:48
	buffer_load_dword v62, off, s[0:3], 0 offset:52
	buffer_store_dword v60, off, s[0:3], 0 offset:48
	buffer_store_dword v60, off, s[0:3], 0 offset:52
	s_waitcnt vmcnt(0)
	ds_write_b64 v59, v[61:62]
.LBB28_175:
	s_or_b32 exec_lo, exec_lo, s4
	s_waitcnt lgkmcnt(0)
	s_waitcnt_vscnt null, 0x0
	s_barrier
	buffer_gl0_inv
	s_clause 0x2d
	buffer_load_dword v105, off, s[0:3], 0 offset:60
	buffer_load_dword v106, off, s[0:3], 0 offset:68
	;; [unrolled: 1-line block ×46, first 2 shown]
	ds_read2_b64 v[61:64], v60 offset0:37 offset1:38
	ds_read2_b64 v[65:68], v60 offset0:39 offset1:40
	;; [unrolled: 1-line block ×11, first 2 shown]
	s_mov_b32 s4, exec_lo
	s_waitcnt vmcnt(45) lgkmcnt(10)
	v_mul_f32_e32 v60, v61, v105
	v_mul_f32_e32 v105, v62, v105
	s_waitcnt vmcnt(44)
	v_mul_f32_e32 v151, v63, v106
	v_mul_f32_e32 v106, v64, v106
	s_waitcnt vmcnt(43) lgkmcnt(9)
	v_mul_f32_e32 v152, v65, v107
	s_waitcnt vmcnt(42)
	v_mul_f32_e32 v153, v67, v108
	s_waitcnt vmcnt(41) lgkmcnt(8)
	v_mul_f32_e32 v154, v69, v109
	s_waitcnt vmcnt(40)
	;; [unrolled: 4-line block ×9, first 2 shown]
	v_mul_f32_e32 v169, v99, v124
	s_waitcnt vmcnt(23)
	v_fma_f32 v61, v61, v127, -v105
	v_fmac_f32_e32 v60, v62, v127
	v_mul_f32_e32 v62, v66, v107
	s_waitcnt vmcnt(22)
	v_fma_f32 v63, v63, v128, -v106
	v_fmac_f32_e32 v151, v64, v128
	v_add_f32_e32 v61, 0, v61
	v_add_f32_e32 v60, 0, v60
	v_mul_f32_e32 v64, v68, v108
	s_waitcnt vmcnt(21)
	v_fma_f32 v62, v65, v129, -v62
	v_fmac_f32_e32 v152, v66, v129
	v_add_f32_e32 v61, v61, v63
	v_add_f32_e32 v60, v60, v151
	;; [unrolled: 6-line block ×18, first 2 shown]
	s_waitcnt lgkmcnt(0)
	v_mul_f32_e32 v62, v102, v125
	s_waitcnt vmcnt(4)
	v_fma_f32 v63, v99, v146, -v63
	v_mul_f32_e32 v170, v101, v125
	v_add_f32_e32 v61, v61, v64
	v_fmac_f32_e32 v169, v100, v146
	v_add_f32_e32 v60, v60, v168
	v_mul_f32_e32 v64, v104, v126
	s_waitcnt vmcnt(3)
	v_fma_f32 v62, v101, v147, -v62
	v_add_f32_e32 v61, v61, v63
	v_mul_f32_e32 v171, v103, v126
	v_fmac_f32_e32 v170, v102, v147
	v_add_f32_e32 v60, v60, v169
	s_waitcnt vmcnt(2)
	v_fma_f32 v63, v103, v148, -v64
	v_add_f32_e32 v61, v61, v62
	v_fmac_f32_e32 v171, v104, v148
	v_add_f32_e32 v60, v60, v170
	v_add_f32_e32 v61, v61, v63
	;; [unrolled: 1-line block ×3, first 2 shown]
	s_waitcnt vmcnt(1)
	v_sub_f32_e32 v61, v149, v61
	s_waitcnt vmcnt(0)
	v_sub_f32_e32 v60, v150, v60
	buffer_store_dword v61, off, s[0:3], 0 offset:48
	buffer_store_dword v60, off, s[0:3], 0 offset:52
	v_cmpx_lt_u32_e32 5, v0
	s_cbranch_execz .LBB28_177
; %bb.176:
	s_clause 0x1
	buffer_load_dword v60, off, s[0:3], 0 offset:40
	buffer_load_dword v61, off, s[0:3], 0 offset:44
	v_mov_b32_e32 v62, 0
	buffer_store_dword v62, off, s[0:3], 0 offset:40
	buffer_store_dword v62, off, s[0:3], 0 offset:44
	s_waitcnt vmcnt(0)
	ds_write_b64 v59, v[60:61]
.LBB28_177:
	s_or_b32 exec_lo, exec_lo, s4
	s_waitcnt lgkmcnt(0)
	s_waitcnt_vscnt null, 0x0
	s_barrier
	buffer_gl0_inv
	s_clause 0x2f
	buffer_load_dword v107, off, s[0:3], 0 offset:52
	buffer_load_dword v108, off, s[0:3], 0 offset:60
	;; [unrolled: 1-line block ×48, first 2 shown]
	v_mov_b32_e32 v60, 0
	ds_read_b128 v[61:64], v60 offset:288
	ds_read_b128 v[65:68], v60 offset:304
	;; [unrolled: 1-line block ×11, first 2 shown]
	ds_read_b64 v[105:106], v60 offset:464
	s_mov_b32 s4, exec_lo
	s_waitcnt vmcnt(47) lgkmcnt(11)
	v_mul_f32_e32 v155, v61, v107
	v_mul_f32_e32 v107, v62, v107
	s_waitcnt vmcnt(46)
	v_mul_f32_e32 v156, v63, v108
	v_mul_f32_e32 v108, v64, v108
	s_waitcnt vmcnt(45) lgkmcnt(10)
	v_mul_f32_e32 v157, v65, v109
	s_waitcnt vmcnt(44)
	v_mul_f32_e32 v158, v67, v110
	s_waitcnt vmcnt(43) lgkmcnt(9)
	v_mul_f32_e32 v159, v69, v111
	s_waitcnt vmcnt(42)
	;; [unrolled: 4-line block ×10, first 2 shown]
	v_fma_f32 v61, v61, v130, -v107
	v_fmac_f32_e32 v155, v62, v130
	v_mul_f32_e32 v62, v66, v109
	s_waitcnt vmcnt(23)
	v_fma_f32 v63, v63, v131, -v108
	v_fmac_f32_e32 v156, v64, v131
	v_add_f32_e32 v61, 0, v61
	v_add_f32_e32 v64, 0, v155
	v_mul_f32_e32 v107, v68, v110
	s_waitcnt vmcnt(22)
	v_fma_f32 v62, v65, v132, -v62
	v_fmac_f32_e32 v157, v66, v132
	v_add_f32_e32 v61, v61, v63
	v_add_f32_e32 v63, v64, v156
	;; [unrolled: 6-line block ×19, first 2 shown]
	v_mul_f32_e32 v65, v104, v128
	s_waitcnt vmcnt(4)
	v_fma_f32 v63, v101, v150, -v63
	v_mul_f32_e32 v176, v103, v128
	v_add_f32_e32 v61, v61, v64
	v_fmac_f32_e32 v175, v102, v150
	v_add_f32_e32 v62, v62, v174
	s_waitcnt lgkmcnt(0)
	v_mul_f32_e32 v64, v106, v129
	s_waitcnt vmcnt(3)
	v_fma_f32 v65, v103, v151, -v65
	v_add_f32_e32 v61, v61, v63
	v_mul_f32_e32 v177, v105, v129
	v_fmac_f32_e32 v176, v104, v151
	v_add_f32_e32 v62, v62, v175
	s_waitcnt vmcnt(2)
	v_fma_f32 v63, v105, v152, -v64
	v_add_f32_e32 v61, v61, v65
	v_fmac_f32_e32 v177, v106, v152
	v_add_f32_e32 v62, v62, v176
	v_add_f32_e32 v61, v61, v63
	;; [unrolled: 1-line block ×3, first 2 shown]
	s_waitcnt vmcnt(1)
	v_sub_f32_e32 v61, v153, v61
	s_waitcnt vmcnt(0)
	v_sub_f32_e32 v62, v154, v62
	buffer_store_dword v61, off, s[0:3], 0 offset:40
	buffer_store_dword v62, off, s[0:3], 0 offset:44
	v_cmpx_lt_u32_e32 4, v0
	s_cbranch_execz .LBB28_179
; %bb.178:
	s_clause 0x1
	buffer_load_dword v61, off, s[0:3], 0 offset:32
	buffer_load_dword v62, off, s[0:3], 0 offset:36
	buffer_store_dword v60, off, s[0:3], 0 offset:32
	buffer_store_dword v60, off, s[0:3], 0 offset:36
	s_waitcnt vmcnt(0)
	ds_write_b64 v59, v[61:62]
.LBB28_179:
	s_or_b32 exec_lo, exec_lo, s4
	s_waitcnt lgkmcnt(0)
	s_waitcnt_vscnt null, 0x0
	s_barrier
	buffer_gl0_inv
	s_clause 0x31
	buffer_load_dword v109, off, s[0:3], 0 offset:44
	buffer_load_dword v110, off, s[0:3], 0 offset:52
	;; [unrolled: 1-line block ×50, first 2 shown]
	ds_read2_b64 v[61:64], v60 offset0:35 offset1:36
	ds_read2_b64 v[65:68], v60 offset0:37 offset1:38
	;; [unrolled: 1-line block ×12, first 2 shown]
	s_mov_b32 s4, exec_lo
	s_waitcnt vmcnt(49) lgkmcnt(11)
	v_mul_f32_e32 v60, v61, v109
	v_mul_f32_e32 v109, v62, v109
	s_waitcnt vmcnt(48)
	v_mul_f32_e32 v159, v63, v110
	v_mul_f32_e32 v110, v64, v110
	s_waitcnt vmcnt(47) lgkmcnt(10)
	v_mul_f32_e32 v160, v65, v111
	s_waitcnt vmcnt(46)
	v_mul_f32_e32 v161, v67, v112
	s_waitcnt vmcnt(45) lgkmcnt(9)
	v_mul_f32_e32 v162, v69, v113
	s_waitcnt vmcnt(44)
	;; [unrolled: 4-line block ×10, first 2 shown]
	v_mul_f32_e32 v179, v103, v130
	s_waitcnt vmcnt(25)
	v_fma_f32 v61, v61, v133, -v109
	v_fmac_f32_e32 v60, v62, v133
	v_mul_f32_e32 v62, v66, v111
	s_waitcnt vmcnt(24)
	v_fma_f32 v63, v63, v134, -v110
	v_fmac_f32_e32 v159, v64, v134
	v_add_f32_e32 v61, 0, v61
	v_add_f32_e32 v60, 0, v60
	v_mul_f32_e32 v64, v68, v112
	s_waitcnt vmcnt(23)
	v_fma_f32 v62, v65, v135, -v62
	v_fmac_f32_e32 v160, v66, v135
	v_add_f32_e32 v61, v61, v63
	v_add_f32_e32 v60, v60, v159
	;; [unrolled: 6-line block ×20, first 2 shown]
	s_waitcnt lgkmcnt(0)
	v_mul_f32_e32 v63, v106, v131
	s_waitcnt vmcnt(4)
	v_fma_f32 v64, v103, v154, -v64
	v_mul_f32_e32 v180, v105, v131
	v_add_f32_e32 v61, v61, v62
	v_fmac_f32_e32 v179, v104, v154
	v_add_f32_e32 v60, v60, v178
	v_mul_f32_e32 v62, v108, v132
	s_waitcnt vmcnt(3)
	v_fma_f32 v63, v105, v155, -v63
	v_add_f32_e32 v61, v61, v64
	v_mul_f32_e32 v181, v107, v132
	v_fmac_f32_e32 v180, v106, v155
	v_add_f32_e32 v60, v60, v179
	s_waitcnt vmcnt(2)
	v_fma_f32 v62, v107, v156, -v62
	v_add_f32_e32 v61, v61, v63
	v_fmac_f32_e32 v181, v108, v156
	v_add_f32_e32 v60, v60, v180
	v_add_f32_e32 v61, v61, v62
	;; [unrolled: 1-line block ×3, first 2 shown]
	s_waitcnt vmcnt(1)
	v_sub_f32_e32 v61, v157, v61
	s_waitcnt vmcnt(0)
	v_sub_f32_e32 v60, v158, v60
	buffer_store_dword v61, off, s[0:3], 0 offset:32
	buffer_store_dword v60, off, s[0:3], 0 offset:36
	v_cmpx_lt_u32_e32 3, v0
	s_cbranch_execz .LBB28_181
; %bb.180:
	s_clause 0x1
	buffer_load_dword v60, off, s[0:3], 0 offset:24
	buffer_load_dword v61, off, s[0:3], 0 offset:28
	v_mov_b32_e32 v62, 0
	buffer_store_dword v62, off, s[0:3], 0 offset:24
	buffer_store_dword v62, off, s[0:3], 0 offset:28
	s_waitcnt vmcnt(0)
	ds_write_b64 v59, v[60:61]
.LBB28_181:
	s_or_b32 exec_lo, exec_lo, s4
	s_waitcnt lgkmcnt(0)
	s_waitcnt_vscnt null, 0x0
	s_barrier
	buffer_gl0_inv
	s_clause 0x33
	buffer_load_dword v111, off, s[0:3], 0 offset:36
	buffer_load_dword v112, off, s[0:3], 0 offset:44
	;; [unrolled: 1-line block ×52, first 2 shown]
	v_mov_b32_e32 v60, 0
	ds_read_b128 v[61:64], v60 offset:272
	ds_read_b128 v[65:68], v60 offset:288
	;; [unrolled: 1-line block ×12, first 2 shown]
	ds_read_b64 v[109:110], v60 offset:464
	s_mov_b32 s4, exec_lo
	s_waitcnt vmcnt(51) lgkmcnt(12)
	v_mul_f32_e32 v163, v61, v111
	v_mul_f32_e32 v111, v62, v111
	s_waitcnt vmcnt(50)
	v_mul_f32_e32 v164, v63, v112
	v_mul_f32_e32 v112, v64, v112
	s_waitcnt vmcnt(49) lgkmcnt(11)
	v_mul_f32_e32 v165, v65, v113
	s_waitcnt vmcnt(48)
	v_mul_f32_e32 v166, v67, v114
	s_waitcnt vmcnt(47) lgkmcnt(10)
	v_mul_f32_e32 v167, v69, v115
	s_waitcnt vmcnt(46)
	v_mul_f32_e32 v168, v71, v116
	s_waitcnt vmcnt(45) lgkmcnt(9)
	v_mul_f32_e32 v169, v73, v117
	s_waitcnt vmcnt(44)
	v_mul_f32_e32 v170, v75, v118
	s_waitcnt vmcnt(43) lgkmcnt(8)
	v_mul_f32_e32 v171, v77, v119
	s_waitcnt vmcnt(42)
	v_mul_f32_e32 v172, v79, v120
	s_waitcnt vmcnt(41) lgkmcnt(7)
	v_mul_f32_e32 v173, v81, v121
	s_waitcnt vmcnt(40)
	v_mul_f32_e32 v174, v83, v122
	s_waitcnt vmcnt(39) lgkmcnt(6)
	v_mul_f32_e32 v175, v85, v123
	s_waitcnt vmcnt(38)
	v_mul_f32_e32 v176, v87, v124
	s_waitcnt vmcnt(37) lgkmcnt(5)
	v_mul_f32_e32 v177, v89, v125
	s_waitcnt vmcnt(36)
	v_mul_f32_e32 v178, v91, v126
	s_waitcnt vmcnt(35) lgkmcnt(4)
	v_mul_f32_e32 v179, v93, v127
	s_waitcnt vmcnt(34)
	v_mul_f32_e32 v180, v95, v128
	s_waitcnt vmcnt(33) lgkmcnt(3)
	v_mul_f32_e32 v181, v97, v129
	s_waitcnt vmcnt(32)
	v_mul_f32_e32 v182, v99, v130
	s_waitcnt vmcnt(31) lgkmcnt(2)
	v_mul_f32_e32 v183, v101, v131
	s_waitcnt vmcnt(30)
	v_mul_f32_e32 v184, v103, v132
	s_waitcnt vmcnt(29) lgkmcnt(1)
	v_mul_f32_e32 v185, v105, v133
	s_waitcnt vmcnt(26)
	v_fma_f32 v61, v61, v136, -v111
	v_fmac_f32_e32 v163, v62, v136
	v_mul_f32_e32 v62, v66, v113
	s_waitcnt vmcnt(25)
	v_fma_f32 v63, v63, v137, -v112
	v_fmac_f32_e32 v164, v64, v137
	v_add_f32_e32 v61, 0, v61
	v_add_f32_e32 v64, 0, v163
	v_mul_f32_e32 v111, v68, v114
	s_waitcnt vmcnt(24)
	v_fma_f32 v62, v65, v138, -v62
	v_fmac_f32_e32 v165, v66, v138
	v_add_f32_e32 v61, v61, v63
	v_add_f32_e32 v63, v64, v164
	;; [unrolled: 6-line block ×21, first 2 shown]
	v_mul_f32_e32 v63, v108, v134
	s_waitcnt vmcnt(4)
	v_fma_f32 v64, v105, v158, -v64
	v_mul_f32_e32 v186, v107, v134
	v_add_f32_e32 v61, v61, v65
	v_fmac_f32_e32 v185, v106, v158
	v_add_f32_e32 v62, v62, v184
	s_waitcnt lgkmcnt(0)
	v_mul_f32_e32 v65, v110, v135
	s_waitcnt vmcnt(3)
	v_fma_f32 v63, v107, v159, -v63
	v_add_f32_e32 v61, v61, v64
	v_mul_f32_e32 v187, v109, v135
	v_fmac_f32_e32 v186, v108, v159
	v_add_f32_e32 v62, v62, v185
	s_waitcnt vmcnt(2)
	v_fma_f32 v64, v109, v160, -v65
	v_add_f32_e32 v61, v61, v63
	v_fmac_f32_e32 v187, v110, v160
	v_add_f32_e32 v62, v62, v186
	v_add_f32_e32 v61, v61, v64
	;; [unrolled: 1-line block ×3, first 2 shown]
	s_waitcnt vmcnt(1)
	v_sub_f32_e32 v61, v161, v61
	s_waitcnt vmcnt(0)
	v_sub_f32_e32 v62, v162, v62
	buffer_store_dword v61, off, s[0:3], 0 offset:24
	buffer_store_dword v62, off, s[0:3], 0 offset:28
	v_cmpx_lt_u32_e32 2, v0
	s_cbranch_execz .LBB28_183
; %bb.182:
	s_clause 0x1
	buffer_load_dword v61, off, s[0:3], 0 offset:16
	buffer_load_dword v62, off, s[0:3], 0 offset:20
	buffer_store_dword v60, off, s[0:3], 0 offset:16
	buffer_store_dword v60, off, s[0:3], 0 offset:20
	s_waitcnt vmcnt(0)
	ds_write_b64 v59, v[61:62]
.LBB28_183:
	s_or_b32 exec_lo, exec_lo, s4
	s_waitcnt lgkmcnt(0)
	s_waitcnt_vscnt null, 0x0
	s_barrier
	buffer_gl0_inv
	s_clause 0x35
	buffer_load_dword v113, off, s[0:3], 0 offset:28
	buffer_load_dword v114, off, s[0:3], 0 offset:36
	;; [unrolled: 1-line block ×54, first 2 shown]
	ds_read2_b64 v[61:64], v60 offset0:33 offset1:34
	ds_read2_b64 v[65:68], v60 offset0:35 offset1:36
	;; [unrolled: 1-line block ×13, first 2 shown]
	s_mov_b32 s4, exec_lo
	s_waitcnt vmcnt(53) lgkmcnt(12)
	v_mul_f32_e32 v60, v61, v113
	v_mul_f32_e32 v113, v62, v113
	s_waitcnt vmcnt(52)
	v_mul_f32_e32 v167, v63, v114
	v_mul_f32_e32 v114, v64, v114
	s_waitcnt vmcnt(51) lgkmcnt(11)
	v_mul_f32_e32 v168, v65, v115
	s_waitcnt vmcnt(50)
	v_mul_f32_e32 v169, v67, v116
	s_waitcnt vmcnt(49) lgkmcnt(10)
	v_mul_f32_e32 v170, v69, v117
	s_waitcnt vmcnt(48)
	v_mul_f32_e32 v171, v71, v118
	s_waitcnt vmcnt(47) lgkmcnt(9)
	v_mul_f32_e32 v172, v73, v119
	s_waitcnt vmcnt(46)
	v_mul_f32_e32 v173, v75, v120
	s_waitcnt vmcnt(45) lgkmcnt(8)
	v_mul_f32_e32 v174, v77, v121
	s_waitcnt vmcnt(44)
	v_mul_f32_e32 v175, v79, v122
	s_waitcnt vmcnt(43) lgkmcnt(7)
	v_mul_f32_e32 v176, v81, v123
	s_waitcnt vmcnt(42)
	v_mul_f32_e32 v177, v83, v124
	s_waitcnt vmcnt(41) lgkmcnt(6)
	v_mul_f32_e32 v178, v85, v125
	s_waitcnt vmcnt(40)
	v_mul_f32_e32 v179, v87, v126
	s_waitcnt vmcnt(39) lgkmcnt(5)
	v_mul_f32_e32 v180, v89, v127
	s_waitcnt vmcnt(38)
	v_mul_f32_e32 v181, v91, v128
	s_waitcnt vmcnt(37) lgkmcnt(4)
	v_mul_f32_e32 v182, v93, v129
	s_waitcnt vmcnt(36)
	v_mul_f32_e32 v183, v95, v130
	s_waitcnt vmcnt(35) lgkmcnt(3)
	v_mul_f32_e32 v184, v97, v131
	s_waitcnt vmcnt(34)
	v_mul_f32_e32 v185, v99, v132
	s_waitcnt vmcnt(33) lgkmcnt(2)
	v_mul_f32_e32 v186, v101, v133
	s_waitcnt vmcnt(32)
	v_mul_f32_e32 v187, v103, v134
	s_waitcnt vmcnt(31) lgkmcnt(1)
	v_mul_f32_e32 v188, v105, v135
	s_waitcnt vmcnt(30)
	v_mul_f32_e32 v189, v107, v136
	s_waitcnt vmcnt(27)
	v_fma_f32 v61, v61, v139, -v113
	v_fmac_f32_e32 v60, v62, v139
	v_mul_f32_e32 v62, v66, v115
	s_waitcnt vmcnt(26)
	v_fma_f32 v63, v63, v140, -v114
	v_fmac_f32_e32 v167, v64, v140
	v_add_f32_e32 v61, 0, v61
	v_add_f32_e32 v60, 0, v60
	v_mul_f32_e32 v64, v68, v116
	s_waitcnt vmcnt(25)
	v_fma_f32 v62, v65, v141, -v62
	v_fmac_f32_e32 v168, v66, v141
	v_add_f32_e32 v61, v61, v63
	v_add_f32_e32 v60, v60, v167
	;; [unrolled: 6-line block ×22, first 2 shown]
	s_waitcnt lgkmcnt(0)
	v_mul_f32_e32 v64, v110, v137
	s_waitcnt vmcnt(4)
	v_fma_f32 v62, v107, v162, -v62
	v_mul_f32_e32 v190, v109, v137
	v_add_f32_e32 v61, v61, v63
	v_fmac_f32_e32 v189, v108, v162
	v_add_f32_e32 v60, v60, v188
	v_mul_f32_e32 v63, v112, v138
	s_waitcnt vmcnt(3)
	v_fma_f32 v64, v109, v163, -v64
	v_add_f32_e32 v61, v61, v62
	v_mul_f32_e32 v191, v111, v138
	v_fmac_f32_e32 v190, v110, v163
	v_add_f32_e32 v60, v60, v189
	s_waitcnt vmcnt(2)
	v_fma_f32 v62, v111, v164, -v63
	v_add_f32_e32 v61, v61, v64
	v_fmac_f32_e32 v191, v112, v164
	v_add_f32_e32 v60, v60, v190
	v_add_f32_e32 v61, v61, v62
	;; [unrolled: 1-line block ×3, first 2 shown]
	s_waitcnt vmcnt(1)
	v_sub_f32_e32 v61, v165, v61
	s_waitcnt vmcnt(0)
	v_sub_f32_e32 v60, v166, v60
	buffer_store_dword v61, off, s[0:3], 0 offset:16
	buffer_store_dword v60, off, s[0:3], 0 offset:20
	v_cmpx_lt_u32_e32 1, v0
	s_cbranch_execz .LBB28_185
; %bb.184:
	s_clause 0x1
	buffer_load_dword v60, off, s[0:3], 0 offset:8
	buffer_load_dword v61, off, s[0:3], 0 offset:12
	v_mov_b32_e32 v62, 0
	buffer_store_dword v62, off, s[0:3], 0 offset:8
	buffer_store_dword v62, off, s[0:3], 0 offset:12
	s_waitcnt vmcnt(0)
	ds_write_b64 v59, v[60:61]
.LBB28_185:
	s_or_b32 exec_lo, exec_lo, s4
	s_waitcnt lgkmcnt(0)
	s_waitcnt_vscnt null, 0x0
	s_barrier
	buffer_gl0_inv
	s_clause 0x37
	buffer_load_dword v115, off, s[0:3], 0 offset:20
	buffer_load_dword v116, off, s[0:3], 0 offset:28
	;; [unrolled: 1-line block ×56, first 2 shown]
	v_mov_b32_e32 v60, 0
	ds_read_b128 v[61:64], v60 offset:256
	ds_read_b128 v[65:68], v60 offset:272
	;; [unrolled: 1-line block ×13, first 2 shown]
	ds_read_b64 v[113:114], v60 offset:464
	s_mov_b32 s4, exec_lo
	s_waitcnt vmcnt(55) lgkmcnt(13)
	v_mul_f32_e32 v171, v61, v115
	v_mul_f32_e32 v115, v62, v115
	s_waitcnt vmcnt(54)
	v_mul_f32_e32 v172, v63, v116
	v_mul_f32_e32 v116, v64, v116
	s_waitcnt vmcnt(53) lgkmcnt(12)
	v_mul_f32_e32 v173, v65, v117
	s_waitcnt vmcnt(52)
	v_mul_f32_e32 v174, v67, v118
	s_waitcnt vmcnt(51) lgkmcnt(11)
	v_mul_f32_e32 v175, v69, v119
	s_waitcnt vmcnt(50)
	v_mul_f32_e32 v176, v71, v120
	s_waitcnt vmcnt(49) lgkmcnt(10)
	v_mul_f32_e32 v177, v73, v121
	s_waitcnt vmcnt(48)
	v_mul_f32_e32 v178, v75, v122
	s_waitcnt vmcnt(47) lgkmcnt(9)
	v_mul_f32_e32 v179, v77, v123
	s_waitcnt vmcnt(46)
	v_mul_f32_e32 v180, v79, v124
	s_waitcnt vmcnt(45) lgkmcnt(8)
	v_mul_f32_e32 v181, v81, v125
	s_waitcnt vmcnt(44)
	v_mul_f32_e32 v182, v83, v126
	s_waitcnt vmcnt(43) lgkmcnt(7)
	v_mul_f32_e32 v183, v85, v127
	s_waitcnt vmcnt(42)
	v_mul_f32_e32 v184, v87, v128
	s_waitcnt vmcnt(41) lgkmcnt(6)
	v_mul_f32_e32 v185, v89, v129
	s_waitcnt vmcnt(40)
	v_mul_f32_e32 v186, v91, v130
	s_waitcnt vmcnt(39) lgkmcnt(5)
	v_mul_f32_e32 v187, v93, v131
	s_waitcnt vmcnt(38)
	v_mul_f32_e32 v188, v95, v132
	s_waitcnt vmcnt(37) lgkmcnt(4)
	v_mul_f32_e32 v189, v97, v133
	s_waitcnt vmcnt(36)
	v_mul_f32_e32 v190, v99, v134
	s_waitcnt vmcnt(35) lgkmcnt(3)
	v_mul_f32_e32 v191, v101, v135
	s_waitcnt vmcnt(34)
	v_mul_f32_e32 v192, v103, v136
	s_waitcnt vmcnt(33) lgkmcnt(2)
	v_mul_f32_e32 v193, v105, v137
	s_waitcnt vmcnt(32)
	v_mul_f32_e32 v194, v107, v138
	s_waitcnt vmcnt(31) lgkmcnt(1)
	v_mul_f32_e32 v195, v109, v139
	s_waitcnt vmcnt(28)
	v_fma_f32 v61, v61, v142, -v115
	v_fmac_f32_e32 v171, v62, v142
	v_mul_f32_e32 v62, v66, v117
	s_waitcnt vmcnt(27)
	v_fma_f32 v63, v63, v143, -v116
	v_fmac_f32_e32 v172, v64, v143
	v_add_f32_e32 v61, 0, v61
	v_add_f32_e32 v64, 0, v171
	v_mul_f32_e32 v115, v68, v118
	s_waitcnt vmcnt(26)
	v_fma_f32 v62, v65, v144, -v62
	v_fmac_f32_e32 v173, v66, v144
	v_add_f32_e32 v61, v61, v63
	v_add_f32_e32 v63, v64, v172
	;; [unrolled: 6-line block ×23, first 2 shown]
	v_mul_f32_e32 v64, v112, v140
	s_waitcnt vmcnt(4)
	v_fma_f32 v65, v109, v166, -v65
	v_mul_f32_e32 v196, v111, v140
	v_add_f32_e32 v61, v61, v63
	v_fmac_f32_e32 v195, v110, v166
	v_add_f32_e32 v62, v62, v194
	s_waitcnt lgkmcnt(0)
	v_mul_f32_e32 v63, v114, v141
	s_waitcnt vmcnt(3)
	v_fma_f32 v64, v111, v167, -v64
	v_add_f32_e32 v61, v61, v65
	v_mul_f32_e32 v197, v113, v141
	v_fmac_f32_e32 v196, v112, v167
	v_add_f32_e32 v62, v62, v195
	s_waitcnt vmcnt(2)
	v_fma_f32 v63, v113, v168, -v63
	v_add_f32_e32 v61, v61, v64
	v_fmac_f32_e32 v197, v114, v168
	v_add_f32_e32 v62, v62, v196
	v_add_f32_e32 v61, v61, v63
	;; [unrolled: 1-line block ×3, first 2 shown]
	s_waitcnt vmcnt(1)
	v_sub_f32_e32 v61, v169, v61
	s_waitcnt vmcnt(0)
	v_sub_f32_e32 v62, v170, v62
	buffer_store_dword v61, off, s[0:3], 0 offset:8
	buffer_store_dword v62, off, s[0:3], 0 offset:12
	v_cmpx_ne_u32_e32 0, v0
	s_cbranch_execz .LBB28_187
; %bb.186:
	s_clause 0x1
	buffer_load_dword v61, off, s[0:3], 0
	buffer_load_dword v62, off, s[0:3], 0 offset:4
	buffer_store_dword v60, off, s[0:3], 0
	buffer_store_dword v60, off, s[0:3], 0 offset:4
	s_waitcnt vmcnt(0)
	ds_write_b64 v59, v[61:62]
.LBB28_187:
	s_or_b32 exec_lo, exec_lo, s4
	s_waitcnt lgkmcnt(0)
	s_waitcnt_vscnt null, 0x0
	s_barrier
	buffer_gl0_inv
	s_clause 0x39
	buffer_load_dword v0, off, s[0:3], 0 offset:12
	buffer_load_dword v59, off, s[0:3], 0 offset:20
	;; [unrolled: 1-line block ×56, first 2 shown]
	buffer_load_dword v171, off, s[0:3], 0
	buffer_load_dword v172, off, s[0:3], 0 offset:4
	ds_read2_b64 v[61:64], v60 offset0:31 offset1:32
	ds_read2_b64 v[65:68], v60 offset0:33 offset1:34
	;; [unrolled: 1-line block ×14, first 2 shown]
	s_and_b32 vcc_lo, exec_lo, s22
	s_waitcnt vmcnt(57) lgkmcnt(13)
	v_mul_f32_e32 v60, v61, v0
	v_mul_f32_e32 v0, v62, v0
	s_waitcnt vmcnt(56)
	v_mul_f32_e32 v173, v63, v59
	v_mul_f32_e32 v59, v64, v59
	s_waitcnt vmcnt(55) lgkmcnt(12)
	v_mul_f32_e32 v174, v65, v117
	s_waitcnt vmcnt(54)
	v_mul_f32_e32 v175, v67, v118
	s_waitcnt vmcnt(53) lgkmcnt(11)
	v_mul_f32_e32 v176, v69, v119
	s_waitcnt vmcnt(52)
	;; [unrolled: 4-line block ×12, first 2 shown]
	v_mul_f32_e32 v197, v111, v140
	s_waitcnt vmcnt(29)
	v_fma_f32 v0, v61, v143, -v0
	v_fmac_f32_e32 v60, v62, v143
	v_mul_f32_e32 v61, v66, v117
	s_waitcnt vmcnt(28)
	v_fma_f32 v59, v63, v144, -v59
	v_fmac_f32_e32 v173, v64, v144
	v_add_f32_e32 v0, 0, v0
	v_add_f32_e32 v60, 0, v60
	v_mul_f32_e32 v62, v68, v118
	s_waitcnt vmcnt(27)
	v_fma_f32 v61, v65, v145, -v61
	v_fmac_f32_e32 v174, v66, v145
	v_add_f32_e32 v0, v0, v59
	v_add_f32_e32 v59, v60, v173
	;; [unrolled: 6-line block ×24, first 2 shown]
	s_waitcnt lgkmcnt(0)
	v_mul_f32_e32 v61, v114, v141
	s_waitcnt vmcnt(4)
	v_fma_f32 v60, v111, v168, -v60
	v_mul_f32_e32 v198, v113, v141
	v_add_f32_e32 v0, v0, v62
	v_fmac_f32_e32 v197, v112, v168
	v_add_f32_e32 v59, v59, v196
	v_mul_f32_e32 v62, v116, v142
	s_waitcnt vmcnt(3)
	v_fma_f32 v61, v113, v169, -v61
	v_add_f32_e32 v0, v0, v60
	v_mul_f32_e32 v199, v115, v142
	v_fmac_f32_e32 v198, v114, v169
	v_add_f32_e32 v59, v59, v197
	s_waitcnt vmcnt(2)
	v_fma_f32 v60, v115, v170, -v62
	v_add_f32_e32 v0, v0, v61
	v_fmac_f32_e32 v199, v116, v170
	v_add_f32_e32 v59, v59, v198
	v_add_f32_e32 v0, v0, v60
	v_add_f32_e32 v59, v59, v199
	s_waitcnt vmcnt(1)
	v_sub_f32_e32 v0, v171, v0
	s_waitcnt vmcnt(0)
	v_sub_f32_e32 v59, v172, v59
	buffer_store_dword v0, off, s[0:3], 0
	buffer_store_dword v59, off, s[0:3], 0 offset:4
	s_cbranch_vccz .LBB28_244
; %bb.188:
	v_mov_b32_e32 v0, 0
	global_load_dword v59, v0, s[20:21] offset:108
	s_waitcnt vmcnt(0)
	v_add_nc_u32_e32 v59, -1, v59
	v_cmp_ne_u32_e32 vcc_lo, 27, v59
	s_cbranch_vccz .LBB28_190
; %bb.189:
	v_lshlrev_b32_e32 v59, 3, v59
	s_clause 0x3
	buffer_load_dword v60, v59, s[0:3], 0 offen
	buffer_load_dword v61, v59, s[0:3], 0 offen offset:4
	buffer_load_dword v62, off, s[0:3], 0 offset:216
	buffer_load_dword v63, off, s[0:3], 0 offset:220
	s_waitcnt vmcnt(3)
	buffer_store_dword v60, off, s[0:3], 0 offset:216
	s_waitcnt vmcnt(2)
	buffer_store_dword v61, off, s[0:3], 0 offset:220
	s_waitcnt vmcnt(1)
	buffer_store_dword v62, v59, s[0:3], 0 offen
	s_waitcnt vmcnt(0)
	buffer_store_dword v63, v59, s[0:3], 0 offen offset:4
.LBB28_190:
	global_load_dword v0, v0, s[20:21] offset:104
	s_waitcnt vmcnt(0)
	v_add_nc_u32_e32 v0, -1, v0
	v_cmp_eq_u32_e32 vcc_lo, 26, v0
	s_cbranch_vccnz .LBB28_192
; %bb.191:
	v_lshlrev_b32_e32 v0, 3, v0
	s_clause 0x3
	buffer_load_dword v59, v0, s[0:3], 0 offen
	buffer_load_dword v60, v0, s[0:3], 0 offen offset:4
	buffer_load_dword v61, off, s[0:3], 0 offset:212
	buffer_load_dword v62, off, s[0:3], 0 offset:208
	s_waitcnt vmcnt(3)
	buffer_store_dword v59, off, s[0:3], 0 offset:208
	s_waitcnt vmcnt(2)
	buffer_store_dword v60, off, s[0:3], 0 offset:212
	s_waitcnt vmcnt(1)
	buffer_store_dword v61, v0, s[0:3], 0 offen offset:4
	s_waitcnt vmcnt(0)
	buffer_store_dword v62, v0, s[0:3], 0 offen
.LBB28_192:
	v_mov_b32_e32 v0, 0
	global_load_dword v59, v0, s[20:21] offset:100
	s_waitcnt vmcnt(0)
	v_add_nc_u32_e32 v59, -1, v59
	v_cmp_eq_u32_e32 vcc_lo, 25, v59
	s_cbranch_vccnz .LBB28_194
; %bb.193:
	v_lshlrev_b32_e32 v59, 3, v59
	s_clause 0x3
	buffer_load_dword v60, v59, s[0:3], 0 offen
	buffer_load_dword v61, v59, s[0:3], 0 offen offset:4
	buffer_load_dword v62, off, s[0:3], 0 offset:200
	buffer_load_dword v63, off, s[0:3], 0 offset:204
	s_waitcnt vmcnt(3)
	buffer_store_dword v60, off, s[0:3], 0 offset:200
	s_waitcnt vmcnt(2)
	buffer_store_dword v61, off, s[0:3], 0 offset:204
	s_waitcnt vmcnt(1)
	buffer_store_dword v62, v59, s[0:3], 0 offen
	s_waitcnt vmcnt(0)
	buffer_store_dword v63, v59, s[0:3], 0 offen offset:4
.LBB28_194:
	global_load_dword v0, v0, s[20:21] offset:96
	s_waitcnt vmcnt(0)
	v_add_nc_u32_e32 v0, -1, v0
	v_cmp_eq_u32_e32 vcc_lo, 24, v0
	s_cbranch_vccnz .LBB28_196
; %bb.195:
	v_lshlrev_b32_e32 v0, 3, v0
	s_clause 0x3
	buffer_load_dword v59, v0, s[0:3], 0 offen
	buffer_load_dword v60, v0, s[0:3], 0 offen offset:4
	buffer_load_dword v61, off, s[0:3], 0 offset:196
	buffer_load_dword v62, off, s[0:3], 0 offset:192
	s_waitcnt vmcnt(3)
	buffer_store_dword v59, off, s[0:3], 0 offset:192
	s_waitcnt vmcnt(2)
	buffer_store_dword v60, off, s[0:3], 0 offset:196
	s_waitcnt vmcnt(1)
	buffer_store_dword v61, v0, s[0:3], 0 offen offset:4
	s_waitcnt vmcnt(0)
	buffer_store_dword v62, v0, s[0:3], 0 offen
.LBB28_196:
	v_mov_b32_e32 v0, 0
	global_load_dword v59, v0, s[20:21] offset:92
	s_waitcnt vmcnt(0)
	v_add_nc_u32_e32 v59, -1, v59
	v_cmp_eq_u32_e32 vcc_lo, 23, v59
	s_cbranch_vccnz .LBB28_198
; %bb.197:
	v_lshlrev_b32_e32 v59, 3, v59
	s_clause 0x3
	buffer_load_dword v60, v59, s[0:3], 0 offen
	buffer_load_dword v61, v59, s[0:3], 0 offen offset:4
	buffer_load_dword v62, off, s[0:3], 0 offset:184
	buffer_load_dword v63, off, s[0:3], 0 offset:188
	s_waitcnt vmcnt(3)
	buffer_store_dword v60, off, s[0:3], 0 offset:184
	s_waitcnt vmcnt(2)
	buffer_store_dword v61, off, s[0:3], 0 offset:188
	s_waitcnt vmcnt(1)
	buffer_store_dword v62, v59, s[0:3], 0 offen
	s_waitcnt vmcnt(0)
	buffer_store_dword v63, v59, s[0:3], 0 offen offset:4
.LBB28_198:
	;; [unrolled: 43-line block ×13, first 2 shown]
	global_load_dword v0, v0, s[20:21]
	s_waitcnt vmcnt(0)
	v_add_nc_u32_e32 v0, -1, v0
	v_cmp_eq_u32_e32 vcc_lo, 0, v0
	s_cbranch_vccnz .LBB28_244
; %bb.243:
	v_lshlrev_b32_e32 v0, 3, v0
	s_clause 0x3
	buffer_load_dword v59, v0, s[0:3], 0 offen
	buffer_load_dword v60, v0, s[0:3], 0 offen offset:4
	buffer_load_dword v61, off, s[0:3], 0 offset:4
	buffer_load_dword v62, off, s[0:3], 0
	s_waitcnt vmcnt(3)
	buffer_store_dword v59, off, s[0:3], 0
	s_waitcnt vmcnt(2)
	buffer_store_dword v60, off, s[0:3], 0 offset:4
	s_waitcnt vmcnt(1)
	buffer_store_dword v61, v0, s[0:3], 0 offen offset:4
	s_waitcnt vmcnt(0)
	buffer_store_dword v62, v0, s[0:3], 0 offen
.LBB28_244:
	s_clause 0x39
	buffer_load_dword v59, off, s[0:3], 0
	buffer_load_dword v60, off, s[0:3], 0 offset:4
	buffer_load_dword v61, off, s[0:3], 0 offset:8
	;; [unrolled: 1-line block ×57, first 2 shown]
	s_waitcnt vmcnt(56)
	global_store_dwordx2 v[47:48], v[59:60], off
	s_waitcnt vmcnt(54)
	global_store_dwordx2 v[49:50], v[61:62], off
	;; [unrolled: 2-line block ×9, first 2 shown]
	global_store_dwordx2 v[15:16], v[77:78], off
	global_store_dwordx2 v[17:18], v[79:80], off
	global_store_dwordx2 v[19:20], v[81:82], off
	s_waitcnt vmcnt(32)
	global_store_dwordx2 v[21:22], v[83:84], off
	s_waitcnt vmcnt(30)
	global_store_dwordx2 v[23:24], v[85:86], off
	;; [unrolled: 2-line block ×17, first 2 shown]
	s_endpgm
	.section	.rodata,"a",@progbits
	.p2align	6, 0x0
	.amdhsa_kernel _ZN9rocsolver6v33100L18getri_kernel_smallILi29E19rocblas_complex_numIfEPS3_EEvT1_iilPiilS6_bb
		.amdhsa_group_segment_fixed_size 472
		.amdhsa_private_segment_fixed_size 240
		.amdhsa_kernarg_size 60
		.amdhsa_user_sgpr_count 6
		.amdhsa_user_sgpr_private_segment_buffer 1
		.amdhsa_user_sgpr_dispatch_ptr 0
		.amdhsa_user_sgpr_queue_ptr 0
		.amdhsa_user_sgpr_kernarg_segment_ptr 1
		.amdhsa_user_sgpr_dispatch_id 0
		.amdhsa_user_sgpr_flat_scratch_init 0
		.amdhsa_user_sgpr_private_segment_size 0
		.amdhsa_wavefront_size32 1
		.amdhsa_uses_dynamic_stack 0
		.amdhsa_system_sgpr_private_segment_wavefront_offset 1
		.amdhsa_system_sgpr_workgroup_id_x 1
		.amdhsa_system_sgpr_workgroup_id_y 0
		.amdhsa_system_sgpr_workgroup_id_z 0
		.amdhsa_system_sgpr_workgroup_info 0
		.amdhsa_system_vgpr_workitem_id 0
		.amdhsa_next_free_vgpr 200
		.amdhsa_next_free_sgpr 23
		.amdhsa_reserve_vcc 1
		.amdhsa_reserve_flat_scratch 0
		.amdhsa_float_round_mode_32 0
		.amdhsa_float_round_mode_16_64 0
		.amdhsa_float_denorm_mode_32 3
		.amdhsa_float_denorm_mode_16_64 3
		.amdhsa_dx10_clamp 1
		.amdhsa_ieee_mode 1
		.amdhsa_fp16_overflow 0
		.amdhsa_workgroup_processor_mode 1
		.amdhsa_memory_ordered 1
		.amdhsa_forward_progress 1
		.amdhsa_shared_vgpr_count 0
		.amdhsa_exception_fp_ieee_invalid_op 0
		.amdhsa_exception_fp_denorm_src 0
		.amdhsa_exception_fp_ieee_div_zero 0
		.amdhsa_exception_fp_ieee_overflow 0
		.amdhsa_exception_fp_ieee_underflow 0
		.amdhsa_exception_fp_ieee_inexact 0
		.amdhsa_exception_int_div_zero 0
	.end_amdhsa_kernel
	.section	.text._ZN9rocsolver6v33100L18getri_kernel_smallILi29E19rocblas_complex_numIfEPS3_EEvT1_iilPiilS6_bb,"axG",@progbits,_ZN9rocsolver6v33100L18getri_kernel_smallILi29E19rocblas_complex_numIfEPS3_EEvT1_iilPiilS6_bb,comdat
.Lfunc_end28:
	.size	_ZN9rocsolver6v33100L18getri_kernel_smallILi29E19rocblas_complex_numIfEPS3_EEvT1_iilPiilS6_bb, .Lfunc_end28-_ZN9rocsolver6v33100L18getri_kernel_smallILi29E19rocblas_complex_numIfEPS3_EEvT1_iilPiilS6_bb
                                        ; -- End function
	.set _ZN9rocsolver6v33100L18getri_kernel_smallILi29E19rocblas_complex_numIfEPS3_EEvT1_iilPiilS6_bb.num_vgpr, 200
	.set _ZN9rocsolver6v33100L18getri_kernel_smallILi29E19rocblas_complex_numIfEPS3_EEvT1_iilPiilS6_bb.num_agpr, 0
	.set _ZN9rocsolver6v33100L18getri_kernel_smallILi29E19rocblas_complex_numIfEPS3_EEvT1_iilPiilS6_bb.numbered_sgpr, 23
	.set _ZN9rocsolver6v33100L18getri_kernel_smallILi29E19rocblas_complex_numIfEPS3_EEvT1_iilPiilS6_bb.num_named_barrier, 0
	.set _ZN9rocsolver6v33100L18getri_kernel_smallILi29E19rocblas_complex_numIfEPS3_EEvT1_iilPiilS6_bb.private_seg_size, 240
	.set _ZN9rocsolver6v33100L18getri_kernel_smallILi29E19rocblas_complex_numIfEPS3_EEvT1_iilPiilS6_bb.uses_vcc, 1
	.set _ZN9rocsolver6v33100L18getri_kernel_smallILi29E19rocblas_complex_numIfEPS3_EEvT1_iilPiilS6_bb.uses_flat_scratch, 0
	.set _ZN9rocsolver6v33100L18getri_kernel_smallILi29E19rocblas_complex_numIfEPS3_EEvT1_iilPiilS6_bb.has_dyn_sized_stack, 0
	.set _ZN9rocsolver6v33100L18getri_kernel_smallILi29E19rocblas_complex_numIfEPS3_EEvT1_iilPiilS6_bb.has_recursion, 0
	.set _ZN9rocsolver6v33100L18getri_kernel_smallILi29E19rocblas_complex_numIfEPS3_EEvT1_iilPiilS6_bb.has_indirect_call, 0
	.section	.AMDGPU.csdata,"",@progbits
; Kernel info:
; codeLenInByte = 40516
; TotalNumSgprs: 25
; NumVgprs: 200
; ScratchSize: 240
; MemoryBound: 0
; FloatMode: 240
; IeeeMode: 1
; LDSByteSize: 472 bytes/workgroup (compile time only)
; SGPRBlocks: 0
; VGPRBlocks: 24
; NumSGPRsForWavesPerEU: 25
; NumVGPRsForWavesPerEU: 200
; Occupancy: 4
; WaveLimiterHint : 1
; COMPUTE_PGM_RSRC2:SCRATCH_EN: 1
; COMPUTE_PGM_RSRC2:USER_SGPR: 6
; COMPUTE_PGM_RSRC2:TRAP_HANDLER: 0
; COMPUTE_PGM_RSRC2:TGID_X_EN: 1
; COMPUTE_PGM_RSRC2:TGID_Y_EN: 0
; COMPUTE_PGM_RSRC2:TGID_Z_EN: 0
; COMPUTE_PGM_RSRC2:TIDIG_COMP_CNT: 0
	.section	.text._ZN9rocsolver6v33100L18getri_kernel_smallILi30E19rocblas_complex_numIfEPS3_EEvT1_iilPiilS6_bb,"axG",@progbits,_ZN9rocsolver6v33100L18getri_kernel_smallILi30E19rocblas_complex_numIfEPS3_EEvT1_iilPiilS6_bb,comdat
	.globl	_ZN9rocsolver6v33100L18getri_kernel_smallILi30E19rocblas_complex_numIfEPS3_EEvT1_iilPiilS6_bb ; -- Begin function _ZN9rocsolver6v33100L18getri_kernel_smallILi30E19rocblas_complex_numIfEPS3_EEvT1_iilPiilS6_bb
	.p2align	8
	.type	_ZN9rocsolver6v33100L18getri_kernel_smallILi30E19rocblas_complex_numIfEPS3_EEvT1_iilPiilS6_bb,@function
_ZN9rocsolver6v33100L18getri_kernel_smallILi30E19rocblas_complex_numIfEPS3_EEvT1_iilPiilS6_bb: ; @_ZN9rocsolver6v33100L18getri_kernel_smallILi30E19rocblas_complex_numIfEPS3_EEvT1_iilPiilS6_bb
; %bb.0:
	s_add_u32 s0, s0, s7
	s_addc_u32 s1, s1, 0
	s_mov_b32 s7, exec_lo
	v_cmpx_gt_u32_e32 30, v0
	s_cbranch_execz .LBB29_134
; %bb.1:
	s_clause 0x2
	s_load_dword s7, s[4:5], 0x38
	s_load_dwordx4 s[16:19], s[4:5], 0x10
	s_load_dwordx4 s[8:11], s[4:5], 0x28
                                        ; implicit-def: $sgpr20_sgpr21
	s_waitcnt lgkmcnt(0)
	s_bitcmp1_b32 s7, 8
	s_cselect_b32 s22, -1, 0
	s_bfe_u32 s12, s7, 0x10008
	s_ashr_i32 s7, s6, 31
	s_cmp_eq_u32 s12, 0
	s_cbranch_scc1 .LBB29_3
; %bb.2:
	s_load_dword s12, s[4:5], 0x20
	s_mul_i32 s13, s8, s7
	s_mul_hi_u32 s14, s8, s6
	s_mul_i32 s9, s9, s6
	s_add_i32 s13, s14, s13
	s_mul_i32 s8, s8, s6
	s_add_i32 s9, s13, s9
	s_lshl_b64 s[8:9], s[8:9], 2
	s_waitcnt lgkmcnt(0)
	s_ashr_i32 s13, s12, 31
	s_add_u32 s14, s18, s8
	s_addc_u32 s15, s19, s9
	s_lshl_b64 s[8:9], s[12:13], 2
	s_add_u32 s20, s14, s8
	s_addc_u32 s21, s15, s9
.LBB29_3:
	s_clause 0x1
	s_load_dwordx4 s[12:15], s[4:5], 0x0
	s_load_dword s8, s[4:5], 0x38
	s_mul_i32 s4, s16, s7
	s_mul_hi_u32 s5, s16, s6
	s_mul_i32 s9, s17, s6
	s_add_i32 s5, s5, s4
	s_mul_i32 s4, s16, s6
	s_add_i32 s5, s5, s9
	v_lshlrev_b32_e32 v63, 3, v0
	s_lshl_b64 s[4:5], s[4:5], 3
	s_waitcnt lgkmcnt(0)
	v_add3_u32 v1, s15, s15, v0
	s_ashr_i32 s17, s14, 31
	s_mov_b32 s16, s14
	s_add_u32 s9, s12, s4
	s_addc_u32 s12, s13, s5
	v_add_nc_u32_e32 v3, s15, v1
	v_ashrrev_i32_e32 v2, 31, v1
	s_lshl_b64 s[4:5], s[16:17], 3
	s_add_u32 s4, s9, s4
	v_add_nc_u32_e32 v5, s15, v3
	v_ashrrev_i32_e32 v4, 31, v3
	v_lshlrev_b64 v[1:2], 3, v[1:2]
	s_addc_u32 s5, s12, s5
	v_add_co_u32 v49, s9, s4, v63
	v_add_nc_u32_e32 v7, s15, v5
	v_ashrrev_i32_e32 v6, 31, v5
	v_lshlrev_b64 v[3:4], 3, v[3:4]
	v_add_co_u32 v1, vcc_lo, s4, v1
	v_add_nc_u32_e32 v9, s15, v7
	v_ashrrev_i32_e32 v8, 31, v7
	v_lshlrev_b64 v[5:6], 3, v[5:6]
	v_add_co_ci_u32_e64 v2, null, s5, v2, vcc_lo
	v_add_nc_u32_e32 v11, s15, v9
	v_ashrrev_i32_e32 v10, 31, v9
	v_lshlrev_b64 v[7:8], 3, v[7:8]
	v_add_co_u32 v3, vcc_lo, s4, v3
	v_add_nc_u32_e32 v13, s15, v11
	v_ashrrev_i32_e32 v12, 31, v11
	v_lshlrev_b64 v[9:10], 3, v[9:10]
	v_add_co_ci_u32_e64 v4, null, s5, v4, vcc_lo
	v_add_nc_u32_e32 v15, s15, v13
	v_ashrrev_i32_e32 v14, 31, v13
	v_add_co_u32 v5, vcc_lo, s4, v5
	v_lshlrev_b64 v[11:12], 3, v[11:12]
	v_add_nc_u32_e32 v17, s15, v15
	v_ashrrev_i32_e32 v16, 31, v15
	v_add_co_ci_u32_e64 v6, null, s5, v6, vcc_lo
	v_add_co_u32 v7, vcc_lo, s4, v7
	v_add_nc_u32_e32 v19, s15, v17
	v_ashrrev_i32_e32 v18, 31, v17
	v_lshlrev_b64 v[13:14], 3, v[13:14]
	v_add_co_ci_u32_e64 v8, null, s5, v8, vcc_lo
	v_add_nc_u32_e32 v21, s15, v19
	v_ashrrev_i32_e32 v20, 31, v19
	v_add_co_u32 v9, vcc_lo, s4, v9
	v_lshlrev_b64 v[15:16], 3, v[15:16]
	v_add_nc_u32_e32 v23, s15, v21
	v_ashrrev_i32_e32 v22, 31, v21
	v_add_co_ci_u32_e64 v10, null, s5, v10, vcc_lo
	v_add_co_u32 v11, vcc_lo, s4, v11
	v_add_nc_u32_e32 v25, s15, v23
	v_lshlrev_b64 v[17:18], 3, v[17:18]
	v_ashrrev_i32_e32 v24, 31, v23
	v_add_co_ci_u32_e64 v12, null, s5, v12, vcc_lo
	v_add_nc_u32_e32 v27, s15, v25
	v_add_co_u32 v13, vcc_lo, s4, v13
	v_lshlrev_b64 v[19:20], 3, v[19:20]
	v_ashrrev_i32_e32 v26, 31, v25
	v_add_nc_u32_e32 v29, s15, v27
	v_add_co_ci_u32_e64 v14, null, s5, v14, vcc_lo
	v_add_co_u32 v15, vcc_lo, s4, v15
	v_add_nc_u32_e32 v31, s15, v29
	v_lshlrev_b64 v[21:22], 3, v[21:22]
	v_ashrrev_i32_e32 v28, 31, v27
	v_add_co_ci_u32_e64 v16, null, s5, v16, vcc_lo
	v_add_nc_u32_e32 v33, s15, v31
	v_add_co_u32 v17, vcc_lo, s4, v17
	v_lshlrev_b64 v[23:24], 3, v[23:24]
	v_ashrrev_i32_e32 v30, 31, v29
	v_add_nc_u32_e32 v35, s15, v33
	v_add_co_ci_u32_e64 v18, null, s5, v18, vcc_lo
	v_add_co_u32 v19, vcc_lo, s4, v19
	v_add_nc_u32_e32 v37, s15, v35
	v_lshlrev_b64 v[25:26], 3, v[25:26]
	v_ashrrev_i32_e32 v32, 31, v31
	v_add_co_ci_u32_e64 v20, null, s5, v20, vcc_lo
	v_add_nc_u32_e32 v39, s15, v37
	v_add_co_u32 v21, vcc_lo, s4, v21
	v_lshlrev_b64 v[27:28], 3, v[27:28]
	v_ashrrev_i32_e32 v34, 31, v33
	v_add_nc_u32_e32 v41, s15, v39
	v_add_co_ci_u32_e64 v22, null, s5, v22, vcc_lo
	v_add_co_u32 v23, vcc_lo, s4, v23
	v_add_nc_u32_e32 v43, s15, v41
	v_lshlrev_b64 v[29:30], 3, v[29:30]
	v_ashrrev_i32_e32 v36, 31, v35
	v_add_co_ci_u32_e64 v24, null, s5, v24, vcc_lo
	v_add_nc_u32_e32 v45, s15, v43
	v_add_co_u32 v25, vcc_lo, s4, v25
	v_lshlrev_b64 v[31:32], 3, v[31:32]
	v_ashrrev_i32_e32 v38, 31, v37
	v_add_nc_u32_e32 v47, s15, v45
	v_add_co_ci_u32_e64 v26, null, s5, v26, vcc_lo
	v_add_co_u32 v27, vcc_lo, s4, v27
	v_add_nc_u32_e32 v53, s15, v47
	v_lshlrev_b64 v[33:34], 3, v[33:34]
	v_ashrrev_i32_e32 v40, 31, v39
	v_add_co_ci_u32_e64 v28, null, s5, v28, vcc_lo
	v_add_co_u32 v29, vcc_lo, s4, v29
	v_lshlrev_b64 v[35:36], 3, v[35:36]
	v_ashrrev_i32_e32 v42, 31, v41
	v_add_co_ci_u32_e64 v30, null, s5, v30, vcc_lo
	v_add_co_u32 v31, vcc_lo, s4, v31
	v_lshlrev_b64 v[37:38], 3, v[37:38]
	v_add_nc_u32_e32 v55, s15, v53
	v_ashrrev_i32_e32 v44, 31, v43
	v_add_co_ci_u32_e64 v32, null, s5, v32, vcc_lo
	v_add_co_u32 v33, vcc_lo, s4, v33
	v_lshlrev_b64 v[39:40], 3, v[39:40]
	v_ashrrev_i32_e32 v46, 31, v45
	v_add_co_ci_u32_e64 v34, null, s5, v34, vcc_lo
	v_add_co_u32 v35, vcc_lo, s4, v35
	v_lshlrev_b64 v[41:42], 3, v[41:42]
	v_add_nc_u32_e32 v57, s15, v55
	v_add_co_ci_u32_e64 v36, null, s5, v36, vcc_lo
	v_add_co_u32 v37, vcc_lo, s4, v37
	v_lshlrev_b64 v[43:44], 3, v[43:44]
	v_ashrrev_i32_e32 v48, 31, v47
	v_add_co_ci_u32_e64 v38, null, s5, v38, vcc_lo
	v_add_co_u32 v39, vcc_lo, s4, v39
	v_lshlrev_b64 v[45:46], 3, v[45:46]
	v_ashrrev_i32_e32 v54, 31, v53
	v_add_co_ci_u32_e64 v40, null, s5, v40, vcc_lo
	v_add_co_u32 v41, vcc_lo, s4, v41
	v_add_nc_u32_e32 v59, s15, v57
	v_ashrrev_i32_e32 v56, 31, v55
	v_add_co_ci_u32_e64 v42, null, s5, v42, vcc_lo
	v_add_co_u32 v43, vcc_lo, s4, v43
	v_lshlrev_b64 v[47:48], 3, v[47:48]
	s_mov_b32 s12, s15
	s_ashr_i32 s13, s15, 31
	v_add_co_ci_u32_e64 v50, null, s5, 0, s9
	v_ashrrev_i32_e32 v58, 31, v57
	v_add_co_ci_u32_e64 v44, null, s5, v44, vcc_lo
	v_add_co_u32 v45, vcc_lo, s4, v45
	s_lshl_b64 s[12:13], s[12:13], 3
	v_lshlrev_b64 v[53:54], 3, v[53:54]
	v_ashrrev_i32_e32 v60, 31, v59
	v_add_co_ci_u32_e64 v46, null, s5, v46, vcc_lo
	v_add_co_u32 v51, vcc_lo, v49, s12
	v_lshlrev_b64 v[55:56], 3, v[55:56]
	v_add_co_ci_u32_e64 v52, null, s13, v50, vcc_lo
	v_add_co_u32 v47, vcc_lo, s4, v47
	v_lshlrev_b64 v[57:58], 3, v[57:58]
	;; [unrolled: 3-line block ×3, first 2 shown]
	v_add_co_ci_u32_e64 v54, null, s5, v54, vcc_lo
	v_add_co_u32 v55, vcc_lo, s4, v55
	v_add_co_ci_u32_e64 v56, null, s5, v56, vcc_lo
	v_add_co_u32 v57, vcc_lo, s4, v57
	;; [unrolled: 2-line block ×3, first 2 shown]
	v_add_co_ci_u32_e64 v60, null, s5, v60, vcc_lo
	s_clause 0x1d
	global_load_dwordx2 v[61:62], v63, s[4:5]
	global_load_dwordx2 v[64:65], v[51:52], off
	global_load_dwordx2 v[66:67], v[1:2], off
	global_load_dwordx2 v[68:69], v[3:4], off
	global_load_dwordx2 v[70:71], v[5:6], off
	global_load_dwordx2 v[72:73], v[7:8], off
	global_load_dwordx2 v[74:75], v[9:10], off
	global_load_dwordx2 v[76:77], v[11:12], off
	global_load_dwordx2 v[78:79], v[13:14], off
	global_load_dwordx2 v[80:81], v[15:16], off
	global_load_dwordx2 v[82:83], v[17:18], off
	global_load_dwordx2 v[84:85], v[19:20], off
	global_load_dwordx2 v[86:87], v[21:22], off
	global_load_dwordx2 v[88:89], v[23:24], off
	global_load_dwordx2 v[90:91], v[25:26], off
	global_load_dwordx2 v[92:93], v[27:28], off
	global_load_dwordx2 v[94:95], v[29:30], off
	global_load_dwordx2 v[96:97], v[31:32], off
	global_load_dwordx2 v[98:99], v[33:34], off
	global_load_dwordx2 v[100:101], v[35:36], off
	global_load_dwordx2 v[102:103], v[37:38], off
	global_load_dwordx2 v[104:105], v[39:40], off
	global_load_dwordx2 v[106:107], v[41:42], off
	global_load_dwordx2 v[108:109], v[43:44], off
	global_load_dwordx2 v[110:111], v[45:46], off
	global_load_dwordx2 v[112:113], v[47:48], off
	global_load_dwordx2 v[114:115], v[53:54], off
	global_load_dwordx2 v[116:117], v[55:56], off
	global_load_dwordx2 v[118:119], v[57:58], off
	global_load_dwordx2 v[120:121], v[59:60], off
	s_mov_b32 s5, -1
	s_bitcmp0_b32 s8, 0
	s_waitcnt vmcnt(29)
	buffer_store_dword v62, off, s[0:3], 0 offset:4
	buffer_store_dword v61, off, s[0:3], 0
	s_waitcnt vmcnt(28)
	buffer_store_dword v65, off, s[0:3], 0 offset:12
	buffer_store_dword v64, off, s[0:3], 0 offset:8
	s_waitcnt vmcnt(27)
	buffer_store_dword v67, off, s[0:3], 0 offset:20
	buffer_store_dword v66, off, s[0:3], 0 offset:16
	;; [unrolled: 3-line block ×29, first 2 shown]
	s_cbranch_scc1 .LBB29_132
; %bb.4:
	v_cmp_eq_u32_e64 s4, 0, v0
	s_and_saveexec_b32 s5, s4
; %bb.5:
	v_mov_b32_e32 v61, 0
	ds_write_b32 v61, v61 offset:480
; %bb.6:
	s_or_b32 exec_lo, exec_lo, s5
	v_lshl_add_u32 v65, v0, 3, 0
	s_waitcnt lgkmcnt(0)
	s_waitcnt_vscnt null, 0x0
	s_barrier
	buffer_gl0_inv
	s_clause 0x1
	buffer_load_dword v61, v65, s[0:3], 0 offen
	buffer_load_dword v62, v65, s[0:3], 0 offen offset:4
	s_waitcnt vmcnt(1)
	v_cmp_eq_f32_e32 vcc_lo, 0, v61
	s_waitcnt vmcnt(0)
	v_cmp_eq_f32_e64 s5, 0, v62
	s_and_b32 s5, vcc_lo, s5
	s_and_saveexec_b32 s8, s5
	s_cbranch_execz .LBB29_10
; %bb.7:
	v_mov_b32_e32 v61, 0
	s_mov_b32 s9, 0
	ds_read_b32 v62, v61 offset:480
	s_waitcnt lgkmcnt(0)
	v_readfirstlane_b32 s5, v62
	v_add_nc_u32_e32 v62, 1, v0
	s_cmp_eq_u32 s5, 0
	v_cmp_gt_i32_e32 vcc_lo, s5, v62
	s_cselect_b32 s12, -1, 0
	s_or_b32 s12, s12, vcc_lo
	s_and_b32 exec_lo, exec_lo, s12
	s_cbranch_execz .LBB29_10
; %bb.8:
	v_mov_b32_e32 v64, s5
.LBB29_9:                               ; =>This Inner Loop Header: Depth=1
	ds_cmpst_rtn_b32 v64, v61, v64, v62 offset:480
	s_waitcnt lgkmcnt(0)
	v_cmp_ne_u32_e32 vcc_lo, 0, v64
	v_cmp_le_i32_e64 s5, v64, v62
	s_and_b32 s5, vcc_lo, s5
	s_and_b32 s5, exec_lo, s5
	s_or_b32 s9, s5, s9
	s_andn2_b32 exec_lo, exec_lo, s9
	s_cbranch_execnz .LBB29_9
.LBB29_10:
	s_or_b32 exec_lo, exec_lo, s8
	v_mov_b32_e32 v61, 0
	s_barrier
	buffer_gl0_inv
	ds_read_b32 v62, v61 offset:480
	s_and_saveexec_b32 s5, s4
	s_cbranch_execz .LBB29_12
; %bb.11:
	s_lshl_b64 s[8:9], s[6:7], 2
	s_add_u32 s8, s10, s8
	s_addc_u32 s9, s11, s9
	s_waitcnt lgkmcnt(0)
	global_store_dword v61, v62, s[8:9]
.LBB29_12:
	s_or_b32 exec_lo, exec_lo, s5
	s_waitcnt lgkmcnt(0)
	v_cmp_ne_u32_e32 vcc_lo, 0, v62
	s_mov_b32 s5, 0
	s_cbranch_vccnz .LBB29_132
; %bb.13:
	s_clause 0x1
	buffer_load_dword v62, v65, s[0:3], 0 offen
	buffer_load_dword v64, v65, s[0:3], 0 offen offset:4
                                        ; implicit-def: $vgpr67
                                        ; implicit-def: $vgpr66
                                        ; implicit-def: $vgpr61
	s_waitcnt vmcnt(0)
	v_cmp_ngt_f32_e64 s5, |v62|, |v64|
	s_and_saveexec_b32 s8, s5
	s_xor_b32 s5, exec_lo, s8
	s_cbranch_execz .LBB29_15
; %bb.14:
	v_div_scale_f32 v61, null, v64, v64, v62
	v_div_scale_f32 v68, vcc_lo, v62, v64, v62
	v_rcp_f32_e32 v66, v61
	v_fma_f32 v67, -v61, v66, 1.0
	v_fmac_f32_e32 v66, v67, v66
	v_mul_f32_e32 v67, v68, v66
	v_fma_f32 v69, -v61, v67, v68
	v_fmac_f32_e32 v67, v69, v66
	v_fma_f32 v61, -v61, v67, v68
	v_div_fmas_f32 v61, v61, v66, v67
	v_div_fixup_f32 v61, v61, v64, v62
	v_fmac_f32_e32 v64, v62, v61
	v_div_scale_f32 v62, null, v64, v64, 1.0
	v_rcp_f32_e32 v66, v62
	v_fma_f32 v67, -v62, v66, 1.0
	v_fmac_f32_e32 v66, v67, v66
	v_div_scale_f32 v67, vcc_lo, 1.0, v64, 1.0
	v_mul_f32_e32 v68, v67, v66
	v_fma_f32 v69, -v62, v68, v67
	v_fmac_f32_e32 v68, v69, v66
	v_fma_f32 v62, -v62, v68, v67
	v_div_fmas_f32 v62, v62, v66, v68
	v_div_fixup_f32 v62, v62, v64, 1.0
                                        ; implicit-def: $vgpr64
	v_mul_f32_e32 v67, v61, v62
	v_xor_b32_e32 v66, 0x80000000, v62
                                        ; implicit-def: $vgpr62
	v_xor_b32_e32 v61, 0x80000000, v67
.LBB29_15:
	s_andn2_saveexec_b32 s5, s5
	s_cbranch_execz .LBB29_17
; %bb.16:
	v_div_scale_f32 v61, null, v62, v62, v64
	v_div_scale_f32 v68, vcc_lo, v64, v62, v64
	v_rcp_f32_e32 v66, v61
	v_fma_f32 v67, -v61, v66, 1.0
	v_fmac_f32_e32 v66, v67, v66
	v_mul_f32_e32 v67, v68, v66
	v_fma_f32 v69, -v61, v67, v68
	v_fmac_f32_e32 v67, v69, v66
	v_fma_f32 v61, -v61, v67, v68
	v_div_fmas_f32 v61, v61, v66, v67
	v_div_fixup_f32 v66, v61, v62, v64
	v_fmac_f32_e32 v62, v64, v66
	v_div_scale_f32 v61, null, v62, v62, 1.0
	v_div_scale_f32 v68, vcc_lo, 1.0, v62, 1.0
	v_rcp_f32_e32 v64, v61
	v_fma_f32 v67, -v61, v64, 1.0
	v_fmac_f32_e32 v64, v67, v64
	v_mul_f32_e32 v67, v68, v64
	v_fma_f32 v69, -v61, v67, v68
	v_fmac_f32_e32 v67, v69, v64
	v_fma_f32 v61, -v61, v67, v68
	v_div_fmas_f32 v61, v61, v64, v67
	v_div_fixup_f32 v67, v61, v62, 1.0
	v_xor_b32_e32 v61, 0x80000000, v67
	v_mul_f32_e64 v66, v66, -v67
.LBB29_17:
	s_or_b32 exec_lo, exec_lo, s5
	buffer_store_dword v67, v65, s[0:3], 0 offen
	buffer_store_dword v66, v65, s[0:3], 0 offen offset:4
	s_clause 0x1
	buffer_load_dword v68, off, s[0:3], 0 offset:12
	buffer_load_dword v67, off, s[0:3], 0 offset:8
	v_xor_b32_e32 v62, 0x80000000, v66
	v_add_nc_u32_e32 v64, 0xf0, v63
	s_waitcnt vmcnt(0)
	ds_write2_b64 v63, v[61:62], v[67:68] offset1:30
	s_waitcnt lgkmcnt(0)
	s_waitcnt_vscnt null, 0x0
	s_barrier
	buffer_gl0_inv
	s_and_saveexec_b32 s5, s4
	s_cbranch_execz .LBB29_19
; %bb.18:
	s_clause 0x1
	buffer_load_dword v68, v65, s[0:3], 0 offen offset:4
	buffer_load_dword v69, v65, s[0:3], 0 offen
	ds_read_b64 v[61:62], v64
	v_mov_b32_e32 v66, 0
	ds_read_b64 v[66:67], v66 offset:8
	s_waitcnt vmcnt(1) lgkmcnt(1)
	v_mul_f32_e32 v70, v61, v68
	v_mul_f32_e32 v68, v62, v68
	s_waitcnt vmcnt(0)
	v_fmac_f32_e32 v70, v62, v69
	v_fma_f32 v61, v61, v69, -v68
	v_add_f32_e32 v62, 0, v70
	v_add_f32_e32 v61, 0, v61
	s_waitcnt lgkmcnt(0)
	v_mul_f32_e32 v68, v62, v67
	v_mul_f32_e32 v67, v61, v67
	v_fma_f32 v61, v61, v66, -v68
	v_fmac_f32_e32 v67, v62, v66
	buffer_store_dword v61, off, s[0:3], 0 offset:8
	buffer_store_dword v67, off, s[0:3], 0 offset:12
.LBB29_19:
	s_or_b32 exec_lo, exec_lo, s5
	s_waitcnt_vscnt null, 0x0
	s_barrier
	buffer_gl0_inv
	s_clause 0x1
	buffer_load_dword v61, off, s[0:3], 0 offset:16
	buffer_load_dword v62, off, s[0:3], 0 offset:20
	s_mov_b32 s5, exec_lo
	s_waitcnt vmcnt(0)
	ds_write_b64 v64, v[61:62]
	s_waitcnt lgkmcnt(0)
	s_barrier
	buffer_gl0_inv
	v_cmpx_gt_u32_e32 2, v0
	s_cbranch_execz .LBB29_23
; %bb.20:
	s_clause 0x1
	buffer_load_dword v66, v65, s[0:3], 0 offen offset:4
	buffer_load_dword v65, v65, s[0:3], 0 offen
	ds_read_b64 v[61:62], v64
	s_waitcnt vmcnt(1) lgkmcnt(0)
	v_mul_f32_e32 v67, v62, v66
	v_mul_f32_e32 v66, v61, v66
	s_waitcnt vmcnt(0)
	v_fma_f32 v61, v61, v65, -v67
	v_fmac_f32_e32 v66, v62, v65
	v_add_f32_e32 v62, 0, v61
	v_add_f32_e32 v61, 0, v66
	s_and_saveexec_b32 s8, s4
	s_cbranch_execz .LBB29_22
; %bb.21:
	s_clause 0x1
	buffer_load_dword v67, off, s[0:3], 0 offset:12
	buffer_load_dword v68, off, s[0:3], 0 offset:8
	v_mov_b32_e32 v65, 0
	ds_read_b64 v[65:66], v65 offset:248
	s_waitcnt vmcnt(1) lgkmcnt(0)
	v_mul_f32_e32 v69, v65, v67
	v_mul_f32_e32 v67, v66, v67
	s_waitcnt vmcnt(0)
	v_fmac_f32_e32 v69, v66, v68
	v_fma_f32 v65, v65, v68, -v67
	v_add_f32_e32 v61, v61, v69
	v_add_f32_e32 v62, v62, v65
.LBB29_22:
	s_or_b32 exec_lo, exec_lo, s8
	v_mov_b32_e32 v65, 0
	ds_read_b64 v[65:66], v65 offset:16
	s_waitcnt lgkmcnt(0)
	v_mul_f32_e32 v67, v61, v66
	v_mul_f32_e32 v66, v62, v66
	v_fma_f32 v62, v62, v65, -v67
	v_fmac_f32_e32 v66, v61, v65
	buffer_store_dword v62, off, s[0:3], 0 offset:16
	buffer_store_dword v66, off, s[0:3], 0 offset:20
.LBB29_23:
	s_or_b32 exec_lo, exec_lo, s5
	s_waitcnt_vscnt null, 0x0
	s_barrier
	buffer_gl0_inv
	s_clause 0x1
	buffer_load_dword v65, off, s[0:3], 0 offset:24
	buffer_load_dword v66, off, s[0:3], 0 offset:28
	v_add_nc_u32_e32 v61, -1, v0
	s_mov_b32 s4, exec_lo
	s_waitcnt vmcnt(0)
	ds_write_b64 v64, v[65:66]
	s_waitcnt lgkmcnt(0)
	s_barrier
	buffer_gl0_inv
	v_cmpx_gt_u32_e32 3, v0
	s_cbranch_execz .LBB29_27
; %bb.24:
	v_add_nc_u32_e32 v65, -1, v0
	v_add_nc_u32_e32 v66, 0xf0, v63
	v_mov_b32_e32 v67, v63
	v_mov_b32_e32 v62, 0
	;; [unrolled: 1-line block ×3, first 2 shown]
	s_mov_b32 s5, 0
	.p2align	6
.LBB29_25:                              ; =>This Inner Loop Header: Depth=1
	s_clause 0x1
	buffer_load_dword v71, v67, s[0:3], 0 offen offset:4
	buffer_load_dword v72, v67, s[0:3], 0 offen
	ds_read_b64 v[69:70], v66
	v_add_nc_u32_e32 v65, 1, v65
	v_add_nc_u32_e32 v66, 8, v66
	;; [unrolled: 1-line block ×3, first 2 shown]
	v_cmp_lt_u32_e32 vcc_lo, 1, v65
	s_or_b32 s5, vcc_lo, s5
	s_waitcnt vmcnt(1) lgkmcnt(0)
	v_mul_f32_e32 v73, v70, v71
	v_mul_f32_e32 v71, v69, v71
	s_waitcnt vmcnt(0)
	v_fma_f32 v69, v69, v72, -v73
	v_fmac_f32_e32 v71, v70, v72
	v_add_f32_e32 v68, v68, v69
	v_add_f32_e32 v62, v62, v71
	s_andn2_b32 exec_lo, exec_lo, s5
	s_cbranch_execnz .LBB29_25
; %bb.26:
	s_or_b32 exec_lo, exec_lo, s5
	v_mov_b32_e32 v65, 0
	ds_read_b64 v[65:66], v65 offset:24
	s_waitcnt lgkmcnt(0)
	v_mul_f32_e32 v67, v62, v66
	v_mul_f32_e32 v66, v68, v66
	v_fma_f32 v67, v68, v65, -v67
	v_fmac_f32_e32 v66, v62, v65
	buffer_store_dword v67, off, s[0:3], 0 offset:24
	buffer_store_dword v66, off, s[0:3], 0 offset:28
.LBB29_27:
	s_or_b32 exec_lo, exec_lo, s4
	s_waitcnt_vscnt null, 0x0
	s_barrier
	buffer_gl0_inv
	s_clause 0x1
	buffer_load_dword v65, off, s[0:3], 0 offset:32
	buffer_load_dword v66, off, s[0:3], 0 offset:36
	s_mov_b32 s4, exec_lo
	s_waitcnt vmcnt(0)
	ds_write_b64 v64, v[65:66]
	s_waitcnt lgkmcnt(0)
	s_barrier
	buffer_gl0_inv
	v_cmpx_gt_u32_e32 4, v0
	s_cbranch_execz .LBB29_31
; %bb.28:
	v_add_nc_u32_e32 v65, -1, v0
	v_add_nc_u32_e32 v66, 0xf0, v63
	v_mov_b32_e32 v67, v63
	v_mov_b32_e32 v62, 0
	;; [unrolled: 1-line block ×3, first 2 shown]
	s_mov_b32 s5, 0
	.p2align	6
.LBB29_29:                              ; =>This Inner Loop Header: Depth=1
	s_clause 0x1
	buffer_load_dword v71, v67, s[0:3], 0 offen offset:4
	buffer_load_dword v72, v67, s[0:3], 0 offen
	ds_read_b64 v[69:70], v66
	v_add_nc_u32_e32 v65, 1, v65
	v_add_nc_u32_e32 v66, 8, v66
	;; [unrolled: 1-line block ×3, first 2 shown]
	v_cmp_lt_u32_e32 vcc_lo, 2, v65
	s_or_b32 s5, vcc_lo, s5
	s_waitcnt vmcnt(1) lgkmcnt(0)
	v_mul_f32_e32 v73, v70, v71
	v_mul_f32_e32 v71, v69, v71
	s_waitcnt vmcnt(0)
	v_fma_f32 v69, v69, v72, -v73
	v_fmac_f32_e32 v71, v70, v72
	v_add_f32_e32 v68, v68, v69
	v_add_f32_e32 v62, v62, v71
	s_andn2_b32 exec_lo, exec_lo, s5
	s_cbranch_execnz .LBB29_29
; %bb.30:
	s_or_b32 exec_lo, exec_lo, s5
	v_mov_b32_e32 v65, 0
	ds_read_b64 v[65:66], v65 offset:32
	s_waitcnt lgkmcnt(0)
	v_mul_f32_e32 v67, v62, v66
	v_mul_f32_e32 v66, v68, v66
	v_fma_f32 v67, v68, v65, -v67
	v_fmac_f32_e32 v66, v62, v65
	buffer_store_dword v67, off, s[0:3], 0 offset:32
	buffer_store_dword v66, off, s[0:3], 0 offset:36
.LBB29_31:
	s_or_b32 exec_lo, exec_lo, s4
	s_waitcnt_vscnt null, 0x0
	s_barrier
	buffer_gl0_inv
	s_clause 0x1
	buffer_load_dword v65, off, s[0:3], 0 offset:40
	buffer_load_dword v66, off, s[0:3], 0 offset:44
	s_mov_b32 s4, exec_lo
	s_waitcnt vmcnt(0)
	ds_write_b64 v64, v[65:66]
	s_waitcnt lgkmcnt(0)
	s_barrier
	buffer_gl0_inv
	v_cmpx_gt_u32_e32 5, v0
	s_cbranch_execz .LBB29_35
; %bb.32:
	v_add_nc_u32_e32 v65, -1, v0
	v_add_nc_u32_e32 v66, 0xf0, v63
	v_mov_b32_e32 v67, v63
	v_mov_b32_e32 v62, 0
	;; [unrolled: 1-line block ×3, first 2 shown]
	s_mov_b32 s5, 0
	.p2align	6
.LBB29_33:                              ; =>This Inner Loop Header: Depth=1
	s_clause 0x1
	buffer_load_dword v71, v67, s[0:3], 0 offen offset:4
	buffer_load_dword v72, v67, s[0:3], 0 offen
	ds_read_b64 v[69:70], v66
	v_add_nc_u32_e32 v65, 1, v65
	v_add_nc_u32_e32 v66, 8, v66
	;; [unrolled: 1-line block ×3, first 2 shown]
	v_cmp_lt_u32_e32 vcc_lo, 3, v65
	s_or_b32 s5, vcc_lo, s5
	s_waitcnt vmcnt(1) lgkmcnt(0)
	v_mul_f32_e32 v73, v70, v71
	v_mul_f32_e32 v71, v69, v71
	s_waitcnt vmcnt(0)
	v_fma_f32 v69, v69, v72, -v73
	v_fmac_f32_e32 v71, v70, v72
	v_add_f32_e32 v68, v68, v69
	v_add_f32_e32 v62, v62, v71
	s_andn2_b32 exec_lo, exec_lo, s5
	s_cbranch_execnz .LBB29_33
; %bb.34:
	s_or_b32 exec_lo, exec_lo, s5
	v_mov_b32_e32 v65, 0
	ds_read_b64 v[65:66], v65 offset:40
	s_waitcnt lgkmcnt(0)
	v_mul_f32_e32 v67, v62, v66
	v_mul_f32_e32 v66, v68, v66
	v_fma_f32 v67, v68, v65, -v67
	v_fmac_f32_e32 v66, v62, v65
	buffer_store_dword v67, off, s[0:3], 0 offset:40
	buffer_store_dword v66, off, s[0:3], 0 offset:44
.LBB29_35:
	s_or_b32 exec_lo, exec_lo, s4
	s_waitcnt_vscnt null, 0x0
	s_barrier
	buffer_gl0_inv
	s_clause 0x1
	buffer_load_dword v65, off, s[0:3], 0 offset:48
	buffer_load_dword v66, off, s[0:3], 0 offset:52
	s_mov_b32 s4, exec_lo
	s_waitcnt vmcnt(0)
	ds_write_b64 v64, v[65:66]
	s_waitcnt lgkmcnt(0)
	s_barrier
	buffer_gl0_inv
	v_cmpx_gt_u32_e32 6, v0
	s_cbranch_execz .LBB29_39
; %bb.36:
	v_add_nc_u32_e32 v65, -1, v0
	v_add_nc_u32_e32 v66, 0xf0, v63
	v_mov_b32_e32 v67, v63
	v_mov_b32_e32 v62, 0
	;; [unrolled: 1-line block ×3, first 2 shown]
	s_mov_b32 s5, 0
	.p2align	6
.LBB29_37:                              ; =>This Inner Loop Header: Depth=1
	s_clause 0x1
	buffer_load_dword v71, v67, s[0:3], 0 offen offset:4
	buffer_load_dword v72, v67, s[0:3], 0 offen
	ds_read_b64 v[69:70], v66
	v_add_nc_u32_e32 v65, 1, v65
	v_add_nc_u32_e32 v66, 8, v66
	v_add_nc_u32_e32 v67, 8, v67
	v_cmp_lt_u32_e32 vcc_lo, 4, v65
	s_or_b32 s5, vcc_lo, s5
	s_waitcnt vmcnt(1) lgkmcnt(0)
	v_mul_f32_e32 v73, v70, v71
	v_mul_f32_e32 v71, v69, v71
	s_waitcnt vmcnt(0)
	v_fma_f32 v69, v69, v72, -v73
	v_fmac_f32_e32 v71, v70, v72
	v_add_f32_e32 v68, v68, v69
	v_add_f32_e32 v62, v62, v71
	s_andn2_b32 exec_lo, exec_lo, s5
	s_cbranch_execnz .LBB29_37
; %bb.38:
	s_or_b32 exec_lo, exec_lo, s5
	v_mov_b32_e32 v65, 0
	ds_read_b64 v[65:66], v65 offset:48
	s_waitcnt lgkmcnt(0)
	v_mul_f32_e32 v67, v62, v66
	v_mul_f32_e32 v66, v68, v66
	v_fma_f32 v67, v68, v65, -v67
	v_fmac_f32_e32 v66, v62, v65
	buffer_store_dword v67, off, s[0:3], 0 offset:48
	buffer_store_dword v66, off, s[0:3], 0 offset:52
.LBB29_39:
	s_or_b32 exec_lo, exec_lo, s4
	s_waitcnt_vscnt null, 0x0
	s_barrier
	buffer_gl0_inv
	s_clause 0x1
	buffer_load_dword v65, off, s[0:3], 0 offset:56
	buffer_load_dword v66, off, s[0:3], 0 offset:60
	s_mov_b32 s4, exec_lo
	s_waitcnt vmcnt(0)
	ds_write_b64 v64, v[65:66]
	s_waitcnt lgkmcnt(0)
	s_barrier
	buffer_gl0_inv
	v_cmpx_gt_u32_e32 7, v0
	s_cbranch_execz .LBB29_43
; %bb.40:
	v_add_nc_u32_e32 v65, -1, v0
	v_add_nc_u32_e32 v66, 0xf0, v63
	v_mov_b32_e32 v67, v63
	v_mov_b32_e32 v62, 0
	;; [unrolled: 1-line block ×3, first 2 shown]
	s_mov_b32 s5, 0
	.p2align	6
.LBB29_41:                              ; =>This Inner Loop Header: Depth=1
	s_clause 0x1
	buffer_load_dword v71, v67, s[0:3], 0 offen offset:4
	buffer_load_dword v72, v67, s[0:3], 0 offen
	ds_read_b64 v[69:70], v66
	v_add_nc_u32_e32 v65, 1, v65
	v_add_nc_u32_e32 v66, 8, v66
	;; [unrolled: 1-line block ×3, first 2 shown]
	v_cmp_lt_u32_e32 vcc_lo, 5, v65
	s_or_b32 s5, vcc_lo, s5
	s_waitcnt vmcnt(1) lgkmcnt(0)
	v_mul_f32_e32 v73, v70, v71
	v_mul_f32_e32 v71, v69, v71
	s_waitcnt vmcnt(0)
	v_fma_f32 v69, v69, v72, -v73
	v_fmac_f32_e32 v71, v70, v72
	v_add_f32_e32 v68, v68, v69
	v_add_f32_e32 v62, v62, v71
	s_andn2_b32 exec_lo, exec_lo, s5
	s_cbranch_execnz .LBB29_41
; %bb.42:
	s_or_b32 exec_lo, exec_lo, s5
	v_mov_b32_e32 v65, 0
	ds_read_b64 v[65:66], v65 offset:56
	s_waitcnt lgkmcnt(0)
	v_mul_f32_e32 v67, v62, v66
	v_mul_f32_e32 v66, v68, v66
	v_fma_f32 v67, v68, v65, -v67
	v_fmac_f32_e32 v66, v62, v65
	buffer_store_dword v67, off, s[0:3], 0 offset:56
	buffer_store_dword v66, off, s[0:3], 0 offset:60
.LBB29_43:
	s_or_b32 exec_lo, exec_lo, s4
	s_waitcnt_vscnt null, 0x0
	s_barrier
	buffer_gl0_inv
	s_clause 0x1
	buffer_load_dword v65, off, s[0:3], 0 offset:64
	buffer_load_dword v66, off, s[0:3], 0 offset:68
	s_mov_b32 s4, exec_lo
	s_waitcnt vmcnt(0)
	ds_write_b64 v64, v[65:66]
	s_waitcnt lgkmcnt(0)
	s_barrier
	buffer_gl0_inv
	v_cmpx_gt_u32_e32 8, v0
	s_cbranch_execz .LBB29_47
; %bb.44:
	v_add_nc_u32_e32 v65, -1, v0
	v_add_nc_u32_e32 v66, 0xf0, v63
	v_mov_b32_e32 v67, v63
	v_mov_b32_e32 v62, 0
	;; [unrolled: 1-line block ×3, first 2 shown]
	s_mov_b32 s5, 0
	.p2align	6
.LBB29_45:                              ; =>This Inner Loop Header: Depth=1
	s_clause 0x1
	buffer_load_dword v71, v67, s[0:3], 0 offen offset:4
	buffer_load_dword v72, v67, s[0:3], 0 offen
	ds_read_b64 v[69:70], v66
	v_add_nc_u32_e32 v65, 1, v65
	v_add_nc_u32_e32 v66, 8, v66
	;; [unrolled: 1-line block ×3, first 2 shown]
	v_cmp_lt_u32_e32 vcc_lo, 6, v65
	s_or_b32 s5, vcc_lo, s5
	s_waitcnt vmcnt(1) lgkmcnt(0)
	v_mul_f32_e32 v73, v70, v71
	v_mul_f32_e32 v71, v69, v71
	s_waitcnt vmcnt(0)
	v_fma_f32 v69, v69, v72, -v73
	v_fmac_f32_e32 v71, v70, v72
	v_add_f32_e32 v68, v68, v69
	v_add_f32_e32 v62, v62, v71
	s_andn2_b32 exec_lo, exec_lo, s5
	s_cbranch_execnz .LBB29_45
; %bb.46:
	s_or_b32 exec_lo, exec_lo, s5
	v_mov_b32_e32 v65, 0
	ds_read_b64 v[65:66], v65 offset:64
	s_waitcnt lgkmcnt(0)
	v_mul_f32_e32 v67, v62, v66
	v_mul_f32_e32 v66, v68, v66
	v_fma_f32 v67, v68, v65, -v67
	v_fmac_f32_e32 v66, v62, v65
	buffer_store_dword v67, off, s[0:3], 0 offset:64
	buffer_store_dword v66, off, s[0:3], 0 offset:68
.LBB29_47:
	s_or_b32 exec_lo, exec_lo, s4
	s_waitcnt_vscnt null, 0x0
	s_barrier
	buffer_gl0_inv
	s_clause 0x1
	buffer_load_dword v65, off, s[0:3], 0 offset:72
	buffer_load_dword v66, off, s[0:3], 0 offset:76
	s_mov_b32 s4, exec_lo
	s_waitcnt vmcnt(0)
	ds_write_b64 v64, v[65:66]
	s_waitcnt lgkmcnt(0)
	s_barrier
	buffer_gl0_inv
	v_cmpx_gt_u32_e32 9, v0
	s_cbranch_execz .LBB29_51
; %bb.48:
	v_add_nc_u32_e32 v65, -1, v0
	v_add_nc_u32_e32 v66, 0xf0, v63
	v_mov_b32_e32 v67, v63
	v_mov_b32_e32 v62, 0
	;; [unrolled: 1-line block ×3, first 2 shown]
	s_mov_b32 s5, 0
	.p2align	6
.LBB29_49:                              ; =>This Inner Loop Header: Depth=1
	s_clause 0x1
	buffer_load_dword v71, v67, s[0:3], 0 offen offset:4
	buffer_load_dword v72, v67, s[0:3], 0 offen
	ds_read_b64 v[69:70], v66
	v_add_nc_u32_e32 v65, 1, v65
	v_add_nc_u32_e32 v66, 8, v66
	;; [unrolled: 1-line block ×3, first 2 shown]
	v_cmp_lt_u32_e32 vcc_lo, 7, v65
	s_or_b32 s5, vcc_lo, s5
	s_waitcnt vmcnt(1) lgkmcnt(0)
	v_mul_f32_e32 v73, v70, v71
	v_mul_f32_e32 v71, v69, v71
	s_waitcnt vmcnt(0)
	v_fma_f32 v69, v69, v72, -v73
	v_fmac_f32_e32 v71, v70, v72
	v_add_f32_e32 v68, v68, v69
	v_add_f32_e32 v62, v62, v71
	s_andn2_b32 exec_lo, exec_lo, s5
	s_cbranch_execnz .LBB29_49
; %bb.50:
	s_or_b32 exec_lo, exec_lo, s5
	v_mov_b32_e32 v65, 0
	ds_read_b64 v[65:66], v65 offset:72
	s_waitcnt lgkmcnt(0)
	v_mul_f32_e32 v67, v62, v66
	v_mul_f32_e32 v66, v68, v66
	v_fma_f32 v67, v68, v65, -v67
	v_fmac_f32_e32 v66, v62, v65
	buffer_store_dword v67, off, s[0:3], 0 offset:72
	buffer_store_dword v66, off, s[0:3], 0 offset:76
.LBB29_51:
	s_or_b32 exec_lo, exec_lo, s4
	s_waitcnt_vscnt null, 0x0
	s_barrier
	buffer_gl0_inv
	s_clause 0x1
	buffer_load_dword v65, off, s[0:3], 0 offset:80
	buffer_load_dword v66, off, s[0:3], 0 offset:84
	s_mov_b32 s4, exec_lo
	s_waitcnt vmcnt(0)
	ds_write_b64 v64, v[65:66]
	s_waitcnt lgkmcnt(0)
	s_barrier
	buffer_gl0_inv
	v_cmpx_gt_u32_e32 10, v0
	s_cbranch_execz .LBB29_55
; %bb.52:
	v_add_nc_u32_e32 v65, -1, v0
	v_add_nc_u32_e32 v66, 0xf0, v63
	v_mov_b32_e32 v67, v63
	v_mov_b32_e32 v62, 0
	v_mov_b32_e32 v68, 0
	s_mov_b32 s5, 0
	.p2align	6
.LBB29_53:                              ; =>This Inner Loop Header: Depth=1
	s_clause 0x1
	buffer_load_dword v71, v67, s[0:3], 0 offen offset:4
	buffer_load_dword v72, v67, s[0:3], 0 offen
	ds_read_b64 v[69:70], v66
	v_add_nc_u32_e32 v65, 1, v65
	v_add_nc_u32_e32 v66, 8, v66
	;; [unrolled: 1-line block ×3, first 2 shown]
	v_cmp_lt_u32_e32 vcc_lo, 8, v65
	s_or_b32 s5, vcc_lo, s5
	s_waitcnt vmcnt(1) lgkmcnt(0)
	v_mul_f32_e32 v73, v70, v71
	v_mul_f32_e32 v71, v69, v71
	s_waitcnt vmcnt(0)
	v_fma_f32 v69, v69, v72, -v73
	v_fmac_f32_e32 v71, v70, v72
	v_add_f32_e32 v68, v68, v69
	v_add_f32_e32 v62, v62, v71
	s_andn2_b32 exec_lo, exec_lo, s5
	s_cbranch_execnz .LBB29_53
; %bb.54:
	s_or_b32 exec_lo, exec_lo, s5
	v_mov_b32_e32 v65, 0
	ds_read_b64 v[65:66], v65 offset:80
	s_waitcnt lgkmcnt(0)
	v_mul_f32_e32 v67, v62, v66
	v_mul_f32_e32 v66, v68, v66
	v_fma_f32 v67, v68, v65, -v67
	v_fmac_f32_e32 v66, v62, v65
	buffer_store_dword v67, off, s[0:3], 0 offset:80
	buffer_store_dword v66, off, s[0:3], 0 offset:84
.LBB29_55:
	s_or_b32 exec_lo, exec_lo, s4
	s_waitcnt_vscnt null, 0x0
	s_barrier
	buffer_gl0_inv
	s_clause 0x1
	buffer_load_dword v65, off, s[0:3], 0 offset:88
	buffer_load_dword v66, off, s[0:3], 0 offset:92
	s_mov_b32 s4, exec_lo
	s_waitcnt vmcnt(0)
	ds_write_b64 v64, v[65:66]
	s_waitcnt lgkmcnt(0)
	s_barrier
	buffer_gl0_inv
	v_cmpx_gt_u32_e32 11, v0
	s_cbranch_execz .LBB29_59
; %bb.56:
	v_add_nc_u32_e32 v65, -1, v0
	v_add_nc_u32_e32 v66, 0xf0, v63
	v_mov_b32_e32 v67, v63
	v_mov_b32_e32 v62, 0
	;; [unrolled: 1-line block ×3, first 2 shown]
	s_mov_b32 s5, 0
	.p2align	6
.LBB29_57:                              ; =>This Inner Loop Header: Depth=1
	s_clause 0x1
	buffer_load_dword v71, v67, s[0:3], 0 offen offset:4
	buffer_load_dword v72, v67, s[0:3], 0 offen
	ds_read_b64 v[69:70], v66
	v_add_nc_u32_e32 v65, 1, v65
	v_add_nc_u32_e32 v66, 8, v66
	;; [unrolled: 1-line block ×3, first 2 shown]
	v_cmp_lt_u32_e32 vcc_lo, 9, v65
	s_or_b32 s5, vcc_lo, s5
	s_waitcnt vmcnt(1) lgkmcnt(0)
	v_mul_f32_e32 v73, v70, v71
	v_mul_f32_e32 v71, v69, v71
	s_waitcnt vmcnt(0)
	v_fma_f32 v69, v69, v72, -v73
	v_fmac_f32_e32 v71, v70, v72
	v_add_f32_e32 v68, v68, v69
	v_add_f32_e32 v62, v62, v71
	s_andn2_b32 exec_lo, exec_lo, s5
	s_cbranch_execnz .LBB29_57
; %bb.58:
	s_or_b32 exec_lo, exec_lo, s5
	v_mov_b32_e32 v65, 0
	ds_read_b64 v[65:66], v65 offset:88
	s_waitcnt lgkmcnt(0)
	v_mul_f32_e32 v67, v62, v66
	v_mul_f32_e32 v66, v68, v66
	v_fma_f32 v67, v68, v65, -v67
	v_fmac_f32_e32 v66, v62, v65
	buffer_store_dword v67, off, s[0:3], 0 offset:88
	buffer_store_dword v66, off, s[0:3], 0 offset:92
.LBB29_59:
	s_or_b32 exec_lo, exec_lo, s4
	s_waitcnt_vscnt null, 0x0
	s_barrier
	buffer_gl0_inv
	s_clause 0x1
	buffer_load_dword v65, off, s[0:3], 0 offset:96
	buffer_load_dword v66, off, s[0:3], 0 offset:100
	s_mov_b32 s4, exec_lo
	s_waitcnt vmcnt(0)
	ds_write_b64 v64, v[65:66]
	s_waitcnt lgkmcnt(0)
	s_barrier
	buffer_gl0_inv
	v_cmpx_gt_u32_e32 12, v0
	s_cbranch_execz .LBB29_63
; %bb.60:
	v_add_nc_u32_e32 v65, -1, v0
	v_add_nc_u32_e32 v66, 0xf0, v63
	v_mov_b32_e32 v67, v63
	v_mov_b32_e32 v62, 0
	;; [unrolled: 1-line block ×3, first 2 shown]
	s_mov_b32 s5, 0
	.p2align	6
.LBB29_61:                              ; =>This Inner Loop Header: Depth=1
	s_clause 0x1
	buffer_load_dword v71, v67, s[0:3], 0 offen offset:4
	buffer_load_dword v72, v67, s[0:3], 0 offen
	ds_read_b64 v[69:70], v66
	v_add_nc_u32_e32 v65, 1, v65
	v_add_nc_u32_e32 v66, 8, v66
	;; [unrolled: 1-line block ×3, first 2 shown]
	v_cmp_lt_u32_e32 vcc_lo, 10, v65
	s_or_b32 s5, vcc_lo, s5
	s_waitcnt vmcnt(1) lgkmcnt(0)
	v_mul_f32_e32 v73, v70, v71
	v_mul_f32_e32 v71, v69, v71
	s_waitcnt vmcnt(0)
	v_fma_f32 v69, v69, v72, -v73
	v_fmac_f32_e32 v71, v70, v72
	v_add_f32_e32 v68, v68, v69
	v_add_f32_e32 v62, v62, v71
	s_andn2_b32 exec_lo, exec_lo, s5
	s_cbranch_execnz .LBB29_61
; %bb.62:
	s_or_b32 exec_lo, exec_lo, s5
	v_mov_b32_e32 v65, 0
	ds_read_b64 v[65:66], v65 offset:96
	s_waitcnt lgkmcnt(0)
	v_mul_f32_e32 v67, v62, v66
	v_mul_f32_e32 v66, v68, v66
	v_fma_f32 v67, v68, v65, -v67
	v_fmac_f32_e32 v66, v62, v65
	buffer_store_dword v67, off, s[0:3], 0 offset:96
	buffer_store_dword v66, off, s[0:3], 0 offset:100
.LBB29_63:
	s_or_b32 exec_lo, exec_lo, s4
	s_waitcnt_vscnt null, 0x0
	s_barrier
	buffer_gl0_inv
	s_clause 0x1
	buffer_load_dword v65, off, s[0:3], 0 offset:104
	buffer_load_dword v66, off, s[0:3], 0 offset:108
	s_mov_b32 s4, exec_lo
	s_waitcnt vmcnt(0)
	ds_write_b64 v64, v[65:66]
	s_waitcnt lgkmcnt(0)
	s_barrier
	buffer_gl0_inv
	v_cmpx_gt_u32_e32 13, v0
	s_cbranch_execz .LBB29_67
; %bb.64:
	v_add_nc_u32_e32 v65, -1, v0
	v_add_nc_u32_e32 v66, 0xf0, v63
	v_mov_b32_e32 v67, v63
	v_mov_b32_e32 v62, 0
	v_mov_b32_e32 v68, 0
	s_mov_b32 s5, 0
	.p2align	6
.LBB29_65:                              ; =>This Inner Loop Header: Depth=1
	s_clause 0x1
	buffer_load_dword v71, v67, s[0:3], 0 offen offset:4
	buffer_load_dword v72, v67, s[0:3], 0 offen
	ds_read_b64 v[69:70], v66
	v_add_nc_u32_e32 v65, 1, v65
	v_add_nc_u32_e32 v66, 8, v66
	;; [unrolled: 1-line block ×3, first 2 shown]
	v_cmp_lt_u32_e32 vcc_lo, 11, v65
	s_or_b32 s5, vcc_lo, s5
	s_waitcnt vmcnt(1) lgkmcnt(0)
	v_mul_f32_e32 v73, v70, v71
	v_mul_f32_e32 v71, v69, v71
	s_waitcnt vmcnt(0)
	v_fma_f32 v69, v69, v72, -v73
	v_fmac_f32_e32 v71, v70, v72
	v_add_f32_e32 v68, v68, v69
	v_add_f32_e32 v62, v62, v71
	s_andn2_b32 exec_lo, exec_lo, s5
	s_cbranch_execnz .LBB29_65
; %bb.66:
	s_or_b32 exec_lo, exec_lo, s5
	v_mov_b32_e32 v65, 0
	ds_read_b64 v[65:66], v65 offset:104
	s_waitcnt lgkmcnt(0)
	v_mul_f32_e32 v67, v62, v66
	v_mul_f32_e32 v66, v68, v66
	v_fma_f32 v67, v68, v65, -v67
	v_fmac_f32_e32 v66, v62, v65
	buffer_store_dword v67, off, s[0:3], 0 offset:104
	buffer_store_dword v66, off, s[0:3], 0 offset:108
.LBB29_67:
	s_or_b32 exec_lo, exec_lo, s4
	s_waitcnt_vscnt null, 0x0
	s_barrier
	buffer_gl0_inv
	s_clause 0x1
	buffer_load_dword v65, off, s[0:3], 0 offset:112
	buffer_load_dword v66, off, s[0:3], 0 offset:116
	s_mov_b32 s4, exec_lo
	s_waitcnt vmcnt(0)
	ds_write_b64 v64, v[65:66]
	s_waitcnt lgkmcnt(0)
	s_barrier
	buffer_gl0_inv
	v_cmpx_gt_u32_e32 14, v0
	s_cbranch_execz .LBB29_71
; %bb.68:
	v_add_nc_u32_e32 v65, -1, v0
	v_add_nc_u32_e32 v66, 0xf0, v63
	v_mov_b32_e32 v67, v63
	v_mov_b32_e32 v62, 0
	;; [unrolled: 1-line block ×3, first 2 shown]
	s_mov_b32 s5, 0
	.p2align	6
.LBB29_69:                              ; =>This Inner Loop Header: Depth=1
	s_clause 0x1
	buffer_load_dword v71, v67, s[0:3], 0 offen offset:4
	buffer_load_dword v72, v67, s[0:3], 0 offen
	ds_read_b64 v[69:70], v66
	v_add_nc_u32_e32 v65, 1, v65
	v_add_nc_u32_e32 v66, 8, v66
	;; [unrolled: 1-line block ×3, first 2 shown]
	v_cmp_lt_u32_e32 vcc_lo, 12, v65
	s_or_b32 s5, vcc_lo, s5
	s_waitcnt vmcnt(1) lgkmcnt(0)
	v_mul_f32_e32 v73, v70, v71
	v_mul_f32_e32 v71, v69, v71
	s_waitcnt vmcnt(0)
	v_fma_f32 v69, v69, v72, -v73
	v_fmac_f32_e32 v71, v70, v72
	v_add_f32_e32 v68, v68, v69
	v_add_f32_e32 v62, v62, v71
	s_andn2_b32 exec_lo, exec_lo, s5
	s_cbranch_execnz .LBB29_69
; %bb.70:
	s_or_b32 exec_lo, exec_lo, s5
	v_mov_b32_e32 v65, 0
	ds_read_b64 v[65:66], v65 offset:112
	s_waitcnt lgkmcnt(0)
	v_mul_f32_e32 v67, v62, v66
	v_mul_f32_e32 v66, v68, v66
	v_fma_f32 v67, v68, v65, -v67
	v_fmac_f32_e32 v66, v62, v65
	buffer_store_dword v67, off, s[0:3], 0 offset:112
	buffer_store_dword v66, off, s[0:3], 0 offset:116
.LBB29_71:
	s_or_b32 exec_lo, exec_lo, s4
	s_waitcnt_vscnt null, 0x0
	s_barrier
	buffer_gl0_inv
	s_clause 0x1
	buffer_load_dword v65, off, s[0:3], 0 offset:120
	buffer_load_dword v66, off, s[0:3], 0 offset:124
	s_mov_b32 s4, exec_lo
	s_waitcnt vmcnt(0)
	ds_write_b64 v64, v[65:66]
	s_waitcnt lgkmcnt(0)
	s_barrier
	buffer_gl0_inv
	v_cmpx_gt_u32_e32 15, v0
	s_cbranch_execz .LBB29_75
; %bb.72:
	v_add_nc_u32_e32 v65, -1, v0
	v_add_nc_u32_e32 v66, 0xf0, v63
	v_mov_b32_e32 v67, v63
	v_mov_b32_e32 v62, 0
	;; [unrolled: 1-line block ×3, first 2 shown]
	s_mov_b32 s5, 0
	.p2align	6
.LBB29_73:                              ; =>This Inner Loop Header: Depth=1
	s_clause 0x1
	buffer_load_dword v71, v67, s[0:3], 0 offen offset:4
	buffer_load_dword v72, v67, s[0:3], 0 offen
	ds_read_b64 v[69:70], v66
	v_add_nc_u32_e32 v65, 1, v65
	v_add_nc_u32_e32 v66, 8, v66
	;; [unrolled: 1-line block ×3, first 2 shown]
	v_cmp_lt_u32_e32 vcc_lo, 13, v65
	s_or_b32 s5, vcc_lo, s5
	s_waitcnt vmcnt(1) lgkmcnt(0)
	v_mul_f32_e32 v73, v70, v71
	v_mul_f32_e32 v71, v69, v71
	s_waitcnt vmcnt(0)
	v_fma_f32 v69, v69, v72, -v73
	v_fmac_f32_e32 v71, v70, v72
	v_add_f32_e32 v68, v68, v69
	v_add_f32_e32 v62, v62, v71
	s_andn2_b32 exec_lo, exec_lo, s5
	s_cbranch_execnz .LBB29_73
; %bb.74:
	s_or_b32 exec_lo, exec_lo, s5
	v_mov_b32_e32 v65, 0
	ds_read_b64 v[65:66], v65 offset:120
	s_waitcnt lgkmcnt(0)
	v_mul_f32_e32 v67, v62, v66
	v_mul_f32_e32 v66, v68, v66
	v_fma_f32 v67, v68, v65, -v67
	v_fmac_f32_e32 v66, v62, v65
	buffer_store_dword v67, off, s[0:3], 0 offset:120
	buffer_store_dword v66, off, s[0:3], 0 offset:124
.LBB29_75:
	s_or_b32 exec_lo, exec_lo, s4
	s_waitcnt_vscnt null, 0x0
	s_barrier
	buffer_gl0_inv
	s_clause 0x1
	buffer_load_dword v65, off, s[0:3], 0 offset:128
	buffer_load_dword v66, off, s[0:3], 0 offset:132
	s_mov_b32 s4, exec_lo
	s_waitcnt vmcnt(0)
	ds_write_b64 v64, v[65:66]
	s_waitcnt lgkmcnt(0)
	s_barrier
	buffer_gl0_inv
	v_cmpx_gt_u32_e32 16, v0
	s_cbranch_execz .LBB29_79
; %bb.76:
	v_add_nc_u32_e32 v65, -1, v0
	v_add_nc_u32_e32 v66, 0xf0, v63
	v_mov_b32_e32 v67, v63
	v_mov_b32_e32 v62, 0
	;; [unrolled: 1-line block ×3, first 2 shown]
	s_mov_b32 s5, 0
	.p2align	6
.LBB29_77:                              ; =>This Inner Loop Header: Depth=1
	s_clause 0x1
	buffer_load_dword v71, v67, s[0:3], 0 offen offset:4
	buffer_load_dword v72, v67, s[0:3], 0 offen
	ds_read_b64 v[69:70], v66
	v_add_nc_u32_e32 v65, 1, v65
	v_add_nc_u32_e32 v66, 8, v66
	;; [unrolled: 1-line block ×3, first 2 shown]
	v_cmp_lt_u32_e32 vcc_lo, 14, v65
	s_or_b32 s5, vcc_lo, s5
	s_waitcnt vmcnt(1) lgkmcnt(0)
	v_mul_f32_e32 v73, v70, v71
	v_mul_f32_e32 v71, v69, v71
	s_waitcnt vmcnt(0)
	v_fma_f32 v69, v69, v72, -v73
	v_fmac_f32_e32 v71, v70, v72
	v_add_f32_e32 v68, v68, v69
	v_add_f32_e32 v62, v62, v71
	s_andn2_b32 exec_lo, exec_lo, s5
	s_cbranch_execnz .LBB29_77
; %bb.78:
	s_or_b32 exec_lo, exec_lo, s5
	v_mov_b32_e32 v65, 0
	ds_read_b64 v[65:66], v65 offset:128
	s_waitcnt lgkmcnt(0)
	v_mul_f32_e32 v67, v62, v66
	v_mul_f32_e32 v66, v68, v66
	v_fma_f32 v67, v68, v65, -v67
	v_fmac_f32_e32 v66, v62, v65
	buffer_store_dword v67, off, s[0:3], 0 offset:128
	buffer_store_dword v66, off, s[0:3], 0 offset:132
.LBB29_79:
	s_or_b32 exec_lo, exec_lo, s4
	s_waitcnt_vscnt null, 0x0
	s_barrier
	buffer_gl0_inv
	s_clause 0x1
	buffer_load_dword v65, off, s[0:3], 0 offset:136
	buffer_load_dword v66, off, s[0:3], 0 offset:140
	s_mov_b32 s4, exec_lo
	s_waitcnt vmcnt(0)
	ds_write_b64 v64, v[65:66]
	s_waitcnt lgkmcnt(0)
	s_barrier
	buffer_gl0_inv
	v_cmpx_gt_u32_e32 17, v0
	s_cbranch_execz .LBB29_83
; %bb.80:
	v_add_nc_u32_e32 v65, -1, v0
	v_add_nc_u32_e32 v66, 0xf0, v63
	v_mov_b32_e32 v67, v63
	v_mov_b32_e32 v62, 0
	;; [unrolled: 1-line block ×3, first 2 shown]
	s_mov_b32 s5, 0
	.p2align	6
.LBB29_81:                              ; =>This Inner Loop Header: Depth=1
	s_clause 0x1
	buffer_load_dword v71, v67, s[0:3], 0 offen offset:4
	buffer_load_dword v72, v67, s[0:3], 0 offen
	ds_read_b64 v[69:70], v66
	v_add_nc_u32_e32 v65, 1, v65
	v_add_nc_u32_e32 v66, 8, v66
	;; [unrolled: 1-line block ×3, first 2 shown]
	v_cmp_lt_u32_e32 vcc_lo, 15, v65
	s_or_b32 s5, vcc_lo, s5
	s_waitcnt vmcnt(1) lgkmcnt(0)
	v_mul_f32_e32 v73, v70, v71
	v_mul_f32_e32 v71, v69, v71
	s_waitcnt vmcnt(0)
	v_fma_f32 v69, v69, v72, -v73
	v_fmac_f32_e32 v71, v70, v72
	v_add_f32_e32 v68, v68, v69
	v_add_f32_e32 v62, v62, v71
	s_andn2_b32 exec_lo, exec_lo, s5
	s_cbranch_execnz .LBB29_81
; %bb.82:
	s_or_b32 exec_lo, exec_lo, s5
	v_mov_b32_e32 v65, 0
	ds_read_b64 v[65:66], v65 offset:136
	s_waitcnt lgkmcnt(0)
	v_mul_f32_e32 v67, v62, v66
	v_mul_f32_e32 v66, v68, v66
	v_fma_f32 v67, v68, v65, -v67
	v_fmac_f32_e32 v66, v62, v65
	buffer_store_dword v67, off, s[0:3], 0 offset:136
	buffer_store_dword v66, off, s[0:3], 0 offset:140
.LBB29_83:
	s_or_b32 exec_lo, exec_lo, s4
	s_waitcnt_vscnt null, 0x0
	s_barrier
	buffer_gl0_inv
	s_clause 0x1
	buffer_load_dword v65, off, s[0:3], 0 offset:144
	buffer_load_dword v66, off, s[0:3], 0 offset:148
	s_mov_b32 s4, exec_lo
	s_waitcnt vmcnt(0)
	ds_write_b64 v64, v[65:66]
	s_waitcnt lgkmcnt(0)
	s_barrier
	buffer_gl0_inv
	v_cmpx_gt_u32_e32 18, v0
	s_cbranch_execz .LBB29_87
; %bb.84:
	v_add_nc_u32_e32 v65, -1, v0
	v_add_nc_u32_e32 v66, 0xf0, v63
	v_mov_b32_e32 v67, v63
	v_mov_b32_e32 v62, 0
	v_mov_b32_e32 v68, 0
	s_mov_b32 s5, 0
	.p2align	6
.LBB29_85:                              ; =>This Inner Loop Header: Depth=1
	s_clause 0x1
	buffer_load_dword v71, v67, s[0:3], 0 offen offset:4
	buffer_load_dword v72, v67, s[0:3], 0 offen
	ds_read_b64 v[69:70], v66
	v_add_nc_u32_e32 v65, 1, v65
	v_add_nc_u32_e32 v66, 8, v66
	;; [unrolled: 1-line block ×3, first 2 shown]
	v_cmp_lt_u32_e32 vcc_lo, 16, v65
	s_or_b32 s5, vcc_lo, s5
	s_waitcnt vmcnt(1) lgkmcnt(0)
	v_mul_f32_e32 v73, v70, v71
	v_mul_f32_e32 v71, v69, v71
	s_waitcnt vmcnt(0)
	v_fma_f32 v69, v69, v72, -v73
	v_fmac_f32_e32 v71, v70, v72
	v_add_f32_e32 v68, v68, v69
	v_add_f32_e32 v62, v62, v71
	s_andn2_b32 exec_lo, exec_lo, s5
	s_cbranch_execnz .LBB29_85
; %bb.86:
	s_or_b32 exec_lo, exec_lo, s5
	v_mov_b32_e32 v65, 0
	ds_read_b64 v[65:66], v65 offset:144
	s_waitcnt lgkmcnt(0)
	v_mul_f32_e32 v67, v62, v66
	v_mul_f32_e32 v66, v68, v66
	v_fma_f32 v67, v68, v65, -v67
	v_fmac_f32_e32 v66, v62, v65
	buffer_store_dword v67, off, s[0:3], 0 offset:144
	buffer_store_dword v66, off, s[0:3], 0 offset:148
.LBB29_87:
	s_or_b32 exec_lo, exec_lo, s4
	s_waitcnt_vscnt null, 0x0
	s_barrier
	buffer_gl0_inv
	s_clause 0x1
	buffer_load_dword v65, off, s[0:3], 0 offset:152
	buffer_load_dword v66, off, s[0:3], 0 offset:156
	s_mov_b32 s4, exec_lo
	s_waitcnt vmcnt(0)
	ds_write_b64 v64, v[65:66]
	s_waitcnt lgkmcnt(0)
	s_barrier
	buffer_gl0_inv
	v_cmpx_gt_u32_e32 19, v0
	s_cbranch_execz .LBB29_91
; %bb.88:
	v_add_nc_u32_e32 v65, -1, v0
	v_add_nc_u32_e32 v66, 0xf0, v63
	v_mov_b32_e32 v67, v63
	v_mov_b32_e32 v62, 0
	;; [unrolled: 1-line block ×3, first 2 shown]
	s_mov_b32 s5, 0
	.p2align	6
.LBB29_89:                              ; =>This Inner Loop Header: Depth=1
	s_clause 0x1
	buffer_load_dword v71, v67, s[0:3], 0 offen offset:4
	buffer_load_dword v72, v67, s[0:3], 0 offen
	ds_read_b64 v[69:70], v66
	v_add_nc_u32_e32 v65, 1, v65
	v_add_nc_u32_e32 v66, 8, v66
	;; [unrolled: 1-line block ×3, first 2 shown]
	v_cmp_lt_u32_e32 vcc_lo, 17, v65
	s_or_b32 s5, vcc_lo, s5
	s_waitcnt vmcnt(1) lgkmcnt(0)
	v_mul_f32_e32 v73, v70, v71
	v_mul_f32_e32 v71, v69, v71
	s_waitcnt vmcnt(0)
	v_fma_f32 v69, v69, v72, -v73
	v_fmac_f32_e32 v71, v70, v72
	v_add_f32_e32 v68, v68, v69
	v_add_f32_e32 v62, v62, v71
	s_andn2_b32 exec_lo, exec_lo, s5
	s_cbranch_execnz .LBB29_89
; %bb.90:
	s_or_b32 exec_lo, exec_lo, s5
	v_mov_b32_e32 v65, 0
	ds_read_b64 v[65:66], v65 offset:152
	s_waitcnt lgkmcnt(0)
	v_mul_f32_e32 v67, v62, v66
	v_mul_f32_e32 v66, v68, v66
	v_fma_f32 v67, v68, v65, -v67
	v_fmac_f32_e32 v66, v62, v65
	buffer_store_dword v67, off, s[0:3], 0 offset:152
	buffer_store_dword v66, off, s[0:3], 0 offset:156
.LBB29_91:
	s_or_b32 exec_lo, exec_lo, s4
	s_waitcnt_vscnt null, 0x0
	s_barrier
	buffer_gl0_inv
	s_clause 0x1
	buffer_load_dword v65, off, s[0:3], 0 offset:160
	buffer_load_dword v66, off, s[0:3], 0 offset:164
	s_mov_b32 s4, exec_lo
	s_waitcnt vmcnt(0)
	ds_write_b64 v64, v[65:66]
	s_waitcnt lgkmcnt(0)
	s_barrier
	buffer_gl0_inv
	v_cmpx_gt_u32_e32 20, v0
	s_cbranch_execz .LBB29_95
; %bb.92:
	v_add_nc_u32_e32 v65, -1, v0
	v_add_nc_u32_e32 v66, 0xf0, v63
	v_mov_b32_e32 v67, v63
	v_mov_b32_e32 v62, 0
	v_mov_b32_e32 v68, 0
	s_mov_b32 s5, 0
	.p2align	6
.LBB29_93:                              ; =>This Inner Loop Header: Depth=1
	s_clause 0x1
	buffer_load_dword v71, v67, s[0:3], 0 offen offset:4
	buffer_load_dword v72, v67, s[0:3], 0 offen
	ds_read_b64 v[69:70], v66
	v_add_nc_u32_e32 v65, 1, v65
	v_add_nc_u32_e32 v66, 8, v66
	;; [unrolled: 1-line block ×3, first 2 shown]
	v_cmp_lt_u32_e32 vcc_lo, 18, v65
	s_or_b32 s5, vcc_lo, s5
	s_waitcnt vmcnt(1) lgkmcnt(0)
	v_mul_f32_e32 v73, v70, v71
	v_mul_f32_e32 v71, v69, v71
	s_waitcnt vmcnt(0)
	v_fma_f32 v69, v69, v72, -v73
	v_fmac_f32_e32 v71, v70, v72
	v_add_f32_e32 v68, v68, v69
	v_add_f32_e32 v62, v62, v71
	s_andn2_b32 exec_lo, exec_lo, s5
	s_cbranch_execnz .LBB29_93
; %bb.94:
	s_or_b32 exec_lo, exec_lo, s5
	v_mov_b32_e32 v65, 0
	ds_read_b64 v[65:66], v65 offset:160
	s_waitcnt lgkmcnt(0)
	v_mul_f32_e32 v67, v62, v66
	v_mul_f32_e32 v66, v68, v66
	v_fma_f32 v67, v68, v65, -v67
	v_fmac_f32_e32 v66, v62, v65
	buffer_store_dword v67, off, s[0:3], 0 offset:160
	buffer_store_dword v66, off, s[0:3], 0 offset:164
.LBB29_95:
	s_or_b32 exec_lo, exec_lo, s4
	s_waitcnt_vscnt null, 0x0
	s_barrier
	buffer_gl0_inv
	s_clause 0x1
	buffer_load_dword v65, off, s[0:3], 0 offset:168
	buffer_load_dword v66, off, s[0:3], 0 offset:172
	s_mov_b32 s4, exec_lo
	s_waitcnt vmcnt(0)
	ds_write_b64 v64, v[65:66]
	s_waitcnt lgkmcnt(0)
	s_barrier
	buffer_gl0_inv
	v_cmpx_gt_u32_e32 21, v0
	s_cbranch_execz .LBB29_99
; %bb.96:
	v_add_nc_u32_e32 v65, -1, v0
	v_add_nc_u32_e32 v66, 0xf0, v63
	v_mov_b32_e32 v67, v63
	v_mov_b32_e32 v62, 0
	;; [unrolled: 1-line block ×3, first 2 shown]
	s_mov_b32 s5, 0
	.p2align	6
.LBB29_97:                              ; =>This Inner Loop Header: Depth=1
	s_clause 0x1
	buffer_load_dword v71, v67, s[0:3], 0 offen offset:4
	buffer_load_dword v72, v67, s[0:3], 0 offen
	ds_read_b64 v[69:70], v66
	v_add_nc_u32_e32 v65, 1, v65
	v_add_nc_u32_e32 v66, 8, v66
	;; [unrolled: 1-line block ×3, first 2 shown]
	v_cmp_lt_u32_e32 vcc_lo, 19, v65
	s_or_b32 s5, vcc_lo, s5
	s_waitcnt vmcnt(1) lgkmcnt(0)
	v_mul_f32_e32 v73, v70, v71
	v_mul_f32_e32 v71, v69, v71
	s_waitcnt vmcnt(0)
	v_fma_f32 v69, v69, v72, -v73
	v_fmac_f32_e32 v71, v70, v72
	v_add_f32_e32 v68, v68, v69
	v_add_f32_e32 v62, v62, v71
	s_andn2_b32 exec_lo, exec_lo, s5
	s_cbranch_execnz .LBB29_97
; %bb.98:
	s_or_b32 exec_lo, exec_lo, s5
	v_mov_b32_e32 v65, 0
	ds_read_b64 v[65:66], v65 offset:168
	s_waitcnt lgkmcnt(0)
	v_mul_f32_e32 v67, v62, v66
	v_mul_f32_e32 v66, v68, v66
	v_fma_f32 v67, v68, v65, -v67
	v_fmac_f32_e32 v66, v62, v65
	buffer_store_dword v67, off, s[0:3], 0 offset:168
	buffer_store_dword v66, off, s[0:3], 0 offset:172
.LBB29_99:
	s_or_b32 exec_lo, exec_lo, s4
	s_waitcnt_vscnt null, 0x0
	s_barrier
	buffer_gl0_inv
	s_clause 0x1
	buffer_load_dword v65, off, s[0:3], 0 offset:176
	buffer_load_dword v66, off, s[0:3], 0 offset:180
	s_mov_b32 s4, exec_lo
	s_waitcnt vmcnt(0)
	ds_write_b64 v64, v[65:66]
	s_waitcnt lgkmcnt(0)
	s_barrier
	buffer_gl0_inv
	v_cmpx_gt_u32_e32 22, v0
	s_cbranch_execz .LBB29_103
; %bb.100:
	v_add_nc_u32_e32 v65, -1, v0
	v_add_nc_u32_e32 v66, 0xf0, v63
	v_mov_b32_e32 v67, v63
	v_mov_b32_e32 v62, 0
	;; [unrolled: 1-line block ×3, first 2 shown]
	s_mov_b32 s5, 0
	.p2align	6
.LBB29_101:                             ; =>This Inner Loop Header: Depth=1
	s_clause 0x1
	buffer_load_dword v71, v67, s[0:3], 0 offen offset:4
	buffer_load_dword v72, v67, s[0:3], 0 offen
	ds_read_b64 v[69:70], v66
	v_add_nc_u32_e32 v65, 1, v65
	v_add_nc_u32_e32 v66, 8, v66
	;; [unrolled: 1-line block ×3, first 2 shown]
	v_cmp_lt_u32_e32 vcc_lo, 20, v65
	s_or_b32 s5, vcc_lo, s5
	s_waitcnt vmcnt(1) lgkmcnt(0)
	v_mul_f32_e32 v73, v70, v71
	v_mul_f32_e32 v71, v69, v71
	s_waitcnt vmcnt(0)
	v_fma_f32 v69, v69, v72, -v73
	v_fmac_f32_e32 v71, v70, v72
	v_add_f32_e32 v68, v68, v69
	v_add_f32_e32 v62, v62, v71
	s_andn2_b32 exec_lo, exec_lo, s5
	s_cbranch_execnz .LBB29_101
; %bb.102:
	s_or_b32 exec_lo, exec_lo, s5
	v_mov_b32_e32 v65, 0
	ds_read_b64 v[65:66], v65 offset:176
	s_waitcnt lgkmcnt(0)
	v_mul_f32_e32 v67, v62, v66
	v_mul_f32_e32 v66, v68, v66
	v_fma_f32 v67, v68, v65, -v67
	v_fmac_f32_e32 v66, v62, v65
	buffer_store_dword v67, off, s[0:3], 0 offset:176
	buffer_store_dword v66, off, s[0:3], 0 offset:180
.LBB29_103:
	s_or_b32 exec_lo, exec_lo, s4
	s_waitcnt_vscnt null, 0x0
	s_barrier
	buffer_gl0_inv
	s_clause 0x1
	buffer_load_dword v65, off, s[0:3], 0 offset:184
	buffer_load_dword v66, off, s[0:3], 0 offset:188
	s_mov_b32 s4, exec_lo
	s_waitcnt vmcnt(0)
	ds_write_b64 v64, v[65:66]
	s_waitcnt lgkmcnt(0)
	s_barrier
	buffer_gl0_inv
	v_cmpx_gt_u32_e32 23, v0
	s_cbranch_execz .LBB29_107
; %bb.104:
	v_add_nc_u32_e32 v65, -1, v0
	v_add_nc_u32_e32 v66, 0xf0, v63
	v_mov_b32_e32 v67, v63
	v_mov_b32_e32 v62, 0
	;; [unrolled: 1-line block ×3, first 2 shown]
	s_mov_b32 s5, 0
	.p2align	6
.LBB29_105:                             ; =>This Inner Loop Header: Depth=1
	s_clause 0x1
	buffer_load_dword v71, v67, s[0:3], 0 offen offset:4
	buffer_load_dword v72, v67, s[0:3], 0 offen
	ds_read_b64 v[69:70], v66
	v_add_nc_u32_e32 v65, 1, v65
	v_add_nc_u32_e32 v66, 8, v66
	;; [unrolled: 1-line block ×3, first 2 shown]
	v_cmp_lt_u32_e32 vcc_lo, 21, v65
	s_or_b32 s5, vcc_lo, s5
	s_waitcnt vmcnt(1) lgkmcnt(0)
	v_mul_f32_e32 v73, v70, v71
	v_mul_f32_e32 v71, v69, v71
	s_waitcnt vmcnt(0)
	v_fma_f32 v69, v69, v72, -v73
	v_fmac_f32_e32 v71, v70, v72
	v_add_f32_e32 v68, v68, v69
	v_add_f32_e32 v62, v62, v71
	s_andn2_b32 exec_lo, exec_lo, s5
	s_cbranch_execnz .LBB29_105
; %bb.106:
	s_or_b32 exec_lo, exec_lo, s5
	v_mov_b32_e32 v65, 0
	ds_read_b64 v[65:66], v65 offset:184
	s_waitcnt lgkmcnt(0)
	v_mul_f32_e32 v67, v62, v66
	v_mul_f32_e32 v66, v68, v66
	v_fma_f32 v67, v68, v65, -v67
	v_fmac_f32_e32 v66, v62, v65
	buffer_store_dword v67, off, s[0:3], 0 offset:184
	buffer_store_dword v66, off, s[0:3], 0 offset:188
.LBB29_107:
	s_or_b32 exec_lo, exec_lo, s4
	s_waitcnt_vscnt null, 0x0
	s_barrier
	buffer_gl0_inv
	s_clause 0x1
	buffer_load_dword v65, off, s[0:3], 0 offset:192
	buffer_load_dword v66, off, s[0:3], 0 offset:196
	s_mov_b32 s4, exec_lo
	s_waitcnt vmcnt(0)
	ds_write_b64 v64, v[65:66]
	s_waitcnt lgkmcnt(0)
	s_barrier
	buffer_gl0_inv
	v_cmpx_gt_u32_e32 24, v0
	s_cbranch_execz .LBB29_111
; %bb.108:
	v_add_nc_u32_e32 v65, -1, v0
	v_add_nc_u32_e32 v66, 0xf0, v63
	v_mov_b32_e32 v67, v63
	v_mov_b32_e32 v62, 0
	;; [unrolled: 1-line block ×3, first 2 shown]
	s_mov_b32 s5, 0
	.p2align	6
.LBB29_109:                             ; =>This Inner Loop Header: Depth=1
	s_clause 0x1
	buffer_load_dword v71, v67, s[0:3], 0 offen offset:4
	buffer_load_dword v72, v67, s[0:3], 0 offen
	ds_read_b64 v[69:70], v66
	v_add_nc_u32_e32 v65, 1, v65
	v_add_nc_u32_e32 v66, 8, v66
	;; [unrolled: 1-line block ×3, first 2 shown]
	v_cmp_lt_u32_e32 vcc_lo, 22, v65
	s_or_b32 s5, vcc_lo, s5
	s_waitcnt vmcnt(1) lgkmcnt(0)
	v_mul_f32_e32 v73, v70, v71
	v_mul_f32_e32 v71, v69, v71
	s_waitcnt vmcnt(0)
	v_fma_f32 v69, v69, v72, -v73
	v_fmac_f32_e32 v71, v70, v72
	v_add_f32_e32 v68, v68, v69
	v_add_f32_e32 v62, v62, v71
	s_andn2_b32 exec_lo, exec_lo, s5
	s_cbranch_execnz .LBB29_109
; %bb.110:
	s_or_b32 exec_lo, exec_lo, s5
	v_mov_b32_e32 v65, 0
	ds_read_b64 v[65:66], v65 offset:192
	s_waitcnt lgkmcnt(0)
	v_mul_f32_e32 v67, v62, v66
	v_mul_f32_e32 v66, v68, v66
	v_fma_f32 v67, v68, v65, -v67
	v_fmac_f32_e32 v66, v62, v65
	buffer_store_dword v67, off, s[0:3], 0 offset:192
	buffer_store_dword v66, off, s[0:3], 0 offset:196
.LBB29_111:
	s_or_b32 exec_lo, exec_lo, s4
	s_waitcnt_vscnt null, 0x0
	s_barrier
	buffer_gl0_inv
	s_clause 0x1
	buffer_load_dword v65, off, s[0:3], 0 offset:200
	buffer_load_dword v66, off, s[0:3], 0 offset:204
	s_mov_b32 s4, exec_lo
	s_waitcnt vmcnt(0)
	ds_write_b64 v64, v[65:66]
	s_waitcnt lgkmcnt(0)
	s_barrier
	buffer_gl0_inv
	v_cmpx_gt_u32_e32 25, v0
	s_cbranch_execz .LBB29_115
; %bb.112:
	v_add_nc_u32_e32 v65, -1, v0
	v_add_nc_u32_e32 v66, 0xf0, v63
	v_mov_b32_e32 v67, v63
	v_mov_b32_e32 v62, 0
	;; [unrolled: 1-line block ×3, first 2 shown]
	s_mov_b32 s5, 0
	.p2align	6
.LBB29_113:                             ; =>This Inner Loop Header: Depth=1
	s_clause 0x1
	buffer_load_dword v71, v67, s[0:3], 0 offen offset:4
	buffer_load_dword v72, v67, s[0:3], 0 offen
	ds_read_b64 v[69:70], v66
	v_add_nc_u32_e32 v65, 1, v65
	v_add_nc_u32_e32 v66, 8, v66
	v_add_nc_u32_e32 v67, 8, v67
	v_cmp_lt_u32_e32 vcc_lo, 23, v65
	s_or_b32 s5, vcc_lo, s5
	s_waitcnt vmcnt(1) lgkmcnt(0)
	v_mul_f32_e32 v73, v70, v71
	v_mul_f32_e32 v71, v69, v71
	s_waitcnt vmcnt(0)
	v_fma_f32 v69, v69, v72, -v73
	v_fmac_f32_e32 v71, v70, v72
	v_add_f32_e32 v68, v68, v69
	v_add_f32_e32 v62, v62, v71
	s_andn2_b32 exec_lo, exec_lo, s5
	s_cbranch_execnz .LBB29_113
; %bb.114:
	s_or_b32 exec_lo, exec_lo, s5
	v_mov_b32_e32 v65, 0
	ds_read_b64 v[65:66], v65 offset:200
	s_waitcnt lgkmcnt(0)
	v_mul_f32_e32 v67, v62, v66
	v_mul_f32_e32 v66, v68, v66
	v_fma_f32 v67, v68, v65, -v67
	v_fmac_f32_e32 v66, v62, v65
	buffer_store_dword v67, off, s[0:3], 0 offset:200
	buffer_store_dword v66, off, s[0:3], 0 offset:204
.LBB29_115:
	s_or_b32 exec_lo, exec_lo, s4
	s_waitcnt_vscnt null, 0x0
	s_barrier
	buffer_gl0_inv
	s_clause 0x1
	buffer_load_dword v65, off, s[0:3], 0 offset:208
	buffer_load_dword v66, off, s[0:3], 0 offset:212
	s_mov_b32 s4, exec_lo
	s_waitcnt vmcnt(0)
	ds_write_b64 v64, v[65:66]
	s_waitcnt lgkmcnt(0)
	s_barrier
	buffer_gl0_inv
	v_cmpx_gt_u32_e32 26, v0
	s_cbranch_execz .LBB29_119
; %bb.116:
	v_add_nc_u32_e32 v65, -1, v0
	v_add_nc_u32_e32 v66, 0xf0, v63
	v_mov_b32_e32 v67, v63
	v_mov_b32_e32 v62, 0
	;; [unrolled: 1-line block ×3, first 2 shown]
	s_mov_b32 s5, 0
	.p2align	6
.LBB29_117:                             ; =>This Inner Loop Header: Depth=1
	s_clause 0x1
	buffer_load_dword v71, v67, s[0:3], 0 offen offset:4
	buffer_load_dword v72, v67, s[0:3], 0 offen
	ds_read_b64 v[69:70], v66
	v_add_nc_u32_e32 v65, 1, v65
	v_add_nc_u32_e32 v66, 8, v66
	;; [unrolled: 1-line block ×3, first 2 shown]
	v_cmp_lt_u32_e32 vcc_lo, 24, v65
	s_or_b32 s5, vcc_lo, s5
	s_waitcnt vmcnt(1) lgkmcnt(0)
	v_mul_f32_e32 v73, v70, v71
	v_mul_f32_e32 v71, v69, v71
	s_waitcnt vmcnt(0)
	v_fma_f32 v69, v69, v72, -v73
	v_fmac_f32_e32 v71, v70, v72
	v_add_f32_e32 v68, v68, v69
	v_add_f32_e32 v62, v62, v71
	s_andn2_b32 exec_lo, exec_lo, s5
	s_cbranch_execnz .LBB29_117
; %bb.118:
	s_or_b32 exec_lo, exec_lo, s5
	v_mov_b32_e32 v65, 0
	ds_read_b64 v[65:66], v65 offset:208
	s_waitcnt lgkmcnt(0)
	v_mul_f32_e32 v67, v62, v66
	v_mul_f32_e32 v66, v68, v66
	v_fma_f32 v67, v68, v65, -v67
	v_fmac_f32_e32 v66, v62, v65
	buffer_store_dword v67, off, s[0:3], 0 offset:208
	buffer_store_dword v66, off, s[0:3], 0 offset:212
.LBB29_119:
	s_or_b32 exec_lo, exec_lo, s4
	s_waitcnt_vscnt null, 0x0
	s_barrier
	buffer_gl0_inv
	s_clause 0x1
	buffer_load_dword v65, off, s[0:3], 0 offset:216
	buffer_load_dword v66, off, s[0:3], 0 offset:220
	s_mov_b32 s4, exec_lo
	s_waitcnt vmcnt(0)
	ds_write_b64 v64, v[65:66]
	s_waitcnt lgkmcnt(0)
	s_barrier
	buffer_gl0_inv
	v_cmpx_gt_u32_e32 27, v0
	s_cbranch_execz .LBB29_123
; %bb.120:
	v_add_nc_u32_e32 v65, -1, v0
	v_add_nc_u32_e32 v66, 0xf0, v63
	v_mov_b32_e32 v67, v63
	v_mov_b32_e32 v62, 0
	v_mov_b32_e32 v68, 0
	s_mov_b32 s5, 0
	.p2align	6
.LBB29_121:                             ; =>This Inner Loop Header: Depth=1
	s_clause 0x1
	buffer_load_dword v71, v67, s[0:3], 0 offen offset:4
	buffer_load_dword v72, v67, s[0:3], 0 offen
	ds_read_b64 v[69:70], v66
	v_add_nc_u32_e32 v65, 1, v65
	v_add_nc_u32_e32 v66, 8, v66
	;; [unrolled: 1-line block ×3, first 2 shown]
	v_cmp_lt_u32_e32 vcc_lo, 25, v65
	s_or_b32 s5, vcc_lo, s5
	s_waitcnt vmcnt(1) lgkmcnt(0)
	v_mul_f32_e32 v73, v70, v71
	v_mul_f32_e32 v71, v69, v71
	s_waitcnt vmcnt(0)
	v_fma_f32 v69, v69, v72, -v73
	v_fmac_f32_e32 v71, v70, v72
	v_add_f32_e32 v68, v68, v69
	v_add_f32_e32 v62, v62, v71
	s_andn2_b32 exec_lo, exec_lo, s5
	s_cbranch_execnz .LBB29_121
; %bb.122:
	s_or_b32 exec_lo, exec_lo, s5
	v_mov_b32_e32 v65, 0
	ds_read_b64 v[65:66], v65 offset:216
	s_waitcnt lgkmcnt(0)
	v_mul_f32_e32 v67, v62, v66
	v_mul_f32_e32 v66, v68, v66
	v_fma_f32 v67, v68, v65, -v67
	v_fmac_f32_e32 v66, v62, v65
	buffer_store_dword v67, off, s[0:3], 0 offset:216
	buffer_store_dword v66, off, s[0:3], 0 offset:220
.LBB29_123:
	s_or_b32 exec_lo, exec_lo, s4
	s_waitcnt_vscnt null, 0x0
	s_barrier
	buffer_gl0_inv
	s_clause 0x1
	buffer_load_dword v65, off, s[0:3], 0 offset:224
	buffer_load_dword v66, off, s[0:3], 0 offset:228
	s_mov_b32 s4, exec_lo
	s_waitcnt vmcnt(0)
	ds_write_b64 v64, v[65:66]
	s_waitcnt lgkmcnt(0)
	s_barrier
	buffer_gl0_inv
	v_cmpx_gt_u32_e32 28, v0
	s_cbranch_execz .LBB29_127
; %bb.124:
	v_add_nc_u32_e32 v65, -1, v0
	v_add_nc_u32_e32 v66, 0xf0, v63
	v_mov_b32_e32 v67, v63
	v_mov_b32_e32 v62, 0
	;; [unrolled: 1-line block ×3, first 2 shown]
	s_mov_b32 s5, 0
	.p2align	6
.LBB29_125:                             ; =>This Inner Loop Header: Depth=1
	s_clause 0x1
	buffer_load_dword v71, v67, s[0:3], 0 offen offset:4
	buffer_load_dword v72, v67, s[0:3], 0 offen
	ds_read_b64 v[69:70], v66
	v_add_nc_u32_e32 v65, 1, v65
	v_add_nc_u32_e32 v66, 8, v66
	;; [unrolled: 1-line block ×3, first 2 shown]
	v_cmp_lt_u32_e32 vcc_lo, 26, v65
	s_or_b32 s5, vcc_lo, s5
	s_waitcnt vmcnt(1) lgkmcnt(0)
	v_mul_f32_e32 v73, v70, v71
	v_mul_f32_e32 v71, v69, v71
	s_waitcnt vmcnt(0)
	v_fma_f32 v69, v69, v72, -v73
	v_fmac_f32_e32 v71, v70, v72
	v_add_f32_e32 v68, v68, v69
	v_add_f32_e32 v62, v62, v71
	s_andn2_b32 exec_lo, exec_lo, s5
	s_cbranch_execnz .LBB29_125
; %bb.126:
	s_or_b32 exec_lo, exec_lo, s5
	v_mov_b32_e32 v65, 0
	ds_read_b64 v[65:66], v65 offset:224
	s_waitcnt lgkmcnt(0)
	v_mul_f32_e32 v67, v62, v66
	v_mul_f32_e32 v66, v68, v66
	v_fma_f32 v67, v68, v65, -v67
	v_fmac_f32_e32 v66, v62, v65
	buffer_store_dword v67, off, s[0:3], 0 offset:224
	buffer_store_dword v66, off, s[0:3], 0 offset:228
.LBB29_127:
	s_or_b32 exec_lo, exec_lo, s4
	s_waitcnt_vscnt null, 0x0
	s_barrier
	buffer_gl0_inv
	s_clause 0x1
	buffer_load_dword v65, off, s[0:3], 0 offset:232
	buffer_load_dword v66, off, s[0:3], 0 offset:236
	s_mov_b32 s4, exec_lo
	s_waitcnt vmcnt(0)
	ds_write_b64 v64, v[65:66]
	s_waitcnt lgkmcnt(0)
	s_barrier
	buffer_gl0_inv
	v_cmpx_ne_u32_e32 29, v0
	s_cbranch_execz .LBB29_131
; %bb.128:
	v_mov_b32_e32 v62, 0
	v_mov_b32_e32 v65, 0
	s_mov_b32 s5, 0
	.p2align	6
.LBB29_129:                             ; =>This Inner Loop Header: Depth=1
	s_clause 0x1
	buffer_load_dword v68, v63, s[0:3], 0 offen offset:4
	buffer_load_dword v69, v63, s[0:3], 0 offen
	ds_read_b64 v[66:67], v64
	v_add_nc_u32_e32 v61, 1, v61
	v_add_nc_u32_e32 v64, 8, v64
	;; [unrolled: 1-line block ×3, first 2 shown]
	v_cmp_lt_u32_e32 vcc_lo, 27, v61
	s_or_b32 s5, vcc_lo, s5
	s_waitcnt vmcnt(1) lgkmcnt(0)
	v_mul_f32_e32 v70, v67, v68
	v_mul_f32_e32 v68, v66, v68
	s_waitcnt vmcnt(0)
	v_fma_f32 v66, v66, v69, -v70
	v_fmac_f32_e32 v68, v67, v69
	v_add_f32_e32 v65, v65, v66
	v_add_f32_e32 v62, v62, v68
	s_andn2_b32 exec_lo, exec_lo, s5
	s_cbranch_execnz .LBB29_129
; %bb.130:
	s_or_b32 exec_lo, exec_lo, s5
	v_mov_b32_e32 v61, 0
	ds_read_b64 v[63:64], v61 offset:232
	s_waitcnt lgkmcnt(0)
	v_mul_f32_e32 v61, v62, v64
	v_mul_f32_e32 v64, v65, v64
	v_fma_f32 v61, v65, v63, -v61
	v_fmac_f32_e32 v64, v62, v63
	buffer_store_dword v61, off, s[0:3], 0 offset:232
	buffer_store_dword v64, off, s[0:3], 0 offset:236
.LBB29_131:
	s_or_b32 exec_lo, exec_lo, s4
	s_mov_b32 s5, -1
	s_waitcnt_vscnt null, 0x0
	s_barrier
	buffer_gl0_inv
.LBB29_132:
	s_and_b32 vcc_lo, exec_lo, s5
	s_cbranch_vccz .LBB29_134
; %bb.133:
	s_lshl_b64 s[4:5], s[6:7], 2
	v_mov_b32_e32 v61, 0
	s_add_u32 s4, s10, s4
	s_addc_u32 s5, s11, s5
	global_load_dword v61, v61, s[4:5]
	s_waitcnt vmcnt(0)
	v_cmp_ne_u32_e32 vcc_lo, 0, v61
	s_cbranch_vccz .LBB29_135
.LBB29_134:
	s_endpgm
.LBB29_135:
	v_lshl_add_u32 v61, v0, 3, 0xf0
	s_mov_b32 s4, exec_lo
	v_cmpx_eq_u32_e32 29, v0
	s_cbranch_execz .LBB29_137
; %bb.136:
	s_clause 0x1
	buffer_load_dword v62, off, s[0:3], 0 offset:224
	buffer_load_dword v63, off, s[0:3], 0 offset:228
	v_mov_b32_e32 v64, 0
	buffer_store_dword v64, off, s[0:3], 0 offset:224
	buffer_store_dword v64, off, s[0:3], 0 offset:228
	s_waitcnt vmcnt(0)
	ds_write_b64 v61, v[62:63]
.LBB29_137:
	s_or_b32 exec_lo, exec_lo, s4
	s_waitcnt lgkmcnt(0)
	s_waitcnt_vscnt null, 0x0
	s_barrier
	buffer_gl0_inv
	s_clause 0x3
	buffer_load_dword v65, off, s[0:3], 0 offset:236
	buffer_load_dword v66, off, s[0:3], 0 offset:232
	;; [unrolled: 1-line block ×4, first 2 shown]
	v_mov_b32_e32 v62, 0
	s_mov_b32 s4, exec_lo
	ds_read_b64 v[63:64], v62 offset:472
	s_waitcnt vmcnt(3) lgkmcnt(0)
	v_mul_f32_e32 v69, v64, v65
	v_mul_f32_e32 v65, v63, v65
	s_waitcnt vmcnt(2)
	v_fma_f32 v63, v63, v66, -v69
	v_fmac_f32_e32 v65, v64, v66
	v_add_f32_e32 v63, 0, v63
	v_add_f32_e32 v64, 0, v65
	s_waitcnt vmcnt(1)
	v_sub_f32_e32 v63, v67, v63
	s_waitcnt vmcnt(0)
	v_sub_f32_e32 v64, v68, v64
	buffer_store_dword v63, off, s[0:3], 0 offset:224
	buffer_store_dword v64, off, s[0:3], 0 offset:228
	v_cmpx_lt_u32_e32 27, v0
	s_cbranch_execz .LBB29_139
; %bb.138:
	s_clause 0x1
	buffer_load_dword v63, off, s[0:3], 0 offset:216
	buffer_load_dword v64, off, s[0:3], 0 offset:220
	buffer_store_dword v62, off, s[0:3], 0 offset:216
	buffer_store_dword v62, off, s[0:3], 0 offset:220
	s_waitcnt vmcnt(0)
	ds_write_b64 v61, v[63:64]
.LBB29_139:
	s_or_b32 exec_lo, exec_lo, s4
	s_waitcnt lgkmcnt(0)
	s_waitcnt_vscnt null, 0x0
	s_barrier
	buffer_gl0_inv
	s_clause 0x5
	buffer_load_dword v66, off, s[0:3], 0 offset:228
	buffer_load_dword v67, off, s[0:3], 0 offset:236
	buffer_load_dword v68, off, s[0:3], 0 offset:224
	buffer_load_dword v69, off, s[0:3], 0 offset:232
	buffer_load_dword v70, off, s[0:3], 0 offset:216
	buffer_load_dword v71, off, s[0:3], 0 offset:220
	ds_read_b128 v[62:65], v62 offset:464
	s_mov_b32 s4, exec_lo
	s_waitcnt vmcnt(5) lgkmcnt(0)
	v_mul_f32_e32 v72, v63, v66
	v_mul_f32_e32 v66, v62, v66
	s_waitcnt vmcnt(4)
	v_mul_f32_e32 v73, v64, v67
	v_mul_f32_e32 v67, v65, v67
	s_waitcnt vmcnt(3)
	v_fma_f32 v62, v62, v68, -v72
	v_fmac_f32_e32 v66, v63, v68
	s_waitcnt vmcnt(2)
	v_fmac_f32_e32 v73, v65, v69
	v_fma_f32 v63, v64, v69, -v67
	v_add_f32_e32 v62, 0, v62
	v_add_f32_e32 v64, 0, v66
	;; [unrolled: 1-line block ×4, first 2 shown]
	s_waitcnt vmcnt(1)
	v_sub_f32_e32 v62, v70, v62
	s_waitcnt vmcnt(0)
	v_sub_f32_e32 v63, v71, v63
	buffer_store_dword v62, off, s[0:3], 0 offset:216
	buffer_store_dword v63, off, s[0:3], 0 offset:220
	v_cmpx_lt_u32_e32 26, v0
	s_cbranch_execz .LBB29_141
; %bb.140:
	s_clause 0x1
	buffer_load_dword v62, off, s[0:3], 0 offset:208
	buffer_load_dword v63, off, s[0:3], 0 offset:212
	v_mov_b32_e32 v64, 0
	buffer_store_dword v64, off, s[0:3], 0 offset:208
	buffer_store_dword v64, off, s[0:3], 0 offset:212
	s_waitcnt vmcnt(0)
	ds_write_b64 v61, v[62:63]
.LBB29_141:
	s_or_b32 exec_lo, exec_lo, s4
	s_waitcnt lgkmcnt(0)
	s_waitcnt_vscnt null, 0x0
	s_barrier
	buffer_gl0_inv
	s_clause 0x7
	buffer_load_dword v69, off, s[0:3], 0 offset:220
	buffer_load_dword v70, off, s[0:3], 0 offset:228
	;; [unrolled: 1-line block ×8, first 2 shown]
	v_mov_b32_e32 v62, 0
	ds_read2_b64 v[63:66], v62 offset0:57 offset1:58
	ds_read_b64 v[67:68], v62 offset:472
	s_mov_b32 s4, exec_lo
	s_waitcnt vmcnt(7) lgkmcnt(1)
	v_mul_f32_e32 v77, v64, v69
	v_mul_f32_e32 v69, v63, v69
	s_waitcnt vmcnt(6)
	v_mul_f32_e32 v78, v65, v70
	v_mul_f32_e32 v70, v66, v70
	s_waitcnt vmcnt(5) lgkmcnt(0)
	v_mul_f32_e32 v79, v67, v71
	s_waitcnt vmcnt(4)
	v_fma_f32 v63, v63, v72, -v77
	v_fmac_f32_e32 v69, v64, v72
	v_mul_f32_e32 v64, v68, v71
	s_waitcnt vmcnt(3)
	v_fma_f32 v65, v65, v73, -v70
	v_fmac_f32_e32 v78, v66, v73
	v_add_f32_e32 v63, 0, v63
	v_add_f32_e32 v66, 0, v69
	s_waitcnt vmcnt(2)
	v_fma_f32 v64, v67, v74, -v64
	v_fmac_f32_e32 v79, v68, v74
	v_add_f32_e32 v63, v63, v65
	v_add_f32_e32 v65, v66, v78
	v_add_f32_e32 v63, v63, v64
	v_add_f32_e32 v64, v65, v79
	s_waitcnt vmcnt(1)
	v_sub_f32_e32 v63, v75, v63
	s_waitcnt vmcnt(0)
	v_sub_f32_e32 v64, v76, v64
	buffer_store_dword v63, off, s[0:3], 0 offset:208
	buffer_store_dword v64, off, s[0:3], 0 offset:212
	v_cmpx_lt_u32_e32 25, v0
	s_cbranch_execz .LBB29_143
; %bb.142:
	s_clause 0x1
	buffer_load_dword v63, off, s[0:3], 0 offset:200
	buffer_load_dword v64, off, s[0:3], 0 offset:204
	buffer_store_dword v62, off, s[0:3], 0 offset:200
	buffer_store_dword v62, off, s[0:3], 0 offset:204
	s_waitcnt vmcnt(0)
	ds_write_b64 v61, v[63:64]
.LBB29_143:
	s_or_b32 exec_lo, exec_lo, s4
	s_waitcnt lgkmcnt(0)
	s_waitcnt_vscnt null, 0x0
	s_barrier
	buffer_gl0_inv
	s_clause 0x9
	buffer_load_dword v71, off, s[0:3], 0 offset:212
	buffer_load_dword v72, off, s[0:3], 0 offset:220
	;; [unrolled: 1-line block ×10, first 2 shown]
	ds_read_b128 v[63:66], v62 offset:448
	ds_read_b128 v[67:70], v62 offset:464
	s_mov_b32 s4, exec_lo
	s_waitcnt vmcnt(9) lgkmcnt(1)
	v_mul_f32_e32 v62, v63, v71
	v_mul_f32_e32 v71, v64, v71
	s_waitcnt vmcnt(8)
	v_mul_f32_e32 v81, v65, v72
	v_mul_f32_e32 v72, v66, v72
	s_waitcnt vmcnt(7) lgkmcnt(0)
	v_mul_f32_e32 v82, v67, v73
	s_waitcnt vmcnt(5)
	v_fmac_f32_e32 v62, v64, v75
	v_fma_f32 v63, v63, v75, -v71
	v_mul_f32_e32 v64, v68, v73
	s_waitcnt vmcnt(4)
	v_fma_f32 v65, v65, v76, -v72
	v_fmac_f32_e32 v81, v66, v76
	v_add_f32_e32 v62, 0, v62
	v_add_f32_e32 v63, 0, v63
	v_mul_f32_e32 v66, v70, v74
	s_waitcnt vmcnt(3)
	v_fma_f32 v64, v67, v77, -v64
	v_mul_f32_e32 v83, v69, v74
	v_fmac_f32_e32 v82, v68, v77
	v_add_f32_e32 v63, v63, v65
	v_add_f32_e32 v62, v62, v81
	s_waitcnt vmcnt(2)
	v_fma_f32 v65, v69, v78, -v66
	v_fmac_f32_e32 v83, v70, v78
	v_add_f32_e32 v63, v63, v64
	v_add_f32_e32 v62, v62, v82
	;; [unrolled: 1-line block ×4, first 2 shown]
	s_waitcnt vmcnt(1)
	v_sub_f32_e32 v63, v79, v63
	s_waitcnt vmcnt(0)
	v_sub_f32_e32 v62, v80, v62
	buffer_store_dword v63, off, s[0:3], 0 offset:200
	buffer_store_dword v62, off, s[0:3], 0 offset:204
	v_cmpx_lt_u32_e32 24, v0
	s_cbranch_execz .LBB29_145
; %bb.144:
	s_clause 0x1
	buffer_load_dword v62, off, s[0:3], 0 offset:192
	buffer_load_dword v63, off, s[0:3], 0 offset:196
	v_mov_b32_e32 v64, 0
	buffer_store_dword v64, off, s[0:3], 0 offset:192
	buffer_store_dword v64, off, s[0:3], 0 offset:196
	s_waitcnt vmcnt(0)
	ds_write_b64 v61, v[62:63]
.LBB29_145:
	s_or_b32 exec_lo, exec_lo, s4
	s_waitcnt lgkmcnt(0)
	s_waitcnt_vscnt null, 0x0
	s_barrier
	buffer_gl0_inv
	s_clause 0xb
	buffer_load_dword v73, off, s[0:3], 0 offset:204
	buffer_load_dword v74, off, s[0:3], 0 offset:212
	;; [unrolled: 1-line block ×12, first 2 shown]
	v_mov_b32_e32 v62, 0
	ds_read2_b64 v[63:66], v62 offset0:55 offset1:56
	ds_read2_b64 v[67:70], v62 offset0:57 offset1:58
	ds_read_b64 v[71:72], v62 offset:472
	s_mov_b32 s4, exec_lo
	s_waitcnt vmcnt(11) lgkmcnt(2)
	v_mul_f32_e32 v85, v63, v73
	v_mul_f32_e32 v73, v64, v73
	s_waitcnt vmcnt(10)
	v_mul_f32_e32 v86, v65, v74
	v_mul_f32_e32 v74, v66, v74
	s_waitcnt vmcnt(9) lgkmcnt(1)
	v_mul_f32_e32 v87, v67, v75
	s_waitcnt vmcnt(6)
	v_fmac_f32_e32 v85, v64, v78
	v_fma_f32 v63, v63, v78, -v73
	v_mul_f32_e32 v64, v68, v75
	s_waitcnt vmcnt(5)
	v_fma_f32 v65, v65, v79, -v74
	v_fmac_f32_e32 v86, v66, v79
	v_add_f32_e32 v66, 0, v85
	v_add_f32_e32 v63, 0, v63
	v_mul_f32_e32 v73, v70, v76
	s_waitcnt vmcnt(4)
	v_fma_f32 v64, v67, v80, -v64
	v_mul_f32_e32 v88, v69, v76
	v_fmac_f32_e32 v87, v68, v80
	v_add_f32_e32 v63, v63, v65
	v_add_f32_e32 v65, v66, v86
	s_waitcnt lgkmcnt(0)
	v_mul_f32_e32 v66, v72, v77
	s_waitcnt vmcnt(3)
	v_fma_f32 v67, v69, v81, -v73
	v_mul_f32_e32 v89, v71, v77
	v_add_f32_e32 v63, v63, v64
	v_fmac_f32_e32 v88, v70, v81
	v_add_f32_e32 v64, v65, v87
	s_waitcnt vmcnt(2)
	v_fma_f32 v65, v71, v82, -v66
	v_fmac_f32_e32 v89, v72, v82
	v_add_f32_e32 v63, v63, v67
	v_add_f32_e32 v64, v64, v88
	;; [unrolled: 1-line block ×4, first 2 shown]
	s_waitcnt vmcnt(1)
	v_sub_f32_e32 v63, v83, v63
	s_waitcnt vmcnt(0)
	v_sub_f32_e32 v64, v84, v64
	buffer_store_dword v63, off, s[0:3], 0 offset:192
	buffer_store_dword v64, off, s[0:3], 0 offset:196
	v_cmpx_lt_u32_e32 23, v0
	s_cbranch_execz .LBB29_147
; %bb.146:
	s_clause 0x1
	buffer_load_dword v63, off, s[0:3], 0 offset:184
	buffer_load_dword v64, off, s[0:3], 0 offset:188
	buffer_store_dword v62, off, s[0:3], 0 offset:184
	buffer_store_dword v62, off, s[0:3], 0 offset:188
	s_waitcnt vmcnt(0)
	ds_write_b64 v61, v[63:64]
.LBB29_147:
	s_or_b32 exec_lo, exec_lo, s4
	s_waitcnt lgkmcnt(0)
	s_waitcnt_vscnt null, 0x0
	s_barrier
	buffer_gl0_inv
	s_clause 0xd
	buffer_load_dword v75, off, s[0:3], 0 offset:196
	buffer_load_dword v76, off, s[0:3], 0 offset:204
	;; [unrolled: 1-line block ×14, first 2 shown]
	ds_read_b128 v[63:66], v62 offset:432
	ds_read_b128 v[67:70], v62 offset:448
	;; [unrolled: 1-line block ×3, first 2 shown]
	s_mov_b32 s4, exec_lo
	s_waitcnt vmcnt(13) lgkmcnt(2)
	v_mul_f32_e32 v62, v63, v75
	v_mul_f32_e32 v75, v64, v75
	s_waitcnt vmcnt(12)
	v_mul_f32_e32 v89, v65, v76
	v_mul_f32_e32 v76, v66, v76
	s_waitcnt vmcnt(11) lgkmcnt(1)
	v_mul_f32_e32 v90, v67, v77
	s_waitcnt vmcnt(10)
	v_mul_f32_e32 v91, v69, v78
	s_waitcnt vmcnt(7)
	v_fma_f32 v63, v63, v81, -v75
	v_fmac_f32_e32 v62, v64, v81
	v_mul_f32_e32 v64, v68, v77
	s_waitcnt vmcnt(6)
	v_fma_f32 v65, v65, v82, -v76
	v_fmac_f32_e32 v89, v66, v82
	v_add_f32_e32 v63, 0, v63
	v_add_f32_e32 v62, 0, v62
	v_mul_f32_e32 v66, v70, v78
	s_waitcnt vmcnt(5)
	v_fma_f32 v64, v67, v83, -v64
	v_fmac_f32_e32 v90, v68, v83
	v_add_f32_e32 v63, v63, v65
	v_add_f32_e32 v62, v62, v89
	s_waitcnt lgkmcnt(0)
	v_mul_f32_e32 v65, v72, v79
	s_waitcnt vmcnt(4)
	v_fma_f32 v66, v69, v84, -v66
	v_mul_f32_e32 v92, v71, v79
	v_add_f32_e32 v63, v63, v64
	v_fmac_f32_e32 v91, v70, v84
	v_add_f32_e32 v62, v62, v90
	v_mul_f32_e32 v64, v74, v80
	s_waitcnt vmcnt(3)
	v_fma_f32 v65, v71, v85, -v65
	v_add_f32_e32 v63, v63, v66
	v_mul_f32_e32 v93, v73, v80
	v_fmac_f32_e32 v92, v72, v85
	v_add_f32_e32 v62, v62, v91
	s_waitcnt vmcnt(2)
	v_fma_f32 v64, v73, v86, -v64
	v_add_f32_e32 v63, v63, v65
	v_fmac_f32_e32 v93, v74, v86
	v_add_f32_e32 v62, v62, v92
	v_add_f32_e32 v63, v63, v64
	;; [unrolled: 1-line block ×3, first 2 shown]
	s_waitcnt vmcnt(1)
	v_sub_f32_e32 v63, v87, v63
	s_waitcnt vmcnt(0)
	v_sub_f32_e32 v62, v88, v62
	buffer_store_dword v63, off, s[0:3], 0 offset:184
	buffer_store_dword v62, off, s[0:3], 0 offset:188
	v_cmpx_lt_u32_e32 22, v0
	s_cbranch_execz .LBB29_149
; %bb.148:
	s_clause 0x1
	buffer_load_dword v62, off, s[0:3], 0 offset:176
	buffer_load_dword v63, off, s[0:3], 0 offset:180
	v_mov_b32_e32 v64, 0
	buffer_store_dword v64, off, s[0:3], 0 offset:176
	buffer_store_dword v64, off, s[0:3], 0 offset:180
	s_waitcnt vmcnt(0)
	ds_write_b64 v61, v[62:63]
.LBB29_149:
	s_or_b32 exec_lo, exec_lo, s4
	s_waitcnt lgkmcnt(0)
	s_waitcnt_vscnt null, 0x0
	s_barrier
	buffer_gl0_inv
	s_clause 0xf
	buffer_load_dword v77, off, s[0:3], 0 offset:188
	buffer_load_dword v78, off, s[0:3], 0 offset:196
	;; [unrolled: 1-line block ×16, first 2 shown]
	v_mov_b32_e32 v62, 0
	ds_read2_b64 v[63:66], v62 offset0:53 offset1:54
	ds_read2_b64 v[67:70], v62 offset0:55 offset1:56
	;; [unrolled: 1-line block ×3, first 2 shown]
	ds_read_b64 v[75:76], v62 offset:472
	s_mov_b32 s4, exec_lo
	s_waitcnt vmcnt(15) lgkmcnt(3)
	v_mul_f32_e32 v93, v63, v77
	v_mul_f32_e32 v77, v64, v77
	s_waitcnt vmcnt(14)
	v_mul_f32_e32 v94, v65, v78
	v_mul_f32_e32 v78, v66, v78
	s_waitcnt vmcnt(13) lgkmcnt(2)
	v_mul_f32_e32 v95, v67, v79
	s_waitcnt vmcnt(12)
	v_mul_f32_e32 v96, v69, v80
	s_waitcnt vmcnt(11) lgkmcnt(1)
	v_mul_f32_e32 v97, v71, v81
	s_waitcnt vmcnt(8)
	v_fma_f32 v63, v63, v84, -v77
	v_fmac_f32_e32 v93, v64, v84
	v_mul_f32_e32 v64, v68, v79
	s_waitcnt vmcnt(7)
	v_fma_f32 v65, v65, v85, -v78
	v_fmac_f32_e32 v94, v66, v85
	v_add_f32_e32 v63, 0, v63
	v_add_f32_e32 v66, 0, v93
	v_mul_f32_e32 v77, v70, v80
	s_waitcnt vmcnt(6)
	v_fma_f32 v64, v67, v86, -v64
	v_fmac_f32_e32 v95, v68, v86
	v_add_f32_e32 v63, v63, v65
	v_add_f32_e32 v65, v66, v94
	;; [unrolled: 6-line block ×3, first 2 shown]
	v_mul_f32_e32 v65, v74, v82
	s_waitcnt vmcnt(4)
	v_fma_f32 v66, v71, v88, -v66
	v_mul_f32_e32 v98, v73, v82
	v_add_f32_e32 v63, v63, v67
	v_fmac_f32_e32 v97, v72, v88
	v_add_f32_e32 v64, v64, v96
	s_waitcnt lgkmcnt(0)
	v_mul_f32_e32 v67, v76, v83
	s_waitcnt vmcnt(3)
	v_fma_f32 v65, v73, v89, -v65
	v_add_f32_e32 v63, v63, v66
	v_mul_f32_e32 v99, v75, v83
	v_fmac_f32_e32 v98, v74, v89
	v_add_f32_e32 v64, v64, v97
	s_waitcnt vmcnt(2)
	v_fma_f32 v66, v75, v90, -v67
	v_add_f32_e32 v63, v63, v65
	v_fmac_f32_e32 v99, v76, v90
	v_add_f32_e32 v64, v64, v98
	v_add_f32_e32 v63, v63, v66
	;; [unrolled: 1-line block ×3, first 2 shown]
	s_waitcnt vmcnt(1)
	v_sub_f32_e32 v63, v91, v63
	s_waitcnt vmcnt(0)
	v_sub_f32_e32 v64, v92, v64
	buffer_store_dword v63, off, s[0:3], 0 offset:176
	buffer_store_dword v64, off, s[0:3], 0 offset:180
	v_cmpx_lt_u32_e32 21, v0
	s_cbranch_execz .LBB29_151
; %bb.150:
	s_clause 0x1
	buffer_load_dword v63, off, s[0:3], 0 offset:168
	buffer_load_dword v64, off, s[0:3], 0 offset:172
	buffer_store_dword v62, off, s[0:3], 0 offset:168
	buffer_store_dword v62, off, s[0:3], 0 offset:172
	s_waitcnt vmcnt(0)
	ds_write_b64 v61, v[63:64]
.LBB29_151:
	s_or_b32 exec_lo, exec_lo, s4
	s_waitcnt lgkmcnt(0)
	s_waitcnt_vscnt null, 0x0
	s_barrier
	buffer_gl0_inv
	s_clause 0x11
	buffer_load_dword v79, off, s[0:3], 0 offset:180
	buffer_load_dword v80, off, s[0:3], 0 offset:188
	;; [unrolled: 1-line block ×18, first 2 shown]
	ds_read_b128 v[63:66], v62 offset:416
	ds_read_b128 v[67:70], v62 offset:432
	;; [unrolled: 1-line block ×4, first 2 shown]
	s_mov_b32 s4, exec_lo
	s_waitcnt vmcnt(17) lgkmcnt(3)
	v_mul_f32_e32 v62, v63, v79
	v_mul_f32_e32 v79, v64, v79
	s_waitcnt vmcnt(16)
	v_mul_f32_e32 v97, v65, v80
	v_mul_f32_e32 v80, v66, v80
	s_waitcnt vmcnt(15) lgkmcnt(2)
	v_mul_f32_e32 v98, v67, v81
	s_waitcnt vmcnt(14)
	v_mul_f32_e32 v99, v69, v82
	s_waitcnt vmcnt(13) lgkmcnt(1)
	v_mul_f32_e32 v100, v71, v83
	s_waitcnt vmcnt(12)
	v_mul_f32_e32 v101, v73, v84
	s_waitcnt vmcnt(9)
	v_fma_f32 v63, v63, v87, -v79
	v_fmac_f32_e32 v62, v64, v87
	v_mul_f32_e32 v64, v68, v81
	s_waitcnt vmcnt(8)
	v_fma_f32 v65, v65, v88, -v80
	v_fmac_f32_e32 v97, v66, v88
	v_add_f32_e32 v63, 0, v63
	v_add_f32_e32 v62, 0, v62
	v_mul_f32_e32 v66, v70, v82
	s_waitcnt vmcnt(7)
	v_fma_f32 v64, v67, v89, -v64
	v_fmac_f32_e32 v98, v68, v89
	v_add_f32_e32 v63, v63, v65
	v_add_f32_e32 v62, v62, v97
	;; [unrolled: 6-line block ×4, first 2 shown]
	s_waitcnt lgkmcnt(0)
	v_mul_f32_e32 v66, v76, v85
	s_waitcnt vmcnt(4)
	v_fma_f32 v64, v73, v92, -v64
	v_mul_f32_e32 v102, v75, v85
	v_add_f32_e32 v63, v63, v65
	v_fmac_f32_e32 v101, v74, v92
	v_add_f32_e32 v62, v62, v100
	v_mul_f32_e32 v65, v78, v86
	s_waitcnt vmcnt(3)
	v_fma_f32 v66, v75, v93, -v66
	v_add_f32_e32 v63, v63, v64
	v_mul_f32_e32 v103, v77, v86
	v_fmac_f32_e32 v102, v76, v93
	v_add_f32_e32 v62, v62, v101
	s_waitcnt vmcnt(2)
	v_fma_f32 v64, v77, v94, -v65
	v_add_f32_e32 v63, v63, v66
	v_fmac_f32_e32 v103, v78, v94
	v_add_f32_e32 v62, v62, v102
	v_add_f32_e32 v63, v63, v64
	;; [unrolled: 1-line block ×3, first 2 shown]
	s_waitcnt vmcnt(1)
	v_sub_f32_e32 v63, v95, v63
	s_waitcnt vmcnt(0)
	v_sub_f32_e32 v62, v96, v62
	buffer_store_dword v63, off, s[0:3], 0 offset:168
	buffer_store_dword v62, off, s[0:3], 0 offset:172
	v_cmpx_lt_u32_e32 20, v0
	s_cbranch_execz .LBB29_153
; %bb.152:
	s_clause 0x1
	buffer_load_dword v62, off, s[0:3], 0 offset:160
	buffer_load_dword v63, off, s[0:3], 0 offset:164
	v_mov_b32_e32 v64, 0
	buffer_store_dword v64, off, s[0:3], 0 offset:160
	buffer_store_dword v64, off, s[0:3], 0 offset:164
	s_waitcnt vmcnt(0)
	ds_write_b64 v61, v[62:63]
.LBB29_153:
	s_or_b32 exec_lo, exec_lo, s4
	s_waitcnt lgkmcnt(0)
	s_waitcnt_vscnt null, 0x0
	s_barrier
	buffer_gl0_inv
	s_clause 0x13
	buffer_load_dword v81, off, s[0:3], 0 offset:172
	buffer_load_dword v82, off, s[0:3], 0 offset:180
	;; [unrolled: 1-line block ×20, first 2 shown]
	v_mov_b32_e32 v62, 0
	ds_read2_b64 v[63:66], v62 offset0:51 offset1:52
	ds_read2_b64 v[67:70], v62 offset0:53 offset1:54
	;; [unrolled: 1-line block ×4, first 2 shown]
	ds_read_b64 v[79:80], v62 offset:472
	s_mov_b32 s4, exec_lo
	s_waitcnt vmcnt(19) lgkmcnt(4)
	v_mul_f32_e32 v101, v63, v81
	v_mul_f32_e32 v81, v64, v81
	s_waitcnt vmcnt(18)
	v_mul_f32_e32 v102, v65, v82
	v_mul_f32_e32 v82, v66, v82
	s_waitcnt vmcnt(17) lgkmcnt(3)
	v_mul_f32_e32 v103, v67, v83
	s_waitcnt vmcnt(16)
	v_mul_f32_e32 v104, v69, v84
	s_waitcnt vmcnt(15) lgkmcnt(2)
	v_mul_f32_e32 v105, v71, v85
	s_waitcnt vmcnt(14)
	;; [unrolled: 4-line block ×3, first 2 shown]
	v_fma_f32 v63, v63, v90, -v81
	v_fmac_f32_e32 v101, v64, v90
	v_mul_f32_e32 v64, v68, v83
	s_waitcnt vmcnt(9)
	v_fma_f32 v65, v65, v91, -v82
	v_fmac_f32_e32 v102, v66, v91
	v_add_f32_e32 v63, 0, v63
	v_add_f32_e32 v66, 0, v101
	v_mul_f32_e32 v81, v70, v84
	s_waitcnt vmcnt(8)
	v_fma_f32 v64, v67, v92, -v64
	v_fmac_f32_e32 v103, v68, v92
	v_add_f32_e32 v63, v63, v65
	v_add_f32_e32 v65, v66, v102
	;; [unrolled: 6-line block ×5, first 2 shown]
	v_mul_f32_e32 v66, v78, v88
	s_waitcnt vmcnt(4)
	v_fma_f32 v67, v75, v96, -v67
	v_mul_f32_e32 v108, v77, v88
	v_add_f32_e32 v63, v63, v65
	v_fmac_f32_e32 v107, v76, v96
	v_add_f32_e32 v64, v64, v106
	s_waitcnt lgkmcnt(0)
	v_mul_f32_e32 v65, v80, v89
	s_waitcnt vmcnt(3)
	v_fma_f32 v66, v77, v97, -v66
	v_add_f32_e32 v63, v63, v67
	v_mul_f32_e32 v109, v79, v89
	v_fmac_f32_e32 v108, v78, v97
	v_add_f32_e32 v64, v64, v107
	s_waitcnt vmcnt(2)
	v_fma_f32 v65, v79, v98, -v65
	v_add_f32_e32 v63, v63, v66
	v_fmac_f32_e32 v109, v80, v98
	v_add_f32_e32 v64, v64, v108
	v_add_f32_e32 v63, v63, v65
	;; [unrolled: 1-line block ×3, first 2 shown]
	s_waitcnt vmcnt(1)
	v_sub_f32_e32 v63, v99, v63
	s_waitcnt vmcnt(0)
	v_sub_f32_e32 v64, v100, v64
	buffer_store_dword v63, off, s[0:3], 0 offset:160
	buffer_store_dword v64, off, s[0:3], 0 offset:164
	v_cmpx_lt_u32_e32 19, v0
	s_cbranch_execz .LBB29_155
; %bb.154:
	s_clause 0x1
	buffer_load_dword v63, off, s[0:3], 0 offset:152
	buffer_load_dword v64, off, s[0:3], 0 offset:156
	buffer_store_dword v62, off, s[0:3], 0 offset:152
	buffer_store_dword v62, off, s[0:3], 0 offset:156
	s_waitcnt vmcnt(0)
	ds_write_b64 v61, v[63:64]
.LBB29_155:
	s_or_b32 exec_lo, exec_lo, s4
	s_waitcnt lgkmcnt(0)
	s_waitcnt_vscnt null, 0x0
	s_barrier
	buffer_gl0_inv
	s_clause 0x15
	buffer_load_dword v83, off, s[0:3], 0 offset:164
	buffer_load_dword v84, off, s[0:3], 0 offset:172
	;; [unrolled: 1-line block ×22, first 2 shown]
	ds_read_b128 v[63:66], v62 offset:400
	ds_read_b128 v[67:70], v62 offset:416
	;; [unrolled: 1-line block ×5, first 2 shown]
	s_mov_b32 s4, exec_lo
	s_waitcnt vmcnt(21) lgkmcnt(4)
	v_mul_f32_e32 v62, v63, v83
	v_mul_f32_e32 v83, v64, v83
	s_waitcnt vmcnt(20)
	v_mul_f32_e32 v105, v65, v84
	v_mul_f32_e32 v84, v66, v84
	s_waitcnt vmcnt(19) lgkmcnt(3)
	v_mul_f32_e32 v106, v67, v85
	s_waitcnt vmcnt(18)
	v_mul_f32_e32 v107, v69, v86
	s_waitcnt vmcnt(17) lgkmcnt(2)
	v_mul_f32_e32 v108, v71, v87
	s_waitcnt vmcnt(16)
	;; [unrolled: 4-line block ×3, first 2 shown]
	v_mul_f32_e32 v111, v77, v90
	s_waitcnt vmcnt(11)
	v_fma_f32 v63, v63, v93, -v83
	v_fmac_f32_e32 v62, v64, v93
	v_mul_f32_e32 v64, v68, v85
	s_waitcnt vmcnt(10)
	v_fma_f32 v65, v65, v94, -v84
	v_fmac_f32_e32 v105, v66, v94
	v_add_f32_e32 v63, 0, v63
	v_add_f32_e32 v62, 0, v62
	v_mul_f32_e32 v66, v70, v86
	s_waitcnt vmcnt(9)
	v_fma_f32 v64, v67, v95, -v64
	v_fmac_f32_e32 v106, v68, v95
	v_add_f32_e32 v63, v63, v65
	v_add_f32_e32 v62, v62, v105
	;; [unrolled: 6-line block ×6, first 2 shown]
	s_waitcnt lgkmcnt(0)
	v_mul_f32_e32 v64, v80, v91
	s_waitcnt vmcnt(4)
	v_fma_f32 v65, v77, v100, -v65
	v_mul_f32_e32 v112, v79, v91
	v_add_f32_e32 v63, v63, v66
	v_fmac_f32_e32 v111, v78, v100
	v_add_f32_e32 v62, v62, v110
	v_mul_f32_e32 v66, v82, v92
	s_waitcnt vmcnt(3)
	v_fma_f32 v64, v79, v101, -v64
	v_add_f32_e32 v63, v63, v65
	v_mul_f32_e32 v113, v81, v92
	v_fmac_f32_e32 v112, v80, v101
	v_add_f32_e32 v62, v62, v111
	s_waitcnt vmcnt(2)
	v_fma_f32 v65, v81, v102, -v66
	v_add_f32_e32 v63, v63, v64
	v_fmac_f32_e32 v113, v82, v102
	v_add_f32_e32 v62, v62, v112
	v_add_f32_e32 v63, v63, v65
	;; [unrolled: 1-line block ×3, first 2 shown]
	s_waitcnt vmcnt(1)
	v_sub_f32_e32 v63, v103, v63
	s_waitcnt vmcnt(0)
	v_sub_f32_e32 v62, v104, v62
	buffer_store_dword v63, off, s[0:3], 0 offset:152
	buffer_store_dword v62, off, s[0:3], 0 offset:156
	v_cmpx_lt_u32_e32 18, v0
	s_cbranch_execz .LBB29_157
; %bb.156:
	s_clause 0x1
	buffer_load_dword v62, off, s[0:3], 0 offset:144
	buffer_load_dword v63, off, s[0:3], 0 offset:148
	v_mov_b32_e32 v64, 0
	buffer_store_dword v64, off, s[0:3], 0 offset:144
	buffer_store_dword v64, off, s[0:3], 0 offset:148
	s_waitcnt vmcnt(0)
	ds_write_b64 v61, v[62:63]
.LBB29_157:
	s_or_b32 exec_lo, exec_lo, s4
	s_waitcnt lgkmcnt(0)
	s_waitcnt_vscnt null, 0x0
	s_barrier
	buffer_gl0_inv
	s_clause 0x17
	buffer_load_dword v85, off, s[0:3], 0 offset:156
	buffer_load_dword v86, off, s[0:3], 0 offset:164
	buffer_load_dword v87, off, s[0:3], 0 offset:172
	buffer_load_dword v88, off, s[0:3], 0 offset:180
	buffer_load_dword v89, off, s[0:3], 0 offset:188
	buffer_load_dword v90, off, s[0:3], 0 offset:196
	buffer_load_dword v91, off, s[0:3], 0 offset:204
	buffer_load_dword v92, off, s[0:3], 0 offset:212
	buffer_load_dword v93, off, s[0:3], 0 offset:220
	buffer_load_dword v94, off, s[0:3], 0 offset:228
	buffer_load_dword v95, off, s[0:3], 0 offset:236
	buffer_load_dword v96, off, s[0:3], 0 offset:152
	buffer_load_dword v97, off, s[0:3], 0 offset:160
	buffer_load_dword v98, off, s[0:3], 0 offset:168
	buffer_load_dword v99, off, s[0:3], 0 offset:176
	buffer_load_dword v100, off, s[0:3], 0 offset:184
	buffer_load_dword v101, off, s[0:3], 0 offset:192
	buffer_load_dword v102, off, s[0:3], 0 offset:200
	buffer_load_dword v103, off, s[0:3], 0 offset:208
	buffer_load_dword v104, off, s[0:3], 0 offset:216
	buffer_load_dword v105, off, s[0:3], 0 offset:224
	buffer_load_dword v106, off, s[0:3], 0 offset:232
	buffer_load_dword v107, off, s[0:3], 0 offset:144
	buffer_load_dword v108, off, s[0:3], 0 offset:148
	v_mov_b32_e32 v62, 0
	ds_read2_b64 v[63:66], v62 offset0:49 offset1:50
	ds_read2_b64 v[67:70], v62 offset0:51 offset1:52
	ds_read2_b64 v[71:74], v62 offset0:53 offset1:54
	ds_read2_b64 v[75:78], v62 offset0:55 offset1:56
	ds_read2_b64 v[79:82], v62 offset0:57 offset1:58
	ds_read_b64 v[83:84], v62 offset:472
	s_mov_b32 s4, exec_lo
	s_waitcnt vmcnt(23) lgkmcnt(5)
	v_mul_f32_e32 v109, v63, v85
	v_mul_f32_e32 v85, v64, v85
	s_waitcnt vmcnt(22)
	v_mul_f32_e32 v110, v65, v86
	v_mul_f32_e32 v86, v66, v86
	s_waitcnt vmcnt(21) lgkmcnt(4)
	v_mul_f32_e32 v111, v67, v87
	s_waitcnt vmcnt(20)
	v_mul_f32_e32 v112, v69, v88
	s_waitcnt vmcnt(19) lgkmcnt(3)
	v_mul_f32_e32 v113, v71, v89
	s_waitcnt vmcnt(18)
	;; [unrolled: 4-line block ×4, first 2 shown]
	v_fma_f32 v63, v63, v96, -v85
	v_fmac_f32_e32 v109, v64, v96
	v_mul_f32_e32 v64, v68, v87
	s_waitcnt vmcnt(11)
	v_fma_f32 v65, v65, v97, -v86
	v_fmac_f32_e32 v110, v66, v97
	v_add_f32_e32 v63, 0, v63
	v_add_f32_e32 v66, 0, v109
	v_mul_f32_e32 v85, v70, v88
	s_waitcnt vmcnt(10)
	v_fma_f32 v64, v67, v98, -v64
	v_fmac_f32_e32 v111, v68, v98
	v_add_f32_e32 v63, v63, v65
	v_add_f32_e32 v65, v66, v110
	;; [unrolled: 6-line block ×7, first 2 shown]
	v_mul_f32_e32 v67, v82, v94
	s_waitcnt vmcnt(4)
	v_fma_f32 v65, v79, v104, -v65
	v_mul_f32_e32 v118, v81, v94
	v_add_f32_e32 v63, v63, v66
	v_fmac_f32_e32 v117, v80, v104
	v_add_f32_e32 v64, v64, v116
	s_waitcnt lgkmcnt(0)
	v_mul_f32_e32 v66, v84, v95
	s_waitcnt vmcnt(3)
	v_fma_f32 v67, v81, v105, -v67
	v_add_f32_e32 v63, v63, v65
	v_mul_f32_e32 v119, v83, v95
	v_fmac_f32_e32 v118, v82, v105
	v_add_f32_e32 v64, v64, v117
	s_waitcnt vmcnt(2)
	v_fma_f32 v65, v83, v106, -v66
	v_add_f32_e32 v63, v63, v67
	v_fmac_f32_e32 v119, v84, v106
	v_add_f32_e32 v64, v64, v118
	v_add_f32_e32 v63, v63, v65
	v_add_f32_e32 v64, v64, v119
	s_waitcnt vmcnt(1)
	v_sub_f32_e32 v63, v107, v63
	s_waitcnt vmcnt(0)
	v_sub_f32_e32 v64, v108, v64
	buffer_store_dword v63, off, s[0:3], 0 offset:144
	buffer_store_dword v64, off, s[0:3], 0 offset:148
	v_cmpx_lt_u32_e32 17, v0
	s_cbranch_execz .LBB29_159
; %bb.158:
	s_clause 0x1
	buffer_load_dword v63, off, s[0:3], 0 offset:136
	buffer_load_dword v64, off, s[0:3], 0 offset:140
	buffer_store_dword v62, off, s[0:3], 0 offset:136
	buffer_store_dword v62, off, s[0:3], 0 offset:140
	s_waitcnt vmcnt(0)
	ds_write_b64 v61, v[63:64]
.LBB29_159:
	s_or_b32 exec_lo, exec_lo, s4
	s_waitcnt lgkmcnt(0)
	s_waitcnt_vscnt null, 0x0
	s_barrier
	buffer_gl0_inv
	s_clause 0x19
	buffer_load_dword v87, off, s[0:3], 0 offset:148
	buffer_load_dword v88, off, s[0:3], 0 offset:156
	;; [unrolled: 1-line block ×26, first 2 shown]
	ds_read_b128 v[63:66], v62 offset:384
	ds_read_b128 v[67:70], v62 offset:400
	;; [unrolled: 1-line block ×6, first 2 shown]
	s_mov_b32 s4, exec_lo
	s_waitcnt vmcnt(25) lgkmcnt(5)
	v_mul_f32_e32 v62, v63, v87
	v_mul_f32_e32 v87, v64, v87
	s_waitcnt vmcnt(24)
	v_mul_f32_e32 v113, v65, v88
	v_mul_f32_e32 v88, v66, v88
	s_waitcnt vmcnt(23) lgkmcnt(4)
	v_mul_f32_e32 v114, v67, v89
	s_waitcnt vmcnt(22)
	v_mul_f32_e32 v115, v69, v90
	s_waitcnt vmcnt(21) lgkmcnt(3)
	v_mul_f32_e32 v116, v71, v91
	s_waitcnt vmcnt(20)
	;; [unrolled: 4-line block ×4, first 2 shown]
	v_mul_f32_e32 v121, v81, v96
	s_waitcnt vmcnt(13)
	v_fma_f32 v63, v63, v99, -v87
	v_fmac_f32_e32 v62, v64, v99
	v_mul_f32_e32 v64, v68, v89
	s_waitcnt vmcnt(12)
	v_fma_f32 v65, v65, v100, -v88
	v_fmac_f32_e32 v113, v66, v100
	v_add_f32_e32 v63, 0, v63
	v_add_f32_e32 v62, 0, v62
	v_mul_f32_e32 v66, v70, v90
	s_waitcnt vmcnt(11)
	v_fma_f32 v64, v67, v101, -v64
	v_fmac_f32_e32 v114, v68, v101
	v_add_f32_e32 v63, v63, v65
	v_add_f32_e32 v62, v62, v113
	;; [unrolled: 6-line block ×8, first 2 shown]
	s_waitcnt lgkmcnt(0)
	v_mul_f32_e32 v65, v84, v97
	s_waitcnt vmcnt(4)
	v_fma_f32 v66, v81, v108, -v66
	v_mul_f32_e32 v122, v83, v97
	v_add_f32_e32 v63, v63, v64
	v_fmac_f32_e32 v121, v82, v108
	v_add_f32_e32 v62, v62, v120
	v_mul_f32_e32 v64, v86, v98
	s_waitcnt vmcnt(3)
	v_fma_f32 v65, v83, v109, -v65
	v_add_f32_e32 v63, v63, v66
	v_mul_f32_e32 v123, v85, v98
	v_fmac_f32_e32 v122, v84, v109
	v_add_f32_e32 v62, v62, v121
	s_waitcnt vmcnt(2)
	v_fma_f32 v64, v85, v110, -v64
	v_add_f32_e32 v63, v63, v65
	v_fmac_f32_e32 v123, v86, v110
	v_add_f32_e32 v62, v62, v122
	v_add_f32_e32 v63, v63, v64
	;; [unrolled: 1-line block ×3, first 2 shown]
	s_waitcnt vmcnt(1)
	v_sub_f32_e32 v63, v111, v63
	s_waitcnt vmcnt(0)
	v_sub_f32_e32 v62, v112, v62
	buffer_store_dword v63, off, s[0:3], 0 offset:136
	buffer_store_dword v62, off, s[0:3], 0 offset:140
	v_cmpx_lt_u32_e32 16, v0
	s_cbranch_execz .LBB29_161
; %bb.160:
	s_clause 0x1
	buffer_load_dword v62, off, s[0:3], 0 offset:128
	buffer_load_dword v63, off, s[0:3], 0 offset:132
	v_mov_b32_e32 v64, 0
	buffer_store_dword v64, off, s[0:3], 0 offset:128
	buffer_store_dword v64, off, s[0:3], 0 offset:132
	s_waitcnt vmcnt(0)
	ds_write_b64 v61, v[62:63]
.LBB29_161:
	s_or_b32 exec_lo, exec_lo, s4
	s_waitcnt lgkmcnt(0)
	s_waitcnt_vscnt null, 0x0
	s_barrier
	buffer_gl0_inv
	s_clause 0x1b
	buffer_load_dword v89, off, s[0:3], 0 offset:140
	buffer_load_dword v90, off, s[0:3], 0 offset:148
	;; [unrolled: 1-line block ×28, first 2 shown]
	v_mov_b32_e32 v62, 0
	ds_read2_b64 v[63:66], v62 offset0:47 offset1:48
	ds_read2_b64 v[67:70], v62 offset0:49 offset1:50
	;; [unrolled: 1-line block ×6, first 2 shown]
	ds_read_b64 v[87:88], v62 offset:472
	s_mov_b32 s4, exec_lo
	s_waitcnt vmcnt(27) lgkmcnt(6)
	v_mul_f32_e32 v117, v63, v89
	v_mul_f32_e32 v89, v64, v89
	s_waitcnt vmcnt(26)
	v_mul_f32_e32 v118, v65, v90
	v_mul_f32_e32 v90, v66, v90
	s_waitcnt vmcnt(25) lgkmcnt(5)
	v_mul_f32_e32 v119, v67, v91
	s_waitcnt vmcnt(24)
	v_mul_f32_e32 v120, v69, v92
	s_waitcnt vmcnt(23) lgkmcnt(4)
	v_mul_f32_e32 v121, v71, v93
	s_waitcnt vmcnt(22)
	;; [unrolled: 4-line block ×5, first 2 shown]
	v_fma_f32 v63, v63, v102, -v89
	v_fmac_f32_e32 v117, v64, v102
	v_mul_f32_e32 v64, v68, v91
	s_waitcnt vmcnt(13)
	v_fma_f32 v65, v65, v103, -v90
	v_fmac_f32_e32 v118, v66, v103
	v_add_f32_e32 v63, 0, v63
	v_add_f32_e32 v66, 0, v117
	v_mul_f32_e32 v89, v70, v92
	s_waitcnt vmcnt(12)
	v_fma_f32 v64, v67, v104, -v64
	v_fmac_f32_e32 v119, v68, v104
	v_add_f32_e32 v63, v63, v65
	v_add_f32_e32 v65, v66, v118
	v_mul_f32_e32 v66, v72, v93
	s_waitcnt vmcnt(11)
	v_fma_f32 v67, v69, v105, -v89
	v_fmac_f32_e32 v120, v70, v105
	v_add_f32_e32 v63, v63, v64
	v_add_f32_e32 v64, v65, v119
	v_mul_f32_e32 v65, v74, v94
	s_waitcnt vmcnt(10)
	v_fma_f32 v66, v71, v106, -v66
	v_fmac_f32_e32 v121, v72, v106
	v_add_f32_e32 v63, v63, v67
	v_add_f32_e32 v64, v64, v120
	v_mul_f32_e32 v67, v76, v95
	s_waitcnt vmcnt(9)
	v_fma_f32 v65, v73, v107, -v65
	v_fmac_f32_e32 v122, v74, v107
	v_add_f32_e32 v63, v63, v66
	v_add_f32_e32 v64, v64, v121
	v_mul_f32_e32 v66, v78, v96
	s_waitcnt vmcnt(8)
	v_fma_f32 v67, v75, v108, -v67
	v_fmac_f32_e32 v123, v76, v108
	v_add_f32_e32 v63, v63, v65
	v_add_f32_e32 v64, v64, v122
	v_mul_f32_e32 v65, v80, v97
	s_waitcnt vmcnt(7)
	v_fma_f32 v66, v77, v109, -v66
	v_fmac_f32_e32 v124, v78, v109
	v_add_f32_e32 v63, v63, v67
	v_add_f32_e32 v64, v64, v123
	v_mul_f32_e32 v67, v82, v98
	s_waitcnt vmcnt(6)
	v_fma_f32 v65, v79, v110, -v65
	v_fmac_f32_e32 v125, v80, v110
	v_add_f32_e32 v63, v63, v66
	v_add_f32_e32 v64, v64, v124
	v_mul_f32_e32 v66, v84, v99
	s_waitcnt vmcnt(5)
	v_fma_f32 v67, v81, v111, -v67
	v_fmac_f32_e32 v126, v82, v111
	v_add_f32_e32 v63, v63, v65
	v_add_f32_e32 v64, v64, v125
	v_mul_f32_e32 v65, v86, v100
	s_waitcnt vmcnt(4)
	v_fma_f32 v66, v83, v112, -v66
	v_mul_f32_e32 v128, v85, v100
	v_add_f32_e32 v63, v63, v67
	v_fmac_f32_e32 v127, v84, v112
	v_add_f32_e32 v64, v64, v126
	s_waitcnt lgkmcnt(0)
	v_mul_f32_e32 v67, v88, v101
	s_waitcnt vmcnt(3)
	v_fma_f32 v65, v85, v113, -v65
	v_add_f32_e32 v63, v63, v66
	v_mul_f32_e32 v129, v87, v101
	v_fmac_f32_e32 v128, v86, v113
	v_add_f32_e32 v64, v64, v127
	s_waitcnt vmcnt(2)
	v_fma_f32 v66, v87, v114, -v67
	v_add_f32_e32 v63, v63, v65
	v_fmac_f32_e32 v129, v88, v114
	v_add_f32_e32 v64, v64, v128
	v_add_f32_e32 v63, v63, v66
	;; [unrolled: 1-line block ×3, first 2 shown]
	s_waitcnt vmcnt(1)
	v_sub_f32_e32 v63, v115, v63
	s_waitcnt vmcnt(0)
	v_sub_f32_e32 v64, v116, v64
	buffer_store_dword v63, off, s[0:3], 0 offset:128
	buffer_store_dword v64, off, s[0:3], 0 offset:132
	v_cmpx_lt_u32_e32 15, v0
	s_cbranch_execz .LBB29_163
; %bb.162:
	s_clause 0x1
	buffer_load_dword v63, off, s[0:3], 0 offset:120
	buffer_load_dword v64, off, s[0:3], 0 offset:124
	buffer_store_dword v62, off, s[0:3], 0 offset:120
	buffer_store_dword v62, off, s[0:3], 0 offset:124
	s_waitcnt vmcnt(0)
	ds_write_b64 v61, v[63:64]
.LBB29_163:
	s_or_b32 exec_lo, exec_lo, s4
	s_waitcnt lgkmcnt(0)
	s_waitcnt_vscnt null, 0x0
	s_barrier
	buffer_gl0_inv
	s_clause 0x1d
	buffer_load_dword v91, off, s[0:3], 0 offset:132
	buffer_load_dword v92, off, s[0:3], 0 offset:140
	;; [unrolled: 1-line block ×30, first 2 shown]
	ds_read_b128 v[63:66], v62 offset:368
	ds_read_b128 v[67:70], v62 offset:384
	;; [unrolled: 1-line block ×7, first 2 shown]
	s_mov_b32 s4, exec_lo
	s_waitcnt vmcnt(29) lgkmcnt(6)
	v_mul_f32_e32 v62, v63, v91
	v_mul_f32_e32 v91, v64, v91
	s_waitcnt vmcnt(28)
	v_mul_f32_e32 v121, v65, v92
	v_mul_f32_e32 v92, v66, v92
	s_waitcnt vmcnt(27) lgkmcnt(5)
	v_mul_f32_e32 v122, v67, v93
	s_waitcnt vmcnt(26)
	v_mul_f32_e32 v123, v69, v94
	s_waitcnt vmcnt(25) lgkmcnt(4)
	v_mul_f32_e32 v124, v71, v95
	s_waitcnt vmcnt(24)
	;; [unrolled: 4-line block ×5, first 2 shown]
	v_mul_f32_e32 v131, v85, v102
	s_waitcnt vmcnt(15)
	v_fma_f32 v63, v63, v105, -v91
	v_fmac_f32_e32 v62, v64, v105
	v_mul_f32_e32 v64, v68, v93
	s_waitcnt vmcnt(14)
	v_fma_f32 v65, v65, v106, -v92
	v_fmac_f32_e32 v121, v66, v106
	v_add_f32_e32 v63, 0, v63
	v_add_f32_e32 v62, 0, v62
	v_mul_f32_e32 v66, v70, v94
	s_waitcnt vmcnt(13)
	v_fma_f32 v64, v67, v107, -v64
	v_fmac_f32_e32 v122, v68, v107
	v_add_f32_e32 v63, v63, v65
	v_add_f32_e32 v62, v62, v121
	;; [unrolled: 6-line block ×10, first 2 shown]
	s_waitcnt lgkmcnt(0)
	v_mul_f32_e32 v66, v88, v103
	s_waitcnt vmcnt(4)
	v_fma_f32 v64, v85, v116, -v64
	v_mul_f32_e32 v132, v87, v103
	v_add_f32_e32 v63, v63, v65
	v_fmac_f32_e32 v131, v86, v116
	v_add_f32_e32 v62, v62, v130
	v_mul_f32_e32 v65, v90, v104
	s_waitcnt vmcnt(3)
	v_fma_f32 v66, v87, v117, -v66
	v_add_f32_e32 v63, v63, v64
	v_mul_f32_e32 v133, v89, v104
	v_fmac_f32_e32 v132, v88, v117
	v_add_f32_e32 v62, v62, v131
	s_waitcnt vmcnt(2)
	v_fma_f32 v64, v89, v118, -v65
	v_add_f32_e32 v63, v63, v66
	v_fmac_f32_e32 v133, v90, v118
	v_add_f32_e32 v62, v62, v132
	v_add_f32_e32 v63, v63, v64
	;; [unrolled: 1-line block ×3, first 2 shown]
	s_waitcnt vmcnt(1)
	v_sub_f32_e32 v63, v119, v63
	s_waitcnt vmcnt(0)
	v_sub_f32_e32 v62, v120, v62
	buffer_store_dword v63, off, s[0:3], 0 offset:120
	buffer_store_dword v62, off, s[0:3], 0 offset:124
	v_cmpx_lt_u32_e32 14, v0
	s_cbranch_execz .LBB29_165
; %bb.164:
	s_clause 0x1
	buffer_load_dword v62, off, s[0:3], 0 offset:112
	buffer_load_dword v63, off, s[0:3], 0 offset:116
	v_mov_b32_e32 v64, 0
	buffer_store_dword v64, off, s[0:3], 0 offset:112
	buffer_store_dword v64, off, s[0:3], 0 offset:116
	s_waitcnt vmcnt(0)
	ds_write_b64 v61, v[62:63]
.LBB29_165:
	s_or_b32 exec_lo, exec_lo, s4
	s_waitcnt lgkmcnt(0)
	s_waitcnt_vscnt null, 0x0
	s_barrier
	buffer_gl0_inv
	s_clause 0x1f
	buffer_load_dword v93, off, s[0:3], 0 offset:124
	buffer_load_dword v94, off, s[0:3], 0 offset:132
	;; [unrolled: 1-line block ×32, first 2 shown]
	v_mov_b32_e32 v62, 0
	ds_read2_b64 v[63:66], v62 offset0:45 offset1:46
	ds_read2_b64 v[67:70], v62 offset0:47 offset1:48
	;; [unrolled: 1-line block ×7, first 2 shown]
	ds_read_b64 v[91:92], v62 offset:472
	s_mov_b32 s4, exec_lo
	s_waitcnt vmcnt(31) lgkmcnt(7)
	v_mul_f32_e32 v125, v63, v93
	v_mul_f32_e32 v93, v64, v93
	s_waitcnt vmcnt(30)
	v_mul_f32_e32 v126, v65, v94
	v_mul_f32_e32 v94, v66, v94
	s_waitcnt vmcnt(29) lgkmcnt(6)
	v_mul_f32_e32 v127, v67, v95
	s_waitcnt vmcnt(28)
	v_mul_f32_e32 v128, v69, v96
	s_waitcnt vmcnt(27) lgkmcnt(5)
	v_mul_f32_e32 v129, v71, v97
	s_waitcnt vmcnt(26)
	;; [unrolled: 4-line block ×6, first 2 shown]
	v_fma_f32 v63, v63, v108, -v93
	v_fmac_f32_e32 v125, v64, v108
	v_mul_f32_e32 v64, v68, v95
	s_waitcnt vmcnt(15)
	v_fma_f32 v65, v65, v109, -v94
	v_fmac_f32_e32 v126, v66, v109
	v_add_f32_e32 v63, 0, v63
	v_add_f32_e32 v66, 0, v125
	v_mul_f32_e32 v93, v70, v96
	s_waitcnt vmcnt(14)
	v_fma_f32 v64, v67, v110, -v64
	v_fmac_f32_e32 v127, v68, v110
	v_add_f32_e32 v63, v63, v65
	v_add_f32_e32 v65, v66, v126
	;; [unrolled: 6-line block ×11, first 2 shown]
	v_mul_f32_e32 v66, v90, v106
	s_waitcnt vmcnt(4)
	v_fma_f32 v67, v87, v120, -v67
	v_mul_f32_e32 v138, v89, v106
	v_add_f32_e32 v63, v63, v65
	v_fmac_f32_e32 v137, v88, v120
	v_add_f32_e32 v64, v64, v136
	s_waitcnt lgkmcnt(0)
	v_mul_f32_e32 v65, v92, v107
	s_waitcnt vmcnt(3)
	v_fma_f32 v66, v89, v121, -v66
	v_add_f32_e32 v63, v63, v67
	v_mul_f32_e32 v139, v91, v107
	v_fmac_f32_e32 v138, v90, v121
	v_add_f32_e32 v64, v64, v137
	s_waitcnt vmcnt(2)
	v_fma_f32 v65, v91, v122, -v65
	v_add_f32_e32 v63, v63, v66
	v_fmac_f32_e32 v139, v92, v122
	v_add_f32_e32 v64, v64, v138
	v_add_f32_e32 v63, v63, v65
	;; [unrolled: 1-line block ×3, first 2 shown]
	s_waitcnt vmcnt(1)
	v_sub_f32_e32 v63, v123, v63
	s_waitcnt vmcnt(0)
	v_sub_f32_e32 v64, v124, v64
	buffer_store_dword v63, off, s[0:3], 0 offset:112
	buffer_store_dword v64, off, s[0:3], 0 offset:116
	v_cmpx_lt_u32_e32 13, v0
	s_cbranch_execz .LBB29_167
; %bb.166:
	s_clause 0x1
	buffer_load_dword v63, off, s[0:3], 0 offset:104
	buffer_load_dword v64, off, s[0:3], 0 offset:108
	buffer_store_dword v62, off, s[0:3], 0 offset:104
	buffer_store_dword v62, off, s[0:3], 0 offset:108
	s_waitcnt vmcnt(0)
	ds_write_b64 v61, v[63:64]
.LBB29_167:
	s_or_b32 exec_lo, exec_lo, s4
	s_waitcnt lgkmcnt(0)
	s_waitcnt_vscnt null, 0x0
	s_barrier
	buffer_gl0_inv
	s_clause 0x21
	buffer_load_dword v95, off, s[0:3], 0 offset:116
	buffer_load_dword v96, off, s[0:3], 0 offset:124
	;; [unrolled: 1-line block ×34, first 2 shown]
	ds_read_b128 v[63:66], v62 offset:352
	ds_read_b128 v[67:70], v62 offset:368
	ds_read_b128 v[71:74], v62 offset:384
	ds_read_b128 v[75:78], v62 offset:400
	ds_read_b128 v[79:82], v62 offset:416
	ds_read_b128 v[83:86], v62 offset:432
	ds_read_b128 v[87:90], v62 offset:448
	ds_read_b128 v[91:94], v62 offset:464
	s_mov_b32 s4, exec_lo
	s_waitcnt vmcnt(33) lgkmcnt(7)
	v_mul_f32_e32 v62, v63, v95
	v_mul_f32_e32 v95, v64, v95
	s_waitcnt vmcnt(32)
	v_mul_f32_e32 v129, v65, v96
	v_mul_f32_e32 v96, v66, v96
	s_waitcnt vmcnt(31) lgkmcnt(6)
	v_mul_f32_e32 v130, v67, v97
	s_waitcnt vmcnt(30)
	v_mul_f32_e32 v131, v69, v98
	s_waitcnt vmcnt(29) lgkmcnt(5)
	v_mul_f32_e32 v132, v71, v99
	s_waitcnt vmcnt(28)
	;; [unrolled: 4-line block ×6, first 2 shown]
	v_mul_f32_e32 v141, v89, v108
	s_waitcnt vmcnt(17)
	v_fma_f32 v63, v63, v111, -v95
	v_fmac_f32_e32 v62, v64, v111
	v_mul_f32_e32 v64, v68, v97
	s_waitcnt vmcnt(16)
	v_fma_f32 v65, v65, v112, -v96
	v_fmac_f32_e32 v129, v66, v112
	v_add_f32_e32 v63, 0, v63
	v_add_f32_e32 v62, 0, v62
	v_mul_f32_e32 v66, v70, v98
	s_waitcnt vmcnt(15)
	v_fma_f32 v64, v67, v113, -v64
	v_fmac_f32_e32 v130, v68, v113
	v_add_f32_e32 v63, v63, v65
	v_add_f32_e32 v62, v62, v129
	v_mul_f32_e32 v65, v72, v99
	s_waitcnt vmcnt(14)
	v_fma_f32 v66, v69, v114, -v66
	v_fmac_f32_e32 v131, v70, v114
	v_add_f32_e32 v63, v63, v64
	v_add_f32_e32 v62, v62, v130
	v_mul_f32_e32 v64, v74, v100
	s_waitcnt vmcnt(13)
	v_fma_f32 v65, v71, v115, -v65
	v_fmac_f32_e32 v132, v72, v115
	v_add_f32_e32 v63, v63, v66
	v_add_f32_e32 v62, v62, v131
	v_mul_f32_e32 v66, v76, v101
	s_waitcnt vmcnt(12)
	v_fma_f32 v64, v73, v116, -v64
	v_fmac_f32_e32 v133, v74, v116
	v_add_f32_e32 v63, v63, v65
	v_add_f32_e32 v62, v62, v132
	v_mul_f32_e32 v65, v78, v102
	s_waitcnt vmcnt(11)
	v_fma_f32 v66, v75, v117, -v66
	v_fmac_f32_e32 v134, v76, v117
	v_add_f32_e32 v63, v63, v64
	v_add_f32_e32 v62, v62, v133
	v_mul_f32_e32 v64, v80, v103
	s_waitcnt vmcnt(10)
	v_fma_f32 v65, v77, v118, -v65
	v_fmac_f32_e32 v135, v78, v118
	v_add_f32_e32 v63, v63, v66
	v_add_f32_e32 v62, v62, v134
	v_mul_f32_e32 v66, v82, v104
	s_waitcnt vmcnt(9)
	v_fma_f32 v64, v79, v119, -v64
	v_fmac_f32_e32 v136, v80, v119
	v_add_f32_e32 v63, v63, v65
	v_add_f32_e32 v62, v62, v135
	v_mul_f32_e32 v65, v84, v105
	s_waitcnt vmcnt(8)
	v_fma_f32 v66, v81, v120, -v66
	v_fmac_f32_e32 v137, v82, v120
	v_add_f32_e32 v63, v63, v64
	v_add_f32_e32 v62, v62, v136
	v_mul_f32_e32 v64, v86, v106
	s_waitcnt vmcnt(7)
	v_fma_f32 v65, v83, v121, -v65
	v_fmac_f32_e32 v138, v84, v121
	v_add_f32_e32 v63, v63, v66
	v_add_f32_e32 v62, v62, v137
	v_mul_f32_e32 v66, v88, v107
	s_waitcnt vmcnt(6)
	v_fma_f32 v64, v85, v122, -v64
	v_fmac_f32_e32 v139, v86, v122
	v_add_f32_e32 v63, v63, v65
	v_add_f32_e32 v62, v62, v138
	v_mul_f32_e32 v65, v90, v108
	s_waitcnt vmcnt(5)
	v_fma_f32 v66, v87, v123, -v66
	v_fmac_f32_e32 v140, v88, v123
	v_add_f32_e32 v63, v63, v64
	v_add_f32_e32 v62, v62, v139
	s_waitcnt lgkmcnt(0)
	v_mul_f32_e32 v64, v92, v109
	s_waitcnt vmcnt(4)
	v_fma_f32 v65, v89, v124, -v65
	v_mul_f32_e32 v142, v91, v109
	v_add_f32_e32 v63, v63, v66
	v_fmac_f32_e32 v141, v90, v124
	v_add_f32_e32 v62, v62, v140
	v_mul_f32_e32 v66, v94, v110
	s_waitcnt vmcnt(3)
	v_fma_f32 v64, v91, v125, -v64
	v_add_f32_e32 v63, v63, v65
	v_mul_f32_e32 v143, v93, v110
	v_fmac_f32_e32 v142, v92, v125
	v_add_f32_e32 v62, v62, v141
	s_waitcnt vmcnt(2)
	v_fma_f32 v65, v93, v126, -v66
	v_add_f32_e32 v63, v63, v64
	v_fmac_f32_e32 v143, v94, v126
	v_add_f32_e32 v62, v62, v142
	v_add_f32_e32 v63, v63, v65
	;; [unrolled: 1-line block ×3, first 2 shown]
	s_waitcnt vmcnt(1)
	v_sub_f32_e32 v63, v127, v63
	s_waitcnt vmcnt(0)
	v_sub_f32_e32 v62, v128, v62
	buffer_store_dword v63, off, s[0:3], 0 offset:104
	buffer_store_dword v62, off, s[0:3], 0 offset:108
	v_cmpx_lt_u32_e32 12, v0
	s_cbranch_execz .LBB29_169
; %bb.168:
	s_clause 0x1
	buffer_load_dword v62, off, s[0:3], 0 offset:96
	buffer_load_dword v63, off, s[0:3], 0 offset:100
	v_mov_b32_e32 v64, 0
	buffer_store_dword v64, off, s[0:3], 0 offset:96
	buffer_store_dword v64, off, s[0:3], 0 offset:100
	s_waitcnt vmcnt(0)
	ds_write_b64 v61, v[62:63]
.LBB29_169:
	s_or_b32 exec_lo, exec_lo, s4
	s_waitcnt lgkmcnt(0)
	s_waitcnt_vscnt null, 0x0
	s_barrier
	buffer_gl0_inv
	s_clause 0x23
	buffer_load_dword v97, off, s[0:3], 0 offset:108
	buffer_load_dword v98, off, s[0:3], 0 offset:116
	;; [unrolled: 1-line block ×36, first 2 shown]
	v_mov_b32_e32 v62, 0
	ds_read2_b64 v[63:66], v62 offset0:43 offset1:44
	ds_read2_b64 v[67:70], v62 offset0:45 offset1:46
	;; [unrolled: 1-line block ×8, first 2 shown]
	ds_read_b64 v[95:96], v62 offset:472
	s_mov_b32 s4, exec_lo
	s_waitcnt vmcnt(35) lgkmcnt(8)
	v_mul_f32_e32 v133, v63, v97
	v_mul_f32_e32 v97, v64, v97
	s_waitcnt vmcnt(34)
	v_mul_f32_e32 v134, v65, v98
	v_mul_f32_e32 v98, v66, v98
	s_waitcnt vmcnt(33) lgkmcnt(7)
	v_mul_f32_e32 v135, v67, v99
	s_waitcnt vmcnt(32)
	v_mul_f32_e32 v136, v69, v100
	s_waitcnt vmcnt(31) lgkmcnt(6)
	v_mul_f32_e32 v137, v71, v101
	s_waitcnt vmcnt(30)
	v_mul_f32_e32 v138, v73, v102
	s_waitcnt vmcnt(29) lgkmcnt(5)
	v_mul_f32_e32 v139, v75, v103
	s_waitcnt vmcnt(28)
	v_mul_f32_e32 v140, v77, v104
	s_waitcnt vmcnt(27) lgkmcnt(4)
	v_mul_f32_e32 v141, v79, v105
	s_waitcnt vmcnt(26)
	v_mul_f32_e32 v142, v81, v106
	s_waitcnt vmcnt(25) lgkmcnt(3)
	v_mul_f32_e32 v143, v83, v107
	s_waitcnt vmcnt(24)
	v_mul_f32_e32 v144, v85, v108
	s_waitcnt vmcnt(23) lgkmcnt(2)
	v_mul_f32_e32 v145, v87, v109
	s_waitcnt vmcnt(22)
	v_mul_f32_e32 v146, v89, v110
	s_waitcnt vmcnt(21) lgkmcnt(1)
	v_mul_f32_e32 v147, v91, v111
	s_waitcnt vmcnt(18)
	v_fma_f32 v63, v63, v114, -v97
	v_fmac_f32_e32 v133, v64, v114
	v_mul_f32_e32 v64, v68, v99
	s_waitcnt vmcnt(17)
	v_fma_f32 v65, v65, v115, -v98
	v_fmac_f32_e32 v134, v66, v115
	v_add_f32_e32 v63, 0, v63
	v_add_f32_e32 v66, 0, v133
	v_mul_f32_e32 v97, v70, v100
	s_waitcnt vmcnt(16)
	v_fma_f32 v64, v67, v116, -v64
	v_fmac_f32_e32 v135, v68, v116
	v_add_f32_e32 v63, v63, v65
	v_add_f32_e32 v65, v66, v134
	;; [unrolled: 6-line block ×13, first 2 shown]
	v_mul_f32_e32 v67, v94, v112
	s_waitcnt vmcnt(4)
	v_fma_f32 v65, v91, v128, -v65
	v_mul_f32_e32 v148, v93, v112
	v_add_f32_e32 v63, v63, v66
	v_fmac_f32_e32 v147, v92, v128
	v_add_f32_e32 v64, v64, v146
	s_waitcnt lgkmcnt(0)
	v_mul_f32_e32 v66, v96, v113
	s_waitcnt vmcnt(3)
	v_fma_f32 v67, v93, v129, -v67
	v_add_f32_e32 v63, v63, v65
	v_mul_f32_e32 v149, v95, v113
	v_fmac_f32_e32 v148, v94, v129
	v_add_f32_e32 v64, v64, v147
	s_waitcnt vmcnt(2)
	v_fma_f32 v65, v95, v130, -v66
	v_add_f32_e32 v63, v63, v67
	v_fmac_f32_e32 v149, v96, v130
	v_add_f32_e32 v64, v64, v148
	v_add_f32_e32 v63, v63, v65
	;; [unrolled: 1-line block ×3, first 2 shown]
	s_waitcnt vmcnt(1)
	v_sub_f32_e32 v63, v131, v63
	s_waitcnt vmcnt(0)
	v_sub_f32_e32 v64, v132, v64
	buffer_store_dword v63, off, s[0:3], 0 offset:96
	buffer_store_dword v64, off, s[0:3], 0 offset:100
	v_cmpx_lt_u32_e32 11, v0
	s_cbranch_execz .LBB29_171
; %bb.170:
	s_clause 0x1
	buffer_load_dword v63, off, s[0:3], 0 offset:88
	buffer_load_dword v64, off, s[0:3], 0 offset:92
	buffer_store_dword v62, off, s[0:3], 0 offset:88
	buffer_store_dword v62, off, s[0:3], 0 offset:92
	s_waitcnt vmcnt(0)
	ds_write_b64 v61, v[63:64]
.LBB29_171:
	s_or_b32 exec_lo, exec_lo, s4
	s_waitcnt lgkmcnt(0)
	s_waitcnt_vscnt null, 0x0
	s_barrier
	buffer_gl0_inv
	s_clause 0x25
	buffer_load_dword v99, off, s[0:3], 0 offset:100
	buffer_load_dword v100, off, s[0:3], 0 offset:108
	;; [unrolled: 1-line block ×38, first 2 shown]
	ds_read_b128 v[63:66], v62 offset:336
	ds_read_b128 v[67:70], v62 offset:352
	;; [unrolled: 1-line block ×9, first 2 shown]
	s_mov_b32 s4, exec_lo
	s_waitcnt vmcnt(37) lgkmcnt(8)
	v_mul_f32_e32 v62, v63, v99
	v_mul_f32_e32 v99, v64, v99
	s_waitcnt vmcnt(36)
	v_mul_f32_e32 v137, v65, v100
	v_mul_f32_e32 v100, v66, v100
	s_waitcnt vmcnt(35) lgkmcnt(7)
	v_mul_f32_e32 v138, v67, v101
	s_waitcnt vmcnt(34)
	v_mul_f32_e32 v139, v69, v102
	s_waitcnt vmcnt(33) lgkmcnt(6)
	v_mul_f32_e32 v140, v71, v103
	s_waitcnt vmcnt(32)
	;; [unrolled: 4-line block ×7, first 2 shown]
	v_mul_f32_e32 v151, v93, v114
	s_waitcnt vmcnt(19)
	v_fma_f32 v63, v63, v117, -v99
	v_fmac_f32_e32 v62, v64, v117
	v_mul_f32_e32 v64, v68, v101
	s_waitcnt vmcnt(18)
	v_fma_f32 v65, v65, v118, -v100
	v_fmac_f32_e32 v137, v66, v118
	v_add_f32_e32 v63, 0, v63
	v_add_f32_e32 v62, 0, v62
	v_mul_f32_e32 v66, v70, v102
	s_waitcnt vmcnt(17)
	v_fma_f32 v64, v67, v119, -v64
	v_fmac_f32_e32 v138, v68, v119
	v_add_f32_e32 v63, v63, v65
	v_add_f32_e32 v62, v62, v137
	;; [unrolled: 6-line block ×14, first 2 shown]
	s_waitcnt lgkmcnt(0)
	v_mul_f32_e32 v65, v96, v115
	s_waitcnt vmcnt(4)
	v_fma_f32 v66, v93, v132, -v66
	v_mul_f32_e32 v152, v95, v115
	v_add_f32_e32 v63, v63, v64
	v_fmac_f32_e32 v151, v94, v132
	v_add_f32_e32 v62, v62, v150
	v_mul_f32_e32 v64, v98, v116
	s_waitcnt vmcnt(3)
	v_fma_f32 v65, v95, v133, -v65
	v_add_f32_e32 v63, v63, v66
	v_mul_f32_e32 v153, v97, v116
	v_fmac_f32_e32 v152, v96, v133
	v_add_f32_e32 v62, v62, v151
	s_waitcnt vmcnt(2)
	v_fma_f32 v64, v97, v134, -v64
	v_add_f32_e32 v63, v63, v65
	v_fmac_f32_e32 v153, v98, v134
	v_add_f32_e32 v62, v62, v152
	v_add_f32_e32 v63, v63, v64
	;; [unrolled: 1-line block ×3, first 2 shown]
	s_waitcnt vmcnt(1)
	v_sub_f32_e32 v63, v135, v63
	s_waitcnt vmcnt(0)
	v_sub_f32_e32 v62, v136, v62
	buffer_store_dword v63, off, s[0:3], 0 offset:88
	buffer_store_dword v62, off, s[0:3], 0 offset:92
	v_cmpx_lt_u32_e32 10, v0
	s_cbranch_execz .LBB29_173
; %bb.172:
	s_clause 0x1
	buffer_load_dword v62, off, s[0:3], 0 offset:80
	buffer_load_dword v63, off, s[0:3], 0 offset:84
	v_mov_b32_e32 v64, 0
	buffer_store_dword v64, off, s[0:3], 0 offset:80
	buffer_store_dword v64, off, s[0:3], 0 offset:84
	s_waitcnt vmcnt(0)
	ds_write_b64 v61, v[62:63]
.LBB29_173:
	s_or_b32 exec_lo, exec_lo, s4
	s_waitcnt lgkmcnt(0)
	s_waitcnt_vscnt null, 0x0
	s_barrier
	buffer_gl0_inv
	s_clause 0x27
	buffer_load_dword v101, off, s[0:3], 0 offset:92
	buffer_load_dword v102, off, s[0:3], 0 offset:100
	;; [unrolled: 1-line block ×40, first 2 shown]
	v_mov_b32_e32 v62, 0
	ds_read2_b64 v[63:66], v62 offset0:41 offset1:42
	ds_read2_b64 v[67:70], v62 offset0:43 offset1:44
	ds_read2_b64 v[71:74], v62 offset0:45 offset1:46
	ds_read2_b64 v[75:78], v62 offset0:47 offset1:48
	ds_read2_b64 v[79:82], v62 offset0:49 offset1:50
	ds_read2_b64 v[83:86], v62 offset0:51 offset1:52
	ds_read2_b64 v[87:90], v62 offset0:53 offset1:54
	ds_read2_b64 v[91:94], v62 offset0:55 offset1:56
	ds_read2_b64 v[95:98], v62 offset0:57 offset1:58
	ds_read_b64 v[99:100], v62 offset:472
	s_mov_b32 s4, exec_lo
	s_waitcnt vmcnt(39) lgkmcnt(9)
	v_mul_f32_e32 v141, v63, v101
	v_mul_f32_e32 v101, v64, v101
	s_waitcnt vmcnt(38)
	v_mul_f32_e32 v142, v65, v102
	v_mul_f32_e32 v102, v66, v102
	s_waitcnt vmcnt(37) lgkmcnt(8)
	v_mul_f32_e32 v143, v67, v103
	s_waitcnt vmcnt(36)
	v_mul_f32_e32 v144, v69, v104
	s_waitcnt vmcnt(35) lgkmcnt(7)
	v_mul_f32_e32 v145, v71, v105
	s_waitcnt vmcnt(34)
	;; [unrolled: 4-line block ×8, first 2 shown]
	v_fma_f32 v63, v63, v120, -v101
	v_fmac_f32_e32 v141, v64, v120
	v_mul_f32_e32 v64, v68, v103
	s_waitcnt vmcnt(19)
	v_fma_f32 v65, v65, v121, -v102
	v_fmac_f32_e32 v142, v66, v121
	v_add_f32_e32 v63, 0, v63
	v_add_f32_e32 v66, 0, v141
	v_mul_f32_e32 v101, v70, v104
	s_waitcnt vmcnt(18)
	v_fma_f32 v64, v67, v122, -v64
	v_fmac_f32_e32 v143, v68, v122
	v_add_f32_e32 v63, v63, v65
	v_add_f32_e32 v65, v66, v142
	;; [unrolled: 6-line block ×15, first 2 shown]
	v_mul_f32_e32 v65, v98, v118
	s_waitcnt vmcnt(4)
	v_fma_f32 v66, v95, v136, -v66
	v_mul_f32_e32 v158, v97, v118
	v_add_f32_e32 v63, v63, v67
	v_fmac_f32_e32 v157, v96, v136
	v_add_f32_e32 v64, v64, v156
	s_waitcnt lgkmcnt(0)
	v_mul_f32_e32 v67, v100, v119
	s_waitcnt vmcnt(3)
	v_fma_f32 v65, v97, v137, -v65
	v_add_f32_e32 v63, v63, v66
	v_mul_f32_e32 v159, v99, v119
	v_fmac_f32_e32 v158, v98, v137
	v_add_f32_e32 v64, v64, v157
	s_waitcnt vmcnt(2)
	v_fma_f32 v66, v99, v138, -v67
	v_add_f32_e32 v63, v63, v65
	v_fmac_f32_e32 v159, v100, v138
	v_add_f32_e32 v64, v64, v158
	v_add_f32_e32 v63, v63, v66
	;; [unrolled: 1-line block ×3, first 2 shown]
	s_waitcnt vmcnt(1)
	v_sub_f32_e32 v63, v139, v63
	s_waitcnt vmcnt(0)
	v_sub_f32_e32 v64, v140, v64
	buffer_store_dword v63, off, s[0:3], 0 offset:80
	buffer_store_dword v64, off, s[0:3], 0 offset:84
	v_cmpx_lt_u32_e32 9, v0
	s_cbranch_execz .LBB29_175
; %bb.174:
	s_clause 0x1
	buffer_load_dword v63, off, s[0:3], 0 offset:72
	buffer_load_dword v64, off, s[0:3], 0 offset:76
	buffer_store_dword v62, off, s[0:3], 0 offset:72
	buffer_store_dword v62, off, s[0:3], 0 offset:76
	s_waitcnt vmcnt(0)
	ds_write_b64 v61, v[63:64]
.LBB29_175:
	s_or_b32 exec_lo, exec_lo, s4
	s_waitcnt lgkmcnt(0)
	s_waitcnt_vscnt null, 0x0
	s_barrier
	buffer_gl0_inv
	s_clause 0x29
	buffer_load_dword v103, off, s[0:3], 0 offset:84
	buffer_load_dword v104, off, s[0:3], 0 offset:92
	;; [unrolled: 1-line block ×42, first 2 shown]
	ds_read_b128 v[63:66], v62 offset:320
	ds_read_b128 v[67:70], v62 offset:336
	;; [unrolled: 1-line block ×10, first 2 shown]
	s_mov_b32 s4, exec_lo
	s_waitcnt vmcnt(41) lgkmcnt(9)
	v_mul_f32_e32 v62, v63, v103
	v_mul_f32_e32 v103, v64, v103
	s_waitcnt vmcnt(40)
	v_mul_f32_e32 v145, v65, v104
	v_mul_f32_e32 v104, v66, v104
	s_waitcnt vmcnt(39) lgkmcnt(8)
	v_mul_f32_e32 v146, v67, v105
	s_waitcnt vmcnt(38)
	v_mul_f32_e32 v147, v69, v106
	s_waitcnt vmcnt(37) lgkmcnt(7)
	v_mul_f32_e32 v148, v71, v107
	s_waitcnt vmcnt(36)
	;; [unrolled: 4-line block ×8, first 2 shown]
	v_mul_f32_e32 v161, v97, v120
	s_waitcnt vmcnt(21)
	v_fma_f32 v63, v63, v123, -v103
	v_fmac_f32_e32 v62, v64, v123
	v_mul_f32_e32 v64, v68, v105
	s_waitcnt vmcnt(20)
	v_fma_f32 v65, v65, v124, -v104
	v_fmac_f32_e32 v145, v66, v124
	v_add_f32_e32 v63, 0, v63
	v_add_f32_e32 v62, 0, v62
	v_mul_f32_e32 v66, v70, v106
	s_waitcnt vmcnt(19)
	v_fma_f32 v64, v67, v125, -v64
	v_fmac_f32_e32 v146, v68, v125
	v_add_f32_e32 v63, v63, v65
	v_add_f32_e32 v62, v62, v145
	v_mul_f32_e32 v65, v72, v107
	s_waitcnt vmcnt(18)
	v_fma_f32 v66, v69, v126, -v66
	v_fmac_f32_e32 v147, v70, v126
	v_add_f32_e32 v63, v63, v64
	v_add_f32_e32 v62, v62, v146
	v_mul_f32_e32 v64, v74, v108
	s_waitcnt vmcnt(17)
	v_fma_f32 v65, v71, v127, -v65
	v_fmac_f32_e32 v148, v72, v127
	v_add_f32_e32 v63, v63, v66
	v_add_f32_e32 v62, v62, v147
	v_mul_f32_e32 v66, v76, v109
	s_waitcnt vmcnt(16)
	v_fma_f32 v64, v73, v128, -v64
	v_fmac_f32_e32 v149, v74, v128
	v_add_f32_e32 v63, v63, v65
	v_add_f32_e32 v62, v62, v148
	v_mul_f32_e32 v65, v78, v110
	s_waitcnt vmcnt(15)
	v_fma_f32 v66, v75, v129, -v66
	v_fmac_f32_e32 v150, v76, v129
	v_add_f32_e32 v63, v63, v64
	v_add_f32_e32 v62, v62, v149
	v_mul_f32_e32 v64, v80, v111
	s_waitcnt vmcnt(14)
	v_fma_f32 v65, v77, v130, -v65
	v_fmac_f32_e32 v151, v78, v130
	v_add_f32_e32 v63, v63, v66
	v_add_f32_e32 v62, v62, v150
	v_mul_f32_e32 v66, v82, v112
	s_waitcnt vmcnt(13)
	v_fma_f32 v64, v79, v131, -v64
	v_fmac_f32_e32 v152, v80, v131
	v_add_f32_e32 v63, v63, v65
	v_add_f32_e32 v62, v62, v151
	v_mul_f32_e32 v65, v84, v113
	s_waitcnt vmcnt(12)
	v_fma_f32 v66, v81, v132, -v66
	v_fmac_f32_e32 v153, v82, v132
	v_add_f32_e32 v63, v63, v64
	v_add_f32_e32 v62, v62, v152
	v_mul_f32_e32 v64, v86, v114
	s_waitcnt vmcnt(11)
	v_fma_f32 v65, v83, v133, -v65
	v_fmac_f32_e32 v154, v84, v133
	v_add_f32_e32 v63, v63, v66
	v_add_f32_e32 v62, v62, v153
	v_mul_f32_e32 v66, v88, v115
	s_waitcnt vmcnt(10)
	v_fma_f32 v64, v85, v134, -v64
	v_fmac_f32_e32 v155, v86, v134
	v_add_f32_e32 v63, v63, v65
	v_add_f32_e32 v62, v62, v154
	v_mul_f32_e32 v65, v90, v116
	s_waitcnt vmcnt(9)
	v_fma_f32 v66, v87, v135, -v66
	v_fmac_f32_e32 v156, v88, v135
	v_add_f32_e32 v63, v63, v64
	v_add_f32_e32 v62, v62, v155
	v_mul_f32_e32 v64, v92, v117
	s_waitcnt vmcnt(8)
	v_fma_f32 v65, v89, v136, -v65
	v_fmac_f32_e32 v157, v90, v136
	v_add_f32_e32 v63, v63, v66
	v_add_f32_e32 v62, v62, v156
	v_mul_f32_e32 v66, v94, v118
	s_waitcnt vmcnt(7)
	v_fma_f32 v64, v91, v137, -v64
	v_fmac_f32_e32 v158, v92, v137
	v_add_f32_e32 v63, v63, v65
	v_add_f32_e32 v62, v62, v157
	v_mul_f32_e32 v65, v96, v119
	s_waitcnt vmcnt(6)
	v_fma_f32 v66, v93, v138, -v66
	v_fmac_f32_e32 v159, v94, v138
	v_add_f32_e32 v63, v63, v64
	v_add_f32_e32 v62, v62, v158
	v_mul_f32_e32 v64, v98, v120
	s_waitcnt vmcnt(5)
	v_fma_f32 v65, v95, v139, -v65
	v_fmac_f32_e32 v160, v96, v139
	v_add_f32_e32 v63, v63, v66
	v_add_f32_e32 v62, v62, v159
	s_waitcnt lgkmcnt(0)
	v_mul_f32_e32 v66, v100, v121
	s_waitcnt vmcnt(4)
	v_fma_f32 v64, v97, v140, -v64
	v_mul_f32_e32 v162, v99, v121
	v_add_f32_e32 v63, v63, v65
	v_fmac_f32_e32 v161, v98, v140
	v_add_f32_e32 v62, v62, v160
	v_mul_f32_e32 v65, v102, v122
	s_waitcnt vmcnt(3)
	v_fma_f32 v66, v99, v141, -v66
	v_add_f32_e32 v63, v63, v64
	v_mul_f32_e32 v163, v101, v122
	v_fmac_f32_e32 v162, v100, v141
	v_add_f32_e32 v62, v62, v161
	s_waitcnt vmcnt(2)
	v_fma_f32 v64, v101, v142, -v65
	v_add_f32_e32 v63, v63, v66
	v_fmac_f32_e32 v163, v102, v142
	v_add_f32_e32 v62, v62, v162
	v_add_f32_e32 v63, v63, v64
	;; [unrolled: 1-line block ×3, first 2 shown]
	s_waitcnt vmcnt(1)
	v_sub_f32_e32 v63, v143, v63
	s_waitcnt vmcnt(0)
	v_sub_f32_e32 v62, v144, v62
	buffer_store_dword v63, off, s[0:3], 0 offset:72
	buffer_store_dword v62, off, s[0:3], 0 offset:76
	v_cmpx_lt_u32_e32 8, v0
	s_cbranch_execz .LBB29_177
; %bb.176:
	s_clause 0x1
	buffer_load_dword v62, off, s[0:3], 0 offset:64
	buffer_load_dword v63, off, s[0:3], 0 offset:68
	v_mov_b32_e32 v64, 0
	buffer_store_dword v64, off, s[0:3], 0 offset:64
	buffer_store_dword v64, off, s[0:3], 0 offset:68
	s_waitcnt vmcnt(0)
	ds_write_b64 v61, v[62:63]
.LBB29_177:
	s_or_b32 exec_lo, exec_lo, s4
	s_waitcnt lgkmcnt(0)
	s_waitcnt_vscnt null, 0x0
	s_barrier
	buffer_gl0_inv
	s_clause 0x2b
	buffer_load_dword v105, off, s[0:3], 0 offset:76
	buffer_load_dword v106, off, s[0:3], 0 offset:84
	;; [unrolled: 1-line block ×44, first 2 shown]
	v_mov_b32_e32 v62, 0
	ds_read2_b64 v[63:66], v62 offset0:39 offset1:40
	ds_read2_b64 v[67:70], v62 offset0:41 offset1:42
	;; [unrolled: 1-line block ×10, first 2 shown]
	ds_read_b64 v[103:104], v62 offset:472
	s_mov_b32 s4, exec_lo
	s_waitcnt vmcnt(43) lgkmcnt(10)
	v_mul_f32_e32 v149, v63, v105
	v_mul_f32_e32 v105, v64, v105
	s_waitcnt vmcnt(42)
	v_mul_f32_e32 v150, v65, v106
	v_mul_f32_e32 v106, v66, v106
	s_waitcnt vmcnt(41) lgkmcnt(9)
	v_mul_f32_e32 v151, v67, v107
	s_waitcnt vmcnt(40)
	v_mul_f32_e32 v152, v69, v108
	s_waitcnt vmcnt(39) lgkmcnt(8)
	v_mul_f32_e32 v153, v71, v109
	s_waitcnt vmcnt(38)
	;; [unrolled: 4-line block ×9, first 2 shown]
	v_fma_f32 v63, v63, v126, -v105
	v_fmac_f32_e32 v149, v64, v126
	v_mul_f32_e32 v64, v68, v107
	s_waitcnt vmcnt(21)
	v_fma_f32 v65, v65, v127, -v106
	v_fmac_f32_e32 v150, v66, v127
	v_add_f32_e32 v63, 0, v63
	v_add_f32_e32 v66, 0, v149
	v_mul_f32_e32 v105, v70, v108
	s_waitcnt vmcnt(20)
	v_fma_f32 v64, v67, v128, -v64
	v_fmac_f32_e32 v151, v68, v128
	v_add_f32_e32 v63, v63, v65
	v_add_f32_e32 v65, v66, v150
	;; [unrolled: 6-line block ×17, first 2 shown]
	v_mul_f32_e32 v66, v102, v124
	s_waitcnt vmcnt(4)
	v_fma_f32 v67, v99, v144, -v67
	v_mul_f32_e32 v168, v101, v124
	v_add_f32_e32 v63, v63, v65
	v_fmac_f32_e32 v167, v100, v144
	v_add_f32_e32 v64, v64, v166
	s_waitcnt lgkmcnt(0)
	v_mul_f32_e32 v65, v104, v125
	s_waitcnt vmcnt(3)
	v_fma_f32 v66, v101, v145, -v66
	v_add_f32_e32 v63, v63, v67
	v_mul_f32_e32 v169, v103, v125
	v_fmac_f32_e32 v168, v102, v145
	v_add_f32_e32 v64, v64, v167
	s_waitcnt vmcnt(2)
	v_fma_f32 v65, v103, v146, -v65
	v_add_f32_e32 v63, v63, v66
	v_fmac_f32_e32 v169, v104, v146
	v_add_f32_e32 v64, v64, v168
	v_add_f32_e32 v63, v63, v65
	v_add_f32_e32 v64, v64, v169
	s_waitcnt vmcnt(1)
	v_sub_f32_e32 v63, v147, v63
	s_waitcnt vmcnt(0)
	v_sub_f32_e32 v64, v148, v64
	buffer_store_dword v63, off, s[0:3], 0 offset:64
	buffer_store_dword v64, off, s[0:3], 0 offset:68
	v_cmpx_lt_u32_e32 7, v0
	s_cbranch_execz .LBB29_179
; %bb.178:
	s_clause 0x1
	buffer_load_dword v63, off, s[0:3], 0 offset:56
	buffer_load_dword v64, off, s[0:3], 0 offset:60
	buffer_store_dword v62, off, s[0:3], 0 offset:56
	buffer_store_dword v62, off, s[0:3], 0 offset:60
	s_waitcnt vmcnt(0)
	ds_write_b64 v61, v[63:64]
.LBB29_179:
	s_or_b32 exec_lo, exec_lo, s4
	s_waitcnt lgkmcnt(0)
	s_waitcnt_vscnt null, 0x0
	s_barrier
	buffer_gl0_inv
	s_clause 0x2d
	buffer_load_dword v107, off, s[0:3], 0 offset:68
	buffer_load_dword v108, off, s[0:3], 0 offset:76
	;; [unrolled: 1-line block ×46, first 2 shown]
	ds_read_b128 v[63:66], v62 offset:304
	ds_read_b128 v[67:70], v62 offset:320
	;; [unrolled: 1-line block ×11, first 2 shown]
	s_mov_b32 s4, exec_lo
	s_waitcnt vmcnt(45) lgkmcnt(10)
	v_mul_f32_e32 v62, v63, v107
	v_mul_f32_e32 v107, v64, v107
	s_waitcnt vmcnt(44)
	v_mul_f32_e32 v153, v65, v108
	v_mul_f32_e32 v108, v66, v108
	s_waitcnt vmcnt(43) lgkmcnt(9)
	v_mul_f32_e32 v154, v67, v109
	s_waitcnt vmcnt(42)
	v_mul_f32_e32 v155, v69, v110
	s_waitcnt vmcnt(41) lgkmcnt(8)
	v_mul_f32_e32 v156, v71, v111
	s_waitcnt vmcnt(40)
	;; [unrolled: 4-line block ×9, first 2 shown]
	v_mul_f32_e32 v171, v101, v126
	s_waitcnt vmcnt(23)
	v_fma_f32 v63, v63, v129, -v107
	v_fmac_f32_e32 v62, v64, v129
	v_mul_f32_e32 v64, v68, v109
	s_waitcnt vmcnt(22)
	v_fma_f32 v65, v65, v130, -v108
	v_fmac_f32_e32 v153, v66, v130
	v_add_f32_e32 v63, 0, v63
	v_add_f32_e32 v62, 0, v62
	v_mul_f32_e32 v66, v70, v110
	s_waitcnt vmcnt(21)
	v_fma_f32 v64, v67, v131, -v64
	v_fmac_f32_e32 v154, v68, v131
	v_add_f32_e32 v63, v63, v65
	v_add_f32_e32 v62, v62, v153
	;; [unrolled: 6-line block ×18, first 2 shown]
	s_waitcnt lgkmcnt(0)
	v_mul_f32_e32 v64, v104, v127
	s_waitcnt vmcnt(4)
	v_fma_f32 v65, v101, v148, -v65
	v_mul_f32_e32 v172, v103, v127
	v_add_f32_e32 v63, v63, v66
	v_fmac_f32_e32 v171, v102, v148
	v_add_f32_e32 v62, v62, v170
	v_mul_f32_e32 v66, v106, v128
	s_waitcnt vmcnt(3)
	v_fma_f32 v64, v103, v149, -v64
	v_add_f32_e32 v63, v63, v65
	v_mul_f32_e32 v173, v105, v128
	v_fmac_f32_e32 v172, v104, v149
	v_add_f32_e32 v62, v62, v171
	s_waitcnt vmcnt(2)
	v_fma_f32 v65, v105, v150, -v66
	v_add_f32_e32 v63, v63, v64
	v_fmac_f32_e32 v173, v106, v150
	v_add_f32_e32 v62, v62, v172
	v_add_f32_e32 v63, v63, v65
	;; [unrolled: 1-line block ×3, first 2 shown]
	s_waitcnt vmcnt(1)
	v_sub_f32_e32 v63, v151, v63
	s_waitcnt vmcnt(0)
	v_sub_f32_e32 v62, v152, v62
	buffer_store_dword v63, off, s[0:3], 0 offset:56
	buffer_store_dword v62, off, s[0:3], 0 offset:60
	v_cmpx_lt_u32_e32 6, v0
	s_cbranch_execz .LBB29_181
; %bb.180:
	s_clause 0x1
	buffer_load_dword v62, off, s[0:3], 0 offset:48
	buffer_load_dword v63, off, s[0:3], 0 offset:52
	v_mov_b32_e32 v64, 0
	buffer_store_dword v64, off, s[0:3], 0 offset:48
	buffer_store_dword v64, off, s[0:3], 0 offset:52
	s_waitcnt vmcnt(0)
	ds_write_b64 v61, v[62:63]
.LBB29_181:
	s_or_b32 exec_lo, exec_lo, s4
	s_waitcnt lgkmcnt(0)
	s_waitcnt_vscnt null, 0x0
	s_barrier
	buffer_gl0_inv
	s_clause 0x2f
	buffer_load_dword v109, off, s[0:3], 0 offset:60
	buffer_load_dword v110, off, s[0:3], 0 offset:68
	;; [unrolled: 1-line block ×48, first 2 shown]
	v_mov_b32_e32 v62, 0
	ds_read2_b64 v[63:66], v62 offset0:37 offset1:38
	ds_read2_b64 v[67:70], v62 offset0:39 offset1:40
	;; [unrolled: 1-line block ×11, first 2 shown]
	ds_read_b64 v[107:108], v62 offset:472
	s_mov_b32 s4, exec_lo
	s_waitcnt vmcnt(47) lgkmcnt(11)
	v_mul_f32_e32 v157, v63, v109
	v_mul_f32_e32 v109, v64, v109
	s_waitcnt vmcnt(46)
	v_mul_f32_e32 v158, v65, v110
	v_mul_f32_e32 v110, v66, v110
	s_waitcnt vmcnt(45) lgkmcnt(10)
	v_mul_f32_e32 v159, v67, v111
	s_waitcnt vmcnt(44)
	v_mul_f32_e32 v160, v69, v112
	s_waitcnt vmcnt(43) lgkmcnt(9)
	v_mul_f32_e32 v161, v71, v113
	s_waitcnt vmcnt(42)
	;; [unrolled: 4-line block ×10, first 2 shown]
	v_fma_f32 v63, v63, v132, -v109
	v_fmac_f32_e32 v157, v64, v132
	v_mul_f32_e32 v64, v68, v111
	s_waitcnt vmcnt(23)
	v_fma_f32 v65, v65, v133, -v110
	v_fmac_f32_e32 v158, v66, v133
	v_add_f32_e32 v63, 0, v63
	v_add_f32_e32 v66, 0, v157
	v_mul_f32_e32 v109, v70, v112
	s_waitcnt vmcnt(22)
	v_fma_f32 v64, v67, v134, -v64
	v_fmac_f32_e32 v159, v68, v134
	v_add_f32_e32 v63, v63, v65
	v_add_f32_e32 v65, v66, v158
	;; [unrolled: 6-line block ×19, first 2 shown]
	v_mul_f32_e32 v67, v106, v130
	s_waitcnt vmcnt(4)
	v_fma_f32 v65, v103, v152, -v65
	v_mul_f32_e32 v178, v105, v130
	v_add_f32_e32 v63, v63, v66
	v_fmac_f32_e32 v177, v104, v152
	v_add_f32_e32 v64, v64, v176
	s_waitcnt lgkmcnt(0)
	v_mul_f32_e32 v66, v108, v131
	s_waitcnt vmcnt(3)
	v_fma_f32 v67, v105, v153, -v67
	v_add_f32_e32 v63, v63, v65
	v_mul_f32_e32 v179, v107, v131
	v_fmac_f32_e32 v178, v106, v153
	v_add_f32_e32 v64, v64, v177
	s_waitcnt vmcnt(2)
	v_fma_f32 v65, v107, v154, -v66
	v_add_f32_e32 v63, v63, v67
	v_fmac_f32_e32 v179, v108, v154
	v_add_f32_e32 v64, v64, v178
	v_add_f32_e32 v63, v63, v65
	;; [unrolled: 1-line block ×3, first 2 shown]
	s_waitcnt vmcnt(1)
	v_sub_f32_e32 v63, v155, v63
	s_waitcnt vmcnt(0)
	v_sub_f32_e32 v64, v156, v64
	buffer_store_dword v63, off, s[0:3], 0 offset:48
	buffer_store_dword v64, off, s[0:3], 0 offset:52
	v_cmpx_lt_u32_e32 5, v0
	s_cbranch_execz .LBB29_183
; %bb.182:
	s_clause 0x1
	buffer_load_dword v63, off, s[0:3], 0 offset:40
	buffer_load_dword v64, off, s[0:3], 0 offset:44
	buffer_store_dword v62, off, s[0:3], 0 offset:40
	buffer_store_dword v62, off, s[0:3], 0 offset:44
	s_waitcnt vmcnt(0)
	ds_write_b64 v61, v[63:64]
.LBB29_183:
	s_or_b32 exec_lo, exec_lo, s4
	s_waitcnt lgkmcnt(0)
	s_waitcnt_vscnt null, 0x0
	s_barrier
	buffer_gl0_inv
	s_clause 0x31
	buffer_load_dword v111, off, s[0:3], 0 offset:52
	buffer_load_dword v112, off, s[0:3], 0 offset:60
	;; [unrolled: 1-line block ×50, first 2 shown]
	ds_read_b128 v[63:66], v62 offset:288
	ds_read_b128 v[67:70], v62 offset:304
	;; [unrolled: 1-line block ×12, first 2 shown]
	s_mov_b32 s4, exec_lo
	s_waitcnt vmcnt(49) lgkmcnt(11)
	v_mul_f32_e32 v62, v63, v111
	v_mul_f32_e32 v111, v64, v111
	s_waitcnt vmcnt(48)
	v_mul_f32_e32 v161, v65, v112
	v_mul_f32_e32 v112, v66, v112
	s_waitcnt vmcnt(47) lgkmcnt(10)
	v_mul_f32_e32 v162, v67, v113
	s_waitcnt vmcnt(46)
	v_mul_f32_e32 v163, v69, v114
	s_waitcnt vmcnt(45) lgkmcnt(9)
	v_mul_f32_e32 v164, v71, v115
	s_waitcnt vmcnt(44)
	;; [unrolled: 4-line block ×10, first 2 shown]
	v_mul_f32_e32 v181, v105, v132
	s_waitcnt vmcnt(25)
	v_fma_f32 v63, v63, v135, -v111
	v_fmac_f32_e32 v62, v64, v135
	v_mul_f32_e32 v64, v68, v113
	s_waitcnt vmcnt(24)
	v_fma_f32 v65, v65, v136, -v112
	v_fmac_f32_e32 v161, v66, v136
	v_add_f32_e32 v63, 0, v63
	v_add_f32_e32 v62, 0, v62
	v_mul_f32_e32 v66, v70, v114
	s_waitcnt vmcnt(23)
	v_fma_f32 v64, v67, v137, -v64
	v_fmac_f32_e32 v162, v68, v137
	v_add_f32_e32 v63, v63, v65
	v_add_f32_e32 v62, v62, v161
	;; [unrolled: 6-line block ×20, first 2 shown]
	s_waitcnt lgkmcnt(0)
	v_mul_f32_e32 v65, v108, v133
	s_waitcnt vmcnt(4)
	v_fma_f32 v66, v105, v156, -v66
	v_mul_f32_e32 v182, v107, v133
	v_add_f32_e32 v63, v63, v64
	v_fmac_f32_e32 v181, v106, v156
	v_add_f32_e32 v62, v62, v180
	v_mul_f32_e32 v64, v110, v134
	s_waitcnt vmcnt(3)
	v_fma_f32 v65, v107, v157, -v65
	v_add_f32_e32 v63, v63, v66
	v_mul_f32_e32 v183, v109, v134
	v_fmac_f32_e32 v182, v108, v157
	v_add_f32_e32 v62, v62, v181
	s_waitcnt vmcnt(2)
	v_fma_f32 v64, v109, v158, -v64
	v_add_f32_e32 v63, v63, v65
	v_fmac_f32_e32 v183, v110, v158
	v_add_f32_e32 v62, v62, v182
	v_add_f32_e32 v63, v63, v64
	;; [unrolled: 1-line block ×3, first 2 shown]
	s_waitcnt vmcnt(1)
	v_sub_f32_e32 v63, v159, v63
	s_waitcnt vmcnt(0)
	v_sub_f32_e32 v62, v160, v62
	buffer_store_dword v63, off, s[0:3], 0 offset:40
	buffer_store_dword v62, off, s[0:3], 0 offset:44
	v_cmpx_lt_u32_e32 4, v0
	s_cbranch_execz .LBB29_185
; %bb.184:
	s_clause 0x1
	buffer_load_dword v62, off, s[0:3], 0 offset:32
	buffer_load_dword v63, off, s[0:3], 0 offset:36
	v_mov_b32_e32 v64, 0
	buffer_store_dword v64, off, s[0:3], 0 offset:32
	buffer_store_dword v64, off, s[0:3], 0 offset:36
	s_waitcnt vmcnt(0)
	ds_write_b64 v61, v[62:63]
.LBB29_185:
	s_or_b32 exec_lo, exec_lo, s4
	s_waitcnt lgkmcnt(0)
	s_waitcnt_vscnt null, 0x0
	s_barrier
	buffer_gl0_inv
	s_clause 0x33
	buffer_load_dword v113, off, s[0:3], 0 offset:44
	buffer_load_dword v114, off, s[0:3], 0 offset:52
	;; [unrolled: 1-line block ×52, first 2 shown]
	v_mov_b32_e32 v62, 0
	ds_read2_b64 v[63:66], v62 offset0:35 offset1:36
	ds_read2_b64 v[67:70], v62 offset0:37 offset1:38
	;; [unrolled: 1-line block ×12, first 2 shown]
	ds_read_b64 v[111:112], v62 offset:472
	s_mov_b32 s4, exec_lo
	s_waitcnt vmcnt(51) lgkmcnt(12)
	v_mul_f32_e32 v165, v63, v113
	v_mul_f32_e32 v113, v64, v113
	s_waitcnt vmcnt(50)
	v_mul_f32_e32 v166, v65, v114
	v_mul_f32_e32 v114, v66, v114
	s_waitcnt vmcnt(49) lgkmcnt(11)
	v_mul_f32_e32 v167, v67, v115
	s_waitcnt vmcnt(48)
	v_mul_f32_e32 v168, v69, v116
	s_waitcnt vmcnt(47) lgkmcnt(10)
	v_mul_f32_e32 v169, v71, v117
	s_waitcnt vmcnt(46)
	;; [unrolled: 4-line block ×11, first 2 shown]
	v_fma_f32 v63, v63, v138, -v113
	v_fmac_f32_e32 v165, v64, v138
	v_mul_f32_e32 v64, v68, v115
	s_waitcnt vmcnt(25)
	v_fma_f32 v65, v65, v139, -v114
	v_fmac_f32_e32 v166, v66, v139
	v_add_f32_e32 v63, 0, v63
	v_add_f32_e32 v66, 0, v165
	v_mul_f32_e32 v113, v70, v116
	s_waitcnt vmcnt(24)
	v_fma_f32 v64, v67, v140, -v64
	v_fmac_f32_e32 v167, v68, v140
	v_add_f32_e32 v63, v63, v65
	v_add_f32_e32 v65, v66, v166
	;; [unrolled: 6-line block ×21, first 2 shown]
	v_mul_f32_e32 v65, v110, v136
	s_waitcnt vmcnt(4)
	v_fma_f32 v66, v107, v160, -v66
	v_mul_f32_e32 v188, v109, v136
	v_add_f32_e32 v63, v63, v67
	v_fmac_f32_e32 v187, v108, v160
	v_add_f32_e32 v64, v64, v186
	s_waitcnt lgkmcnt(0)
	v_mul_f32_e32 v67, v112, v137
	s_waitcnt vmcnt(3)
	v_fma_f32 v65, v109, v161, -v65
	v_add_f32_e32 v63, v63, v66
	v_mul_f32_e32 v189, v111, v137
	v_fmac_f32_e32 v188, v110, v161
	v_add_f32_e32 v64, v64, v187
	s_waitcnt vmcnt(2)
	v_fma_f32 v66, v111, v162, -v67
	v_add_f32_e32 v63, v63, v65
	v_fmac_f32_e32 v189, v112, v162
	v_add_f32_e32 v64, v64, v188
	v_add_f32_e32 v63, v63, v66
	;; [unrolled: 1-line block ×3, first 2 shown]
	s_waitcnt vmcnt(1)
	v_sub_f32_e32 v63, v163, v63
	s_waitcnt vmcnt(0)
	v_sub_f32_e32 v64, v164, v64
	buffer_store_dword v63, off, s[0:3], 0 offset:32
	buffer_store_dword v64, off, s[0:3], 0 offset:36
	v_cmpx_lt_u32_e32 3, v0
	s_cbranch_execz .LBB29_187
; %bb.186:
	s_clause 0x1
	buffer_load_dword v63, off, s[0:3], 0 offset:24
	buffer_load_dword v64, off, s[0:3], 0 offset:28
	buffer_store_dword v62, off, s[0:3], 0 offset:24
	buffer_store_dword v62, off, s[0:3], 0 offset:28
	s_waitcnt vmcnt(0)
	ds_write_b64 v61, v[63:64]
.LBB29_187:
	s_or_b32 exec_lo, exec_lo, s4
	s_waitcnt lgkmcnt(0)
	s_waitcnt_vscnt null, 0x0
	s_barrier
	buffer_gl0_inv
	s_clause 0x35
	buffer_load_dword v115, off, s[0:3], 0 offset:36
	buffer_load_dword v116, off, s[0:3], 0 offset:44
	;; [unrolled: 1-line block ×54, first 2 shown]
	ds_read_b128 v[63:66], v62 offset:272
	ds_read_b128 v[67:70], v62 offset:288
	ds_read_b128 v[71:74], v62 offset:304
	ds_read_b128 v[75:78], v62 offset:320
	ds_read_b128 v[79:82], v62 offset:336
	ds_read_b128 v[83:86], v62 offset:352
	ds_read_b128 v[87:90], v62 offset:368
	ds_read_b128 v[91:94], v62 offset:384
	ds_read_b128 v[95:98], v62 offset:400
	ds_read_b128 v[99:102], v62 offset:416
	ds_read_b128 v[103:106], v62 offset:432
	ds_read_b128 v[107:110], v62 offset:448
	ds_read_b128 v[111:114], v62 offset:464
	s_mov_b32 s4, exec_lo
	s_waitcnt vmcnt(53) lgkmcnt(12)
	v_mul_f32_e32 v62, v63, v115
	v_mul_f32_e32 v115, v64, v115
	s_waitcnt vmcnt(52)
	v_mul_f32_e32 v169, v65, v116
	v_mul_f32_e32 v116, v66, v116
	s_waitcnt vmcnt(51) lgkmcnt(11)
	v_mul_f32_e32 v170, v67, v117
	s_waitcnt vmcnt(50)
	v_mul_f32_e32 v171, v69, v118
	s_waitcnt vmcnt(49) lgkmcnt(10)
	v_mul_f32_e32 v172, v71, v119
	s_waitcnt vmcnt(48)
	v_mul_f32_e32 v173, v73, v120
	s_waitcnt vmcnt(47) lgkmcnt(9)
	v_mul_f32_e32 v174, v75, v121
	s_waitcnt vmcnt(46)
	v_mul_f32_e32 v175, v77, v122
	s_waitcnt vmcnt(45) lgkmcnt(8)
	v_mul_f32_e32 v176, v79, v123
	s_waitcnt vmcnt(44)
	v_mul_f32_e32 v177, v81, v124
	s_waitcnt vmcnt(43) lgkmcnt(7)
	v_mul_f32_e32 v178, v83, v125
	s_waitcnt vmcnt(42)
	v_mul_f32_e32 v179, v85, v126
	s_waitcnt vmcnt(41) lgkmcnt(6)
	v_mul_f32_e32 v180, v87, v127
	s_waitcnt vmcnt(40)
	v_mul_f32_e32 v181, v89, v128
	s_waitcnt vmcnt(39) lgkmcnt(5)
	v_mul_f32_e32 v182, v91, v129
	s_waitcnt vmcnt(38)
	v_mul_f32_e32 v183, v93, v130
	s_waitcnt vmcnt(37) lgkmcnt(4)
	v_mul_f32_e32 v184, v95, v131
	s_waitcnt vmcnt(36)
	v_mul_f32_e32 v185, v97, v132
	s_waitcnt vmcnt(35) lgkmcnt(3)
	v_mul_f32_e32 v186, v99, v133
	s_waitcnt vmcnt(34)
	v_mul_f32_e32 v187, v101, v134
	s_waitcnt vmcnt(33) lgkmcnt(2)
	v_mul_f32_e32 v188, v103, v135
	s_waitcnt vmcnt(32)
	v_mul_f32_e32 v189, v105, v136
	s_waitcnt vmcnt(31) lgkmcnt(1)
	v_mul_f32_e32 v190, v107, v137
	s_waitcnt vmcnt(30)
	v_mul_f32_e32 v191, v109, v138
	s_waitcnt vmcnt(27)
	v_fma_f32 v63, v63, v141, -v115
	v_fmac_f32_e32 v62, v64, v141
	v_mul_f32_e32 v64, v68, v117
	s_waitcnt vmcnt(26)
	v_fma_f32 v65, v65, v142, -v116
	v_fmac_f32_e32 v169, v66, v142
	v_add_f32_e32 v63, 0, v63
	v_add_f32_e32 v62, 0, v62
	v_mul_f32_e32 v66, v70, v118
	s_waitcnt vmcnt(25)
	v_fma_f32 v64, v67, v143, -v64
	v_fmac_f32_e32 v170, v68, v143
	v_add_f32_e32 v63, v63, v65
	v_add_f32_e32 v62, v62, v169
	;; [unrolled: 6-line block ×22, first 2 shown]
	s_waitcnt lgkmcnt(0)
	v_mul_f32_e32 v66, v112, v139
	s_waitcnt vmcnt(4)
	v_fma_f32 v64, v109, v164, -v64
	v_mul_f32_e32 v192, v111, v139
	v_add_f32_e32 v63, v63, v65
	v_fmac_f32_e32 v191, v110, v164
	v_add_f32_e32 v62, v62, v190
	v_mul_f32_e32 v65, v114, v140
	s_waitcnt vmcnt(3)
	v_fma_f32 v66, v111, v165, -v66
	v_add_f32_e32 v63, v63, v64
	v_mul_f32_e32 v193, v113, v140
	v_fmac_f32_e32 v192, v112, v165
	v_add_f32_e32 v62, v62, v191
	s_waitcnt vmcnt(2)
	v_fma_f32 v64, v113, v166, -v65
	v_add_f32_e32 v63, v63, v66
	v_fmac_f32_e32 v193, v114, v166
	v_add_f32_e32 v62, v62, v192
	v_add_f32_e32 v63, v63, v64
	;; [unrolled: 1-line block ×3, first 2 shown]
	s_waitcnt vmcnt(1)
	v_sub_f32_e32 v63, v167, v63
	s_waitcnt vmcnt(0)
	v_sub_f32_e32 v62, v168, v62
	buffer_store_dword v63, off, s[0:3], 0 offset:24
	buffer_store_dword v62, off, s[0:3], 0 offset:28
	v_cmpx_lt_u32_e32 2, v0
	s_cbranch_execz .LBB29_189
; %bb.188:
	s_clause 0x1
	buffer_load_dword v62, off, s[0:3], 0 offset:16
	buffer_load_dword v63, off, s[0:3], 0 offset:20
	v_mov_b32_e32 v64, 0
	buffer_store_dword v64, off, s[0:3], 0 offset:16
	buffer_store_dword v64, off, s[0:3], 0 offset:20
	s_waitcnt vmcnt(0)
	ds_write_b64 v61, v[62:63]
.LBB29_189:
	s_or_b32 exec_lo, exec_lo, s4
	s_waitcnt lgkmcnt(0)
	s_waitcnt_vscnt null, 0x0
	s_barrier
	buffer_gl0_inv
	s_clause 0x37
	buffer_load_dword v117, off, s[0:3], 0 offset:28
	buffer_load_dword v118, off, s[0:3], 0 offset:36
	;; [unrolled: 1-line block ×56, first 2 shown]
	v_mov_b32_e32 v62, 0
	ds_read2_b64 v[63:66], v62 offset0:33 offset1:34
	ds_read2_b64 v[67:70], v62 offset0:35 offset1:36
	;; [unrolled: 1-line block ×13, first 2 shown]
	ds_read_b64 v[115:116], v62 offset:472
	s_mov_b32 s4, exec_lo
	s_waitcnt vmcnt(55) lgkmcnt(13)
	v_mul_f32_e32 v173, v63, v117
	v_mul_f32_e32 v117, v64, v117
	s_waitcnt vmcnt(54)
	v_mul_f32_e32 v174, v65, v118
	v_mul_f32_e32 v118, v66, v118
	s_waitcnt vmcnt(53) lgkmcnt(12)
	v_mul_f32_e32 v175, v67, v119
	s_waitcnt vmcnt(52)
	v_mul_f32_e32 v176, v69, v120
	s_waitcnt vmcnt(51) lgkmcnt(11)
	v_mul_f32_e32 v177, v71, v121
	s_waitcnt vmcnt(50)
	v_mul_f32_e32 v178, v73, v122
	s_waitcnt vmcnt(49) lgkmcnt(10)
	v_mul_f32_e32 v179, v75, v123
	s_waitcnt vmcnt(48)
	v_mul_f32_e32 v180, v77, v124
	s_waitcnt vmcnt(47) lgkmcnt(9)
	v_mul_f32_e32 v181, v79, v125
	s_waitcnt vmcnt(46)
	v_mul_f32_e32 v182, v81, v126
	s_waitcnt vmcnt(45) lgkmcnt(8)
	v_mul_f32_e32 v183, v83, v127
	s_waitcnt vmcnt(44)
	v_mul_f32_e32 v184, v85, v128
	s_waitcnt vmcnt(43) lgkmcnt(7)
	v_mul_f32_e32 v185, v87, v129
	s_waitcnt vmcnt(42)
	v_mul_f32_e32 v186, v89, v130
	s_waitcnt vmcnt(41) lgkmcnt(6)
	v_mul_f32_e32 v187, v91, v131
	s_waitcnt vmcnt(40)
	v_mul_f32_e32 v188, v93, v132
	s_waitcnt vmcnt(39) lgkmcnt(5)
	v_mul_f32_e32 v189, v95, v133
	s_waitcnt vmcnt(38)
	v_mul_f32_e32 v190, v97, v134
	s_waitcnt vmcnt(37) lgkmcnt(4)
	v_mul_f32_e32 v191, v99, v135
	s_waitcnt vmcnt(36)
	v_mul_f32_e32 v192, v101, v136
	s_waitcnt vmcnt(35) lgkmcnt(3)
	v_mul_f32_e32 v193, v103, v137
	s_waitcnt vmcnt(34)
	v_mul_f32_e32 v194, v105, v138
	s_waitcnt vmcnt(33) lgkmcnt(2)
	v_mul_f32_e32 v195, v107, v139
	s_waitcnt vmcnt(32)
	v_mul_f32_e32 v196, v109, v140
	s_waitcnt vmcnt(31) lgkmcnt(1)
	v_mul_f32_e32 v197, v111, v141
	s_waitcnt vmcnt(28)
	v_fma_f32 v63, v63, v144, -v117
	v_fmac_f32_e32 v173, v64, v144
	v_mul_f32_e32 v64, v68, v119
	s_waitcnt vmcnt(27)
	v_fma_f32 v65, v65, v145, -v118
	v_fmac_f32_e32 v174, v66, v145
	v_add_f32_e32 v63, 0, v63
	v_add_f32_e32 v66, 0, v173
	v_mul_f32_e32 v117, v70, v120
	s_waitcnt vmcnt(26)
	v_fma_f32 v64, v67, v146, -v64
	v_fmac_f32_e32 v175, v68, v146
	v_add_f32_e32 v63, v63, v65
	v_add_f32_e32 v65, v66, v174
	;; [unrolled: 6-line block ×23, first 2 shown]
	v_mul_f32_e32 v66, v114, v142
	s_waitcnt vmcnt(4)
	v_fma_f32 v67, v111, v168, -v67
	v_mul_f32_e32 v198, v113, v142
	v_add_f32_e32 v63, v63, v65
	v_fmac_f32_e32 v197, v112, v168
	v_add_f32_e32 v64, v64, v196
	s_waitcnt lgkmcnt(0)
	v_mul_f32_e32 v65, v116, v143
	s_waitcnt vmcnt(3)
	v_fma_f32 v66, v113, v169, -v66
	v_add_f32_e32 v63, v63, v67
	v_mul_f32_e32 v199, v115, v143
	v_fmac_f32_e32 v198, v114, v169
	v_add_f32_e32 v64, v64, v197
	s_waitcnt vmcnt(2)
	v_fma_f32 v65, v115, v170, -v65
	v_add_f32_e32 v63, v63, v66
	v_fmac_f32_e32 v199, v116, v170
	v_add_f32_e32 v64, v64, v198
	v_add_f32_e32 v63, v63, v65
	;; [unrolled: 1-line block ×3, first 2 shown]
	s_waitcnt vmcnt(1)
	v_sub_f32_e32 v63, v171, v63
	s_waitcnt vmcnt(0)
	v_sub_f32_e32 v64, v172, v64
	buffer_store_dword v63, off, s[0:3], 0 offset:16
	buffer_store_dword v64, off, s[0:3], 0 offset:20
	v_cmpx_lt_u32_e32 1, v0
	s_cbranch_execz .LBB29_191
; %bb.190:
	s_clause 0x1
	buffer_load_dword v63, off, s[0:3], 0 offset:8
	buffer_load_dword v64, off, s[0:3], 0 offset:12
	buffer_store_dword v62, off, s[0:3], 0 offset:8
	buffer_store_dword v62, off, s[0:3], 0 offset:12
	s_waitcnt vmcnt(0)
	ds_write_b64 v61, v[63:64]
.LBB29_191:
	s_or_b32 exec_lo, exec_lo, s4
	s_waitcnt lgkmcnt(0)
	s_waitcnt_vscnt null, 0x0
	s_barrier
	buffer_gl0_inv
	s_clause 0x39
	buffer_load_dword v119, off, s[0:3], 0 offset:20
	buffer_load_dword v120, off, s[0:3], 0 offset:28
	;; [unrolled: 1-line block ×58, first 2 shown]
	ds_read_b128 v[63:66], v62 offset:256
	ds_read_b128 v[67:70], v62 offset:272
	;; [unrolled: 1-line block ×14, first 2 shown]
	s_mov_b32 s4, exec_lo
	s_waitcnt vmcnt(57) lgkmcnt(13)
	v_mul_f32_e32 v62, v63, v119
	v_mul_f32_e32 v119, v64, v119
	s_waitcnt vmcnt(56)
	v_mul_f32_e32 v177, v65, v120
	v_mul_f32_e32 v120, v66, v120
	s_waitcnt vmcnt(55) lgkmcnt(12)
	v_mul_f32_e32 v178, v67, v121
	s_waitcnt vmcnt(54)
	v_mul_f32_e32 v179, v69, v122
	s_waitcnt vmcnt(53) lgkmcnt(11)
	v_mul_f32_e32 v180, v71, v123
	s_waitcnt vmcnt(52)
	v_mul_f32_e32 v181, v73, v124
	s_waitcnt vmcnt(51) lgkmcnt(10)
	v_mul_f32_e32 v182, v75, v125
	s_waitcnt vmcnt(50)
	v_mul_f32_e32 v183, v77, v126
	s_waitcnt vmcnt(49) lgkmcnt(9)
	v_mul_f32_e32 v184, v79, v127
	s_waitcnt vmcnt(48)
	v_mul_f32_e32 v185, v81, v128
	s_waitcnt vmcnt(47) lgkmcnt(8)
	v_mul_f32_e32 v186, v83, v129
	s_waitcnt vmcnt(46)
	v_mul_f32_e32 v187, v85, v130
	s_waitcnt vmcnt(45) lgkmcnt(7)
	v_mul_f32_e32 v188, v87, v131
	s_waitcnt vmcnt(44)
	v_mul_f32_e32 v189, v89, v132
	s_waitcnt vmcnt(43) lgkmcnt(6)
	v_mul_f32_e32 v190, v91, v133
	s_waitcnt vmcnt(42)
	v_mul_f32_e32 v191, v93, v134
	s_waitcnt vmcnt(41) lgkmcnt(5)
	v_mul_f32_e32 v192, v95, v135
	s_waitcnt vmcnt(40)
	v_mul_f32_e32 v193, v97, v136
	s_waitcnt vmcnt(39) lgkmcnt(4)
	v_mul_f32_e32 v194, v99, v137
	s_waitcnt vmcnt(38)
	v_mul_f32_e32 v195, v101, v138
	s_waitcnt vmcnt(37) lgkmcnt(3)
	v_mul_f32_e32 v196, v103, v139
	s_waitcnt vmcnt(36)
	v_mul_f32_e32 v197, v105, v140
	s_waitcnt vmcnt(35) lgkmcnt(2)
	v_mul_f32_e32 v198, v107, v141
	s_waitcnt vmcnt(34)
	v_mul_f32_e32 v199, v109, v142
	s_waitcnt vmcnt(33) lgkmcnt(1)
	v_mul_f32_e32 v200, v111, v143
	s_waitcnt vmcnt(32)
	v_mul_f32_e32 v201, v113, v144
	s_waitcnt vmcnt(29)
	v_fma_f32 v63, v63, v147, -v119
	v_fmac_f32_e32 v62, v64, v147
	v_mul_f32_e32 v64, v68, v121
	s_waitcnt vmcnt(28)
	v_fma_f32 v65, v65, v148, -v120
	v_fmac_f32_e32 v177, v66, v148
	v_add_f32_e32 v63, 0, v63
	v_add_f32_e32 v62, 0, v62
	v_mul_f32_e32 v66, v70, v122
	s_waitcnt vmcnt(27)
	v_fma_f32 v64, v67, v149, -v64
	v_fmac_f32_e32 v178, v68, v149
	v_add_f32_e32 v63, v63, v65
	v_add_f32_e32 v62, v62, v177
	v_mul_f32_e32 v65, v72, v123
	s_waitcnt vmcnt(26)
	v_fma_f32 v66, v69, v150, -v66
	v_fmac_f32_e32 v179, v70, v150
	v_add_f32_e32 v63, v63, v64
	v_add_f32_e32 v62, v62, v178
	v_mul_f32_e32 v64, v74, v124
	s_waitcnt vmcnt(25)
	v_fma_f32 v65, v71, v151, -v65
	v_fmac_f32_e32 v180, v72, v151
	v_add_f32_e32 v63, v63, v66
	v_add_f32_e32 v62, v62, v179
	v_mul_f32_e32 v66, v76, v125
	s_waitcnt vmcnt(24)
	v_fma_f32 v64, v73, v152, -v64
	v_fmac_f32_e32 v181, v74, v152
	v_add_f32_e32 v63, v63, v65
	v_add_f32_e32 v62, v62, v180
	v_mul_f32_e32 v65, v78, v126
	s_waitcnt vmcnt(23)
	v_fma_f32 v66, v75, v153, -v66
	v_fmac_f32_e32 v182, v76, v153
	v_add_f32_e32 v63, v63, v64
	v_add_f32_e32 v62, v62, v181
	v_mul_f32_e32 v64, v80, v127
	s_waitcnt vmcnt(22)
	v_fma_f32 v65, v77, v154, -v65
	v_fmac_f32_e32 v183, v78, v154
	v_add_f32_e32 v63, v63, v66
	v_add_f32_e32 v62, v62, v182
	v_mul_f32_e32 v66, v82, v128
	s_waitcnt vmcnt(21)
	v_fma_f32 v64, v79, v155, -v64
	v_fmac_f32_e32 v184, v80, v155
	v_add_f32_e32 v63, v63, v65
	v_add_f32_e32 v62, v62, v183
	v_mul_f32_e32 v65, v84, v129
	s_waitcnt vmcnt(20)
	v_fma_f32 v66, v81, v156, -v66
	v_fmac_f32_e32 v185, v82, v156
	v_add_f32_e32 v63, v63, v64
	v_add_f32_e32 v62, v62, v184
	v_mul_f32_e32 v64, v86, v130
	s_waitcnt vmcnt(19)
	v_fma_f32 v65, v83, v157, -v65
	v_fmac_f32_e32 v186, v84, v157
	v_add_f32_e32 v63, v63, v66
	v_add_f32_e32 v62, v62, v185
	v_mul_f32_e32 v66, v88, v131
	s_waitcnt vmcnt(18)
	v_fma_f32 v64, v85, v158, -v64
	v_fmac_f32_e32 v187, v86, v158
	v_add_f32_e32 v63, v63, v65
	v_add_f32_e32 v62, v62, v186
	v_mul_f32_e32 v65, v90, v132
	s_waitcnt vmcnt(17)
	v_fma_f32 v66, v87, v159, -v66
	v_fmac_f32_e32 v188, v88, v159
	v_add_f32_e32 v63, v63, v64
	v_add_f32_e32 v62, v62, v187
	v_mul_f32_e32 v64, v92, v133
	s_waitcnt vmcnt(16)
	v_fma_f32 v65, v89, v160, -v65
	v_fmac_f32_e32 v189, v90, v160
	v_add_f32_e32 v63, v63, v66
	v_add_f32_e32 v62, v62, v188
	v_mul_f32_e32 v66, v94, v134
	s_waitcnt vmcnt(15)
	v_fma_f32 v64, v91, v161, -v64
	v_fmac_f32_e32 v190, v92, v161
	v_add_f32_e32 v63, v63, v65
	v_add_f32_e32 v62, v62, v189
	v_mul_f32_e32 v65, v96, v135
	s_waitcnt vmcnt(14)
	v_fma_f32 v66, v93, v162, -v66
	v_fmac_f32_e32 v191, v94, v162
	v_add_f32_e32 v63, v63, v64
	v_add_f32_e32 v62, v62, v190
	v_mul_f32_e32 v64, v98, v136
	s_waitcnt vmcnt(13)
	v_fma_f32 v65, v95, v163, -v65
	v_fmac_f32_e32 v192, v96, v163
	v_add_f32_e32 v63, v63, v66
	v_add_f32_e32 v62, v62, v191
	v_mul_f32_e32 v66, v100, v137
	s_waitcnt vmcnt(12)
	v_fma_f32 v64, v97, v164, -v64
	v_fmac_f32_e32 v193, v98, v164
	v_add_f32_e32 v63, v63, v65
	v_add_f32_e32 v62, v62, v192
	v_mul_f32_e32 v65, v102, v138
	s_waitcnt vmcnt(11)
	v_fma_f32 v66, v99, v165, -v66
	v_fmac_f32_e32 v194, v100, v165
	v_add_f32_e32 v63, v63, v64
	v_add_f32_e32 v62, v62, v193
	v_mul_f32_e32 v64, v104, v139
	s_waitcnt vmcnt(10)
	v_fma_f32 v65, v101, v166, -v65
	v_fmac_f32_e32 v195, v102, v166
	v_add_f32_e32 v63, v63, v66
	v_add_f32_e32 v62, v62, v194
	v_mul_f32_e32 v66, v106, v140
	s_waitcnt vmcnt(9)
	v_fma_f32 v64, v103, v167, -v64
	v_fmac_f32_e32 v196, v104, v167
	v_add_f32_e32 v63, v63, v65
	v_add_f32_e32 v62, v62, v195
	v_mul_f32_e32 v65, v108, v141
	s_waitcnt vmcnt(8)
	v_fma_f32 v66, v105, v168, -v66
	v_fmac_f32_e32 v197, v106, v168
	v_add_f32_e32 v63, v63, v64
	v_add_f32_e32 v62, v62, v196
	v_mul_f32_e32 v64, v110, v142
	s_waitcnt vmcnt(7)
	v_fma_f32 v65, v107, v169, -v65
	v_fmac_f32_e32 v198, v108, v169
	v_add_f32_e32 v63, v63, v66
	v_add_f32_e32 v62, v62, v197
	v_mul_f32_e32 v66, v112, v143
	s_waitcnt vmcnt(6)
	v_fma_f32 v64, v109, v170, -v64
	v_fmac_f32_e32 v199, v110, v170
	v_add_f32_e32 v63, v63, v65
	v_add_f32_e32 v62, v62, v198
	v_mul_f32_e32 v65, v114, v144
	s_waitcnt vmcnt(5)
	v_fma_f32 v66, v111, v171, -v66
	v_fmac_f32_e32 v200, v112, v171
	v_add_f32_e32 v63, v63, v64
	v_add_f32_e32 v62, v62, v199
	s_waitcnt lgkmcnt(0)
	v_mul_f32_e32 v64, v116, v145
	s_waitcnt vmcnt(4)
	v_fma_f32 v65, v113, v172, -v65
	v_mul_f32_e32 v202, v115, v145
	v_add_f32_e32 v63, v63, v66
	v_fmac_f32_e32 v201, v114, v172
	v_add_f32_e32 v62, v62, v200
	v_mul_f32_e32 v66, v118, v146
	s_waitcnt vmcnt(3)
	v_fma_f32 v64, v115, v173, -v64
	v_add_f32_e32 v63, v63, v65
	v_mul_f32_e32 v203, v117, v146
	v_fmac_f32_e32 v202, v116, v173
	v_add_f32_e32 v62, v62, v201
	s_waitcnt vmcnt(2)
	v_fma_f32 v65, v117, v174, -v66
	v_add_f32_e32 v63, v63, v64
	v_fmac_f32_e32 v203, v118, v174
	v_add_f32_e32 v62, v62, v202
	v_add_f32_e32 v63, v63, v65
	;; [unrolled: 1-line block ×3, first 2 shown]
	s_waitcnt vmcnt(1)
	v_sub_f32_e32 v63, v175, v63
	s_waitcnt vmcnt(0)
	v_sub_f32_e32 v62, v176, v62
	buffer_store_dword v63, off, s[0:3], 0 offset:8
	buffer_store_dword v62, off, s[0:3], 0 offset:12
	v_cmpx_ne_u32_e32 0, v0
	s_cbranch_execz .LBB29_193
; %bb.192:
	s_clause 0x1
	buffer_load_dword v62, off, s[0:3], 0
	buffer_load_dword v63, off, s[0:3], 0 offset:4
	v_mov_b32_e32 v0, 0
	buffer_store_dword v0, off, s[0:3], 0
	buffer_store_dword v0, off, s[0:3], 0 offset:4
	s_waitcnt vmcnt(0)
	ds_write_b64 v61, v[62:63]
.LBB29_193:
	s_or_b32 exec_lo, exec_lo, s4
	s_waitcnt lgkmcnt(0)
	s_waitcnt_vscnt null, 0x0
	s_barrier
	buffer_gl0_inv
	s_clause 0x3b
	buffer_load_dword v119, off, s[0:3], 0 offset:12
	buffer_load_dword v120, off, s[0:3], 0 offset:20
	;; [unrolled: 1-line block ×58, first 2 shown]
	buffer_load_dword v177, off, s[0:3], 0
	buffer_load_dword v178, off, s[0:3], 0 offset:4
	v_mov_b32_e32 v0, 0
	ds_read2_b64 v[61:64], v0 offset0:31 offset1:32
	ds_read2_b64 v[65:68], v0 offset0:33 offset1:34
	;; [unrolled: 1-line block ×14, first 2 shown]
	ds_read_b64 v[117:118], v0 offset:472
	s_and_b32 vcc_lo, exec_lo, s22
	s_waitcnt vmcnt(59) lgkmcnt(14)
	v_mul_f32_e32 v179, v61, v119
	v_mul_f32_e32 v119, v62, v119
	s_waitcnt vmcnt(58)
	v_mul_f32_e32 v180, v63, v120
	v_mul_f32_e32 v120, v64, v120
	s_waitcnt vmcnt(57) lgkmcnt(13)
	v_mul_f32_e32 v181, v65, v121
	s_waitcnt vmcnt(56)
	v_mul_f32_e32 v182, v67, v122
	s_waitcnt vmcnt(55) lgkmcnt(12)
	v_mul_f32_e32 v183, v69, v123
	s_waitcnt vmcnt(54)
	;; [unrolled: 4-line block ×13, first 2 shown]
	v_fma_f32 v61, v61, v148, -v119
	v_fmac_f32_e32 v179, v62, v148
	v_mul_f32_e32 v62, v66, v121
	s_waitcnt vmcnt(29)
	v_fma_f32 v63, v63, v149, -v120
	v_fmac_f32_e32 v180, v64, v149
	v_add_f32_e32 v61, 0, v61
	v_add_f32_e32 v64, 0, v179
	v_mul_f32_e32 v119, v68, v122
	s_waitcnt vmcnt(28)
	v_fma_f32 v62, v65, v150, -v62
	v_fmac_f32_e32 v181, v66, v150
	v_add_f32_e32 v61, v61, v63
	v_add_f32_e32 v63, v64, v180
	;; [unrolled: 6-line block ×25, first 2 shown]
	v_mul_f32_e32 v65, v116, v146
	s_waitcnt vmcnt(4)
	v_fma_f32 v63, v113, v174, -v63
	v_mul_f32_e32 v206, v115, v146
	v_add_f32_e32 v61, v61, v64
	v_fmac_f32_e32 v205, v114, v174
	v_add_f32_e32 v62, v62, v204
	s_waitcnt lgkmcnt(0)
	v_mul_f32_e32 v64, v118, v147
	s_waitcnt vmcnt(3)
	v_fma_f32 v65, v115, v175, -v65
	v_add_f32_e32 v61, v61, v63
	v_mul_f32_e32 v207, v117, v147
	v_fmac_f32_e32 v206, v116, v175
	v_add_f32_e32 v62, v62, v205
	s_waitcnt vmcnt(2)
	v_fma_f32 v63, v117, v176, -v64
	v_add_f32_e32 v61, v61, v65
	v_fmac_f32_e32 v207, v118, v176
	v_add_f32_e32 v62, v62, v206
	v_add_f32_e32 v61, v61, v63
	;; [unrolled: 1-line block ×3, first 2 shown]
	s_waitcnt vmcnt(1)
	v_sub_f32_e32 v61, v177, v61
	s_waitcnt vmcnt(0)
	v_sub_f32_e32 v62, v178, v62
	buffer_store_dword v61, off, s[0:3], 0
	buffer_store_dword v62, off, s[0:3], 0 offset:4
	s_cbranch_vccz .LBB29_252
; %bb.194:
	global_load_dword v0, v0, s[20:21] offset:112
	s_waitcnt vmcnt(0)
	v_add_nc_u32_e32 v0, -1, v0
	v_cmp_ne_u32_e32 vcc_lo, 28, v0
	s_cbranch_vccz .LBB29_196
; %bb.195:
	v_lshlrev_b32_e32 v0, 3, v0
	s_clause 0x3
	buffer_load_dword v61, v0, s[0:3], 0 offen
	buffer_load_dword v62, v0, s[0:3], 0 offen offset:4
	buffer_load_dword v63, off, s[0:3], 0 offset:228
	buffer_load_dword v64, off, s[0:3], 0 offset:224
	s_waitcnt vmcnt(3)
	buffer_store_dword v61, off, s[0:3], 0 offset:224
	s_waitcnt vmcnt(2)
	buffer_store_dword v62, off, s[0:3], 0 offset:228
	s_waitcnt vmcnt(1)
	buffer_store_dword v63, v0, s[0:3], 0 offen offset:4
	s_waitcnt vmcnt(0)
	buffer_store_dword v64, v0, s[0:3], 0 offen
.LBB29_196:
	v_mov_b32_e32 v0, 0
	global_load_dword v61, v0, s[20:21] offset:108
	s_waitcnt vmcnt(0)
	v_add_nc_u32_e32 v61, -1, v61
	v_cmp_eq_u32_e32 vcc_lo, 27, v61
	s_cbranch_vccnz .LBB29_198
; %bb.197:
	v_lshlrev_b32_e32 v61, 3, v61
	s_clause 0x3
	buffer_load_dword v62, v61, s[0:3], 0 offen
	buffer_load_dword v63, v61, s[0:3], 0 offen offset:4
	buffer_load_dword v64, off, s[0:3], 0 offset:216
	buffer_load_dword v65, off, s[0:3], 0 offset:220
	s_waitcnt vmcnt(3)
	buffer_store_dword v62, off, s[0:3], 0 offset:216
	s_waitcnt vmcnt(2)
	buffer_store_dword v63, off, s[0:3], 0 offset:220
	s_waitcnt vmcnt(1)
	buffer_store_dword v64, v61, s[0:3], 0 offen
	s_waitcnt vmcnt(0)
	buffer_store_dword v65, v61, s[0:3], 0 offen offset:4
.LBB29_198:
	global_load_dword v0, v0, s[20:21] offset:104
	s_waitcnt vmcnt(0)
	v_add_nc_u32_e32 v0, -1, v0
	v_cmp_eq_u32_e32 vcc_lo, 26, v0
	s_cbranch_vccnz .LBB29_200
; %bb.199:
	v_lshlrev_b32_e32 v0, 3, v0
	s_clause 0x3
	buffer_load_dword v61, v0, s[0:3], 0 offen
	buffer_load_dword v62, v0, s[0:3], 0 offen offset:4
	buffer_load_dword v63, off, s[0:3], 0 offset:212
	buffer_load_dword v64, off, s[0:3], 0 offset:208
	s_waitcnt vmcnt(3)
	buffer_store_dword v61, off, s[0:3], 0 offset:208
	s_waitcnt vmcnt(2)
	buffer_store_dword v62, off, s[0:3], 0 offset:212
	s_waitcnt vmcnt(1)
	buffer_store_dword v63, v0, s[0:3], 0 offen offset:4
	s_waitcnt vmcnt(0)
	buffer_store_dword v64, v0, s[0:3], 0 offen
.LBB29_200:
	v_mov_b32_e32 v0, 0
	global_load_dword v61, v0, s[20:21] offset:100
	s_waitcnt vmcnt(0)
	v_add_nc_u32_e32 v61, -1, v61
	v_cmp_eq_u32_e32 vcc_lo, 25, v61
	s_cbranch_vccnz .LBB29_202
; %bb.201:
	v_lshlrev_b32_e32 v61, 3, v61
	s_clause 0x3
	buffer_load_dword v62, v61, s[0:3], 0 offen
	buffer_load_dword v63, v61, s[0:3], 0 offen offset:4
	buffer_load_dword v64, off, s[0:3], 0 offset:200
	buffer_load_dword v65, off, s[0:3], 0 offset:204
	s_waitcnt vmcnt(3)
	buffer_store_dword v62, off, s[0:3], 0 offset:200
	s_waitcnt vmcnt(2)
	buffer_store_dword v63, off, s[0:3], 0 offset:204
	s_waitcnt vmcnt(1)
	buffer_store_dword v64, v61, s[0:3], 0 offen
	s_waitcnt vmcnt(0)
	buffer_store_dword v65, v61, s[0:3], 0 offen offset:4
.LBB29_202:
	global_load_dword v0, v0, s[20:21] offset:96
	s_waitcnt vmcnt(0)
	v_add_nc_u32_e32 v0, -1, v0
	v_cmp_eq_u32_e32 vcc_lo, 24, v0
	s_cbranch_vccnz .LBB29_204
; %bb.203:
	v_lshlrev_b32_e32 v0, 3, v0
	s_clause 0x3
	buffer_load_dword v61, v0, s[0:3], 0 offen
	buffer_load_dword v62, v0, s[0:3], 0 offen offset:4
	buffer_load_dword v63, off, s[0:3], 0 offset:196
	buffer_load_dword v64, off, s[0:3], 0 offset:192
	s_waitcnt vmcnt(3)
	buffer_store_dword v61, off, s[0:3], 0 offset:192
	s_waitcnt vmcnt(2)
	buffer_store_dword v62, off, s[0:3], 0 offset:196
	s_waitcnt vmcnt(1)
	buffer_store_dword v63, v0, s[0:3], 0 offen offset:4
	s_waitcnt vmcnt(0)
	buffer_store_dword v64, v0, s[0:3], 0 offen
.LBB29_204:
	;; [unrolled: 43-line block ×13, first 2 shown]
	v_mov_b32_e32 v0, 0
	global_load_dword v61, v0, s[20:21] offset:4
	s_waitcnt vmcnt(0)
	v_add_nc_u32_e32 v61, -1, v61
	v_cmp_eq_u32_e32 vcc_lo, 1, v61
	s_cbranch_vccnz .LBB29_250
; %bb.249:
	v_lshlrev_b32_e32 v61, 3, v61
	s_clause 0x3
	buffer_load_dword v62, v61, s[0:3], 0 offen
	buffer_load_dword v63, v61, s[0:3], 0 offen offset:4
	buffer_load_dword v64, off, s[0:3], 0 offset:8
	buffer_load_dword v65, off, s[0:3], 0 offset:12
	s_waitcnt vmcnt(3)
	buffer_store_dword v62, off, s[0:3], 0 offset:8
	s_waitcnt vmcnt(2)
	buffer_store_dword v63, off, s[0:3], 0 offset:12
	s_waitcnt vmcnt(1)
	buffer_store_dword v64, v61, s[0:3], 0 offen
	s_waitcnt vmcnt(0)
	buffer_store_dword v65, v61, s[0:3], 0 offen offset:4
.LBB29_250:
	global_load_dword v0, v0, s[20:21]
	s_waitcnt vmcnt(0)
	v_add_nc_u32_e32 v0, -1, v0
	v_cmp_eq_u32_e32 vcc_lo, 0, v0
	s_cbranch_vccnz .LBB29_252
; %bb.251:
	v_lshlrev_b32_e32 v0, 3, v0
	s_clause 0x3
	buffer_load_dword v61, v0, s[0:3], 0 offen
	buffer_load_dword v62, v0, s[0:3], 0 offen offset:4
	buffer_load_dword v63, off, s[0:3], 0 offset:4
	buffer_load_dword v64, off, s[0:3], 0
	s_waitcnt vmcnt(3)
	buffer_store_dword v61, off, s[0:3], 0
	s_waitcnt vmcnt(2)
	buffer_store_dword v62, off, s[0:3], 0 offset:4
	s_waitcnt vmcnt(1)
	buffer_store_dword v63, v0, s[0:3], 0 offen offset:4
	s_waitcnt vmcnt(0)
	buffer_store_dword v64, v0, s[0:3], 0 offen
.LBB29_252:
	s_clause 0x3b
	buffer_load_dword v61, off, s[0:3], 0
	buffer_load_dword v62, off, s[0:3], 0 offset:4
	buffer_load_dword v63, off, s[0:3], 0 offset:8
	buffer_load_dword v64, off, s[0:3], 0 offset:12
	buffer_load_dword v65, off, s[0:3], 0 offset:16
	buffer_load_dword v66, off, s[0:3], 0 offset:20
	buffer_load_dword v67, off, s[0:3], 0 offset:24
	buffer_load_dword v68, off, s[0:3], 0 offset:28
	buffer_load_dword v69, off, s[0:3], 0 offset:32
	buffer_load_dword v70, off, s[0:3], 0 offset:36
	buffer_load_dword v71, off, s[0:3], 0 offset:40
	buffer_load_dword v72, off, s[0:3], 0 offset:44
	buffer_load_dword v73, off, s[0:3], 0 offset:48
	buffer_load_dword v74, off, s[0:3], 0 offset:52
	buffer_load_dword v75, off, s[0:3], 0 offset:56
	buffer_load_dword v76, off, s[0:3], 0 offset:60
	buffer_load_dword v78, off, s[0:3], 0 offset:68
	buffer_load_dword v79, off, s[0:3], 0 offset:72
	buffer_load_dword v80, off, s[0:3], 0 offset:76
	buffer_load_dword v81, off, s[0:3], 0 offset:80
	buffer_load_dword v82, off, s[0:3], 0 offset:84
	buffer_load_dword v83, off, s[0:3], 0 offset:88
	buffer_load_dword v84, off, s[0:3], 0 offset:92
	buffer_load_dword v77, off, s[0:3], 0 offset:64
	buffer_load_dword v85, off, s[0:3], 0 offset:96
	buffer_load_dword v86, off, s[0:3], 0 offset:100
	buffer_load_dword v87, off, s[0:3], 0 offset:104
	buffer_load_dword v88, off, s[0:3], 0 offset:108
	buffer_load_dword v89, off, s[0:3], 0 offset:112
	buffer_load_dword v90, off, s[0:3], 0 offset:116
	buffer_load_dword v91, off, s[0:3], 0 offset:120
	buffer_load_dword v92, off, s[0:3], 0 offset:124
	buffer_load_dword v93, off, s[0:3], 0 offset:128
	buffer_load_dword v94, off, s[0:3], 0 offset:132
	buffer_load_dword v95, off, s[0:3], 0 offset:136
	buffer_load_dword v96, off, s[0:3], 0 offset:140
	buffer_load_dword v97, off, s[0:3], 0 offset:144
	buffer_load_dword v98, off, s[0:3], 0 offset:148
	buffer_load_dword v99, off, s[0:3], 0 offset:152
	buffer_load_dword v100, off, s[0:3], 0 offset:156
	buffer_load_dword v101, off, s[0:3], 0 offset:160
	buffer_load_dword v102, off, s[0:3], 0 offset:164
	buffer_load_dword v103, off, s[0:3], 0 offset:168
	buffer_load_dword v104, off, s[0:3], 0 offset:172
	buffer_load_dword v105, off, s[0:3], 0 offset:176
	buffer_load_dword v106, off, s[0:3], 0 offset:180
	buffer_load_dword v107, off, s[0:3], 0 offset:184
	buffer_load_dword v108, off, s[0:3], 0 offset:188
	buffer_load_dword v109, off, s[0:3], 0 offset:192
	buffer_load_dword v110, off, s[0:3], 0 offset:196
	buffer_load_dword v111, off, s[0:3], 0 offset:200
	buffer_load_dword v112, off, s[0:3], 0 offset:204
	buffer_load_dword v113, off, s[0:3], 0 offset:208
	buffer_load_dword v114, off, s[0:3], 0 offset:212
	buffer_load_dword v115, off, s[0:3], 0 offset:216
	buffer_load_dword v116, off, s[0:3], 0 offset:220
	buffer_load_dword v117, off, s[0:3], 0 offset:224
	buffer_load_dword v118, off, s[0:3], 0 offset:228
	buffer_load_dword v119, off, s[0:3], 0 offset:232
	buffer_load_dword v120, off, s[0:3], 0 offset:236
	s_waitcnt vmcnt(58)
	global_store_dwordx2 v[49:50], v[61:62], off
	s_waitcnt vmcnt(56)
	global_store_dwordx2 v[51:52], v[63:64], off
	;; [unrolled: 2-line block ×9, first 2 shown]
	global_store_dwordx2 v[15:16], v[79:80], off
	global_store_dwordx2 v[17:18], v[81:82], off
	global_store_dwordx2 v[19:20], v[83:84], off
	s_waitcnt vmcnt(34)
	global_store_dwordx2 v[21:22], v[85:86], off
	s_waitcnt vmcnt(32)
	global_store_dwordx2 v[23:24], v[87:88], off
	;; [unrolled: 2-line block ×18, first 2 shown]
	s_endpgm
	.section	.rodata,"a",@progbits
	.p2align	6, 0x0
	.amdhsa_kernel _ZN9rocsolver6v33100L18getri_kernel_smallILi30E19rocblas_complex_numIfEPS3_EEvT1_iilPiilS6_bb
		.amdhsa_group_segment_fixed_size 484
		.amdhsa_private_segment_fixed_size 256
		.amdhsa_kernarg_size 60
		.amdhsa_user_sgpr_count 6
		.amdhsa_user_sgpr_private_segment_buffer 1
		.amdhsa_user_sgpr_dispatch_ptr 0
		.amdhsa_user_sgpr_queue_ptr 0
		.amdhsa_user_sgpr_kernarg_segment_ptr 1
		.amdhsa_user_sgpr_dispatch_id 0
		.amdhsa_user_sgpr_flat_scratch_init 0
		.amdhsa_user_sgpr_private_segment_size 0
		.amdhsa_wavefront_size32 1
		.amdhsa_uses_dynamic_stack 0
		.amdhsa_system_sgpr_private_segment_wavefront_offset 1
		.amdhsa_system_sgpr_workgroup_id_x 1
		.amdhsa_system_sgpr_workgroup_id_y 0
		.amdhsa_system_sgpr_workgroup_id_z 0
		.amdhsa_system_sgpr_workgroup_info 0
		.amdhsa_system_vgpr_workitem_id 0
		.amdhsa_next_free_vgpr 208
		.amdhsa_next_free_sgpr 23
		.amdhsa_reserve_vcc 1
		.amdhsa_reserve_flat_scratch 0
		.amdhsa_float_round_mode_32 0
		.amdhsa_float_round_mode_16_64 0
		.amdhsa_float_denorm_mode_32 3
		.amdhsa_float_denorm_mode_16_64 3
		.amdhsa_dx10_clamp 1
		.amdhsa_ieee_mode 1
		.amdhsa_fp16_overflow 0
		.amdhsa_workgroup_processor_mode 1
		.amdhsa_memory_ordered 1
		.amdhsa_forward_progress 1
		.amdhsa_shared_vgpr_count 0
		.amdhsa_exception_fp_ieee_invalid_op 0
		.amdhsa_exception_fp_denorm_src 0
		.amdhsa_exception_fp_ieee_div_zero 0
		.amdhsa_exception_fp_ieee_overflow 0
		.amdhsa_exception_fp_ieee_underflow 0
		.amdhsa_exception_fp_ieee_inexact 0
		.amdhsa_exception_int_div_zero 0
	.end_amdhsa_kernel
	.section	.text._ZN9rocsolver6v33100L18getri_kernel_smallILi30E19rocblas_complex_numIfEPS3_EEvT1_iilPiilS6_bb,"axG",@progbits,_ZN9rocsolver6v33100L18getri_kernel_smallILi30E19rocblas_complex_numIfEPS3_EEvT1_iilPiilS6_bb,comdat
.Lfunc_end29:
	.size	_ZN9rocsolver6v33100L18getri_kernel_smallILi30E19rocblas_complex_numIfEPS3_EEvT1_iilPiilS6_bb, .Lfunc_end29-_ZN9rocsolver6v33100L18getri_kernel_smallILi30E19rocblas_complex_numIfEPS3_EEvT1_iilPiilS6_bb
                                        ; -- End function
	.set _ZN9rocsolver6v33100L18getri_kernel_smallILi30E19rocblas_complex_numIfEPS3_EEvT1_iilPiilS6_bb.num_vgpr, 208
	.set _ZN9rocsolver6v33100L18getri_kernel_smallILi30E19rocblas_complex_numIfEPS3_EEvT1_iilPiilS6_bb.num_agpr, 0
	.set _ZN9rocsolver6v33100L18getri_kernel_smallILi30E19rocblas_complex_numIfEPS3_EEvT1_iilPiilS6_bb.numbered_sgpr, 23
	.set _ZN9rocsolver6v33100L18getri_kernel_smallILi30E19rocblas_complex_numIfEPS3_EEvT1_iilPiilS6_bb.num_named_barrier, 0
	.set _ZN9rocsolver6v33100L18getri_kernel_smallILi30E19rocblas_complex_numIfEPS3_EEvT1_iilPiilS6_bb.private_seg_size, 256
	.set _ZN9rocsolver6v33100L18getri_kernel_smallILi30E19rocblas_complex_numIfEPS3_EEvT1_iilPiilS6_bb.uses_vcc, 1
	.set _ZN9rocsolver6v33100L18getri_kernel_smallILi30E19rocblas_complex_numIfEPS3_EEvT1_iilPiilS6_bb.uses_flat_scratch, 0
	.set _ZN9rocsolver6v33100L18getri_kernel_smallILi30E19rocblas_complex_numIfEPS3_EEvT1_iilPiilS6_bb.has_dyn_sized_stack, 0
	.set _ZN9rocsolver6v33100L18getri_kernel_smallILi30E19rocblas_complex_numIfEPS3_EEvT1_iilPiilS6_bb.has_recursion, 0
	.set _ZN9rocsolver6v33100L18getri_kernel_smallILi30E19rocblas_complex_numIfEPS3_EEvT1_iilPiilS6_bb.has_indirect_call, 0
	.section	.AMDGPU.csdata,"",@progbits
; Kernel info:
; codeLenInByte = 42744
; TotalNumSgprs: 25
; NumVgprs: 208
; ScratchSize: 256
; MemoryBound: 0
; FloatMode: 240
; IeeeMode: 1
; LDSByteSize: 484 bytes/workgroup (compile time only)
; SGPRBlocks: 0
; VGPRBlocks: 25
; NumSGPRsForWavesPerEU: 25
; NumVGPRsForWavesPerEU: 208
; Occupancy: 4
; WaveLimiterHint : 1
; COMPUTE_PGM_RSRC2:SCRATCH_EN: 1
; COMPUTE_PGM_RSRC2:USER_SGPR: 6
; COMPUTE_PGM_RSRC2:TRAP_HANDLER: 0
; COMPUTE_PGM_RSRC2:TGID_X_EN: 1
; COMPUTE_PGM_RSRC2:TGID_Y_EN: 0
; COMPUTE_PGM_RSRC2:TGID_Z_EN: 0
; COMPUTE_PGM_RSRC2:TIDIG_COMP_CNT: 0
	.section	.text._ZN9rocsolver6v33100L18getri_kernel_smallILi31E19rocblas_complex_numIfEPS3_EEvT1_iilPiilS6_bb,"axG",@progbits,_ZN9rocsolver6v33100L18getri_kernel_smallILi31E19rocblas_complex_numIfEPS3_EEvT1_iilPiilS6_bb,comdat
	.globl	_ZN9rocsolver6v33100L18getri_kernel_smallILi31E19rocblas_complex_numIfEPS3_EEvT1_iilPiilS6_bb ; -- Begin function _ZN9rocsolver6v33100L18getri_kernel_smallILi31E19rocblas_complex_numIfEPS3_EEvT1_iilPiilS6_bb
	.p2align	8
	.type	_ZN9rocsolver6v33100L18getri_kernel_smallILi31E19rocblas_complex_numIfEPS3_EEvT1_iilPiilS6_bb,@function
_ZN9rocsolver6v33100L18getri_kernel_smallILi31E19rocblas_complex_numIfEPS3_EEvT1_iilPiilS6_bb: ; @_ZN9rocsolver6v33100L18getri_kernel_smallILi31E19rocblas_complex_numIfEPS3_EEvT1_iilPiilS6_bb
; %bb.0:
	s_add_u32 s0, s0, s7
	s_addc_u32 s1, s1, 0
	s_mov_b32 s7, exec_lo
	v_cmpx_gt_u32_e32 31, v0
	s_cbranch_execz .LBB30_138
; %bb.1:
	s_clause 0x2
	s_load_dword s7, s[4:5], 0x38
	s_load_dwordx4 s[16:19], s[4:5], 0x10
	s_load_dwordx4 s[8:11], s[4:5], 0x28
                                        ; implicit-def: $sgpr20_sgpr21
	s_waitcnt lgkmcnt(0)
	s_bitcmp1_b32 s7, 8
	s_cselect_b32 s22, -1, 0
	s_bfe_u32 s12, s7, 0x10008
	s_ashr_i32 s7, s6, 31
	s_cmp_eq_u32 s12, 0
	s_cbranch_scc1 .LBB30_3
; %bb.2:
	s_load_dword s12, s[4:5], 0x20
	s_mul_i32 s13, s8, s7
	s_mul_hi_u32 s14, s8, s6
	s_mul_i32 s9, s9, s6
	s_add_i32 s13, s14, s13
	s_mul_i32 s8, s8, s6
	s_add_i32 s9, s13, s9
	s_lshl_b64 s[8:9], s[8:9], 2
	s_waitcnt lgkmcnt(0)
	s_ashr_i32 s13, s12, 31
	s_add_u32 s14, s18, s8
	s_addc_u32 s15, s19, s9
	s_lshl_b64 s[8:9], s[12:13], 2
	s_add_u32 s20, s14, s8
	s_addc_u32 s21, s15, s9
.LBB30_3:
	s_clause 0x1
	s_load_dwordx4 s[12:15], s[4:5], 0x0
	s_load_dword s8, s[4:5], 0x38
	s_mul_i32 s4, s16, s7
	s_mul_hi_u32 s5, s16, s6
	s_mul_i32 s9, s17, s6
	s_add_i32 s5, s5, s4
	s_mul_i32 s4, s16, s6
	s_add_i32 s5, s5, s9
	v_lshlrev_b32_e32 v65, 3, v0
	s_lshl_b64 s[4:5], s[4:5], 3
	s_waitcnt lgkmcnt(0)
	v_add3_u32 v1, s15, s15, v0
	s_ashr_i32 s17, s14, 31
	s_mov_b32 s16, s14
	s_add_u32 s9, s12, s4
	s_addc_u32 s12, s13, s5
	v_add_nc_u32_e32 v3, s15, v1
	v_ashrrev_i32_e32 v2, 31, v1
	s_lshl_b64 s[4:5], s[16:17], 3
	s_add_u32 s4, s9, s4
	v_add_nc_u32_e32 v5, s15, v3
	v_ashrrev_i32_e32 v4, 31, v3
	v_lshlrev_b64 v[1:2], 3, v[1:2]
	s_addc_u32 s5, s12, s5
	v_add_co_u32 v51, s9, s4, v65
	v_add_nc_u32_e32 v7, s15, v5
	v_ashrrev_i32_e32 v6, 31, v5
	v_lshlrev_b64 v[3:4], 3, v[3:4]
	v_add_co_u32 v1, vcc_lo, s4, v1
	v_add_nc_u32_e32 v9, s15, v7
	v_ashrrev_i32_e32 v8, 31, v7
	v_lshlrev_b64 v[5:6], 3, v[5:6]
	v_add_co_ci_u32_e64 v2, null, s5, v2, vcc_lo
	v_add_nc_u32_e32 v11, s15, v9
	v_ashrrev_i32_e32 v10, 31, v9
	v_lshlrev_b64 v[7:8], 3, v[7:8]
	v_add_co_u32 v3, vcc_lo, s4, v3
	v_add_nc_u32_e32 v13, s15, v11
	v_ashrrev_i32_e32 v12, 31, v11
	v_lshlrev_b64 v[9:10], 3, v[9:10]
	v_add_co_ci_u32_e64 v4, null, s5, v4, vcc_lo
	v_add_nc_u32_e32 v15, s15, v13
	v_ashrrev_i32_e32 v14, 31, v13
	v_add_co_u32 v5, vcc_lo, s4, v5
	v_lshlrev_b64 v[11:12], 3, v[11:12]
	v_add_nc_u32_e32 v17, s15, v15
	v_ashrrev_i32_e32 v16, 31, v15
	v_add_co_ci_u32_e64 v6, null, s5, v6, vcc_lo
	v_add_co_u32 v7, vcc_lo, s4, v7
	v_add_nc_u32_e32 v19, s15, v17
	v_ashrrev_i32_e32 v18, 31, v17
	v_lshlrev_b64 v[13:14], 3, v[13:14]
	v_add_co_ci_u32_e64 v8, null, s5, v8, vcc_lo
	v_add_nc_u32_e32 v21, s15, v19
	v_ashrrev_i32_e32 v20, 31, v19
	v_add_co_u32 v9, vcc_lo, s4, v9
	v_lshlrev_b64 v[15:16], 3, v[15:16]
	v_add_nc_u32_e32 v23, s15, v21
	v_ashrrev_i32_e32 v22, 31, v21
	v_add_co_ci_u32_e64 v10, null, s5, v10, vcc_lo
	v_add_co_u32 v11, vcc_lo, s4, v11
	v_add_nc_u32_e32 v25, s15, v23
	v_lshlrev_b64 v[17:18], 3, v[17:18]
	v_ashrrev_i32_e32 v24, 31, v23
	v_add_co_ci_u32_e64 v12, null, s5, v12, vcc_lo
	v_add_nc_u32_e32 v27, s15, v25
	v_add_co_u32 v13, vcc_lo, s4, v13
	v_lshlrev_b64 v[19:20], 3, v[19:20]
	v_ashrrev_i32_e32 v26, 31, v25
	v_add_nc_u32_e32 v29, s15, v27
	v_add_co_ci_u32_e64 v14, null, s5, v14, vcc_lo
	v_add_co_u32 v15, vcc_lo, s4, v15
	v_add_nc_u32_e32 v31, s15, v29
	v_lshlrev_b64 v[21:22], 3, v[21:22]
	v_ashrrev_i32_e32 v28, 31, v27
	v_add_co_ci_u32_e64 v16, null, s5, v16, vcc_lo
	v_add_nc_u32_e32 v33, s15, v31
	v_add_co_u32 v17, vcc_lo, s4, v17
	v_lshlrev_b64 v[23:24], 3, v[23:24]
	v_ashrrev_i32_e32 v30, 31, v29
	v_add_nc_u32_e32 v35, s15, v33
	;; [unrolled: 11-line block ×4, first 2 shown]
	v_add_co_ci_u32_e64 v26, null, s5, v26, vcc_lo
	v_add_co_u32 v27, vcc_lo, s4, v27
	v_lshlrev_b64 v[33:34], 3, v[33:34]
	v_ashrrev_i32_e32 v40, 31, v39
	v_add_co_ci_u32_e64 v28, null, s5, v28, vcc_lo
	v_add_co_u32 v29, vcc_lo, s4, v29
	v_lshlrev_b64 v[35:36], 3, v[35:36]
	v_add_nc_u32_e32 v49, s15, v47
	v_ashrrev_i32_e32 v42, 31, v41
	v_add_co_ci_u32_e64 v30, null, s5, v30, vcc_lo
	v_add_co_u32 v31, vcc_lo, s4, v31
	v_lshlrev_b64 v[37:38], 3, v[37:38]
	v_ashrrev_i32_e32 v44, 31, v43
	v_add_co_ci_u32_e64 v32, null, s5, v32, vcc_lo
	v_add_co_u32 v33, vcc_lo, s4, v33
	v_lshlrev_b64 v[39:40], 3, v[39:40]
	v_ashrrev_i32_e32 v46, 31, v45
	v_add_nc_u32_e32 v55, s15, v49
	v_add_co_ci_u32_e64 v34, null, s5, v34, vcc_lo
	v_add_co_u32 v35, vcc_lo, s4, v35
	v_lshlrev_b64 v[41:42], 3, v[41:42]
	v_add_co_ci_u32_e64 v36, null, s5, v36, vcc_lo
	v_add_co_u32 v37, vcc_lo, s4, v37
	v_lshlrev_b64 v[43:44], 3, v[43:44]
	v_ashrrev_i32_e32 v48, 31, v47
	v_add_co_ci_u32_e64 v38, null, s5, v38, vcc_lo
	v_add_co_u32 v39, vcc_lo, s4, v39
	v_lshlrev_b64 v[45:46], 3, v[45:46]
	v_add_nc_u32_e32 v57, s15, v55
	v_ashrrev_i32_e32 v50, 31, v49
	v_add_co_ci_u32_e64 v40, null, s5, v40, vcc_lo
	v_add_co_u32 v41, vcc_lo, s4, v41
	v_ashrrev_i32_e32 v56, 31, v55
	v_add_co_ci_u32_e64 v42, null, s5, v42, vcc_lo
	v_add_co_u32 v43, vcc_lo, s4, v43
	v_lshlrev_b64 v[47:48], 3, v[47:48]
	s_mov_b32 s12, s15
	s_ashr_i32 s13, s15, 31
	v_add_co_ci_u32_e64 v52, null, s5, 0, s9
	v_ashrrev_i32_e32 v58, 31, v57
	v_add_nc_u32_e32 v60, s15, v57
	v_add_co_ci_u32_e64 v44, null, s5, v44, vcc_lo
	v_add_co_u32 v45, vcc_lo, s4, v45
	v_lshlrev_b64 v[49:50], 3, v[49:50]
	s_lshl_b64 s[12:13], s[12:13], 3
	v_add_co_ci_u32_e64 v46, null, s5, v46, vcc_lo
	v_add_co_u32 v53, vcc_lo, v51, s12
	v_lshlrev_b64 v[55:56], 3, v[55:56]
	v_add_co_ci_u32_e64 v54, null, s13, v52, vcc_lo
	v_add_co_u32 v47, vcc_lo, s4, v47
	v_lshlrev_b64 v[58:59], 3, v[57:58]
	v_add_nc_u32_e32 v90, s15, v60
	v_add_co_ci_u32_e64 v48, null, s5, v48, vcc_lo
	v_add_co_u32 v49, vcc_lo, s4, v49
	v_ashrrev_i32_e32 v61, 31, v60
	v_add_co_ci_u32_e64 v50, null, s5, v50, vcc_lo
	v_add_co_u32 v55, vcc_lo, s4, v55
	v_ashrrev_i32_e32 v91, 31, v90
	v_add_co_ci_u32_e64 v56, null, s5, v56, vcc_lo
	v_add_co_u32 v57, vcc_lo, s4, v58
	v_add_co_ci_u32_e64 v58, null, s5, v59, vcc_lo
	v_lshlrev_b64 v[59:60], 3, v[60:61]
	v_lshlrev_b64 v[61:62], 3, v[90:91]
	s_clause 0x6
	global_load_dwordx2 v[63:64], v65, s[4:5]
	global_load_dwordx2 v[66:67], v[53:54], off
	global_load_dwordx2 v[68:69], v[1:2], off
	;; [unrolled: 1-line block ×6, first 2 shown]
	v_add_co_u32 v59, vcc_lo, s4, v59
	v_add_co_ci_u32_e64 v60, null, s5, v60, vcc_lo
	v_add_co_u32 v61, vcc_lo, s4, v61
	v_add_co_ci_u32_e64 v62, null, s5, v62, vcc_lo
	s_clause 0x17
	global_load_dwordx2 v[78:79], v[11:12], off
	global_load_dwordx2 v[80:81], v[13:14], off
	;; [unrolled: 1-line block ×24, first 2 shown]
	s_mov_b32 s5, -1
	s_bitcmp0_b32 s8, 0
	s_waitcnt vmcnt(30)
	buffer_store_dword v64, off, s[0:3], 0 offset:4
	buffer_store_dword v63, off, s[0:3], 0
	s_waitcnt vmcnt(29)
	buffer_store_dword v67, off, s[0:3], 0 offset:12
	buffer_store_dword v66, off, s[0:3], 0 offset:8
	s_waitcnt vmcnt(28)
	buffer_store_dword v69, off, s[0:3], 0 offset:20
	buffer_store_dword v68, off, s[0:3], 0 offset:16
	;; [unrolled: 3-line block ×30, first 2 shown]
	s_cbranch_scc1 .LBB30_136
; %bb.4:
	v_cmp_eq_u32_e64 s4, 0, v0
	s_and_saveexec_b32 s5, s4
; %bb.5:
	v_mov_b32_e32 v63, 0
	ds_write_b32 v63, v63 offset:248
; %bb.6:
	s_or_b32 exec_lo, exec_lo, s5
	v_lshl_add_u32 v67, v0, 3, 0
	s_waitcnt lgkmcnt(0)
	s_waitcnt_vscnt null, 0x0
	s_barrier
	buffer_gl0_inv
	s_clause 0x1
	buffer_load_dword v63, v67, s[0:3], 0 offen
	buffer_load_dword v64, v67, s[0:3], 0 offen offset:4
	s_waitcnt vmcnt(1)
	v_cmp_eq_f32_e32 vcc_lo, 0, v63
	s_waitcnt vmcnt(0)
	v_cmp_eq_f32_e64 s5, 0, v64
	s_and_b32 s5, vcc_lo, s5
	s_and_saveexec_b32 s8, s5
	s_cbranch_execz .LBB30_10
; %bb.7:
	v_mov_b32_e32 v63, 0
	s_mov_b32 s9, 0
	ds_read_b32 v64, v63 offset:248
	s_waitcnt lgkmcnt(0)
	v_readfirstlane_b32 s5, v64
	v_add_nc_u32_e32 v64, 1, v0
	s_cmp_eq_u32 s5, 0
	v_cmp_gt_i32_e32 vcc_lo, s5, v64
	s_cselect_b32 s12, -1, 0
	s_or_b32 s12, s12, vcc_lo
	s_and_b32 exec_lo, exec_lo, s12
	s_cbranch_execz .LBB30_10
; %bb.8:
	v_mov_b32_e32 v66, s5
.LBB30_9:                               ; =>This Inner Loop Header: Depth=1
	ds_cmpst_rtn_b32 v66, v63, v66, v64 offset:248
	s_waitcnt lgkmcnt(0)
	v_cmp_ne_u32_e32 vcc_lo, 0, v66
	v_cmp_le_i32_e64 s5, v66, v64
	s_and_b32 s5, vcc_lo, s5
	s_and_b32 s5, exec_lo, s5
	s_or_b32 s9, s5, s9
	s_andn2_b32 exec_lo, exec_lo, s9
	s_cbranch_execnz .LBB30_9
.LBB30_10:
	s_or_b32 exec_lo, exec_lo, s8
	v_mov_b32_e32 v63, 0
	s_barrier
	buffer_gl0_inv
	ds_read_b32 v64, v63 offset:248
	s_and_saveexec_b32 s5, s4
	s_cbranch_execz .LBB30_12
; %bb.11:
	s_lshl_b64 s[8:9], s[6:7], 2
	s_add_u32 s8, s10, s8
	s_addc_u32 s9, s11, s9
	s_waitcnt lgkmcnt(0)
	global_store_dword v63, v64, s[8:9]
.LBB30_12:
	s_or_b32 exec_lo, exec_lo, s5
	s_waitcnt lgkmcnt(0)
	v_cmp_ne_u32_e32 vcc_lo, 0, v64
	s_mov_b32 s5, 0
	s_cbranch_vccnz .LBB30_136
; %bb.13:
	s_clause 0x1
	buffer_load_dword v64, v67, s[0:3], 0 offen
	buffer_load_dword v66, v67, s[0:3], 0 offen offset:4
                                        ; implicit-def: $vgpr69
                                        ; implicit-def: $vgpr68
                                        ; implicit-def: $vgpr63
	s_waitcnt vmcnt(0)
	v_cmp_ngt_f32_e64 s5, |v64|, |v66|
	s_and_saveexec_b32 s8, s5
	s_xor_b32 s5, exec_lo, s8
	s_cbranch_execz .LBB30_15
; %bb.14:
	v_div_scale_f32 v63, null, v66, v66, v64
	v_div_scale_f32 v70, vcc_lo, v64, v66, v64
	v_rcp_f32_e32 v68, v63
	v_fma_f32 v69, -v63, v68, 1.0
	v_fmac_f32_e32 v68, v69, v68
	v_mul_f32_e32 v69, v70, v68
	v_fma_f32 v71, -v63, v69, v70
	v_fmac_f32_e32 v69, v71, v68
	v_fma_f32 v63, -v63, v69, v70
	v_div_fmas_f32 v63, v63, v68, v69
	v_div_fixup_f32 v63, v63, v66, v64
	v_fmac_f32_e32 v66, v64, v63
	v_div_scale_f32 v64, null, v66, v66, 1.0
	v_rcp_f32_e32 v68, v64
	v_fma_f32 v69, -v64, v68, 1.0
	v_fmac_f32_e32 v68, v69, v68
	v_div_scale_f32 v69, vcc_lo, 1.0, v66, 1.0
	v_mul_f32_e32 v70, v69, v68
	v_fma_f32 v71, -v64, v70, v69
	v_fmac_f32_e32 v70, v71, v68
	v_fma_f32 v64, -v64, v70, v69
	v_div_fmas_f32 v64, v64, v68, v70
	v_div_fixup_f32 v64, v64, v66, 1.0
                                        ; implicit-def: $vgpr66
	v_mul_f32_e32 v69, v63, v64
	v_xor_b32_e32 v68, 0x80000000, v64
                                        ; implicit-def: $vgpr64
	v_xor_b32_e32 v63, 0x80000000, v69
.LBB30_15:
	s_andn2_saveexec_b32 s5, s5
	s_cbranch_execz .LBB30_17
; %bb.16:
	v_div_scale_f32 v63, null, v64, v64, v66
	v_div_scale_f32 v70, vcc_lo, v66, v64, v66
	v_rcp_f32_e32 v68, v63
	v_fma_f32 v69, -v63, v68, 1.0
	v_fmac_f32_e32 v68, v69, v68
	v_mul_f32_e32 v69, v70, v68
	v_fma_f32 v71, -v63, v69, v70
	v_fmac_f32_e32 v69, v71, v68
	v_fma_f32 v63, -v63, v69, v70
	v_div_fmas_f32 v63, v63, v68, v69
	v_div_fixup_f32 v68, v63, v64, v66
	v_fmac_f32_e32 v64, v66, v68
	v_div_scale_f32 v63, null, v64, v64, 1.0
	v_div_scale_f32 v70, vcc_lo, 1.0, v64, 1.0
	v_rcp_f32_e32 v66, v63
	v_fma_f32 v69, -v63, v66, 1.0
	v_fmac_f32_e32 v66, v69, v66
	v_mul_f32_e32 v69, v70, v66
	v_fma_f32 v71, -v63, v69, v70
	v_fmac_f32_e32 v69, v71, v66
	v_fma_f32 v63, -v63, v69, v70
	v_div_fmas_f32 v63, v63, v66, v69
	v_div_fixup_f32 v69, v63, v64, 1.0
	v_xor_b32_e32 v63, 0x80000000, v69
	v_mul_f32_e64 v68, v68, -v69
.LBB30_17:
	s_or_b32 exec_lo, exec_lo, s5
	buffer_store_dword v69, v67, s[0:3], 0 offen
	buffer_store_dword v68, v67, s[0:3], 0 offen offset:4
	s_clause 0x1
	buffer_load_dword v70, off, s[0:3], 0 offset:12
	buffer_load_dword v69, off, s[0:3], 0 offset:8
	v_xor_b32_e32 v64, 0x80000000, v68
	v_add_nc_u32_e32 v66, 0x100, v65
	s_waitcnt vmcnt(0)
	ds_write2_b64 v65, v[63:64], v[69:70] offset1:32
	s_waitcnt lgkmcnt(0)
	s_waitcnt_vscnt null, 0x0
	s_barrier
	buffer_gl0_inv
	s_and_saveexec_b32 s5, s4
	s_cbranch_execz .LBB30_19
; %bb.18:
	s_clause 0x1
	buffer_load_dword v70, v67, s[0:3], 0 offen offset:4
	buffer_load_dword v71, v67, s[0:3], 0 offen
	ds_read_b64 v[63:64], v66
	v_mov_b32_e32 v68, 0
	ds_read_b64 v[68:69], v68 offset:8
	s_waitcnt vmcnt(1) lgkmcnt(1)
	v_mul_f32_e32 v72, v63, v70
	v_mul_f32_e32 v70, v64, v70
	s_waitcnt vmcnt(0)
	v_fmac_f32_e32 v72, v64, v71
	v_fma_f32 v63, v63, v71, -v70
	v_add_f32_e32 v64, 0, v72
	v_add_f32_e32 v63, 0, v63
	s_waitcnt lgkmcnt(0)
	v_mul_f32_e32 v70, v64, v69
	v_mul_f32_e32 v69, v63, v69
	v_fma_f32 v63, v63, v68, -v70
	v_fmac_f32_e32 v69, v64, v68
	buffer_store_dword v63, off, s[0:3], 0 offset:8
	buffer_store_dword v69, off, s[0:3], 0 offset:12
.LBB30_19:
	s_or_b32 exec_lo, exec_lo, s5
	s_waitcnt_vscnt null, 0x0
	s_barrier
	buffer_gl0_inv
	s_clause 0x1
	buffer_load_dword v63, off, s[0:3], 0 offset:16
	buffer_load_dword v64, off, s[0:3], 0 offset:20
	s_mov_b32 s5, exec_lo
	s_waitcnt vmcnt(0)
	ds_write_b64 v66, v[63:64]
	s_waitcnt lgkmcnt(0)
	s_barrier
	buffer_gl0_inv
	v_cmpx_gt_u32_e32 2, v0
	s_cbranch_execz .LBB30_23
; %bb.20:
	s_clause 0x1
	buffer_load_dword v68, v67, s[0:3], 0 offen offset:4
	buffer_load_dword v67, v67, s[0:3], 0 offen
	ds_read_b64 v[63:64], v66
	s_waitcnt vmcnt(1) lgkmcnt(0)
	v_mul_f32_e32 v69, v64, v68
	v_mul_f32_e32 v68, v63, v68
	s_waitcnt vmcnt(0)
	v_fma_f32 v63, v63, v67, -v69
	v_fmac_f32_e32 v68, v64, v67
	v_add_f32_e32 v64, 0, v63
	v_add_f32_e32 v63, 0, v68
	s_and_saveexec_b32 s8, s4
	s_cbranch_execz .LBB30_22
; %bb.21:
	s_clause 0x1
	buffer_load_dword v69, off, s[0:3], 0 offset:12
	buffer_load_dword v70, off, s[0:3], 0 offset:8
	v_mov_b32_e32 v67, 0
	ds_read_b64 v[67:68], v67 offset:264
	s_waitcnt vmcnt(1) lgkmcnt(0)
	v_mul_f32_e32 v71, v67, v69
	v_mul_f32_e32 v69, v68, v69
	s_waitcnt vmcnt(0)
	v_fmac_f32_e32 v71, v68, v70
	v_fma_f32 v67, v67, v70, -v69
	v_add_f32_e32 v63, v63, v71
	v_add_f32_e32 v64, v64, v67
.LBB30_22:
	s_or_b32 exec_lo, exec_lo, s8
	v_mov_b32_e32 v67, 0
	ds_read_b64 v[67:68], v67 offset:16
	s_waitcnt lgkmcnt(0)
	v_mul_f32_e32 v69, v63, v68
	v_mul_f32_e32 v68, v64, v68
	v_fma_f32 v64, v64, v67, -v69
	v_fmac_f32_e32 v68, v63, v67
	buffer_store_dword v64, off, s[0:3], 0 offset:16
	buffer_store_dword v68, off, s[0:3], 0 offset:20
.LBB30_23:
	s_or_b32 exec_lo, exec_lo, s5
	s_waitcnt_vscnt null, 0x0
	s_barrier
	buffer_gl0_inv
	s_clause 0x1
	buffer_load_dword v67, off, s[0:3], 0 offset:24
	buffer_load_dword v68, off, s[0:3], 0 offset:28
	v_add_nc_u32_e32 v63, -1, v0
	s_mov_b32 s4, exec_lo
	s_waitcnt vmcnt(0)
	ds_write_b64 v66, v[67:68]
	s_waitcnt lgkmcnt(0)
	s_barrier
	buffer_gl0_inv
	v_cmpx_gt_u32_e32 3, v0
	s_cbranch_execz .LBB30_27
; %bb.24:
	v_add_nc_u32_e32 v67, -1, v0
	v_add_nc_u32_e32 v68, 0x100, v65
	v_mov_b32_e32 v69, v65
	v_mov_b32_e32 v64, 0
	;; [unrolled: 1-line block ×3, first 2 shown]
	s_mov_b32 s5, 0
	.p2align	6
.LBB30_25:                              ; =>This Inner Loop Header: Depth=1
	s_clause 0x1
	buffer_load_dword v73, v69, s[0:3], 0 offen offset:4
	buffer_load_dword v74, v69, s[0:3], 0 offen
	ds_read_b64 v[71:72], v68
	v_add_nc_u32_e32 v67, 1, v67
	v_add_nc_u32_e32 v68, 8, v68
	;; [unrolled: 1-line block ×3, first 2 shown]
	v_cmp_lt_u32_e32 vcc_lo, 1, v67
	s_or_b32 s5, vcc_lo, s5
	s_waitcnt vmcnt(1) lgkmcnt(0)
	v_mul_f32_e32 v75, v72, v73
	v_mul_f32_e32 v73, v71, v73
	s_waitcnt vmcnt(0)
	v_fma_f32 v71, v71, v74, -v75
	v_fmac_f32_e32 v73, v72, v74
	v_add_f32_e32 v70, v70, v71
	v_add_f32_e32 v64, v64, v73
	s_andn2_b32 exec_lo, exec_lo, s5
	s_cbranch_execnz .LBB30_25
; %bb.26:
	s_or_b32 exec_lo, exec_lo, s5
	v_mov_b32_e32 v67, 0
	ds_read_b64 v[67:68], v67 offset:24
	s_waitcnt lgkmcnt(0)
	v_mul_f32_e32 v69, v64, v68
	v_mul_f32_e32 v68, v70, v68
	v_fma_f32 v69, v70, v67, -v69
	v_fmac_f32_e32 v68, v64, v67
	buffer_store_dword v69, off, s[0:3], 0 offset:24
	buffer_store_dword v68, off, s[0:3], 0 offset:28
.LBB30_27:
	s_or_b32 exec_lo, exec_lo, s4
	s_waitcnt_vscnt null, 0x0
	s_barrier
	buffer_gl0_inv
	s_clause 0x1
	buffer_load_dword v67, off, s[0:3], 0 offset:32
	buffer_load_dword v68, off, s[0:3], 0 offset:36
	s_mov_b32 s4, exec_lo
	s_waitcnt vmcnt(0)
	ds_write_b64 v66, v[67:68]
	s_waitcnt lgkmcnt(0)
	s_barrier
	buffer_gl0_inv
	v_cmpx_gt_u32_e32 4, v0
	s_cbranch_execz .LBB30_31
; %bb.28:
	v_add_nc_u32_e32 v67, -1, v0
	v_add_nc_u32_e32 v68, 0x100, v65
	v_mov_b32_e32 v69, v65
	v_mov_b32_e32 v64, 0
	;; [unrolled: 1-line block ×3, first 2 shown]
	s_mov_b32 s5, 0
	.p2align	6
.LBB30_29:                              ; =>This Inner Loop Header: Depth=1
	s_clause 0x1
	buffer_load_dword v73, v69, s[0:3], 0 offen offset:4
	buffer_load_dword v74, v69, s[0:3], 0 offen
	ds_read_b64 v[71:72], v68
	v_add_nc_u32_e32 v67, 1, v67
	v_add_nc_u32_e32 v68, 8, v68
	;; [unrolled: 1-line block ×3, first 2 shown]
	v_cmp_lt_u32_e32 vcc_lo, 2, v67
	s_or_b32 s5, vcc_lo, s5
	s_waitcnt vmcnt(1) lgkmcnt(0)
	v_mul_f32_e32 v75, v72, v73
	v_mul_f32_e32 v73, v71, v73
	s_waitcnt vmcnt(0)
	v_fma_f32 v71, v71, v74, -v75
	v_fmac_f32_e32 v73, v72, v74
	v_add_f32_e32 v70, v70, v71
	v_add_f32_e32 v64, v64, v73
	s_andn2_b32 exec_lo, exec_lo, s5
	s_cbranch_execnz .LBB30_29
; %bb.30:
	s_or_b32 exec_lo, exec_lo, s5
	v_mov_b32_e32 v67, 0
	ds_read_b64 v[67:68], v67 offset:32
	s_waitcnt lgkmcnt(0)
	v_mul_f32_e32 v69, v64, v68
	v_mul_f32_e32 v68, v70, v68
	v_fma_f32 v69, v70, v67, -v69
	v_fmac_f32_e32 v68, v64, v67
	buffer_store_dword v69, off, s[0:3], 0 offset:32
	buffer_store_dword v68, off, s[0:3], 0 offset:36
.LBB30_31:
	s_or_b32 exec_lo, exec_lo, s4
	s_waitcnt_vscnt null, 0x0
	s_barrier
	buffer_gl0_inv
	s_clause 0x1
	buffer_load_dword v67, off, s[0:3], 0 offset:40
	buffer_load_dword v68, off, s[0:3], 0 offset:44
	s_mov_b32 s4, exec_lo
	s_waitcnt vmcnt(0)
	ds_write_b64 v66, v[67:68]
	s_waitcnt lgkmcnt(0)
	s_barrier
	buffer_gl0_inv
	v_cmpx_gt_u32_e32 5, v0
	s_cbranch_execz .LBB30_35
; %bb.32:
	v_add_nc_u32_e32 v67, -1, v0
	v_add_nc_u32_e32 v68, 0x100, v65
	v_mov_b32_e32 v69, v65
	v_mov_b32_e32 v64, 0
	;; [unrolled: 1-line block ×3, first 2 shown]
	s_mov_b32 s5, 0
	.p2align	6
.LBB30_33:                              ; =>This Inner Loop Header: Depth=1
	s_clause 0x1
	buffer_load_dword v73, v69, s[0:3], 0 offen offset:4
	buffer_load_dword v74, v69, s[0:3], 0 offen
	ds_read_b64 v[71:72], v68
	v_add_nc_u32_e32 v67, 1, v67
	v_add_nc_u32_e32 v68, 8, v68
	;; [unrolled: 1-line block ×3, first 2 shown]
	v_cmp_lt_u32_e32 vcc_lo, 3, v67
	s_or_b32 s5, vcc_lo, s5
	s_waitcnt vmcnt(1) lgkmcnt(0)
	v_mul_f32_e32 v75, v72, v73
	v_mul_f32_e32 v73, v71, v73
	s_waitcnt vmcnt(0)
	v_fma_f32 v71, v71, v74, -v75
	v_fmac_f32_e32 v73, v72, v74
	v_add_f32_e32 v70, v70, v71
	v_add_f32_e32 v64, v64, v73
	s_andn2_b32 exec_lo, exec_lo, s5
	s_cbranch_execnz .LBB30_33
; %bb.34:
	s_or_b32 exec_lo, exec_lo, s5
	v_mov_b32_e32 v67, 0
	ds_read_b64 v[67:68], v67 offset:40
	s_waitcnt lgkmcnt(0)
	v_mul_f32_e32 v69, v64, v68
	v_mul_f32_e32 v68, v70, v68
	v_fma_f32 v69, v70, v67, -v69
	v_fmac_f32_e32 v68, v64, v67
	buffer_store_dword v69, off, s[0:3], 0 offset:40
	buffer_store_dword v68, off, s[0:3], 0 offset:44
.LBB30_35:
	s_or_b32 exec_lo, exec_lo, s4
	s_waitcnt_vscnt null, 0x0
	s_barrier
	buffer_gl0_inv
	s_clause 0x1
	buffer_load_dword v67, off, s[0:3], 0 offset:48
	buffer_load_dword v68, off, s[0:3], 0 offset:52
	s_mov_b32 s4, exec_lo
	s_waitcnt vmcnt(0)
	ds_write_b64 v66, v[67:68]
	s_waitcnt lgkmcnt(0)
	s_barrier
	buffer_gl0_inv
	v_cmpx_gt_u32_e32 6, v0
	s_cbranch_execz .LBB30_39
; %bb.36:
	v_add_nc_u32_e32 v67, -1, v0
	v_add_nc_u32_e32 v68, 0x100, v65
	v_mov_b32_e32 v69, v65
	v_mov_b32_e32 v64, 0
	;; [unrolled: 1-line block ×3, first 2 shown]
	s_mov_b32 s5, 0
	.p2align	6
.LBB30_37:                              ; =>This Inner Loop Header: Depth=1
	s_clause 0x1
	buffer_load_dword v73, v69, s[0:3], 0 offen offset:4
	buffer_load_dword v74, v69, s[0:3], 0 offen
	ds_read_b64 v[71:72], v68
	v_add_nc_u32_e32 v67, 1, v67
	v_add_nc_u32_e32 v68, 8, v68
	;; [unrolled: 1-line block ×3, first 2 shown]
	v_cmp_lt_u32_e32 vcc_lo, 4, v67
	s_or_b32 s5, vcc_lo, s5
	s_waitcnt vmcnt(1) lgkmcnt(0)
	v_mul_f32_e32 v75, v72, v73
	v_mul_f32_e32 v73, v71, v73
	s_waitcnt vmcnt(0)
	v_fma_f32 v71, v71, v74, -v75
	v_fmac_f32_e32 v73, v72, v74
	v_add_f32_e32 v70, v70, v71
	v_add_f32_e32 v64, v64, v73
	s_andn2_b32 exec_lo, exec_lo, s5
	s_cbranch_execnz .LBB30_37
; %bb.38:
	s_or_b32 exec_lo, exec_lo, s5
	v_mov_b32_e32 v67, 0
	ds_read_b64 v[67:68], v67 offset:48
	s_waitcnt lgkmcnt(0)
	v_mul_f32_e32 v69, v64, v68
	v_mul_f32_e32 v68, v70, v68
	v_fma_f32 v69, v70, v67, -v69
	v_fmac_f32_e32 v68, v64, v67
	buffer_store_dword v69, off, s[0:3], 0 offset:48
	buffer_store_dword v68, off, s[0:3], 0 offset:52
.LBB30_39:
	s_or_b32 exec_lo, exec_lo, s4
	s_waitcnt_vscnt null, 0x0
	s_barrier
	buffer_gl0_inv
	s_clause 0x1
	buffer_load_dword v67, off, s[0:3], 0 offset:56
	buffer_load_dword v68, off, s[0:3], 0 offset:60
	s_mov_b32 s4, exec_lo
	s_waitcnt vmcnt(0)
	ds_write_b64 v66, v[67:68]
	s_waitcnt lgkmcnt(0)
	s_barrier
	buffer_gl0_inv
	v_cmpx_gt_u32_e32 7, v0
	s_cbranch_execz .LBB30_43
; %bb.40:
	v_add_nc_u32_e32 v67, -1, v0
	v_add_nc_u32_e32 v68, 0x100, v65
	v_mov_b32_e32 v69, v65
	v_mov_b32_e32 v64, 0
	;; [unrolled: 1-line block ×3, first 2 shown]
	s_mov_b32 s5, 0
	.p2align	6
.LBB30_41:                              ; =>This Inner Loop Header: Depth=1
	s_clause 0x1
	buffer_load_dword v73, v69, s[0:3], 0 offen offset:4
	buffer_load_dword v74, v69, s[0:3], 0 offen
	ds_read_b64 v[71:72], v68
	v_add_nc_u32_e32 v67, 1, v67
	v_add_nc_u32_e32 v68, 8, v68
	;; [unrolled: 1-line block ×3, first 2 shown]
	v_cmp_lt_u32_e32 vcc_lo, 5, v67
	s_or_b32 s5, vcc_lo, s5
	s_waitcnt vmcnt(1) lgkmcnt(0)
	v_mul_f32_e32 v75, v72, v73
	v_mul_f32_e32 v73, v71, v73
	s_waitcnt vmcnt(0)
	v_fma_f32 v71, v71, v74, -v75
	v_fmac_f32_e32 v73, v72, v74
	v_add_f32_e32 v70, v70, v71
	v_add_f32_e32 v64, v64, v73
	s_andn2_b32 exec_lo, exec_lo, s5
	s_cbranch_execnz .LBB30_41
; %bb.42:
	s_or_b32 exec_lo, exec_lo, s5
	v_mov_b32_e32 v67, 0
	ds_read_b64 v[67:68], v67 offset:56
	s_waitcnt lgkmcnt(0)
	v_mul_f32_e32 v69, v64, v68
	v_mul_f32_e32 v68, v70, v68
	v_fma_f32 v69, v70, v67, -v69
	v_fmac_f32_e32 v68, v64, v67
	buffer_store_dword v69, off, s[0:3], 0 offset:56
	buffer_store_dword v68, off, s[0:3], 0 offset:60
.LBB30_43:
	s_or_b32 exec_lo, exec_lo, s4
	s_waitcnt_vscnt null, 0x0
	s_barrier
	buffer_gl0_inv
	s_clause 0x1
	buffer_load_dword v67, off, s[0:3], 0 offset:64
	buffer_load_dword v68, off, s[0:3], 0 offset:68
	s_mov_b32 s4, exec_lo
	s_waitcnt vmcnt(0)
	ds_write_b64 v66, v[67:68]
	s_waitcnt lgkmcnt(0)
	s_barrier
	buffer_gl0_inv
	v_cmpx_gt_u32_e32 8, v0
	s_cbranch_execz .LBB30_47
; %bb.44:
	v_add_nc_u32_e32 v67, -1, v0
	v_add_nc_u32_e32 v68, 0x100, v65
	v_mov_b32_e32 v69, v65
	v_mov_b32_e32 v64, 0
	;; [unrolled: 1-line block ×3, first 2 shown]
	s_mov_b32 s5, 0
	.p2align	6
.LBB30_45:                              ; =>This Inner Loop Header: Depth=1
	s_clause 0x1
	buffer_load_dword v73, v69, s[0:3], 0 offen offset:4
	buffer_load_dword v74, v69, s[0:3], 0 offen
	ds_read_b64 v[71:72], v68
	v_add_nc_u32_e32 v67, 1, v67
	v_add_nc_u32_e32 v68, 8, v68
	;; [unrolled: 1-line block ×3, first 2 shown]
	v_cmp_lt_u32_e32 vcc_lo, 6, v67
	s_or_b32 s5, vcc_lo, s5
	s_waitcnt vmcnt(1) lgkmcnt(0)
	v_mul_f32_e32 v75, v72, v73
	v_mul_f32_e32 v73, v71, v73
	s_waitcnt vmcnt(0)
	v_fma_f32 v71, v71, v74, -v75
	v_fmac_f32_e32 v73, v72, v74
	v_add_f32_e32 v70, v70, v71
	v_add_f32_e32 v64, v64, v73
	s_andn2_b32 exec_lo, exec_lo, s5
	s_cbranch_execnz .LBB30_45
; %bb.46:
	s_or_b32 exec_lo, exec_lo, s5
	v_mov_b32_e32 v67, 0
	ds_read_b64 v[67:68], v67 offset:64
	s_waitcnt lgkmcnt(0)
	v_mul_f32_e32 v69, v64, v68
	v_mul_f32_e32 v68, v70, v68
	v_fma_f32 v69, v70, v67, -v69
	v_fmac_f32_e32 v68, v64, v67
	buffer_store_dword v69, off, s[0:3], 0 offset:64
	buffer_store_dword v68, off, s[0:3], 0 offset:68
.LBB30_47:
	s_or_b32 exec_lo, exec_lo, s4
	s_waitcnt_vscnt null, 0x0
	s_barrier
	buffer_gl0_inv
	s_clause 0x1
	buffer_load_dword v67, off, s[0:3], 0 offset:72
	buffer_load_dword v68, off, s[0:3], 0 offset:76
	s_mov_b32 s4, exec_lo
	s_waitcnt vmcnt(0)
	ds_write_b64 v66, v[67:68]
	s_waitcnt lgkmcnt(0)
	s_barrier
	buffer_gl0_inv
	v_cmpx_gt_u32_e32 9, v0
	s_cbranch_execz .LBB30_51
; %bb.48:
	v_add_nc_u32_e32 v67, -1, v0
	v_add_nc_u32_e32 v68, 0x100, v65
	v_mov_b32_e32 v69, v65
	v_mov_b32_e32 v64, 0
	;; [unrolled: 1-line block ×3, first 2 shown]
	s_mov_b32 s5, 0
	.p2align	6
.LBB30_49:                              ; =>This Inner Loop Header: Depth=1
	s_clause 0x1
	buffer_load_dword v73, v69, s[0:3], 0 offen offset:4
	buffer_load_dword v74, v69, s[0:3], 0 offen
	ds_read_b64 v[71:72], v68
	v_add_nc_u32_e32 v67, 1, v67
	v_add_nc_u32_e32 v68, 8, v68
	;; [unrolled: 1-line block ×3, first 2 shown]
	v_cmp_lt_u32_e32 vcc_lo, 7, v67
	s_or_b32 s5, vcc_lo, s5
	s_waitcnt vmcnt(1) lgkmcnt(0)
	v_mul_f32_e32 v75, v72, v73
	v_mul_f32_e32 v73, v71, v73
	s_waitcnt vmcnt(0)
	v_fma_f32 v71, v71, v74, -v75
	v_fmac_f32_e32 v73, v72, v74
	v_add_f32_e32 v70, v70, v71
	v_add_f32_e32 v64, v64, v73
	s_andn2_b32 exec_lo, exec_lo, s5
	s_cbranch_execnz .LBB30_49
; %bb.50:
	s_or_b32 exec_lo, exec_lo, s5
	v_mov_b32_e32 v67, 0
	ds_read_b64 v[67:68], v67 offset:72
	s_waitcnt lgkmcnt(0)
	v_mul_f32_e32 v69, v64, v68
	v_mul_f32_e32 v68, v70, v68
	v_fma_f32 v69, v70, v67, -v69
	v_fmac_f32_e32 v68, v64, v67
	buffer_store_dword v69, off, s[0:3], 0 offset:72
	buffer_store_dword v68, off, s[0:3], 0 offset:76
.LBB30_51:
	s_or_b32 exec_lo, exec_lo, s4
	s_waitcnt_vscnt null, 0x0
	s_barrier
	buffer_gl0_inv
	s_clause 0x1
	buffer_load_dword v67, off, s[0:3], 0 offset:80
	buffer_load_dword v68, off, s[0:3], 0 offset:84
	s_mov_b32 s4, exec_lo
	s_waitcnt vmcnt(0)
	ds_write_b64 v66, v[67:68]
	s_waitcnt lgkmcnt(0)
	s_barrier
	buffer_gl0_inv
	v_cmpx_gt_u32_e32 10, v0
	s_cbranch_execz .LBB30_55
; %bb.52:
	v_add_nc_u32_e32 v67, -1, v0
	v_add_nc_u32_e32 v68, 0x100, v65
	v_mov_b32_e32 v69, v65
	v_mov_b32_e32 v64, 0
	;; [unrolled: 1-line block ×3, first 2 shown]
	s_mov_b32 s5, 0
	.p2align	6
.LBB30_53:                              ; =>This Inner Loop Header: Depth=1
	s_clause 0x1
	buffer_load_dword v73, v69, s[0:3], 0 offen offset:4
	buffer_load_dword v74, v69, s[0:3], 0 offen
	ds_read_b64 v[71:72], v68
	v_add_nc_u32_e32 v67, 1, v67
	v_add_nc_u32_e32 v68, 8, v68
	;; [unrolled: 1-line block ×3, first 2 shown]
	v_cmp_lt_u32_e32 vcc_lo, 8, v67
	s_or_b32 s5, vcc_lo, s5
	s_waitcnt vmcnt(1) lgkmcnt(0)
	v_mul_f32_e32 v75, v72, v73
	v_mul_f32_e32 v73, v71, v73
	s_waitcnt vmcnt(0)
	v_fma_f32 v71, v71, v74, -v75
	v_fmac_f32_e32 v73, v72, v74
	v_add_f32_e32 v70, v70, v71
	v_add_f32_e32 v64, v64, v73
	s_andn2_b32 exec_lo, exec_lo, s5
	s_cbranch_execnz .LBB30_53
; %bb.54:
	s_or_b32 exec_lo, exec_lo, s5
	v_mov_b32_e32 v67, 0
	ds_read_b64 v[67:68], v67 offset:80
	s_waitcnt lgkmcnt(0)
	v_mul_f32_e32 v69, v64, v68
	v_mul_f32_e32 v68, v70, v68
	v_fma_f32 v69, v70, v67, -v69
	v_fmac_f32_e32 v68, v64, v67
	buffer_store_dword v69, off, s[0:3], 0 offset:80
	buffer_store_dword v68, off, s[0:3], 0 offset:84
.LBB30_55:
	s_or_b32 exec_lo, exec_lo, s4
	s_waitcnt_vscnt null, 0x0
	s_barrier
	buffer_gl0_inv
	s_clause 0x1
	buffer_load_dword v67, off, s[0:3], 0 offset:88
	buffer_load_dword v68, off, s[0:3], 0 offset:92
	s_mov_b32 s4, exec_lo
	s_waitcnt vmcnt(0)
	ds_write_b64 v66, v[67:68]
	s_waitcnt lgkmcnt(0)
	s_barrier
	buffer_gl0_inv
	v_cmpx_gt_u32_e32 11, v0
	s_cbranch_execz .LBB30_59
; %bb.56:
	v_add_nc_u32_e32 v67, -1, v0
	v_add_nc_u32_e32 v68, 0x100, v65
	v_mov_b32_e32 v69, v65
	v_mov_b32_e32 v64, 0
	;; [unrolled: 1-line block ×3, first 2 shown]
	s_mov_b32 s5, 0
	.p2align	6
.LBB30_57:                              ; =>This Inner Loop Header: Depth=1
	s_clause 0x1
	buffer_load_dword v73, v69, s[0:3], 0 offen offset:4
	buffer_load_dword v74, v69, s[0:3], 0 offen
	ds_read_b64 v[71:72], v68
	v_add_nc_u32_e32 v67, 1, v67
	v_add_nc_u32_e32 v68, 8, v68
	;; [unrolled: 1-line block ×3, first 2 shown]
	v_cmp_lt_u32_e32 vcc_lo, 9, v67
	s_or_b32 s5, vcc_lo, s5
	s_waitcnt vmcnt(1) lgkmcnt(0)
	v_mul_f32_e32 v75, v72, v73
	v_mul_f32_e32 v73, v71, v73
	s_waitcnt vmcnt(0)
	v_fma_f32 v71, v71, v74, -v75
	v_fmac_f32_e32 v73, v72, v74
	v_add_f32_e32 v70, v70, v71
	v_add_f32_e32 v64, v64, v73
	s_andn2_b32 exec_lo, exec_lo, s5
	s_cbranch_execnz .LBB30_57
; %bb.58:
	s_or_b32 exec_lo, exec_lo, s5
	v_mov_b32_e32 v67, 0
	ds_read_b64 v[67:68], v67 offset:88
	s_waitcnt lgkmcnt(0)
	v_mul_f32_e32 v69, v64, v68
	v_mul_f32_e32 v68, v70, v68
	v_fma_f32 v69, v70, v67, -v69
	v_fmac_f32_e32 v68, v64, v67
	buffer_store_dword v69, off, s[0:3], 0 offset:88
	buffer_store_dword v68, off, s[0:3], 0 offset:92
.LBB30_59:
	s_or_b32 exec_lo, exec_lo, s4
	s_waitcnt_vscnt null, 0x0
	s_barrier
	buffer_gl0_inv
	s_clause 0x1
	buffer_load_dword v67, off, s[0:3], 0 offset:96
	buffer_load_dword v68, off, s[0:3], 0 offset:100
	s_mov_b32 s4, exec_lo
	s_waitcnt vmcnt(0)
	ds_write_b64 v66, v[67:68]
	s_waitcnt lgkmcnt(0)
	s_barrier
	buffer_gl0_inv
	v_cmpx_gt_u32_e32 12, v0
	s_cbranch_execz .LBB30_63
; %bb.60:
	v_add_nc_u32_e32 v67, -1, v0
	v_add_nc_u32_e32 v68, 0x100, v65
	v_mov_b32_e32 v69, v65
	v_mov_b32_e32 v64, 0
	;; [unrolled: 1-line block ×3, first 2 shown]
	s_mov_b32 s5, 0
	.p2align	6
.LBB30_61:                              ; =>This Inner Loop Header: Depth=1
	s_clause 0x1
	buffer_load_dword v73, v69, s[0:3], 0 offen offset:4
	buffer_load_dword v74, v69, s[0:3], 0 offen
	ds_read_b64 v[71:72], v68
	v_add_nc_u32_e32 v67, 1, v67
	v_add_nc_u32_e32 v68, 8, v68
	;; [unrolled: 1-line block ×3, first 2 shown]
	v_cmp_lt_u32_e32 vcc_lo, 10, v67
	s_or_b32 s5, vcc_lo, s5
	s_waitcnt vmcnt(1) lgkmcnt(0)
	v_mul_f32_e32 v75, v72, v73
	v_mul_f32_e32 v73, v71, v73
	s_waitcnt vmcnt(0)
	v_fma_f32 v71, v71, v74, -v75
	v_fmac_f32_e32 v73, v72, v74
	v_add_f32_e32 v70, v70, v71
	v_add_f32_e32 v64, v64, v73
	s_andn2_b32 exec_lo, exec_lo, s5
	s_cbranch_execnz .LBB30_61
; %bb.62:
	s_or_b32 exec_lo, exec_lo, s5
	v_mov_b32_e32 v67, 0
	ds_read_b64 v[67:68], v67 offset:96
	s_waitcnt lgkmcnt(0)
	v_mul_f32_e32 v69, v64, v68
	v_mul_f32_e32 v68, v70, v68
	v_fma_f32 v69, v70, v67, -v69
	v_fmac_f32_e32 v68, v64, v67
	buffer_store_dword v69, off, s[0:3], 0 offset:96
	buffer_store_dword v68, off, s[0:3], 0 offset:100
.LBB30_63:
	s_or_b32 exec_lo, exec_lo, s4
	s_waitcnt_vscnt null, 0x0
	s_barrier
	buffer_gl0_inv
	s_clause 0x1
	buffer_load_dword v67, off, s[0:3], 0 offset:104
	buffer_load_dword v68, off, s[0:3], 0 offset:108
	s_mov_b32 s4, exec_lo
	s_waitcnt vmcnt(0)
	ds_write_b64 v66, v[67:68]
	s_waitcnt lgkmcnt(0)
	s_barrier
	buffer_gl0_inv
	v_cmpx_gt_u32_e32 13, v0
	s_cbranch_execz .LBB30_67
; %bb.64:
	v_add_nc_u32_e32 v67, -1, v0
	v_add_nc_u32_e32 v68, 0x100, v65
	v_mov_b32_e32 v69, v65
	v_mov_b32_e32 v64, 0
	;; [unrolled: 1-line block ×3, first 2 shown]
	s_mov_b32 s5, 0
	.p2align	6
.LBB30_65:                              ; =>This Inner Loop Header: Depth=1
	s_clause 0x1
	buffer_load_dword v73, v69, s[0:3], 0 offen offset:4
	buffer_load_dword v74, v69, s[0:3], 0 offen
	ds_read_b64 v[71:72], v68
	v_add_nc_u32_e32 v67, 1, v67
	v_add_nc_u32_e32 v68, 8, v68
	;; [unrolled: 1-line block ×3, first 2 shown]
	v_cmp_lt_u32_e32 vcc_lo, 11, v67
	s_or_b32 s5, vcc_lo, s5
	s_waitcnt vmcnt(1) lgkmcnt(0)
	v_mul_f32_e32 v75, v72, v73
	v_mul_f32_e32 v73, v71, v73
	s_waitcnt vmcnt(0)
	v_fma_f32 v71, v71, v74, -v75
	v_fmac_f32_e32 v73, v72, v74
	v_add_f32_e32 v70, v70, v71
	v_add_f32_e32 v64, v64, v73
	s_andn2_b32 exec_lo, exec_lo, s5
	s_cbranch_execnz .LBB30_65
; %bb.66:
	s_or_b32 exec_lo, exec_lo, s5
	v_mov_b32_e32 v67, 0
	ds_read_b64 v[67:68], v67 offset:104
	s_waitcnt lgkmcnt(0)
	v_mul_f32_e32 v69, v64, v68
	v_mul_f32_e32 v68, v70, v68
	v_fma_f32 v69, v70, v67, -v69
	v_fmac_f32_e32 v68, v64, v67
	buffer_store_dword v69, off, s[0:3], 0 offset:104
	buffer_store_dword v68, off, s[0:3], 0 offset:108
.LBB30_67:
	s_or_b32 exec_lo, exec_lo, s4
	s_waitcnt_vscnt null, 0x0
	s_barrier
	buffer_gl0_inv
	s_clause 0x1
	buffer_load_dword v67, off, s[0:3], 0 offset:112
	buffer_load_dword v68, off, s[0:3], 0 offset:116
	s_mov_b32 s4, exec_lo
	s_waitcnt vmcnt(0)
	ds_write_b64 v66, v[67:68]
	s_waitcnt lgkmcnt(0)
	s_barrier
	buffer_gl0_inv
	v_cmpx_gt_u32_e32 14, v0
	s_cbranch_execz .LBB30_71
; %bb.68:
	v_add_nc_u32_e32 v67, -1, v0
	v_add_nc_u32_e32 v68, 0x100, v65
	v_mov_b32_e32 v69, v65
	v_mov_b32_e32 v64, 0
	;; [unrolled: 1-line block ×3, first 2 shown]
	s_mov_b32 s5, 0
	.p2align	6
.LBB30_69:                              ; =>This Inner Loop Header: Depth=1
	s_clause 0x1
	buffer_load_dword v73, v69, s[0:3], 0 offen offset:4
	buffer_load_dword v74, v69, s[0:3], 0 offen
	ds_read_b64 v[71:72], v68
	v_add_nc_u32_e32 v67, 1, v67
	v_add_nc_u32_e32 v68, 8, v68
	;; [unrolled: 1-line block ×3, first 2 shown]
	v_cmp_lt_u32_e32 vcc_lo, 12, v67
	s_or_b32 s5, vcc_lo, s5
	s_waitcnt vmcnt(1) lgkmcnt(0)
	v_mul_f32_e32 v75, v72, v73
	v_mul_f32_e32 v73, v71, v73
	s_waitcnt vmcnt(0)
	v_fma_f32 v71, v71, v74, -v75
	v_fmac_f32_e32 v73, v72, v74
	v_add_f32_e32 v70, v70, v71
	v_add_f32_e32 v64, v64, v73
	s_andn2_b32 exec_lo, exec_lo, s5
	s_cbranch_execnz .LBB30_69
; %bb.70:
	s_or_b32 exec_lo, exec_lo, s5
	v_mov_b32_e32 v67, 0
	ds_read_b64 v[67:68], v67 offset:112
	s_waitcnt lgkmcnt(0)
	v_mul_f32_e32 v69, v64, v68
	v_mul_f32_e32 v68, v70, v68
	v_fma_f32 v69, v70, v67, -v69
	v_fmac_f32_e32 v68, v64, v67
	buffer_store_dword v69, off, s[0:3], 0 offset:112
	buffer_store_dword v68, off, s[0:3], 0 offset:116
.LBB30_71:
	s_or_b32 exec_lo, exec_lo, s4
	s_waitcnt_vscnt null, 0x0
	s_barrier
	buffer_gl0_inv
	s_clause 0x1
	buffer_load_dword v67, off, s[0:3], 0 offset:120
	buffer_load_dword v68, off, s[0:3], 0 offset:124
	s_mov_b32 s4, exec_lo
	s_waitcnt vmcnt(0)
	ds_write_b64 v66, v[67:68]
	s_waitcnt lgkmcnt(0)
	s_barrier
	buffer_gl0_inv
	v_cmpx_gt_u32_e32 15, v0
	s_cbranch_execz .LBB30_75
; %bb.72:
	v_add_nc_u32_e32 v67, -1, v0
	v_add_nc_u32_e32 v68, 0x100, v65
	v_mov_b32_e32 v69, v65
	v_mov_b32_e32 v64, 0
	;; [unrolled: 1-line block ×3, first 2 shown]
	s_mov_b32 s5, 0
	.p2align	6
.LBB30_73:                              ; =>This Inner Loop Header: Depth=1
	s_clause 0x1
	buffer_load_dword v73, v69, s[0:3], 0 offen offset:4
	buffer_load_dword v74, v69, s[0:3], 0 offen
	ds_read_b64 v[71:72], v68
	v_add_nc_u32_e32 v67, 1, v67
	v_add_nc_u32_e32 v68, 8, v68
	;; [unrolled: 1-line block ×3, first 2 shown]
	v_cmp_lt_u32_e32 vcc_lo, 13, v67
	s_or_b32 s5, vcc_lo, s5
	s_waitcnt vmcnt(1) lgkmcnt(0)
	v_mul_f32_e32 v75, v72, v73
	v_mul_f32_e32 v73, v71, v73
	s_waitcnt vmcnt(0)
	v_fma_f32 v71, v71, v74, -v75
	v_fmac_f32_e32 v73, v72, v74
	v_add_f32_e32 v70, v70, v71
	v_add_f32_e32 v64, v64, v73
	s_andn2_b32 exec_lo, exec_lo, s5
	s_cbranch_execnz .LBB30_73
; %bb.74:
	s_or_b32 exec_lo, exec_lo, s5
	v_mov_b32_e32 v67, 0
	ds_read_b64 v[67:68], v67 offset:120
	s_waitcnt lgkmcnt(0)
	v_mul_f32_e32 v69, v64, v68
	v_mul_f32_e32 v68, v70, v68
	v_fma_f32 v69, v70, v67, -v69
	v_fmac_f32_e32 v68, v64, v67
	buffer_store_dword v69, off, s[0:3], 0 offset:120
	buffer_store_dword v68, off, s[0:3], 0 offset:124
.LBB30_75:
	s_or_b32 exec_lo, exec_lo, s4
	s_waitcnt_vscnt null, 0x0
	s_barrier
	buffer_gl0_inv
	s_clause 0x1
	buffer_load_dword v67, off, s[0:3], 0 offset:128
	buffer_load_dword v68, off, s[0:3], 0 offset:132
	s_mov_b32 s4, exec_lo
	s_waitcnt vmcnt(0)
	ds_write_b64 v66, v[67:68]
	s_waitcnt lgkmcnt(0)
	s_barrier
	buffer_gl0_inv
	v_cmpx_gt_u32_e32 16, v0
	s_cbranch_execz .LBB30_79
; %bb.76:
	v_add_nc_u32_e32 v67, -1, v0
	v_add_nc_u32_e32 v68, 0x100, v65
	v_mov_b32_e32 v69, v65
	v_mov_b32_e32 v64, 0
	;; [unrolled: 1-line block ×3, first 2 shown]
	s_mov_b32 s5, 0
	.p2align	6
.LBB30_77:                              ; =>This Inner Loop Header: Depth=1
	s_clause 0x1
	buffer_load_dword v73, v69, s[0:3], 0 offen offset:4
	buffer_load_dword v74, v69, s[0:3], 0 offen
	ds_read_b64 v[71:72], v68
	v_add_nc_u32_e32 v67, 1, v67
	v_add_nc_u32_e32 v68, 8, v68
	;; [unrolled: 1-line block ×3, first 2 shown]
	v_cmp_lt_u32_e32 vcc_lo, 14, v67
	s_or_b32 s5, vcc_lo, s5
	s_waitcnt vmcnt(1) lgkmcnt(0)
	v_mul_f32_e32 v75, v72, v73
	v_mul_f32_e32 v73, v71, v73
	s_waitcnt vmcnt(0)
	v_fma_f32 v71, v71, v74, -v75
	v_fmac_f32_e32 v73, v72, v74
	v_add_f32_e32 v70, v70, v71
	v_add_f32_e32 v64, v64, v73
	s_andn2_b32 exec_lo, exec_lo, s5
	s_cbranch_execnz .LBB30_77
; %bb.78:
	s_or_b32 exec_lo, exec_lo, s5
	v_mov_b32_e32 v67, 0
	ds_read_b64 v[67:68], v67 offset:128
	s_waitcnt lgkmcnt(0)
	v_mul_f32_e32 v69, v64, v68
	v_mul_f32_e32 v68, v70, v68
	v_fma_f32 v69, v70, v67, -v69
	v_fmac_f32_e32 v68, v64, v67
	buffer_store_dword v69, off, s[0:3], 0 offset:128
	buffer_store_dword v68, off, s[0:3], 0 offset:132
.LBB30_79:
	s_or_b32 exec_lo, exec_lo, s4
	s_waitcnt_vscnt null, 0x0
	s_barrier
	buffer_gl0_inv
	s_clause 0x1
	buffer_load_dword v67, off, s[0:3], 0 offset:136
	buffer_load_dword v68, off, s[0:3], 0 offset:140
	s_mov_b32 s4, exec_lo
	s_waitcnt vmcnt(0)
	ds_write_b64 v66, v[67:68]
	s_waitcnt lgkmcnt(0)
	s_barrier
	buffer_gl0_inv
	v_cmpx_gt_u32_e32 17, v0
	s_cbranch_execz .LBB30_83
; %bb.80:
	v_add_nc_u32_e32 v67, -1, v0
	v_add_nc_u32_e32 v68, 0x100, v65
	v_mov_b32_e32 v69, v65
	v_mov_b32_e32 v64, 0
	;; [unrolled: 1-line block ×3, first 2 shown]
	s_mov_b32 s5, 0
	.p2align	6
.LBB30_81:                              ; =>This Inner Loop Header: Depth=1
	s_clause 0x1
	buffer_load_dword v73, v69, s[0:3], 0 offen offset:4
	buffer_load_dword v74, v69, s[0:3], 0 offen
	ds_read_b64 v[71:72], v68
	v_add_nc_u32_e32 v67, 1, v67
	v_add_nc_u32_e32 v68, 8, v68
	;; [unrolled: 1-line block ×3, first 2 shown]
	v_cmp_lt_u32_e32 vcc_lo, 15, v67
	s_or_b32 s5, vcc_lo, s5
	s_waitcnt vmcnt(1) lgkmcnt(0)
	v_mul_f32_e32 v75, v72, v73
	v_mul_f32_e32 v73, v71, v73
	s_waitcnt vmcnt(0)
	v_fma_f32 v71, v71, v74, -v75
	v_fmac_f32_e32 v73, v72, v74
	v_add_f32_e32 v70, v70, v71
	v_add_f32_e32 v64, v64, v73
	s_andn2_b32 exec_lo, exec_lo, s5
	s_cbranch_execnz .LBB30_81
; %bb.82:
	s_or_b32 exec_lo, exec_lo, s5
	v_mov_b32_e32 v67, 0
	ds_read_b64 v[67:68], v67 offset:136
	s_waitcnt lgkmcnt(0)
	v_mul_f32_e32 v69, v64, v68
	v_mul_f32_e32 v68, v70, v68
	v_fma_f32 v69, v70, v67, -v69
	v_fmac_f32_e32 v68, v64, v67
	buffer_store_dword v69, off, s[0:3], 0 offset:136
	buffer_store_dword v68, off, s[0:3], 0 offset:140
.LBB30_83:
	s_or_b32 exec_lo, exec_lo, s4
	s_waitcnt_vscnt null, 0x0
	s_barrier
	buffer_gl0_inv
	s_clause 0x1
	buffer_load_dword v67, off, s[0:3], 0 offset:144
	buffer_load_dword v68, off, s[0:3], 0 offset:148
	s_mov_b32 s4, exec_lo
	s_waitcnt vmcnt(0)
	ds_write_b64 v66, v[67:68]
	s_waitcnt lgkmcnt(0)
	s_barrier
	buffer_gl0_inv
	v_cmpx_gt_u32_e32 18, v0
	s_cbranch_execz .LBB30_87
; %bb.84:
	v_add_nc_u32_e32 v67, -1, v0
	v_add_nc_u32_e32 v68, 0x100, v65
	v_mov_b32_e32 v69, v65
	v_mov_b32_e32 v64, 0
	v_mov_b32_e32 v70, 0
	s_mov_b32 s5, 0
	.p2align	6
.LBB30_85:                              ; =>This Inner Loop Header: Depth=1
	s_clause 0x1
	buffer_load_dword v73, v69, s[0:3], 0 offen offset:4
	buffer_load_dword v74, v69, s[0:3], 0 offen
	ds_read_b64 v[71:72], v68
	v_add_nc_u32_e32 v67, 1, v67
	v_add_nc_u32_e32 v68, 8, v68
	;; [unrolled: 1-line block ×3, first 2 shown]
	v_cmp_lt_u32_e32 vcc_lo, 16, v67
	s_or_b32 s5, vcc_lo, s5
	s_waitcnt vmcnt(1) lgkmcnt(0)
	v_mul_f32_e32 v75, v72, v73
	v_mul_f32_e32 v73, v71, v73
	s_waitcnt vmcnt(0)
	v_fma_f32 v71, v71, v74, -v75
	v_fmac_f32_e32 v73, v72, v74
	v_add_f32_e32 v70, v70, v71
	v_add_f32_e32 v64, v64, v73
	s_andn2_b32 exec_lo, exec_lo, s5
	s_cbranch_execnz .LBB30_85
; %bb.86:
	s_or_b32 exec_lo, exec_lo, s5
	v_mov_b32_e32 v67, 0
	ds_read_b64 v[67:68], v67 offset:144
	s_waitcnt lgkmcnt(0)
	v_mul_f32_e32 v69, v64, v68
	v_mul_f32_e32 v68, v70, v68
	v_fma_f32 v69, v70, v67, -v69
	v_fmac_f32_e32 v68, v64, v67
	buffer_store_dword v69, off, s[0:3], 0 offset:144
	buffer_store_dword v68, off, s[0:3], 0 offset:148
.LBB30_87:
	s_or_b32 exec_lo, exec_lo, s4
	s_waitcnt_vscnt null, 0x0
	s_barrier
	buffer_gl0_inv
	s_clause 0x1
	buffer_load_dword v67, off, s[0:3], 0 offset:152
	buffer_load_dword v68, off, s[0:3], 0 offset:156
	s_mov_b32 s4, exec_lo
	s_waitcnt vmcnt(0)
	ds_write_b64 v66, v[67:68]
	s_waitcnt lgkmcnt(0)
	s_barrier
	buffer_gl0_inv
	v_cmpx_gt_u32_e32 19, v0
	s_cbranch_execz .LBB30_91
; %bb.88:
	v_add_nc_u32_e32 v67, -1, v0
	v_add_nc_u32_e32 v68, 0x100, v65
	v_mov_b32_e32 v69, v65
	v_mov_b32_e32 v64, 0
	;; [unrolled: 1-line block ×3, first 2 shown]
	s_mov_b32 s5, 0
	.p2align	6
.LBB30_89:                              ; =>This Inner Loop Header: Depth=1
	s_clause 0x1
	buffer_load_dword v73, v69, s[0:3], 0 offen offset:4
	buffer_load_dword v74, v69, s[0:3], 0 offen
	ds_read_b64 v[71:72], v68
	v_add_nc_u32_e32 v67, 1, v67
	v_add_nc_u32_e32 v68, 8, v68
	;; [unrolled: 1-line block ×3, first 2 shown]
	v_cmp_lt_u32_e32 vcc_lo, 17, v67
	s_or_b32 s5, vcc_lo, s5
	s_waitcnt vmcnt(1) lgkmcnt(0)
	v_mul_f32_e32 v75, v72, v73
	v_mul_f32_e32 v73, v71, v73
	s_waitcnt vmcnt(0)
	v_fma_f32 v71, v71, v74, -v75
	v_fmac_f32_e32 v73, v72, v74
	v_add_f32_e32 v70, v70, v71
	v_add_f32_e32 v64, v64, v73
	s_andn2_b32 exec_lo, exec_lo, s5
	s_cbranch_execnz .LBB30_89
; %bb.90:
	s_or_b32 exec_lo, exec_lo, s5
	v_mov_b32_e32 v67, 0
	ds_read_b64 v[67:68], v67 offset:152
	s_waitcnt lgkmcnt(0)
	v_mul_f32_e32 v69, v64, v68
	v_mul_f32_e32 v68, v70, v68
	v_fma_f32 v69, v70, v67, -v69
	v_fmac_f32_e32 v68, v64, v67
	buffer_store_dword v69, off, s[0:3], 0 offset:152
	buffer_store_dword v68, off, s[0:3], 0 offset:156
.LBB30_91:
	s_or_b32 exec_lo, exec_lo, s4
	s_waitcnt_vscnt null, 0x0
	s_barrier
	buffer_gl0_inv
	s_clause 0x1
	buffer_load_dword v67, off, s[0:3], 0 offset:160
	buffer_load_dword v68, off, s[0:3], 0 offset:164
	s_mov_b32 s4, exec_lo
	s_waitcnt vmcnt(0)
	ds_write_b64 v66, v[67:68]
	s_waitcnt lgkmcnt(0)
	s_barrier
	buffer_gl0_inv
	v_cmpx_gt_u32_e32 20, v0
	s_cbranch_execz .LBB30_95
; %bb.92:
	v_add_nc_u32_e32 v67, -1, v0
	v_add_nc_u32_e32 v68, 0x100, v65
	v_mov_b32_e32 v69, v65
	v_mov_b32_e32 v64, 0
	;; [unrolled: 1-line block ×3, first 2 shown]
	s_mov_b32 s5, 0
	.p2align	6
.LBB30_93:                              ; =>This Inner Loop Header: Depth=1
	s_clause 0x1
	buffer_load_dword v73, v69, s[0:3], 0 offen offset:4
	buffer_load_dword v74, v69, s[0:3], 0 offen
	ds_read_b64 v[71:72], v68
	v_add_nc_u32_e32 v67, 1, v67
	v_add_nc_u32_e32 v68, 8, v68
	;; [unrolled: 1-line block ×3, first 2 shown]
	v_cmp_lt_u32_e32 vcc_lo, 18, v67
	s_or_b32 s5, vcc_lo, s5
	s_waitcnt vmcnt(1) lgkmcnt(0)
	v_mul_f32_e32 v75, v72, v73
	v_mul_f32_e32 v73, v71, v73
	s_waitcnt vmcnt(0)
	v_fma_f32 v71, v71, v74, -v75
	v_fmac_f32_e32 v73, v72, v74
	v_add_f32_e32 v70, v70, v71
	v_add_f32_e32 v64, v64, v73
	s_andn2_b32 exec_lo, exec_lo, s5
	s_cbranch_execnz .LBB30_93
; %bb.94:
	s_or_b32 exec_lo, exec_lo, s5
	v_mov_b32_e32 v67, 0
	ds_read_b64 v[67:68], v67 offset:160
	s_waitcnt lgkmcnt(0)
	v_mul_f32_e32 v69, v64, v68
	v_mul_f32_e32 v68, v70, v68
	v_fma_f32 v69, v70, v67, -v69
	v_fmac_f32_e32 v68, v64, v67
	buffer_store_dword v69, off, s[0:3], 0 offset:160
	buffer_store_dword v68, off, s[0:3], 0 offset:164
.LBB30_95:
	s_or_b32 exec_lo, exec_lo, s4
	s_waitcnt_vscnt null, 0x0
	s_barrier
	buffer_gl0_inv
	s_clause 0x1
	buffer_load_dword v67, off, s[0:3], 0 offset:168
	buffer_load_dword v68, off, s[0:3], 0 offset:172
	s_mov_b32 s4, exec_lo
	s_waitcnt vmcnt(0)
	ds_write_b64 v66, v[67:68]
	s_waitcnt lgkmcnt(0)
	s_barrier
	buffer_gl0_inv
	v_cmpx_gt_u32_e32 21, v0
	s_cbranch_execz .LBB30_99
; %bb.96:
	v_add_nc_u32_e32 v67, -1, v0
	v_add_nc_u32_e32 v68, 0x100, v65
	v_mov_b32_e32 v69, v65
	v_mov_b32_e32 v64, 0
	;; [unrolled: 1-line block ×3, first 2 shown]
	s_mov_b32 s5, 0
	.p2align	6
.LBB30_97:                              ; =>This Inner Loop Header: Depth=1
	s_clause 0x1
	buffer_load_dword v73, v69, s[0:3], 0 offen offset:4
	buffer_load_dword v74, v69, s[0:3], 0 offen
	ds_read_b64 v[71:72], v68
	v_add_nc_u32_e32 v67, 1, v67
	v_add_nc_u32_e32 v68, 8, v68
	;; [unrolled: 1-line block ×3, first 2 shown]
	v_cmp_lt_u32_e32 vcc_lo, 19, v67
	s_or_b32 s5, vcc_lo, s5
	s_waitcnt vmcnt(1) lgkmcnt(0)
	v_mul_f32_e32 v75, v72, v73
	v_mul_f32_e32 v73, v71, v73
	s_waitcnt vmcnt(0)
	v_fma_f32 v71, v71, v74, -v75
	v_fmac_f32_e32 v73, v72, v74
	v_add_f32_e32 v70, v70, v71
	v_add_f32_e32 v64, v64, v73
	s_andn2_b32 exec_lo, exec_lo, s5
	s_cbranch_execnz .LBB30_97
; %bb.98:
	s_or_b32 exec_lo, exec_lo, s5
	v_mov_b32_e32 v67, 0
	ds_read_b64 v[67:68], v67 offset:168
	s_waitcnt lgkmcnt(0)
	v_mul_f32_e32 v69, v64, v68
	v_mul_f32_e32 v68, v70, v68
	v_fma_f32 v69, v70, v67, -v69
	v_fmac_f32_e32 v68, v64, v67
	buffer_store_dword v69, off, s[0:3], 0 offset:168
	buffer_store_dword v68, off, s[0:3], 0 offset:172
.LBB30_99:
	s_or_b32 exec_lo, exec_lo, s4
	s_waitcnt_vscnt null, 0x0
	s_barrier
	buffer_gl0_inv
	s_clause 0x1
	buffer_load_dword v67, off, s[0:3], 0 offset:176
	buffer_load_dword v68, off, s[0:3], 0 offset:180
	s_mov_b32 s4, exec_lo
	s_waitcnt vmcnt(0)
	ds_write_b64 v66, v[67:68]
	s_waitcnt lgkmcnt(0)
	s_barrier
	buffer_gl0_inv
	v_cmpx_gt_u32_e32 22, v0
	s_cbranch_execz .LBB30_103
; %bb.100:
	v_add_nc_u32_e32 v67, -1, v0
	v_add_nc_u32_e32 v68, 0x100, v65
	v_mov_b32_e32 v69, v65
	v_mov_b32_e32 v64, 0
	;; [unrolled: 1-line block ×3, first 2 shown]
	s_mov_b32 s5, 0
	.p2align	6
.LBB30_101:                             ; =>This Inner Loop Header: Depth=1
	s_clause 0x1
	buffer_load_dword v73, v69, s[0:3], 0 offen offset:4
	buffer_load_dword v74, v69, s[0:3], 0 offen
	ds_read_b64 v[71:72], v68
	v_add_nc_u32_e32 v67, 1, v67
	v_add_nc_u32_e32 v68, 8, v68
	;; [unrolled: 1-line block ×3, first 2 shown]
	v_cmp_lt_u32_e32 vcc_lo, 20, v67
	s_or_b32 s5, vcc_lo, s5
	s_waitcnt vmcnt(1) lgkmcnt(0)
	v_mul_f32_e32 v75, v72, v73
	v_mul_f32_e32 v73, v71, v73
	s_waitcnt vmcnt(0)
	v_fma_f32 v71, v71, v74, -v75
	v_fmac_f32_e32 v73, v72, v74
	v_add_f32_e32 v70, v70, v71
	v_add_f32_e32 v64, v64, v73
	s_andn2_b32 exec_lo, exec_lo, s5
	s_cbranch_execnz .LBB30_101
; %bb.102:
	s_or_b32 exec_lo, exec_lo, s5
	v_mov_b32_e32 v67, 0
	ds_read_b64 v[67:68], v67 offset:176
	s_waitcnt lgkmcnt(0)
	v_mul_f32_e32 v69, v64, v68
	v_mul_f32_e32 v68, v70, v68
	v_fma_f32 v69, v70, v67, -v69
	v_fmac_f32_e32 v68, v64, v67
	buffer_store_dword v69, off, s[0:3], 0 offset:176
	buffer_store_dword v68, off, s[0:3], 0 offset:180
.LBB30_103:
	s_or_b32 exec_lo, exec_lo, s4
	s_waitcnt_vscnt null, 0x0
	s_barrier
	buffer_gl0_inv
	s_clause 0x1
	buffer_load_dword v67, off, s[0:3], 0 offset:184
	buffer_load_dword v68, off, s[0:3], 0 offset:188
	s_mov_b32 s4, exec_lo
	s_waitcnt vmcnt(0)
	ds_write_b64 v66, v[67:68]
	s_waitcnt lgkmcnt(0)
	s_barrier
	buffer_gl0_inv
	v_cmpx_gt_u32_e32 23, v0
	s_cbranch_execz .LBB30_107
; %bb.104:
	v_add_nc_u32_e32 v67, -1, v0
	v_add_nc_u32_e32 v68, 0x100, v65
	v_mov_b32_e32 v69, v65
	v_mov_b32_e32 v64, 0
	;; [unrolled: 1-line block ×3, first 2 shown]
	s_mov_b32 s5, 0
	.p2align	6
.LBB30_105:                             ; =>This Inner Loop Header: Depth=1
	s_clause 0x1
	buffer_load_dword v73, v69, s[0:3], 0 offen offset:4
	buffer_load_dword v74, v69, s[0:3], 0 offen
	ds_read_b64 v[71:72], v68
	v_add_nc_u32_e32 v67, 1, v67
	v_add_nc_u32_e32 v68, 8, v68
	;; [unrolled: 1-line block ×3, first 2 shown]
	v_cmp_lt_u32_e32 vcc_lo, 21, v67
	s_or_b32 s5, vcc_lo, s5
	s_waitcnt vmcnt(1) lgkmcnt(0)
	v_mul_f32_e32 v75, v72, v73
	v_mul_f32_e32 v73, v71, v73
	s_waitcnt vmcnt(0)
	v_fma_f32 v71, v71, v74, -v75
	v_fmac_f32_e32 v73, v72, v74
	v_add_f32_e32 v70, v70, v71
	v_add_f32_e32 v64, v64, v73
	s_andn2_b32 exec_lo, exec_lo, s5
	s_cbranch_execnz .LBB30_105
; %bb.106:
	s_or_b32 exec_lo, exec_lo, s5
	v_mov_b32_e32 v67, 0
	ds_read_b64 v[67:68], v67 offset:184
	s_waitcnt lgkmcnt(0)
	v_mul_f32_e32 v69, v64, v68
	v_mul_f32_e32 v68, v70, v68
	v_fma_f32 v69, v70, v67, -v69
	v_fmac_f32_e32 v68, v64, v67
	buffer_store_dword v69, off, s[0:3], 0 offset:184
	buffer_store_dword v68, off, s[0:3], 0 offset:188
.LBB30_107:
	s_or_b32 exec_lo, exec_lo, s4
	s_waitcnt_vscnt null, 0x0
	s_barrier
	buffer_gl0_inv
	s_clause 0x1
	buffer_load_dword v67, off, s[0:3], 0 offset:192
	buffer_load_dword v68, off, s[0:3], 0 offset:196
	s_mov_b32 s4, exec_lo
	s_waitcnt vmcnt(0)
	ds_write_b64 v66, v[67:68]
	s_waitcnt lgkmcnt(0)
	s_barrier
	buffer_gl0_inv
	v_cmpx_gt_u32_e32 24, v0
	s_cbranch_execz .LBB30_111
; %bb.108:
	v_add_nc_u32_e32 v67, -1, v0
	v_add_nc_u32_e32 v68, 0x100, v65
	v_mov_b32_e32 v69, v65
	v_mov_b32_e32 v64, 0
	;; [unrolled: 1-line block ×3, first 2 shown]
	s_mov_b32 s5, 0
	.p2align	6
.LBB30_109:                             ; =>This Inner Loop Header: Depth=1
	s_clause 0x1
	buffer_load_dword v73, v69, s[0:3], 0 offen offset:4
	buffer_load_dword v74, v69, s[0:3], 0 offen
	ds_read_b64 v[71:72], v68
	v_add_nc_u32_e32 v67, 1, v67
	v_add_nc_u32_e32 v68, 8, v68
	;; [unrolled: 1-line block ×3, first 2 shown]
	v_cmp_lt_u32_e32 vcc_lo, 22, v67
	s_or_b32 s5, vcc_lo, s5
	s_waitcnt vmcnt(1) lgkmcnt(0)
	v_mul_f32_e32 v75, v72, v73
	v_mul_f32_e32 v73, v71, v73
	s_waitcnt vmcnt(0)
	v_fma_f32 v71, v71, v74, -v75
	v_fmac_f32_e32 v73, v72, v74
	v_add_f32_e32 v70, v70, v71
	v_add_f32_e32 v64, v64, v73
	s_andn2_b32 exec_lo, exec_lo, s5
	s_cbranch_execnz .LBB30_109
; %bb.110:
	s_or_b32 exec_lo, exec_lo, s5
	v_mov_b32_e32 v67, 0
	ds_read_b64 v[67:68], v67 offset:192
	s_waitcnt lgkmcnt(0)
	v_mul_f32_e32 v69, v64, v68
	v_mul_f32_e32 v68, v70, v68
	v_fma_f32 v69, v70, v67, -v69
	v_fmac_f32_e32 v68, v64, v67
	buffer_store_dword v69, off, s[0:3], 0 offset:192
	buffer_store_dword v68, off, s[0:3], 0 offset:196
.LBB30_111:
	s_or_b32 exec_lo, exec_lo, s4
	s_waitcnt_vscnt null, 0x0
	s_barrier
	buffer_gl0_inv
	s_clause 0x1
	buffer_load_dword v67, off, s[0:3], 0 offset:200
	buffer_load_dword v68, off, s[0:3], 0 offset:204
	s_mov_b32 s4, exec_lo
	s_waitcnt vmcnt(0)
	ds_write_b64 v66, v[67:68]
	s_waitcnt lgkmcnt(0)
	s_barrier
	buffer_gl0_inv
	v_cmpx_gt_u32_e32 25, v0
	s_cbranch_execz .LBB30_115
; %bb.112:
	v_add_nc_u32_e32 v67, -1, v0
	v_add_nc_u32_e32 v68, 0x100, v65
	v_mov_b32_e32 v69, v65
	v_mov_b32_e32 v64, 0
	;; [unrolled: 1-line block ×3, first 2 shown]
	s_mov_b32 s5, 0
	.p2align	6
.LBB30_113:                             ; =>This Inner Loop Header: Depth=1
	s_clause 0x1
	buffer_load_dword v73, v69, s[0:3], 0 offen offset:4
	buffer_load_dword v74, v69, s[0:3], 0 offen
	ds_read_b64 v[71:72], v68
	v_add_nc_u32_e32 v67, 1, v67
	v_add_nc_u32_e32 v68, 8, v68
	;; [unrolled: 1-line block ×3, first 2 shown]
	v_cmp_lt_u32_e32 vcc_lo, 23, v67
	s_or_b32 s5, vcc_lo, s5
	s_waitcnt vmcnt(1) lgkmcnt(0)
	v_mul_f32_e32 v75, v72, v73
	v_mul_f32_e32 v73, v71, v73
	s_waitcnt vmcnt(0)
	v_fma_f32 v71, v71, v74, -v75
	v_fmac_f32_e32 v73, v72, v74
	v_add_f32_e32 v70, v70, v71
	v_add_f32_e32 v64, v64, v73
	s_andn2_b32 exec_lo, exec_lo, s5
	s_cbranch_execnz .LBB30_113
; %bb.114:
	s_or_b32 exec_lo, exec_lo, s5
	v_mov_b32_e32 v67, 0
	ds_read_b64 v[67:68], v67 offset:200
	s_waitcnt lgkmcnt(0)
	v_mul_f32_e32 v69, v64, v68
	v_mul_f32_e32 v68, v70, v68
	v_fma_f32 v69, v70, v67, -v69
	v_fmac_f32_e32 v68, v64, v67
	buffer_store_dword v69, off, s[0:3], 0 offset:200
	buffer_store_dword v68, off, s[0:3], 0 offset:204
.LBB30_115:
	s_or_b32 exec_lo, exec_lo, s4
	s_waitcnt_vscnt null, 0x0
	s_barrier
	buffer_gl0_inv
	s_clause 0x1
	buffer_load_dword v67, off, s[0:3], 0 offset:208
	buffer_load_dword v68, off, s[0:3], 0 offset:212
	s_mov_b32 s4, exec_lo
	s_waitcnt vmcnt(0)
	ds_write_b64 v66, v[67:68]
	s_waitcnt lgkmcnt(0)
	s_barrier
	buffer_gl0_inv
	v_cmpx_gt_u32_e32 26, v0
	s_cbranch_execz .LBB30_119
; %bb.116:
	v_add_nc_u32_e32 v67, -1, v0
	v_add_nc_u32_e32 v68, 0x100, v65
	v_mov_b32_e32 v69, v65
	v_mov_b32_e32 v64, 0
	;; [unrolled: 1-line block ×3, first 2 shown]
	s_mov_b32 s5, 0
	.p2align	6
.LBB30_117:                             ; =>This Inner Loop Header: Depth=1
	s_clause 0x1
	buffer_load_dword v73, v69, s[0:3], 0 offen offset:4
	buffer_load_dword v74, v69, s[0:3], 0 offen
	ds_read_b64 v[71:72], v68
	v_add_nc_u32_e32 v67, 1, v67
	v_add_nc_u32_e32 v68, 8, v68
	;; [unrolled: 1-line block ×3, first 2 shown]
	v_cmp_lt_u32_e32 vcc_lo, 24, v67
	s_or_b32 s5, vcc_lo, s5
	s_waitcnt vmcnt(1) lgkmcnt(0)
	v_mul_f32_e32 v75, v72, v73
	v_mul_f32_e32 v73, v71, v73
	s_waitcnt vmcnt(0)
	v_fma_f32 v71, v71, v74, -v75
	v_fmac_f32_e32 v73, v72, v74
	v_add_f32_e32 v70, v70, v71
	v_add_f32_e32 v64, v64, v73
	s_andn2_b32 exec_lo, exec_lo, s5
	s_cbranch_execnz .LBB30_117
; %bb.118:
	s_or_b32 exec_lo, exec_lo, s5
	v_mov_b32_e32 v67, 0
	ds_read_b64 v[67:68], v67 offset:208
	s_waitcnt lgkmcnt(0)
	v_mul_f32_e32 v69, v64, v68
	v_mul_f32_e32 v68, v70, v68
	v_fma_f32 v69, v70, v67, -v69
	v_fmac_f32_e32 v68, v64, v67
	buffer_store_dword v69, off, s[0:3], 0 offset:208
	buffer_store_dword v68, off, s[0:3], 0 offset:212
.LBB30_119:
	s_or_b32 exec_lo, exec_lo, s4
	s_waitcnt_vscnt null, 0x0
	s_barrier
	buffer_gl0_inv
	s_clause 0x1
	buffer_load_dword v67, off, s[0:3], 0 offset:216
	buffer_load_dword v68, off, s[0:3], 0 offset:220
	s_mov_b32 s4, exec_lo
	s_waitcnt vmcnt(0)
	ds_write_b64 v66, v[67:68]
	s_waitcnt lgkmcnt(0)
	s_barrier
	buffer_gl0_inv
	v_cmpx_gt_u32_e32 27, v0
	s_cbranch_execz .LBB30_123
; %bb.120:
	v_add_nc_u32_e32 v67, -1, v0
	v_add_nc_u32_e32 v68, 0x100, v65
	v_mov_b32_e32 v69, v65
	v_mov_b32_e32 v64, 0
	;; [unrolled: 1-line block ×3, first 2 shown]
	s_mov_b32 s5, 0
	.p2align	6
.LBB30_121:                             ; =>This Inner Loop Header: Depth=1
	s_clause 0x1
	buffer_load_dword v73, v69, s[0:3], 0 offen offset:4
	buffer_load_dword v74, v69, s[0:3], 0 offen
	ds_read_b64 v[71:72], v68
	v_add_nc_u32_e32 v67, 1, v67
	v_add_nc_u32_e32 v68, 8, v68
	;; [unrolled: 1-line block ×3, first 2 shown]
	v_cmp_lt_u32_e32 vcc_lo, 25, v67
	s_or_b32 s5, vcc_lo, s5
	s_waitcnt vmcnt(1) lgkmcnt(0)
	v_mul_f32_e32 v75, v72, v73
	v_mul_f32_e32 v73, v71, v73
	s_waitcnt vmcnt(0)
	v_fma_f32 v71, v71, v74, -v75
	v_fmac_f32_e32 v73, v72, v74
	v_add_f32_e32 v70, v70, v71
	v_add_f32_e32 v64, v64, v73
	s_andn2_b32 exec_lo, exec_lo, s5
	s_cbranch_execnz .LBB30_121
; %bb.122:
	s_or_b32 exec_lo, exec_lo, s5
	v_mov_b32_e32 v67, 0
	ds_read_b64 v[67:68], v67 offset:216
	s_waitcnt lgkmcnt(0)
	v_mul_f32_e32 v69, v64, v68
	v_mul_f32_e32 v68, v70, v68
	v_fma_f32 v69, v70, v67, -v69
	v_fmac_f32_e32 v68, v64, v67
	buffer_store_dword v69, off, s[0:3], 0 offset:216
	buffer_store_dword v68, off, s[0:3], 0 offset:220
.LBB30_123:
	s_or_b32 exec_lo, exec_lo, s4
	s_waitcnt_vscnt null, 0x0
	s_barrier
	buffer_gl0_inv
	s_clause 0x1
	buffer_load_dword v67, off, s[0:3], 0 offset:224
	buffer_load_dword v68, off, s[0:3], 0 offset:228
	s_mov_b32 s4, exec_lo
	s_waitcnt vmcnt(0)
	ds_write_b64 v66, v[67:68]
	s_waitcnt lgkmcnt(0)
	s_barrier
	buffer_gl0_inv
	v_cmpx_gt_u32_e32 28, v0
	s_cbranch_execz .LBB30_127
; %bb.124:
	v_add_nc_u32_e32 v67, -1, v0
	v_add_nc_u32_e32 v68, 0x100, v65
	v_mov_b32_e32 v69, v65
	v_mov_b32_e32 v64, 0
	;; [unrolled: 1-line block ×3, first 2 shown]
	s_mov_b32 s5, 0
	.p2align	6
.LBB30_125:                             ; =>This Inner Loop Header: Depth=1
	s_clause 0x1
	buffer_load_dword v73, v69, s[0:3], 0 offen offset:4
	buffer_load_dword v74, v69, s[0:3], 0 offen
	ds_read_b64 v[71:72], v68
	v_add_nc_u32_e32 v67, 1, v67
	v_add_nc_u32_e32 v68, 8, v68
	;; [unrolled: 1-line block ×3, first 2 shown]
	v_cmp_lt_u32_e32 vcc_lo, 26, v67
	s_or_b32 s5, vcc_lo, s5
	s_waitcnt vmcnt(1) lgkmcnt(0)
	v_mul_f32_e32 v75, v72, v73
	v_mul_f32_e32 v73, v71, v73
	s_waitcnt vmcnt(0)
	v_fma_f32 v71, v71, v74, -v75
	v_fmac_f32_e32 v73, v72, v74
	v_add_f32_e32 v70, v70, v71
	v_add_f32_e32 v64, v64, v73
	s_andn2_b32 exec_lo, exec_lo, s5
	s_cbranch_execnz .LBB30_125
; %bb.126:
	s_or_b32 exec_lo, exec_lo, s5
	v_mov_b32_e32 v67, 0
	ds_read_b64 v[67:68], v67 offset:224
	s_waitcnt lgkmcnt(0)
	v_mul_f32_e32 v69, v64, v68
	v_mul_f32_e32 v68, v70, v68
	v_fma_f32 v69, v70, v67, -v69
	v_fmac_f32_e32 v68, v64, v67
	buffer_store_dword v69, off, s[0:3], 0 offset:224
	buffer_store_dword v68, off, s[0:3], 0 offset:228
.LBB30_127:
	s_or_b32 exec_lo, exec_lo, s4
	s_waitcnt_vscnt null, 0x0
	s_barrier
	buffer_gl0_inv
	s_clause 0x1
	buffer_load_dword v67, off, s[0:3], 0 offset:232
	buffer_load_dword v68, off, s[0:3], 0 offset:236
	s_mov_b32 s4, exec_lo
	s_waitcnt vmcnt(0)
	ds_write_b64 v66, v[67:68]
	s_waitcnt lgkmcnt(0)
	s_barrier
	buffer_gl0_inv
	v_cmpx_gt_u32_e32 29, v0
	s_cbranch_execz .LBB30_131
; %bb.128:
	v_add_nc_u32_e32 v67, -1, v0
	v_add_nc_u32_e32 v68, 0x100, v65
	v_mov_b32_e32 v69, v65
	v_mov_b32_e32 v64, 0
	;; [unrolled: 1-line block ×3, first 2 shown]
	s_mov_b32 s5, 0
	.p2align	6
.LBB30_129:                             ; =>This Inner Loop Header: Depth=1
	s_clause 0x1
	buffer_load_dword v73, v69, s[0:3], 0 offen offset:4
	buffer_load_dword v74, v69, s[0:3], 0 offen
	ds_read_b64 v[71:72], v68
	v_add_nc_u32_e32 v67, 1, v67
	v_add_nc_u32_e32 v68, 8, v68
	;; [unrolled: 1-line block ×3, first 2 shown]
	v_cmp_lt_u32_e32 vcc_lo, 27, v67
	s_or_b32 s5, vcc_lo, s5
	s_waitcnt vmcnt(1) lgkmcnt(0)
	v_mul_f32_e32 v75, v72, v73
	v_mul_f32_e32 v73, v71, v73
	s_waitcnt vmcnt(0)
	v_fma_f32 v71, v71, v74, -v75
	v_fmac_f32_e32 v73, v72, v74
	v_add_f32_e32 v70, v70, v71
	v_add_f32_e32 v64, v64, v73
	s_andn2_b32 exec_lo, exec_lo, s5
	s_cbranch_execnz .LBB30_129
; %bb.130:
	s_or_b32 exec_lo, exec_lo, s5
	v_mov_b32_e32 v67, 0
	ds_read_b64 v[67:68], v67 offset:232
	s_waitcnt lgkmcnt(0)
	v_mul_f32_e32 v69, v64, v68
	v_mul_f32_e32 v68, v70, v68
	v_fma_f32 v69, v70, v67, -v69
	v_fmac_f32_e32 v68, v64, v67
	buffer_store_dword v69, off, s[0:3], 0 offset:232
	buffer_store_dword v68, off, s[0:3], 0 offset:236
.LBB30_131:
	s_or_b32 exec_lo, exec_lo, s4
	s_waitcnt_vscnt null, 0x0
	s_barrier
	buffer_gl0_inv
	s_clause 0x1
	buffer_load_dword v67, off, s[0:3], 0 offset:240
	buffer_load_dword v68, off, s[0:3], 0 offset:244
	s_mov_b32 s4, exec_lo
	s_waitcnt vmcnt(0)
	ds_write_b64 v66, v[67:68]
	s_waitcnt lgkmcnt(0)
	s_barrier
	buffer_gl0_inv
	v_cmpx_ne_u32_e32 30, v0
	s_cbranch_execz .LBB30_135
; %bb.132:
	v_mov_b32_e32 v64, 0
	v_mov_b32_e32 v67, 0
	s_mov_b32 s5, 0
	.p2align	6
.LBB30_133:                             ; =>This Inner Loop Header: Depth=1
	s_clause 0x1
	buffer_load_dword v70, v65, s[0:3], 0 offen offset:4
	buffer_load_dword v71, v65, s[0:3], 0 offen
	ds_read_b64 v[68:69], v66
	v_add_nc_u32_e32 v63, 1, v63
	v_add_nc_u32_e32 v66, 8, v66
	;; [unrolled: 1-line block ×3, first 2 shown]
	v_cmp_lt_u32_e32 vcc_lo, 28, v63
	s_or_b32 s5, vcc_lo, s5
	s_waitcnt vmcnt(1) lgkmcnt(0)
	v_mul_f32_e32 v72, v69, v70
	v_mul_f32_e32 v70, v68, v70
	s_waitcnt vmcnt(0)
	v_fma_f32 v68, v68, v71, -v72
	v_fmac_f32_e32 v70, v69, v71
	v_add_f32_e32 v67, v67, v68
	v_add_f32_e32 v64, v64, v70
	s_andn2_b32 exec_lo, exec_lo, s5
	s_cbranch_execnz .LBB30_133
; %bb.134:
	s_or_b32 exec_lo, exec_lo, s5
	v_mov_b32_e32 v63, 0
	ds_read_b64 v[65:66], v63 offset:240
	s_waitcnt lgkmcnt(0)
	v_mul_f32_e32 v63, v64, v66
	v_mul_f32_e32 v66, v67, v66
	v_fma_f32 v63, v67, v65, -v63
	v_fmac_f32_e32 v66, v64, v65
	buffer_store_dword v63, off, s[0:3], 0 offset:240
	buffer_store_dword v66, off, s[0:3], 0 offset:244
.LBB30_135:
	s_or_b32 exec_lo, exec_lo, s4
	s_mov_b32 s5, -1
	s_waitcnt_vscnt null, 0x0
	s_barrier
	buffer_gl0_inv
.LBB30_136:
	s_and_b32 vcc_lo, exec_lo, s5
	s_cbranch_vccz .LBB30_138
; %bb.137:
	s_lshl_b64 s[4:5], s[6:7], 2
	v_mov_b32_e32 v63, 0
	s_add_u32 s4, s10, s4
	s_addc_u32 s5, s11, s5
	global_load_dword v63, v63, s[4:5]
	s_waitcnt vmcnt(0)
	v_cmp_ne_u32_e32 vcc_lo, 0, v63
	s_cbranch_vccz .LBB30_139
.LBB30_138:
	s_endpgm
.LBB30_139:
	v_lshl_add_u32 v63, v0, 3, 0x100
	s_mov_b32 s4, exec_lo
	v_cmpx_eq_u32_e32 30, v0
	s_cbranch_execz .LBB30_141
; %bb.140:
	s_clause 0x1
	buffer_load_dword v64, off, s[0:3], 0 offset:232
	buffer_load_dword v65, off, s[0:3], 0 offset:236
	v_mov_b32_e32 v66, 0
	buffer_store_dword v66, off, s[0:3], 0 offset:232
	buffer_store_dword v66, off, s[0:3], 0 offset:236
	s_waitcnt vmcnt(0)
	ds_write_b64 v63, v[64:65]
.LBB30_141:
	s_or_b32 exec_lo, exec_lo, s4
	s_waitcnt lgkmcnt(0)
	s_waitcnt_vscnt null, 0x0
	s_barrier
	buffer_gl0_inv
	s_clause 0x3
	buffer_load_dword v67, off, s[0:3], 0 offset:244
	buffer_load_dword v68, off, s[0:3], 0 offset:240
	;; [unrolled: 1-line block ×4, first 2 shown]
	v_mov_b32_e32 v64, 0
	s_mov_b32 s4, exec_lo
	ds_read_b64 v[65:66], v64 offset:496
	s_waitcnt vmcnt(3) lgkmcnt(0)
	v_mul_f32_e32 v71, v66, v67
	v_mul_f32_e32 v67, v65, v67
	s_waitcnt vmcnt(2)
	v_fma_f32 v65, v65, v68, -v71
	v_fmac_f32_e32 v67, v66, v68
	v_add_f32_e32 v65, 0, v65
	v_add_f32_e32 v66, 0, v67
	s_waitcnt vmcnt(1)
	v_sub_f32_e32 v65, v69, v65
	s_waitcnt vmcnt(0)
	v_sub_f32_e32 v66, v70, v66
	buffer_store_dword v65, off, s[0:3], 0 offset:232
	buffer_store_dword v66, off, s[0:3], 0 offset:236
	v_cmpx_lt_u32_e32 28, v0
	s_cbranch_execz .LBB30_143
; %bb.142:
	s_clause 0x1
	buffer_load_dword v65, off, s[0:3], 0 offset:224
	buffer_load_dword v66, off, s[0:3], 0 offset:228
	buffer_store_dword v64, off, s[0:3], 0 offset:224
	buffer_store_dword v64, off, s[0:3], 0 offset:228
	s_waitcnt vmcnt(0)
	ds_write_b64 v63, v[65:66]
.LBB30_143:
	s_or_b32 exec_lo, exec_lo, s4
	s_waitcnt lgkmcnt(0)
	s_waitcnt_vscnt null, 0x0
	s_barrier
	buffer_gl0_inv
	s_clause 0x5
	buffer_load_dword v68, off, s[0:3], 0 offset:236
	buffer_load_dword v69, off, s[0:3], 0 offset:244
	;; [unrolled: 1-line block ×6, first 2 shown]
	ds_read2_b64 v[64:67], v64 offset0:61 offset1:62
	s_mov_b32 s4, exec_lo
	s_waitcnt vmcnt(5) lgkmcnt(0)
	v_mul_f32_e32 v74, v65, v68
	v_mul_f32_e32 v68, v64, v68
	s_waitcnt vmcnt(4)
	v_mul_f32_e32 v75, v66, v69
	v_mul_f32_e32 v69, v67, v69
	s_waitcnt vmcnt(3)
	v_fma_f32 v64, v64, v70, -v74
	v_fmac_f32_e32 v68, v65, v70
	s_waitcnt vmcnt(2)
	v_fmac_f32_e32 v75, v67, v71
	v_fma_f32 v65, v66, v71, -v69
	v_add_f32_e32 v64, 0, v64
	v_add_f32_e32 v66, 0, v68
	;; [unrolled: 1-line block ×4, first 2 shown]
	s_waitcnt vmcnt(1)
	v_sub_f32_e32 v64, v72, v64
	s_waitcnt vmcnt(0)
	v_sub_f32_e32 v65, v73, v65
	buffer_store_dword v64, off, s[0:3], 0 offset:224
	buffer_store_dword v65, off, s[0:3], 0 offset:228
	v_cmpx_lt_u32_e32 27, v0
	s_cbranch_execz .LBB30_145
; %bb.144:
	s_clause 0x1
	buffer_load_dword v64, off, s[0:3], 0 offset:216
	buffer_load_dword v65, off, s[0:3], 0 offset:220
	v_mov_b32_e32 v66, 0
	buffer_store_dword v66, off, s[0:3], 0 offset:216
	buffer_store_dword v66, off, s[0:3], 0 offset:220
	s_waitcnt vmcnt(0)
	ds_write_b64 v63, v[64:65]
.LBB30_145:
	s_or_b32 exec_lo, exec_lo, s4
	s_waitcnt lgkmcnt(0)
	s_waitcnt_vscnt null, 0x0
	s_barrier
	buffer_gl0_inv
	s_clause 0x7
	buffer_load_dword v71, off, s[0:3], 0 offset:228
	buffer_load_dword v72, off, s[0:3], 0 offset:236
	;; [unrolled: 1-line block ×8, first 2 shown]
	v_mov_b32_e32 v64, 0
	ds_read_b128 v[65:68], v64 offset:480
	ds_read_b64 v[69:70], v64 offset:496
	s_mov_b32 s4, exec_lo
	s_waitcnt vmcnt(7) lgkmcnt(1)
	v_mul_f32_e32 v79, v66, v71
	v_mul_f32_e32 v71, v65, v71
	s_waitcnt vmcnt(6)
	v_mul_f32_e32 v80, v67, v72
	v_mul_f32_e32 v72, v68, v72
	s_waitcnt vmcnt(5) lgkmcnt(0)
	v_mul_f32_e32 v81, v69, v73
	s_waitcnt vmcnt(4)
	v_fma_f32 v65, v65, v74, -v79
	v_fmac_f32_e32 v71, v66, v74
	v_mul_f32_e32 v66, v70, v73
	s_waitcnt vmcnt(3)
	v_fma_f32 v67, v67, v75, -v72
	v_fmac_f32_e32 v80, v68, v75
	v_add_f32_e32 v65, 0, v65
	v_add_f32_e32 v68, 0, v71
	s_waitcnt vmcnt(2)
	v_fma_f32 v66, v69, v76, -v66
	v_fmac_f32_e32 v81, v70, v76
	v_add_f32_e32 v65, v65, v67
	v_add_f32_e32 v67, v68, v80
	;; [unrolled: 1-line block ×4, first 2 shown]
	s_waitcnt vmcnt(1)
	v_sub_f32_e32 v65, v77, v65
	s_waitcnt vmcnt(0)
	v_sub_f32_e32 v66, v78, v66
	buffer_store_dword v65, off, s[0:3], 0 offset:216
	buffer_store_dword v66, off, s[0:3], 0 offset:220
	v_cmpx_lt_u32_e32 26, v0
	s_cbranch_execz .LBB30_147
; %bb.146:
	s_clause 0x1
	buffer_load_dword v65, off, s[0:3], 0 offset:208
	buffer_load_dword v66, off, s[0:3], 0 offset:212
	buffer_store_dword v64, off, s[0:3], 0 offset:208
	buffer_store_dword v64, off, s[0:3], 0 offset:212
	s_waitcnt vmcnt(0)
	ds_write_b64 v63, v[65:66]
.LBB30_147:
	s_or_b32 exec_lo, exec_lo, s4
	s_waitcnt lgkmcnt(0)
	s_waitcnt_vscnt null, 0x0
	s_barrier
	buffer_gl0_inv
	s_clause 0x9
	buffer_load_dword v73, off, s[0:3], 0 offset:220
	buffer_load_dword v74, off, s[0:3], 0 offset:228
	;; [unrolled: 1-line block ×10, first 2 shown]
	ds_read2_b64 v[65:68], v64 offset0:59 offset1:60
	ds_read2_b64 v[69:72], v64 offset0:61 offset1:62
	s_mov_b32 s4, exec_lo
	s_waitcnt vmcnt(9) lgkmcnt(1)
	v_mul_f32_e32 v64, v65, v73
	v_mul_f32_e32 v73, v66, v73
	s_waitcnt vmcnt(8)
	v_mul_f32_e32 v83, v67, v74
	v_mul_f32_e32 v74, v68, v74
	s_waitcnt vmcnt(7) lgkmcnt(0)
	v_mul_f32_e32 v84, v69, v75
	s_waitcnt vmcnt(5)
	v_fmac_f32_e32 v64, v66, v77
	v_fma_f32 v65, v65, v77, -v73
	v_mul_f32_e32 v66, v70, v75
	s_waitcnt vmcnt(4)
	v_fma_f32 v67, v67, v78, -v74
	v_fmac_f32_e32 v83, v68, v78
	v_add_f32_e32 v64, 0, v64
	v_add_f32_e32 v65, 0, v65
	v_mul_f32_e32 v68, v72, v76
	s_waitcnt vmcnt(3)
	v_fma_f32 v66, v69, v79, -v66
	v_mul_f32_e32 v85, v71, v76
	v_fmac_f32_e32 v84, v70, v79
	v_add_f32_e32 v65, v65, v67
	v_add_f32_e32 v64, v64, v83
	s_waitcnt vmcnt(2)
	v_fma_f32 v67, v71, v80, -v68
	v_fmac_f32_e32 v85, v72, v80
	v_add_f32_e32 v65, v65, v66
	v_add_f32_e32 v64, v64, v84
	v_add_f32_e32 v65, v65, v67
	v_add_f32_e32 v64, v64, v85
	s_waitcnt vmcnt(1)
	v_sub_f32_e32 v65, v81, v65
	s_waitcnt vmcnt(0)
	v_sub_f32_e32 v64, v82, v64
	buffer_store_dword v65, off, s[0:3], 0 offset:208
	buffer_store_dword v64, off, s[0:3], 0 offset:212
	v_cmpx_lt_u32_e32 25, v0
	s_cbranch_execz .LBB30_149
; %bb.148:
	s_clause 0x1
	buffer_load_dword v64, off, s[0:3], 0 offset:200
	buffer_load_dword v65, off, s[0:3], 0 offset:204
	v_mov_b32_e32 v66, 0
	buffer_store_dword v66, off, s[0:3], 0 offset:200
	buffer_store_dword v66, off, s[0:3], 0 offset:204
	s_waitcnt vmcnt(0)
	ds_write_b64 v63, v[64:65]
.LBB30_149:
	s_or_b32 exec_lo, exec_lo, s4
	s_waitcnt lgkmcnt(0)
	s_waitcnt_vscnt null, 0x0
	s_barrier
	buffer_gl0_inv
	s_clause 0xb
	buffer_load_dword v75, off, s[0:3], 0 offset:212
	buffer_load_dword v76, off, s[0:3], 0 offset:220
	;; [unrolled: 1-line block ×12, first 2 shown]
	v_mov_b32_e32 v64, 0
	ds_read_b128 v[65:68], v64 offset:464
	ds_read_b128 v[69:72], v64 offset:480
	ds_read_b64 v[73:74], v64 offset:496
	s_mov_b32 s4, exec_lo
	s_waitcnt vmcnt(11) lgkmcnt(2)
	v_mul_f32_e32 v87, v65, v75
	v_mul_f32_e32 v75, v66, v75
	s_waitcnt vmcnt(10)
	v_mul_f32_e32 v88, v67, v76
	v_mul_f32_e32 v76, v68, v76
	s_waitcnt vmcnt(9) lgkmcnt(1)
	v_mul_f32_e32 v89, v69, v77
	s_waitcnt vmcnt(6)
	v_fmac_f32_e32 v87, v66, v80
	v_fma_f32 v65, v65, v80, -v75
	v_mul_f32_e32 v66, v70, v77
	s_waitcnt vmcnt(5)
	v_fma_f32 v67, v67, v81, -v76
	v_fmac_f32_e32 v88, v68, v81
	v_add_f32_e32 v68, 0, v87
	v_add_f32_e32 v65, 0, v65
	v_mul_f32_e32 v75, v72, v78
	s_waitcnt vmcnt(4)
	v_fma_f32 v66, v69, v82, -v66
	v_mul_f32_e32 v90, v71, v78
	v_fmac_f32_e32 v89, v70, v82
	v_add_f32_e32 v65, v65, v67
	v_add_f32_e32 v67, v68, v88
	s_waitcnt lgkmcnt(0)
	v_mul_f32_e32 v68, v74, v79
	s_waitcnt vmcnt(3)
	v_fma_f32 v69, v71, v83, -v75
	v_mul_f32_e32 v91, v73, v79
	v_add_f32_e32 v65, v65, v66
	v_fmac_f32_e32 v90, v72, v83
	v_add_f32_e32 v66, v67, v89
	s_waitcnt vmcnt(2)
	v_fma_f32 v67, v73, v84, -v68
	v_fmac_f32_e32 v91, v74, v84
	v_add_f32_e32 v65, v65, v69
	v_add_f32_e32 v66, v66, v90
	;; [unrolled: 1-line block ×4, first 2 shown]
	s_waitcnt vmcnt(1)
	v_sub_f32_e32 v65, v85, v65
	s_waitcnt vmcnt(0)
	v_sub_f32_e32 v66, v86, v66
	buffer_store_dword v65, off, s[0:3], 0 offset:200
	buffer_store_dword v66, off, s[0:3], 0 offset:204
	v_cmpx_lt_u32_e32 24, v0
	s_cbranch_execz .LBB30_151
; %bb.150:
	s_clause 0x1
	buffer_load_dword v65, off, s[0:3], 0 offset:192
	buffer_load_dword v66, off, s[0:3], 0 offset:196
	buffer_store_dword v64, off, s[0:3], 0 offset:192
	buffer_store_dword v64, off, s[0:3], 0 offset:196
	s_waitcnt vmcnt(0)
	ds_write_b64 v63, v[65:66]
.LBB30_151:
	s_or_b32 exec_lo, exec_lo, s4
	s_waitcnt lgkmcnt(0)
	s_waitcnt_vscnt null, 0x0
	s_barrier
	buffer_gl0_inv
	s_clause 0xd
	buffer_load_dword v77, off, s[0:3], 0 offset:204
	buffer_load_dword v78, off, s[0:3], 0 offset:212
	;; [unrolled: 1-line block ×14, first 2 shown]
	ds_read2_b64 v[65:68], v64 offset0:57 offset1:58
	ds_read2_b64 v[69:72], v64 offset0:59 offset1:60
	;; [unrolled: 1-line block ×3, first 2 shown]
	s_mov_b32 s4, exec_lo
	s_waitcnt vmcnt(13) lgkmcnt(2)
	v_mul_f32_e32 v64, v65, v77
	v_mul_f32_e32 v77, v66, v77
	s_waitcnt vmcnt(12)
	v_mul_f32_e32 v91, v67, v78
	v_mul_f32_e32 v78, v68, v78
	s_waitcnt vmcnt(11) lgkmcnt(1)
	v_mul_f32_e32 v92, v69, v79
	s_waitcnt vmcnt(10)
	v_mul_f32_e32 v93, v71, v80
	s_waitcnt vmcnt(7)
	v_fma_f32 v65, v65, v83, -v77
	v_fmac_f32_e32 v64, v66, v83
	v_mul_f32_e32 v66, v70, v79
	s_waitcnt vmcnt(6)
	v_fma_f32 v67, v67, v84, -v78
	v_fmac_f32_e32 v91, v68, v84
	v_add_f32_e32 v65, 0, v65
	v_add_f32_e32 v64, 0, v64
	v_mul_f32_e32 v68, v72, v80
	s_waitcnt vmcnt(5)
	v_fma_f32 v66, v69, v85, -v66
	v_fmac_f32_e32 v92, v70, v85
	v_add_f32_e32 v65, v65, v67
	v_add_f32_e32 v64, v64, v91
	s_waitcnt lgkmcnt(0)
	v_mul_f32_e32 v67, v74, v81
	s_waitcnt vmcnt(4)
	v_fma_f32 v68, v71, v86, -v68
	v_mul_f32_e32 v94, v73, v81
	v_add_f32_e32 v65, v65, v66
	v_fmac_f32_e32 v93, v72, v86
	v_add_f32_e32 v64, v64, v92
	v_mul_f32_e32 v66, v76, v82
	s_waitcnt vmcnt(3)
	v_fma_f32 v67, v73, v87, -v67
	v_add_f32_e32 v65, v65, v68
	v_mul_f32_e32 v95, v75, v82
	v_fmac_f32_e32 v94, v74, v87
	v_add_f32_e32 v64, v64, v93
	s_waitcnt vmcnt(2)
	v_fma_f32 v66, v75, v88, -v66
	v_add_f32_e32 v65, v65, v67
	v_fmac_f32_e32 v95, v76, v88
	v_add_f32_e32 v64, v64, v94
	v_add_f32_e32 v65, v65, v66
	;; [unrolled: 1-line block ×3, first 2 shown]
	s_waitcnt vmcnt(1)
	v_sub_f32_e32 v65, v89, v65
	s_waitcnt vmcnt(0)
	v_sub_f32_e32 v64, v90, v64
	buffer_store_dword v65, off, s[0:3], 0 offset:192
	buffer_store_dword v64, off, s[0:3], 0 offset:196
	v_cmpx_lt_u32_e32 23, v0
	s_cbranch_execz .LBB30_153
; %bb.152:
	s_clause 0x1
	buffer_load_dword v64, off, s[0:3], 0 offset:184
	buffer_load_dword v65, off, s[0:3], 0 offset:188
	v_mov_b32_e32 v66, 0
	buffer_store_dword v66, off, s[0:3], 0 offset:184
	buffer_store_dword v66, off, s[0:3], 0 offset:188
	s_waitcnt vmcnt(0)
	ds_write_b64 v63, v[64:65]
.LBB30_153:
	s_or_b32 exec_lo, exec_lo, s4
	s_waitcnt lgkmcnt(0)
	s_waitcnt_vscnt null, 0x0
	s_barrier
	buffer_gl0_inv
	s_clause 0xf
	buffer_load_dword v79, off, s[0:3], 0 offset:196
	buffer_load_dword v80, off, s[0:3], 0 offset:204
	;; [unrolled: 1-line block ×16, first 2 shown]
	v_mov_b32_e32 v64, 0
	ds_read_b128 v[65:68], v64 offset:448
	ds_read_b128 v[69:72], v64 offset:464
	;; [unrolled: 1-line block ×3, first 2 shown]
	ds_read_b64 v[77:78], v64 offset:496
	s_mov_b32 s4, exec_lo
	s_waitcnt vmcnt(15) lgkmcnt(3)
	v_mul_f32_e32 v95, v65, v79
	v_mul_f32_e32 v79, v66, v79
	s_waitcnt vmcnt(14)
	v_mul_f32_e32 v96, v67, v80
	v_mul_f32_e32 v80, v68, v80
	s_waitcnt vmcnt(13) lgkmcnt(2)
	v_mul_f32_e32 v97, v69, v81
	s_waitcnt vmcnt(12)
	v_mul_f32_e32 v98, v71, v82
	s_waitcnt vmcnt(11) lgkmcnt(1)
	v_mul_f32_e32 v99, v73, v83
	s_waitcnt vmcnt(8)
	v_fma_f32 v65, v65, v86, -v79
	v_fmac_f32_e32 v95, v66, v86
	v_mul_f32_e32 v66, v70, v81
	s_waitcnt vmcnt(7)
	v_fma_f32 v67, v67, v87, -v80
	v_fmac_f32_e32 v96, v68, v87
	v_add_f32_e32 v65, 0, v65
	v_add_f32_e32 v68, 0, v95
	v_mul_f32_e32 v79, v72, v82
	s_waitcnt vmcnt(6)
	v_fma_f32 v66, v69, v88, -v66
	v_fmac_f32_e32 v97, v70, v88
	v_add_f32_e32 v65, v65, v67
	v_add_f32_e32 v67, v68, v96
	v_mul_f32_e32 v68, v74, v83
	s_waitcnt vmcnt(5)
	v_fma_f32 v69, v71, v89, -v79
	v_fmac_f32_e32 v98, v72, v89
	v_add_f32_e32 v65, v65, v66
	v_add_f32_e32 v66, v67, v97
	v_mul_f32_e32 v67, v76, v84
	s_waitcnt vmcnt(4)
	v_fma_f32 v68, v73, v90, -v68
	v_mul_f32_e32 v100, v75, v84
	v_add_f32_e32 v65, v65, v69
	v_fmac_f32_e32 v99, v74, v90
	v_add_f32_e32 v66, v66, v98
	s_waitcnt lgkmcnt(0)
	v_mul_f32_e32 v69, v78, v85
	s_waitcnt vmcnt(3)
	v_fma_f32 v67, v75, v91, -v67
	v_add_f32_e32 v65, v65, v68
	v_mul_f32_e32 v101, v77, v85
	v_fmac_f32_e32 v100, v76, v91
	v_add_f32_e32 v66, v66, v99
	s_waitcnt vmcnt(2)
	v_fma_f32 v68, v77, v92, -v69
	v_add_f32_e32 v65, v65, v67
	v_fmac_f32_e32 v101, v78, v92
	v_add_f32_e32 v66, v66, v100
	v_add_f32_e32 v65, v65, v68
	;; [unrolled: 1-line block ×3, first 2 shown]
	s_waitcnt vmcnt(1)
	v_sub_f32_e32 v65, v93, v65
	s_waitcnt vmcnt(0)
	v_sub_f32_e32 v66, v94, v66
	buffer_store_dword v65, off, s[0:3], 0 offset:184
	buffer_store_dword v66, off, s[0:3], 0 offset:188
	v_cmpx_lt_u32_e32 22, v0
	s_cbranch_execz .LBB30_155
; %bb.154:
	s_clause 0x1
	buffer_load_dword v65, off, s[0:3], 0 offset:176
	buffer_load_dword v66, off, s[0:3], 0 offset:180
	buffer_store_dword v64, off, s[0:3], 0 offset:176
	buffer_store_dword v64, off, s[0:3], 0 offset:180
	s_waitcnt vmcnt(0)
	ds_write_b64 v63, v[65:66]
.LBB30_155:
	s_or_b32 exec_lo, exec_lo, s4
	s_waitcnt lgkmcnt(0)
	s_waitcnt_vscnt null, 0x0
	s_barrier
	buffer_gl0_inv
	s_clause 0x11
	buffer_load_dword v81, off, s[0:3], 0 offset:188
	buffer_load_dword v82, off, s[0:3], 0 offset:196
	;; [unrolled: 1-line block ×18, first 2 shown]
	ds_read2_b64 v[65:68], v64 offset0:55 offset1:56
	ds_read2_b64 v[69:72], v64 offset0:57 offset1:58
	;; [unrolled: 1-line block ×4, first 2 shown]
	s_mov_b32 s4, exec_lo
	s_waitcnt vmcnt(17) lgkmcnt(3)
	v_mul_f32_e32 v64, v65, v81
	v_mul_f32_e32 v81, v66, v81
	s_waitcnt vmcnt(16)
	v_mul_f32_e32 v99, v67, v82
	v_mul_f32_e32 v82, v68, v82
	s_waitcnt vmcnt(15) lgkmcnt(2)
	v_mul_f32_e32 v100, v69, v83
	s_waitcnt vmcnt(14)
	v_mul_f32_e32 v101, v71, v84
	s_waitcnt vmcnt(13) lgkmcnt(1)
	v_mul_f32_e32 v102, v73, v85
	s_waitcnt vmcnt(12)
	v_mul_f32_e32 v103, v75, v86
	s_waitcnt vmcnt(9)
	v_fma_f32 v65, v65, v89, -v81
	v_fmac_f32_e32 v64, v66, v89
	v_mul_f32_e32 v66, v70, v83
	s_waitcnt vmcnt(8)
	v_fma_f32 v67, v67, v90, -v82
	v_fmac_f32_e32 v99, v68, v90
	v_add_f32_e32 v65, 0, v65
	v_add_f32_e32 v64, 0, v64
	v_mul_f32_e32 v68, v72, v84
	s_waitcnt vmcnt(7)
	v_fma_f32 v66, v69, v91, -v66
	v_fmac_f32_e32 v100, v70, v91
	v_add_f32_e32 v65, v65, v67
	v_add_f32_e32 v64, v64, v99
	;; [unrolled: 6-line block ×4, first 2 shown]
	s_waitcnt lgkmcnt(0)
	v_mul_f32_e32 v68, v78, v87
	s_waitcnt vmcnt(4)
	v_fma_f32 v66, v75, v94, -v66
	v_mul_f32_e32 v104, v77, v87
	v_add_f32_e32 v65, v65, v67
	v_fmac_f32_e32 v103, v76, v94
	v_add_f32_e32 v64, v64, v102
	v_mul_f32_e32 v67, v80, v88
	s_waitcnt vmcnt(3)
	v_fma_f32 v68, v77, v95, -v68
	v_add_f32_e32 v65, v65, v66
	v_mul_f32_e32 v105, v79, v88
	v_fmac_f32_e32 v104, v78, v95
	v_add_f32_e32 v64, v64, v103
	s_waitcnt vmcnt(2)
	v_fma_f32 v66, v79, v96, -v67
	v_add_f32_e32 v65, v65, v68
	v_fmac_f32_e32 v105, v80, v96
	v_add_f32_e32 v64, v64, v104
	v_add_f32_e32 v65, v65, v66
	v_add_f32_e32 v64, v64, v105
	s_waitcnt vmcnt(1)
	v_sub_f32_e32 v65, v97, v65
	s_waitcnt vmcnt(0)
	v_sub_f32_e32 v64, v98, v64
	buffer_store_dword v65, off, s[0:3], 0 offset:176
	buffer_store_dword v64, off, s[0:3], 0 offset:180
	v_cmpx_lt_u32_e32 21, v0
	s_cbranch_execz .LBB30_157
; %bb.156:
	s_clause 0x1
	buffer_load_dword v64, off, s[0:3], 0 offset:168
	buffer_load_dword v65, off, s[0:3], 0 offset:172
	v_mov_b32_e32 v66, 0
	buffer_store_dword v66, off, s[0:3], 0 offset:168
	buffer_store_dword v66, off, s[0:3], 0 offset:172
	s_waitcnt vmcnt(0)
	ds_write_b64 v63, v[64:65]
.LBB30_157:
	s_or_b32 exec_lo, exec_lo, s4
	s_waitcnt lgkmcnt(0)
	s_waitcnt_vscnt null, 0x0
	s_barrier
	buffer_gl0_inv
	s_clause 0x13
	buffer_load_dword v83, off, s[0:3], 0 offset:180
	buffer_load_dword v84, off, s[0:3], 0 offset:188
	;; [unrolled: 1-line block ×20, first 2 shown]
	v_mov_b32_e32 v64, 0
	ds_read_b128 v[65:68], v64 offset:432
	ds_read_b128 v[69:72], v64 offset:448
	;; [unrolled: 1-line block ×4, first 2 shown]
	ds_read_b64 v[81:82], v64 offset:496
	s_mov_b32 s4, exec_lo
	s_waitcnt vmcnt(19) lgkmcnt(4)
	v_mul_f32_e32 v103, v65, v83
	v_mul_f32_e32 v83, v66, v83
	s_waitcnt vmcnt(18)
	v_mul_f32_e32 v104, v67, v84
	v_mul_f32_e32 v84, v68, v84
	s_waitcnt vmcnt(17) lgkmcnt(3)
	v_mul_f32_e32 v105, v69, v85
	s_waitcnt vmcnt(16)
	v_mul_f32_e32 v106, v71, v86
	s_waitcnt vmcnt(15) lgkmcnt(2)
	v_mul_f32_e32 v107, v73, v87
	s_waitcnt vmcnt(14)
	;; [unrolled: 4-line block ×3, first 2 shown]
	v_fma_f32 v65, v65, v92, -v83
	v_fmac_f32_e32 v103, v66, v92
	v_mul_f32_e32 v66, v70, v85
	s_waitcnt vmcnt(9)
	v_fma_f32 v67, v67, v93, -v84
	v_fmac_f32_e32 v104, v68, v93
	v_add_f32_e32 v65, 0, v65
	v_add_f32_e32 v68, 0, v103
	v_mul_f32_e32 v83, v72, v86
	s_waitcnt vmcnt(8)
	v_fma_f32 v66, v69, v94, -v66
	v_fmac_f32_e32 v105, v70, v94
	v_add_f32_e32 v65, v65, v67
	v_add_f32_e32 v67, v68, v104
	;; [unrolled: 6-line block ×5, first 2 shown]
	v_mul_f32_e32 v68, v80, v90
	s_waitcnt vmcnt(4)
	v_fma_f32 v69, v77, v98, -v69
	v_mul_f32_e32 v110, v79, v90
	v_add_f32_e32 v65, v65, v67
	v_fmac_f32_e32 v109, v78, v98
	v_add_f32_e32 v66, v66, v108
	s_waitcnt lgkmcnt(0)
	v_mul_f32_e32 v67, v82, v91
	s_waitcnt vmcnt(3)
	v_fma_f32 v68, v79, v99, -v68
	v_add_f32_e32 v65, v65, v69
	v_mul_f32_e32 v111, v81, v91
	v_fmac_f32_e32 v110, v80, v99
	v_add_f32_e32 v66, v66, v109
	s_waitcnt vmcnt(2)
	v_fma_f32 v67, v81, v100, -v67
	v_add_f32_e32 v65, v65, v68
	v_fmac_f32_e32 v111, v82, v100
	v_add_f32_e32 v66, v66, v110
	v_add_f32_e32 v65, v65, v67
	;; [unrolled: 1-line block ×3, first 2 shown]
	s_waitcnt vmcnt(1)
	v_sub_f32_e32 v65, v101, v65
	s_waitcnt vmcnt(0)
	v_sub_f32_e32 v66, v102, v66
	buffer_store_dword v65, off, s[0:3], 0 offset:168
	buffer_store_dword v66, off, s[0:3], 0 offset:172
	v_cmpx_lt_u32_e32 20, v0
	s_cbranch_execz .LBB30_159
; %bb.158:
	s_clause 0x1
	buffer_load_dword v65, off, s[0:3], 0 offset:160
	buffer_load_dword v66, off, s[0:3], 0 offset:164
	buffer_store_dword v64, off, s[0:3], 0 offset:160
	buffer_store_dword v64, off, s[0:3], 0 offset:164
	s_waitcnt vmcnt(0)
	ds_write_b64 v63, v[65:66]
.LBB30_159:
	s_or_b32 exec_lo, exec_lo, s4
	s_waitcnt lgkmcnt(0)
	s_waitcnt_vscnt null, 0x0
	s_barrier
	buffer_gl0_inv
	s_clause 0x15
	buffer_load_dword v85, off, s[0:3], 0 offset:172
	buffer_load_dword v86, off, s[0:3], 0 offset:180
	;; [unrolled: 1-line block ×22, first 2 shown]
	ds_read2_b64 v[65:68], v64 offset0:53 offset1:54
	ds_read2_b64 v[69:72], v64 offset0:55 offset1:56
	;; [unrolled: 1-line block ×5, first 2 shown]
	s_mov_b32 s4, exec_lo
	s_waitcnt vmcnt(21) lgkmcnt(4)
	v_mul_f32_e32 v64, v65, v85
	v_mul_f32_e32 v85, v66, v85
	s_waitcnt vmcnt(20)
	v_mul_f32_e32 v107, v67, v86
	v_mul_f32_e32 v86, v68, v86
	s_waitcnt vmcnt(19) lgkmcnt(3)
	v_mul_f32_e32 v108, v69, v87
	s_waitcnt vmcnt(18)
	v_mul_f32_e32 v109, v71, v88
	s_waitcnt vmcnt(17) lgkmcnt(2)
	v_mul_f32_e32 v110, v73, v89
	s_waitcnt vmcnt(16)
	;; [unrolled: 4-line block ×3, first 2 shown]
	v_mul_f32_e32 v113, v79, v92
	s_waitcnt vmcnt(11)
	v_fma_f32 v65, v65, v95, -v85
	v_fmac_f32_e32 v64, v66, v95
	v_mul_f32_e32 v66, v70, v87
	s_waitcnt vmcnt(10)
	v_fma_f32 v67, v67, v96, -v86
	v_fmac_f32_e32 v107, v68, v96
	v_add_f32_e32 v65, 0, v65
	v_add_f32_e32 v64, 0, v64
	v_mul_f32_e32 v68, v72, v88
	s_waitcnt vmcnt(9)
	v_fma_f32 v66, v69, v97, -v66
	v_fmac_f32_e32 v108, v70, v97
	v_add_f32_e32 v65, v65, v67
	v_add_f32_e32 v64, v64, v107
	;; [unrolled: 6-line block ×6, first 2 shown]
	s_waitcnt lgkmcnt(0)
	v_mul_f32_e32 v66, v82, v93
	s_waitcnt vmcnt(4)
	v_fma_f32 v67, v79, v102, -v67
	v_mul_f32_e32 v114, v81, v93
	v_add_f32_e32 v65, v65, v68
	v_fmac_f32_e32 v113, v80, v102
	v_add_f32_e32 v64, v64, v112
	v_mul_f32_e32 v68, v84, v94
	s_waitcnt vmcnt(3)
	v_fma_f32 v66, v81, v103, -v66
	v_add_f32_e32 v65, v65, v67
	v_mul_f32_e32 v115, v83, v94
	v_fmac_f32_e32 v114, v82, v103
	v_add_f32_e32 v64, v64, v113
	s_waitcnt vmcnt(2)
	v_fma_f32 v67, v83, v104, -v68
	v_add_f32_e32 v65, v65, v66
	v_fmac_f32_e32 v115, v84, v104
	v_add_f32_e32 v64, v64, v114
	v_add_f32_e32 v65, v65, v67
	;; [unrolled: 1-line block ×3, first 2 shown]
	s_waitcnt vmcnt(1)
	v_sub_f32_e32 v65, v105, v65
	s_waitcnt vmcnt(0)
	v_sub_f32_e32 v64, v106, v64
	buffer_store_dword v65, off, s[0:3], 0 offset:160
	buffer_store_dword v64, off, s[0:3], 0 offset:164
	v_cmpx_lt_u32_e32 19, v0
	s_cbranch_execz .LBB30_161
; %bb.160:
	s_clause 0x1
	buffer_load_dword v64, off, s[0:3], 0 offset:152
	buffer_load_dword v65, off, s[0:3], 0 offset:156
	v_mov_b32_e32 v66, 0
	buffer_store_dword v66, off, s[0:3], 0 offset:152
	buffer_store_dword v66, off, s[0:3], 0 offset:156
	s_waitcnt vmcnt(0)
	ds_write_b64 v63, v[64:65]
.LBB30_161:
	s_or_b32 exec_lo, exec_lo, s4
	s_waitcnt lgkmcnt(0)
	s_waitcnt_vscnt null, 0x0
	s_barrier
	buffer_gl0_inv
	s_clause 0x17
	buffer_load_dword v87, off, s[0:3], 0 offset:164
	buffer_load_dword v88, off, s[0:3], 0 offset:172
	;; [unrolled: 1-line block ×24, first 2 shown]
	v_mov_b32_e32 v64, 0
	ds_read_b128 v[65:68], v64 offset:416
	ds_read_b128 v[69:72], v64 offset:432
	;; [unrolled: 1-line block ×5, first 2 shown]
	ds_read_b64 v[85:86], v64 offset:496
	s_mov_b32 s4, exec_lo
	s_waitcnt vmcnt(23) lgkmcnt(5)
	v_mul_f32_e32 v111, v65, v87
	v_mul_f32_e32 v87, v66, v87
	s_waitcnt vmcnt(22)
	v_mul_f32_e32 v112, v67, v88
	v_mul_f32_e32 v88, v68, v88
	s_waitcnt vmcnt(21) lgkmcnt(4)
	v_mul_f32_e32 v113, v69, v89
	s_waitcnt vmcnt(20)
	v_mul_f32_e32 v114, v71, v90
	s_waitcnt vmcnt(19) lgkmcnt(3)
	v_mul_f32_e32 v115, v73, v91
	s_waitcnt vmcnt(18)
	;; [unrolled: 4-line block ×4, first 2 shown]
	v_fma_f32 v65, v65, v98, -v87
	v_fmac_f32_e32 v111, v66, v98
	v_mul_f32_e32 v66, v70, v89
	s_waitcnt vmcnt(11)
	v_fma_f32 v67, v67, v99, -v88
	v_fmac_f32_e32 v112, v68, v99
	v_add_f32_e32 v65, 0, v65
	v_add_f32_e32 v68, 0, v111
	v_mul_f32_e32 v87, v72, v90
	s_waitcnt vmcnt(10)
	v_fma_f32 v66, v69, v100, -v66
	v_fmac_f32_e32 v113, v70, v100
	v_add_f32_e32 v65, v65, v67
	v_add_f32_e32 v67, v68, v112
	;; [unrolled: 6-line block ×7, first 2 shown]
	v_mul_f32_e32 v69, v84, v96
	s_waitcnt vmcnt(4)
	v_fma_f32 v67, v81, v106, -v67
	v_mul_f32_e32 v120, v83, v96
	v_add_f32_e32 v65, v65, v68
	v_fmac_f32_e32 v119, v82, v106
	v_add_f32_e32 v66, v66, v118
	s_waitcnt lgkmcnt(0)
	v_mul_f32_e32 v68, v86, v97
	s_waitcnt vmcnt(3)
	v_fma_f32 v69, v83, v107, -v69
	v_add_f32_e32 v65, v65, v67
	v_mul_f32_e32 v121, v85, v97
	v_fmac_f32_e32 v120, v84, v107
	v_add_f32_e32 v66, v66, v119
	s_waitcnt vmcnt(2)
	v_fma_f32 v67, v85, v108, -v68
	v_add_f32_e32 v65, v65, v69
	v_fmac_f32_e32 v121, v86, v108
	v_add_f32_e32 v66, v66, v120
	v_add_f32_e32 v65, v65, v67
	;; [unrolled: 1-line block ×3, first 2 shown]
	s_waitcnt vmcnt(1)
	v_sub_f32_e32 v65, v109, v65
	s_waitcnt vmcnt(0)
	v_sub_f32_e32 v66, v110, v66
	buffer_store_dword v65, off, s[0:3], 0 offset:152
	buffer_store_dword v66, off, s[0:3], 0 offset:156
	v_cmpx_lt_u32_e32 18, v0
	s_cbranch_execz .LBB30_163
; %bb.162:
	s_clause 0x1
	buffer_load_dword v65, off, s[0:3], 0 offset:144
	buffer_load_dword v66, off, s[0:3], 0 offset:148
	buffer_store_dword v64, off, s[0:3], 0 offset:144
	buffer_store_dword v64, off, s[0:3], 0 offset:148
	s_waitcnt vmcnt(0)
	ds_write_b64 v63, v[65:66]
.LBB30_163:
	s_or_b32 exec_lo, exec_lo, s4
	s_waitcnt lgkmcnt(0)
	s_waitcnt_vscnt null, 0x0
	s_barrier
	buffer_gl0_inv
	s_clause 0x19
	buffer_load_dword v89, off, s[0:3], 0 offset:156
	buffer_load_dword v90, off, s[0:3], 0 offset:164
	;; [unrolled: 1-line block ×26, first 2 shown]
	ds_read2_b64 v[65:68], v64 offset0:51 offset1:52
	ds_read2_b64 v[69:72], v64 offset0:53 offset1:54
	ds_read2_b64 v[73:76], v64 offset0:55 offset1:56
	ds_read2_b64 v[77:80], v64 offset0:57 offset1:58
	ds_read2_b64 v[81:84], v64 offset0:59 offset1:60
	ds_read2_b64 v[85:88], v64 offset0:61 offset1:62
	s_mov_b32 s4, exec_lo
	s_waitcnt vmcnt(25) lgkmcnt(5)
	v_mul_f32_e32 v64, v65, v89
	v_mul_f32_e32 v89, v66, v89
	s_waitcnt vmcnt(24)
	v_mul_f32_e32 v115, v67, v90
	v_mul_f32_e32 v90, v68, v90
	s_waitcnt vmcnt(23) lgkmcnt(4)
	v_mul_f32_e32 v116, v69, v91
	s_waitcnt vmcnt(22)
	v_mul_f32_e32 v117, v71, v92
	s_waitcnt vmcnt(21) lgkmcnt(3)
	v_mul_f32_e32 v118, v73, v93
	s_waitcnt vmcnt(20)
	;; [unrolled: 4-line block ×4, first 2 shown]
	v_mul_f32_e32 v123, v83, v98
	s_waitcnt vmcnt(13)
	v_fma_f32 v65, v65, v101, -v89
	v_fmac_f32_e32 v64, v66, v101
	v_mul_f32_e32 v66, v70, v91
	s_waitcnt vmcnt(12)
	v_fma_f32 v67, v67, v102, -v90
	v_fmac_f32_e32 v115, v68, v102
	v_add_f32_e32 v65, 0, v65
	v_add_f32_e32 v64, 0, v64
	v_mul_f32_e32 v68, v72, v92
	s_waitcnt vmcnt(11)
	v_fma_f32 v66, v69, v103, -v66
	v_fmac_f32_e32 v116, v70, v103
	v_add_f32_e32 v65, v65, v67
	v_add_f32_e32 v64, v64, v115
	;; [unrolled: 6-line block ×8, first 2 shown]
	s_waitcnt lgkmcnt(0)
	v_mul_f32_e32 v67, v86, v99
	s_waitcnt vmcnt(4)
	v_fma_f32 v68, v83, v110, -v68
	v_mul_f32_e32 v124, v85, v99
	v_add_f32_e32 v65, v65, v66
	v_fmac_f32_e32 v123, v84, v110
	v_add_f32_e32 v64, v64, v122
	v_mul_f32_e32 v66, v88, v100
	s_waitcnt vmcnt(3)
	v_fma_f32 v67, v85, v111, -v67
	v_add_f32_e32 v65, v65, v68
	v_mul_f32_e32 v125, v87, v100
	v_fmac_f32_e32 v124, v86, v111
	v_add_f32_e32 v64, v64, v123
	s_waitcnt vmcnt(2)
	v_fma_f32 v66, v87, v112, -v66
	v_add_f32_e32 v65, v65, v67
	v_fmac_f32_e32 v125, v88, v112
	v_add_f32_e32 v64, v64, v124
	v_add_f32_e32 v65, v65, v66
	;; [unrolled: 1-line block ×3, first 2 shown]
	s_waitcnt vmcnt(1)
	v_sub_f32_e32 v65, v113, v65
	s_waitcnt vmcnt(0)
	v_sub_f32_e32 v64, v114, v64
	buffer_store_dword v65, off, s[0:3], 0 offset:144
	buffer_store_dword v64, off, s[0:3], 0 offset:148
	v_cmpx_lt_u32_e32 17, v0
	s_cbranch_execz .LBB30_165
; %bb.164:
	s_clause 0x1
	buffer_load_dword v64, off, s[0:3], 0 offset:136
	buffer_load_dword v65, off, s[0:3], 0 offset:140
	v_mov_b32_e32 v66, 0
	buffer_store_dword v66, off, s[0:3], 0 offset:136
	buffer_store_dword v66, off, s[0:3], 0 offset:140
	s_waitcnt vmcnt(0)
	ds_write_b64 v63, v[64:65]
.LBB30_165:
	s_or_b32 exec_lo, exec_lo, s4
	s_waitcnt lgkmcnt(0)
	s_waitcnt_vscnt null, 0x0
	s_barrier
	buffer_gl0_inv
	s_clause 0x1b
	buffer_load_dword v91, off, s[0:3], 0 offset:148
	buffer_load_dword v92, off, s[0:3], 0 offset:156
	;; [unrolled: 1-line block ×28, first 2 shown]
	v_mov_b32_e32 v64, 0
	ds_read_b128 v[65:68], v64 offset:400
	ds_read_b128 v[69:72], v64 offset:416
	;; [unrolled: 1-line block ×6, first 2 shown]
	ds_read_b64 v[89:90], v64 offset:496
	s_mov_b32 s4, exec_lo
	s_waitcnt vmcnt(27) lgkmcnt(6)
	v_mul_f32_e32 v119, v65, v91
	v_mul_f32_e32 v91, v66, v91
	s_waitcnt vmcnt(26)
	v_mul_f32_e32 v120, v67, v92
	v_mul_f32_e32 v92, v68, v92
	s_waitcnt vmcnt(25) lgkmcnt(5)
	v_mul_f32_e32 v121, v69, v93
	s_waitcnt vmcnt(24)
	v_mul_f32_e32 v122, v71, v94
	s_waitcnt vmcnt(23) lgkmcnt(4)
	v_mul_f32_e32 v123, v73, v95
	s_waitcnt vmcnt(22)
	;; [unrolled: 4-line block ×5, first 2 shown]
	v_fma_f32 v65, v65, v104, -v91
	v_fmac_f32_e32 v119, v66, v104
	v_mul_f32_e32 v66, v70, v93
	s_waitcnt vmcnt(13)
	v_fma_f32 v67, v67, v105, -v92
	v_fmac_f32_e32 v120, v68, v105
	v_add_f32_e32 v65, 0, v65
	v_add_f32_e32 v68, 0, v119
	v_mul_f32_e32 v91, v72, v94
	s_waitcnt vmcnt(12)
	v_fma_f32 v66, v69, v106, -v66
	v_fmac_f32_e32 v121, v70, v106
	v_add_f32_e32 v65, v65, v67
	v_add_f32_e32 v67, v68, v120
	;; [unrolled: 6-line block ×9, first 2 shown]
	v_mul_f32_e32 v67, v88, v102
	s_waitcnt vmcnt(4)
	v_fma_f32 v68, v85, v114, -v68
	v_mul_f32_e32 v130, v87, v102
	v_add_f32_e32 v65, v65, v69
	v_fmac_f32_e32 v129, v86, v114
	v_add_f32_e32 v66, v66, v128
	s_waitcnt lgkmcnt(0)
	v_mul_f32_e32 v69, v90, v103
	s_waitcnt vmcnt(3)
	v_fma_f32 v67, v87, v115, -v67
	v_add_f32_e32 v65, v65, v68
	v_mul_f32_e32 v131, v89, v103
	v_fmac_f32_e32 v130, v88, v115
	v_add_f32_e32 v66, v66, v129
	s_waitcnt vmcnt(2)
	v_fma_f32 v68, v89, v116, -v69
	v_add_f32_e32 v65, v65, v67
	v_fmac_f32_e32 v131, v90, v116
	v_add_f32_e32 v66, v66, v130
	v_add_f32_e32 v65, v65, v68
	v_add_f32_e32 v66, v66, v131
	s_waitcnt vmcnt(1)
	v_sub_f32_e32 v65, v117, v65
	s_waitcnt vmcnt(0)
	v_sub_f32_e32 v66, v118, v66
	buffer_store_dword v65, off, s[0:3], 0 offset:136
	buffer_store_dword v66, off, s[0:3], 0 offset:140
	v_cmpx_lt_u32_e32 16, v0
	s_cbranch_execz .LBB30_167
; %bb.166:
	s_clause 0x1
	buffer_load_dword v65, off, s[0:3], 0 offset:128
	buffer_load_dword v66, off, s[0:3], 0 offset:132
	buffer_store_dword v64, off, s[0:3], 0 offset:128
	buffer_store_dword v64, off, s[0:3], 0 offset:132
	s_waitcnt vmcnt(0)
	ds_write_b64 v63, v[65:66]
.LBB30_167:
	s_or_b32 exec_lo, exec_lo, s4
	s_waitcnt lgkmcnt(0)
	s_waitcnt_vscnt null, 0x0
	s_barrier
	buffer_gl0_inv
	s_clause 0x1d
	buffer_load_dword v93, off, s[0:3], 0 offset:140
	buffer_load_dword v94, off, s[0:3], 0 offset:148
	;; [unrolled: 1-line block ×30, first 2 shown]
	ds_read2_b64 v[65:68], v64 offset0:49 offset1:50
	ds_read2_b64 v[69:72], v64 offset0:51 offset1:52
	;; [unrolled: 1-line block ×7, first 2 shown]
	s_mov_b32 s4, exec_lo
	s_waitcnt vmcnt(29) lgkmcnt(6)
	v_mul_f32_e32 v64, v65, v93
	v_mul_f32_e32 v93, v66, v93
	s_waitcnt vmcnt(28)
	v_mul_f32_e32 v123, v67, v94
	v_mul_f32_e32 v94, v68, v94
	s_waitcnt vmcnt(27) lgkmcnt(5)
	v_mul_f32_e32 v124, v69, v95
	s_waitcnt vmcnt(26)
	v_mul_f32_e32 v125, v71, v96
	s_waitcnt vmcnt(25) lgkmcnt(4)
	v_mul_f32_e32 v126, v73, v97
	s_waitcnt vmcnt(24)
	;; [unrolled: 4-line block ×5, first 2 shown]
	v_mul_f32_e32 v133, v87, v104
	s_waitcnt vmcnt(15)
	v_fma_f32 v65, v65, v107, -v93
	v_fmac_f32_e32 v64, v66, v107
	v_mul_f32_e32 v66, v70, v95
	s_waitcnt vmcnt(14)
	v_fma_f32 v67, v67, v108, -v94
	v_fmac_f32_e32 v123, v68, v108
	v_add_f32_e32 v65, 0, v65
	v_add_f32_e32 v64, 0, v64
	v_mul_f32_e32 v68, v72, v96
	s_waitcnt vmcnt(13)
	v_fma_f32 v66, v69, v109, -v66
	v_fmac_f32_e32 v124, v70, v109
	v_add_f32_e32 v65, v65, v67
	v_add_f32_e32 v64, v64, v123
	;; [unrolled: 6-line block ×10, first 2 shown]
	s_waitcnt lgkmcnt(0)
	v_mul_f32_e32 v68, v90, v105
	s_waitcnt vmcnt(4)
	v_fma_f32 v66, v87, v118, -v66
	v_mul_f32_e32 v134, v89, v105
	v_add_f32_e32 v65, v65, v67
	v_fmac_f32_e32 v133, v88, v118
	v_add_f32_e32 v64, v64, v132
	v_mul_f32_e32 v67, v92, v106
	s_waitcnt vmcnt(3)
	v_fma_f32 v68, v89, v119, -v68
	v_add_f32_e32 v65, v65, v66
	v_mul_f32_e32 v135, v91, v106
	v_fmac_f32_e32 v134, v90, v119
	v_add_f32_e32 v64, v64, v133
	s_waitcnt vmcnt(2)
	v_fma_f32 v66, v91, v120, -v67
	v_add_f32_e32 v65, v65, v68
	v_fmac_f32_e32 v135, v92, v120
	v_add_f32_e32 v64, v64, v134
	v_add_f32_e32 v65, v65, v66
	;; [unrolled: 1-line block ×3, first 2 shown]
	s_waitcnt vmcnt(1)
	v_sub_f32_e32 v65, v121, v65
	s_waitcnt vmcnt(0)
	v_sub_f32_e32 v64, v122, v64
	buffer_store_dword v65, off, s[0:3], 0 offset:128
	buffer_store_dword v64, off, s[0:3], 0 offset:132
	v_cmpx_lt_u32_e32 15, v0
	s_cbranch_execz .LBB30_169
; %bb.168:
	s_clause 0x1
	buffer_load_dword v64, off, s[0:3], 0 offset:120
	buffer_load_dword v65, off, s[0:3], 0 offset:124
	v_mov_b32_e32 v66, 0
	buffer_store_dword v66, off, s[0:3], 0 offset:120
	buffer_store_dword v66, off, s[0:3], 0 offset:124
	s_waitcnt vmcnt(0)
	ds_write_b64 v63, v[64:65]
.LBB30_169:
	s_or_b32 exec_lo, exec_lo, s4
	s_waitcnt lgkmcnt(0)
	s_waitcnt_vscnt null, 0x0
	s_barrier
	buffer_gl0_inv
	s_clause 0x1f
	buffer_load_dword v95, off, s[0:3], 0 offset:132
	buffer_load_dword v96, off, s[0:3], 0 offset:140
	;; [unrolled: 1-line block ×32, first 2 shown]
	v_mov_b32_e32 v64, 0
	ds_read_b128 v[65:68], v64 offset:384
	ds_read_b128 v[69:72], v64 offset:400
	;; [unrolled: 1-line block ×7, first 2 shown]
	ds_read_b64 v[93:94], v64 offset:496
	s_mov_b32 s4, exec_lo
	s_waitcnt vmcnt(31) lgkmcnt(7)
	v_mul_f32_e32 v127, v65, v95
	v_mul_f32_e32 v95, v66, v95
	s_waitcnt vmcnt(30)
	v_mul_f32_e32 v128, v67, v96
	v_mul_f32_e32 v96, v68, v96
	s_waitcnt vmcnt(29) lgkmcnt(6)
	v_mul_f32_e32 v129, v69, v97
	s_waitcnt vmcnt(28)
	v_mul_f32_e32 v130, v71, v98
	s_waitcnt vmcnt(27) lgkmcnt(5)
	v_mul_f32_e32 v131, v73, v99
	s_waitcnt vmcnt(26)
	;; [unrolled: 4-line block ×6, first 2 shown]
	v_fma_f32 v65, v65, v110, -v95
	v_fmac_f32_e32 v127, v66, v110
	v_mul_f32_e32 v66, v70, v97
	s_waitcnt vmcnt(15)
	v_fma_f32 v67, v67, v111, -v96
	v_fmac_f32_e32 v128, v68, v111
	v_add_f32_e32 v65, 0, v65
	v_add_f32_e32 v68, 0, v127
	v_mul_f32_e32 v95, v72, v98
	s_waitcnt vmcnt(14)
	v_fma_f32 v66, v69, v112, -v66
	v_fmac_f32_e32 v129, v70, v112
	v_add_f32_e32 v65, v65, v67
	v_add_f32_e32 v67, v68, v128
	;; [unrolled: 6-line block ×11, first 2 shown]
	v_mul_f32_e32 v68, v92, v108
	s_waitcnt vmcnt(4)
	v_fma_f32 v69, v89, v122, -v69
	v_mul_f32_e32 v140, v91, v108
	v_add_f32_e32 v65, v65, v67
	v_fmac_f32_e32 v139, v90, v122
	v_add_f32_e32 v66, v66, v138
	s_waitcnt lgkmcnt(0)
	v_mul_f32_e32 v67, v94, v109
	s_waitcnt vmcnt(3)
	v_fma_f32 v68, v91, v123, -v68
	v_add_f32_e32 v65, v65, v69
	v_mul_f32_e32 v141, v93, v109
	v_fmac_f32_e32 v140, v92, v123
	v_add_f32_e32 v66, v66, v139
	s_waitcnt vmcnt(2)
	v_fma_f32 v67, v93, v124, -v67
	v_add_f32_e32 v65, v65, v68
	v_fmac_f32_e32 v141, v94, v124
	v_add_f32_e32 v66, v66, v140
	v_add_f32_e32 v65, v65, v67
	;; [unrolled: 1-line block ×3, first 2 shown]
	s_waitcnt vmcnt(1)
	v_sub_f32_e32 v65, v125, v65
	s_waitcnt vmcnt(0)
	v_sub_f32_e32 v66, v126, v66
	buffer_store_dword v65, off, s[0:3], 0 offset:120
	buffer_store_dword v66, off, s[0:3], 0 offset:124
	v_cmpx_lt_u32_e32 14, v0
	s_cbranch_execz .LBB30_171
; %bb.170:
	s_clause 0x1
	buffer_load_dword v65, off, s[0:3], 0 offset:112
	buffer_load_dword v66, off, s[0:3], 0 offset:116
	buffer_store_dword v64, off, s[0:3], 0 offset:112
	buffer_store_dword v64, off, s[0:3], 0 offset:116
	s_waitcnt vmcnt(0)
	ds_write_b64 v63, v[65:66]
.LBB30_171:
	s_or_b32 exec_lo, exec_lo, s4
	s_waitcnt lgkmcnt(0)
	s_waitcnt_vscnt null, 0x0
	s_barrier
	buffer_gl0_inv
	s_clause 0x21
	buffer_load_dword v97, off, s[0:3], 0 offset:124
	buffer_load_dword v98, off, s[0:3], 0 offset:132
	;; [unrolled: 1-line block ×34, first 2 shown]
	ds_read2_b64 v[65:68], v64 offset0:47 offset1:48
	ds_read2_b64 v[69:72], v64 offset0:49 offset1:50
	;; [unrolled: 1-line block ×8, first 2 shown]
	s_mov_b32 s4, exec_lo
	s_waitcnt vmcnt(33) lgkmcnt(7)
	v_mul_f32_e32 v64, v65, v97
	v_mul_f32_e32 v97, v66, v97
	s_waitcnt vmcnt(32)
	v_mul_f32_e32 v131, v67, v98
	v_mul_f32_e32 v98, v68, v98
	s_waitcnt vmcnt(31) lgkmcnt(6)
	v_mul_f32_e32 v132, v69, v99
	s_waitcnt vmcnt(30)
	v_mul_f32_e32 v133, v71, v100
	s_waitcnt vmcnt(29) lgkmcnt(5)
	v_mul_f32_e32 v134, v73, v101
	s_waitcnt vmcnt(28)
	;; [unrolled: 4-line block ×6, first 2 shown]
	v_mul_f32_e32 v143, v91, v110
	s_waitcnt vmcnt(17)
	v_fma_f32 v65, v65, v113, -v97
	v_fmac_f32_e32 v64, v66, v113
	v_mul_f32_e32 v66, v70, v99
	s_waitcnt vmcnt(16)
	v_fma_f32 v67, v67, v114, -v98
	v_fmac_f32_e32 v131, v68, v114
	v_add_f32_e32 v65, 0, v65
	v_add_f32_e32 v64, 0, v64
	v_mul_f32_e32 v68, v72, v100
	s_waitcnt vmcnt(15)
	v_fma_f32 v66, v69, v115, -v66
	v_fmac_f32_e32 v132, v70, v115
	v_add_f32_e32 v65, v65, v67
	v_add_f32_e32 v64, v64, v131
	;; [unrolled: 6-line block ×12, first 2 shown]
	s_waitcnt lgkmcnt(0)
	v_mul_f32_e32 v66, v94, v111
	s_waitcnt vmcnt(4)
	v_fma_f32 v67, v91, v126, -v67
	v_mul_f32_e32 v144, v93, v111
	v_add_f32_e32 v65, v65, v68
	v_fmac_f32_e32 v143, v92, v126
	v_add_f32_e32 v64, v64, v142
	v_mul_f32_e32 v68, v96, v112
	s_waitcnt vmcnt(3)
	v_fma_f32 v66, v93, v127, -v66
	v_add_f32_e32 v65, v65, v67
	v_mul_f32_e32 v145, v95, v112
	v_fmac_f32_e32 v144, v94, v127
	v_add_f32_e32 v64, v64, v143
	s_waitcnt vmcnt(2)
	v_fma_f32 v67, v95, v128, -v68
	v_add_f32_e32 v65, v65, v66
	v_fmac_f32_e32 v145, v96, v128
	v_add_f32_e32 v64, v64, v144
	v_add_f32_e32 v65, v65, v67
	;; [unrolled: 1-line block ×3, first 2 shown]
	s_waitcnt vmcnt(1)
	v_sub_f32_e32 v65, v129, v65
	s_waitcnt vmcnt(0)
	v_sub_f32_e32 v64, v130, v64
	buffer_store_dword v65, off, s[0:3], 0 offset:112
	buffer_store_dword v64, off, s[0:3], 0 offset:116
	v_cmpx_lt_u32_e32 13, v0
	s_cbranch_execz .LBB30_173
; %bb.172:
	s_clause 0x1
	buffer_load_dword v64, off, s[0:3], 0 offset:104
	buffer_load_dword v65, off, s[0:3], 0 offset:108
	v_mov_b32_e32 v66, 0
	buffer_store_dword v66, off, s[0:3], 0 offset:104
	buffer_store_dword v66, off, s[0:3], 0 offset:108
	s_waitcnt vmcnt(0)
	ds_write_b64 v63, v[64:65]
.LBB30_173:
	s_or_b32 exec_lo, exec_lo, s4
	s_waitcnt lgkmcnt(0)
	s_waitcnt_vscnt null, 0x0
	s_barrier
	buffer_gl0_inv
	s_clause 0x23
	buffer_load_dword v99, off, s[0:3], 0 offset:116
	buffer_load_dword v100, off, s[0:3], 0 offset:124
	;; [unrolled: 1-line block ×36, first 2 shown]
	v_mov_b32_e32 v64, 0
	ds_read_b128 v[65:68], v64 offset:368
	ds_read_b128 v[69:72], v64 offset:384
	;; [unrolled: 1-line block ×8, first 2 shown]
	ds_read_b64 v[97:98], v64 offset:496
	s_mov_b32 s4, exec_lo
	s_waitcnt vmcnt(35) lgkmcnt(8)
	v_mul_f32_e32 v135, v65, v99
	v_mul_f32_e32 v99, v66, v99
	s_waitcnt vmcnt(34)
	v_mul_f32_e32 v136, v67, v100
	v_mul_f32_e32 v100, v68, v100
	s_waitcnt vmcnt(33) lgkmcnt(7)
	v_mul_f32_e32 v137, v69, v101
	s_waitcnt vmcnt(32)
	v_mul_f32_e32 v138, v71, v102
	s_waitcnt vmcnt(31) lgkmcnt(6)
	v_mul_f32_e32 v139, v73, v103
	s_waitcnt vmcnt(30)
	;; [unrolled: 4-line block ×7, first 2 shown]
	v_fma_f32 v65, v65, v116, -v99
	v_fmac_f32_e32 v135, v66, v116
	v_mul_f32_e32 v66, v70, v101
	s_waitcnt vmcnt(17)
	v_fma_f32 v67, v67, v117, -v100
	v_fmac_f32_e32 v136, v68, v117
	v_add_f32_e32 v65, 0, v65
	v_add_f32_e32 v68, 0, v135
	v_mul_f32_e32 v99, v72, v102
	s_waitcnt vmcnt(16)
	v_fma_f32 v66, v69, v118, -v66
	v_fmac_f32_e32 v137, v70, v118
	v_add_f32_e32 v65, v65, v67
	v_add_f32_e32 v67, v68, v136
	;; [unrolled: 6-line block ×13, first 2 shown]
	v_mul_f32_e32 v69, v96, v114
	s_waitcnt vmcnt(4)
	v_fma_f32 v67, v93, v130, -v67
	v_mul_f32_e32 v150, v95, v114
	v_add_f32_e32 v65, v65, v68
	v_fmac_f32_e32 v149, v94, v130
	v_add_f32_e32 v66, v66, v148
	s_waitcnt lgkmcnt(0)
	v_mul_f32_e32 v68, v98, v115
	s_waitcnt vmcnt(3)
	v_fma_f32 v69, v95, v131, -v69
	v_add_f32_e32 v65, v65, v67
	v_mul_f32_e32 v151, v97, v115
	v_fmac_f32_e32 v150, v96, v131
	v_add_f32_e32 v66, v66, v149
	s_waitcnt vmcnt(2)
	v_fma_f32 v67, v97, v132, -v68
	v_add_f32_e32 v65, v65, v69
	v_fmac_f32_e32 v151, v98, v132
	v_add_f32_e32 v66, v66, v150
	v_add_f32_e32 v65, v65, v67
	;; [unrolled: 1-line block ×3, first 2 shown]
	s_waitcnt vmcnt(1)
	v_sub_f32_e32 v65, v133, v65
	s_waitcnt vmcnt(0)
	v_sub_f32_e32 v66, v134, v66
	buffer_store_dword v65, off, s[0:3], 0 offset:104
	buffer_store_dword v66, off, s[0:3], 0 offset:108
	v_cmpx_lt_u32_e32 12, v0
	s_cbranch_execz .LBB30_175
; %bb.174:
	s_clause 0x1
	buffer_load_dword v65, off, s[0:3], 0 offset:96
	buffer_load_dword v66, off, s[0:3], 0 offset:100
	buffer_store_dword v64, off, s[0:3], 0 offset:96
	buffer_store_dword v64, off, s[0:3], 0 offset:100
	s_waitcnt vmcnt(0)
	ds_write_b64 v63, v[65:66]
.LBB30_175:
	s_or_b32 exec_lo, exec_lo, s4
	s_waitcnt lgkmcnt(0)
	s_waitcnt_vscnt null, 0x0
	s_barrier
	buffer_gl0_inv
	s_clause 0x25
	buffer_load_dword v101, off, s[0:3], 0 offset:108
	buffer_load_dword v102, off, s[0:3], 0 offset:116
	;; [unrolled: 1-line block ×38, first 2 shown]
	ds_read2_b64 v[65:68], v64 offset0:45 offset1:46
	ds_read2_b64 v[69:72], v64 offset0:47 offset1:48
	;; [unrolled: 1-line block ×9, first 2 shown]
	s_mov_b32 s4, exec_lo
	s_waitcnt vmcnt(37) lgkmcnt(8)
	v_mul_f32_e32 v64, v65, v101
	v_mul_f32_e32 v101, v66, v101
	s_waitcnt vmcnt(36)
	v_mul_f32_e32 v139, v67, v102
	v_mul_f32_e32 v102, v68, v102
	s_waitcnt vmcnt(35) lgkmcnt(7)
	v_mul_f32_e32 v140, v69, v103
	s_waitcnt vmcnt(34)
	v_mul_f32_e32 v141, v71, v104
	s_waitcnt vmcnt(33) lgkmcnt(6)
	v_mul_f32_e32 v142, v73, v105
	s_waitcnt vmcnt(32)
	;; [unrolled: 4-line block ×7, first 2 shown]
	v_mul_f32_e32 v153, v95, v116
	s_waitcnt vmcnt(19)
	v_fma_f32 v65, v65, v119, -v101
	v_fmac_f32_e32 v64, v66, v119
	v_mul_f32_e32 v66, v70, v103
	s_waitcnt vmcnt(18)
	v_fma_f32 v67, v67, v120, -v102
	v_fmac_f32_e32 v139, v68, v120
	v_add_f32_e32 v65, 0, v65
	v_add_f32_e32 v64, 0, v64
	v_mul_f32_e32 v68, v72, v104
	s_waitcnt vmcnt(17)
	v_fma_f32 v66, v69, v121, -v66
	v_fmac_f32_e32 v140, v70, v121
	v_add_f32_e32 v65, v65, v67
	v_add_f32_e32 v64, v64, v139
	;; [unrolled: 6-line block ×14, first 2 shown]
	s_waitcnt lgkmcnt(0)
	v_mul_f32_e32 v67, v98, v117
	s_waitcnt vmcnt(4)
	v_fma_f32 v68, v95, v134, -v68
	v_mul_f32_e32 v154, v97, v117
	v_add_f32_e32 v65, v65, v66
	v_fmac_f32_e32 v153, v96, v134
	v_add_f32_e32 v64, v64, v152
	v_mul_f32_e32 v66, v100, v118
	s_waitcnt vmcnt(3)
	v_fma_f32 v67, v97, v135, -v67
	v_add_f32_e32 v65, v65, v68
	v_mul_f32_e32 v155, v99, v118
	v_fmac_f32_e32 v154, v98, v135
	v_add_f32_e32 v64, v64, v153
	s_waitcnt vmcnt(2)
	v_fma_f32 v66, v99, v136, -v66
	v_add_f32_e32 v65, v65, v67
	v_fmac_f32_e32 v155, v100, v136
	v_add_f32_e32 v64, v64, v154
	v_add_f32_e32 v65, v65, v66
	;; [unrolled: 1-line block ×3, first 2 shown]
	s_waitcnt vmcnt(1)
	v_sub_f32_e32 v65, v137, v65
	s_waitcnt vmcnt(0)
	v_sub_f32_e32 v64, v138, v64
	buffer_store_dword v65, off, s[0:3], 0 offset:96
	buffer_store_dword v64, off, s[0:3], 0 offset:100
	v_cmpx_lt_u32_e32 11, v0
	s_cbranch_execz .LBB30_177
; %bb.176:
	s_clause 0x1
	buffer_load_dword v64, off, s[0:3], 0 offset:88
	buffer_load_dword v65, off, s[0:3], 0 offset:92
	v_mov_b32_e32 v66, 0
	buffer_store_dword v66, off, s[0:3], 0 offset:88
	buffer_store_dword v66, off, s[0:3], 0 offset:92
	s_waitcnt vmcnt(0)
	ds_write_b64 v63, v[64:65]
.LBB30_177:
	s_or_b32 exec_lo, exec_lo, s4
	s_waitcnt lgkmcnt(0)
	s_waitcnt_vscnt null, 0x0
	s_barrier
	buffer_gl0_inv
	s_clause 0x27
	buffer_load_dword v103, off, s[0:3], 0 offset:100
	buffer_load_dword v104, off, s[0:3], 0 offset:108
	;; [unrolled: 1-line block ×40, first 2 shown]
	v_mov_b32_e32 v64, 0
	ds_read_b128 v[65:68], v64 offset:352
	ds_read_b128 v[69:72], v64 offset:368
	;; [unrolled: 1-line block ×9, first 2 shown]
	ds_read_b64 v[101:102], v64 offset:496
	s_mov_b32 s4, exec_lo
	s_waitcnt vmcnt(39) lgkmcnt(9)
	v_mul_f32_e32 v143, v65, v103
	v_mul_f32_e32 v103, v66, v103
	s_waitcnt vmcnt(38)
	v_mul_f32_e32 v144, v67, v104
	v_mul_f32_e32 v104, v68, v104
	s_waitcnt vmcnt(37) lgkmcnt(8)
	v_mul_f32_e32 v145, v69, v105
	s_waitcnt vmcnt(36)
	v_mul_f32_e32 v146, v71, v106
	s_waitcnt vmcnt(35) lgkmcnt(7)
	v_mul_f32_e32 v147, v73, v107
	s_waitcnt vmcnt(34)
	;; [unrolled: 4-line block ×8, first 2 shown]
	v_fma_f32 v65, v65, v122, -v103
	v_fmac_f32_e32 v143, v66, v122
	v_mul_f32_e32 v66, v70, v105
	s_waitcnt vmcnt(19)
	v_fma_f32 v67, v67, v123, -v104
	v_fmac_f32_e32 v144, v68, v123
	v_add_f32_e32 v65, 0, v65
	v_add_f32_e32 v68, 0, v143
	v_mul_f32_e32 v103, v72, v106
	s_waitcnt vmcnt(18)
	v_fma_f32 v66, v69, v124, -v66
	v_fmac_f32_e32 v145, v70, v124
	v_add_f32_e32 v65, v65, v67
	v_add_f32_e32 v67, v68, v144
	;; [unrolled: 6-line block ×15, first 2 shown]
	v_mul_f32_e32 v67, v100, v120
	s_waitcnt vmcnt(4)
	v_fma_f32 v68, v97, v138, -v68
	v_mul_f32_e32 v160, v99, v120
	v_add_f32_e32 v65, v65, v69
	v_fmac_f32_e32 v159, v98, v138
	v_add_f32_e32 v66, v66, v158
	s_waitcnt lgkmcnt(0)
	v_mul_f32_e32 v69, v102, v121
	s_waitcnt vmcnt(3)
	v_fma_f32 v67, v99, v139, -v67
	v_add_f32_e32 v65, v65, v68
	v_mul_f32_e32 v161, v101, v121
	v_fmac_f32_e32 v160, v100, v139
	v_add_f32_e32 v66, v66, v159
	s_waitcnt vmcnt(2)
	v_fma_f32 v68, v101, v140, -v69
	v_add_f32_e32 v65, v65, v67
	v_fmac_f32_e32 v161, v102, v140
	v_add_f32_e32 v66, v66, v160
	v_add_f32_e32 v65, v65, v68
	;; [unrolled: 1-line block ×3, first 2 shown]
	s_waitcnt vmcnt(1)
	v_sub_f32_e32 v65, v141, v65
	s_waitcnt vmcnt(0)
	v_sub_f32_e32 v66, v142, v66
	buffer_store_dword v65, off, s[0:3], 0 offset:88
	buffer_store_dword v66, off, s[0:3], 0 offset:92
	v_cmpx_lt_u32_e32 10, v0
	s_cbranch_execz .LBB30_179
; %bb.178:
	s_clause 0x1
	buffer_load_dword v65, off, s[0:3], 0 offset:80
	buffer_load_dword v66, off, s[0:3], 0 offset:84
	buffer_store_dword v64, off, s[0:3], 0 offset:80
	buffer_store_dword v64, off, s[0:3], 0 offset:84
	s_waitcnt vmcnt(0)
	ds_write_b64 v63, v[65:66]
.LBB30_179:
	s_or_b32 exec_lo, exec_lo, s4
	s_waitcnt lgkmcnt(0)
	s_waitcnt_vscnt null, 0x0
	s_barrier
	buffer_gl0_inv
	s_clause 0x29
	buffer_load_dword v105, off, s[0:3], 0 offset:92
	buffer_load_dword v106, off, s[0:3], 0 offset:100
	;; [unrolled: 1-line block ×42, first 2 shown]
	ds_read2_b64 v[65:68], v64 offset0:43 offset1:44
	ds_read2_b64 v[69:72], v64 offset0:45 offset1:46
	;; [unrolled: 1-line block ×10, first 2 shown]
	s_mov_b32 s4, exec_lo
	s_waitcnt vmcnt(41) lgkmcnt(9)
	v_mul_f32_e32 v64, v65, v105
	v_mul_f32_e32 v105, v66, v105
	s_waitcnt vmcnt(40)
	v_mul_f32_e32 v147, v67, v106
	v_mul_f32_e32 v106, v68, v106
	s_waitcnt vmcnt(39) lgkmcnt(8)
	v_mul_f32_e32 v148, v69, v107
	s_waitcnt vmcnt(38)
	v_mul_f32_e32 v149, v71, v108
	s_waitcnt vmcnt(37) lgkmcnt(7)
	v_mul_f32_e32 v150, v73, v109
	s_waitcnt vmcnt(36)
	;; [unrolled: 4-line block ×8, first 2 shown]
	v_mul_f32_e32 v163, v99, v122
	s_waitcnt vmcnt(21)
	v_fma_f32 v65, v65, v125, -v105
	v_fmac_f32_e32 v64, v66, v125
	v_mul_f32_e32 v66, v70, v107
	s_waitcnt vmcnt(20)
	v_fma_f32 v67, v67, v126, -v106
	v_fmac_f32_e32 v147, v68, v126
	v_add_f32_e32 v65, 0, v65
	v_add_f32_e32 v64, 0, v64
	v_mul_f32_e32 v68, v72, v108
	s_waitcnt vmcnt(19)
	v_fma_f32 v66, v69, v127, -v66
	v_fmac_f32_e32 v148, v70, v127
	v_add_f32_e32 v65, v65, v67
	v_add_f32_e32 v64, v64, v147
	;; [unrolled: 6-line block ×16, first 2 shown]
	s_waitcnt lgkmcnt(0)
	v_mul_f32_e32 v68, v102, v123
	s_waitcnt vmcnt(4)
	v_fma_f32 v66, v99, v142, -v66
	v_mul_f32_e32 v164, v101, v123
	v_add_f32_e32 v65, v65, v67
	v_fmac_f32_e32 v163, v100, v142
	v_add_f32_e32 v64, v64, v162
	v_mul_f32_e32 v67, v104, v124
	s_waitcnt vmcnt(3)
	v_fma_f32 v68, v101, v143, -v68
	v_add_f32_e32 v65, v65, v66
	v_mul_f32_e32 v165, v103, v124
	v_fmac_f32_e32 v164, v102, v143
	v_add_f32_e32 v64, v64, v163
	s_waitcnt vmcnt(2)
	v_fma_f32 v66, v103, v144, -v67
	v_add_f32_e32 v65, v65, v68
	v_fmac_f32_e32 v165, v104, v144
	v_add_f32_e32 v64, v64, v164
	v_add_f32_e32 v65, v65, v66
	;; [unrolled: 1-line block ×3, first 2 shown]
	s_waitcnt vmcnt(1)
	v_sub_f32_e32 v65, v145, v65
	s_waitcnt vmcnt(0)
	v_sub_f32_e32 v64, v146, v64
	buffer_store_dword v65, off, s[0:3], 0 offset:80
	buffer_store_dword v64, off, s[0:3], 0 offset:84
	v_cmpx_lt_u32_e32 9, v0
	s_cbranch_execz .LBB30_181
; %bb.180:
	s_clause 0x1
	buffer_load_dword v64, off, s[0:3], 0 offset:72
	buffer_load_dword v65, off, s[0:3], 0 offset:76
	v_mov_b32_e32 v66, 0
	buffer_store_dword v66, off, s[0:3], 0 offset:72
	buffer_store_dword v66, off, s[0:3], 0 offset:76
	s_waitcnt vmcnt(0)
	ds_write_b64 v63, v[64:65]
.LBB30_181:
	s_or_b32 exec_lo, exec_lo, s4
	s_waitcnt lgkmcnt(0)
	s_waitcnt_vscnt null, 0x0
	s_barrier
	buffer_gl0_inv
	s_clause 0x2b
	buffer_load_dword v107, off, s[0:3], 0 offset:84
	buffer_load_dword v108, off, s[0:3], 0 offset:92
	buffer_load_dword v109, off, s[0:3], 0 offset:100
	buffer_load_dword v110, off, s[0:3], 0 offset:108
	buffer_load_dword v111, off, s[0:3], 0 offset:116
	buffer_load_dword v112, off, s[0:3], 0 offset:124
	buffer_load_dword v113, off, s[0:3], 0 offset:132
	buffer_load_dword v114, off, s[0:3], 0 offset:140
	buffer_load_dword v115, off, s[0:3], 0 offset:148
	buffer_load_dword v116, off, s[0:3], 0 offset:156
	buffer_load_dword v117, off, s[0:3], 0 offset:164
	buffer_load_dword v118, off, s[0:3], 0 offset:172
	buffer_load_dword v119, off, s[0:3], 0 offset:180
	buffer_load_dword v120, off, s[0:3], 0 offset:188
	buffer_load_dword v121, off, s[0:3], 0 offset:196
	buffer_load_dword v122, off, s[0:3], 0 offset:204
	buffer_load_dword v123, off, s[0:3], 0 offset:212
	buffer_load_dword v124, off, s[0:3], 0 offset:220
	buffer_load_dword v125, off, s[0:3], 0 offset:228
	buffer_load_dword v126, off, s[0:3], 0 offset:236
	buffer_load_dword v127, off, s[0:3], 0 offset:244
	buffer_load_dword v128, off, s[0:3], 0 offset:80
	buffer_load_dword v129, off, s[0:3], 0 offset:88
	buffer_load_dword v130, off, s[0:3], 0 offset:96
	buffer_load_dword v131, off, s[0:3], 0 offset:104
	buffer_load_dword v132, off, s[0:3], 0 offset:112
	buffer_load_dword v133, off, s[0:3], 0 offset:120
	buffer_load_dword v134, off, s[0:3], 0 offset:128
	buffer_load_dword v135, off, s[0:3], 0 offset:136
	buffer_load_dword v136, off, s[0:3], 0 offset:144
	buffer_load_dword v137, off, s[0:3], 0 offset:152
	buffer_load_dword v138, off, s[0:3], 0 offset:160
	buffer_load_dword v139, off, s[0:3], 0 offset:168
	buffer_load_dword v140, off, s[0:3], 0 offset:176
	buffer_load_dword v141, off, s[0:3], 0 offset:184
	buffer_load_dword v142, off, s[0:3], 0 offset:192
	buffer_load_dword v143, off, s[0:3], 0 offset:200
	buffer_load_dword v144, off, s[0:3], 0 offset:208
	buffer_load_dword v145, off, s[0:3], 0 offset:216
	buffer_load_dword v146, off, s[0:3], 0 offset:224
	buffer_load_dword v147, off, s[0:3], 0 offset:232
	buffer_load_dword v148, off, s[0:3], 0 offset:240
	buffer_load_dword v149, off, s[0:3], 0 offset:72
	buffer_load_dword v150, off, s[0:3], 0 offset:76
	v_mov_b32_e32 v64, 0
	ds_read_b128 v[65:68], v64 offset:336
	ds_read_b128 v[69:72], v64 offset:352
	;; [unrolled: 1-line block ×10, first 2 shown]
	ds_read_b64 v[105:106], v64 offset:496
	s_mov_b32 s4, exec_lo
	s_waitcnt vmcnt(43) lgkmcnt(10)
	v_mul_f32_e32 v151, v65, v107
	v_mul_f32_e32 v107, v66, v107
	s_waitcnt vmcnt(42)
	v_mul_f32_e32 v152, v67, v108
	v_mul_f32_e32 v108, v68, v108
	s_waitcnt vmcnt(41) lgkmcnt(9)
	v_mul_f32_e32 v153, v69, v109
	s_waitcnt vmcnt(40)
	v_mul_f32_e32 v154, v71, v110
	s_waitcnt vmcnt(39) lgkmcnt(8)
	v_mul_f32_e32 v155, v73, v111
	s_waitcnt vmcnt(38)
	;; [unrolled: 4-line block ×9, first 2 shown]
	v_fma_f32 v65, v65, v128, -v107
	v_fmac_f32_e32 v151, v66, v128
	v_mul_f32_e32 v66, v70, v109
	s_waitcnt vmcnt(21)
	v_fma_f32 v67, v67, v129, -v108
	v_fmac_f32_e32 v152, v68, v129
	v_add_f32_e32 v65, 0, v65
	v_add_f32_e32 v68, 0, v151
	v_mul_f32_e32 v107, v72, v110
	s_waitcnt vmcnt(20)
	v_fma_f32 v66, v69, v130, -v66
	v_fmac_f32_e32 v153, v70, v130
	v_add_f32_e32 v65, v65, v67
	v_add_f32_e32 v67, v68, v152
	;; [unrolled: 6-line block ×17, first 2 shown]
	v_mul_f32_e32 v68, v104, v126
	s_waitcnt vmcnt(4)
	v_fma_f32 v69, v101, v146, -v69
	v_mul_f32_e32 v170, v103, v126
	v_add_f32_e32 v65, v65, v67
	v_fmac_f32_e32 v169, v102, v146
	v_add_f32_e32 v66, v66, v168
	s_waitcnt lgkmcnt(0)
	v_mul_f32_e32 v67, v106, v127
	s_waitcnt vmcnt(3)
	v_fma_f32 v68, v103, v147, -v68
	v_add_f32_e32 v65, v65, v69
	v_mul_f32_e32 v171, v105, v127
	v_fmac_f32_e32 v170, v104, v147
	v_add_f32_e32 v66, v66, v169
	s_waitcnt vmcnt(2)
	v_fma_f32 v67, v105, v148, -v67
	v_add_f32_e32 v65, v65, v68
	v_fmac_f32_e32 v171, v106, v148
	v_add_f32_e32 v66, v66, v170
	v_add_f32_e32 v65, v65, v67
	;; [unrolled: 1-line block ×3, first 2 shown]
	s_waitcnt vmcnt(1)
	v_sub_f32_e32 v65, v149, v65
	s_waitcnt vmcnt(0)
	v_sub_f32_e32 v66, v150, v66
	buffer_store_dword v65, off, s[0:3], 0 offset:72
	buffer_store_dword v66, off, s[0:3], 0 offset:76
	v_cmpx_lt_u32_e32 8, v0
	s_cbranch_execz .LBB30_183
; %bb.182:
	s_clause 0x1
	buffer_load_dword v65, off, s[0:3], 0 offset:64
	buffer_load_dword v66, off, s[0:3], 0 offset:68
	buffer_store_dword v64, off, s[0:3], 0 offset:64
	buffer_store_dword v64, off, s[0:3], 0 offset:68
	s_waitcnt vmcnt(0)
	ds_write_b64 v63, v[65:66]
.LBB30_183:
	s_or_b32 exec_lo, exec_lo, s4
	s_waitcnt lgkmcnt(0)
	s_waitcnt_vscnt null, 0x0
	s_barrier
	buffer_gl0_inv
	s_clause 0x2d
	buffer_load_dword v109, off, s[0:3], 0 offset:76
	buffer_load_dword v110, off, s[0:3], 0 offset:84
	;; [unrolled: 1-line block ×46, first 2 shown]
	ds_read2_b64 v[65:68], v64 offset0:41 offset1:42
	ds_read2_b64 v[69:72], v64 offset0:43 offset1:44
	;; [unrolled: 1-line block ×11, first 2 shown]
	s_mov_b32 s4, exec_lo
	s_waitcnt vmcnt(45) lgkmcnt(10)
	v_mul_f32_e32 v64, v65, v109
	v_mul_f32_e32 v109, v66, v109
	s_waitcnt vmcnt(44)
	v_mul_f32_e32 v155, v67, v110
	v_mul_f32_e32 v110, v68, v110
	s_waitcnt vmcnt(43) lgkmcnt(9)
	v_mul_f32_e32 v156, v69, v111
	s_waitcnt vmcnt(42)
	v_mul_f32_e32 v157, v71, v112
	s_waitcnt vmcnt(41) lgkmcnt(8)
	v_mul_f32_e32 v158, v73, v113
	s_waitcnt vmcnt(40)
	;; [unrolled: 4-line block ×9, first 2 shown]
	v_mul_f32_e32 v173, v103, v128
	s_waitcnt vmcnt(23)
	v_fma_f32 v65, v65, v131, -v109
	v_fmac_f32_e32 v64, v66, v131
	v_mul_f32_e32 v66, v70, v111
	s_waitcnt vmcnt(22)
	v_fma_f32 v67, v67, v132, -v110
	v_fmac_f32_e32 v155, v68, v132
	v_add_f32_e32 v65, 0, v65
	v_add_f32_e32 v64, 0, v64
	v_mul_f32_e32 v68, v72, v112
	s_waitcnt vmcnt(21)
	v_fma_f32 v66, v69, v133, -v66
	v_fmac_f32_e32 v156, v70, v133
	v_add_f32_e32 v65, v65, v67
	v_add_f32_e32 v64, v64, v155
	;; [unrolled: 6-line block ×18, first 2 shown]
	s_waitcnt lgkmcnt(0)
	v_mul_f32_e32 v66, v106, v129
	s_waitcnt vmcnt(4)
	v_fma_f32 v67, v103, v150, -v67
	v_mul_f32_e32 v174, v105, v129
	v_add_f32_e32 v65, v65, v68
	v_fmac_f32_e32 v173, v104, v150
	v_add_f32_e32 v64, v64, v172
	v_mul_f32_e32 v68, v108, v130
	s_waitcnt vmcnt(3)
	v_fma_f32 v66, v105, v151, -v66
	v_add_f32_e32 v65, v65, v67
	v_mul_f32_e32 v175, v107, v130
	v_fmac_f32_e32 v174, v106, v151
	v_add_f32_e32 v64, v64, v173
	s_waitcnt vmcnt(2)
	v_fma_f32 v67, v107, v152, -v68
	v_add_f32_e32 v65, v65, v66
	v_fmac_f32_e32 v175, v108, v152
	v_add_f32_e32 v64, v64, v174
	v_add_f32_e32 v65, v65, v67
	;; [unrolled: 1-line block ×3, first 2 shown]
	s_waitcnt vmcnt(1)
	v_sub_f32_e32 v65, v153, v65
	s_waitcnt vmcnt(0)
	v_sub_f32_e32 v64, v154, v64
	buffer_store_dword v65, off, s[0:3], 0 offset:64
	buffer_store_dword v64, off, s[0:3], 0 offset:68
	v_cmpx_lt_u32_e32 7, v0
	s_cbranch_execz .LBB30_185
; %bb.184:
	s_clause 0x1
	buffer_load_dword v64, off, s[0:3], 0 offset:56
	buffer_load_dword v65, off, s[0:3], 0 offset:60
	v_mov_b32_e32 v66, 0
	buffer_store_dword v66, off, s[0:3], 0 offset:56
	buffer_store_dword v66, off, s[0:3], 0 offset:60
	s_waitcnt vmcnt(0)
	ds_write_b64 v63, v[64:65]
.LBB30_185:
	s_or_b32 exec_lo, exec_lo, s4
	s_waitcnt lgkmcnt(0)
	s_waitcnt_vscnt null, 0x0
	s_barrier
	buffer_gl0_inv
	s_clause 0x2f
	buffer_load_dword v111, off, s[0:3], 0 offset:68
	buffer_load_dword v112, off, s[0:3], 0 offset:76
	;; [unrolled: 1-line block ×48, first 2 shown]
	v_mov_b32_e32 v64, 0
	ds_read_b128 v[65:68], v64 offset:320
	ds_read_b128 v[69:72], v64 offset:336
	;; [unrolled: 1-line block ×11, first 2 shown]
	ds_read_b64 v[109:110], v64 offset:496
	s_mov_b32 s4, exec_lo
	s_waitcnt vmcnt(47) lgkmcnt(11)
	v_mul_f32_e32 v159, v65, v111
	v_mul_f32_e32 v111, v66, v111
	s_waitcnt vmcnt(46)
	v_mul_f32_e32 v160, v67, v112
	v_mul_f32_e32 v112, v68, v112
	s_waitcnt vmcnt(45) lgkmcnt(10)
	v_mul_f32_e32 v161, v69, v113
	s_waitcnt vmcnt(44)
	v_mul_f32_e32 v162, v71, v114
	s_waitcnt vmcnt(43) lgkmcnt(9)
	v_mul_f32_e32 v163, v73, v115
	s_waitcnt vmcnt(42)
	;; [unrolled: 4-line block ×10, first 2 shown]
	v_fma_f32 v65, v65, v134, -v111
	v_fmac_f32_e32 v159, v66, v134
	v_mul_f32_e32 v66, v70, v113
	s_waitcnt vmcnt(23)
	v_fma_f32 v67, v67, v135, -v112
	v_fmac_f32_e32 v160, v68, v135
	v_add_f32_e32 v65, 0, v65
	v_add_f32_e32 v68, 0, v159
	v_mul_f32_e32 v111, v72, v114
	s_waitcnt vmcnt(22)
	v_fma_f32 v66, v69, v136, -v66
	v_fmac_f32_e32 v161, v70, v136
	v_add_f32_e32 v65, v65, v67
	v_add_f32_e32 v67, v68, v160
	;; [unrolled: 6-line block ×19, first 2 shown]
	v_mul_f32_e32 v69, v108, v132
	s_waitcnt vmcnt(4)
	v_fma_f32 v67, v105, v154, -v67
	v_mul_f32_e32 v180, v107, v132
	v_add_f32_e32 v65, v65, v68
	v_fmac_f32_e32 v179, v106, v154
	v_add_f32_e32 v66, v66, v178
	s_waitcnt lgkmcnt(0)
	v_mul_f32_e32 v68, v110, v133
	s_waitcnt vmcnt(3)
	v_fma_f32 v69, v107, v155, -v69
	v_add_f32_e32 v65, v65, v67
	v_mul_f32_e32 v181, v109, v133
	v_fmac_f32_e32 v180, v108, v155
	v_add_f32_e32 v66, v66, v179
	s_waitcnt vmcnt(2)
	v_fma_f32 v67, v109, v156, -v68
	v_add_f32_e32 v65, v65, v69
	v_fmac_f32_e32 v181, v110, v156
	v_add_f32_e32 v66, v66, v180
	v_add_f32_e32 v65, v65, v67
	;; [unrolled: 1-line block ×3, first 2 shown]
	s_waitcnt vmcnt(1)
	v_sub_f32_e32 v65, v157, v65
	s_waitcnt vmcnt(0)
	v_sub_f32_e32 v66, v158, v66
	buffer_store_dword v65, off, s[0:3], 0 offset:56
	buffer_store_dword v66, off, s[0:3], 0 offset:60
	v_cmpx_lt_u32_e32 6, v0
	s_cbranch_execz .LBB30_187
; %bb.186:
	s_clause 0x1
	buffer_load_dword v65, off, s[0:3], 0 offset:48
	buffer_load_dword v66, off, s[0:3], 0 offset:52
	buffer_store_dword v64, off, s[0:3], 0 offset:48
	buffer_store_dword v64, off, s[0:3], 0 offset:52
	s_waitcnt vmcnt(0)
	ds_write_b64 v63, v[65:66]
.LBB30_187:
	s_or_b32 exec_lo, exec_lo, s4
	s_waitcnt lgkmcnt(0)
	s_waitcnt_vscnt null, 0x0
	s_barrier
	buffer_gl0_inv
	s_clause 0x31
	buffer_load_dword v113, off, s[0:3], 0 offset:60
	buffer_load_dword v114, off, s[0:3], 0 offset:68
	;; [unrolled: 1-line block ×50, first 2 shown]
	ds_read2_b64 v[65:68], v64 offset0:39 offset1:40
	ds_read2_b64 v[69:72], v64 offset0:41 offset1:42
	ds_read2_b64 v[73:76], v64 offset0:43 offset1:44
	ds_read2_b64 v[77:80], v64 offset0:45 offset1:46
	ds_read2_b64 v[81:84], v64 offset0:47 offset1:48
	ds_read2_b64 v[85:88], v64 offset0:49 offset1:50
	ds_read2_b64 v[89:92], v64 offset0:51 offset1:52
	ds_read2_b64 v[93:96], v64 offset0:53 offset1:54
	ds_read2_b64 v[97:100], v64 offset0:55 offset1:56
	ds_read2_b64 v[101:104], v64 offset0:57 offset1:58
	ds_read2_b64 v[105:108], v64 offset0:59 offset1:60
	ds_read2_b64 v[109:112], v64 offset0:61 offset1:62
	s_mov_b32 s4, exec_lo
	s_waitcnt vmcnt(49) lgkmcnt(11)
	v_mul_f32_e32 v64, v65, v113
	v_mul_f32_e32 v113, v66, v113
	s_waitcnt vmcnt(48)
	v_mul_f32_e32 v163, v67, v114
	v_mul_f32_e32 v114, v68, v114
	s_waitcnt vmcnt(47) lgkmcnt(10)
	v_mul_f32_e32 v164, v69, v115
	s_waitcnt vmcnt(46)
	v_mul_f32_e32 v165, v71, v116
	s_waitcnt vmcnt(45) lgkmcnt(9)
	v_mul_f32_e32 v166, v73, v117
	s_waitcnt vmcnt(44)
	;; [unrolled: 4-line block ×10, first 2 shown]
	v_mul_f32_e32 v183, v107, v134
	s_waitcnt vmcnt(25)
	v_fma_f32 v65, v65, v137, -v113
	v_fmac_f32_e32 v64, v66, v137
	v_mul_f32_e32 v66, v70, v115
	s_waitcnt vmcnt(24)
	v_fma_f32 v67, v67, v138, -v114
	v_fmac_f32_e32 v163, v68, v138
	v_add_f32_e32 v65, 0, v65
	v_add_f32_e32 v64, 0, v64
	v_mul_f32_e32 v68, v72, v116
	s_waitcnt vmcnt(23)
	v_fma_f32 v66, v69, v139, -v66
	v_fmac_f32_e32 v164, v70, v139
	v_add_f32_e32 v65, v65, v67
	v_add_f32_e32 v64, v64, v163
	;; [unrolled: 6-line block ×20, first 2 shown]
	s_waitcnt lgkmcnt(0)
	v_mul_f32_e32 v67, v110, v135
	s_waitcnt vmcnt(4)
	v_fma_f32 v68, v107, v158, -v68
	v_mul_f32_e32 v184, v109, v135
	v_add_f32_e32 v65, v65, v66
	v_fmac_f32_e32 v183, v108, v158
	v_add_f32_e32 v64, v64, v182
	v_mul_f32_e32 v66, v112, v136
	s_waitcnt vmcnt(3)
	v_fma_f32 v67, v109, v159, -v67
	v_add_f32_e32 v65, v65, v68
	v_mul_f32_e32 v185, v111, v136
	v_fmac_f32_e32 v184, v110, v159
	v_add_f32_e32 v64, v64, v183
	s_waitcnt vmcnt(2)
	v_fma_f32 v66, v111, v160, -v66
	v_add_f32_e32 v65, v65, v67
	v_fmac_f32_e32 v185, v112, v160
	v_add_f32_e32 v64, v64, v184
	v_add_f32_e32 v65, v65, v66
	;; [unrolled: 1-line block ×3, first 2 shown]
	s_waitcnt vmcnt(1)
	v_sub_f32_e32 v65, v161, v65
	s_waitcnt vmcnt(0)
	v_sub_f32_e32 v64, v162, v64
	buffer_store_dword v65, off, s[0:3], 0 offset:48
	buffer_store_dword v64, off, s[0:3], 0 offset:52
	v_cmpx_lt_u32_e32 5, v0
	s_cbranch_execz .LBB30_189
; %bb.188:
	s_clause 0x1
	buffer_load_dword v64, off, s[0:3], 0 offset:40
	buffer_load_dword v65, off, s[0:3], 0 offset:44
	v_mov_b32_e32 v66, 0
	buffer_store_dword v66, off, s[0:3], 0 offset:40
	buffer_store_dword v66, off, s[0:3], 0 offset:44
	s_waitcnt vmcnt(0)
	ds_write_b64 v63, v[64:65]
.LBB30_189:
	s_or_b32 exec_lo, exec_lo, s4
	s_waitcnt lgkmcnt(0)
	s_waitcnt_vscnt null, 0x0
	s_barrier
	buffer_gl0_inv
	s_clause 0x33
	buffer_load_dword v115, off, s[0:3], 0 offset:52
	buffer_load_dword v116, off, s[0:3], 0 offset:60
	;; [unrolled: 1-line block ×52, first 2 shown]
	v_mov_b32_e32 v64, 0
	ds_read_b128 v[65:68], v64 offset:304
	ds_read_b128 v[69:72], v64 offset:320
	ds_read_b128 v[73:76], v64 offset:336
	ds_read_b128 v[77:80], v64 offset:352
	ds_read_b128 v[81:84], v64 offset:368
	ds_read_b128 v[85:88], v64 offset:384
	ds_read_b128 v[89:92], v64 offset:400
	ds_read_b128 v[93:96], v64 offset:416
	ds_read_b128 v[97:100], v64 offset:432
	ds_read_b128 v[101:104], v64 offset:448
	ds_read_b128 v[105:108], v64 offset:464
	ds_read_b128 v[109:112], v64 offset:480
	ds_read_b64 v[113:114], v64 offset:496
	s_mov_b32 s4, exec_lo
	s_waitcnt vmcnt(51) lgkmcnt(12)
	v_mul_f32_e32 v167, v65, v115
	v_mul_f32_e32 v115, v66, v115
	s_waitcnt vmcnt(50)
	v_mul_f32_e32 v168, v67, v116
	v_mul_f32_e32 v116, v68, v116
	s_waitcnt vmcnt(49) lgkmcnt(11)
	v_mul_f32_e32 v169, v69, v117
	s_waitcnt vmcnt(48)
	v_mul_f32_e32 v170, v71, v118
	s_waitcnt vmcnt(47) lgkmcnt(10)
	v_mul_f32_e32 v171, v73, v119
	s_waitcnt vmcnt(46)
	;; [unrolled: 4-line block ×11, first 2 shown]
	v_fma_f32 v65, v65, v140, -v115
	v_fmac_f32_e32 v167, v66, v140
	v_mul_f32_e32 v66, v70, v117
	s_waitcnt vmcnt(25)
	v_fma_f32 v67, v67, v141, -v116
	v_fmac_f32_e32 v168, v68, v141
	v_add_f32_e32 v65, 0, v65
	v_add_f32_e32 v68, 0, v167
	v_mul_f32_e32 v115, v72, v118
	s_waitcnt vmcnt(24)
	v_fma_f32 v66, v69, v142, -v66
	v_fmac_f32_e32 v169, v70, v142
	v_add_f32_e32 v65, v65, v67
	v_add_f32_e32 v67, v68, v168
	;; [unrolled: 6-line block ×21, first 2 shown]
	v_mul_f32_e32 v67, v112, v138
	s_waitcnt vmcnt(4)
	v_fma_f32 v68, v109, v162, -v68
	v_mul_f32_e32 v190, v111, v138
	v_add_f32_e32 v65, v65, v69
	v_fmac_f32_e32 v189, v110, v162
	v_add_f32_e32 v66, v66, v188
	s_waitcnt lgkmcnt(0)
	v_mul_f32_e32 v69, v114, v139
	s_waitcnt vmcnt(3)
	v_fma_f32 v67, v111, v163, -v67
	v_add_f32_e32 v65, v65, v68
	v_mul_f32_e32 v191, v113, v139
	v_fmac_f32_e32 v190, v112, v163
	v_add_f32_e32 v66, v66, v189
	s_waitcnt vmcnt(2)
	v_fma_f32 v68, v113, v164, -v69
	v_add_f32_e32 v65, v65, v67
	v_fmac_f32_e32 v191, v114, v164
	v_add_f32_e32 v66, v66, v190
	v_add_f32_e32 v65, v65, v68
	v_add_f32_e32 v66, v66, v191
	s_waitcnt vmcnt(1)
	v_sub_f32_e32 v65, v165, v65
	s_waitcnt vmcnt(0)
	v_sub_f32_e32 v66, v166, v66
	buffer_store_dword v65, off, s[0:3], 0 offset:40
	buffer_store_dword v66, off, s[0:3], 0 offset:44
	v_cmpx_lt_u32_e32 4, v0
	s_cbranch_execz .LBB30_191
; %bb.190:
	s_clause 0x1
	buffer_load_dword v65, off, s[0:3], 0 offset:32
	buffer_load_dword v66, off, s[0:3], 0 offset:36
	buffer_store_dword v64, off, s[0:3], 0 offset:32
	buffer_store_dword v64, off, s[0:3], 0 offset:36
	s_waitcnt vmcnt(0)
	ds_write_b64 v63, v[65:66]
.LBB30_191:
	s_or_b32 exec_lo, exec_lo, s4
	s_waitcnt lgkmcnt(0)
	s_waitcnt_vscnt null, 0x0
	s_barrier
	buffer_gl0_inv
	s_clause 0x35
	buffer_load_dword v117, off, s[0:3], 0 offset:44
	buffer_load_dword v118, off, s[0:3], 0 offset:52
	;; [unrolled: 1-line block ×54, first 2 shown]
	ds_read2_b64 v[65:68], v64 offset0:37 offset1:38
	ds_read2_b64 v[69:72], v64 offset0:39 offset1:40
	ds_read2_b64 v[73:76], v64 offset0:41 offset1:42
	ds_read2_b64 v[77:80], v64 offset0:43 offset1:44
	ds_read2_b64 v[81:84], v64 offset0:45 offset1:46
	ds_read2_b64 v[85:88], v64 offset0:47 offset1:48
	ds_read2_b64 v[89:92], v64 offset0:49 offset1:50
	ds_read2_b64 v[93:96], v64 offset0:51 offset1:52
	ds_read2_b64 v[97:100], v64 offset0:53 offset1:54
	ds_read2_b64 v[101:104], v64 offset0:55 offset1:56
	ds_read2_b64 v[105:108], v64 offset0:57 offset1:58
	ds_read2_b64 v[109:112], v64 offset0:59 offset1:60
	ds_read2_b64 v[113:116], v64 offset0:61 offset1:62
	s_mov_b32 s4, exec_lo
	s_waitcnt vmcnt(53) lgkmcnt(12)
	v_mul_f32_e32 v64, v65, v117
	v_mul_f32_e32 v117, v66, v117
	s_waitcnt vmcnt(52)
	v_mul_f32_e32 v171, v67, v118
	v_mul_f32_e32 v118, v68, v118
	s_waitcnt vmcnt(51) lgkmcnt(11)
	v_mul_f32_e32 v172, v69, v119
	s_waitcnt vmcnt(50)
	v_mul_f32_e32 v173, v71, v120
	s_waitcnt vmcnt(49) lgkmcnt(10)
	v_mul_f32_e32 v174, v73, v121
	s_waitcnt vmcnt(48)
	;; [unrolled: 4-line block ×11, first 2 shown]
	v_mul_f32_e32 v193, v111, v140
	s_waitcnt vmcnt(27)
	v_fma_f32 v65, v65, v143, -v117
	v_fmac_f32_e32 v64, v66, v143
	v_mul_f32_e32 v66, v70, v119
	s_waitcnt vmcnt(26)
	v_fma_f32 v67, v67, v144, -v118
	v_fmac_f32_e32 v171, v68, v144
	v_add_f32_e32 v65, 0, v65
	v_add_f32_e32 v64, 0, v64
	v_mul_f32_e32 v68, v72, v120
	s_waitcnt vmcnt(25)
	v_fma_f32 v66, v69, v145, -v66
	v_fmac_f32_e32 v172, v70, v145
	v_add_f32_e32 v65, v65, v67
	v_add_f32_e32 v64, v64, v171
	;; [unrolled: 6-line block ×22, first 2 shown]
	s_waitcnt lgkmcnt(0)
	v_mul_f32_e32 v68, v114, v141
	s_waitcnt vmcnt(4)
	v_fma_f32 v66, v111, v166, -v66
	v_mul_f32_e32 v194, v113, v141
	v_add_f32_e32 v65, v65, v67
	v_fmac_f32_e32 v193, v112, v166
	v_add_f32_e32 v64, v64, v192
	v_mul_f32_e32 v67, v116, v142
	s_waitcnt vmcnt(3)
	v_fma_f32 v68, v113, v167, -v68
	v_add_f32_e32 v65, v65, v66
	v_mul_f32_e32 v195, v115, v142
	v_fmac_f32_e32 v194, v114, v167
	v_add_f32_e32 v64, v64, v193
	s_waitcnt vmcnt(2)
	v_fma_f32 v66, v115, v168, -v67
	v_add_f32_e32 v65, v65, v68
	v_fmac_f32_e32 v195, v116, v168
	v_add_f32_e32 v64, v64, v194
	v_add_f32_e32 v65, v65, v66
	;; [unrolled: 1-line block ×3, first 2 shown]
	s_waitcnt vmcnt(1)
	v_sub_f32_e32 v65, v169, v65
	s_waitcnt vmcnt(0)
	v_sub_f32_e32 v64, v170, v64
	buffer_store_dword v65, off, s[0:3], 0 offset:32
	buffer_store_dword v64, off, s[0:3], 0 offset:36
	v_cmpx_lt_u32_e32 3, v0
	s_cbranch_execz .LBB30_193
; %bb.192:
	s_clause 0x1
	buffer_load_dword v64, off, s[0:3], 0 offset:24
	buffer_load_dword v65, off, s[0:3], 0 offset:28
	v_mov_b32_e32 v66, 0
	buffer_store_dword v66, off, s[0:3], 0 offset:24
	buffer_store_dword v66, off, s[0:3], 0 offset:28
	s_waitcnt vmcnt(0)
	ds_write_b64 v63, v[64:65]
.LBB30_193:
	s_or_b32 exec_lo, exec_lo, s4
	s_waitcnt lgkmcnt(0)
	s_waitcnt_vscnt null, 0x0
	s_barrier
	buffer_gl0_inv
	s_clause 0x37
	buffer_load_dword v119, off, s[0:3], 0 offset:36
	buffer_load_dword v120, off, s[0:3], 0 offset:44
	;; [unrolled: 1-line block ×56, first 2 shown]
	v_mov_b32_e32 v64, 0
	ds_read_b128 v[65:68], v64 offset:288
	ds_read_b128 v[69:72], v64 offset:304
	;; [unrolled: 1-line block ×13, first 2 shown]
	ds_read_b64 v[117:118], v64 offset:496
	s_mov_b32 s4, exec_lo
	s_waitcnt vmcnt(55) lgkmcnt(13)
	v_mul_f32_e32 v175, v65, v119
	v_mul_f32_e32 v119, v66, v119
	s_waitcnt vmcnt(54)
	v_mul_f32_e32 v176, v67, v120
	v_mul_f32_e32 v120, v68, v120
	s_waitcnt vmcnt(53) lgkmcnt(12)
	v_mul_f32_e32 v177, v69, v121
	s_waitcnt vmcnt(52)
	v_mul_f32_e32 v178, v71, v122
	s_waitcnt vmcnt(51) lgkmcnt(11)
	v_mul_f32_e32 v179, v73, v123
	s_waitcnt vmcnt(50)
	;; [unrolled: 4-line block ×12, first 2 shown]
	v_fma_f32 v65, v65, v146, -v119
	v_fmac_f32_e32 v175, v66, v146
	v_mul_f32_e32 v66, v70, v121
	s_waitcnt vmcnt(27)
	v_fma_f32 v67, v67, v147, -v120
	v_fmac_f32_e32 v176, v68, v147
	v_add_f32_e32 v65, 0, v65
	v_add_f32_e32 v68, 0, v175
	v_mul_f32_e32 v119, v72, v122
	s_waitcnt vmcnt(26)
	v_fma_f32 v66, v69, v148, -v66
	v_fmac_f32_e32 v177, v70, v148
	v_add_f32_e32 v65, v65, v67
	v_add_f32_e32 v67, v68, v176
	;; [unrolled: 6-line block ×23, first 2 shown]
	v_mul_f32_e32 v68, v116, v144
	s_waitcnt vmcnt(4)
	v_fma_f32 v69, v113, v170, -v69
	v_mul_f32_e32 v200, v115, v144
	v_add_f32_e32 v65, v65, v67
	v_fmac_f32_e32 v199, v114, v170
	v_add_f32_e32 v66, v66, v198
	s_waitcnt lgkmcnt(0)
	v_mul_f32_e32 v67, v118, v145
	s_waitcnt vmcnt(3)
	v_fma_f32 v68, v115, v171, -v68
	v_add_f32_e32 v65, v65, v69
	v_mul_f32_e32 v201, v117, v145
	v_fmac_f32_e32 v200, v116, v171
	v_add_f32_e32 v66, v66, v199
	s_waitcnt vmcnt(2)
	v_fma_f32 v67, v117, v172, -v67
	v_add_f32_e32 v65, v65, v68
	v_fmac_f32_e32 v201, v118, v172
	v_add_f32_e32 v66, v66, v200
	v_add_f32_e32 v65, v65, v67
	;; [unrolled: 1-line block ×3, first 2 shown]
	s_waitcnt vmcnt(1)
	v_sub_f32_e32 v65, v173, v65
	s_waitcnt vmcnt(0)
	v_sub_f32_e32 v66, v174, v66
	buffer_store_dword v65, off, s[0:3], 0 offset:24
	buffer_store_dword v66, off, s[0:3], 0 offset:28
	v_cmpx_lt_u32_e32 2, v0
	s_cbranch_execz .LBB30_195
; %bb.194:
	s_clause 0x1
	buffer_load_dword v65, off, s[0:3], 0 offset:16
	buffer_load_dword v66, off, s[0:3], 0 offset:20
	buffer_store_dword v64, off, s[0:3], 0 offset:16
	buffer_store_dword v64, off, s[0:3], 0 offset:20
	s_waitcnt vmcnt(0)
	ds_write_b64 v63, v[65:66]
.LBB30_195:
	s_or_b32 exec_lo, exec_lo, s4
	s_waitcnt lgkmcnt(0)
	s_waitcnt_vscnt null, 0x0
	s_barrier
	buffer_gl0_inv
	s_clause 0x39
	buffer_load_dword v121, off, s[0:3], 0 offset:28
	buffer_load_dword v122, off, s[0:3], 0 offset:36
	;; [unrolled: 1-line block ×58, first 2 shown]
	ds_read2_b64 v[65:68], v64 offset0:35 offset1:36
	ds_read2_b64 v[69:72], v64 offset0:37 offset1:38
	;; [unrolled: 1-line block ×14, first 2 shown]
	s_mov_b32 s4, exec_lo
	s_waitcnt vmcnt(57) lgkmcnt(13)
	v_mul_f32_e32 v64, v65, v121
	v_mul_f32_e32 v121, v66, v121
	s_waitcnt vmcnt(56)
	v_mul_f32_e32 v179, v67, v122
	v_mul_f32_e32 v122, v68, v122
	s_waitcnt vmcnt(55) lgkmcnt(12)
	v_mul_f32_e32 v180, v69, v123
	s_waitcnt vmcnt(54)
	v_mul_f32_e32 v181, v71, v124
	s_waitcnt vmcnt(53) lgkmcnt(11)
	v_mul_f32_e32 v182, v73, v125
	s_waitcnt vmcnt(52)
	;; [unrolled: 4-line block ×12, first 2 shown]
	v_mul_f32_e32 v203, v115, v146
	s_waitcnt vmcnt(29)
	v_fma_f32 v65, v65, v149, -v121
	v_fmac_f32_e32 v64, v66, v149
	v_mul_f32_e32 v66, v70, v123
	s_waitcnt vmcnt(28)
	v_fma_f32 v67, v67, v150, -v122
	v_fmac_f32_e32 v179, v68, v150
	v_add_f32_e32 v65, 0, v65
	v_add_f32_e32 v64, 0, v64
	v_mul_f32_e32 v68, v72, v124
	s_waitcnt vmcnt(27)
	v_fma_f32 v66, v69, v151, -v66
	v_fmac_f32_e32 v180, v70, v151
	v_add_f32_e32 v65, v65, v67
	v_add_f32_e32 v64, v64, v179
	;; [unrolled: 6-line block ×24, first 2 shown]
	s_waitcnt lgkmcnt(0)
	v_mul_f32_e32 v66, v118, v147
	s_waitcnt vmcnt(4)
	v_fma_f32 v67, v115, v174, -v67
	v_mul_f32_e32 v204, v117, v147
	v_add_f32_e32 v65, v65, v68
	v_fmac_f32_e32 v203, v116, v174
	v_add_f32_e32 v64, v64, v202
	v_mul_f32_e32 v68, v120, v148
	s_waitcnt vmcnt(3)
	v_fma_f32 v66, v117, v175, -v66
	v_add_f32_e32 v65, v65, v67
	v_mul_f32_e32 v205, v119, v148
	v_fmac_f32_e32 v204, v118, v175
	v_add_f32_e32 v64, v64, v203
	s_waitcnt vmcnt(2)
	v_fma_f32 v67, v119, v176, -v68
	v_add_f32_e32 v65, v65, v66
	v_fmac_f32_e32 v205, v120, v176
	v_add_f32_e32 v64, v64, v204
	v_add_f32_e32 v65, v65, v67
	;; [unrolled: 1-line block ×3, first 2 shown]
	s_waitcnt vmcnt(1)
	v_sub_f32_e32 v65, v177, v65
	s_waitcnt vmcnt(0)
	v_sub_f32_e32 v64, v178, v64
	buffer_store_dword v65, off, s[0:3], 0 offset:16
	buffer_store_dword v64, off, s[0:3], 0 offset:20
	v_cmpx_lt_u32_e32 1, v0
	s_cbranch_execz .LBB30_197
; %bb.196:
	s_clause 0x1
	buffer_load_dword v64, off, s[0:3], 0 offset:8
	buffer_load_dword v65, off, s[0:3], 0 offset:12
	v_mov_b32_e32 v66, 0
	buffer_store_dword v66, off, s[0:3], 0 offset:8
	buffer_store_dword v66, off, s[0:3], 0 offset:12
	s_waitcnt vmcnt(0)
	ds_write_b64 v63, v[64:65]
.LBB30_197:
	s_or_b32 exec_lo, exec_lo, s4
	s_waitcnt lgkmcnt(0)
	s_waitcnt_vscnt null, 0x0
	s_barrier
	buffer_gl0_inv
	s_clause 0x3b
	buffer_load_dword v123, off, s[0:3], 0 offset:20
	buffer_load_dword v124, off, s[0:3], 0 offset:28
	;; [unrolled: 1-line block ×60, first 2 shown]
	v_mov_b32_e32 v64, 0
	ds_read_b128 v[65:68], v64 offset:272
	ds_read_b128 v[69:72], v64 offset:288
	;; [unrolled: 1-line block ×14, first 2 shown]
	ds_read_b64 v[121:122], v64 offset:496
	s_mov_b32 s4, exec_lo
	s_waitcnt vmcnt(59) lgkmcnt(14)
	v_mul_f32_e32 v183, v65, v123
	v_mul_f32_e32 v123, v66, v123
	s_waitcnt vmcnt(58)
	v_mul_f32_e32 v184, v67, v124
	v_mul_f32_e32 v124, v68, v124
	s_waitcnt vmcnt(57) lgkmcnt(13)
	v_mul_f32_e32 v185, v69, v125
	s_waitcnt vmcnt(56)
	v_mul_f32_e32 v186, v71, v126
	s_waitcnt vmcnt(55) lgkmcnt(12)
	v_mul_f32_e32 v187, v73, v127
	s_waitcnt vmcnt(54)
	v_mul_f32_e32 v188, v75, v128
	s_waitcnt vmcnt(53) lgkmcnt(11)
	v_mul_f32_e32 v189, v77, v129
	s_waitcnt vmcnt(52)
	v_mul_f32_e32 v190, v79, v130
	s_waitcnt vmcnt(51) lgkmcnt(10)
	v_mul_f32_e32 v191, v81, v131
	s_waitcnt vmcnt(50)
	v_mul_f32_e32 v192, v83, v132
	s_waitcnt vmcnt(49) lgkmcnt(9)
	v_mul_f32_e32 v193, v85, v133
	s_waitcnt vmcnt(48)
	v_mul_f32_e32 v194, v87, v134
	s_waitcnt vmcnt(47) lgkmcnt(8)
	v_mul_f32_e32 v195, v89, v135
	s_waitcnt vmcnt(46)
	v_mul_f32_e32 v196, v91, v136
	s_waitcnt vmcnt(45) lgkmcnt(7)
	v_mul_f32_e32 v197, v93, v137
	s_waitcnt vmcnt(44)
	v_mul_f32_e32 v198, v95, v138
	s_waitcnt vmcnt(43) lgkmcnt(6)
	v_mul_f32_e32 v199, v97, v139
	s_waitcnt vmcnt(42)
	v_mul_f32_e32 v200, v99, v140
	s_waitcnt vmcnt(41) lgkmcnt(5)
	v_mul_f32_e32 v201, v101, v141
	s_waitcnt vmcnt(40)
	v_mul_f32_e32 v202, v103, v142
	s_waitcnt vmcnt(39) lgkmcnt(4)
	v_mul_f32_e32 v203, v105, v143
	s_waitcnt vmcnt(38)
	v_mul_f32_e32 v204, v107, v144
	s_waitcnt vmcnt(37) lgkmcnt(3)
	v_mul_f32_e32 v205, v109, v145
	s_waitcnt vmcnt(36)
	v_mul_f32_e32 v206, v111, v146
	s_waitcnt vmcnt(35) lgkmcnt(2)
	v_mul_f32_e32 v207, v113, v147
	s_waitcnt vmcnt(34)
	v_mul_f32_e32 v208, v115, v148
	s_waitcnt vmcnt(33) lgkmcnt(1)
	v_mul_f32_e32 v209, v117, v149
	s_waitcnt vmcnt(30)
	v_fma_f32 v65, v65, v152, -v123
	v_fmac_f32_e32 v183, v66, v152
	v_mul_f32_e32 v66, v70, v125
	s_waitcnt vmcnt(29)
	v_fma_f32 v67, v67, v153, -v124
	v_fmac_f32_e32 v184, v68, v153
	v_add_f32_e32 v65, 0, v65
	v_add_f32_e32 v68, 0, v183
	v_mul_f32_e32 v123, v72, v126
	s_waitcnt vmcnt(28)
	v_fma_f32 v66, v69, v154, -v66
	v_fmac_f32_e32 v185, v70, v154
	v_add_f32_e32 v65, v65, v67
	v_add_f32_e32 v67, v68, v184
	;; [unrolled: 6-line block ×25, first 2 shown]
	v_mul_f32_e32 v69, v120, v150
	s_waitcnt vmcnt(4)
	v_fma_f32 v67, v117, v178, -v67
	v_mul_f32_e32 v210, v119, v150
	v_add_f32_e32 v65, v65, v68
	v_fmac_f32_e32 v209, v118, v178
	v_add_f32_e32 v66, v66, v208
	s_waitcnt lgkmcnt(0)
	v_mul_f32_e32 v68, v122, v151
	s_waitcnt vmcnt(3)
	v_fma_f32 v69, v119, v179, -v69
	v_add_f32_e32 v65, v65, v67
	v_mul_f32_e32 v211, v121, v151
	v_fmac_f32_e32 v210, v120, v179
	v_add_f32_e32 v66, v66, v209
	s_waitcnt vmcnt(2)
	v_fma_f32 v67, v121, v180, -v68
	v_add_f32_e32 v65, v65, v69
	v_fmac_f32_e32 v211, v122, v180
	v_add_f32_e32 v66, v66, v210
	v_add_f32_e32 v65, v65, v67
	;; [unrolled: 1-line block ×3, first 2 shown]
	s_waitcnt vmcnt(1)
	v_sub_f32_e32 v65, v181, v65
	s_waitcnt vmcnt(0)
	v_sub_f32_e32 v66, v182, v66
	buffer_store_dword v65, off, s[0:3], 0 offset:8
	buffer_store_dword v66, off, s[0:3], 0 offset:12
	v_cmpx_ne_u32_e32 0, v0
	s_cbranch_execz .LBB30_199
; %bb.198:
	s_clause 0x1
	buffer_load_dword v65, off, s[0:3], 0
	buffer_load_dword v66, off, s[0:3], 0 offset:4
	buffer_store_dword v64, off, s[0:3], 0
	buffer_store_dword v64, off, s[0:3], 0 offset:4
	s_waitcnt vmcnt(0)
	ds_write_b64 v63, v[65:66]
.LBB30_199:
	s_or_b32 exec_lo, exec_lo, s4
	s_waitcnt lgkmcnt(0)
	s_waitcnt_vscnt null, 0x0
	s_barrier
	buffer_gl0_inv
	s_clause 0x3d
	buffer_load_dword v0, off, s[0:3], 0 offset:12
	buffer_load_dword v63, off, s[0:3], 0 offset:20
	;; [unrolled: 1-line block ×60, first 2 shown]
	buffer_load_dword v183, off, s[0:3], 0
	buffer_load_dword v184, off, s[0:3], 0 offset:4
	ds_read2_b64 v[65:68], v64 offset0:33 offset1:34
	ds_read2_b64 v[69:72], v64 offset0:35 offset1:36
	ds_read2_b64 v[73:76], v64 offset0:37 offset1:38
	ds_read2_b64 v[77:80], v64 offset0:39 offset1:40
	ds_read2_b64 v[81:84], v64 offset0:41 offset1:42
	ds_read2_b64 v[85:88], v64 offset0:43 offset1:44
	ds_read2_b64 v[89:92], v64 offset0:45 offset1:46
	ds_read2_b64 v[93:96], v64 offset0:47 offset1:48
	ds_read2_b64 v[97:100], v64 offset0:49 offset1:50
	ds_read2_b64 v[101:104], v64 offset0:51 offset1:52
	ds_read2_b64 v[105:108], v64 offset0:53 offset1:54
	ds_read2_b64 v[109:112], v64 offset0:55 offset1:56
	ds_read2_b64 v[113:116], v64 offset0:57 offset1:58
	ds_read2_b64 v[117:120], v64 offset0:59 offset1:60
	ds_read2_b64 v[121:124], v64 offset0:61 offset1:62
	s_and_b32 vcc_lo, exec_lo, s22
	s_waitcnt vmcnt(61) lgkmcnt(14)
	v_mul_f32_e32 v64, v65, v0
	v_mul_f32_e32 v0, v66, v0
	s_waitcnt vmcnt(60)
	v_mul_f32_e32 v185, v67, v63
	v_mul_f32_e32 v63, v68, v63
	s_waitcnt vmcnt(59) lgkmcnt(13)
	v_mul_f32_e32 v186, v69, v125
	s_waitcnt vmcnt(58)
	v_mul_f32_e32 v187, v71, v126
	s_waitcnt vmcnt(57) lgkmcnt(12)
	v_mul_f32_e32 v188, v73, v127
	s_waitcnt vmcnt(56)
	;; [unrolled: 4-line block ×13, first 2 shown]
	v_mul_f32_e32 v211, v119, v150
	s_waitcnt vmcnt(31)
	v_fma_f32 v0, v65, v153, -v0
	v_fmac_f32_e32 v64, v66, v153
	v_mul_f32_e32 v65, v70, v125
	s_waitcnt vmcnt(30)
	v_fma_f32 v63, v67, v154, -v63
	v_fmac_f32_e32 v185, v68, v154
	v_add_f32_e32 v0, 0, v0
	v_add_f32_e32 v64, 0, v64
	v_mul_f32_e32 v66, v72, v126
	s_waitcnt vmcnt(29)
	v_fma_f32 v65, v69, v155, -v65
	v_fmac_f32_e32 v186, v70, v155
	v_add_f32_e32 v0, v0, v63
	v_add_f32_e32 v63, v64, v185
	;; [unrolled: 6-line block ×26, first 2 shown]
	s_waitcnt lgkmcnt(0)
	v_mul_f32_e32 v64, v122, v151
	s_waitcnt vmcnt(4)
	v_fma_f32 v66, v119, v180, -v66
	v_mul_f32_e32 v212, v121, v151
	v_add_f32_e32 v0, v0, v65
	v_fmac_f32_e32 v211, v120, v180
	v_add_f32_e32 v63, v63, v210
	v_mul_f32_e32 v65, v124, v152
	s_waitcnt vmcnt(3)
	v_fma_f32 v64, v121, v181, -v64
	v_add_f32_e32 v0, v0, v66
	v_mul_f32_e32 v213, v123, v152
	v_fmac_f32_e32 v212, v122, v181
	v_add_f32_e32 v63, v63, v211
	s_waitcnt vmcnt(2)
	v_fma_f32 v65, v123, v182, -v65
	v_add_f32_e32 v0, v0, v64
	v_fmac_f32_e32 v213, v124, v182
	v_add_f32_e32 v63, v63, v212
	v_add_f32_e32 v0, v0, v65
	;; [unrolled: 1-line block ×3, first 2 shown]
	s_waitcnt vmcnt(1)
	v_sub_f32_e32 v0, v183, v0
	s_waitcnt vmcnt(0)
	v_sub_f32_e32 v63, v184, v63
	buffer_store_dword v0, off, s[0:3], 0
	buffer_store_dword v63, off, s[0:3], 0 offset:4
	s_cbranch_vccz .LBB30_260
; %bb.200:
	v_mov_b32_e32 v0, 0
	global_load_dword v63, v0, s[20:21] offset:116
	s_waitcnt vmcnt(0)
	v_add_nc_u32_e32 v63, -1, v63
	v_cmp_ne_u32_e32 vcc_lo, 29, v63
	s_cbranch_vccz .LBB30_202
; %bb.201:
	v_lshlrev_b32_e32 v63, 3, v63
	s_clause 0x3
	buffer_load_dword v64, v63, s[0:3], 0 offen
	buffer_load_dword v65, v63, s[0:3], 0 offen offset:4
	buffer_load_dword v66, off, s[0:3], 0 offset:232
	buffer_load_dword v67, off, s[0:3], 0 offset:236
	s_waitcnt vmcnt(3)
	buffer_store_dword v64, off, s[0:3], 0 offset:232
	s_waitcnt vmcnt(2)
	buffer_store_dword v65, off, s[0:3], 0 offset:236
	s_waitcnt vmcnt(1)
	buffer_store_dword v66, v63, s[0:3], 0 offen
	s_waitcnt vmcnt(0)
	buffer_store_dword v67, v63, s[0:3], 0 offen offset:4
.LBB30_202:
	global_load_dword v0, v0, s[20:21] offset:112
	s_waitcnt vmcnt(0)
	v_add_nc_u32_e32 v0, -1, v0
	v_cmp_eq_u32_e32 vcc_lo, 28, v0
	s_cbranch_vccnz .LBB30_204
; %bb.203:
	v_lshlrev_b32_e32 v0, 3, v0
	s_clause 0x3
	buffer_load_dword v63, v0, s[0:3], 0 offen
	buffer_load_dword v64, v0, s[0:3], 0 offen offset:4
	buffer_load_dword v65, off, s[0:3], 0 offset:228
	buffer_load_dword v66, off, s[0:3], 0 offset:224
	s_waitcnt vmcnt(3)
	buffer_store_dword v63, off, s[0:3], 0 offset:224
	s_waitcnt vmcnt(2)
	buffer_store_dword v64, off, s[0:3], 0 offset:228
	s_waitcnt vmcnt(1)
	buffer_store_dword v65, v0, s[0:3], 0 offen offset:4
	s_waitcnt vmcnt(0)
	buffer_store_dword v66, v0, s[0:3], 0 offen
.LBB30_204:
	v_mov_b32_e32 v0, 0
	global_load_dword v63, v0, s[20:21] offset:108
	s_waitcnt vmcnt(0)
	v_add_nc_u32_e32 v63, -1, v63
	v_cmp_eq_u32_e32 vcc_lo, 27, v63
	s_cbranch_vccnz .LBB30_206
; %bb.205:
	v_lshlrev_b32_e32 v63, 3, v63
	s_clause 0x3
	buffer_load_dword v64, v63, s[0:3], 0 offen
	buffer_load_dword v65, v63, s[0:3], 0 offen offset:4
	buffer_load_dword v66, off, s[0:3], 0 offset:216
	buffer_load_dword v67, off, s[0:3], 0 offset:220
	s_waitcnt vmcnt(3)
	buffer_store_dword v64, off, s[0:3], 0 offset:216
	s_waitcnt vmcnt(2)
	buffer_store_dword v65, off, s[0:3], 0 offset:220
	s_waitcnt vmcnt(1)
	buffer_store_dword v66, v63, s[0:3], 0 offen
	s_waitcnt vmcnt(0)
	buffer_store_dword v67, v63, s[0:3], 0 offen offset:4
.LBB30_206:
	global_load_dword v0, v0, s[20:21] offset:104
	s_waitcnt vmcnt(0)
	v_add_nc_u32_e32 v0, -1, v0
	v_cmp_eq_u32_e32 vcc_lo, 26, v0
	s_cbranch_vccnz .LBB30_208
; %bb.207:
	v_lshlrev_b32_e32 v0, 3, v0
	s_clause 0x3
	buffer_load_dword v63, v0, s[0:3], 0 offen
	buffer_load_dword v64, v0, s[0:3], 0 offen offset:4
	buffer_load_dword v65, off, s[0:3], 0 offset:212
	buffer_load_dword v66, off, s[0:3], 0 offset:208
	s_waitcnt vmcnt(3)
	buffer_store_dword v63, off, s[0:3], 0 offset:208
	s_waitcnt vmcnt(2)
	buffer_store_dword v64, off, s[0:3], 0 offset:212
	s_waitcnt vmcnt(1)
	buffer_store_dword v65, v0, s[0:3], 0 offen offset:4
	s_waitcnt vmcnt(0)
	buffer_store_dword v66, v0, s[0:3], 0 offen
.LBB30_208:
	v_mov_b32_e32 v0, 0
	global_load_dword v63, v0, s[20:21] offset:100
	s_waitcnt vmcnt(0)
	v_add_nc_u32_e32 v63, -1, v63
	v_cmp_eq_u32_e32 vcc_lo, 25, v63
	s_cbranch_vccnz .LBB30_210
; %bb.209:
	v_lshlrev_b32_e32 v63, 3, v63
	s_clause 0x3
	buffer_load_dword v64, v63, s[0:3], 0 offen
	buffer_load_dword v65, v63, s[0:3], 0 offen offset:4
	buffer_load_dword v66, off, s[0:3], 0 offset:200
	buffer_load_dword v67, off, s[0:3], 0 offset:204
	s_waitcnt vmcnt(3)
	buffer_store_dword v64, off, s[0:3], 0 offset:200
	s_waitcnt vmcnt(2)
	buffer_store_dword v65, off, s[0:3], 0 offset:204
	s_waitcnt vmcnt(1)
	buffer_store_dword v66, v63, s[0:3], 0 offen
	s_waitcnt vmcnt(0)
	buffer_store_dword v67, v63, s[0:3], 0 offen offset:4
.LBB30_210:
	;; [unrolled: 43-line block ×14, first 2 shown]
	global_load_dword v0, v0, s[20:21]
	s_waitcnt vmcnt(0)
	v_add_nc_u32_e32 v0, -1, v0
	v_cmp_eq_u32_e32 vcc_lo, 0, v0
	s_cbranch_vccnz .LBB30_260
; %bb.259:
	v_lshlrev_b32_e32 v0, 3, v0
	s_clause 0x3
	buffer_load_dword v63, v0, s[0:3], 0 offen
	buffer_load_dword v64, v0, s[0:3], 0 offen offset:4
	buffer_load_dword v65, off, s[0:3], 0 offset:4
	buffer_load_dword v66, off, s[0:3], 0
	s_waitcnt vmcnt(3)
	buffer_store_dword v63, off, s[0:3], 0
	s_waitcnt vmcnt(2)
	buffer_store_dword v64, off, s[0:3], 0 offset:4
	s_waitcnt vmcnt(1)
	buffer_store_dword v65, v0, s[0:3], 0 offen offset:4
	s_waitcnt vmcnt(0)
	buffer_store_dword v66, v0, s[0:3], 0 offen
.LBB30_260:
	s_clause 0x3d
	buffer_load_dword v63, off, s[0:3], 0
	buffer_load_dword v64, off, s[0:3], 0 offset:4
	buffer_load_dword v65, off, s[0:3], 0 offset:8
	;; [unrolled: 1-line block ×61, first 2 shown]
	s_waitcnt vmcnt(60)
	global_store_dwordx2 v[51:52], v[63:64], off
	s_waitcnt vmcnt(58)
	global_store_dwordx2 v[53:54], v[65:66], off
	;; [unrolled: 2-line block ×9, first 2 shown]
	global_store_dwordx2 v[15:16], v[81:82], off
	global_store_dwordx2 v[17:18], v[83:84], off
	;; [unrolled: 1-line block ×3, first 2 shown]
	s_waitcnt vmcnt(36)
	global_store_dwordx2 v[21:22], v[87:88], off
	s_waitcnt vmcnt(34)
	global_store_dwordx2 v[23:24], v[89:90], off
	;; [unrolled: 2-line block ×19, first 2 shown]
	s_endpgm
	.section	.rodata,"a",@progbits
	.p2align	6, 0x0
	.amdhsa_kernel _ZN9rocsolver6v33100L18getri_kernel_smallILi31E19rocblas_complex_numIfEPS3_EEvT1_iilPiilS6_bb
		.amdhsa_group_segment_fixed_size 504
		.amdhsa_private_segment_fixed_size 256
		.amdhsa_kernarg_size 60
		.amdhsa_user_sgpr_count 6
		.amdhsa_user_sgpr_private_segment_buffer 1
		.amdhsa_user_sgpr_dispatch_ptr 0
		.amdhsa_user_sgpr_queue_ptr 0
		.amdhsa_user_sgpr_kernarg_segment_ptr 1
		.amdhsa_user_sgpr_dispatch_id 0
		.amdhsa_user_sgpr_flat_scratch_init 0
		.amdhsa_user_sgpr_private_segment_size 0
		.amdhsa_wavefront_size32 1
		.amdhsa_uses_dynamic_stack 0
		.amdhsa_system_sgpr_private_segment_wavefront_offset 1
		.amdhsa_system_sgpr_workgroup_id_x 1
		.amdhsa_system_sgpr_workgroup_id_y 0
		.amdhsa_system_sgpr_workgroup_id_z 0
		.amdhsa_system_sgpr_workgroup_info 0
		.amdhsa_system_vgpr_workitem_id 0
		.amdhsa_next_free_vgpr 214
		.amdhsa_next_free_sgpr 23
		.amdhsa_reserve_vcc 1
		.amdhsa_reserve_flat_scratch 0
		.amdhsa_float_round_mode_32 0
		.amdhsa_float_round_mode_16_64 0
		.amdhsa_float_denorm_mode_32 3
		.amdhsa_float_denorm_mode_16_64 3
		.amdhsa_dx10_clamp 1
		.amdhsa_ieee_mode 1
		.amdhsa_fp16_overflow 0
		.amdhsa_workgroup_processor_mode 1
		.amdhsa_memory_ordered 1
		.amdhsa_forward_progress 1
		.amdhsa_shared_vgpr_count 0
		.amdhsa_exception_fp_ieee_invalid_op 0
		.amdhsa_exception_fp_denorm_src 0
		.amdhsa_exception_fp_ieee_div_zero 0
		.amdhsa_exception_fp_ieee_overflow 0
		.amdhsa_exception_fp_ieee_underflow 0
		.amdhsa_exception_fp_ieee_inexact 0
		.amdhsa_exception_int_div_zero 0
	.end_amdhsa_kernel
	.section	.text._ZN9rocsolver6v33100L18getri_kernel_smallILi31E19rocblas_complex_numIfEPS3_EEvT1_iilPiilS6_bb,"axG",@progbits,_ZN9rocsolver6v33100L18getri_kernel_smallILi31E19rocblas_complex_numIfEPS3_EEvT1_iilPiilS6_bb,comdat
.Lfunc_end30:
	.size	_ZN9rocsolver6v33100L18getri_kernel_smallILi31E19rocblas_complex_numIfEPS3_EEvT1_iilPiilS6_bb, .Lfunc_end30-_ZN9rocsolver6v33100L18getri_kernel_smallILi31E19rocblas_complex_numIfEPS3_EEvT1_iilPiilS6_bb
                                        ; -- End function
	.set _ZN9rocsolver6v33100L18getri_kernel_smallILi31E19rocblas_complex_numIfEPS3_EEvT1_iilPiilS6_bb.num_vgpr, 214
	.set _ZN9rocsolver6v33100L18getri_kernel_smallILi31E19rocblas_complex_numIfEPS3_EEvT1_iilPiilS6_bb.num_agpr, 0
	.set _ZN9rocsolver6v33100L18getri_kernel_smallILi31E19rocblas_complex_numIfEPS3_EEvT1_iilPiilS6_bb.numbered_sgpr, 23
	.set _ZN9rocsolver6v33100L18getri_kernel_smallILi31E19rocblas_complex_numIfEPS3_EEvT1_iilPiilS6_bb.num_named_barrier, 0
	.set _ZN9rocsolver6v33100L18getri_kernel_smallILi31E19rocblas_complex_numIfEPS3_EEvT1_iilPiilS6_bb.private_seg_size, 256
	.set _ZN9rocsolver6v33100L18getri_kernel_smallILi31E19rocblas_complex_numIfEPS3_EEvT1_iilPiilS6_bb.uses_vcc, 1
	.set _ZN9rocsolver6v33100L18getri_kernel_smallILi31E19rocblas_complex_numIfEPS3_EEvT1_iilPiilS6_bb.uses_flat_scratch, 0
	.set _ZN9rocsolver6v33100L18getri_kernel_smallILi31E19rocblas_complex_numIfEPS3_EEvT1_iilPiilS6_bb.has_dyn_sized_stack, 0
	.set _ZN9rocsolver6v33100L18getri_kernel_smallILi31E19rocblas_complex_numIfEPS3_EEvT1_iilPiilS6_bb.has_recursion, 0
	.set _ZN9rocsolver6v33100L18getri_kernel_smallILi31E19rocblas_complex_numIfEPS3_EEvT1_iilPiilS6_bb.has_indirect_call, 0
	.section	.AMDGPU.csdata,"",@progbits
; Kernel info:
; codeLenInByte = 45020
; TotalNumSgprs: 25
; NumVgprs: 214
; ScratchSize: 256
; MemoryBound: 0
; FloatMode: 240
; IeeeMode: 1
; LDSByteSize: 504 bytes/workgroup (compile time only)
; SGPRBlocks: 0
; VGPRBlocks: 26
; NumSGPRsForWavesPerEU: 25
; NumVGPRsForWavesPerEU: 214
; Occupancy: 4
; WaveLimiterHint : 1
; COMPUTE_PGM_RSRC2:SCRATCH_EN: 1
; COMPUTE_PGM_RSRC2:USER_SGPR: 6
; COMPUTE_PGM_RSRC2:TRAP_HANDLER: 0
; COMPUTE_PGM_RSRC2:TGID_X_EN: 1
; COMPUTE_PGM_RSRC2:TGID_Y_EN: 0
; COMPUTE_PGM_RSRC2:TGID_Z_EN: 0
; COMPUTE_PGM_RSRC2:TIDIG_COMP_CNT: 0
	.section	.text._ZN9rocsolver6v33100L18getri_kernel_smallILi32E19rocblas_complex_numIfEPS3_EEvT1_iilPiilS6_bb,"axG",@progbits,_ZN9rocsolver6v33100L18getri_kernel_smallILi32E19rocblas_complex_numIfEPS3_EEvT1_iilPiilS6_bb,comdat
	.globl	_ZN9rocsolver6v33100L18getri_kernel_smallILi32E19rocblas_complex_numIfEPS3_EEvT1_iilPiilS6_bb ; -- Begin function _ZN9rocsolver6v33100L18getri_kernel_smallILi32E19rocblas_complex_numIfEPS3_EEvT1_iilPiilS6_bb
	.p2align	8
	.type	_ZN9rocsolver6v33100L18getri_kernel_smallILi32E19rocblas_complex_numIfEPS3_EEvT1_iilPiilS6_bb,@function
_ZN9rocsolver6v33100L18getri_kernel_smallILi32E19rocblas_complex_numIfEPS3_EEvT1_iilPiilS6_bb: ; @_ZN9rocsolver6v33100L18getri_kernel_smallILi32E19rocblas_complex_numIfEPS3_EEvT1_iilPiilS6_bb
; %bb.0:
	s_add_u32 s0, s0, s7
	s_addc_u32 s1, s1, 0
	s_mov_b32 s7, exec_lo
	v_cmpx_gt_u32_e32 32, v0
	s_cbranch_execz .LBB31_142
; %bb.1:
	s_clause 0x2
	s_load_dword s7, s[4:5], 0x38
	s_load_dwordx4 s[16:19], s[4:5], 0x10
	s_load_dwordx4 s[8:11], s[4:5], 0x28
                                        ; implicit-def: $sgpr20_sgpr21
	s_waitcnt lgkmcnt(0)
	s_bitcmp1_b32 s7, 8
	s_cselect_b32 s22, -1, 0
	s_bfe_u32 s12, s7, 0x10008
	s_ashr_i32 s7, s6, 31
	s_cmp_eq_u32 s12, 0
	s_cbranch_scc1 .LBB31_3
; %bb.2:
	s_load_dword s12, s[4:5], 0x20
	s_mul_i32 s13, s8, s7
	s_mul_hi_u32 s14, s8, s6
	s_mul_i32 s9, s9, s6
	s_add_i32 s13, s14, s13
	s_mul_i32 s8, s8, s6
	s_add_i32 s9, s13, s9
	s_lshl_b64 s[8:9], s[8:9], 2
	s_waitcnt lgkmcnt(0)
	s_ashr_i32 s13, s12, 31
	s_add_u32 s14, s18, s8
	s_addc_u32 s15, s19, s9
	s_lshl_b64 s[8:9], s[12:13], 2
	s_add_u32 s20, s14, s8
	s_addc_u32 s21, s15, s9
.LBB31_3:
	s_clause 0x1
	s_load_dwordx4 s[12:15], s[4:5], 0x0
	s_load_dword s8, s[4:5], 0x38
	s_mul_i32 s4, s16, s7
	s_mul_hi_u32 s5, s16, s6
	s_mul_i32 s9, s17, s6
	s_add_i32 s5, s5, s4
	s_mul_i32 s4, s16, s6
	s_add_i32 s5, s5, s9
	v_lshlrev_b32_e32 v67, 3, v0
	s_lshl_b64 s[4:5], s[4:5], 3
	s_waitcnt lgkmcnt(0)
	v_add3_u32 v1, s15, s15, v0
	s_ashr_i32 s17, s14, 31
	s_mov_b32 s16, s14
	s_add_u32 s9, s12, s4
	s_addc_u32 s12, s13, s5
	v_add_nc_u32_e32 v3, s15, v1
	v_ashrrev_i32_e32 v2, 31, v1
	s_lshl_b64 s[4:5], s[16:17], 3
	s_add_u32 s4, s9, s4
	v_add_nc_u32_e32 v5, s15, v3
	v_ashrrev_i32_e32 v4, 31, v3
	v_lshlrev_b64 v[1:2], 3, v[1:2]
	s_addc_u32 s5, s12, s5
	v_add_co_u32 v53, s9, s4, v67
	v_add_nc_u32_e32 v7, s15, v5
	v_ashrrev_i32_e32 v6, 31, v5
	v_lshlrev_b64 v[3:4], 3, v[3:4]
	v_add_co_u32 v1, vcc_lo, s4, v1
	v_add_nc_u32_e32 v9, s15, v7
	v_ashrrev_i32_e32 v8, 31, v7
	v_lshlrev_b64 v[5:6], 3, v[5:6]
	v_add_co_ci_u32_e64 v2, null, s5, v2, vcc_lo
	v_add_nc_u32_e32 v11, s15, v9
	v_ashrrev_i32_e32 v10, 31, v9
	v_lshlrev_b64 v[7:8], 3, v[7:8]
	v_add_co_u32 v3, vcc_lo, s4, v3
	v_add_nc_u32_e32 v13, s15, v11
	v_ashrrev_i32_e32 v12, 31, v11
	v_lshlrev_b64 v[9:10], 3, v[9:10]
	v_add_co_ci_u32_e64 v4, null, s5, v4, vcc_lo
	v_add_nc_u32_e32 v15, s15, v13
	v_ashrrev_i32_e32 v14, 31, v13
	v_add_co_u32 v5, vcc_lo, s4, v5
	v_lshlrev_b64 v[11:12], 3, v[11:12]
	v_add_nc_u32_e32 v17, s15, v15
	v_ashrrev_i32_e32 v16, 31, v15
	v_add_co_ci_u32_e64 v6, null, s5, v6, vcc_lo
	v_add_co_u32 v7, vcc_lo, s4, v7
	v_add_nc_u32_e32 v19, s15, v17
	v_ashrrev_i32_e32 v18, 31, v17
	v_lshlrev_b64 v[13:14], 3, v[13:14]
	v_add_co_ci_u32_e64 v8, null, s5, v8, vcc_lo
	v_add_nc_u32_e32 v21, s15, v19
	v_ashrrev_i32_e32 v20, 31, v19
	v_add_co_u32 v9, vcc_lo, s4, v9
	v_lshlrev_b64 v[15:16], 3, v[15:16]
	v_add_nc_u32_e32 v23, s15, v21
	v_ashrrev_i32_e32 v22, 31, v21
	v_add_co_ci_u32_e64 v10, null, s5, v10, vcc_lo
	v_add_co_u32 v11, vcc_lo, s4, v11
	v_add_nc_u32_e32 v25, s15, v23
	v_lshlrev_b64 v[17:18], 3, v[17:18]
	v_ashrrev_i32_e32 v24, 31, v23
	v_add_co_ci_u32_e64 v12, null, s5, v12, vcc_lo
	v_add_nc_u32_e32 v27, s15, v25
	v_add_co_u32 v13, vcc_lo, s4, v13
	v_lshlrev_b64 v[19:20], 3, v[19:20]
	v_ashrrev_i32_e32 v26, 31, v25
	v_add_nc_u32_e32 v29, s15, v27
	v_add_co_ci_u32_e64 v14, null, s5, v14, vcc_lo
	v_add_co_u32 v15, vcc_lo, s4, v15
	v_add_nc_u32_e32 v31, s15, v29
	v_lshlrev_b64 v[21:22], 3, v[21:22]
	v_ashrrev_i32_e32 v28, 31, v27
	v_add_co_ci_u32_e64 v16, null, s5, v16, vcc_lo
	v_add_nc_u32_e32 v33, s15, v31
	v_add_co_u32 v17, vcc_lo, s4, v17
	v_lshlrev_b64 v[23:24], 3, v[23:24]
	v_ashrrev_i32_e32 v30, 31, v29
	v_add_nc_u32_e32 v35, s15, v33
	;; [unrolled: 11-line block ×4, first 2 shown]
	v_add_co_ci_u32_e64 v26, null, s5, v26, vcc_lo
	v_add_co_u32 v27, vcc_lo, s4, v27
	v_add_nc_u32_e32 v49, s15, v47
	v_lshlrev_b64 v[33:34], 3, v[33:34]
	v_ashrrev_i32_e32 v40, 31, v39
	v_add_co_ci_u32_e64 v28, null, s5, v28, vcc_lo
	v_add_co_u32 v29, vcc_lo, s4, v29
	v_lshlrev_b64 v[35:36], 3, v[35:36]
	v_ashrrev_i32_e32 v42, 31, v41
	v_add_co_ci_u32_e64 v30, null, s5, v30, vcc_lo
	v_add_co_u32 v31, vcc_lo, s4, v31
	v_lshlrev_b64 v[37:38], 3, v[37:38]
	v_add_nc_u32_e32 v51, s15, v49
	v_ashrrev_i32_e32 v44, 31, v43
	v_add_co_ci_u32_e64 v32, null, s5, v32, vcc_lo
	v_add_co_u32 v33, vcc_lo, s4, v33
	v_lshlrev_b64 v[39:40], 3, v[39:40]
	v_ashrrev_i32_e32 v46, 31, v45
	v_add_co_ci_u32_e64 v34, null, s5, v34, vcc_lo
	v_add_co_u32 v35, vcc_lo, s4, v35
	v_lshlrev_b64 v[41:42], 3, v[41:42]
	v_ashrrev_i32_e32 v48, 31, v47
	v_add_nc_u32_e32 v57, s15, v51
	v_add_co_ci_u32_e64 v36, null, s5, v36, vcc_lo
	v_add_co_u32 v37, vcc_lo, s4, v37
	v_lshlrev_b64 v[43:44], 3, v[43:44]
	v_add_co_ci_u32_e64 v38, null, s5, v38, vcc_lo
	v_add_co_u32 v39, vcc_lo, s4, v39
	v_lshlrev_b64 v[45:46], 3, v[45:46]
	v_ashrrev_i32_e32 v50, 31, v49
	v_add_co_ci_u32_e64 v40, null, s5, v40, vcc_lo
	v_add_co_u32 v41, vcc_lo, s4, v41
	v_lshlrev_b64 v[47:48], 3, v[47:48]
	v_add_nc_u32_e32 v60, s15, v57
	v_ashrrev_i32_e32 v52, 31, v51
	v_add_co_ci_u32_e64 v42, null, s5, v42, vcc_lo
	v_add_co_u32 v43, vcc_lo, s4, v43
	v_ashrrev_i32_e32 v58, 31, v57
	v_add_co_ci_u32_e64 v44, null, s5, v44, vcc_lo
	v_add_co_u32 v45, vcc_lo, s4, v45
	v_lshlrev_b64 v[49:50], 3, v[49:50]
	s_mov_b32 s12, s15
	s_ashr_i32 s13, s15, 31
	v_add_co_ci_u32_e64 v54, null, s5, 0, s9
	v_add_nc_u32_e32 v62, s15, v60
	v_add_co_ci_u32_e64 v46, null, s5, v46, vcc_lo
	v_add_co_u32 v47, vcc_lo, s4, v47
	v_lshlrev_b64 v[51:52], 3, v[51:52]
	s_lshl_b64 s[12:13], s[12:13], 3
	v_add_co_ci_u32_e64 v48, null, s5, v48, vcc_lo
	v_add_co_u32 v55, vcc_lo, v53, s12
	v_lshlrev_b64 v[58:59], 3, v[57:58]
	v_add_co_ci_u32_e64 v56, null, s13, v54, vcc_lo
	v_add_co_u32 v49, vcc_lo, s4, v49
	v_add_nc_u32_e32 v94, s15, v62
	v_ashrrev_i32_e32 v61, 31, v60
	v_add_co_ci_u32_e64 v50, null, s5, v50, vcc_lo
	v_add_co_u32 v51, vcc_lo, s4, v51
	v_ashrrev_i32_e32 v63, 31, v62
	v_add_co_ci_u32_e64 v52, null, s5, v52, vcc_lo
	v_add_co_u32 v57, vcc_lo, s4, v58
	v_ashrrev_i32_e32 v95, 31, v94
	v_add_co_ci_u32_e64 v58, null, s5, v59, vcc_lo
	v_lshlrev_b64 v[59:60], 3, v[60:61]
	v_lshlrev_b64 v[61:62], 3, v[62:63]
	;; [unrolled: 1-line block ×3, first 2 shown]
	s_clause 0x6
	global_load_dwordx2 v[65:66], v67, s[4:5]
	global_load_dwordx2 v[68:69], v[55:56], off
	global_load_dwordx2 v[70:71], v[1:2], off
	global_load_dwordx2 v[72:73], v[3:4], off
	global_load_dwordx2 v[74:75], v[5:6], off
	global_load_dwordx2 v[76:77], v[7:8], off
	global_load_dwordx2 v[78:79], v[9:10], off
	v_add_co_u32 v59, vcc_lo, s4, v59
	v_add_co_ci_u32_e64 v60, null, s5, v60, vcc_lo
	v_add_co_u32 v61, vcc_lo, s4, v61
	v_add_co_ci_u32_e64 v62, null, s5, v62, vcc_lo
	;; [unrolled: 2-line block ×3, first 2 shown]
	s_clause 0x18
	global_load_dwordx2 v[80:81], v[11:12], off
	global_load_dwordx2 v[82:83], v[13:14], off
	;; [unrolled: 1-line block ×25, first 2 shown]
	s_mov_b32 s5, -1
	s_bitcmp0_b32 s8, 0
	s_waitcnt vmcnt(31)
	buffer_store_dword v66, off, s[0:3], 0 offset:4
	buffer_store_dword v65, off, s[0:3], 0
	s_waitcnt vmcnt(30)
	buffer_store_dword v69, off, s[0:3], 0 offset:12
	buffer_store_dword v68, off, s[0:3], 0 offset:8
	s_waitcnt vmcnt(29)
	buffer_store_dword v71, off, s[0:3], 0 offset:20
	buffer_store_dword v70, off, s[0:3], 0 offset:16
	;; [unrolled: 3-line block ×31, first 2 shown]
	s_cbranch_scc1 .LBB31_140
; %bb.4:
	v_cmp_eq_u32_e64 s4, 0, v0
	s_and_saveexec_b32 s5, s4
; %bb.5:
	v_mov_b32_e32 v65, 0
	ds_write_b32 v65, v65 offset:512
; %bb.6:
	s_or_b32 exec_lo, exec_lo, s5
	v_lshl_add_u32 v69, v0, 3, 0
	s_waitcnt lgkmcnt(0)
	s_waitcnt_vscnt null, 0x0
	s_barrier
	buffer_gl0_inv
	s_clause 0x1
	buffer_load_dword v65, v69, s[0:3], 0 offen
	buffer_load_dword v66, v69, s[0:3], 0 offen offset:4
	s_waitcnt vmcnt(1)
	v_cmp_eq_f32_e32 vcc_lo, 0, v65
	s_waitcnt vmcnt(0)
	v_cmp_eq_f32_e64 s5, 0, v66
	s_and_b32 s5, vcc_lo, s5
	s_and_saveexec_b32 s8, s5
	s_cbranch_execz .LBB31_10
; %bb.7:
	v_mov_b32_e32 v65, 0
	s_mov_b32 s9, 0
	ds_read_b32 v66, v65 offset:512
	s_waitcnt lgkmcnt(0)
	v_readfirstlane_b32 s5, v66
	v_add_nc_u32_e32 v66, 1, v0
	s_cmp_eq_u32 s5, 0
	v_cmp_gt_i32_e32 vcc_lo, s5, v66
	s_cselect_b32 s12, -1, 0
	s_or_b32 s12, s12, vcc_lo
	s_and_b32 exec_lo, exec_lo, s12
	s_cbranch_execz .LBB31_10
; %bb.8:
	v_mov_b32_e32 v68, s5
.LBB31_9:                               ; =>This Inner Loop Header: Depth=1
	ds_cmpst_rtn_b32 v68, v65, v68, v66 offset:512
	s_waitcnt lgkmcnt(0)
	v_cmp_ne_u32_e32 vcc_lo, 0, v68
	v_cmp_le_i32_e64 s5, v68, v66
	s_and_b32 s5, vcc_lo, s5
	s_and_b32 s5, exec_lo, s5
	s_or_b32 s9, s5, s9
	s_andn2_b32 exec_lo, exec_lo, s9
	s_cbranch_execnz .LBB31_9
.LBB31_10:
	s_or_b32 exec_lo, exec_lo, s8
	v_mov_b32_e32 v65, 0
	s_barrier
	buffer_gl0_inv
	ds_read_b32 v66, v65 offset:512
	s_and_saveexec_b32 s5, s4
	s_cbranch_execz .LBB31_12
; %bb.11:
	s_lshl_b64 s[8:9], s[6:7], 2
	s_add_u32 s8, s10, s8
	s_addc_u32 s9, s11, s9
	s_waitcnt lgkmcnt(0)
	global_store_dword v65, v66, s[8:9]
.LBB31_12:
	s_or_b32 exec_lo, exec_lo, s5
	s_waitcnt lgkmcnt(0)
	v_cmp_ne_u32_e32 vcc_lo, 0, v66
	s_mov_b32 s5, 0
	s_cbranch_vccnz .LBB31_140
; %bb.13:
	s_clause 0x1
	buffer_load_dword v66, v69, s[0:3], 0 offen
	buffer_load_dword v68, v69, s[0:3], 0 offen offset:4
                                        ; implicit-def: $vgpr71
                                        ; implicit-def: $vgpr70
                                        ; implicit-def: $vgpr65
	s_waitcnt vmcnt(0)
	v_cmp_ngt_f32_e64 s5, |v66|, |v68|
	s_and_saveexec_b32 s8, s5
	s_xor_b32 s5, exec_lo, s8
	s_cbranch_execz .LBB31_15
; %bb.14:
	v_div_scale_f32 v65, null, v68, v68, v66
	v_div_scale_f32 v72, vcc_lo, v66, v68, v66
	v_rcp_f32_e32 v70, v65
	v_fma_f32 v71, -v65, v70, 1.0
	v_fmac_f32_e32 v70, v71, v70
	v_mul_f32_e32 v71, v72, v70
	v_fma_f32 v73, -v65, v71, v72
	v_fmac_f32_e32 v71, v73, v70
	v_fma_f32 v65, -v65, v71, v72
	v_div_fmas_f32 v65, v65, v70, v71
	v_div_fixup_f32 v65, v65, v68, v66
	v_fmac_f32_e32 v68, v66, v65
	v_div_scale_f32 v66, null, v68, v68, 1.0
	v_rcp_f32_e32 v70, v66
	v_fma_f32 v71, -v66, v70, 1.0
	v_fmac_f32_e32 v70, v71, v70
	v_div_scale_f32 v71, vcc_lo, 1.0, v68, 1.0
	v_mul_f32_e32 v72, v71, v70
	v_fma_f32 v73, -v66, v72, v71
	v_fmac_f32_e32 v72, v73, v70
	v_fma_f32 v66, -v66, v72, v71
	v_div_fmas_f32 v66, v66, v70, v72
	v_div_fixup_f32 v66, v66, v68, 1.0
                                        ; implicit-def: $vgpr68
	v_mul_f32_e32 v71, v65, v66
	v_xor_b32_e32 v70, 0x80000000, v66
                                        ; implicit-def: $vgpr66
	v_xor_b32_e32 v65, 0x80000000, v71
.LBB31_15:
	s_andn2_saveexec_b32 s5, s5
	s_cbranch_execz .LBB31_17
; %bb.16:
	v_div_scale_f32 v65, null, v66, v66, v68
	v_div_scale_f32 v72, vcc_lo, v68, v66, v68
	v_rcp_f32_e32 v70, v65
	v_fma_f32 v71, -v65, v70, 1.0
	v_fmac_f32_e32 v70, v71, v70
	v_mul_f32_e32 v71, v72, v70
	v_fma_f32 v73, -v65, v71, v72
	v_fmac_f32_e32 v71, v73, v70
	v_fma_f32 v65, -v65, v71, v72
	v_div_fmas_f32 v65, v65, v70, v71
	v_div_fixup_f32 v70, v65, v66, v68
	v_fmac_f32_e32 v66, v68, v70
	v_div_scale_f32 v65, null, v66, v66, 1.0
	v_div_scale_f32 v72, vcc_lo, 1.0, v66, 1.0
	v_rcp_f32_e32 v68, v65
	v_fma_f32 v71, -v65, v68, 1.0
	v_fmac_f32_e32 v68, v71, v68
	v_mul_f32_e32 v71, v72, v68
	v_fma_f32 v73, -v65, v71, v72
	v_fmac_f32_e32 v71, v73, v68
	v_fma_f32 v65, -v65, v71, v72
	v_div_fmas_f32 v65, v65, v68, v71
	v_div_fixup_f32 v71, v65, v66, 1.0
	v_xor_b32_e32 v65, 0x80000000, v71
	v_mul_f32_e64 v70, v70, -v71
.LBB31_17:
	s_or_b32 exec_lo, exec_lo, s5
	buffer_store_dword v71, v69, s[0:3], 0 offen
	buffer_store_dword v70, v69, s[0:3], 0 offen offset:4
	s_clause 0x1
	buffer_load_dword v72, off, s[0:3], 0 offset:12
	buffer_load_dword v71, off, s[0:3], 0 offset:8
	v_xor_b32_e32 v66, 0x80000000, v70
	v_add_nc_u32_e32 v68, 0x100, v67
	s_waitcnt vmcnt(0)
	ds_write2_b64 v67, v[65:66], v[71:72] offset1:32
	s_waitcnt lgkmcnt(0)
	s_waitcnt_vscnt null, 0x0
	s_barrier
	buffer_gl0_inv
	s_and_saveexec_b32 s5, s4
	s_cbranch_execz .LBB31_19
; %bb.18:
	s_clause 0x1
	buffer_load_dword v72, v69, s[0:3], 0 offen offset:4
	buffer_load_dword v73, v69, s[0:3], 0 offen
	ds_read_b64 v[65:66], v68
	v_mov_b32_e32 v70, 0
	ds_read_b64 v[70:71], v70 offset:8
	s_waitcnt vmcnt(1) lgkmcnt(1)
	v_mul_f32_e32 v74, v65, v72
	v_mul_f32_e32 v72, v66, v72
	s_waitcnt vmcnt(0)
	v_fmac_f32_e32 v74, v66, v73
	v_fma_f32 v65, v65, v73, -v72
	v_add_f32_e32 v66, 0, v74
	v_add_f32_e32 v65, 0, v65
	s_waitcnt lgkmcnt(0)
	v_mul_f32_e32 v72, v66, v71
	v_mul_f32_e32 v71, v65, v71
	v_fma_f32 v65, v65, v70, -v72
	v_fmac_f32_e32 v71, v66, v70
	buffer_store_dword v65, off, s[0:3], 0 offset:8
	buffer_store_dword v71, off, s[0:3], 0 offset:12
.LBB31_19:
	s_or_b32 exec_lo, exec_lo, s5
	s_waitcnt_vscnt null, 0x0
	s_barrier
	buffer_gl0_inv
	s_clause 0x1
	buffer_load_dword v65, off, s[0:3], 0 offset:16
	buffer_load_dword v66, off, s[0:3], 0 offset:20
	s_mov_b32 s5, exec_lo
	s_waitcnt vmcnt(0)
	ds_write_b64 v68, v[65:66]
	s_waitcnt lgkmcnt(0)
	s_barrier
	buffer_gl0_inv
	v_cmpx_gt_u32_e32 2, v0
	s_cbranch_execz .LBB31_23
; %bb.20:
	s_clause 0x1
	buffer_load_dword v70, v69, s[0:3], 0 offen offset:4
	buffer_load_dword v69, v69, s[0:3], 0 offen
	ds_read_b64 v[65:66], v68
	s_waitcnt vmcnt(1) lgkmcnt(0)
	v_mul_f32_e32 v71, v66, v70
	v_mul_f32_e32 v70, v65, v70
	s_waitcnt vmcnt(0)
	v_fma_f32 v65, v65, v69, -v71
	v_fmac_f32_e32 v70, v66, v69
	v_add_f32_e32 v66, 0, v65
	v_add_f32_e32 v65, 0, v70
	s_and_saveexec_b32 s8, s4
	s_cbranch_execz .LBB31_22
; %bb.21:
	s_clause 0x1
	buffer_load_dword v71, off, s[0:3], 0 offset:12
	buffer_load_dword v72, off, s[0:3], 0 offset:8
	v_mov_b32_e32 v69, 0
	ds_read_b64 v[69:70], v69 offset:264
	s_waitcnt vmcnt(1) lgkmcnt(0)
	v_mul_f32_e32 v73, v69, v71
	v_mul_f32_e32 v71, v70, v71
	s_waitcnt vmcnt(0)
	v_fmac_f32_e32 v73, v70, v72
	v_fma_f32 v69, v69, v72, -v71
	v_add_f32_e32 v65, v65, v73
	v_add_f32_e32 v66, v66, v69
.LBB31_22:
	s_or_b32 exec_lo, exec_lo, s8
	v_mov_b32_e32 v69, 0
	ds_read_b64 v[69:70], v69 offset:16
	s_waitcnt lgkmcnt(0)
	v_mul_f32_e32 v71, v65, v70
	v_mul_f32_e32 v70, v66, v70
	v_fma_f32 v66, v66, v69, -v71
	v_fmac_f32_e32 v70, v65, v69
	buffer_store_dword v66, off, s[0:3], 0 offset:16
	buffer_store_dword v70, off, s[0:3], 0 offset:20
.LBB31_23:
	s_or_b32 exec_lo, exec_lo, s5
	s_waitcnt_vscnt null, 0x0
	s_barrier
	buffer_gl0_inv
	s_clause 0x1
	buffer_load_dword v69, off, s[0:3], 0 offset:24
	buffer_load_dword v70, off, s[0:3], 0 offset:28
	v_add_nc_u32_e32 v65, -1, v0
	s_mov_b32 s4, exec_lo
	s_waitcnt vmcnt(0)
	ds_write_b64 v68, v[69:70]
	s_waitcnt lgkmcnt(0)
	s_barrier
	buffer_gl0_inv
	v_cmpx_gt_u32_e32 3, v0
	s_cbranch_execz .LBB31_27
; %bb.24:
	v_add_nc_u32_e32 v69, -1, v0
	v_add_nc_u32_e32 v70, 0x100, v67
	v_mov_b32_e32 v71, v67
	v_mov_b32_e32 v66, 0
	;; [unrolled: 1-line block ×3, first 2 shown]
	s_mov_b32 s5, 0
	.p2align	6
.LBB31_25:                              ; =>This Inner Loop Header: Depth=1
	s_clause 0x1
	buffer_load_dword v75, v71, s[0:3], 0 offen offset:4
	buffer_load_dword v76, v71, s[0:3], 0 offen
	ds_read_b64 v[73:74], v70
	v_add_nc_u32_e32 v69, 1, v69
	v_add_nc_u32_e32 v70, 8, v70
	;; [unrolled: 1-line block ×3, first 2 shown]
	v_cmp_lt_u32_e32 vcc_lo, 1, v69
	s_or_b32 s5, vcc_lo, s5
	s_waitcnt vmcnt(1) lgkmcnt(0)
	v_mul_f32_e32 v77, v74, v75
	v_mul_f32_e32 v75, v73, v75
	s_waitcnt vmcnt(0)
	v_fma_f32 v73, v73, v76, -v77
	v_fmac_f32_e32 v75, v74, v76
	v_add_f32_e32 v72, v72, v73
	v_add_f32_e32 v66, v66, v75
	s_andn2_b32 exec_lo, exec_lo, s5
	s_cbranch_execnz .LBB31_25
; %bb.26:
	s_or_b32 exec_lo, exec_lo, s5
	v_mov_b32_e32 v69, 0
	ds_read_b64 v[69:70], v69 offset:24
	s_waitcnt lgkmcnt(0)
	v_mul_f32_e32 v71, v66, v70
	v_mul_f32_e32 v70, v72, v70
	v_fma_f32 v71, v72, v69, -v71
	v_fmac_f32_e32 v70, v66, v69
	buffer_store_dword v71, off, s[0:3], 0 offset:24
	buffer_store_dword v70, off, s[0:3], 0 offset:28
.LBB31_27:
	s_or_b32 exec_lo, exec_lo, s4
	s_waitcnt_vscnt null, 0x0
	s_barrier
	buffer_gl0_inv
	s_clause 0x1
	buffer_load_dword v69, off, s[0:3], 0 offset:32
	buffer_load_dword v70, off, s[0:3], 0 offset:36
	s_mov_b32 s4, exec_lo
	s_waitcnt vmcnt(0)
	ds_write_b64 v68, v[69:70]
	s_waitcnt lgkmcnt(0)
	s_barrier
	buffer_gl0_inv
	v_cmpx_gt_u32_e32 4, v0
	s_cbranch_execz .LBB31_31
; %bb.28:
	v_add_nc_u32_e32 v69, -1, v0
	v_add_nc_u32_e32 v70, 0x100, v67
	v_mov_b32_e32 v71, v67
	v_mov_b32_e32 v66, 0
	;; [unrolled: 1-line block ×3, first 2 shown]
	s_mov_b32 s5, 0
	.p2align	6
.LBB31_29:                              ; =>This Inner Loop Header: Depth=1
	s_clause 0x1
	buffer_load_dword v75, v71, s[0:3], 0 offen offset:4
	buffer_load_dword v76, v71, s[0:3], 0 offen
	ds_read_b64 v[73:74], v70
	v_add_nc_u32_e32 v69, 1, v69
	v_add_nc_u32_e32 v70, 8, v70
	;; [unrolled: 1-line block ×3, first 2 shown]
	v_cmp_lt_u32_e32 vcc_lo, 2, v69
	s_or_b32 s5, vcc_lo, s5
	s_waitcnt vmcnt(1) lgkmcnt(0)
	v_mul_f32_e32 v77, v74, v75
	v_mul_f32_e32 v75, v73, v75
	s_waitcnt vmcnt(0)
	v_fma_f32 v73, v73, v76, -v77
	v_fmac_f32_e32 v75, v74, v76
	v_add_f32_e32 v72, v72, v73
	v_add_f32_e32 v66, v66, v75
	s_andn2_b32 exec_lo, exec_lo, s5
	s_cbranch_execnz .LBB31_29
; %bb.30:
	s_or_b32 exec_lo, exec_lo, s5
	v_mov_b32_e32 v69, 0
	ds_read_b64 v[69:70], v69 offset:32
	s_waitcnt lgkmcnt(0)
	v_mul_f32_e32 v71, v66, v70
	v_mul_f32_e32 v70, v72, v70
	v_fma_f32 v71, v72, v69, -v71
	v_fmac_f32_e32 v70, v66, v69
	buffer_store_dword v71, off, s[0:3], 0 offset:32
	buffer_store_dword v70, off, s[0:3], 0 offset:36
.LBB31_31:
	s_or_b32 exec_lo, exec_lo, s4
	s_waitcnt_vscnt null, 0x0
	s_barrier
	buffer_gl0_inv
	s_clause 0x1
	buffer_load_dword v69, off, s[0:3], 0 offset:40
	buffer_load_dword v70, off, s[0:3], 0 offset:44
	s_mov_b32 s4, exec_lo
	s_waitcnt vmcnt(0)
	ds_write_b64 v68, v[69:70]
	s_waitcnt lgkmcnt(0)
	s_barrier
	buffer_gl0_inv
	v_cmpx_gt_u32_e32 5, v0
	s_cbranch_execz .LBB31_35
; %bb.32:
	v_add_nc_u32_e32 v69, -1, v0
	v_add_nc_u32_e32 v70, 0x100, v67
	v_mov_b32_e32 v71, v67
	v_mov_b32_e32 v66, 0
	v_mov_b32_e32 v72, 0
	s_mov_b32 s5, 0
	.p2align	6
.LBB31_33:                              ; =>This Inner Loop Header: Depth=1
	s_clause 0x1
	buffer_load_dword v75, v71, s[0:3], 0 offen offset:4
	buffer_load_dword v76, v71, s[0:3], 0 offen
	ds_read_b64 v[73:74], v70
	v_add_nc_u32_e32 v69, 1, v69
	v_add_nc_u32_e32 v70, 8, v70
	;; [unrolled: 1-line block ×3, first 2 shown]
	v_cmp_lt_u32_e32 vcc_lo, 3, v69
	s_or_b32 s5, vcc_lo, s5
	s_waitcnt vmcnt(1) lgkmcnt(0)
	v_mul_f32_e32 v77, v74, v75
	v_mul_f32_e32 v75, v73, v75
	s_waitcnt vmcnt(0)
	v_fma_f32 v73, v73, v76, -v77
	v_fmac_f32_e32 v75, v74, v76
	v_add_f32_e32 v72, v72, v73
	v_add_f32_e32 v66, v66, v75
	s_andn2_b32 exec_lo, exec_lo, s5
	s_cbranch_execnz .LBB31_33
; %bb.34:
	s_or_b32 exec_lo, exec_lo, s5
	v_mov_b32_e32 v69, 0
	ds_read_b64 v[69:70], v69 offset:40
	s_waitcnt lgkmcnt(0)
	v_mul_f32_e32 v71, v66, v70
	v_mul_f32_e32 v70, v72, v70
	v_fma_f32 v71, v72, v69, -v71
	v_fmac_f32_e32 v70, v66, v69
	buffer_store_dword v71, off, s[0:3], 0 offset:40
	buffer_store_dword v70, off, s[0:3], 0 offset:44
.LBB31_35:
	s_or_b32 exec_lo, exec_lo, s4
	s_waitcnt_vscnt null, 0x0
	s_barrier
	buffer_gl0_inv
	s_clause 0x1
	buffer_load_dword v69, off, s[0:3], 0 offset:48
	buffer_load_dword v70, off, s[0:3], 0 offset:52
	s_mov_b32 s4, exec_lo
	s_waitcnt vmcnt(0)
	ds_write_b64 v68, v[69:70]
	s_waitcnt lgkmcnt(0)
	s_barrier
	buffer_gl0_inv
	v_cmpx_gt_u32_e32 6, v0
	s_cbranch_execz .LBB31_39
; %bb.36:
	v_add_nc_u32_e32 v69, -1, v0
	v_add_nc_u32_e32 v70, 0x100, v67
	v_mov_b32_e32 v71, v67
	v_mov_b32_e32 v66, 0
	;; [unrolled: 1-line block ×3, first 2 shown]
	s_mov_b32 s5, 0
	.p2align	6
.LBB31_37:                              ; =>This Inner Loop Header: Depth=1
	s_clause 0x1
	buffer_load_dword v75, v71, s[0:3], 0 offen offset:4
	buffer_load_dword v76, v71, s[0:3], 0 offen
	ds_read_b64 v[73:74], v70
	v_add_nc_u32_e32 v69, 1, v69
	v_add_nc_u32_e32 v70, 8, v70
	;; [unrolled: 1-line block ×3, first 2 shown]
	v_cmp_lt_u32_e32 vcc_lo, 4, v69
	s_or_b32 s5, vcc_lo, s5
	s_waitcnt vmcnt(1) lgkmcnt(0)
	v_mul_f32_e32 v77, v74, v75
	v_mul_f32_e32 v75, v73, v75
	s_waitcnt vmcnt(0)
	v_fma_f32 v73, v73, v76, -v77
	v_fmac_f32_e32 v75, v74, v76
	v_add_f32_e32 v72, v72, v73
	v_add_f32_e32 v66, v66, v75
	s_andn2_b32 exec_lo, exec_lo, s5
	s_cbranch_execnz .LBB31_37
; %bb.38:
	s_or_b32 exec_lo, exec_lo, s5
	v_mov_b32_e32 v69, 0
	ds_read_b64 v[69:70], v69 offset:48
	s_waitcnt lgkmcnt(0)
	v_mul_f32_e32 v71, v66, v70
	v_mul_f32_e32 v70, v72, v70
	v_fma_f32 v71, v72, v69, -v71
	v_fmac_f32_e32 v70, v66, v69
	buffer_store_dword v71, off, s[0:3], 0 offset:48
	buffer_store_dword v70, off, s[0:3], 0 offset:52
.LBB31_39:
	s_or_b32 exec_lo, exec_lo, s4
	s_waitcnt_vscnt null, 0x0
	s_barrier
	buffer_gl0_inv
	s_clause 0x1
	buffer_load_dword v69, off, s[0:3], 0 offset:56
	buffer_load_dword v70, off, s[0:3], 0 offset:60
	s_mov_b32 s4, exec_lo
	s_waitcnt vmcnt(0)
	ds_write_b64 v68, v[69:70]
	s_waitcnt lgkmcnt(0)
	s_barrier
	buffer_gl0_inv
	v_cmpx_gt_u32_e32 7, v0
	s_cbranch_execz .LBB31_43
; %bb.40:
	v_add_nc_u32_e32 v69, -1, v0
	v_add_nc_u32_e32 v70, 0x100, v67
	v_mov_b32_e32 v71, v67
	v_mov_b32_e32 v66, 0
	v_mov_b32_e32 v72, 0
	s_mov_b32 s5, 0
	.p2align	6
.LBB31_41:                              ; =>This Inner Loop Header: Depth=1
	s_clause 0x1
	buffer_load_dword v75, v71, s[0:3], 0 offen offset:4
	buffer_load_dword v76, v71, s[0:3], 0 offen
	ds_read_b64 v[73:74], v70
	v_add_nc_u32_e32 v69, 1, v69
	v_add_nc_u32_e32 v70, 8, v70
	;; [unrolled: 1-line block ×3, first 2 shown]
	v_cmp_lt_u32_e32 vcc_lo, 5, v69
	s_or_b32 s5, vcc_lo, s5
	s_waitcnt vmcnt(1) lgkmcnt(0)
	v_mul_f32_e32 v77, v74, v75
	v_mul_f32_e32 v75, v73, v75
	s_waitcnt vmcnt(0)
	v_fma_f32 v73, v73, v76, -v77
	v_fmac_f32_e32 v75, v74, v76
	v_add_f32_e32 v72, v72, v73
	v_add_f32_e32 v66, v66, v75
	s_andn2_b32 exec_lo, exec_lo, s5
	s_cbranch_execnz .LBB31_41
; %bb.42:
	s_or_b32 exec_lo, exec_lo, s5
	v_mov_b32_e32 v69, 0
	ds_read_b64 v[69:70], v69 offset:56
	s_waitcnt lgkmcnt(0)
	v_mul_f32_e32 v71, v66, v70
	v_mul_f32_e32 v70, v72, v70
	v_fma_f32 v71, v72, v69, -v71
	v_fmac_f32_e32 v70, v66, v69
	buffer_store_dword v71, off, s[0:3], 0 offset:56
	buffer_store_dword v70, off, s[0:3], 0 offset:60
.LBB31_43:
	s_or_b32 exec_lo, exec_lo, s4
	s_waitcnt_vscnt null, 0x0
	s_barrier
	buffer_gl0_inv
	s_clause 0x1
	buffer_load_dword v69, off, s[0:3], 0 offset:64
	buffer_load_dword v70, off, s[0:3], 0 offset:68
	s_mov_b32 s4, exec_lo
	s_waitcnt vmcnt(0)
	ds_write_b64 v68, v[69:70]
	s_waitcnt lgkmcnt(0)
	s_barrier
	buffer_gl0_inv
	v_cmpx_gt_u32_e32 8, v0
	s_cbranch_execz .LBB31_47
; %bb.44:
	v_add_nc_u32_e32 v69, -1, v0
	v_add_nc_u32_e32 v70, 0x100, v67
	v_mov_b32_e32 v71, v67
	v_mov_b32_e32 v66, 0
	v_mov_b32_e32 v72, 0
	s_mov_b32 s5, 0
	.p2align	6
.LBB31_45:                              ; =>This Inner Loop Header: Depth=1
	s_clause 0x1
	buffer_load_dword v75, v71, s[0:3], 0 offen offset:4
	buffer_load_dword v76, v71, s[0:3], 0 offen
	ds_read_b64 v[73:74], v70
	v_add_nc_u32_e32 v69, 1, v69
	v_add_nc_u32_e32 v70, 8, v70
	;; [unrolled: 1-line block ×3, first 2 shown]
	v_cmp_lt_u32_e32 vcc_lo, 6, v69
	s_or_b32 s5, vcc_lo, s5
	s_waitcnt vmcnt(1) lgkmcnt(0)
	v_mul_f32_e32 v77, v74, v75
	v_mul_f32_e32 v75, v73, v75
	s_waitcnt vmcnt(0)
	v_fma_f32 v73, v73, v76, -v77
	v_fmac_f32_e32 v75, v74, v76
	v_add_f32_e32 v72, v72, v73
	v_add_f32_e32 v66, v66, v75
	s_andn2_b32 exec_lo, exec_lo, s5
	s_cbranch_execnz .LBB31_45
; %bb.46:
	s_or_b32 exec_lo, exec_lo, s5
	v_mov_b32_e32 v69, 0
	ds_read_b64 v[69:70], v69 offset:64
	s_waitcnt lgkmcnt(0)
	v_mul_f32_e32 v71, v66, v70
	v_mul_f32_e32 v70, v72, v70
	v_fma_f32 v71, v72, v69, -v71
	v_fmac_f32_e32 v70, v66, v69
	buffer_store_dword v71, off, s[0:3], 0 offset:64
	buffer_store_dword v70, off, s[0:3], 0 offset:68
.LBB31_47:
	s_or_b32 exec_lo, exec_lo, s4
	s_waitcnt_vscnt null, 0x0
	s_barrier
	buffer_gl0_inv
	s_clause 0x1
	buffer_load_dword v69, off, s[0:3], 0 offset:72
	buffer_load_dword v70, off, s[0:3], 0 offset:76
	s_mov_b32 s4, exec_lo
	s_waitcnt vmcnt(0)
	ds_write_b64 v68, v[69:70]
	s_waitcnt lgkmcnt(0)
	s_barrier
	buffer_gl0_inv
	v_cmpx_gt_u32_e32 9, v0
	s_cbranch_execz .LBB31_51
; %bb.48:
	v_add_nc_u32_e32 v69, -1, v0
	v_add_nc_u32_e32 v70, 0x100, v67
	v_mov_b32_e32 v71, v67
	v_mov_b32_e32 v66, 0
	;; [unrolled: 1-line block ×3, first 2 shown]
	s_mov_b32 s5, 0
	.p2align	6
.LBB31_49:                              ; =>This Inner Loop Header: Depth=1
	s_clause 0x1
	buffer_load_dword v75, v71, s[0:3], 0 offen offset:4
	buffer_load_dword v76, v71, s[0:3], 0 offen
	ds_read_b64 v[73:74], v70
	v_add_nc_u32_e32 v69, 1, v69
	v_add_nc_u32_e32 v70, 8, v70
	v_add_nc_u32_e32 v71, 8, v71
	v_cmp_lt_u32_e32 vcc_lo, 7, v69
	s_or_b32 s5, vcc_lo, s5
	s_waitcnt vmcnt(1) lgkmcnt(0)
	v_mul_f32_e32 v77, v74, v75
	v_mul_f32_e32 v75, v73, v75
	s_waitcnt vmcnt(0)
	v_fma_f32 v73, v73, v76, -v77
	v_fmac_f32_e32 v75, v74, v76
	v_add_f32_e32 v72, v72, v73
	v_add_f32_e32 v66, v66, v75
	s_andn2_b32 exec_lo, exec_lo, s5
	s_cbranch_execnz .LBB31_49
; %bb.50:
	s_or_b32 exec_lo, exec_lo, s5
	v_mov_b32_e32 v69, 0
	ds_read_b64 v[69:70], v69 offset:72
	s_waitcnt lgkmcnt(0)
	v_mul_f32_e32 v71, v66, v70
	v_mul_f32_e32 v70, v72, v70
	v_fma_f32 v71, v72, v69, -v71
	v_fmac_f32_e32 v70, v66, v69
	buffer_store_dword v71, off, s[0:3], 0 offset:72
	buffer_store_dword v70, off, s[0:3], 0 offset:76
.LBB31_51:
	s_or_b32 exec_lo, exec_lo, s4
	s_waitcnt_vscnt null, 0x0
	s_barrier
	buffer_gl0_inv
	s_clause 0x1
	buffer_load_dword v69, off, s[0:3], 0 offset:80
	buffer_load_dword v70, off, s[0:3], 0 offset:84
	s_mov_b32 s4, exec_lo
	s_waitcnt vmcnt(0)
	ds_write_b64 v68, v[69:70]
	s_waitcnt lgkmcnt(0)
	s_barrier
	buffer_gl0_inv
	v_cmpx_gt_u32_e32 10, v0
	s_cbranch_execz .LBB31_55
; %bb.52:
	v_add_nc_u32_e32 v69, -1, v0
	v_add_nc_u32_e32 v70, 0x100, v67
	v_mov_b32_e32 v71, v67
	v_mov_b32_e32 v66, 0
	;; [unrolled: 1-line block ×3, first 2 shown]
	s_mov_b32 s5, 0
	.p2align	6
.LBB31_53:                              ; =>This Inner Loop Header: Depth=1
	s_clause 0x1
	buffer_load_dword v75, v71, s[0:3], 0 offen offset:4
	buffer_load_dword v76, v71, s[0:3], 0 offen
	ds_read_b64 v[73:74], v70
	v_add_nc_u32_e32 v69, 1, v69
	v_add_nc_u32_e32 v70, 8, v70
	;; [unrolled: 1-line block ×3, first 2 shown]
	v_cmp_lt_u32_e32 vcc_lo, 8, v69
	s_or_b32 s5, vcc_lo, s5
	s_waitcnt vmcnt(1) lgkmcnt(0)
	v_mul_f32_e32 v77, v74, v75
	v_mul_f32_e32 v75, v73, v75
	s_waitcnt vmcnt(0)
	v_fma_f32 v73, v73, v76, -v77
	v_fmac_f32_e32 v75, v74, v76
	v_add_f32_e32 v72, v72, v73
	v_add_f32_e32 v66, v66, v75
	s_andn2_b32 exec_lo, exec_lo, s5
	s_cbranch_execnz .LBB31_53
; %bb.54:
	s_or_b32 exec_lo, exec_lo, s5
	v_mov_b32_e32 v69, 0
	ds_read_b64 v[69:70], v69 offset:80
	s_waitcnt lgkmcnt(0)
	v_mul_f32_e32 v71, v66, v70
	v_mul_f32_e32 v70, v72, v70
	v_fma_f32 v71, v72, v69, -v71
	v_fmac_f32_e32 v70, v66, v69
	buffer_store_dword v71, off, s[0:3], 0 offset:80
	buffer_store_dword v70, off, s[0:3], 0 offset:84
.LBB31_55:
	s_or_b32 exec_lo, exec_lo, s4
	s_waitcnt_vscnt null, 0x0
	s_barrier
	buffer_gl0_inv
	s_clause 0x1
	buffer_load_dword v69, off, s[0:3], 0 offset:88
	buffer_load_dword v70, off, s[0:3], 0 offset:92
	s_mov_b32 s4, exec_lo
	s_waitcnt vmcnt(0)
	ds_write_b64 v68, v[69:70]
	s_waitcnt lgkmcnt(0)
	s_barrier
	buffer_gl0_inv
	v_cmpx_gt_u32_e32 11, v0
	s_cbranch_execz .LBB31_59
; %bb.56:
	v_add_nc_u32_e32 v69, -1, v0
	v_add_nc_u32_e32 v70, 0x100, v67
	v_mov_b32_e32 v71, v67
	v_mov_b32_e32 v66, 0
	;; [unrolled: 1-line block ×3, first 2 shown]
	s_mov_b32 s5, 0
	.p2align	6
.LBB31_57:                              ; =>This Inner Loop Header: Depth=1
	s_clause 0x1
	buffer_load_dword v75, v71, s[0:3], 0 offen offset:4
	buffer_load_dword v76, v71, s[0:3], 0 offen
	ds_read_b64 v[73:74], v70
	v_add_nc_u32_e32 v69, 1, v69
	v_add_nc_u32_e32 v70, 8, v70
	;; [unrolled: 1-line block ×3, first 2 shown]
	v_cmp_lt_u32_e32 vcc_lo, 9, v69
	s_or_b32 s5, vcc_lo, s5
	s_waitcnt vmcnt(1) lgkmcnt(0)
	v_mul_f32_e32 v77, v74, v75
	v_mul_f32_e32 v75, v73, v75
	s_waitcnt vmcnt(0)
	v_fma_f32 v73, v73, v76, -v77
	v_fmac_f32_e32 v75, v74, v76
	v_add_f32_e32 v72, v72, v73
	v_add_f32_e32 v66, v66, v75
	s_andn2_b32 exec_lo, exec_lo, s5
	s_cbranch_execnz .LBB31_57
; %bb.58:
	s_or_b32 exec_lo, exec_lo, s5
	v_mov_b32_e32 v69, 0
	ds_read_b64 v[69:70], v69 offset:88
	s_waitcnt lgkmcnt(0)
	v_mul_f32_e32 v71, v66, v70
	v_mul_f32_e32 v70, v72, v70
	v_fma_f32 v71, v72, v69, -v71
	v_fmac_f32_e32 v70, v66, v69
	buffer_store_dword v71, off, s[0:3], 0 offset:88
	buffer_store_dword v70, off, s[0:3], 0 offset:92
.LBB31_59:
	s_or_b32 exec_lo, exec_lo, s4
	s_waitcnt_vscnt null, 0x0
	s_barrier
	buffer_gl0_inv
	s_clause 0x1
	buffer_load_dword v69, off, s[0:3], 0 offset:96
	buffer_load_dword v70, off, s[0:3], 0 offset:100
	s_mov_b32 s4, exec_lo
	s_waitcnt vmcnt(0)
	ds_write_b64 v68, v[69:70]
	s_waitcnt lgkmcnt(0)
	s_barrier
	buffer_gl0_inv
	v_cmpx_gt_u32_e32 12, v0
	s_cbranch_execz .LBB31_63
; %bb.60:
	v_add_nc_u32_e32 v69, -1, v0
	v_add_nc_u32_e32 v70, 0x100, v67
	v_mov_b32_e32 v71, v67
	v_mov_b32_e32 v66, 0
	;; [unrolled: 1-line block ×3, first 2 shown]
	s_mov_b32 s5, 0
	.p2align	6
.LBB31_61:                              ; =>This Inner Loop Header: Depth=1
	s_clause 0x1
	buffer_load_dword v75, v71, s[0:3], 0 offen offset:4
	buffer_load_dword v76, v71, s[0:3], 0 offen
	ds_read_b64 v[73:74], v70
	v_add_nc_u32_e32 v69, 1, v69
	v_add_nc_u32_e32 v70, 8, v70
	;; [unrolled: 1-line block ×3, first 2 shown]
	v_cmp_lt_u32_e32 vcc_lo, 10, v69
	s_or_b32 s5, vcc_lo, s5
	s_waitcnt vmcnt(1) lgkmcnt(0)
	v_mul_f32_e32 v77, v74, v75
	v_mul_f32_e32 v75, v73, v75
	s_waitcnt vmcnt(0)
	v_fma_f32 v73, v73, v76, -v77
	v_fmac_f32_e32 v75, v74, v76
	v_add_f32_e32 v72, v72, v73
	v_add_f32_e32 v66, v66, v75
	s_andn2_b32 exec_lo, exec_lo, s5
	s_cbranch_execnz .LBB31_61
; %bb.62:
	s_or_b32 exec_lo, exec_lo, s5
	v_mov_b32_e32 v69, 0
	ds_read_b64 v[69:70], v69 offset:96
	s_waitcnt lgkmcnt(0)
	v_mul_f32_e32 v71, v66, v70
	v_mul_f32_e32 v70, v72, v70
	v_fma_f32 v71, v72, v69, -v71
	v_fmac_f32_e32 v70, v66, v69
	buffer_store_dword v71, off, s[0:3], 0 offset:96
	buffer_store_dword v70, off, s[0:3], 0 offset:100
.LBB31_63:
	s_or_b32 exec_lo, exec_lo, s4
	s_waitcnt_vscnt null, 0x0
	s_barrier
	buffer_gl0_inv
	s_clause 0x1
	buffer_load_dword v69, off, s[0:3], 0 offset:104
	buffer_load_dword v70, off, s[0:3], 0 offset:108
	s_mov_b32 s4, exec_lo
	s_waitcnt vmcnt(0)
	ds_write_b64 v68, v[69:70]
	s_waitcnt lgkmcnt(0)
	s_barrier
	buffer_gl0_inv
	v_cmpx_gt_u32_e32 13, v0
	s_cbranch_execz .LBB31_67
; %bb.64:
	v_add_nc_u32_e32 v69, -1, v0
	v_add_nc_u32_e32 v70, 0x100, v67
	v_mov_b32_e32 v71, v67
	v_mov_b32_e32 v66, 0
	v_mov_b32_e32 v72, 0
	s_mov_b32 s5, 0
	.p2align	6
.LBB31_65:                              ; =>This Inner Loop Header: Depth=1
	s_clause 0x1
	buffer_load_dword v75, v71, s[0:3], 0 offen offset:4
	buffer_load_dword v76, v71, s[0:3], 0 offen
	ds_read_b64 v[73:74], v70
	v_add_nc_u32_e32 v69, 1, v69
	v_add_nc_u32_e32 v70, 8, v70
	;; [unrolled: 1-line block ×3, first 2 shown]
	v_cmp_lt_u32_e32 vcc_lo, 11, v69
	s_or_b32 s5, vcc_lo, s5
	s_waitcnt vmcnt(1) lgkmcnt(0)
	v_mul_f32_e32 v77, v74, v75
	v_mul_f32_e32 v75, v73, v75
	s_waitcnt vmcnt(0)
	v_fma_f32 v73, v73, v76, -v77
	v_fmac_f32_e32 v75, v74, v76
	v_add_f32_e32 v72, v72, v73
	v_add_f32_e32 v66, v66, v75
	s_andn2_b32 exec_lo, exec_lo, s5
	s_cbranch_execnz .LBB31_65
; %bb.66:
	s_or_b32 exec_lo, exec_lo, s5
	v_mov_b32_e32 v69, 0
	ds_read_b64 v[69:70], v69 offset:104
	s_waitcnt lgkmcnt(0)
	v_mul_f32_e32 v71, v66, v70
	v_mul_f32_e32 v70, v72, v70
	v_fma_f32 v71, v72, v69, -v71
	v_fmac_f32_e32 v70, v66, v69
	buffer_store_dword v71, off, s[0:3], 0 offset:104
	buffer_store_dword v70, off, s[0:3], 0 offset:108
.LBB31_67:
	s_or_b32 exec_lo, exec_lo, s4
	s_waitcnt_vscnt null, 0x0
	s_barrier
	buffer_gl0_inv
	s_clause 0x1
	buffer_load_dword v69, off, s[0:3], 0 offset:112
	buffer_load_dword v70, off, s[0:3], 0 offset:116
	s_mov_b32 s4, exec_lo
	s_waitcnt vmcnt(0)
	ds_write_b64 v68, v[69:70]
	s_waitcnt lgkmcnt(0)
	s_barrier
	buffer_gl0_inv
	v_cmpx_gt_u32_e32 14, v0
	s_cbranch_execz .LBB31_71
; %bb.68:
	v_add_nc_u32_e32 v69, -1, v0
	v_add_nc_u32_e32 v70, 0x100, v67
	v_mov_b32_e32 v71, v67
	v_mov_b32_e32 v66, 0
	;; [unrolled: 1-line block ×3, first 2 shown]
	s_mov_b32 s5, 0
	.p2align	6
.LBB31_69:                              ; =>This Inner Loop Header: Depth=1
	s_clause 0x1
	buffer_load_dword v75, v71, s[0:3], 0 offen offset:4
	buffer_load_dword v76, v71, s[0:3], 0 offen
	ds_read_b64 v[73:74], v70
	v_add_nc_u32_e32 v69, 1, v69
	v_add_nc_u32_e32 v70, 8, v70
	;; [unrolled: 1-line block ×3, first 2 shown]
	v_cmp_lt_u32_e32 vcc_lo, 12, v69
	s_or_b32 s5, vcc_lo, s5
	s_waitcnt vmcnt(1) lgkmcnt(0)
	v_mul_f32_e32 v77, v74, v75
	v_mul_f32_e32 v75, v73, v75
	s_waitcnt vmcnt(0)
	v_fma_f32 v73, v73, v76, -v77
	v_fmac_f32_e32 v75, v74, v76
	v_add_f32_e32 v72, v72, v73
	v_add_f32_e32 v66, v66, v75
	s_andn2_b32 exec_lo, exec_lo, s5
	s_cbranch_execnz .LBB31_69
; %bb.70:
	s_or_b32 exec_lo, exec_lo, s5
	v_mov_b32_e32 v69, 0
	ds_read_b64 v[69:70], v69 offset:112
	s_waitcnt lgkmcnt(0)
	v_mul_f32_e32 v71, v66, v70
	v_mul_f32_e32 v70, v72, v70
	v_fma_f32 v71, v72, v69, -v71
	v_fmac_f32_e32 v70, v66, v69
	buffer_store_dword v71, off, s[0:3], 0 offset:112
	buffer_store_dword v70, off, s[0:3], 0 offset:116
.LBB31_71:
	s_or_b32 exec_lo, exec_lo, s4
	s_waitcnt_vscnt null, 0x0
	s_barrier
	buffer_gl0_inv
	s_clause 0x1
	buffer_load_dword v69, off, s[0:3], 0 offset:120
	buffer_load_dword v70, off, s[0:3], 0 offset:124
	s_mov_b32 s4, exec_lo
	s_waitcnt vmcnt(0)
	ds_write_b64 v68, v[69:70]
	s_waitcnt lgkmcnt(0)
	s_barrier
	buffer_gl0_inv
	v_cmpx_gt_u32_e32 15, v0
	s_cbranch_execz .LBB31_75
; %bb.72:
	v_add_nc_u32_e32 v69, -1, v0
	v_add_nc_u32_e32 v70, 0x100, v67
	v_mov_b32_e32 v71, v67
	v_mov_b32_e32 v66, 0
	;; [unrolled: 1-line block ×3, first 2 shown]
	s_mov_b32 s5, 0
	.p2align	6
.LBB31_73:                              ; =>This Inner Loop Header: Depth=1
	s_clause 0x1
	buffer_load_dword v75, v71, s[0:3], 0 offen offset:4
	buffer_load_dword v76, v71, s[0:3], 0 offen
	ds_read_b64 v[73:74], v70
	v_add_nc_u32_e32 v69, 1, v69
	v_add_nc_u32_e32 v70, 8, v70
	;; [unrolled: 1-line block ×3, first 2 shown]
	v_cmp_lt_u32_e32 vcc_lo, 13, v69
	s_or_b32 s5, vcc_lo, s5
	s_waitcnt vmcnt(1) lgkmcnt(0)
	v_mul_f32_e32 v77, v74, v75
	v_mul_f32_e32 v75, v73, v75
	s_waitcnt vmcnt(0)
	v_fma_f32 v73, v73, v76, -v77
	v_fmac_f32_e32 v75, v74, v76
	v_add_f32_e32 v72, v72, v73
	v_add_f32_e32 v66, v66, v75
	s_andn2_b32 exec_lo, exec_lo, s5
	s_cbranch_execnz .LBB31_73
; %bb.74:
	s_or_b32 exec_lo, exec_lo, s5
	v_mov_b32_e32 v69, 0
	ds_read_b64 v[69:70], v69 offset:120
	s_waitcnt lgkmcnt(0)
	v_mul_f32_e32 v71, v66, v70
	v_mul_f32_e32 v70, v72, v70
	v_fma_f32 v71, v72, v69, -v71
	v_fmac_f32_e32 v70, v66, v69
	buffer_store_dword v71, off, s[0:3], 0 offset:120
	buffer_store_dword v70, off, s[0:3], 0 offset:124
.LBB31_75:
	s_or_b32 exec_lo, exec_lo, s4
	s_waitcnt_vscnt null, 0x0
	s_barrier
	buffer_gl0_inv
	s_clause 0x1
	buffer_load_dword v69, off, s[0:3], 0 offset:128
	buffer_load_dword v70, off, s[0:3], 0 offset:132
	s_mov_b32 s4, exec_lo
	s_waitcnt vmcnt(0)
	ds_write_b64 v68, v[69:70]
	s_waitcnt lgkmcnt(0)
	s_barrier
	buffer_gl0_inv
	v_cmpx_gt_u32_e32 16, v0
	s_cbranch_execz .LBB31_79
; %bb.76:
	v_add_nc_u32_e32 v69, -1, v0
	v_add_nc_u32_e32 v70, 0x100, v67
	v_mov_b32_e32 v71, v67
	v_mov_b32_e32 v66, 0
	;; [unrolled: 1-line block ×3, first 2 shown]
	s_mov_b32 s5, 0
	.p2align	6
.LBB31_77:                              ; =>This Inner Loop Header: Depth=1
	s_clause 0x1
	buffer_load_dword v75, v71, s[0:3], 0 offen offset:4
	buffer_load_dword v76, v71, s[0:3], 0 offen
	ds_read_b64 v[73:74], v70
	v_add_nc_u32_e32 v69, 1, v69
	v_add_nc_u32_e32 v70, 8, v70
	;; [unrolled: 1-line block ×3, first 2 shown]
	v_cmp_lt_u32_e32 vcc_lo, 14, v69
	s_or_b32 s5, vcc_lo, s5
	s_waitcnt vmcnt(1) lgkmcnt(0)
	v_mul_f32_e32 v77, v74, v75
	v_mul_f32_e32 v75, v73, v75
	s_waitcnt vmcnt(0)
	v_fma_f32 v73, v73, v76, -v77
	v_fmac_f32_e32 v75, v74, v76
	v_add_f32_e32 v72, v72, v73
	v_add_f32_e32 v66, v66, v75
	s_andn2_b32 exec_lo, exec_lo, s5
	s_cbranch_execnz .LBB31_77
; %bb.78:
	s_or_b32 exec_lo, exec_lo, s5
	v_mov_b32_e32 v69, 0
	ds_read_b64 v[69:70], v69 offset:128
	s_waitcnt lgkmcnt(0)
	v_mul_f32_e32 v71, v66, v70
	v_mul_f32_e32 v70, v72, v70
	v_fma_f32 v71, v72, v69, -v71
	v_fmac_f32_e32 v70, v66, v69
	buffer_store_dword v71, off, s[0:3], 0 offset:128
	buffer_store_dword v70, off, s[0:3], 0 offset:132
.LBB31_79:
	s_or_b32 exec_lo, exec_lo, s4
	s_waitcnt_vscnt null, 0x0
	s_barrier
	buffer_gl0_inv
	s_clause 0x1
	buffer_load_dword v69, off, s[0:3], 0 offset:136
	buffer_load_dword v70, off, s[0:3], 0 offset:140
	s_mov_b32 s4, exec_lo
	s_waitcnt vmcnt(0)
	ds_write_b64 v68, v[69:70]
	s_waitcnt lgkmcnt(0)
	s_barrier
	buffer_gl0_inv
	v_cmpx_gt_u32_e32 17, v0
	s_cbranch_execz .LBB31_83
; %bb.80:
	v_add_nc_u32_e32 v69, -1, v0
	v_add_nc_u32_e32 v70, 0x100, v67
	v_mov_b32_e32 v71, v67
	v_mov_b32_e32 v66, 0
	;; [unrolled: 1-line block ×3, first 2 shown]
	s_mov_b32 s5, 0
	.p2align	6
.LBB31_81:                              ; =>This Inner Loop Header: Depth=1
	s_clause 0x1
	buffer_load_dword v75, v71, s[0:3], 0 offen offset:4
	buffer_load_dword v76, v71, s[0:3], 0 offen
	ds_read_b64 v[73:74], v70
	v_add_nc_u32_e32 v69, 1, v69
	v_add_nc_u32_e32 v70, 8, v70
	v_add_nc_u32_e32 v71, 8, v71
	v_cmp_lt_u32_e32 vcc_lo, 15, v69
	s_or_b32 s5, vcc_lo, s5
	s_waitcnt vmcnt(1) lgkmcnt(0)
	v_mul_f32_e32 v77, v74, v75
	v_mul_f32_e32 v75, v73, v75
	s_waitcnt vmcnt(0)
	v_fma_f32 v73, v73, v76, -v77
	v_fmac_f32_e32 v75, v74, v76
	v_add_f32_e32 v72, v72, v73
	v_add_f32_e32 v66, v66, v75
	s_andn2_b32 exec_lo, exec_lo, s5
	s_cbranch_execnz .LBB31_81
; %bb.82:
	s_or_b32 exec_lo, exec_lo, s5
	v_mov_b32_e32 v69, 0
	ds_read_b64 v[69:70], v69 offset:136
	s_waitcnt lgkmcnt(0)
	v_mul_f32_e32 v71, v66, v70
	v_mul_f32_e32 v70, v72, v70
	v_fma_f32 v71, v72, v69, -v71
	v_fmac_f32_e32 v70, v66, v69
	buffer_store_dword v71, off, s[0:3], 0 offset:136
	buffer_store_dword v70, off, s[0:3], 0 offset:140
.LBB31_83:
	s_or_b32 exec_lo, exec_lo, s4
	s_waitcnt_vscnt null, 0x0
	s_barrier
	buffer_gl0_inv
	s_clause 0x1
	buffer_load_dword v69, off, s[0:3], 0 offset:144
	buffer_load_dword v70, off, s[0:3], 0 offset:148
	s_mov_b32 s4, exec_lo
	s_waitcnt vmcnt(0)
	ds_write_b64 v68, v[69:70]
	s_waitcnt lgkmcnt(0)
	s_barrier
	buffer_gl0_inv
	v_cmpx_gt_u32_e32 18, v0
	s_cbranch_execz .LBB31_87
; %bb.84:
	v_add_nc_u32_e32 v69, -1, v0
	v_add_nc_u32_e32 v70, 0x100, v67
	v_mov_b32_e32 v71, v67
	v_mov_b32_e32 v66, 0
	;; [unrolled: 1-line block ×3, first 2 shown]
	s_mov_b32 s5, 0
	.p2align	6
.LBB31_85:                              ; =>This Inner Loop Header: Depth=1
	s_clause 0x1
	buffer_load_dword v75, v71, s[0:3], 0 offen offset:4
	buffer_load_dword v76, v71, s[0:3], 0 offen
	ds_read_b64 v[73:74], v70
	v_add_nc_u32_e32 v69, 1, v69
	v_add_nc_u32_e32 v70, 8, v70
	;; [unrolled: 1-line block ×3, first 2 shown]
	v_cmp_lt_u32_e32 vcc_lo, 16, v69
	s_or_b32 s5, vcc_lo, s5
	s_waitcnt vmcnt(1) lgkmcnt(0)
	v_mul_f32_e32 v77, v74, v75
	v_mul_f32_e32 v75, v73, v75
	s_waitcnt vmcnt(0)
	v_fma_f32 v73, v73, v76, -v77
	v_fmac_f32_e32 v75, v74, v76
	v_add_f32_e32 v72, v72, v73
	v_add_f32_e32 v66, v66, v75
	s_andn2_b32 exec_lo, exec_lo, s5
	s_cbranch_execnz .LBB31_85
; %bb.86:
	s_or_b32 exec_lo, exec_lo, s5
	v_mov_b32_e32 v69, 0
	ds_read_b64 v[69:70], v69 offset:144
	s_waitcnt lgkmcnt(0)
	v_mul_f32_e32 v71, v66, v70
	v_mul_f32_e32 v70, v72, v70
	v_fma_f32 v71, v72, v69, -v71
	v_fmac_f32_e32 v70, v66, v69
	buffer_store_dword v71, off, s[0:3], 0 offset:144
	buffer_store_dword v70, off, s[0:3], 0 offset:148
.LBB31_87:
	s_or_b32 exec_lo, exec_lo, s4
	s_waitcnt_vscnt null, 0x0
	s_barrier
	buffer_gl0_inv
	s_clause 0x1
	buffer_load_dword v69, off, s[0:3], 0 offset:152
	buffer_load_dword v70, off, s[0:3], 0 offset:156
	s_mov_b32 s4, exec_lo
	s_waitcnt vmcnt(0)
	ds_write_b64 v68, v[69:70]
	s_waitcnt lgkmcnt(0)
	s_barrier
	buffer_gl0_inv
	v_cmpx_gt_u32_e32 19, v0
	s_cbranch_execz .LBB31_91
; %bb.88:
	v_add_nc_u32_e32 v69, -1, v0
	v_add_nc_u32_e32 v70, 0x100, v67
	v_mov_b32_e32 v71, v67
	v_mov_b32_e32 v66, 0
	;; [unrolled: 1-line block ×3, first 2 shown]
	s_mov_b32 s5, 0
	.p2align	6
.LBB31_89:                              ; =>This Inner Loop Header: Depth=1
	s_clause 0x1
	buffer_load_dword v75, v71, s[0:3], 0 offen offset:4
	buffer_load_dword v76, v71, s[0:3], 0 offen
	ds_read_b64 v[73:74], v70
	v_add_nc_u32_e32 v69, 1, v69
	v_add_nc_u32_e32 v70, 8, v70
	v_add_nc_u32_e32 v71, 8, v71
	v_cmp_lt_u32_e32 vcc_lo, 17, v69
	s_or_b32 s5, vcc_lo, s5
	s_waitcnt vmcnt(1) lgkmcnt(0)
	v_mul_f32_e32 v77, v74, v75
	v_mul_f32_e32 v75, v73, v75
	s_waitcnt vmcnt(0)
	v_fma_f32 v73, v73, v76, -v77
	v_fmac_f32_e32 v75, v74, v76
	v_add_f32_e32 v72, v72, v73
	v_add_f32_e32 v66, v66, v75
	s_andn2_b32 exec_lo, exec_lo, s5
	s_cbranch_execnz .LBB31_89
; %bb.90:
	s_or_b32 exec_lo, exec_lo, s5
	v_mov_b32_e32 v69, 0
	ds_read_b64 v[69:70], v69 offset:152
	s_waitcnt lgkmcnt(0)
	v_mul_f32_e32 v71, v66, v70
	v_mul_f32_e32 v70, v72, v70
	v_fma_f32 v71, v72, v69, -v71
	v_fmac_f32_e32 v70, v66, v69
	buffer_store_dword v71, off, s[0:3], 0 offset:152
	buffer_store_dword v70, off, s[0:3], 0 offset:156
.LBB31_91:
	s_or_b32 exec_lo, exec_lo, s4
	s_waitcnt_vscnt null, 0x0
	s_barrier
	buffer_gl0_inv
	s_clause 0x1
	buffer_load_dword v69, off, s[0:3], 0 offset:160
	buffer_load_dword v70, off, s[0:3], 0 offset:164
	s_mov_b32 s4, exec_lo
	s_waitcnt vmcnt(0)
	ds_write_b64 v68, v[69:70]
	s_waitcnt lgkmcnt(0)
	s_barrier
	buffer_gl0_inv
	v_cmpx_gt_u32_e32 20, v0
	s_cbranch_execz .LBB31_95
; %bb.92:
	v_add_nc_u32_e32 v69, -1, v0
	v_add_nc_u32_e32 v70, 0x100, v67
	v_mov_b32_e32 v71, v67
	v_mov_b32_e32 v66, 0
	v_mov_b32_e32 v72, 0
	s_mov_b32 s5, 0
	.p2align	6
.LBB31_93:                              ; =>This Inner Loop Header: Depth=1
	s_clause 0x1
	buffer_load_dword v75, v71, s[0:3], 0 offen offset:4
	buffer_load_dword v76, v71, s[0:3], 0 offen
	ds_read_b64 v[73:74], v70
	v_add_nc_u32_e32 v69, 1, v69
	v_add_nc_u32_e32 v70, 8, v70
	;; [unrolled: 1-line block ×3, first 2 shown]
	v_cmp_lt_u32_e32 vcc_lo, 18, v69
	s_or_b32 s5, vcc_lo, s5
	s_waitcnt vmcnt(1) lgkmcnt(0)
	v_mul_f32_e32 v77, v74, v75
	v_mul_f32_e32 v75, v73, v75
	s_waitcnt vmcnt(0)
	v_fma_f32 v73, v73, v76, -v77
	v_fmac_f32_e32 v75, v74, v76
	v_add_f32_e32 v72, v72, v73
	v_add_f32_e32 v66, v66, v75
	s_andn2_b32 exec_lo, exec_lo, s5
	s_cbranch_execnz .LBB31_93
; %bb.94:
	s_or_b32 exec_lo, exec_lo, s5
	v_mov_b32_e32 v69, 0
	ds_read_b64 v[69:70], v69 offset:160
	s_waitcnt lgkmcnt(0)
	v_mul_f32_e32 v71, v66, v70
	v_mul_f32_e32 v70, v72, v70
	v_fma_f32 v71, v72, v69, -v71
	v_fmac_f32_e32 v70, v66, v69
	buffer_store_dword v71, off, s[0:3], 0 offset:160
	buffer_store_dword v70, off, s[0:3], 0 offset:164
.LBB31_95:
	s_or_b32 exec_lo, exec_lo, s4
	s_waitcnt_vscnt null, 0x0
	s_barrier
	buffer_gl0_inv
	s_clause 0x1
	buffer_load_dword v69, off, s[0:3], 0 offset:168
	buffer_load_dword v70, off, s[0:3], 0 offset:172
	s_mov_b32 s4, exec_lo
	s_waitcnt vmcnt(0)
	ds_write_b64 v68, v[69:70]
	s_waitcnt lgkmcnt(0)
	s_barrier
	buffer_gl0_inv
	v_cmpx_gt_u32_e32 21, v0
	s_cbranch_execz .LBB31_99
; %bb.96:
	v_add_nc_u32_e32 v69, -1, v0
	v_add_nc_u32_e32 v70, 0x100, v67
	v_mov_b32_e32 v71, v67
	v_mov_b32_e32 v66, 0
	;; [unrolled: 1-line block ×3, first 2 shown]
	s_mov_b32 s5, 0
	.p2align	6
.LBB31_97:                              ; =>This Inner Loop Header: Depth=1
	s_clause 0x1
	buffer_load_dword v75, v71, s[0:3], 0 offen offset:4
	buffer_load_dword v76, v71, s[0:3], 0 offen
	ds_read_b64 v[73:74], v70
	v_add_nc_u32_e32 v69, 1, v69
	v_add_nc_u32_e32 v70, 8, v70
	;; [unrolled: 1-line block ×3, first 2 shown]
	v_cmp_lt_u32_e32 vcc_lo, 19, v69
	s_or_b32 s5, vcc_lo, s5
	s_waitcnt vmcnt(1) lgkmcnt(0)
	v_mul_f32_e32 v77, v74, v75
	v_mul_f32_e32 v75, v73, v75
	s_waitcnt vmcnt(0)
	v_fma_f32 v73, v73, v76, -v77
	v_fmac_f32_e32 v75, v74, v76
	v_add_f32_e32 v72, v72, v73
	v_add_f32_e32 v66, v66, v75
	s_andn2_b32 exec_lo, exec_lo, s5
	s_cbranch_execnz .LBB31_97
; %bb.98:
	s_or_b32 exec_lo, exec_lo, s5
	v_mov_b32_e32 v69, 0
	ds_read_b64 v[69:70], v69 offset:168
	s_waitcnt lgkmcnt(0)
	v_mul_f32_e32 v71, v66, v70
	v_mul_f32_e32 v70, v72, v70
	v_fma_f32 v71, v72, v69, -v71
	v_fmac_f32_e32 v70, v66, v69
	buffer_store_dword v71, off, s[0:3], 0 offset:168
	buffer_store_dword v70, off, s[0:3], 0 offset:172
.LBB31_99:
	s_or_b32 exec_lo, exec_lo, s4
	s_waitcnt_vscnt null, 0x0
	s_barrier
	buffer_gl0_inv
	s_clause 0x1
	buffer_load_dword v69, off, s[0:3], 0 offset:176
	buffer_load_dword v70, off, s[0:3], 0 offset:180
	s_mov_b32 s4, exec_lo
	s_waitcnt vmcnt(0)
	ds_write_b64 v68, v[69:70]
	s_waitcnt lgkmcnt(0)
	s_barrier
	buffer_gl0_inv
	v_cmpx_gt_u32_e32 22, v0
	s_cbranch_execz .LBB31_103
; %bb.100:
	v_add_nc_u32_e32 v69, -1, v0
	v_add_nc_u32_e32 v70, 0x100, v67
	v_mov_b32_e32 v71, v67
	v_mov_b32_e32 v66, 0
	;; [unrolled: 1-line block ×3, first 2 shown]
	s_mov_b32 s5, 0
	.p2align	6
.LBB31_101:                             ; =>This Inner Loop Header: Depth=1
	s_clause 0x1
	buffer_load_dword v75, v71, s[0:3], 0 offen offset:4
	buffer_load_dword v76, v71, s[0:3], 0 offen
	ds_read_b64 v[73:74], v70
	v_add_nc_u32_e32 v69, 1, v69
	v_add_nc_u32_e32 v70, 8, v70
	;; [unrolled: 1-line block ×3, first 2 shown]
	v_cmp_lt_u32_e32 vcc_lo, 20, v69
	s_or_b32 s5, vcc_lo, s5
	s_waitcnt vmcnt(1) lgkmcnt(0)
	v_mul_f32_e32 v77, v74, v75
	v_mul_f32_e32 v75, v73, v75
	s_waitcnt vmcnt(0)
	v_fma_f32 v73, v73, v76, -v77
	v_fmac_f32_e32 v75, v74, v76
	v_add_f32_e32 v72, v72, v73
	v_add_f32_e32 v66, v66, v75
	s_andn2_b32 exec_lo, exec_lo, s5
	s_cbranch_execnz .LBB31_101
; %bb.102:
	s_or_b32 exec_lo, exec_lo, s5
	v_mov_b32_e32 v69, 0
	ds_read_b64 v[69:70], v69 offset:176
	s_waitcnt lgkmcnt(0)
	v_mul_f32_e32 v71, v66, v70
	v_mul_f32_e32 v70, v72, v70
	v_fma_f32 v71, v72, v69, -v71
	v_fmac_f32_e32 v70, v66, v69
	buffer_store_dword v71, off, s[0:3], 0 offset:176
	buffer_store_dword v70, off, s[0:3], 0 offset:180
.LBB31_103:
	s_or_b32 exec_lo, exec_lo, s4
	s_waitcnt_vscnt null, 0x0
	s_barrier
	buffer_gl0_inv
	s_clause 0x1
	buffer_load_dword v69, off, s[0:3], 0 offset:184
	buffer_load_dword v70, off, s[0:3], 0 offset:188
	s_mov_b32 s4, exec_lo
	s_waitcnt vmcnt(0)
	ds_write_b64 v68, v[69:70]
	s_waitcnt lgkmcnt(0)
	s_barrier
	buffer_gl0_inv
	v_cmpx_gt_u32_e32 23, v0
	s_cbranch_execz .LBB31_107
; %bb.104:
	v_add_nc_u32_e32 v69, -1, v0
	v_add_nc_u32_e32 v70, 0x100, v67
	v_mov_b32_e32 v71, v67
	v_mov_b32_e32 v66, 0
	;; [unrolled: 1-line block ×3, first 2 shown]
	s_mov_b32 s5, 0
	.p2align	6
.LBB31_105:                             ; =>This Inner Loop Header: Depth=1
	s_clause 0x1
	buffer_load_dword v75, v71, s[0:3], 0 offen offset:4
	buffer_load_dword v76, v71, s[0:3], 0 offen
	ds_read_b64 v[73:74], v70
	v_add_nc_u32_e32 v69, 1, v69
	v_add_nc_u32_e32 v70, 8, v70
	;; [unrolled: 1-line block ×3, first 2 shown]
	v_cmp_lt_u32_e32 vcc_lo, 21, v69
	s_or_b32 s5, vcc_lo, s5
	s_waitcnt vmcnt(1) lgkmcnt(0)
	v_mul_f32_e32 v77, v74, v75
	v_mul_f32_e32 v75, v73, v75
	s_waitcnt vmcnt(0)
	v_fma_f32 v73, v73, v76, -v77
	v_fmac_f32_e32 v75, v74, v76
	v_add_f32_e32 v72, v72, v73
	v_add_f32_e32 v66, v66, v75
	s_andn2_b32 exec_lo, exec_lo, s5
	s_cbranch_execnz .LBB31_105
; %bb.106:
	s_or_b32 exec_lo, exec_lo, s5
	v_mov_b32_e32 v69, 0
	ds_read_b64 v[69:70], v69 offset:184
	s_waitcnt lgkmcnt(0)
	v_mul_f32_e32 v71, v66, v70
	v_mul_f32_e32 v70, v72, v70
	v_fma_f32 v71, v72, v69, -v71
	v_fmac_f32_e32 v70, v66, v69
	buffer_store_dword v71, off, s[0:3], 0 offset:184
	buffer_store_dword v70, off, s[0:3], 0 offset:188
.LBB31_107:
	s_or_b32 exec_lo, exec_lo, s4
	s_waitcnt_vscnt null, 0x0
	s_barrier
	buffer_gl0_inv
	s_clause 0x1
	buffer_load_dword v69, off, s[0:3], 0 offset:192
	buffer_load_dword v70, off, s[0:3], 0 offset:196
	s_mov_b32 s4, exec_lo
	s_waitcnt vmcnt(0)
	ds_write_b64 v68, v[69:70]
	s_waitcnt lgkmcnt(0)
	s_barrier
	buffer_gl0_inv
	v_cmpx_gt_u32_e32 24, v0
	s_cbranch_execz .LBB31_111
; %bb.108:
	v_add_nc_u32_e32 v69, -1, v0
	v_add_nc_u32_e32 v70, 0x100, v67
	v_mov_b32_e32 v71, v67
	v_mov_b32_e32 v66, 0
	;; [unrolled: 1-line block ×3, first 2 shown]
	s_mov_b32 s5, 0
	.p2align	6
.LBB31_109:                             ; =>This Inner Loop Header: Depth=1
	s_clause 0x1
	buffer_load_dword v75, v71, s[0:3], 0 offen offset:4
	buffer_load_dword v76, v71, s[0:3], 0 offen
	ds_read_b64 v[73:74], v70
	v_add_nc_u32_e32 v69, 1, v69
	v_add_nc_u32_e32 v70, 8, v70
	;; [unrolled: 1-line block ×3, first 2 shown]
	v_cmp_lt_u32_e32 vcc_lo, 22, v69
	s_or_b32 s5, vcc_lo, s5
	s_waitcnt vmcnt(1) lgkmcnt(0)
	v_mul_f32_e32 v77, v74, v75
	v_mul_f32_e32 v75, v73, v75
	s_waitcnt vmcnt(0)
	v_fma_f32 v73, v73, v76, -v77
	v_fmac_f32_e32 v75, v74, v76
	v_add_f32_e32 v72, v72, v73
	v_add_f32_e32 v66, v66, v75
	s_andn2_b32 exec_lo, exec_lo, s5
	s_cbranch_execnz .LBB31_109
; %bb.110:
	s_or_b32 exec_lo, exec_lo, s5
	v_mov_b32_e32 v69, 0
	ds_read_b64 v[69:70], v69 offset:192
	s_waitcnt lgkmcnt(0)
	v_mul_f32_e32 v71, v66, v70
	v_mul_f32_e32 v70, v72, v70
	v_fma_f32 v71, v72, v69, -v71
	v_fmac_f32_e32 v70, v66, v69
	buffer_store_dword v71, off, s[0:3], 0 offset:192
	buffer_store_dword v70, off, s[0:3], 0 offset:196
.LBB31_111:
	s_or_b32 exec_lo, exec_lo, s4
	s_waitcnt_vscnt null, 0x0
	s_barrier
	buffer_gl0_inv
	s_clause 0x1
	buffer_load_dword v69, off, s[0:3], 0 offset:200
	buffer_load_dword v70, off, s[0:3], 0 offset:204
	s_mov_b32 s4, exec_lo
	s_waitcnt vmcnt(0)
	ds_write_b64 v68, v[69:70]
	s_waitcnt lgkmcnt(0)
	s_barrier
	buffer_gl0_inv
	v_cmpx_gt_u32_e32 25, v0
	s_cbranch_execz .LBB31_115
; %bb.112:
	v_add_nc_u32_e32 v69, -1, v0
	v_add_nc_u32_e32 v70, 0x100, v67
	v_mov_b32_e32 v71, v67
	v_mov_b32_e32 v66, 0
	;; [unrolled: 1-line block ×3, first 2 shown]
	s_mov_b32 s5, 0
	.p2align	6
.LBB31_113:                             ; =>This Inner Loop Header: Depth=1
	s_clause 0x1
	buffer_load_dword v75, v71, s[0:3], 0 offen offset:4
	buffer_load_dword v76, v71, s[0:3], 0 offen
	ds_read_b64 v[73:74], v70
	v_add_nc_u32_e32 v69, 1, v69
	v_add_nc_u32_e32 v70, 8, v70
	;; [unrolled: 1-line block ×3, first 2 shown]
	v_cmp_lt_u32_e32 vcc_lo, 23, v69
	s_or_b32 s5, vcc_lo, s5
	s_waitcnt vmcnt(1) lgkmcnt(0)
	v_mul_f32_e32 v77, v74, v75
	v_mul_f32_e32 v75, v73, v75
	s_waitcnt vmcnt(0)
	v_fma_f32 v73, v73, v76, -v77
	v_fmac_f32_e32 v75, v74, v76
	v_add_f32_e32 v72, v72, v73
	v_add_f32_e32 v66, v66, v75
	s_andn2_b32 exec_lo, exec_lo, s5
	s_cbranch_execnz .LBB31_113
; %bb.114:
	s_or_b32 exec_lo, exec_lo, s5
	v_mov_b32_e32 v69, 0
	ds_read_b64 v[69:70], v69 offset:200
	s_waitcnt lgkmcnt(0)
	v_mul_f32_e32 v71, v66, v70
	v_mul_f32_e32 v70, v72, v70
	v_fma_f32 v71, v72, v69, -v71
	v_fmac_f32_e32 v70, v66, v69
	buffer_store_dword v71, off, s[0:3], 0 offset:200
	buffer_store_dword v70, off, s[0:3], 0 offset:204
.LBB31_115:
	s_or_b32 exec_lo, exec_lo, s4
	s_waitcnt_vscnt null, 0x0
	s_barrier
	buffer_gl0_inv
	s_clause 0x1
	buffer_load_dword v69, off, s[0:3], 0 offset:208
	buffer_load_dword v70, off, s[0:3], 0 offset:212
	s_mov_b32 s4, exec_lo
	s_waitcnt vmcnt(0)
	ds_write_b64 v68, v[69:70]
	s_waitcnt lgkmcnt(0)
	s_barrier
	buffer_gl0_inv
	v_cmpx_gt_u32_e32 26, v0
	s_cbranch_execz .LBB31_119
; %bb.116:
	v_add_nc_u32_e32 v69, -1, v0
	v_add_nc_u32_e32 v70, 0x100, v67
	v_mov_b32_e32 v71, v67
	v_mov_b32_e32 v66, 0
	;; [unrolled: 1-line block ×3, first 2 shown]
	s_mov_b32 s5, 0
	.p2align	6
.LBB31_117:                             ; =>This Inner Loop Header: Depth=1
	s_clause 0x1
	buffer_load_dword v75, v71, s[0:3], 0 offen offset:4
	buffer_load_dword v76, v71, s[0:3], 0 offen
	ds_read_b64 v[73:74], v70
	v_add_nc_u32_e32 v69, 1, v69
	v_add_nc_u32_e32 v70, 8, v70
	;; [unrolled: 1-line block ×3, first 2 shown]
	v_cmp_lt_u32_e32 vcc_lo, 24, v69
	s_or_b32 s5, vcc_lo, s5
	s_waitcnt vmcnt(1) lgkmcnt(0)
	v_mul_f32_e32 v77, v74, v75
	v_mul_f32_e32 v75, v73, v75
	s_waitcnt vmcnt(0)
	v_fma_f32 v73, v73, v76, -v77
	v_fmac_f32_e32 v75, v74, v76
	v_add_f32_e32 v72, v72, v73
	v_add_f32_e32 v66, v66, v75
	s_andn2_b32 exec_lo, exec_lo, s5
	s_cbranch_execnz .LBB31_117
; %bb.118:
	s_or_b32 exec_lo, exec_lo, s5
	v_mov_b32_e32 v69, 0
	ds_read_b64 v[69:70], v69 offset:208
	s_waitcnt lgkmcnt(0)
	v_mul_f32_e32 v71, v66, v70
	v_mul_f32_e32 v70, v72, v70
	v_fma_f32 v71, v72, v69, -v71
	v_fmac_f32_e32 v70, v66, v69
	buffer_store_dword v71, off, s[0:3], 0 offset:208
	buffer_store_dword v70, off, s[0:3], 0 offset:212
.LBB31_119:
	s_or_b32 exec_lo, exec_lo, s4
	s_waitcnt_vscnt null, 0x0
	s_barrier
	buffer_gl0_inv
	s_clause 0x1
	buffer_load_dword v69, off, s[0:3], 0 offset:216
	buffer_load_dword v70, off, s[0:3], 0 offset:220
	s_mov_b32 s4, exec_lo
	s_waitcnt vmcnt(0)
	ds_write_b64 v68, v[69:70]
	s_waitcnt lgkmcnt(0)
	s_barrier
	buffer_gl0_inv
	v_cmpx_gt_u32_e32 27, v0
	s_cbranch_execz .LBB31_123
; %bb.120:
	v_add_nc_u32_e32 v69, -1, v0
	v_add_nc_u32_e32 v70, 0x100, v67
	v_mov_b32_e32 v71, v67
	v_mov_b32_e32 v66, 0
	;; [unrolled: 1-line block ×3, first 2 shown]
	s_mov_b32 s5, 0
	.p2align	6
.LBB31_121:                             ; =>This Inner Loop Header: Depth=1
	s_clause 0x1
	buffer_load_dword v75, v71, s[0:3], 0 offen offset:4
	buffer_load_dword v76, v71, s[0:3], 0 offen
	ds_read_b64 v[73:74], v70
	v_add_nc_u32_e32 v69, 1, v69
	v_add_nc_u32_e32 v70, 8, v70
	v_add_nc_u32_e32 v71, 8, v71
	v_cmp_lt_u32_e32 vcc_lo, 25, v69
	s_or_b32 s5, vcc_lo, s5
	s_waitcnt vmcnt(1) lgkmcnt(0)
	v_mul_f32_e32 v77, v74, v75
	v_mul_f32_e32 v75, v73, v75
	s_waitcnt vmcnt(0)
	v_fma_f32 v73, v73, v76, -v77
	v_fmac_f32_e32 v75, v74, v76
	v_add_f32_e32 v72, v72, v73
	v_add_f32_e32 v66, v66, v75
	s_andn2_b32 exec_lo, exec_lo, s5
	s_cbranch_execnz .LBB31_121
; %bb.122:
	s_or_b32 exec_lo, exec_lo, s5
	v_mov_b32_e32 v69, 0
	ds_read_b64 v[69:70], v69 offset:216
	s_waitcnt lgkmcnt(0)
	v_mul_f32_e32 v71, v66, v70
	v_mul_f32_e32 v70, v72, v70
	v_fma_f32 v71, v72, v69, -v71
	v_fmac_f32_e32 v70, v66, v69
	buffer_store_dword v71, off, s[0:3], 0 offset:216
	buffer_store_dword v70, off, s[0:3], 0 offset:220
.LBB31_123:
	s_or_b32 exec_lo, exec_lo, s4
	s_waitcnt_vscnt null, 0x0
	s_barrier
	buffer_gl0_inv
	s_clause 0x1
	buffer_load_dword v69, off, s[0:3], 0 offset:224
	buffer_load_dword v70, off, s[0:3], 0 offset:228
	s_mov_b32 s4, exec_lo
	s_waitcnt vmcnt(0)
	ds_write_b64 v68, v[69:70]
	s_waitcnt lgkmcnt(0)
	s_barrier
	buffer_gl0_inv
	v_cmpx_gt_u32_e32 28, v0
	s_cbranch_execz .LBB31_127
; %bb.124:
	v_add_nc_u32_e32 v69, -1, v0
	v_add_nc_u32_e32 v70, 0x100, v67
	v_mov_b32_e32 v71, v67
	v_mov_b32_e32 v66, 0
	;; [unrolled: 1-line block ×3, first 2 shown]
	s_mov_b32 s5, 0
	.p2align	6
.LBB31_125:                             ; =>This Inner Loop Header: Depth=1
	s_clause 0x1
	buffer_load_dword v75, v71, s[0:3], 0 offen offset:4
	buffer_load_dword v76, v71, s[0:3], 0 offen
	ds_read_b64 v[73:74], v70
	v_add_nc_u32_e32 v69, 1, v69
	v_add_nc_u32_e32 v70, 8, v70
	;; [unrolled: 1-line block ×3, first 2 shown]
	v_cmp_lt_u32_e32 vcc_lo, 26, v69
	s_or_b32 s5, vcc_lo, s5
	s_waitcnt vmcnt(1) lgkmcnt(0)
	v_mul_f32_e32 v77, v74, v75
	v_mul_f32_e32 v75, v73, v75
	s_waitcnt vmcnt(0)
	v_fma_f32 v73, v73, v76, -v77
	v_fmac_f32_e32 v75, v74, v76
	v_add_f32_e32 v72, v72, v73
	v_add_f32_e32 v66, v66, v75
	s_andn2_b32 exec_lo, exec_lo, s5
	s_cbranch_execnz .LBB31_125
; %bb.126:
	s_or_b32 exec_lo, exec_lo, s5
	v_mov_b32_e32 v69, 0
	ds_read_b64 v[69:70], v69 offset:224
	s_waitcnt lgkmcnt(0)
	v_mul_f32_e32 v71, v66, v70
	v_mul_f32_e32 v70, v72, v70
	v_fma_f32 v71, v72, v69, -v71
	v_fmac_f32_e32 v70, v66, v69
	buffer_store_dword v71, off, s[0:3], 0 offset:224
	buffer_store_dword v70, off, s[0:3], 0 offset:228
.LBB31_127:
	s_or_b32 exec_lo, exec_lo, s4
	s_waitcnt_vscnt null, 0x0
	s_barrier
	buffer_gl0_inv
	s_clause 0x1
	buffer_load_dword v69, off, s[0:3], 0 offset:232
	buffer_load_dword v70, off, s[0:3], 0 offset:236
	s_mov_b32 s4, exec_lo
	s_waitcnt vmcnt(0)
	ds_write_b64 v68, v[69:70]
	s_waitcnt lgkmcnt(0)
	s_barrier
	buffer_gl0_inv
	v_cmpx_gt_u32_e32 29, v0
	s_cbranch_execz .LBB31_131
; %bb.128:
	v_add_nc_u32_e32 v69, -1, v0
	v_add_nc_u32_e32 v70, 0x100, v67
	v_mov_b32_e32 v71, v67
	v_mov_b32_e32 v66, 0
	;; [unrolled: 1-line block ×3, first 2 shown]
	s_mov_b32 s5, 0
	.p2align	6
.LBB31_129:                             ; =>This Inner Loop Header: Depth=1
	s_clause 0x1
	buffer_load_dword v75, v71, s[0:3], 0 offen offset:4
	buffer_load_dword v76, v71, s[0:3], 0 offen
	ds_read_b64 v[73:74], v70
	v_add_nc_u32_e32 v69, 1, v69
	v_add_nc_u32_e32 v70, 8, v70
	;; [unrolled: 1-line block ×3, first 2 shown]
	v_cmp_lt_u32_e32 vcc_lo, 27, v69
	s_or_b32 s5, vcc_lo, s5
	s_waitcnt vmcnt(1) lgkmcnt(0)
	v_mul_f32_e32 v77, v74, v75
	v_mul_f32_e32 v75, v73, v75
	s_waitcnt vmcnt(0)
	v_fma_f32 v73, v73, v76, -v77
	v_fmac_f32_e32 v75, v74, v76
	v_add_f32_e32 v72, v72, v73
	v_add_f32_e32 v66, v66, v75
	s_andn2_b32 exec_lo, exec_lo, s5
	s_cbranch_execnz .LBB31_129
; %bb.130:
	s_or_b32 exec_lo, exec_lo, s5
	v_mov_b32_e32 v69, 0
	ds_read_b64 v[69:70], v69 offset:232
	s_waitcnt lgkmcnt(0)
	v_mul_f32_e32 v71, v66, v70
	v_mul_f32_e32 v70, v72, v70
	v_fma_f32 v71, v72, v69, -v71
	v_fmac_f32_e32 v70, v66, v69
	buffer_store_dword v71, off, s[0:3], 0 offset:232
	buffer_store_dword v70, off, s[0:3], 0 offset:236
.LBB31_131:
	s_or_b32 exec_lo, exec_lo, s4
	s_waitcnt_vscnt null, 0x0
	s_barrier
	buffer_gl0_inv
	s_clause 0x1
	buffer_load_dword v69, off, s[0:3], 0 offset:240
	buffer_load_dword v70, off, s[0:3], 0 offset:244
	s_mov_b32 s4, exec_lo
	s_waitcnt vmcnt(0)
	ds_write_b64 v68, v[69:70]
	s_waitcnt lgkmcnt(0)
	s_barrier
	buffer_gl0_inv
	v_cmpx_gt_u32_e32 30, v0
	s_cbranch_execz .LBB31_135
; %bb.132:
	v_add_nc_u32_e32 v69, -1, v0
	v_add_nc_u32_e32 v70, 0x100, v67
	v_mov_b32_e32 v71, v67
	v_mov_b32_e32 v66, 0
	v_mov_b32_e32 v72, 0
	s_mov_b32 s5, 0
	.p2align	6
.LBB31_133:                             ; =>This Inner Loop Header: Depth=1
	s_clause 0x1
	buffer_load_dword v75, v71, s[0:3], 0 offen offset:4
	buffer_load_dword v76, v71, s[0:3], 0 offen
	ds_read_b64 v[73:74], v70
	v_add_nc_u32_e32 v69, 1, v69
	v_add_nc_u32_e32 v70, 8, v70
	;; [unrolled: 1-line block ×3, first 2 shown]
	v_cmp_lt_u32_e32 vcc_lo, 28, v69
	s_or_b32 s5, vcc_lo, s5
	s_waitcnt vmcnt(1) lgkmcnt(0)
	v_mul_f32_e32 v77, v74, v75
	v_mul_f32_e32 v75, v73, v75
	s_waitcnt vmcnt(0)
	v_fma_f32 v73, v73, v76, -v77
	v_fmac_f32_e32 v75, v74, v76
	v_add_f32_e32 v72, v72, v73
	v_add_f32_e32 v66, v66, v75
	s_andn2_b32 exec_lo, exec_lo, s5
	s_cbranch_execnz .LBB31_133
; %bb.134:
	s_or_b32 exec_lo, exec_lo, s5
	v_mov_b32_e32 v69, 0
	ds_read_b64 v[69:70], v69 offset:240
	s_waitcnt lgkmcnt(0)
	v_mul_f32_e32 v71, v66, v70
	v_mul_f32_e32 v70, v72, v70
	v_fma_f32 v71, v72, v69, -v71
	v_fmac_f32_e32 v70, v66, v69
	buffer_store_dword v71, off, s[0:3], 0 offset:240
	buffer_store_dword v70, off, s[0:3], 0 offset:244
.LBB31_135:
	s_or_b32 exec_lo, exec_lo, s4
	s_waitcnt_vscnt null, 0x0
	s_barrier
	buffer_gl0_inv
	s_clause 0x1
	buffer_load_dword v69, off, s[0:3], 0 offset:248
	buffer_load_dword v70, off, s[0:3], 0 offset:252
	s_mov_b32 s4, exec_lo
	s_waitcnt vmcnt(0)
	ds_write_b64 v68, v[69:70]
	s_waitcnt lgkmcnt(0)
	s_barrier
	buffer_gl0_inv
	v_cmpx_ne_u32_e32 31, v0
	s_cbranch_execz .LBB31_139
; %bb.136:
	v_mov_b32_e32 v66, 0
	v_mov_b32_e32 v69, 0
	s_mov_b32 s5, 0
	.p2align	6
.LBB31_137:                             ; =>This Inner Loop Header: Depth=1
	s_clause 0x1
	buffer_load_dword v72, v67, s[0:3], 0 offen offset:4
	buffer_load_dword v73, v67, s[0:3], 0 offen
	ds_read_b64 v[70:71], v68
	v_add_nc_u32_e32 v65, 1, v65
	v_add_nc_u32_e32 v68, 8, v68
	;; [unrolled: 1-line block ×3, first 2 shown]
	v_cmp_lt_u32_e32 vcc_lo, 29, v65
	s_or_b32 s5, vcc_lo, s5
	s_waitcnt vmcnt(1) lgkmcnt(0)
	v_mul_f32_e32 v74, v71, v72
	v_mul_f32_e32 v72, v70, v72
	s_waitcnt vmcnt(0)
	v_fma_f32 v70, v70, v73, -v74
	v_fmac_f32_e32 v72, v71, v73
	v_add_f32_e32 v69, v69, v70
	v_add_f32_e32 v66, v66, v72
	s_andn2_b32 exec_lo, exec_lo, s5
	s_cbranch_execnz .LBB31_137
; %bb.138:
	s_or_b32 exec_lo, exec_lo, s5
	v_mov_b32_e32 v65, 0
	ds_read_b64 v[67:68], v65 offset:248
	s_waitcnt lgkmcnt(0)
	v_mul_f32_e32 v65, v66, v68
	v_mul_f32_e32 v68, v69, v68
	v_fma_f32 v65, v69, v67, -v65
	v_fmac_f32_e32 v68, v66, v67
	buffer_store_dword v65, off, s[0:3], 0 offset:248
	buffer_store_dword v68, off, s[0:3], 0 offset:252
.LBB31_139:
	s_or_b32 exec_lo, exec_lo, s4
	s_mov_b32 s5, -1
	s_waitcnt_vscnt null, 0x0
	s_barrier
	buffer_gl0_inv
.LBB31_140:
	s_and_b32 vcc_lo, exec_lo, s5
	s_cbranch_vccz .LBB31_142
; %bb.141:
	s_lshl_b64 s[4:5], s[6:7], 2
	v_mov_b32_e32 v65, 0
	s_add_u32 s4, s10, s4
	s_addc_u32 s5, s11, s5
	global_load_dword v65, v65, s[4:5]
	s_waitcnt vmcnt(0)
	v_cmp_ne_u32_e32 vcc_lo, 0, v65
	s_cbranch_vccz .LBB31_143
.LBB31_142:
	s_endpgm
.LBB31_143:
	v_lshl_add_u32 v65, v0, 3, 0x100
	s_mov_b32 s4, exec_lo
	v_cmpx_eq_u32_e32 31, v0
	s_cbranch_execz .LBB31_145
; %bb.144:
	s_clause 0x1
	buffer_load_dword v66, off, s[0:3], 0 offset:240
	buffer_load_dword v67, off, s[0:3], 0 offset:244
	v_mov_b32_e32 v68, 0
	buffer_store_dword v68, off, s[0:3], 0 offset:240
	buffer_store_dword v68, off, s[0:3], 0 offset:244
	s_waitcnt vmcnt(0)
	ds_write_b64 v65, v[66:67]
.LBB31_145:
	s_or_b32 exec_lo, exec_lo, s4
	s_waitcnt lgkmcnt(0)
	s_waitcnt_vscnt null, 0x0
	s_barrier
	buffer_gl0_inv
	s_clause 0x3
	buffer_load_dword v69, off, s[0:3], 0 offset:252
	buffer_load_dword v70, off, s[0:3], 0 offset:248
	;; [unrolled: 1-line block ×4, first 2 shown]
	v_mov_b32_e32 v66, 0
	s_mov_b32 s4, exec_lo
	ds_read_b64 v[67:68], v66 offset:504
	s_waitcnt vmcnt(3) lgkmcnt(0)
	v_mul_f32_e32 v73, v68, v69
	v_mul_f32_e32 v69, v67, v69
	s_waitcnt vmcnt(2)
	v_fma_f32 v67, v67, v70, -v73
	v_fmac_f32_e32 v69, v68, v70
	v_add_f32_e32 v67, 0, v67
	v_add_f32_e32 v68, 0, v69
	s_waitcnt vmcnt(1)
	v_sub_f32_e32 v67, v71, v67
	s_waitcnt vmcnt(0)
	v_sub_f32_e32 v68, v72, v68
	buffer_store_dword v67, off, s[0:3], 0 offset:240
	buffer_store_dword v68, off, s[0:3], 0 offset:244
	v_cmpx_lt_u32_e32 29, v0
	s_cbranch_execz .LBB31_147
; %bb.146:
	s_clause 0x1
	buffer_load_dword v67, off, s[0:3], 0 offset:232
	buffer_load_dword v68, off, s[0:3], 0 offset:236
	buffer_store_dword v66, off, s[0:3], 0 offset:232
	buffer_store_dword v66, off, s[0:3], 0 offset:236
	s_waitcnt vmcnt(0)
	ds_write_b64 v65, v[67:68]
.LBB31_147:
	s_or_b32 exec_lo, exec_lo, s4
	s_waitcnt lgkmcnt(0)
	s_waitcnt_vscnt null, 0x0
	s_barrier
	buffer_gl0_inv
	s_clause 0x5
	buffer_load_dword v70, off, s[0:3], 0 offset:244
	buffer_load_dword v71, off, s[0:3], 0 offset:252
	;; [unrolled: 1-line block ×6, first 2 shown]
	ds_read_b128 v[66:69], v66 offset:496
	s_mov_b32 s4, exec_lo
	s_waitcnt vmcnt(5) lgkmcnt(0)
	v_mul_f32_e32 v76, v67, v70
	v_mul_f32_e32 v70, v66, v70
	s_waitcnt vmcnt(4)
	v_mul_f32_e32 v77, v68, v71
	v_mul_f32_e32 v71, v69, v71
	s_waitcnt vmcnt(3)
	v_fma_f32 v66, v66, v72, -v76
	v_fmac_f32_e32 v70, v67, v72
	s_waitcnt vmcnt(2)
	v_fmac_f32_e32 v77, v69, v73
	v_fma_f32 v67, v68, v73, -v71
	v_add_f32_e32 v66, 0, v66
	v_add_f32_e32 v68, 0, v70
	;; [unrolled: 1-line block ×4, first 2 shown]
	s_waitcnt vmcnt(1)
	v_sub_f32_e32 v66, v74, v66
	s_waitcnt vmcnt(0)
	v_sub_f32_e32 v67, v75, v67
	buffer_store_dword v66, off, s[0:3], 0 offset:232
	buffer_store_dword v67, off, s[0:3], 0 offset:236
	v_cmpx_lt_u32_e32 28, v0
	s_cbranch_execz .LBB31_149
; %bb.148:
	s_clause 0x1
	buffer_load_dword v66, off, s[0:3], 0 offset:224
	buffer_load_dword v67, off, s[0:3], 0 offset:228
	v_mov_b32_e32 v68, 0
	buffer_store_dword v68, off, s[0:3], 0 offset:224
	buffer_store_dword v68, off, s[0:3], 0 offset:228
	s_waitcnt vmcnt(0)
	ds_write_b64 v65, v[66:67]
.LBB31_149:
	s_or_b32 exec_lo, exec_lo, s4
	s_waitcnt lgkmcnt(0)
	s_waitcnt_vscnt null, 0x0
	s_barrier
	buffer_gl0_inv
	s_clause 0x7
	buffer_load_dword v73, off, s[0:3], 0 offset:236
	buffer_load_dword v74, off, s[0:3], 0 offset:244
	buffer_load_dword v75, off, s[0:3], 0 offset:252
	buffer_load_dword v76, off, s[0:3], 0 offset:232
	buffer_load_dword v77, off, s[0:3], 0 offset:240
	buffer_load_dword v78, off, s[0:3], 0 offset:248
	buffer_load_dword v79, off, s[0:3], 0 offset:224
	buffer_load_dword v80, off, s[0:3], 0 offset:228
	v_mov_b32_e32 v66, 0
	ds_read2_b64 v[67:70], v66 offset0:61 offset1:62
	ds_read_b64 v[71:72], v66 offset:504
	s_mov_b32 s4, exec_lo
	s_waitcnt vmcnt(7) lgkmcnt(1)
	v_mul_f32_e32 v81, v68, v73
	v_mul_f32_e32 v73, v67, v73
	s_waitcnt vmcnt(6)
	v_mul_f32_e32 v82, v69, v74
	v_mul_f32_e32 v74, v70, v74
	s_waitcnt vmcnt(5) lgkmcnt(0)
	v_mul_f32_e32 v83, v71, v75
	s_waitcnt vmcnt(4)
	v_fma_f32 v67, v67, v76, -v81
	v_fmac_f32_e32 v73, v68, v76
	v_mul_f32_e32 v68, v72, v75
	s_waitcnt vmcnt(3)
	v_fma_f32 v69, v69, v77, -v74
	v_fmac_f32_e32 v82, v70, v77
	v_add_f32_e32 v67, 0, v67
	v_add_f32_e32 v70, 0, v73
	s_waitcnt vmcnt(2)
	v_fma_f32 v68, v71, v78, -v68
	v_fmac_f32_e32 v83, v72, v78
	v_add_f32_e32 v67, v67, v69
	v_add_f32_e32 v69, v70, v82
	;; [unrolled: 1-line block ×4, first 2 shown]
	s_waitcnt vmcnt(1)
	v_sub_f32_e32 v67, v79, v67
	s_waitcnt vmcnt(0)
	v_sub_f32_e32 v68, v80, v68
	buffer_store_dword v67, off, s[0:3], 0 offset:224
	buffer_store_dword v68, off, s[0:3], 0 offset:228
	v_cmpx_lt_u32_e32 27, v0
	s_cbranch_execz .LBB31_151
; %bb.150:
	s_clause 0x1
	buffer_load_dword v67, off, s[0:3], 0 offset:216
	buffer_load_dword v68, off, s[0:3], 0 offset:220
	buffer_store_dword v66, off, s[0:3], 0 offset:216
	buffer_store_dword v66, off, s[0:3], 0 offset:220
	s_waitcnt vmcnt(0)
	ds_write_b64 v65, v[67:68]
.LBB31_151:
	s_or_b32 exec_lo, exec_lo, s4
	s_waitcnt lgkmcnt(0)
	s_waitcnt_vscnt null, 0x0
	s_barrier
	buffer_gl0_inv
	s_clause 0x9
	buffer_load_dword v75, off, s[0:3], 0 offset:228
	buffer_load_dword v76, off, s[0:3], 0 offset:236
	;; [unrolled: 1-line block ×10, first 2 shown]
	ds_read_b128 v[67:70], v66 offset:480
	ds_read_b128 v[71:74], v66 offset:496
	s_mov_b32 s4, exec_lo
	s_waitcnt vmcnt(9) lgkmcnt(1)
	v_mul_f32_e32 v66, v67, v75
	v_mul_f32_e32 v75, v68, v75
	s_waitcnt vmcnt(8)
	v_mul_f32_e32 v85, v69, v76
	v_mul_f32_e32 v76, v70, v76
	s_waitcnt vmcnt(7) lgkmcnt(0)
	v_mul_f32_e32 v86, v71, v77
	s_waitcnt vmcnt(5)
	v_fmac_f32_e32 v66, v68, v79
	v_fma_f32 v67, v67, v79, -v75
	v_mul_f32_e32 v68, v72, v77
	s_waitcnt vmcnt(4)
	v_fma_f32 v69, v69, v80, -v76
	v_fmac_f32_e32 v85, v70, v80
	v_add_f32_e32 v66, 0, v66
	v_add_f32_e32 v67, 0, v67
	v_mul_f32_e32 v70, v74, v78
	s_waitcnt vmcnt(3)
	v_fma_f32 v68, v71, v81, -v68
	v_mul_f32_e32 v87, v73, v78
	v_fmac_f32_e32 v86, v72, v81
	v_add_f32_e32 v67, v67, v69
	v_add_f32_e32 v66, v66, v85
	s_waitcnt vmcnt(2)
	v_fma_f32 v69, v73, v82, -v70
	v_fmac_f32_e32 v87, v74, v82
	v_add_f32_e32 v67, v67, v68
	v_add_f32_e32 v66, v66, v86
	;; [unrolled: 1-line block ×4, first 2 shown]
	s_waitcnt vmcnt(1)
	v_sub_f32_e32 v67, v83, v67
	s_waitcnt vmcnt(0)
	v_sub_f32_e32 v66, v84, v66
	buffer_store_dword v67, off, s[0:3], 0 offset:216
	buffer_store_dword v66, off, s[0:3], 0 offset:220
	v_cmpx_lt_u32_e32 26, v0
	s_cbranch_execz .LBB31_153
; %bb.152:
	s_clause 0x1
	buffer_load_dword v66, off, s[0:3], 0 offset:208
	buffer_load_dword v67, off, s[0:3], 0 offset:212
	v_mov_b32_e32 v68, 0
	buffer_store_dword v68, off, s[0:3], 0 offset:208
	buffer_store_dword v68, off, s[0:3], 0 offset:212
	s_waitcnt vmcnt(0)
	ds_write_b64 v65, v[66:67]
.LBB31_153:
	s_or_b32 exec_lo, exec_lo, s4
	s_waitcnt lgkmcnt(0)
	s_waitcnt_vscnt null, 0x0
	s_barrier
	buffer_gl0_inv
	s_clause 0xb
	buffer_load_dword v77, off, s[0:3], 0 offset:220
	buffer_load_dword v78, off, s[0:3], 0 offset:228
	;; [unrolled: 1-line block ×12, first 2 shown]
	v_mov_b32_e32 v66, 0
	ds_read2_b64 v[67:70], v66 offset0:59 offset1:60
	ds_read2_b64 v[71:74], v66 offset0:61 offset1:62
	ds_read_b64 v[75:76], v66 offset:504
	s_mov_b32 s4, exec_lo
	s_waitcnt vmcnt(11) lgkmcnt(2)
	v_mul_f32_e32 v89, v67, v77
	v_mul_f32_e32 v77, v68, v77
	s_waitcnt vmcnt(10)
	v_mul_f32_e32 v90, v69, v78
	v_mul_f32_e32 v78, v70, v78
	s_waitcnt vmcnt(9) lgkmcnt(1)
	v_mul_f32_e32 v91, v71, v79
	s_waitcnt vmcnt(6)
	v_fmac_f32_e32 v89, v68, v82
	v_fma_f32 v67, v67, v82, -v77
	v_mul_f32_e32 v68, v72, v79
	s_waitcnt vmcnt(5)
	v_fma_f32 v69, v69, v83, -v78
	v_fmac_f32_e32 v90, v70, v83
	v_add_f32_e32 v70, 0, v89
	v_add_f32_e32 v67, 0, v67
	v_mul_f32_e32 v77, v74, v80
	s_waitcnt vmcnt(4)
	v_fma_f32 v68, v71, v84, -v68
	v_mul_f32_e32 v92, v73, v80
	v_fmac_f32_e32 v91, v72, v84
	v_add_f32_e32 v67, v67, v69
	v_add_f32_e32 v69, v70, v90
	s_waitcnt lgkmcnt(0)
	v_mul_f32_e32 v70, v76, v81
	s_waitcnt vmcnt(3)
	v_fma_f32 v71, v73, v85, -v77
	v_mul_f32_e32 v93, v75, v81
	v_add_f32_e32 v67, v67, v68
	v_fmac_f32_e32 v92, v74, v85
	v_add_f32_e32 v68, v69, v91
	s_waitcnt vmcnt(2)
	v_fma_f32 v69, v75, v86, -v70
	v_fmac_f32_e32 v93, v76, v86
	v_add_f32_e32 v67, v67, v71
	v_add_f32_e32 v68, v68, v92
	;; [unrolled: 1-line block ×4, first 2 shown]
	s_waitcnt vmcnt(1)
	v_sub_f32_e32 v67, v87, v67
	s_waitcnt vmcnt(0)
	v_sub_f32_e32 v68, v88, v68
	buffer_store_dword v67, off, s[0:3], 0 offset:208
	buffer_store_dword v68, off, s[0:3], 0 offset:212
	v_cmpx_lt_u32_e32 25, v0
	s_cbranch_execz .LBB31_155
; %bb.154:
	s_clause 0x1
	buffer_load_dword v67, off, s[0:3], 0 offset:200
	buffer_load_dword v68, off, s[0:3], 0 offset:204
	buffer_store_dword v66, off, s[0:3], 0 offset:200
	buffer_store_dword v66, off, s[0:3], 0 offset:204
	s_waitcnt vmcnt(0)
	ds_write_b64 v65, v[67:68]
.LBB31_155:
	s_or_b32 exec_lo, exec_lo, s4
	s_waitcnt lgkmcnt(0)
	s_waitcnt_vscnt null, 0x0
	s_barrier
	buffer_gl0_inv
	s_clause 0xd
	buffer_load_dword v79, off, s[0:3], 0 offset:212
	buffer_load_dword v80, off, s[0:3], 0 offset:220
	buffer_load_dword v81, off, s[0:3], 0 offset:228
	buffer_load_dword v82, off, s[0:3], 0 offset:236
	buffer_load_dword v83, off, s[0:3], 0 offset:244
	buffer_load_dword v84, off, s[0:3], 0 offset:252
	buffer_load_dword v85, off, s[0:3], 0 offset:208
	buffer_load_dword v86, off, s[0:3], 0 offset:216
	buffer_load_dword v87, off, s[0:3], 0 offset:224
	buffer_load_dword v88, off, s[0:3], 0 offset:232
	buffer_load_dword v89, off, s[0:3], 0 offset:240
	buffer_load_dword v90, off, s[0:3], 0 offset:248
	buffer_load_dword v91, off, s[0:3], 0 offset:200
	buffer_load_dword v92, off, s[0:3], 0 offset:204
	ds_read_b128 v[67:70], v66 offset:464
	ds_read_b128 v[71:74], v66 offset:480
	;; [unrolled: 1-line block ×3, first 2 shown]
	s_mov_b32 s4, exec_lo
	s_waitcnt vmcnt(13) lgkmcnt(2)
	v_mul_f32_e32 v66, v67, v79
	v_mul_f32_e32 v79, v68, v79
	s_waitcnt vmcnt(12)
	v_mul_f32_e32 v93, v69, v80
	v_mul_f32_e32 v80, v70, v80
	s_waitcnt vmcnt(11) lgkmcnt(1)
	v_mul_f32_e32 v94, v71, v81
	s_waitcnt vmcnt(10)
	v_mul_f32_e32 v95, v73, v82
	s_waitcnt vmcnt(7)
	v_fma_f32 v67, v67, v85, -v79
	v_fmac_f32_e32 v66, v68, v85
	v_mul_f32_e32 v68, v72, v81
	s_waitcnt vmcnt(6)
	v_fma_f32 v69, v69, v86, -v80
	v_fmac_f32_e32 v93, v70, v86
	v_add_f32_e32 v67, 0, v67
	v_add_f32_e32 v66, 0, v66
	v_mul_f32_e32 v70, v74, v82
	s_waitcnt vmcnt(5)
	v_fma_f32 v68, v71, v87, -v68
	v_fmac_f32_e32 v94, v72, v87
	v_add_f32_e32 v67, v67, v69
	v_add_f32_e32 v66, v66, v93
	s_waitcnt lgkmcnt(0)
	v_mul_f32_e32 v69, v76, v83
	s_waitcnt vmcnt(4)
	v_fma_f32 v70, v73, v88, -v70
	v_mul_f32_e32 v96, v75, v83
	v_add_f32_e32 v67, v67, v68
	v_fmac_f32_e32 v95, v74, v88
	v_add_f32_e32 v66, v66, v94
	v_mul_f32_e32 v68, v78, v84
	s_waitcnt vmcnt(3)
	v_fma_f32 v69, v75, v89, -v69
	v_add_f32_e32 v67, v67, v70
	v_mul_f32_e32 v97, v77, v84
	v_fmac_f32_e32 v96, v76, v89
	v_add_f32_e32 v66, v66, v95
	s_waitcnt vmcnt(2)
	v_fma_f32 v68, v77, v90, -v68
	v_add_f32_e32 v67, v67, v69
	v_fmac_f32_e32 v97, v78, v90
	v_add_f32_e32 v66, v66, v96
	v_add_f32_e32 v67, v67, v68
	;; [unrolled: 1-line block ×3, first 2 shown]
	s_waitcnt vmcnt(1)
	v_sub_f32_e32 v67, v91, v67
	s_waitcnt vmcnt(0)
	v_sub_f32_e32 v66, v92, v66
	buffer_store_dword v67, off, s[0:3], 0 offset:200
	buffer_store_dword v66, off, s[0:3], 0 offset:204
	v_cmpx_lt_u32_e32 24, v0
	s_cbranch_execz .LBB31_157
; %bb.156:
	s_clause 0x1
	buffer_load_dword v66, off, s[0:3], 0 offset:192
	buffer_load_dword v67, off, s[0:3], 0 offset:196
	v_mov_b32_e32 v68, 0
	buffer_store_dword v68, off, s[0:3], 0 offset:192
	buffer_store_dword v68, off, s[0:3], 0 offset:196
	s_waitcnt vmcnt(0)
	ds_write_b64 v65, v[66:67]
.LBB31_157:
	s_or_b32 exec_lo, exec_lo, s4
	s_waitcnt lgkmcnt(0)
	s_waitcnt_vscnt null, 0x0
	s_barrier
	buffer_gl0_inv
	s_clause 0xf
	buffer_load_dword v81, off, s[0:3], 0 offset:204
	buffer_load_dword v82, off, s[0:3], 0 offset:212
	buffer_load_dword v83, off, s[0:3], 0 offset:220
	buffer_load_dword v84, off, s[0:3], 0 offset:228
	buffer_load_dword v85, off, s[0:3], 0 offset:236
	buffer_load_dword v86, off, s[0:3], 0 offset:244
	buffer_load_dword v87, off, s[0:3], 0 offset:252
	buffer_load_dword v88, off, s[0:3], 0 offset:200
	buffer_load_dword v89, off, s[0:3], 0 offset:208
	buffer_load_dword v90, off, s[0:3], 0 offset:216
	buffer_load_dword v91, off, s[0:3], 0 offset:224
	buffer_load_dword v92, off, s[0:3], 0 offset:232
	buffer_load_dword v93, off, s[0:3], 0 offset:240
	buffer_load_dword v94, off, s[0:3], 0 offset:248
	buffer_load_dword v95, off, s[0:3], 0 offset:192
	buffer_load_dword v96, off, s[0:3], 0 offset:196
	v_mov_b32_e32 v66, 0
	ds_read2_b64 v[67:70], v66 offset0:57 offset1:58
	ds_read2_b64 v[71:74], v66 offset0:59 offset1:60
	;; [unrolled: 1-line block ×3, first 2 shown]
	ds_read_b64 v[79:80], v66 offset:504
	s_mov_b32 s4, exec_lo
	s_waitcnt vmcnt(15) lgkmcnt(3)
	v_mul_f32_e32 v97, v67, v81
	v_mul_f32_e32 v81, v68, v81
	s_waitcnt vmcnt(14)
	v_mul_f32_e32 v98, v69, v82
	v_mul_f32_e32 v82, v70, v82
	s_waitcnt vmcnt(13) lgkmcnt(2)
	v_mul_f32_e32 v99, v71, v83
	s_waitcnt vmcnt(12)
	v_mul_f32_e32 v100, v73, v84
	s_waitcnt vmcnt(11) lgkmcnt(1)
	v_mul_f32_e32 v101, v75, v85
	s_waitcnt vmcnt(8)
	v_fma_f32 v67, v67, v88, -v81
	v_fmac_f32_e32 v97, v68, v88
	v_mul_f32_e32 v68, v72, v83
	s_waitcnt vmcnt(7)
	v_fma_f32 v69, v69, v89, -v82
	v_fmac_f32_e32 v98, v70, v89
	v_add_f32_e32 v67, 0, v67
	v_add_f32_e32 v70, 0, v97
	v_mul_f32_e32 v81, v74, v84
	s_waitcnt vmcnt(6)
	v_fma_f32 v68, v71, v90, -v68
	v_fmac_f32_e32 v99, v72, v90
	v_add_f32_e32 v67, v67, v69
	v_add_f32_e32 v69, v70, v98
	;; [unrolled: 6-line block ×3, first 2 shown]
	v_mul_f32_e32 v69, v78, v86
	s_waitcnt vmcnt(4)
	v_fma_f32 v70, v75, v92, -v70
	v_mul_f32_e32 v102, v77, v86
	v_add_f32_e32 v67, v67, v71
	v_fmac_f32_e32 v101, v76, v92
	v_add_f32_e32 v68, v68, v100
	s_waitcnt lgkmcnt(0)
	v_mul_f32_e32 v71, v80, v87
	s_waitcnt vmcnt(3)
	v_fma_f32 v69, v77, v93, -v69
	v_add_f32_e32 v67, v67, v70
	v_mul_f32_e32 v103, v79, v87
	v_fmac_f32_e32 v102, v78, v93
	v_add_f32_e32 v68, v68, v101
	s_waitcnt vmcnt(2)
	v_fma_f32 v70, v79, v94, -v71
	v_add_f32_e32 v67, v67, v69
	v_fmac_f32_e32 v103, v80, v94
	v_add_f32_e32 v68, v68, v102
	v_add_f32_e32 v67, v67, v70
	;; [unrolled: 1-line block ×3, first 2 shown]
	s_waitcnt vmcnt(1)
	v_sub_f32_e32 v67, v95, v67
	s_waitcnt vmcnt(0)
	v_sub_f32_e32 v68, v96, v68
	buffer_store_dword v67, off, s[0:3], 0 offset:192
	buffer_store_dword v68, off, s[0:3], 0 offset:196
	v_cmpx_lt_u32_e32 23, v0
	s_cbranch_execz .LBB31_159
; %bb.158:
	s_clause 0x1
	buffer_load_dword v67, off, s[0:3], 0 offset:184
	buffer_load_dword v68, off, s[0:3], 0 offset:188
	buffer_store_dword v66, off, s[0:3], 0 offset:184
	buffer_store_dword v66, off, s[0:3], 0 offset:188
	s_waitcnt vmcnt(0)
	ds_write_b64 v65, v[67:68]
.LBB31_159:
	s_or_b32 exec_lo, exec_lo, s4
	s_waitcnt lgkmcnt(0)
	s_waitcnt_vscnt null, 0x0
	s_barrier
	buffer_gl0_inv
	s_clause 0x11
	buffer_load_dword v83, off, s[0:3], 0 offset:196
	buffer_load_dword v84, off, s[0:3], 0 offset:204
	;; [unrolled: 1-line block ×18, first 2 shown]
	ds_read_b128 v[67:70], v66 offset:448
	ds_read_b128 v[71:74], v66 offset:464
	;; [unrolled: 1-line block ×4, first 2 shown]
	s_mov_b32 s4, exec_lo
	s_waitcnt vmcnt(17) lgkmcnt(3)
	v_mul_f32_e32 v66, v67, v83
	v_mul_f32_e32 v83, v68, v83
	s_waitcnt vmcnt(16)
	v_mul_f32_e32 v101, v69, v84
	v_mul_f32_e32 v84, v70, v84
	s_waitcnt vmcnt(15) lgkmcnt(2)
	v_mul_f32_e32 v102, v71, v85
	s_waitcnt vmcnt(14)
	v_mul_f32_e32 v103, v73, v86
	s_waitcnt vmcnt(13) lgkmcnt(1)
	v_mul_f32_e32 v104, v75, v87
	s_waitcnt vmcnt(12)
	v_mul_f32_e32 v105, v77, v88
	s_waitcnt vmcnt(9)
	v_fma_f32 v67, v67, v91, -v83
	v_fmac_f32_e32 v66, v68, v91
	v_mul_f32_e32 v68, v72, v85
	s_waitcnt vmcnt(8)
	v_fma_f32 v69, v69, v92, -v84
	v_fmac_f32_e32 v101, v70, v92
	v_add_f32_e32 v67, 0, v67
	v_add_f32_e32 v66, 0, v66
	v_mul_f32_e32 v70, v74, v86
	s_waitcnt vmcnt(7)
	v_fma_f32 v68, v71, v93, -v68
	v_fmac_f32_e32 v102, v72, v93
	v_add_f32_e32 v67, v67, v69
	v_add_f32_e32 v66, v66, v101
	;; [unrolled: 6-line block ×4, first 2 shown]
	s_waitcnt lgkmcnt(0)
	v_mul_f32_e32 v70, v80, v89
	s_waitcnt vmcnt(4)
	v_fma_f32 v68, v77, v96, -v68
	v_mul_f32_e32 v106, v79, v89
	v_add_f32_e32 v67, v67, v69
	v_fmac_f32_e32 v105, v78, v96
	v_add_f32_e32 v66, v66, v104
	v_mul_f32_e32 v69, v82, v90
	s_waitcnt vmcnt(3)
	v_fma_f32 v70, v79, v97, -v70
	v_add_f32_e32 v67, v67, v68
	v_mul_f32_e32 v107, v81, v90
	v_fmac_f32_e32 v106, v80, v97
	v_add_f32_e32 v66, v66, v105
	s_waitcnt vmcnt(2)
	v_fma_f32 v68, v81, v98, -v69
	v_add_f32_e32 v67, v67, v70
	v_fmac_f32_e32 v107, v82, v98
	v_add_f32_e32 v66, v66, v106
	v_add_f32_e32 v67, v67, v68
	v_add_f32_e32 v66, v66, v107
	s_waitcnt vmcnt(1)
	v_sub_f32_e32 v67, v99, v67
	s_waitcnt vmcnt(0)
	v_sub_f32_e32 v66, v100, v66
	buffer_store_dword v67, off, s[0:3], 0 offset:184
	buffer_store_dword v66, off, s[0:3], 0 offset:188
	v_cmpx_lt_u32_e32 22, v0
	s_cbranch_execz .LBB31_161
; %bb.160:
	s_clause 0x1
	buffer_load_dword v66, off, s[0:3], 0 offset:176
	buffer_load_dword v67, off, s[0:3], 0 offset:180
	v_mov_b32_e32 v68, 0
	buffer_store_dword v68, off, s[0:3], 0 offset:176
	buffer_store_dword v68, off, s[0:3], 0 offset:180
	s_waitcnt vmcnt(0)
	ds_write_b64 v65, v[66:67]
.LBB31_161:
	s_or_b32 exec_lo, exec_lo, s4
	s_waitcnt lgkmcnt(0)
	s_waitcnt_vscnt null, 0x0
	s_barrier
	buffer_gl0_inv
	s_clause 0x13
	buffer_load_dword v85, off, s[0:3], 0 offset:188
	buffer_load_dword v86, off, s[0:3], 0 offset:196
	;; [unrolled: 1-line block ×20, first 2 shown]
	v_mov_b32_e32 v66, 0
	ds_read2_b64 v[67:70], v66 offset0:55 offset1:56
	ds_read2_b64 v[71:74], v66 offset0:57 offset1:58
	ds_read2_b64 v[75:78], v66 offset0:59 offset1:60
	ds_read2_b64 v[79:82], v66 offset0:61 offset1:62
	ds_read_b64 v[83:84], v66 offset:504
	s_mov_b32 s4, exec_lo
	s_waitcnt vmcnt(19) lgkmcnt(4)
	v_mul_f32_e32 v105, v67, v85
	v_mul_f32_e32 v85, v68, v85
	s_waitcnt vmcnt(18)
	v_mul_f32_e32 v106, v69, v86
	v_mul_f32_e32 v86, v70, v86
	s_waitcnt vmcnt(17) lgkmcnt(3)
	v_mul_f32_e32 v107, v71, v87
	s_waitcnt vmcnt(16)
	v_mul_f32_e32 v108, v73, v88
	s_waitcnt vmcnt(15) lgkmcnt(2)
	v_mul_f32_e32 v109, v75, v89
	s_waitcnt vmcnt(14)
	;; [unrolled: 4-line block ×3, first 2 shown]
	v_fma_f32 v67, v67, v94, -v85
	v_fmac_f32_e32 v105, v68, v94
	v_mul_f32_e32 v68, v72, v87
	s_waitcnt vmcnt(9)
	v_fma_f32 v69, v69, v95, -v86
	v_fmac_f32_e32 v106, v70, v95
	v_add_f32_e32 v67, 0, v67
	v_add_f32_e32 v70, 0, v105
	v_mul_f32_e32 v85, v74, v88
	s_waitcnt vmcnt(8)
	v_fma_f32 v68, v71, v96, -v68
	v_fmac_f32_e32 v107, v72, v96
	v_add_f32_e32 v67, v67, v69
	v_add_f32_e32 v69, v70, v106
	;; [unrolled: 6-line block ×5, first 2 shown]
	v_mul_f32_e32 v70, v82, v92
	s_waitcnt vmcnt(4)
	v_fma_f32 v71, v79, v100, -v71
	v_mul_f32_e32 v112, v81, v92
	v_add_f32_e32 v67, v67, v69
	v_fmac_f32_e32 v111, v80, v100
	v_add_f32_e32 v68, v68, v110
	s_waitcnt lgkmcnt(0)
	v_mul_f32_e32 v69, v84, v93
	s_waitcnt vmcnt(3)
	v_fma_f32 v70, v81, v101, -v70
	v_add_f32_e32 v67, v67, v71
	v_mul_f32_e32 v113, v83, v93
	v_fmac_f32_e32 v112, v82, v101
	v_add_f32_e32 v68, v68, v111
	s_waitcnt vmcnt(2)
	v_fma_f32 v69, v83, v102, -v69
	v_add_f32_e32 v67, v67, v70
	v_fmac_f32_e32 v113, v84, v102
	v_add_f32_e32 v68, v68, v112
	v_add_f32_e32 v67, v67, v69
	;; [unrolled: 1-line block ×3, first 2 shown]
	s_waitcnt vmcnt(1)
	v_sub_f32_e32 v67, v103, v67
	s_waitcnt vmcnt(0)
	v_sub_f32_e32 v68, v104, v68
	buffer_store_dword v67, off, s[0:3], 0 offset:176
	buffer_store_dword v68, off, s[0:3], 0 offset:180
	v_cmpx_lt_u32_e32 21, v0
	s_cbranch_execz .LBB31_163
; %bb.162:
	s_clause 0x1
	buffer_load_dword v67, off, s[0:3], 0 offset:168
	buffer_load_dword v68, off, s[0:3], 0 offset:172
	buffer_store_dword v66, off, s[0:3], 0 offset:168
	buffer_store_dword v66, off, s[0:3], 0 offset:172
	s_waitcnt vmcnt(0)
	ds_write_b64 v65, v[67:68]
.LBB31_163:
	s_or_b32 exec_lo, exec_lo, s4
	s_waitcnt lgkmcnt(0)
	s_waitcnt_vscnt null, 0x0
	s_barrier
	buffer_gl0_inv
	s_clause 0x15
	buffer_load_dword v87, off, s[0:3], 0 offset:180
	buffer_load_dword v88, off, s[0:3], 0 offset:188
	;; [unrolled: 1-line block ×22, first 2 shown]
	ds_read_b128 v[67:70], v66 offset:432
	ds_read_b128 v[71:74], v66 offset:448
	;; [unrolled: 1-line block ×5, first 2 shown]
	s_mov_b32 s4, exec_lo
	s_waitcnt vmcnt(21) lgkmcnt(4)
	v_mul_f32_e32 v66, v67, v87
	v_mul_f32_e32 v87, v68, v87
	s_waitcnt vmcnt(20)
	v_mul_f32_e32 v109, v69, v88
	v_mul_f32_e32 v88, v70, v88
	s_waitcnt vmcnt(19) lgkmcnt(3)
	v_mul_f32_e32 v110, v71, v89
	s_waitcnt vmcnt(18)
	v_mul_f32_e32 v111, v73, v90
	s_waitcnt vmcnt(17) lgkmcnt(2)
	v_mul_f32_e32 v112, v75, v91
	s_waitcnt vmcnt(16)
	v_mul_f32_e32 v113, v77, v92
	s_waitcnt vmcnt(15) lgkmcnt(1)
	v_mul_f32_e32 v114, v79, v93
	s_waitcnt vmcnt(14)
	v_mul_f32_e32 v115, v81, v94
	s_waitcnt vmcnt(11)
	v_fma_f32 v67, v67, v97, -v87
	v_fmac_f32_e32 v66, v68, v97
	v_mul_f32_e32 v68, v72, v89
	s_waitcnt vmcnt(10)
	v_fma_f32 v69, v69, v98, -v88
	v_fmac_f32_e32 v109, v70, v98
	v_add_f32_e32 v67, 0, v67
	v_add_f32_e32 v66, 0, v66
	v_mul_f32_e32 v70, v74, v90
	s_waitcnt vmcnt(9)
	v_fma_f32 v68, v71, v99, -v68
	v_fmac_f32_e32 v110, v72, v99
	v_add_f32_e32 v67, v67, v69
	v_add_f32_e32 v66, v66, v109
	;; [unrolled: 6-line block ×6, first 2 shown]
	s_waitcnt lgkmcnt(0)
	v_mul_f32_e32 v68, v84, v95
	s_waitcnt vmcnt(4)
	v_fma_f32 v69, v81, v104, -v69
	v_mul_f32_e32 v116, v83, v95
	v_add_f32_e32 v67, v67, v70
	v_fmac_f32_e32 v115, v82, v104
	v_add_f32_e32 v66, v66, v114
	v_mul_f32_e32 v70, v86, v96
	s_waitcnt vmcnt(3)
	v_fma_f32 v68, v83, v105, -v68
	v_add_f32_e32 v67, v67, v69
	v_mul_f32_e32 v117, v85, v96
	v_fmac_f32_e32 v116, v84, v105
	v_add_f32_e32 v66, v66, v115
	s_waitcnt vmcnt(2)
	v_fma_f32 v69, v85, v106, -v70
	v_add_f32_e32 v67, v67, v68
	v_fmac_f32_e32 v117, v86, v106
	v_add_f32_e32 v66, v66, v116
	v_add_f32_e32 v67, v67, v69
	;; [unrolled: 1-line block ×3, first 2 shown]
	s_waitcnt vmcnt(1)
	v_sub_f32_e32 v67, v107, v67
	s_waitcnt vmcnt(0)
	v_sub_f32_e32 v66, v108, v66
	buffer_store_dword v67, off, s[0:3], 0 offset:168
	buffer_store_dword v66, off, s[0:3], 0 offset:172
	v_cmpx_lt_u32_e32 20, v0
	s_cbranch_execz .LBB31_165
; %bb.164:
	s_clause 0x1
	buffer_load_dword v66, off, s[0:3], 0 offset:160
	buffer_load_dword v67, off, s[0:3], 0 offset:164
	v_mov_b32_e32 v68, 0
	buffer_store_dword v68, off, s[0:3], 0 offset:160
	buffer_store_dword v68, off, s[0:3], 0 offset:164
	s_waitcnt vmcnt(0)
	ds_write_b64 v65, v[66:67]
.LBB31_165:
	s_or_b32 exec_lo, exec_lo, s4
	s_waitcnt lgkmcnt(0)
	s_waitcnt_vscnt null, 0x0
	s_barrier
	buffer_gl0_inv
	s_clause 0x17
	buffer_load_dword v89, off, s[0:3], 0 offset:172
	buffer_load_dword v90, off, s[0:3], 0 offset:180
	;; [unrolled: 1-line block ×24, first 2 shown]
	v_mov_b32_e32 v66, 0
	ds_read2_b64 v[67:70], v66 offset0:53 offset1:54
	ds_read2_b64 v[71:74], v66 offset0:55 offset1:56
	;; [unrolled: 1-line block ×5, first 2 shown]
	ds_read_b64 v[87:88], v66 offset:504
	s_mov_b32 s4, exec_lo
	s_waitcnt vmcnt(23) lgkmcnt(5)
	v_mul_f32_e32 v113, v67, v89
	v_mul_f32_e32 v89, v68, v89
	s_waitcnt vmcnt(22)
	v_mul_f32_e32 v114, v69, v90
	v_mul_f32_e32 v90, v70, v90
	s_waitcnt vmcnt(21) lgkmcnt(4)
	v_mul_f32_e32 v115, v71, v91
	s_waitcnt vmcnt(20)
	v_mul_f32_e32 v116, v73, v92
	s_waitcnt vmcnt(19) lgkmcnt(3)
	v_mul_f32_e32 v117, v75, v93
	s_waitcnt vmcnt(18)
	;; [unrolled: 4-line block ×4, first 2 shown]
	v_fma_f32 v67, v67, v100, -v89
	v_fmac_f32_e32 v113, v68, v100
	v_mul_f32_e32 v68, v72, v91
	s_waitcnt vmcnt(11)
	v_fma_f32 v69, v69, v101, -v90
	v_fmac_f32_e32 v114, v70, v101
	v_add_f32_e32 v67, 0, v67
	v_add_f32_e32 v70, 0, v113
	v_mul_f32_e32 v89, v74, v92
	s_waitcnt vmcnt(10)
	v_fma_f32 v68, v71, v102, -v68
	v_fmac_f32_e32 v115, v72, v102
	v_add_f32_e32 v67, v67, v69
	v_add_f32_e32 v69, v70, v114
	;; [unrolled: 6-line block ×7, first 2 shown]
	v_mul_f32_e32 v71, v86, v98
	s_waitcnt vmcnt(4)
	v_fma_f32 v69, v83, v108, -v69
	v_mul_f32_e32 v122, v85, v98
	v_add_f32_e32 v67, v67, v70
	v_fmac_f32_e32 v121, v84, v108
	v_add_f32_e32 v68, v68, v120
	s_waitcnt lgkmcnt(0)
	v_mul_f32_e32 v70, v88, v99
	s_waitcnt vmcnt(3)
	v_fma_f32 v71, v85, v109, -v71
	v_add_f32_e32 v67, v67, v69
	v_mul_f32_e32 v123, v87, v99
	v_fmac_f32_e32 v122, v86, v109
	v_add_f32_e32 v68, v68, v121
	s_waitcnt vmcnt(2)
	v_fma_f32 v69, v87, v110, -v70
	v_add_f32_e32 v67, v67, v71
	v_fmac_f32_e32 v123, v88, v110
	v_add_f32_e32 v68, v68, v122
	v_add_f32_e32 v67, v67, v69
	;; [unrolled: 1-line block ×3, first 2 shown]
	s_waitcnt vmcnt(1)
	v_sub_f32_e32 v67, v111, v67
	s_waitcnt vmcnt(0)
	v_sub_f32_e32 v68, v112, v68
	buffer_store_dword v67, off, s[0:3], 0 offset:160
	buffer_store_dword v68, off, s[0:3], 0 offset:164
	v_cmpx_lt_u32_e32 19, v0
	s_cbranch_execz .LBB31_167
; %bb.166:
	s_clause 0x1
	buffer_load_dword v67, off, s[0:3], 0 offset:152
	buffer_load_dword v68, off, s[0:3], 0 offset:156
	buffer_store_dword v66, off, s[0:3], 0 offset:152
	buffer_store_dword v66, off, s[0:3], 0 offset:156
	s_waitcnt vmcnt(0)
	ds_write_b64 v65, v[67:68]
.LBB31_167:
	s_or_b32 exec_lo, exec_lo, s4
	s_waitcnt lgkmcnt(0)
	s_waitcnt_vscnt null, 0x0
	s_barrier
	buffer_gl0_inv
	s_clause 0x19
	buffer_load_dword v91, off, s[0:3], 0 offset:164
	buffer_load_dword v92, off, s[0:3], 0 offset:172
	;; [unrolled: 1-line block ×26, first 2 shown]
	ds_read_b128 v[67:70], v66 offset:416
	ds_read_b128 v[71:74], v66 offset:432
	;; [unrolled: 1-line block ×6, first 2 shown]
	s_mov_b32 s4, exec_lo
	s_waitcnt vmcnt(25) lgkmcnt(5)
	v_mul_f32_e32 v66, v67, v91
	v_mul_f32_e32 v91, v68, v91
	s_waitcnt vmcnt(24)
	v_mul_f32_e32 v117, v69, v92
	v_mul_f32_e32 v92, v70, v92
	s_waitcnt vmcnt(23) lgkmcnt(4)
	v_mul_f32_e32 v118, v71, v93
	s_waitcnt vmcnt(22)
	v_mul_f32_e32 v119, v73, v94
	s_waitcnt vmcnt(21) lgkmcnt(3)
	v_mul_f32_e32 v120, v75, v95
	s_waitcnt vmcnt(20)
	;; [unrolled: 4-line block ×4, first 2 shown]
	v_mul_f32_e32 v125, v85, v100
	s_waitcnt vmcnt(13)
	v_fma_f32 v67, v67, v103, -v91
	v_fmac_f32_e32 v66, v68, v103
	v_mul_f32_e32 v68, v72, v93
	s_waitcnt vmcnt(12)
	v_fma_f32 v69, v69, v104, -v92
	v_fmac_f32_e32 v117, v70, v104
	v_add_f32_e32 v67, 0, v67
	v_add_f32_e32 v66, 0, v66
	v_mul_f32_e32 v70, v74, v94
	s_waitcnt vmcnt(11)
	v_fma_f32 v68, v71, v105, -v68
	v_fmac_f32_e32 v118, v72, v105
	v_add_f32_e32 v67, v67, v69
	v_add_f32_e32 v66, v66, v117
	;; [unrolled: 6-line block ×8, first 2 shown]
	s_waitcnt lgkmcnt(0)
	v_mul_f32_e32 v69, v88, v101
	s_waitcnt vmcnt(4)
	v_fma_f32 v70, v85, v112, -v70
	v_mul_f32_e32 v126, v87, v101
	v_add_f32_e32 v67, v67, v68
	v_fmac_f32_e32 v125, v86, v112
	v_add_f32_e32 v66, v66, v124
	v_mul_f32_e32 v68, v90, v102
	s_waitcnt vmcnt(3)
	v_fma_f32 v69, v87, v113, -v69
	v_add_f32_e32 v67, v67, v70
	v_mul_f32_e32 v127, v89, v102
	v_fmac_f32_e32 v126, v88, v113
	v_add_f32_e32 v66, v66, v125
	s_waitcnt vmcnt(2)
	v_fma_f32 v68, v89, v114, -v68
	v_add_f32_e32 v67, v67, v69
	v_fmac_f32_e32 v127, v90, v114
	v_add_f32_e32 v66, v66, v126
	v_add_f32_e32 v67, v67, v68
	;; [unrolled: 1-line block ×3, first 2 shown]
	s_waitcnt vmcnt(1)
	v_sub_f32_e32 v67, v115, v67
	s_waitcnt vmcnt(0)
	v_sub_f32_e32 v66, v116, v66
	buffer_store_dword v67, off, s[0:3], 0 offset:152
	buffer_store_dword v66, off, s[0:3], 0 offset:156
	v_cmpx_lt_u32_e32 18, v0
	s_cbranch_execz .LBB31_169
; %bb.168:
	s_clause 0x1
	buffer_load_dword v66, off, s[0:3], 0 offset:144
	buffer_load_dword v67, off, s[0:3], 0 offset:148
	v_mov_b32_e32 v68, 0
	buffer_store_dword v68, off, s[0:3], 0 offset:144
	buffer_store_dword v68, off, s[0:3], 0 offset:148
	s_waitcnt vmcnt(0)
	ds_write_b64 v65, v[66:67]
.LBB31_169:
	s_or_b32 exec_lo, exec_lo, s4
	s_waitcnt lgkmcnt(0)
	s_waitcnt_vscnt null, 0x0
	s_barrier
	buffer_gl0_inv
	s_clause 0x1b
	buffer_load_dword v93, off, s[0:3], 0 offset:156
	buffer_load_dword v94, off, s[0:3], 0 offset:164
	;; [unrolled: 1-line block ×28, first 2 shown]
	v_mov_b32_e32 v66, 0
	ds_read2_b64 v[67:70], v66 offset0:51 offset1:52
	ds_read2_b64 v[71:74], v66 offset0:53 offset1:54
	;; [unrolled: 1-line block ×6, first 2 shown]
	ds_read_b64 v[91:92], v66 offset:504
	s_mov_b32 s4, exec_lo
	s_waitcnt vmcnt(27) lgkmcnt(6)
	v_mul_f32_e32 v121, v67, v93
	v_mul_f32_e32 v93, v68, v93
	s_waitcnt vmcnt(26)
	v_mul_f32_e32 v122, v69, v94
	v_mul_f32_e32 v94, v70, v94
	s_waitcnt vmcnt(25) lgkmcnt(5)
	v_mul_f32_e32 v123, v71, v95
	s_waitcnt vmcnt(24)
	v_mul_f32_e32 v124, v73, v96
	s_waitcnt vmcnt(23) lgkmcnt(4)
	v_mul_f32_e32 v125, v75, v97
	s_waitcnt vmcnt(22)
	;; [unrolled: 4-line block ×5, first 2 shown]
	v_fma_f32 v67, v67, v106, -v93
	v_fmac_f32_e32 v121, v68, v106
	v_mul_f32_e32 v68, v72, v95
	s_waitcnt vmcnt(13)
	v_fma_f32 v69, v69, v107, -v94
	v_fmac_f32_e32 v122, v70, v107
	v_add_f32_e32 v67, 0, v67
	v_add_f32_e32 v70, 0, v121
	v_mul_f32_e32 v93, v74, v96
	s_waitcnt vmcnt(12)
	v_fma_f32 v68, v71, v108, -v68
	v_fmac_f32_e32 v123, v72, v108
	v_add_f32_e32 v67, v67, v69
	v_add_f32_e32 v69, v70, v122
	;; [unrolled: 6-line block ×9, first 2 shown]
	v_mul_f32_e32 v69, v90, v104
	s_waitcnt vmcnt(4)
	v_fma_f32 v70, v87, v116, -v70
	v_mul_f32_e32 v132, v89, v104
	v_add_f32_e32 v67, v67, v71
	v_fmac_f32_e32 v131, v88, v116
	v_add_f32_e32 v68, v68, v130
	s_waitcnt lgkmcnt(0)
	v_mul_f32_e32 v71, v92, v105
	s_waitcnt vmcnt(3)
	v_fma_f32 v69, v89, v117, -v69
	v_add_f32_e32 v67, v67, v70
	v_mul_f32_e32 v133, v91, v105
	v_fmac_f32_e32 v132, v90, v117
	v_add_f32_e32 v68, v68, v131
	s_waitcnt vmcnt(2)
	v_fma_f32 v70, v91, v118, -v71
	v_add_f32_e32 v67, v67, v69
	v_fmac_f32_e32 v133, v92, v118
	v_add_f32_e32 v68, v68, v132
	v_add_f32_e32 v67, v67, v70
	;; [unrolled: 1-line block ×3, first 2 shown]
	s_waitcnt vmcnt(1)
	v_sub_f32_e32 v67, v119, v67
	s_waitcnt vmcnt(0)
	v_sub_f32_e32 v68, v120, v68
	buffer_store_dword v67, off, s[0:3], 0 offset:144
	buffer_store_dword v68, off, s[0:3], 0 offset:148
	v_cmpx_lt_u32_e32 17, v0
	s_cbranch_execz .LBB31_171
; %bb.170:
	s_clause 0x1
	buffer_load_dword v67, off, s[0:3], 0 offset:136
	buffer_load_dword v68, off, s[0:3], 0 offset:140
	buffer_store_dword v66, off, s[0:3], 0 offset:136
	buffer_store_dword v66, off, s[0:3], 0 offset:140
	s_waitcnt vmcnt(0)
	ds_write_b64 v65, v[67:68]
.LBB31_171:
	s_or_b32 exec_lo, exec_lo, s4
	s_waitcnt lgkmcnt(0)
	s_waitcnt_vscnt null, 0x0
	s_barrier
	buffer_gl0_inv
	s_clause 0x1d
	buffer_load_dword v95, off, s[0:3], 0 offset:148
	buffer_load_dword v96, off, s[0:3], 0 offset:156
	;; [unrolled: 1-line block ×30, first 2 shown]
	ds_read_b128 v[67:70], v66 offset:400
	ds_read_b128 v[71:74], v66 offset:416
	;; [unrolled: 1-line block ×7, first 2 shown]
	s_mov_b32 s4, exec_lo
	s_waitcnt vmcnt(29) lgkmcnt(6)
	v_mul_f32_e32 v66, v67, v95
	v_mul_f32_e32 v95, v68, v95
	s_waitcnt vmcnt(28)
	v_mul_f32_e32 v125, v69, v96
	v_mul_f32_e32 v96, v70, v96
	s_waitcnt vmcnt(27) lgkmcnt(5)
	v_mul_f32_e32 v126, v71, v97
	s_waitcnt vmcnt(26)
	v_mul_f32_e32 v127, v73, v98
	s_waitcnt vmcnt(25) lgkmcnt(4)
	v_mul_f32_e32 v128, v75, v99
	s_waitcnt vmcnt(24)
	;; [unrolled: 4-line block ×5, first 2 shown]
	v_mul_f32_e32 v135, v89, v106
	s_waitcnt vmcnt(15)
	v_fma_f32 v67, v67, v109, -v95
	v_fmac_f32_e32 v66, v68, v109
	v_mul_f32_e32 v68, v72, v97
	s_waitcnt vmcnt(14)
	v_fma_f32 v69, v69, v110, -v96
	v_fmac_f32_e32 v125, v70, v110
	v_add_f32_e32 v67, 0, v67
	v_add_f32_e32 v66, 0, v66
	v_mul_f32_e32 v70, v74, v98
	s_waitcnt vmcnt(13)
	v_fma_f32 v68, v71, v111, -v68
	v_fmac_f32_e32 v126, v72, v111
	v_add_f32_e32 v67, v67, v69
	v_add_f32_e32 v66, v66, v125
	v_mul_f32_e32 v69, v76, v99
	s_waitcnt vmcnt(12)
	v_fma_f32 v70, v73, v112, -v70
	v_fmac_f32_e32 v127, v74, v112
	v_add_f32_e32 v67, v67, v68
	v_add_f32_e32 v66, v66, v126
	v_mul_f32_e32 v68, v78, v100
	s_waitcnt vmcnt(11)
	v_fma_f32 v69, v75, v113, -v69
	v_fmac_f32_e32 v128, v76, v113
	v_add_f32_e32 v67, v67, v70
	v_add_f32_e32 v66, v66, v127
	v_mul_f32_e32 v70, v80, v101
	s_waitcnt vmcnt(10)
	v_fma_f32 v68, v77, v114, -v68
	v_fmac_f32_e32 v129, v78, v114
	v_add_f32_e32 v67, v67, v69
	v_add_f32_e32 v66, v66, v128
	v_mul_f32_e32 v69, v82, v102
	s_waitcnt vmcnt(9)
	v_fma_f32 v70, v79, v115, -v70
	v_fmac_f32_e32 v130, v80, v115
	v_add_f32_e32 v67, v67, v68
	v_add_f32_e32 v66, v66, v129
	v_mul_f32_e32 v68, v84, v103
	s_waitcnt vmcnt(8)
	v_fma_f32 v69, v81, v116, -v69
	v_fmac_f32_e32 v131, v82, v116
	v_add_f32_e32 v67, v67, v70
	v_add_f32_e32 v66, v66, v130
	v_mul_f32_e32 v70, v86, v104
	s_waitcnt vmcnt(7)
	v_fma_f32 v68, v83, v117, -v68
	v_fmac_f32_e32 v132, v84, v117
	v_add_f32_e32 v67, v67, v69
	v_add_f32_e32 v66, v66, v131
	v_mul_f32_e32 v69, v88, v105
	s_waitcnt vmcnt(6)
	v_fma_f32 v70, v85, v118, -v70
	v_fmac_f32_e32 v133, v86, v118
	v_add_f32_e32 v67, v67, v68
	v_add_f32_e32 v66, v66, v132
	v_mul_f32_e32 v68, v90, v106
	s_waitcnt vmcnt(5)
	v_fma_f32 v69, v87, v119, -v69
	v_fmac_f32_e32 v134, v88, v119
	v_add_f32_e32 v67, v67, v70
	v_add_f32_e32 v66, v66, v133
	s_waitcnt lgkmcnt(0)
	v_mul_f32_e32 v70, v92, v107
	s_waitcnt vmcnt(4)
	v_fma_f32 v68, v89, v120, -v68
	v_mul_f32_e32 v136, v91, v107
	v_add_f32_e32 v67, v67, v69
	v_fmac_f32_e32 v135, v90, v120
	v_add_f32_e32 v66, v66, v134
	v_mul_f32_e32 v69, v94, v108
	s_waitcnt vmcnt(3)
	v_fma_f32 v70, v91, v121, -v70
	v_add_f32_e32 v67, v67, v68
	v_mul_f32_e32 v137, v93, v108
	v_fmac_f32_e32 v136, v92, v121
	v_add_f32_e32 v66, v66, v135
	s_waitcnt vmcnt(2)
	v_fma_f32 v68, v93, v122, -v69
	v_add_f32_e32 v67, v67, v70
	v_fmac_f32_e32 v137, v94, v122
	v_add_f32_e32 v66, v66, v136
	v_add_f32_e32 v67, v67, v68
	;; [unrolled: 1-line block ×3, first 2 shown]
	s_waitcnt vmcnt(1)
	v_sub_f32_e32 v67, v123, v67
	s_waitcnt vmcnt(0)
	v_sub_f32_e32 v66, v124, v66
	buffer_store_dword v67, off, s[0:3], 0 offset:136
	buffer_store_dword v66, off, s[0:3], 0 offset:140
	v_cmpx_lt_u32_e32 16, v0
	s_cbranch_execz .LBB31_173
; %bb.172:
	s_clause 0x1
	buffer_load_dword v66, off, s[0:3], 0 offset:128
	buffer_load_dword v67, off, s[0:3], 0 offset:132
	v_mov_b32_e32 v68, 0
	buffer_store_dword v68, off, s[0:3], 0 offset:128
	buffer_store_dword v68, off, s[0:3], 0 offset:132
	s_waitcnt vmcnt(0)
	ds_write_b64 v65, v[66:67]
.LBB31_173:
	s_or_b32 exec_lo, exec_lo, s4
	s_waitcnt lgkmcnt(0)
	s_waitcnt_vscnt null, 0x0
	s_barrier
	buffer_gl0_inv
	s_clause 0x1f
	buffer_load_dword v97, off, s[0:3], 0 offset:140
	buffer_load_dword v98, off, s[0:3], 0 offset:148
	;; [unrolled: 1-line block ×32, first 2 shown]
	v_mov_b32_e32 v66, 0
	ds_read2_b64 v[67:70], v66 offset0:49 offset1:50
	ds_read2_b64 v[71:74], v66 offset0:51 offset1:52
	;; [unrolled: 1-line block ×7, first 2 shown]
	ds_read_b64 v[95:96], v66 offset:504
	s_mov_b32 s4, exec_lo
	s_waitcnt vmcnt(31) lgkmcnt(7)
	v_mul_f32_e32 v129, v67, v97
	v_mul_f32_e32 v97, v68, v97
	s_waitcnt vmcnt(30)
	v_mul_f32_e32 v130, v69, v98
	v_mul_f32_e32 v98, v70, v98
	s_waitcnt vmcnt(29) lgkmcnt(6)
	v_mul_f32_e32 v131, v71, v99
	s_waitcnt vmcnt(28)
	v_mul_f32_e32 v132, v73, v100
	s_waitcnt vmcnt(27) lgkmcnt(5)
	v_mul_f32_e32 v133, v75, v101
	s_waitcnt vmcnt(26)
	;; [unrolled: 4-line block ×6, first 2 shown]
	v_fma_f32 v67, v67, v112, -v97
	v_fmac_f32_e32 v129, v68, v112
	v_mul_f32_e32 v68, v72, v99
	s_waitcnt vmcnt(15)
	v_fma_f32 v69, v69, v113, -v98
	v_fmac_f32_e32 v130, v70, v113
	v_add_f32_e32 v67, 0, v67
	v_add_f32_e32 v70, 0, v129
	v_mul_f32_e32 v97, v74, v100
	s_waitcnt vmcnt(14)
	v_fma_f32 v68, v71, v114, -v68
	v_fmac_f32_e32 v131, v72, v114
	v_add_f32_e32 v67, v67, v69
	v_add_f32_e32 v69, v70, v130
	;; [unrolled: 6-line block ×11, first 2 shown]
	v_mul_f32_e32 v70, v94, v110
	s_waitcnt vmcnt(4)
	v_fma_f32 v71, v91, v124, -v71
	v_mul_f32_e32 v142, v93, v110
	v_add_f32_e32 v67, v67, v69
	v_fmac_f32_e32 v141, v92, v124
	v_add_f32_e32 v68, v68, v140
	s_waitcnt lgkmcnt(0)
	v_mul_f32_e32 v69, v96, v111
	s_waitcnt vmcnt(3)
	v_fma_f32 v70, v93, v125, -v70
	v_add_f32_e32 v67, v67, v71
	v_mul_f32_e32 v143, v95, v111
	v_fmac_f32_e32 v142, v94, v125
	v_add_f32_e32 v68, v68, v141
	s_waitcnt vmcnt(2)
	v_fma_f32 v69, v95, v126, -v69
	v_add_f32_e32 v67, v67, v70
	v_fmac_f32_e32 v143, v96, v126
	v_add_f32_e32 v68, v68, v142
	v_add_f32_e32 v67, v67, v69
	;; [unrolled: 1-line block ×3, first 2 shown]
	s_waitcnt vmcnt(1)
	v_sub_f32_e32 v67, v127, v67
	s_waitcnt vmcnt(0)
	v_sub_f32_e32 v68, v128, v68
	buffer_store_dword v67, off, s[0:3], 0 offset:128
	buffer_store_dword v68, off, s[0:3], 0 offset:132
	v_cmpx_lt_u32_e32 15, v0
	s_cbranch_execz .LBB31_175
; %bb.174:
	s_clause 0x1
	buffer_load_dword v67, off, s[0:3], 0 offset:120
	buffer_load_dword v68, off, s[0:3], 0 offset:124
	buffer_store_dword v66, off, s[0:3], 0 offset:120
	buffer_store_dword v66, off, s[0:3], 0 offset:124
	s_waitcnt vmcnt(0)
	ds_write_b64 v65, v[67:68]
.LBB31_175:
	s_or_b32 exec_lo, exec_lo, s4
	s_waitcnt lgkmcnt(0)
	s_waitcnt_vscnt null, 0x0
	s_barrier
	buffer_gl0_inv
	s_clause 0x21
	buffer_load_dword v99, off, s[0:3], 0 offset:132
	buffer_load_dword v100, off, s[0:3], 0 offset:140
	;; [unrolled: 1-line block ×34, first 2 shown]
	ds_read_b128 v[67:70], v66 offset:384
	ds_read_b128 v[71:74], v66 offset:400
	;; [unrolled: 1-line block ×8, first 2 shown]
	s_mov_b32 s4, exec_lo
	s_waitcnt vmcnt(33) lgkmcnt(7)
	v_mul_f32_e32 v66, v67, v99
	v_mul_f32_e32 v99, v68, v99
	s_waitcnt vmcnt(32)
	v_mul_f32_e32 v133, v69, v100
	v_mul_f32_e32 v100, v70, v100
	s_waitcnt vmcnt(31) lgkmcnt(6)
	v_mul_f32_e32 v134, v71, v101
	s_waitcnt vmcnt(30)
	v_mul_f32_e32 v135, v73, v102
	s_waitcnt vmcnt(29) lgkmcnt(5)
	v_mul_f32_e32 v136, v75, v103
	s_waitcnt vmcnt(28)
	v_mul_f32_e32 v137, v77, v104
	s_waitcnt vmcnt(27) lgkmcnt(4)
	v_mul_f32_e32 v138, v79, v105
	s_waitcnt vmcnt(26)
	v_mul_f32_e32 v139, v81, v106
	s_waitcnt vmcnt(25) lgkmcnt(3)
	v_mul_f32_e32 v140, v83, v107
	s_waitcnt vmcnt(24)
	v_mul_f32_e32 v141, v85, v108
	s_waitcnt vmcnt(23) lgkmcnt(2)
	v_mul_f32_e32 v142, v87, v109
	s_waitcnt vmcnt(22)
	v_mul_f32_e32 v143, v89, v110
	s_waitcnt vmcnt(21) lgkmcnt(1)
	v_mul_f32_e32 v144, v91, v111
	s_waitcnt vmcnt(20)
	v_mul_f32_e32 v145, v93, v112
	s_waitcnt vmcnt(17)
	v_fma_f32 v67, v67, v115, -v99
	v_fmac_f32_e32 v66, v68, v115
	v_mul_f32_e32 v68, v72, v101
	s_waitcnt vmcnt(16)
	v_fma_f32 v69, v69, v116, -v100
	v_fmac_f32_e32 v133, v70, v116
	v_add_f32_e32 v67, 0, v67
	v_add_f32_e32 v66, 0, v66
	v_mul_f32_e32 v70, v74, v102
	s_waitcnt vmcnt(15)
	v_fma_f32 v68, v71, v117, -v68
	v_fmac_f32_e32 v134, v72, v117
	v_add_f32_e32 v67, v67, v69
	v_add_f32_e32 v66, v66, v133
	v_mul_f32_e32 v69, v76, v103
	s_waitcnt vmcnt(14)
	v_fma_f32 v70, v73, v118, -v70
	v_fmac_f32_e32 v135, v74, v118
	v_add_f32_e32 v67, v67, v68
	v_add_f32_e32 v66, v66, v134
	v_mul_f32_e32 v68, v78, v104
	s_waitcnt vmcnt(13)
	v_fma_f32 v69, v75, v119, -v69
	v_fmac_f32_e32 v136, v76, v119
	v_add_f32_e32 v67, v67, v70
	v_add_f32_e32 v66, v66, v135
	v_mul_f32_e32 v70, v80, v105
	s_waitcnt vmcnt(12)
	v_fma_f32 v68, v77, v120, -v68
	v_fmac_f32_e32 v137, v78, v120
	v_add_f32_e32 v67, v67, v69
	v_add_f32_e32 v66, v66, v136
	v_mul_f32_e32 v69, v82, v106
	s_waitcnt vmcnt(11)
	v_fma_f32 v70, v79, v121, -v70
	v_fmac_f32_e32 v138, v80, v121
	v_add_f32_e32 v67, v67, v68
	v_add_f32_e32 v66, v66, v137
	v_mul_f32_e32 v68, v84, v107
	s_waitcnt vmcnt(10)
	v_fma_f32 v69, v81, v122, -v69
	v_fmac_f32_e32 v139, v82, v122
	v_add_f32_e32 v67, v67, v70
	v_add_f32_e32 v66, v66, v138
	v_mul_f32_e32 v70, v86, v108
	s_waitcnt vmcnt(9)
	v_fma_f32 v68, v83, v123, -v68
	v_fmac_f32_e32 v140, v84, v123
	v_add_f32_e32 v67, v67, v69
	v_add_f32_e32 v66, v66, v139
	v_mul_f32_e32 v69, v88, v109
	s_waitcnt vmcnt(8)
	v_fma_f32 v70, v85, v124, -v70
	v_fmac_f32_e32 v141, v86, v124
	v_add_f32_e32 v67, v67, v68
	v_add_f32_e32 v66, v66, v140
	v_mul_f32_e32 v68, v90, v110
	s_waitcnt vmcnt(7)
	v_fma_f32 v69, v87, v125, -v69
	v_fmac_f32_e32 v142, v88, v125
	v_add_f32_e32 v67, v67, v70
	v_add_f32_e32 v66, v66, v141
	v_mul_f32_e32 v70, v92, v111
	s_waitcnt vmcnt(6)
	v_fma_f32 v68, v89, v126, -v68
	v_fmac_f32_e32 v143, v90, v126
	v_add_f32_e32 v67, v67, v69
	v_add_f32_e32 v66, v66, v142
	v_mul_f32_e32 v69, v94, v112
	s_waitcnt vmcnt(5)
	v_fma_f32 v70, v91, v127, -v70
	v_fmac_f32_e32 v144, v92, v127
	v_add_f32_e32 v67, v67, v68
	v_add_f32_e32 v66, v66, v143
	s_waitcnt lgkmcnt(0)
	v_mul_f32_e32 v68, v96, v113
	s_waitcnt vmcnt(4)
	v_fma_f32 v69, v93, v128, -v69
	v_mul_f32_e32 v146, v95, v113
	v_add_f32_e32 v67, v67, v70
	v_fmac_f32_e32 v145, v94, v128
	v_add_f32_e32 v66, v66, v144
	v_mul_f32_e32 v70, v98, v114
	s_waitcnt vmcnt(3)
	v_fma_f32 v68, v95, v129, -v68
	v_add_f32_e32 v67, v67, v69
	v_mul_f32_e32 v147, v97, v114
	v_fmac_f32_e32 v146, v96, v129
	v_add_f32_e32 v66, v66, v145
	s_waitcnt vmcnt(2)
	v_fma_f32 v69, v97, v130, -v70
	v_add_f32_e32 v67, v67, v68
	v_fmac_f32_e32 v147, v98, v130
	v_add_f32_e32 v66, v66, v146
	v_add_f32_e32 v67, v67, v69
	;; [unrolled: 1-line block ×3, first 2 shown]
	s_waitcnt vmcnt(1)
	v_sub_f32_e32 v67, v131, v67
	s_waitcnt vmcnt(0)
	v_sub_f32_e32 v66, v132, v66
	buffer_store_dword v67, off, s[0:3], 0 offset:120
	buffer_store_dword v66, off, s[0:3], 0 offset:124
	v_cmpx_lt_u32_e32 14, v0
	s_cbranch_execz .LBB31_177
; %bb.176:
	s_clause 0x1
	buffer_load_dword v66, off, s[0:3], 0 offset:112
	buffer_load_dword v67, off, s[0:3], 0 offset:116
	v_mov_b32_e32 v68, 0
	buffer_store_dword v68, off, s[0:3], 0 offset:112
	buffer_store_dword v68, off, s[0:3], 0 offset:116
	s_waitcnt vmcnt(0)
	ds_write_b64 v65, v[66:67]
.LBB31_177:
	s_or_b32 exec_lo, exec_lo, s4
	s_waitcnt lgkmcnt(0)
	s_waitcnt_vscnt null, 0x0
	s_barrier
	buffer_gl0_inv
	s_clause 0x23
	buffer_load_dword v101, off, s[0:3], 0 offset:124
	buffer_load_dword v102, off, s[0:3], 0 offset:132
	buffer_load_dword v103, off, s[0:3], 0 offset:140
	buffer_load_dword v104, off, s[0:3], 0 offset:148
	buffer_load_dword v105, off, s[0:3], 0 offset:156
	buffer_load_dword v106, off, s[0:3], 0 offset:164
	buffer_load_dword v107, off, s[0:3], 0 offset:172
	buffer_load_dword v108, off, s[0:3], 0 offset:180
	buffer_load_dword v109, off, s[0:3], 0 offset:188
	buffer_load_dword v110, off, s[0:3], 0 offset:196
	buffer_load_dword v111, off, s[0:3], 0 offset:204
	buffer_load_dword v112, off, s[0:3], 0 offset:212
	buffer_load_dword v113, off, s[0:3], 0 offset:220
	buffer_load_dword v114, off, s[0:3], 0 offset:228
	buffer_load_dword v115, off, s[0:3], 0 offset:236
	buffer_load_dword v116, off, s[0:3], 0 offset:244
	buffer_load_dword v117, off, s[0:3], 0 offset:252
	buffer_load_dword v118, off, s[0:3], 0 offset:120
	buffer_load_dword v119, off, s[0:3], 0 offset:128
	buffer_load_dword v120, off, s[0:3], 0 offset:136
	buffer_load_dword v121, off, s[0:3], 0 offset:144
	buffer_load_dword v122, off, s[0:3], 0 offset:152
	buffer_load_dword v123, off, s[0:3], 0 offset:160
	buffer_load_dword v124, off, s[0:3], 0 offset:168
	buffer_load_dword v125, off, s[0:3], 0 offset:176
	buffer_load_dword v126, off, s[0:3], 0 offset:184
	buffer_load_dword v127, off, s[0:3], 0 offset:192
	buffer_load_dword v128, off, s[0:3], 0 offset:200
	buffer_load_dword v129, off, s[0:3], 0 offset:208
	buffer_load_dword v130, off, s[0:3], 0 offset:216
	buffer_load_dword v131, off, s[0:3], 0 offset:224
	buffer_load_dword v132, off, s[0:3], 0 offset:232
	buffer_load_dword v133, off, s[0:3], 0 offset:240
	buffer_load_dword v134, off, s[0:3], 0 offset:248
	buffer_load_dword v135, off, s[0:3], 0 offset:112
	buffer_load_dword v136, off, s[0:3], 0 offset:116
	v_mov_b32_e32 v66, 0
	ds_read2_b64 v[67:70], v66 offset0:47 offset1:48
	ds_read2_b64 v[71:74], v66 offset0:49 offset1:50
	;; [unrolled: 1-line block ×8, first 2 shown]
	ds_read_b64 v[99:100], v66 offset:504
	s_mov_b32 s4, exec_lo
	s_waitcnt vmcnt(35) lgkmcnt(8)
	v_mul_f32_e32 v137, v67, v101
	v_mul_f32_e32 v101, v68, v101
	s_waitcnt vmcnt(34)
	v_mul_f32_e32 v138, v69, v102
	v_mul_f32_e32 v102, v70, v102
	s_waitcnt vmcnt(33) lgkmcnt(7)
	v_mul_f32_e32 v139, v71, v103
	s_waitcnt vmcnt(32)
	v_mul_f32_e32 v140, v73, v104
	s_waitcnt vmcnt(31) lgkmcnt(6)
	v_mul_f32_e32 v141, v75, v105
	s_waitcnt vmcnt(30)
	;; [unrolled: 4-line block ×7, first 2 shown]
	v_fma_f32 v67, v67, v118, -v101
	v_fmac_f32_e32 v137, v68, v118
	v_mul_f32_e32 v68, v72, v103
	s_waitcnt vmcnt(17)
	v_fma_f32 v69, v69, v119, -v102
	v_fmac_f32_e32 v138, v70, v119
	v_add_f32_e32 v67, 0, v67
	v_add_f32_e32 v70, 0, v137
	v_mul_f32_e32 v101, v74, v104
	s_waitcnt vmcnt(16)
	v_fma_f32 v68, v71, v120, -v68
	v_fmac_f32_e32 v139, v72, v120
	v_add_f32_e32 v67, v67, v69
	v_add_f32_e32 v69, v70, v138
	;; [unrolled: 6-line block ×13, first 2 shown]
	v_mul_f32_e32 v71, v98, v116
	s_waitcnt vmcnt(4)
	v_fma_f32 v69, v95, v132, -v69
	v_mul_f32_e32 v152, v97, v116
	v_add_f32_e32 v67, v67, v70
	v_fmac_f32_e32 v151, v96, v132
	v_add_f32_e32 v68, v68, v150
	s_waitcnt lgkmcnt(0)
	v_mul_f32_e32 v70, v100, v117
	s_waitcnt vmcnt(3)
	v_fma_f32 v71, v97, v133, -v71
	v_add_f32_e32 v67, v67, v69
	v_mul_f32_e32 v153, v99, v117
	v_fmac_f32_e32 v152, v98, v133
	v_add_f32_e32 v68, v68, v151
	s_waitcnt vmcnt(2)
	v_fma_f32 v69, v99, v134, -v70
	v_add_f32_e32 v67, v67, v71
	v_fmac_f32_e32 v153, v100, v134
	v_add_f32_e32 v68, v68, v152
	v_add_f32_e32 v67, v67, v69
	;; [unrolled: 1-line block ×3, first 2 shown]
	s_waitcnt vmcnt(1)
	v_sub_f32_e32 v67, v135, v67
	s_waitcnt vmcnt(0)
	v_sub_f32_e32 v68, v136, v68
	buffer_store_dword v67, off, s[0:3], 0 offset:112
	buffer_store_dword v68, off, s[0:3], 0 offset:116
	v_cmpx_lt_u32_e32 13, v0
	s_cbranch_execz .LBB31_179
; %bb.178:
	s_clause 0x1
	buffer_load_dword v67, off, s[0:3], 0 offset:104
	buffer_load_dword v68, off, s[0:3], 0 offset:108
	buffer_store_dword v66, off, s[0:3], 0 offset:104
	buffer_store_dword v66, off, s[0:3], 0 offset:108
	s_waitcnt vmcnt(0)
	ds_write_b64 v65, v[67:68]
.LBB31_179:
	s_or_b32 exec_lo, exec_lo, s4
	s_waitcnt lgkmcnt(0)
	s_waitcnt_vscnt null, 0x0
	s_barrier
	buffer_gl0_inv
	s_clause 0x25
	buffer_load_dword v103, off, s[0:3], 0 offset:116
	buffer_load_dword v104, off, s[0:3], 0 offset:124
	;; [unrolled: 1-line block ×38, first 2 shown]
	ds_read_b128 v[67:70], v66 offset:368
	ds_read_b128 v[71:74], v66 offset:384
	ds_read_b128 v[75:78], v66 offset:400
	ds_read_b128 v[79:82], v66 offset:416
	ds_read_b128 v[83:86], v66 offset:432
	ds_read_b128 v[87:90], v66 offset:448
	ds_read_b128 v[91:94], v66 offset:464
	ds_read_b128 v[95:98], v66 offset:480
	ds_read_b128 v[99:102], v66 offset:496
	s_mov_b32 s4, exec_lo
	s_waitcnt vmcnt(37) lgkmcnt(8)
	v_mul_f32_e32 v66, v67, v103
	v_mul_f32_e32 v103, v68, v103
	s_waitcnt vmcnt(36)
	v_mul_f32_e32 v141, v69, v104
	v_mul_f32_e32 v104, v70, v104
	s_waitcnt vmcnt(35) lgkmcnt(7)
	v_mul_f32_e32 v142, v71, v105
	s_waitcnt vmcnt(34)
	v_mul_f32_e32 v143, v73, v106
	s_waitcnt vmcnt(33) lgkmcnt(6)
	v_mul_f32_e32 v144, v75, v107
	s_waitcnt vmcnt(32)
	;; [unrolled: 4-line block ×7, first 2 shown]
	v_mul_f32_e32 v155, v97, v118
	s_waitcnt vmcnt(19)
	v_fma_f32 v67, v67, v121, -v103
	v_fmac_f32_e32 v66, v68, v121
	v_mul_f32_e32 v68, v72, v105
	s_waitcnt vmcnt(18)
	v_fma_f32 v69, v69, v122, -v104
	v_fmac_f32_e32 v141, v70, v122
	v_add_f32_e32 v67, 0, v67
	v_add_f32_e32 v66, 0, v66
	v_mul_f32_e32 v70, v74, v106
	s_waitcnt vmcnt(17)
	v_fma_f32 v68, v71, v123, -v68
	v_fmac_f32_e32 v142, v72, v123
	v_add_f32_e32 v67, v67, v69
	v_add_f32_e32 v66, v66, v141
	;; [unrolled: 6-line block ×14, first 2 shown]
	s_waitcnt lgkmcnt(0)
	v_mul_f32_e32 v69, v100, v119
	s_waitcnt vmcnt(4)
	v_fma_f32 v70, v97, v136, -v70
	v_mul_f32_e32 v156, v99, v119
	v_add_f32_e32 v67, v67, v68
	v_fmac_f32_e32 v155, v98, v136
	v_add_f32_e32 v66, v66, v154
	v_mul_f32_e32 v68, v102, v120
	s_waitcnt vmcnt(3)
	v_fma_f32 v69, v99, v137, -v69
	v_add_f32_e32 v67, v67, v70
	v_mul_f32_e32 v157, v101, v120
	v_fmac_f32_e32 v156, v100, v137
	v_add_f32_e32 v66, v66, v155
	s_waitcnt vmcnt(2)
	v_fma_f32 v68, v101, v138, -v68
	v_add_f32_e32 v67, v67, v69
	v_fmac_f32_e32 v157, v102, v138
	v_add_f32_e32 v66, v66, v156
	v_add_f32_e32 v67, v67, v68
	;; [unrolled: 1-line block ×3, first 2 shown]
	s_waitcnt vmcnt(1)
	v_sub_f32_e32 v67, v139, v67
	s_waitcnt vmcnt(0)
	v_sub_f32_e32 v66, v140, v66
	buffer_store_dword v67, off, s[0:3], 0 offset:104
	buffer_store_dword v66, off, s[0:3], 0 offset:108
	v_cmpx_lt_u32_e32 12, v0
	s_cbranch_execz .LBB31_181
; %bb.180:
	s_clause 0x1
	buffer_load_dword v66, off, s[0:3], 0 offset:96
	buffer_load_dword v67, off, s[0:3], 0 offset:100
	v_mov_b32_e32 v68, 0
	buffer_store_dword v68, off, s[0:3], 0 offset:96
	buffer_store_dword v68, off, s[0:3], 0 offset:100
	s_waitcnt vmcnt(0)
	ds_write_b64 v65, v[66:67]
.LBB31_181:
	s_or_b32 exec_lo, exec_lo, s4
	s_waitcnt lgkmcnt(0)
	s_waitcnt_vscnt null, 0x0
	s_barrier
	buffer_gl0_inv
	s_clause 0x27
	buffer_load_dword v105, off, s[0:3], 0 offset:108
	buffer_load_dword v106, off, s[0:3], 0 offset:116
	buffer_load_dword v107, off, s[0:3], 0 offset:124
	buffer_load_dword v108, off, s[0:3], 0 offset:132
	buffer_load_dword v109, off, s[0:3], 0 offset:140
	buffer_load_dword v110, off, s[0:3], 0 offset:148
	buffer_load_dword v111, off, s[0:3], 0 offset:156
	buffer_load_dword v112, off, s[0:3], 0 offset:164
	buffer_load_dword v113, off, s[0:3], 0 offset:172
	buffer_load_dword v114, off, s[0:3], 0 offset:180
	buffer_load_dword v115, off, s[0:3], 0 offset:188
	buffer_load_dword v116, off, s[0:3], 0 offset:196
	buffer_load_dword v117, off, s[0:3], 0 offset:204
	buffer_load_dword v118, off, s[0:3], 0 offset:212
	buffer_load_dword v119, off, s[0:3], 0 offset:220
	buffer_load_dword v120, off, s[0:3], 0 offset:228
	buffer_load_dword v121, off, s[0:3], 0 offset:236
	buffer_load_dword v122, off, s[0:3], 0 offset:244
	buffer_load_dword v123, off, s[0:3], 0 offset:252
	buffer_load_dword v124, off, s[0:3], 0 offset:104
	buffer_load_dword v125, off, s[0:3], 0 offset:112
	buffer_load_dword v126, off, s[0:3], 0 offset:120
	buffer_load_dword v127, off, s[0:3], 0 offset:128
	buffer_load_dword v128, off, s[0:3], 0 offset:136
	buffer_load_dword v129, off, s[0:3], 0 offset:144
	buffer_load_dword v130, off, s[0:3], 0 offset:152
	buffer_load_dword v131, off, s[0:3], 0 offset:160
	buffer_load_dword v132, off, s[0:3], 0 offset:168
	buffer_load_dword v133, off, s[0:3], 0 offset:176
	buffer_load_dword v134, off, s[0:3], 0 offset:184
	buffer_load_dword v135, off, s[0:3], 0 offset:192
	buffer_load_dword v136, off, s[0:3], 0 offset:200
	buffer_load_dword v137, off, s[0:3], 0 offset:208
	buffer_load_dword v138, off, s[0:3], 0 offset:216
	buffer_load_dword v139, off, s[0:3], 0 offset:224
	buffer_load_dword v140, off, s[0:3], 0 offset:232
	buffer_load_dword v141, off, s[0:3], 0 offset:240
	buffer_load_dword v142, off, s[0:3], 0 offset:248
	buffer_load_dword v143, off, s[0:3], 0 offset:96
	buffer_load_dword v144, off, s[0:3], 0 offset:100
	v_mov_b32_e32 v66, 0
	ds_read2_b64 v[67:70], v66 offset0:45 offset1:46
	ds_read2_b64 v[71:74], v66 offset0:47 offset1:48
	;; [unrolled: 1-line block ×9, first 2 shown]
	ds_read_b64 v[103:104], v66 offset:504
	s_mov_b32 s4, exec_lo
	s_waitcnt vmcnt(39) lgkmcnt(9)
	v_mul_f32_e32 v145, v67, v105
	v_mul_f32_e32 v105, v68, v105
	s_waitcnt vmcnt(38)
	v_mul_f32_e32 v146, v69, v106
	v_mul_f32_e32 v106, v70, v106
	s_waitcnt vmcnt(37) lgkmcnt(8)
	v_mul_f32_e32 v147, v71, v107
	s_waitcnt vmcnt(36)
	v_mul_f32_e32 v148, v73, v108
	s_waitcnt vmcnt(35) lgkmcnt(7)
	v_mul_f32_e32 v149, v75, v109
	s_waitcnt vmcnt(34)
	;; [unrolled: 4-line block ×8, first 2 shown]
	v_fma_f32 v67, v67, v124, -v105
	v_fmac_f32_e32 v145, v68, v124
	v_mul_f32_e32 v68, v72, v107
	s_waitcnt vmcnt(19)
	v_fma_f32 v69, v69, v125, -v106
	v_fmac_f32_e32 v146, v70, v125
	v_add_f32_e32 v67, 0, v67
	v_add_f32_e32 v70, 0, v145
	v_mul_f32_e32 v105, v74, v108
	s_waitcnt vmcnt(18)
	v_fma_f32 v68, v71, v126, -v68
	v_fmac_f32_e32 v147, v72, v126
	v_add_f32_e32 v67, v67, v69
	v_add_f32_e32 v69, v70, v146
	;; [unrolled: 6-line block ×15, first 2 shown]
	v_mul_f32_e32 v69, v102, v122
	s_waitcnt vmcnt(4)
	v_fma_f32 v70, v99, v140, -v70
	v_mul_f32_e32 v162, v101, v122
	v_add_f32_e32 v67, v67, v71
	v_fmac_f32_e32 v161, v100, v140
	v_add_f32_e32 v68, v68, v160
	s_waitcnt lgkmcnt(0)
	v_mul_f32_e32 v71, v104, v123
	s_waitcnt vmcnt(3)
	v_fma_f32 v69, v101, v141, -v69
	v_add_f32_e32 v67, v67, v70
	v_mul_f32_e32 v163, v103, v123
	v_fmac_f32_e32 v162, v102, v141
	v_add_f32_e32 v68, v68, v161
	s_waitcnt vmcnt(2)
	v_fma_f32 v70, v103, v142, -v71
	v_add_f32_e32 v67, v67, v69
	v_fmac_f32_e32 v163, v104, v142
	v_add_f32_e32 v68, v68, v162
	v_add_f32_e32 v67, v67, v70
	;; [unrolled: 1-line block ×3, first 2 shown]
	s_waitcnt vmcnt(1)
	v_sub_f32_e32 v67, v143, v67
	s_waitcnt vmcnt(0)
	v_sub_f32_e32 v68, v144, v68
	buffer_store_dword v67, off, s[0:3], 0 offset:96
	buffer_store_dword v68, off, s[0:3], 0 offset:100
	v_cmpx_lt_u32_e32 11, v0
	s_cbranch_execz .LBB31_183
; %bb.182:
	s_clause 0x1
	buffer_load_dword v67, off, s[0:3], 0 offset:88
	buffer_load_dword v68, off, s[0:3], 0 offset:92
	buffer_store_dword v66, off, s[0:3], 0 offset:88
	buffer_store_dword v66, off, s[0:3], 0 offset:92
	s_waitcnt vmcnt(0)
	ds_write_b64 v65, v[67:68]
.LBB31_183:
	s_or_b32 exec_lo, exec_lo, s4
	s_waitcnt lgkmcnt(0)
	s_waitcnt_vscnt null, 0x0
	s_barrier
	buffer_gl0_inv
	s_clause 0x29
	buffer_load_dword v107, off, s[0:3], 0 offset:100
	buffer_load_dword v108, off, s[0:3], 0 offset:108
	;; [unrolled: 1-line block ×42, first 2 shown]
	ds_read_b128 v[67:70], v66 offset:352
	ds_read_b128 v[71:74], v66 offset:368
	ds_read_b128 v[75:78], v66 offset:384
	ds_read_b128 v[79:82], v66 offset:400
	ds_read_b128 v[83:86], v66 offset:416
	ds_read_b128 v[87:90], v66 offset:432
	ds_read_b128 v[91:94], v66 offset:448
	ds_read_b128 v[95:98], v66 offset:464
	ds_read_b128 v[99:102], v66 offset:480
	ds_read_b128 v[103:106], v66 offset:496
	s_mov_b32 s4, exec_lo
	s_waitcnt vmcnt(41) lgkmcnt(9)
	v_mul_f32_e32 v66, v67, v107
	v_mul_f32_e32 v107, v68, v107
	s_waitcnt vmcnt(40)
	v_mul_f32_e32 v149, v69, v108
	v_mul_f32_e32 v108, v70, v108
	s_waitcnt vmcnt(39) lgkmcnt(8)
	v_mul_f32_e32 v150, v71, v109
	s_waitcnt vmcnt(38)
	v_mul_f32_e32 v151, v73, v110
	s_waitcnt vmcnt(37) lgkmcnt(7)
	v_mul_f32_e32 v152, v75, v111
	s_waitcnt vmcnt(36)
	v_mul_f32_e32 v153, v77, v112
	s_waitcnt vmcnt(35) lgkmcnt(6)
	v_mul_f32_e32 v154, v79, v113
	s_waitcnt vmcnt(34)
	v_mul_f32_e32 v155, v81, v114
	s_waitcnt vmcnt(33) lgkmcnt(5)
	v_mul_f32_e32 v156, v83, v115
	s_waitcnt vmcnt(32)
	v_mul_f32_e32 v157, v85, v116
	s_waitcnt vmcnt(31) lgkmcnt(4)
	v_mul_f32_e32 v158, v87, v117
	s_waitcnt vmcnt(30)
	v_mul_f32_e32 v159, v89, v118
	s_waitcnt vmcnt(29) lgkmcnt(3)
	v_mul_f32_e32 v160, v91, v119
	s_waitcnt vmcnt(28)
	v_mul_f32_e32 v161, v93, v120
	s_waitcnt vmcnt(27) lgkmcnt(2)
	v_mul_f32_e32 v162, v95, v121
	s_waitcnt vmcnt(26)
	v_mul_f32_e32 v163, v97, v122
	s_waitcnt vmcnt(25) lgkmcnt(1)
	v_mul_f32_e32 v164, v99, v123
	s_waitcnt vmcnt(24)
	v_mul_f32_e32 v165, v101, v124
	s_waitcnt vmcnt(21)
	v_fma_f32 v67, v67, v127, -v107
	v_fmac_f32_e32 v66, v68, v127
	v_mul_f32_e32 v68, v72, v109
	s_waitcnt vmcnt(20)
	v_fma_f32 v69, v69, v128, -v108
	v_fmac_f32_e32 v149, v70, v128
	v_add_f32_e32 v67, 0, v67
	v_add_f32_e32 v66, 0, v66
	v_mul_f32_e32 v70, v74, v110
	s_waitcnt vmcnt(19)
	v_fma_f32 v68, v71, v129, -v68
	v_fmac_f32_e32 v150, v72, v129
	v_add_f32_e32 v67, v67, v69
	v_add_f32_e32 v66, v66, v149
	;; [unrolled: 6-line block ×16, first 2 shown]
	s_waitcnt lgkmcnt(0)
	v_mul_f32_e32 v70, v104, v125
	s_waitcnt vmcnt(4)
	v_fma_f32 v68, v101, v144, -v68
	v_mul_f32_e32 v166, v103, v125
	v_add_f32_e32 v67, v67, v69
	v_fmac_f32_e32 v165, v102, v144
	v_add_f32_e32 v66, v66, v164
	v_mul_f32_e32 v69, v106, v126
	s_waitcnt vmcnt(3)
	v_fma_f32 v70, v103, v145, -v70
	v_add_f32_e32 v67, v67, v68
	v_mul_f32_e32 v167, v105, v126
	v_fmac_f32_e32 v166, v104, v145
	v_add_f32_e32 v66, v66, v165
	s_waitcnt vmcnt(2)
	v_fma_f32 v68, v105, v146, -v69
	v_add_f32_e32 v67, v67, v70
	v_fmac_f32_e32 v167, v106, v146
	v_add_f32_e32 v66, v66, v166
	v_add_f32_e32 v67, v67, v68
	;; [unrolled: 1-line block ×3, first 2 shown]
	s_waitcnt vmcnt(1)
	v_sub_f32_e32 v67, v147, v67
	s_waitcnt vmcnt(0)
	v_sub_f32_e32 v66, v148, v66
	buffer_store_dword v67, off, s[0:3], 0 offset:88
	buffer_store_dword v66, off, s[0:3], 0 offset:92
	v_cmpx_lt_u32_e32 10, v0
	s_cbranch_execz .LBB31_185
; %bb.184:
	s_clause 0x1
	buffer_load_dword v66, off, s[0:3], 0 offset:80
	buffer_load_dword v67, off, s[0:3], 0 offset:84
	v_mov_b32_e32 v68, 0
	buffer_store_dword v68, off, s[0:3], 0 offset:80
	buffer_store_dword v68, off, s[0:3], 0 offset:84
	s_waitcnt vmcnt(0)
	ds_write_b64 v65, v[66:67]
.LBB31_185:
	s_or_b32 exec_lo, exec_lo, s4
	s_waitcnt lgkmcnt(0)
	s_waitcnt_vscnt null, 0x0
	s_barrier
	buffer_gl0_inv
	s_clause 0x2b
	buffer_load_dword v109, off, s[0:3], 0 offset:92
	buffer_load_dword v110, off, s[0:3], 0 offset:100
	;; [unrolled: 1-line block ×44, first 2 shown]
	v_mov_b32_e32 v66, 0
	ds_read2_b64 v[67:70], v66 offset0:43 offset1:44
	ds_read2_b64 v[71:74], v66 offset0:45 offset1:46
	;; [unrolled: 1-line block ×10, first 2 shown]
	ds_read_b64 v[107:108], v66 offset:504
	s_mov_b32 s4, exec_lo
	s_waitcnt vmcnt(43) lgkmcnt(10)
	v_mul_f32_e32 v153, v67, v109
	v_mul_f32_e32 v109, v68, v109
	s_waitcnt vmcnt(42)
	v_mul_f32_e32 v154, v69, v110
	v_mul_f32_e32 v110, v70, v110
	s_waitcnt vmcnt(41) lgkmcnt(9)
	v_mul_f32_e32 v155, v71, v111
	s_waitcnt vmcnt(40)
	v_mul_f32_e32 v156, v73, v112
	s_waitcnt vmcnt(39) lgkmcnt(8)
	v_mul_f32_e32 v157, v75, v113
	s_waitcnt vmcnt(38)
	;; [unrolled: 4-line block ×9, first 2 shown]
	v_fma_f32 v67, v67, v130, -v109
	v_fmac_f32_e32 v153, v68, v130
	v_mul_f32_e32 v68, v72, v111
	s_waitcnt vmcnt(21)
	v_fma_f32 v69, v69, v131, -v110
	v_fmac_f32_e32 v154, v70, v131
	v_add_f32_e32 v67, 0, v67
	v_add_f32_e32 v70, 0, v153
	v_mul_f32_e32 v109, v74, v112
	s_waitcnt vmcnt(20)
	v_fma_f32 v68, v71, v132, -v68
	v_fmac_f32_e32 v155, v72, v132
	v_add_f32_e32 v67, v67, v69
	v_add_f32_e32 v69, v70, v154
	;; [unrolled: 6-line block ×17, first 2 shown]
	v_mul_f32_e32 v70, v106, v128
	s_waitcnt vmcnt(4)
	v_fma_f32 v71, v103, v148, -v71
	v_mul_f32_e32 v172, v105, v128
	v_add_f32_e32 v67, v67, v69
	v_fmac_f32_e32 v171, v104, v148
	v_add_f32_e32 v68, v68, v170
	s_waitcnt lgkmcnt(0)
	v_mul_f32_e32 v69, v108, v129
	s_waitcnt vmcnt(3)
	v_fma_f32 v70, v105, v149, -v70
	v_add_f32_e32 v67, v67, v71
	v_mul_f32_e32 v173, v107, v129
	v_fmac_f32_e32 v172, v106, v149
	v_add_f32_e32 v68, v68, v171
	s_waitcnt vmcnt(2)
	v_fma_f32 v69, v107, v150, -v69
	v_add_f32_e32 v67, v67, v70
	v_fmac_f32_e32 v173, v108, v150
	v_add_f32_e32 v68, v68, v172
	v_add_f32_e32 v67, v67, v69
	;; [unrolled: 1-line block ×3, first 2 shown]
	s_waitcnt vmcnt(1)
	v_sub_f32_e32 v67, v151, v67
	s_waitcnt vmcnt(0)
	v_sub_f32_e32 v68, v152, v68
	buffer_store_dword v67, off, s[0:3], 0 offset:80
	buffer_store_dword v68, off, s[0:3], 0 offset:84
	v_cmpx_lt_u32_e32 9, v0
	s_cbranch_execz .LBB31_187
; %bb.186:
	s_clause 0x1
	buffer_load_dword v67, off, s[0:3], 0 offset:72
	buffer_load_dword v68, off, s[0:3], 0 offset:76
	buffer_store_dword v66, off, s[0:3], 0 offset:72
	buffer_store_dword v66, off, s[0:3], 0 offset:76
	s_waitcnt vmcnt(0)
	ds_write_b64 v65, v[67:68]
.LBB31_187:
	s_or_b32 exec_lo, exec_lo, s4
	s_waitcnt lgkmcnt(0)
	s_waitcnt_vscnt null, 0x0
	s_barrier
	buffer_gl0_inv
	s_clause 0x2d
	buffer_load_dword v111, off, s[0:3], 0 offset:84
	buffer_load_dword v112, off, s[0:3], 0 offset:92
	;; [unrolled: 1-line block ×46, first 2 shown]
	ds_read_b128 v[67:70], v66 offset:336
	ds_read_b128 v[71:74], v66 offset:352
	;; [unrolled: 1-line block ×11, first 2 shown]
	s_mov_b32 s4, exec_lo
	s_waitcnt vmcnt(45) lgkmcnt(10)
	v_mul_f32_e32 v66, v67, v111
	v_mul_f32_e32 v111, v68, v111
	s_waitcnt vmcnt(44)
	v_mul_f32_e32 v157, v69, v112
	v_mul_f32_e32 v112, v70, v112
	s_waitcnt vmcnt(43) lgkmcnt(9)
	v_mul_f32_e32 v158, v71, v113
	s_waitcnt vmcnt(42)
	v_mul_f32_e32 v159, v73, v114
	s_waitcnt vmcnt(41) lgkmcnt(8)
	v_mul_f32_e32 v160, v75, v115
	s_waitcnt vmcnt(40)
	;; [unrolled: 4-line block ×9, first 2 shown]
	v_mul_f32_e32 v175, v105, v130
	s_waitcnt vmcnt(23)
	v_fma_f32 v67, v67, v133, -v111
	v_fmac_f32_e32 v66, v68, v133
	v_mul_f32_e32 v68, v72, v113
	s_waitcnt vmcnt(22)
	v_fma_f32 v69, v69, v134, -v112
	v_fmac_f32_e32 v157, v70, v134
	v_add_f32_e32 v67, 0, v67
	v_add_f32_e32 v66, 0, v66
	v_mul_f32_e32 v70, v74, v114
	s_waitcnt vmcnt(21)
	v_fma_f32 v68, v71, v135, -v68
	v_fmac_f32_e32 v158, v72, v135
	v_add_f32_e32 v67, v67, v69
	v_add_f32_e32 v66, v66, v157
	;; [unrolled: 6-line block ×18, first 2 shown]
	s_waitcnt lgkmcnt(0)
	v_mul_f32_e32 v68, v108, v131
	s_waitcnt vmcnt(4)
	v_fma_f32 v69, v105, v152, -v69
	v_mul_f32_e32 v176, v107, v131
	v_add_f32_e32 v67, v67, v70
	v_fmac_f32_e32 v175, v106, v152
	v_add_f32_e32 v66, v66, v174
	v_mul_f32_e32 v70, v110, v132
	s_waitcnt vmcnt(3)
	v_fma_f32 v68, v107, v153, -v68
	v_add_f32_e32 v67, v67, v69
	v_mul_f32_e32 v177, v109, v132
	v_fmac_f32_e32 v176, v108, v153
	v_add_f32_e32 v66, v66, v175
	s_waitcnt vmcnt(2)
	v_fma_f32 v69, v109, v154, -v70
	v_add_f32_e32 v67, v67, v68
	v_fmac_f32_e32 v177, v110, v154
	v_add_f32_e32 v66, v66, v176
	v_add_f32_e32 v67, v67, v69
	;; [unrolled: 1-line block ×3, first 2 shown]
	s_waitcnt vmcnt(1)
	v_sub_f32_e32 v67, v155, v67
	s_waitcnt vmcnt(0)
	v_sub_f32_e32 v66, v156, v66
	buffer_store_dword v67, off, s[0:3], 0 offset:72
	buffer_store_dword v66, off, s[0:3], 0 offset:76
	v_cmpx_lt_u32_e32 8, v0
	s_cbranch_execz .LBB31_189
; %bb.188:
	s_clause 0x1
	buffer_load_dword v66, off, s[0:3], 0 offset:64
	buffer_load_dword v67, off, s[0:3], 0 offset:68
	v_mov_b32_e32 v68, 0
	buffer_store_dword v68, off, s[0:3], 0 offset:64
	buffer_store_dword v68, off, s[0:3], 0 offset:68
	s_waitcnt vmcnt(0)
	ds_write_b64 v65, v[66:67]
.LBB31_189:
	s_or_b32 exec_lo, exec_lo, s4
	s_waitcnt lgkmcnt(0)
	s_waitcnt_vscnt null, 0x0
	s_barrier
	buffer_gl0_inv
	s_clause 0x2f
	buffer_load_dword v113, off, s[0:3], 0 offset:76
	buffer_load_dword v114, off, s[0:3], 0 offset:84
	;; [unrolled: 1-line block ×48, first 2 shown]
	v_mov_b32_e32 v66, 0
	ds_read2_b64 v[67:70], v66 offset0:41 offset1:42
	ds_read2_b64 v[71:74], v66 offset0:43 offset1:44
	;; [unrolled: 1-line block ×11, first 2 shown]
	ds_read_b64 v[111:112], v66 offset:504
	s_mov_b32 s4, exec_lo
	s_waitcnt vmcnt(47) lgkmcnt(11)
	v_mul_f32_e32 v161, v67, v113
	v_mul_f32_e32 v113, v68, v113
	s_waitcnt vmcnt(46)
	v_mul_f32_e32 v162, v69, v114
	v_mul_f32_e32 v114, v70, v114
	s_waitcnt vmcnt(45) lgkmcnt(10)
	v_mul_f32_e32 v163, v71, v115
	s_waitcnt vmcnt(44)
	v_mul_f32_e32 v164, v73, v116
	s_waitcnt vmcnt(43) lgkmcnt(9)
	v_mul_f32_e32 v165, v75, v117
	s_waitcnt vmcnt(42)
	;; [unrolled: 4-line block ×10, first 2 shown]
	v_fma_f32 v67, v67, v136, -v113
	v_fmac_f32_e32 v161, v68, v136
	v_mul_f32_e32 v68, v72, v115
	s_waitcnt vmcnt(23)
	v_fma_f32 v69, v69, v137, -v114
	v_fmac_f32_e32 v162, v70, v137
	v_add_f32_e32 v67, 0, v67
	v_add_f32_e32 v70, 0, v161
	v_mul_f32_e32 v113, v74, v116
	s_waitcnt vmcnt(22)
	v_fma_f32 v68, v71, v138, -v68
	v_fmac_f32_e32 v163, v72, v138
	v_add_f32_e32 v67, v67, v69
	v_add_f32_e32 v69, v70, v162
	;; [unrolled: 6-line block ×19, first 2 shown]
	v_mul_f32_e32 v71, v110, v134
	s_waitcnt vmcnt(4)
	v_fma_f32 v69, v107, v156, -v69
	v_mul_f32_e32 v182, v109, v134
	v_add_f32_e32 v67, v67, v70
	v_fmac_f32_e32 v181, v108, v156
	v_add_f32_e32 v68, v68, v180
	s_waitcnt lgkmcnt(0)
	v_mul_f32_e32 v70, v112, v135
	s_waitcnt vmcnt(3)
	v_fma_f32 v71, v109, v157, -v71
	v_add_f32_e32 v67, v67, v69
	v_mul_f32_e32 v183, v111, v135
	v_fmac_f32_e32 v182, v110, v157
	v_add_f32_e32 v68, v68, v181
	s_waitcnt vmcnt(2)
	v_fma_f32 v69, v111, v158, -v70
	v_add_f32_e32 v67, v67, v71
	v_fmac_f32_e32 v183, v112, v158
	v_add_f32_e32 v68, v68, v182
	v_add_f32_e32 v67, v67, v69
	;; [unrolled: 1-line block ×3, first 2 shown]
	s_waitcnt vmcnt(1)
	v_sub_f32_e32 v67, v159, v67
	s_waitcnt vmcnt(0)
	v_sub_f32_e32 v68, v160, v68
	buffer_store_dword v67, off, s[0:3], 0 offset:64
	buffer_store_dword v68, off, s[0:3], 0 offset:68
	v_cmpx_lt_u32_e32 7, v0
	s_cbranch_execz .LBB31_191
; %bb.190:
	s_clause 0x1
	buffer_load_dword v67, off, s[0:3], 0 offset:56
	buffer_load_dword v68, off, s[0:3], 0 offset:60
	buffer_store_dword v66, off, s[0:3], 0 offset:56
	buffer_store_dword v66, off, s[0:3], 0 offset:60
	s_waitcnt vmcnt(0)
	ds_write_b64 v65, v[67:68]
.LBB31_191:
	s_or_b32 exec_lo, exec_lo, s4
	s_waitcnt lgkmcnt(0)
	s_waitcnt_vscnt null, 0x0
	s_barrier
	buffer_gl0_inv
	s_clause 0x31
	buffer_load_dword v115, off, s[0:3], 0 offset:68
	buffer_load_dword v116, off, s[0:3], 0 offset:76
	;; [unrolled: 1-line block ×50, first 2 shown]
	ds_read_b128 v[67:70], v66 offset:320
	ds_read_b128 v[71:74], v66 offset:336
	;; [unrolled: 1-line block ×12, first 2 shown]
	s_mov_b32 s4, exec_lo
	s_waitcnt vmcnt(49) lgkmcnt(11)
	v_mul_f32_e32 v66, v67, v115
	v_mul_f32_e32 v115, v68, v115
	s_waitcnt vmcnt(48)
	v_mul_f32_e32 v165, v69, v116
	v_mul_f32_e32 v116, v70, v116
	s_waitcnt vmcnt(47) lgkmcnt(10)
	v_mul_f32_e32 v166, v71, v117
	s_waitcnt vmcnt(46)
	v_mul_f32_e32 v167, v73, v118
	s_waitcnt vmcnt(45) lgkmcnt(9)
	v_mul_f32_e32 v168, v75, v119
	s_waitcnt vmcnt(44)
	;; [unrolled: 4-line block ×10, first 2 shown]
	v_mul_f32_e32 v185, v109, v136
	s_waitcnt vmcnt(25)
	v_fma_f32 v67, v67, v139, -v115
	v_fmac_f32_e32 v66, v68, v139
	v_mul_f32_e32 v68, v72, v117
	s_waitcnt vmcnt(24)
	v_fma_f32 v69, v69, v140, -v116
	v_fmac_f32_e32 v165, v70, v140
	v_add_f32_e32 v67, 0, v67
	v_add_f32_e32 v66, 0, v66
	v_mul_f32_e32 v70, v74, v118
	s_waitcnt vmcnt(23)
	v_fma_f32 v68, v71, v141, -v68
	v_fmac_f32_e32 v166, v72, v141
	v_add_f32_e32 v67, v67, v69
	v_add_f32_e32 v66, v66, v165
	;; [unrolled: 6-line block ×20, first 2 shown]
	s_waitcnt lgkmcnt(0)
	v_mul_f32_e32 v69, v112, v137
	s_waitcnt vmcnt(4)
	v_fma_f32 v70, v109, v160, -v70
	v_mul_f32_e32 v186, v111, v137
	v_add_f32_e32 v67, v67, v68
	v_fmac_f32_e32 v185, v110, v160
	v_add_f32_e32 v66, v66, v184
	v_mul_f32_e32 v68, v114, v138
	s_waitcnt vmcnt(3)
	v_fma_f32 v69, v111, v161, -v69
	v_add_f32_e32 v67, v67, v70
	v_mul_f32_e32 v187, v113, v138
	v_fmac_f32_e32 v186, v112, v161
	v_add_f32_e32 v66, v66, v185
	s_waitcnt vmcnt(2)
	v_fma_f32 v68, v113, v162, -v68
	v_add_f32_e32 v67, v67, v69
	v_fmac_f32_e32 v187, v114, v162
	v_add_f32_e32 v66, v66, v186
	v_add_f32_e32 v67, v67, v68
	;; [unrolled: 1-line block ×3, first 2 shown]
	s_waitcnt vmcnt(1)
	v_sub_f32_e32 v67, v163, v67
	s_waitcnt vmcnt(0)
	v_sub_f32_e32 v66, v164, v66
	buffer_store_dword v67, off, s[0:3], 0 offset:56
	buffer_store_dword v66, off, s[0:3], 0 offset:60
	v_cmpx_lt_u32_e32 6, v0
	s_cbranch_execz .LBB31_193
; %bb.192:
	s_clause 0x1
	buffer_load_dword v66, off, s[0:3], 0 offset:48
	buffer_load_dword v67, off, s[0:3], 0 offset:52
	v_mov_b32_e32 v68, 0
	buffer_store_dword v68, off, s[0:3], 0 offset:48
	buffer_store_dword v68, off, s[0:3], 0 offset:52
	s_waitcnt vmcnt(0)
	ds_write_b64 v65, v[66:67]
.LBB31_193:
	s_or_b32 exec_lo, exec_lo, s4
	s_waitcnt lgkmcnt(0)
	s_waitcnt_vscnt null, 0x0
	s_barrier
	buffer_gl0_inv
	s_clause 0x33
	buffer_load_dword v117, off, s[0:3], 0 offset:60
	buffer_load_dword v118, off, s[0:3], 0 offset:68
	buffer_load_dword v119, off, s[0:3], 0 offset:76
	buffer_load_dword v120, off, s[0:3], 0 offset:84
	buffer_load_dword v121, off, s[0:3], 0 offset:92
	buffer_load_dword v122, off, s[0:3], 0 offset:100
	buffer_load_dword v123, off, s[0:3], 0 offset:108
	buffer_load_dword v124, off, s[0:3], 0 offset:116
	buffer_load_dword v125, off, s[0:3], 0 offset:124
	buffer_load_dword v126, off, s[0:3], 0 offset:132
	buffer_load_dword v127, off, s[0:3], 0 offset:140
	buffer_load_dword v128, off, s[0:3], 0 offset:148
	buffer_load_dword v129, off, s[0:3], 0 offset:156
	buffer_load_dword v130, off, s[0:3], 0 offset:164
	buffer_load_dword v131, off, s[0:3], 0 offset:172
	buffer_load_dword v132, off, s[0:3], 0 offset:180
	buffer_load_dword v133, off, s[0:3], 0 offset:188
	buffer_load_dword v134, off, s[0:3], 0 offset:196
	buffer_load_dword v135, off, s[0:3], 0 offset:204
	buffer_load_dword v136, off, s[0:3], 0 offset:212
	buffer_load_dword v137, off, s[0:3], 0 offset:220
	buffer_load_dword v138, off, s[0:3], 0 offset:228
	buffer_load_dword v139, off, s[0:3], 0 offset:236
	buffer_load_dword v140, off, s[0:3], 0 offset:244
	buffer_load_dword v141, off, s[0:3], 0 offset:252
	buffer_load_dword v142, off, s[0:3], 0 offset:56
	buffer_load_dword v143, off, s[0:3], 0 offset:64
	buffer_load_dword v144, off, s[0:3], 0 offset:72
	buffer_load_dword v145, off, s[0:3], 0 offset:80
	buffer_load_dword v146, off, s[0:3], 0 offset:88
	buffer_load_dword v147, off, s[0:3], 0 offset:96
	buffer_load_dword v148, off, s[0:3], 0 offset:104
	buffer_load_dword v149, off, s[0:3], 0 offset:112
	buffer_load_dword v150, off, s[0:3], 0 offset:120
	buffer_load_dword v151, off, s[0:3], 0 offset:128
	buffer_load_dword v152, off, s[0:3], 0 offset:136
	buffer_load_dword v153, off, s[0:3], 0 offset:144
	buffer_load_dword v154, off, s[0:3], 0 offset:152
	buffer_load_dword v155, off, s[0:3], 0 offset:160
	buffer_load_dword v156, off, s[0:3], 0 offset:168
	buffer_load_dword v157, off, s[0:3], 0 offset:176
	buffer_load_dword v158, off, s[0:3], 0 offset:184
	buffer_load_dword v159, off, s[0:3], 0 offset:192
	buffer_load_dword v160, off, s[0:3], 0 offset:200
	buffer_load_dword v161, off, s[0:3], 0 offset:208
	buffer_load_dword v162, off, s[0:3], 0 offset:216
	buffer_load_dword v163, off, s[0:3], 0 offset:224
	buffer_load_dword v164, off, s[0:3], 0 offset:232
	buffer_load_dword v165, off, s[0:3], 0 offset:240
	buffer_load_dword v166, off, s[0:3], 0 offset:248
	buffer_load_dword v167, off, s[0:3], 0 offset:48
	buffer_load_dword v168, off, s[0:3], 0 offset:52
	v_mov_b32_e32 v66, 0
	ds_read2_b64 v[67:70], v66 offset0:39 offset1:40
	ds_read2_b64 v[71:74], v66 offset0:41 offset1:42
	;; [unrolled: 1-line block ×12, first 2 shown]
	ds_read_b64 v[115:116], v66 offset:504
	s_mov_b32 s4, exec_lo
	s_waitcnt vmcnt(51) lgkmcnt(12)
	v_mul_f32_e32 v169, v67, v117
	v_mul_f32_e32 v117, v68, v117
	s_waitcnt vmcnt(50)
	v_mul_f32_e32 v170, v69, v118
	v_mul_f32_e32 v118, v70, v118
	s_waitcnt vmcnt(49) lgkmcnt(11)
	v_mul_f32_e32 v171, v71, v119
	s_waitcnt vmcnt(48)
	v_mul_f32_e32 v172, v73, v120
	s_waitcnt vmcnt(47) lgkmcnt(10)
	v_mul_f32_e32 v173, v75, v121
	s_waitcnt vmcnt(46)
	;; [unrolled: 4-line block ×11, first 2 shown]
	v_fma_f32 v67, v67, v142, -v117
	v_fmac_f32_e32 v169, v68, v142
	v_mul_f32_e32 v68, v72, v119
	s_waitcnt vmcnt(25)
	v_fma_f32 v69, v69, v143, -v118
	v_fmac_f32_e32 v170, v70, v143
	v_add_f32_e32 v67, 0, v67
	v_add_f32_e32 v70, 0, v169
	v_mul_f32_e32 v117, v74, v120
	s_waitcnt vmcnt(24)
	v_fma_f32 v68, v71, v144, -v68
	v_fmac_f32_e32 v171, v72, v144
	v_add_f32_e32 v67, v67, v69
	v_add_f32_e32 v69, v70, v170
	;; [unrolled: 6-line block ×21, first 2 shown]
	v_mul_f32_e32 v69, v114, v140
	s_waitcnt vmcnt(4)
	v_fma_f32 v70, v111, v164, -v70
	v_mul_f32_e32 v192, v113, v140
	v_add_f32_e32 v67, v67, v71
	v_fmac_f32_e32 v191, v112, v164
	v_add_f32_e32 v68, v68, v190
	s_waitcnt lgkmcnt(0)
	v_mul_f32_e32 v71, v116, v141
	s_waitcnt vmcnt(3)
	v_fma_f32 v69, v113, v165, -v69
	v_add_f32_e32 v67, v67, v70
	v_mul_f32_e32 v193, v115, v141
	v_fmac_f32_e32 v192, v114, v165
	v_add_f32_e32 v68, v68, v191
	s_waitcnt vmcnt(2)
	v_fma_f32 v70, v115, v166, -v71
	v_add_f32_e32 v67, v67, v69
	v_fmac_f32_e32 v193, v116, v166
	v_add_f32_e32 v68, v68, v192
	v_add_f32_e32 v67, v67, v70
	;; [unrolled: 1-line block ×3, first 2 shown]
	s_waitcnt vmcnt(1)
	v_sub_f32_e32 v67, v167, v67
	s_waitcnt vmcnt(0)
	v_sub_f32_e32 v68, v168, v68
	buffer_store_dword v67, off, s[0:3], 0 offset:48
	buffer_store_dword v68, off, s[0:3], 0 offset:52
	v_cmpx_lt_u32_e32 5, v0
	s_cbranch_execz .LBB31_195
; %bb.194:
	s_clause 0x1
	buffer_load_dword v67, off, s[0:3], 0 offset:40
	buffer_load_dword v68, off, s[0:3], 0 offset:44
	buffer_store_dword v66, off, s[0:3], 0 offset:40
	buffer_store_dword v66, off, s[0:3], 0 offset:44
	s_waitcnt vmcnt(0)
	ds_write_b64 v65, v[67:68]
.LBB31_195:
	s_or_b32 exec_lo, exec_lo, s4
	s_waitcnt lgkmcnt(0)
	s_waitcnt_vscnt null, 0x0
	s_barrier
	buffer_gl0_inv
	s_clause 0x35
	buffer_load_dword v119, off, s[0:3], 0 offset:52
	buffer_load_dword v120, off, s[0:3], 0 offset:60
	;; [unrolled: 1-line block ×54, first 2 shown]
	ds_read_b128 v[67:70], v66 offset:304
	ds_read_b128 v[71:74], v66 offset:320
	;; [unrolled: 1-line block ×13, first 2 shown]
	s_mov_b32 s4, exec_lo
	s_waitcnt vmcnt(53) lgkmcnt(12)
	v_mul_f32_e32 v66, v67, v119
	v_mul_f32_e32 v119, v68, v119
	s_waitcnt vmcnt(52)
	v_mul_f32_e32 v173, v69, v120
	v_mul_f32_e32 v120, v70, v120
	s_waitcnt vmcnt(51) lgkmcnt(11)
	v_mul_f32_e32 v174, v71, v121
	s_waitcnt vmcnt(50)
	v_mul_f32_e32 v175, v73, v122
	s_waitcnt vmcnt(49) lgkmcnt(10)
	v_mul_f32_e32 v176, v75, v123
	s_waitcnt vmcnt(48)
	;; [unrolled: 4-line block ×11, first 2 shown]
	v_mul_f32_e32 v195, v113, v142
	s_waitcnt vmcnt(27)
	v_fma_f32 v67, v67, v145, -v119
	v_fmac_f32_e32 v66, v68, v145
	v_mul_f32_e32 v68, v72, v121
	s_waitcnt vmcnt(26)
	v_fma_f32 v69, v69, v146, -v120
	v_fmac_f32_e32 v173, v70, v146
	v_add_f32_e32 v67, 0, v67
	v_add_f32_e32 v66, 0, v66
	v_mul_f32_e32 v70, v74, v122
	s_waitcnt vmcnt(25)
	v_fma_f32 v68, v71, v147, -v68
	v_fmac_f32_e32 v174, v72, v147
	v_add_f32_e32 v67, v67, v69
	v_add_f32_e32 v66, v66, v173
	;; [unrolled: 6-line block ×22, first 2 shown]
	s_waitcnt lgkmcnt(0)
	v_mul_f32_e32 v70, v116, v143
	s_waitcnt vmcnt(4)
	v_fma_f32 v68, v113, v168, -v68
	v_mul_f32_e32 v196, v115, v143
	v_add_f32_e32 v67, v67, v69
	v_fmac_f32_e32 v195, v114, v168
	v_add_f32_e32 v66, v66, v194
	v_mul_f32_e32 v69, v118, v144
	s_waitcnt vmcnt(3)
	v_fma_f32 v70, v115, v169, -v70
	v_add_f32_e32 v67, v67, v68
	v_mul_f32_e32 v197, v117, v144
	v_fmac_f32_e32 v196, v116, v169
	v_add_f32_e32 v66, v66, v195
	s_waitcnt vmcnt(2)
	v_fma_f32 v68, v117, v170, -v69
	v_add_f32_e32 v67, v67, v70
	v_fmac_f32_e32 v197, v118, v170
	v_add_f32_e32 v66, v66, v196
	v_add_f32_e32 v67, v67, v68
	;; [unrolled: 1-line block ×3, first 2 shown]
	s_waitcnt vmcnt(1)
	v_sub_f32_e32 v67, v171, v67
	s_waitcnt vmcnt(0)
	v_sub_f32_e32 v66, v172, v66
	buffer_store_dword v67, off, s[0:3], 0 offset:40
	buffer_store_dword v66, off, s[0:3], 0 offset:44
	v_cmpx_lt_u32_e32 4, v0
	s_cbranch_execz .LBB31_197
; %bb.196:
	s_clause 0x1
	buffer_load_dword v66, off, s[0:3], 0 offset:32
	buffer_load_dword v67, off, s[0:3], 0 offset:36
	v_mov_b32_e32 v68, 0
	buffer_store_dword v68, off, s[0:3], 0 offset:32
	buffer_store_dword v68, off, s[0:3], 0 offset:36
	s_waitcnt vmcnt(0)
	ds_write_b64 v65, v[66:67]
.LBB31_197:
	s_or_b32 exec_lo, exec_lo, s4
	s_waitcnt lgkmcnt(0)
	s_waitcnt_vscnt null, 0x0
	s_barrier
	buffer_gl0_inv
	s_clause 0x37
	buffer_load_dword v121, off, s[0:3], 0 offset:44
	buffer_load_dword v122, off, s[0:3], 0 offset:52
	;; [unrolled: 1-line block ×56, first 2 shown]
	v_mov_b32_e32 v66, 0
	ds_read2_b64 v[67:70], v66 offset0:37 offset1:38
	ds_read2_b64 v[71:74], v66 offset0:39 offset1:40
	;; [unrolled: 1-line block ×13, first 2 shown]
	ds_read_b64 v[119:120], v66 offset:504
	s_mov_b32 s4, exec_lo
	s_waitcnt vmcnt(55) lgkmcnt(13)
	v_mul_f32_e32 v177, v67, v121
	v_mul_f32_e32 v121, v68, v121
	s_waitcnt vmcnt(54)
	v_mul_f32_e32 v178, v69, v122
	v_mul_f32_e32 v122, v70, v122
	s_waitcnt vmcnt(53) lgkmcnt(12)
	v_mul_f32_e32 v179, v71, v123
	s_waitcnt vmcnt(52)
	v_mul_f32_e32 v180, v73, v124
	s_waitcnt vmcnt(51) lgkmcnt(11)
	v_mul_f32_e32 v181, v75, v125
	s_waitcnt vmcnt(50)
	;; [unrolled: 4-line block ×12, first 2 shown]
	v_fma_f32 v67, v67, v148, -v121
	v_fmac_f32_e32 v177, v68, v148
	v_mul_f32_e32 v68, v72, v123
	s_waitcnt vmcnt(27)
	v_fma_f32 v69, v69, v149, -v122
	v_fmac_f32_e32 v178, v70, v149
	v_add_f32_e32 v67, 0, v67
	v_add_f32_e32 v70, 0, v177
	v_mul_f32_e32 v121, v74, v124
	s_waitcnt vmcnt(26)
	v_fma_f32 v68, v71, v150, -v68
	v_fmac_f32_e32 v179, v72, v150
	v_add_f32_e32 v67, v67, v69
	v_add_f32_e32 v69, v70, v178
	;; [unrolled: 6-line block ×23, first 2 shown]
	v_mul_f32_e32 v70, v118, v146
	s_waitcnt vmcnt(4)
	v_fma_f32 v71, v115, v172, -v71
	v_mul_f32_e32 v202, v117, v146
	v_add_f32_e32 v67, v67, v69
	v_fmac_f32_e32 v201, v116, v172
	v_add_f32_e32 v68, v68, v200
	s_waitcnt lgkmcnt(0)
	v_mul_f32_e32 v69, v120, v147
	s_waitcnt vmcnt(3)
	v_fma_f32 v70, v117, v173, -v70
	v_add_f32_e32 v67, v67, v71
	v_mul_f32_e32 v203, v119, v147
	v_fmac_f32_e32 v202, v118, v173
	v_add_f32_e32 v68, v68, v201
	s_waitcnt vmcnt(2)
	v_fma_f32 v69, v119, v174, -v69
	v_add_f32_e32 v67, v67, v70
	v_fmac_f32_e32 v203, v120, v174
	v_add_f32_e32 v68, v68, v202
	v_add_f32_e32 v67, v67, v69
	;; [unrolled: 1-line block ×3, first 2 shown]
	s_waitcnt vmcnt(1)
	v_sub_f32_e32 v67, v175, v67
	s_waitcnt vmcnt(0)
	v_sub_f32_e32 v68, v176, v68
	buffer_store_dword v67, off, s[0:3], 0 offset:32
	buffer_store_dword v68, off, s[0:3], 0 offset:36
	v_cmpx_lt_u32_e32 3, v0
	s_cbranch_execz .LBB31_199
; %bb.198:
	s_clause 0x1
	buffer_load_dword v67, off, s[0:3], 0 offset:24
	buffer_load_dword v68, off, s[0:3], 0 offset:28
	buffer_store_dword v66, off, s[0:3], 0 offset:24
	buffer_store_dword v66, off, s[0:3], 0 offset:28
	s_waitcnt vmcnt(0)
	ds_write_b64 v65, v[67:68]
.LBB31_199:
	s_or_b32 exec_lo, exec_lo, s4
	s_waitcnt lgkmcnt(0)
	s_waitcnt_vscnt null, 0x0
	s_barrier
	buffer_gl0_inv
	s_clause 0x39
	buffer_load_dword v123, off, s[0:3], 0 offset:36
	buffer_load_dword v124, off, s[0:3], 0 offset:44
	buffer_load_dword v125, off, s[0:3], 0 offset:52
	buffer_load_dword v126, off, s[0:3], 0 offset:60
	buffer_load_dword v127, off, s[0:3], 0 offset:68
	buffer_load_dword v128, off, s[0:3], 0 offset:76
	buffer_load_dword v129, off, s[0:3], 0 offset:84
	buffer_load_dword v130, off, s[0:3], 0 offset:92
	buffer_load_dword v131, off, s[0:3], 0 offset:100
	buffer_load_dword v132, off, s[0:3], 0 offset:108
	buffer_load_dword v133, off, s[0:3], 0 offset:116
	buffer_load_dword v134, off, s[0:3], 0 offset:124
	buffer_load_dword v135, off, s[0:3], 0 offset:132
	buffer_load_dword v136, off, s[0:3], 0 offset:140
	buffer_load_dword v137, off, s[0:3], 0 offset:148
	buffer_load_dword v138, off, s[0:3], 0 offset:156
	buffer_load_dword v139, off, s[0:3], 0 offset:164
	buffer_load_dword v140, off, s[0:3], 0 offset:172
	buffer_load_dword v141, off, s[0:3], 0 offset:180
	buffer_load_dword v142, off, s[0:3], 0 offset:188
	buffer_load_dword v143, off, s[0:3], 0 offset:196
	buffer_load_dword v144, off, s[0:3], 0 offset:204
	buffer_load_dword v145, off, s[0:3], 0 offset:212
	buffer_load_dword v146, off, s[0:3], 0 offset:220
	buffer_load_dword v147, off, s[0:3], 0 offset:228
	buffer_load_dword v148, off, s[0:3], 0 offset:236
	buffer_load_dword v149, off, s[0:3], 0 offset:244
	buffer_load_dword v150, off, s[0:3], 0 offset:252
	buffer_load_dword v151, off, s[0:3], 0 offset:32
	buffer_load_dword v152, off, s[0:3], 0 offset:40
	buffer_load_dword v153, off, s[0:3], 0 offset:48
	buffer_load_dword v154, off, s[0:3], 0 offset:56
	buffer_load_dword v155, off, s[0:3], 0 offset:64
	buffer_load_dword v156, off, s[0:3], 0 offset:72
	buffer_load_dword v157, off, s[0:3], 0 offset:80
	buffer_load_dword v158, off, s[0:3], 0 offset:88
	buffer_load_dword v159, off, s[0:3], 0 offset:96
	buffer_load_dword v160, off, s[0:3], 0 offset:104
	buffer_load_dword v161, off, s[0:3], 0 offset:112
	buffer_load_dword v162, off, s[0:3], 0 offset:120
	buffer_load_dword v163, off, s[0:3], 0 offset:128
	buffer_load_dword v164, off, s[0:3], 0 offset:136
	buffer_load_dword v165, off, s[0:3], 0 offset:144
	buffer_load_dword v166, off, s[0:3], 0 offset:152
	buffer_load_dword v167, off, s[0:3], 0 offset:160
	buffer_load_dword v168, off, s[0:3], 0 offset:168
	buffer_load_dword v169, off, s[0:3], 0 offset:176
	buffer_load_dword v170, off, s[0:3], 0 offset:184
	buffer_load_dword v171, off, s[0:3], 0 offset:192
	buffer_load_dword v172, off, s[0:3], 0 offset:200
	buffer_load_dword v173, off, s[0:3], 0 offset:208
	buffer_load_dword v174, off, s[0:3], 0 offset:216
	buffer_load_dword v175, off, s[0:3], 0 offset:224
	buffer_load_dword v176, off, s[0:3], 0 offset:232
	buffer_load_dword v177, off, s[0:3], 0 offset:240
	buffer_load_dword v178, off, s[0:3], 0 offset:248
	buffer_load_dword v179, off, s[0:3], 0 offset:24
	buffer_load_dword v180, off, s[0:3], 0 offset:28
	ds_read_b128 v[67:70], v66 offset:288
	ds_read_b128 v[71:74], v66 offset:304
	;; [unrolled: 1-line block ×14, first 2 shown]
	s_mov_b32 s4, exec_lo
	s_waitcnt vmcnt(57) lgkmcnt(13)
	v_mul_f32_e32 v66, v67, v123
	v_mul_f32_e32 v123, v68, v123
	s_waitcnt vmcnt(56)
	v_mul_f32_e32 v181, v69, v124
	v_mul_f32_e32 v124, v70, v124
	s_waitcnt vmcnt(55) lgkmcnt(12)
	v_mul_f32_e32 v182, v71, v125
	s_waitcnt vmcnt(54)
	v_mul_f32_e32 v183, v73, v126
	s_waitcnt vmcnt(53) lgkmcnt(11)
	v_mul_f32_e32 v184, v75, v127
	s_waitcnt vmcnt(52)
	v_mul_f32_e32 v185, v77, v128
	s_waitcnt vmcnt(51) lgkmcnt(10)
	v_mul_f32_e32 v186, v79, v129
	s_waitcnt vmcnt(50)
	v_mul_f32_e32 v187, v81, v130
	s_waitcnt vmcnt(49) lgkmcnt(9)
	v_mul_f32_e32 v188, v83, v131
	s_waitcnt vmcnt(48)
	v_mul_f32_e32 v189, v85, v132
	s_waitcnt vmcnt(47) lgkmcnt(8)
	v_mul_f32_e32 v190, v87, v133
	s_waitcnt vmcnt(46)
	v_mul_f32_e32 v191, v89, v134
	s_waitcnt vmcnt(45) lgkmcnt(7)
	v_mul_f32_e32 v192, v91, v135
	s_waitcnt vmcnt(44)
	v_mul_f32_e32 v193, v93, v136
	s_waitcnt vmcnt(43) lgkmcnt(6)
	v_mul_f32_e32 v194, v95, v137
	s_waitcnt vmcnt(42)
	v_mul_f32_e32 v195, v97, v138
	s_waitcnt vmcnt(41) lgkmcnt(5)
	v_mul_f32_e32 v196, v99, v139
	s_waitcnt vmcnt(40)
	v_mul_f32_e32 v197, v101, v140
	s_waitcnt vmcnt(39) lgkmcnt(4)
	v_mul_f32_e32 v198, v103, v141
	s_waitcnt vmcnt(38)
	v_mul_f32_e32 v199, v105, v142
	s_waitcnt vmcnt(37) lgkmcnt(3)
	v_mul_f32_e32 v200, v107, v143
	s_waitcnt vmcnt(36)
	v_mul_f32_e32 v201, v109, v144
	s_waitcnt vmcnt(35) lgkmcnt(2)
	v_mul_f32_e32 v202, v111, v145
	s_waitcnt vmcnt(34)
	v_mul_f32_e32 v203, v113, v146
	s_waitcnt vmcnt(33) lgkmcnt(1)
	v_mul_f32_e32 v204, v115, v147
	s_waitcnt vmcnt(32)
	v_mul_f32_e32 v205, v117, v148
	s_waitcnt vmcnt(29)
	v_fma_f32 v67, v67, v151, -v123
	v_fmac_f32_e32 v66, v68, v151
	v_mul_f32_e32 v68, v72, v125
	s_waitcnt vmcnt(28)
	v_fma_f32 v69, v69, v152, -v124
	v_fmac_f32_e32 v181, v70, v152
	v_add_f32_e32 v67, 0, v67
	v_add_f32_e32 v66, 0, v66
	v_mul_f32_e32 v70, v74, v126
	s_waitcnt vmcnt(27)
	v_fma_f32 v68, v71, v153, -v68
	v_fmac_f32_e32 v182, v72, v153
	v_add_f32_e32 v67, v67, v69
	v_add_f32_e32 v66, v66, v181
	v_mul_f32_e32 v69, v76, v127
	s_waitcnt vmcnt(26)
	v_fma_f32 v70, v73, v154, -v70
	v_fmac_f32_e32 v183, v74, v154
	v_add_f32_e32 v67, v67, v68
	v_add_f32_e32 v66, v66, v182
	v_mul_f32_e32 v68, v78, v128
	s_waitcnt vmcnt(25)
	v_fma_f32 v69, v75, v155, -v69
	v_fmac_f32_e32 v184, v76, v155
	v_add_f32_e32 v67, v67, v70
	v_add_f32_e32 v66, v66, v183
	v_mul_f32_e32 v70, v80, v129
	s_waitcnt vmcnt(24)
	v_fma_f32 v68, v77, v156, -v68
	v_fmac_f32_e32 v185, v78, v156
	v_add_f32_e32 v67, v67, v69
	v_add_f32_e32 v66, v66, v184
	v_mul_f32_e32 v69, v82, v130
	s_waitcnt vmcnt(23)
	v_fma_f32 v70, v79, v157, -v70
	v_fmac_f32_e32 v186, v80, v157
	v_add_f32_e32 v67, v67, v68
	v_add_f32_e32 v66, v66, v185
	v_mul_f32_e32 v68, v84, v131
	s_waitcnt vmcnt(22)
	v_fma_f32 v69, v81, v158, -v69
	v_fmac_f32_e32 v187, v82, v158
	v_add_f32_e32 v67, v67, v70
	v_add_f32_e32 v66, v66, v186
	v_mul_f32_e32 v70, v86, v132
	s_waitcnt vmcnt(21)
	v_fma_f32 v68, v83, v159, -v68
	v_fmac_f32_e32 v188, v84, v159
	v_add_f32_e32 v67, v67, v69
	v_add_f32_e32 v66, v66, v187
	v_mul_f32_e32 v69, v88, v133
	s_waitcnt vmcnt(20)
	v_fma_f32 v70, v85, v160, -v70
	v_fmac_f32_e32 v189, v86, v160
	v_add_f32_e32 v67, v67, v68
	v_add_f32_e32 v66, v66, v188
	v_mul_f32_e32 v68, v90, v134
	s_waitcnt vmcnt(19)
	v_fma_f32 v69, v87, v161, -v69
	v_fmac_f32_e32 v190, v88, v161
	v_add_f32_e32 v67, v67, v70
	v_add_f32_e32 v66, v66, v189
	v_mul_f32_e32 v70, v92, v135
	s_waitcnt vmcnt(18)
	v_fma_f32 v68, v89, v162, -v68
	v_fmac_f32_e32 v191, v90, v162
	v_add_f32_e32 v67, v67, v69
	v_add_f32_e32 v66, v66, v190
	v_mul_f32_e32 v69, v94, v136
	s_waitcnt vmcnt(17)
	v_fma_f32 v70, v91, v163, -v70
	v_fmac_f32_e32 v192, v92, v163
	v_add_f32_e32 v67, v67, v68
	v_add_f32_e32 v66, v66, v191
	v_mul_f32_e32 v68, v96, v137
	s_waitcnt vmcnt(16)
	v_fma_f32 v69, v93, v164, -v69
	v_fmac_f32_e32 v193, v94, v164
	v_add_f32_e32 v67, v67, v70
	v_add_f32_e32 v66, v66, v192
	v_mul_f32_e32 v70, v98, v138
	s_waitcnt vmcnt(15)
	v_fma_f32 v68, v95, v165, -v68
	v_fmac_f32_e32 v194, v96, v165
	v_add_f32_e32 v67, v67, v69
	v_add_f32_e32 v66, v66, v193
	v_mul_f32_e32 v69, v100, v139
	s_waitcnt vmcnt(14)
	v_fma_f32 v70, v97, v166, -v70
	v_fmac_f32_e32 v195, v98, v166
	v_add_f32_e32 v67, v67, v68
	v_add_f32_e32 v66, v66, v194
	v_mul_f32_e32 v68, v102, v140
	s_waitcnt vmcnt(13)
	v_fma_f32 v69, v99, v167, -v69
	v_fmac_f32_e32 v196, v100, v167
	v_add_f32_e32 v67, v67, v70
	v_add_f32_e32 v66, v66, v195
	v_mul_f32_e32 v70, v104, v141
	s_waitcnt vmcnt(12)
	v_fma_f32 v68, v101, v168, -v68
	v_fmac_f32_e32 v197, v102, v168
	v_add_f32_e32 v67, v67, v69
	v_add_f32_e32 v66, v66, v196
	v_mul_f32_e32 v69, v106, v142
	s_waitcnt vmcnt(11)
	v_fma_f32 v70, v103, v169, -v70
	v_fmac_f32_e32 v198, v104, v169
	v_add_f32_e32 v67, v67, v68
	v_add_f32_e32 v66, v66, v197
	v_mul_f32_e32 v68, v108, v143
	s_waitcnt vmcnt(10)
	v_fma_f32 v69, v105, v170, -v69
	v_fmac_f32_e32 v199, v106, v170
	v_add_f32_e32 v67, v67, v70
	v_add_f32_e32 v66, v66, v198
	v_mul_f32_e32 v70, v110, v144
	s_waitcnt vmcnt(9)
	v_fma_f32 v68, v107, v171, -v68
	v_fmac_f32_e32 v200, v108, v171
	v_add_f32_e32 v67, v67, v69
	v_add_f32_e32 v66, v66, v199
	v_mul_f32_e32 v69, v112, v145
	s_waitcnt vmcnt(8)
	v_fma_f32 v70, v109, v172, -v70
	v_fmac_f32_e32 v201, v110, v172
	v_add_f32_e32 v67, v67, v68
	v_add_f32_e32 v66, v66, v200
	v_mul_f32_e32 v68, v114, v146
	s_waitcnt vmcnt(7)
	v_fma_f32 v69, v111, v173, -v69
	v_fmac_f32_e32 v202, v112, v173
	v_add_f32_e32 v67, v67, v70
	v_add_f32_e32 v66, v66, v201
	v_mul_f32_e32 v70, v116, v147
	s_waitcnt vmcnt(6)
	v_fma_f32 v68, v113, v174, -v68
	v_fmac_f32_e32 v203, v114, v174
	v_add_f32_e32 v67, v67, v69
	v_add_f32_e32 v66, v66, v202
	v_mul_f32_e32 v69, v118, v148
	s_waitcnt vmcnt(5)
	v_fma_f32 v70, v115, v175, -v70
	v_fmac_f32_e32 v204, v116, v175
	v_add_f32_e32 v67, v67, v68
	v_add_f32_e32 v66, v66, v203
	s_waitcnt lgkmcnt(0)
	v_mul_f32_e32 v68, v120, v149
	s_waitcnt vmcnt(4)
	v_fma_f32 v69, v117, v176, -v69
	v_mul_f32_e32 v206, v119, v149
	v_add_f32_e32 v67, v67, v70
	v_fmac_f32_e32 v205, v118, v176
	v_add_f32_e32 v66, v66, v204
	v_mul_f32_e32 v70, v122, v150
	s_waitcnt vmcnt(3)
	v_fma_f32 v68, v119, v177, -v68
	v_add_f32_e32 v67, v67, v69
	v_mul_f32_e32 v207, v121, v150
	v_fmac_f32_e32 v206, v120, v177
	v_add_f32_e32 v66, v66, v205
	s_waitcnt vmcnt(2)
	v_fma_f32 v69, v121, v178, -v70
	v_add_f32_e32 v67, v67, v68
	v_fmac_f32_e32 v207, v122, v178
	v_add_f32_e32 v66, v66, v206
	v_add_f32_e32 v67, v67, v69
	;; [unrolled: 1-line block ×3, first 2 shown]
	s_waitcnt vmcnt(1)
	v_sub_f32_e32 v67, v179, v67
	s_waitcnt vmcnt(0)
	v_sub_f32_e32 v66, v180, v66
	buffer_store_dword v67, off, s[0:3], 0 offset:24
	buffer_store_dword v66, off, s[0:3], 0 offset:28
	v_cmpx_lt_u32_e32 2, v0
	s_cbranch_execz .LBB31_201
; %bb.200:
	s_clause 0x1
	buffer_load_dword v66, off, s[0:3], 0 offset:16
	buffer_load_dword v67, off, s[0:3], 0 offset:20
	v_mov_b32_e32 v68, 0
	buffer_store_dword v68, off, s[0:3], 0 offset:16
	buffer_store_dword v68, off, s[0:3], 0 offset:20
	s_waitcnt vmcnt(0)
	ds_write_b64 v65, v[66:67]
.LBB31_201:
	s_or_b32 exec_lo, exec_lo, s4
	s_waitcnt lgkmcnt(0)
	s_waitcnt_vscnt null, 0x0
	s_barrier
	buffer_gl0_inv
	s_clause 0x3b
	buffer_load_dword v125, off, s[0:3], 0 offset:28
	buffer_load_dword v126, off, s[0:3], 0 offset:36
	;; [unrolled: 1-line block ×60, first 2 shown]
	v_mov_b32_e32 v66, 0
	ds_read2_b64 v[67:70], v66 offset0:35 offset1:36
	ds_read2_b64 v[71:74], v66 offset0:37 offset1:38
	;; [unrolled: 1-line block ×14, first 2 shown]
	ds_read_b64 v[123:124], v66 offset:504
	s_mov_b32 s4, exec_lo
	s_waitcnt vmcnt(59) lgkmcnt(14)
	v_mul_f32_e32 v185, v67, v125
	v_mul_f32_e32 v125, v68, v125
	s_waitcnt vmcnt(58)
	v_mul_f32_e32 v186, v69, v126
	v_mul_f32_e32 v126, v70, v126
	s_waitcnt vmcnt(57) lgkmcnt(13)
	v_mul_f32_e32 v187, v71, v127
	s_waitcnt vmcnt(56)
	v_mul_f32_e32 v188, v73, v128
	s_waitcnt vmcnt(55) lgkmcnt(12)
	v_mul_f32_e32 v189, v75, v129
	s_waitcnt vmcnt(54)
	;; [unrolled: 4-line block ×13, first 2 shown]
	v_fma_f32 v67, v67, v154, -v125
	v_fmac_f32_e32 v185, v68, v154
	v_mul_f32_e32 v68, v72, v127
	s_waitcnt vmcnt(29)
	v_fma_f32 v69, v69, v155, -v126
	v_fmac_f32_e32 v186, v70, v155
	v_add_f32_e32 v67, 0, v67
	v_add_f32_e32 v70, 0, v185
	v_mul_f32_e32 v125, v74, v128
	s_waitcnt vmcnt(28)
	v_fma_f32 v68, v71, v156, -v68
	v_fmac_f32_e32 v187, v72, v156
	v_add_f32_e32 v67, v67, v69
	v_add_f32_e32 v69, v70, v186
	;; [unrolled: 6-line block ×25, first 2 shown]
	v_mul_f32_e32 v71, v122, v152
	s_waitcnt vmcnt(4)
	v_fma_f32 v69, v119, v180, -v69
	v_mul_f32_e32 v212, v121, v152
	v_add_f32_e32 v67, v67, v70
	v_fmac_f32_e32 v211, v120, v180
	v_add_f32_e32 v68, v68, v210
	s_waitcnt lgkmcnt(0)
	v_mul_f32_e32 v70, v124, v153
	s_waitcnt vmcnt(3)
	v_fma_f32 v71, v121, v181, -v71
	v_add_f32_e32 v67, v67, v69
	v_mul_f32_e32 v213, v123, v153
	v_fmac_f32_e32 v212, v122, v181
	v_add_f32_e32 v68, v68, v211
	s_waitcnt vmcnt(2)
	v_fma_f32 v69, v123, v182, -v70
	v_add_f32_e32 v67, v67, v71
	v_fmac_f32_e32 v213, v124, v182
	v_add_f32_e32 v68, v68, v212
	v_add_f32_e32 v67, v67, v69
	v_add_f32_e32 v68, v68, v213
	s_waitcnt vmcnt(1)
	v_sub_f32_e32 v67, v183, v67
	s_waitcnt vmcnt(0)
	v_sub_f32_e32 v68, v184, v68
	buffer_store_dword v67, off, s[0:3], 0 offset:16
	buffer_store_dword v68, off, s[0:3], 0 offset:20
	v_cmpx_lt_u32_e32 1, v0
	s_cbranch_execz .LBB31_203
; %bb.202:
	s_clause 0x1
	buffer_load_dword v67, off, s[0:3], 0 offset:8
	buffer_load_dword v68, off, s[0:3], 0 offset:12
	buffer_store_dword v66, off, s[0:3], 0 offset:8
	buffer_store_dword v66, off, s[0:3], 0 offset:12
	s_waitcnt vmcnt(0)
	ds_write_b64 v65, v[67:68]
.LBB31_203:
	s_or_b32 exec_lo, exec_lo, s4
	s_waitcnt lgkmcnt(0)
	s_waitcnt_vscnt null, 0x0
	s_barrier
	buffer_gl0_inv
	s_clause 0x3d
	buffer_load_dword v127, off, s[0:3], 0 offset:20
	buffer_load_dword v128, off, s[0:3], 0 offset:28
	;; [unrolled: 1-line block ×62, first 2 shown]
	ds_read_b128 v[67:70], v66 offset:272
	ds_read_b128 v[71:74], v66 offset:288
	ds_read_b128 v[75:78], v66 offset:304
	ds_read_b128 v[79:82], v66 offset:320
	ds_read_b128 v[83:86], v66 offset:336
	ds_read_b128 v[87:90], v66 offset:352
	ds_read_b128 v[91:94], v66 offset:368
	ds_read_b128 v[95:98], v66 offset:384
	ds_read_b128 v[99:102], v66 offset:400
	ds_read_b128 v[103:106], v66 offset:416
	ds_read_b128 v[107:110], v66 offset:432
	ds_read_b128 v[111:114], v66 offset:448
	ds_read_b128 v[115:118], v66 offset:464
	ds_read_b128 v[119:122], v66 offset:480
	ds_read_b128 v[123:126], v66 offset:496
	s_mov_b32 s4, exec_lo
	s_waitcnt vmcnt(61) lgkmcnt(14)
	v_mul_f32_e32 v66, v67, v127
	v_mul_f32_e32 v127, v68, v127
	s_waitcnt vmcnt(60)
	v_mul_f32_e32 v189, v69, v128
	v_mul_f32_e32 v128, v70, v128
	s_waitcnt vmcnt(59) lgkmcnt(13)
	v_mul_f32_e32 v190, v71, v129
	s_waitcnt vmcnt(58)
	v_mul_f32_e32 v191, v73, v130
	s_waitcnt vmcnt(57) lgkmcnt(12)
	v_mul_f32_e32 v192, v75, v131
	s_waitcnt vmcnt(56)
	v_mul_f32_e32 v193, v77, v132
	s_waitcnt vmcnt(55) lgkmcnt(11)
	v_mul_f32_e32 v194, v79, v133
	s_waitcnt vmcnt(54)
	v_mul_f32_e32 v195, v81, v134
	s_waitcnt vmcnt(53) lgkmcnt(10)
	v_mul_f32_e32 v196, v83, v135
	s_waitcnt vmcnt(52)
	v_mul_f32_e32 v197, v85, v136
	s_waitcnt vmcnt(51) lgkmcnt(9)
	v_mul_f32_e32 v198, v87, v137
	s_waitcnt vmcnt(50)
	v_mul_f32_e32 v199, v89, v138
	s_waitcnt vmcnt(49) lgkmcnt(8)
	v_mul_f32_e32 v200, v91, v139
	s_waitcnt vmcnt(48)
	v_mul_f32_e32 v201, v93, v140
	s_waitcnt vmcnt(47) lgkmcnt(7)
	v_mul_f32_e32 v202, v95, v141
	s_waitcnt vmcnt(46)
	v_mul_f32_e32 v203, v97, v142
	s_waitcnt vmcnt(45) lgkmcnt(6)
	v_mul_f32_e32 v204, v99, v143
	s_waitcnt vmcnt(44)
	v_mul_f32_e32 v205, v101, v144
	s_waitcnt vmcnt(43) lgkmcnt(5)
	v_mul_f32_e32 v206, v103, v145
	s_waitcnt vmcnt(42)
	v_mul_f32_e32 v207, v105, v146
	s_waitcnt vmcnt(41) lgkmcnt(4)
	v_mul_f32_e32 v208, v107, v147
	s_waitcnt vmcnt(40)
	v_mul_f32_e32 v209, v109, v148
	s_waitcnt vmcnt(39) lgkmcnt(3)
	v_mul_f32_e32 v210, v111, v149
	s_waitcnt vmcnt(38)
	v_mul_f32_e32 v211, v113, v150
	s_waitcnt vmcnt(37) lgkmcnt(2)
	v_mul_f32_e32 v212, v115, v151
	s_waitcnt vmcnt(36)
	v_mul_f32_e32 v213, v117, v152
	s_waitcnt vmcnt(35) lgkmcnt(1)
	v_mul_f32_e32 v214, v119, v153
	s_waitcnt vmcnt(34)
	v_mul_f32_e32 v215, v121, v154
	s_waitcnt vmcnt(31)
	v_fma_f32 v67, v67, v157, -v127
	v_fmac_f32_e32 v66, v68, v157
	v_mul_f32_e32 v68, v72, v129
	s_waitcnt vmcnt(30)
	v_fma_f32 v69, v69, v158, -v128
	v_fmac_f32_e32 v189, v70, v158
	v_add_f32_e32 v67, 0, v67
	v_add_f32_e32 v66, 0, v66
	v_mul_f32_e32 v70, v74, v130
	s_waitcnt vmcnt(29)
	v_fma_f32 v68, v71, v159, -v68
	v_fmac_f32_e32 v190, v72, v159
	v_add_f32_e32 v67, v67, v69
	v_add_f32_e32 v66, v66, v189
	;; [unrolled: 6-line block ×26, first 2 shown]
	s_waitcnt lgkmcnt(0)
	v_mul_f32_e32 v69, v124, v155
	s_waitcnt vmcnt(4)
	v_fma_f32 v70, v121, v184, -v70
	v_mul_f32_e32 v216, v123, v155
	v_add_f32_e32 v67, v67, v68
	v_fmac_f32_e32 v215, v122, v184
	v_add_f32_e32 v66, v66, v214
	v_mul_f32_e32 v68, v126, v156
	s_waitcnt vmcnt(3)
	v_fma_f32 v69, v123, v185, -v69
	v_add_f32_e32 v67, v67, v70
	v_mul_f32_e32 v217, v125, v156
	v_fmac_f32_e32 v216, v124, v185
	v_add_f32_e32 v66, v66, v215
	s_waitcnt vmcnt(2)
	v_fma_f32 v68, v125, v186, -v68
	v_add_f32_e32 v67, v67, v69
	v_fmac_f32_e32 v217, v126, v186
	v_add_f32_e32 v66, v66, v216
	v_add_f32_e32 v67, v67, v68
	;; [unrolled: 1-line block ×3, first 2 shown]
	s_waitcnt vmcnt(1)
	v_sub_f32_e32 v67, v187, v67
	s_waitcnt vmcnt(0)
	v_sub_f32_e32 v66, v188, v66
	buffer_store_dword v67, off, s[0:3], 0 offset:8
	buffer_store_dword v66, off, s[0:3], 0 offset:12
	v_cmpx_ne_u32_e32 0, v0
	s_cbranch_execz .LBB31_205
; %bb.204:
	s_clause 0x1
	buffer_load_dword v66, off, s[0:3], 0
	buffer_load_dword v67, off, s[0:3], 0 offset:4
	v_mov_b32_e32 v0, 0
	buffer_store_dword v0, off, s[0:3], 0
	buffer_store_dword v0, off, s[0:3], 0 offset:4
	s_waitcnt vmcnt(0)
	ds_write_b64 v65, v[66:67]
.LBB31_205:
	s_or_b32 exec_lo, exec_lo, s4
	s_waitcnt lgkmcnt(0)
	s_waitcnt_vscnt null, 0x0
	s_barrier
	buffer_gl0_inv
	s_clause 0x3e
	buffer_load_dword v127, off, s[0:3], 0 offset:12
	buffer_load_dword v128, off, s[0:3], 0 offset:20
	;; [unrolled: 1-line block ×62, first 2 shown]
	buffer_load_dword v189, off, s[0:3], 0
	buffer_load_dword v190, off, s[0:3], 0 offset:4
	v_mov_b32_e32 v0, 0
	ds_read2_b64 v[65:68], v0 offset0:33 offset1:34
	ds_read2_b64 v[69:72], v0 offset0:35 offset1:36
	;; [unrolled: 1-line block ×15, first 2 shown]
	ds_read_b64 v[125:126], v0 offset:504
	s_and_b32 vcc_lo, exec_lo, s22
	s_waitcnt vmcnt(62) lgkmcnt(15)
	v_mul_f32_e32 v191, v65, v127
	v_mul_f32_e32 v127, v66, v127
	;; [unrolled: 1-line block ×4, first 2 shown]
	s_waitcnt vmcnt(61) lgkmcnt(14)
	v_mul_f32_e32 v193, v69, v129
	s_waitcnt vmcnt(60)
	v_mul_f32_e32 v194, v71, v130
	s_waitcnt vmcnt(59) lgkmcnt(13)
	v_mul_f32_e32 v195, v73, v131
	s_waitcnt vmcnt(58)
	v_mul_f32_e32 v196, v75, v132
	s_waitcnt vmcnt(57) lgkmcnt(12)
	v_mul_f32_e32 v197, v77, v133
	s_waitcnt vmcnt(56)
	v_mul_f32_e32 v198, v79, v134
	s_waitcnt vmcnt(55) lgkmcnt(11)
	v_mul_f32_e32 v199, v81, v135
	s_waitcnt vmcnt(54)
	v_mul_f32_e32 v200, v83, v136
	s_waitcnt vmcnt(53) lgkmcnt(10)
	v_mul_f32_e32 v201, v85, v137
	s_waitcnt vmcnt(52)
	v_mul_f32_e32 v202, v87, v138
	s_waitcnt vmcnt(51) lgkmcnt(9)
	v_mul_f32_e32 v203, v89, v139
	s_waitcnt vmcnt(50)
	v_mul_f32_e32 v204, v91, v140
	s_waitcnt vmcnt(49) lgkmcnt(8)
	v_mul_f32_e32 v205, v93, v141
	s_waitcnt vmcnt(48)
	v_mul_f32_e32 v206, v95, v142
	s_waitcnt vmcnt(47) lgkmcnt(7)
	v_mul_f32_e32 v207, v97, v143
	s_waitcnt vmcnt(46)
	v_mul_f32_e32 v208, v99, v144
	s_waitcnt vmcnt(45) lgkmcnt(6)
	v_mul_f32_e32 v209, v101, v145
	s_waitcnt vmcnt(44)
	v_mul_f32_e32 v210, v103, v146
	s_waitcnt vmcnt(43) lgkmcnt(5)
	v_mul_f32_e32 v211, v105, v147
	s_waitcnt vmcnt(42)
	v_mul_f32_e32 v212, v107, v148
	s_waitcnt vmcnt(41) lgkmcnt(4)
	v_mul_f32_e32 v213, v109, v149
	s_waitcnt vmcnt(40)
	v_mul_f32_e32 v214, v111, v150
	s_waitcnt vmcnt(39) lgkmcnt(3)
	v_mul_f32_e32 v215, v113, v151
	s_waitcnt vmcnt(38)
	v_mul_f32_e32 v216, v115, v152
	s_waitcnt vmcnt(37) lgkmcnt(2)
	v_mul_f32_e32 v217, v117, v153
	s_waitcnt vmcnt(36)
	v_mul_f32_e32 v218, v119, v154
	s_waitcnt vmcnt(35) lgkmcnt(1)
	v_mul_f32_e32 v219, v121, v155
	s_waitcnt vmcnt(32)
	v_fma_f32 v65, v65, v158, -v127
	v_fmac_f32_e32 v191, v66, v158
	v_mul_f32_e32 v66, v70, v129
	s_waitcnt vmcnt(31)
	v_fma_f32 v67, v67, v159, -v128
	v_fmac_f32_e32 v192, v68, v159
	v_add_f32_e32 v65, 0, v65
	v_add_f32_e32 v68, 0, v191
	v_mul_f32_e32 v127, v72, v130
	s_waitcnt vmcnt(30)
	v_fma_f32 v66, v69, v160, -v66
	v_fmac_f32_e32 v193, v70, v160
	v_add_f32_e32 v65, v65, v67
	v_add_f32_e32 v67, v68, v192
	;; [unrolled: 6-line block ×27, first 2 shown]
	v_mul_f32_e32 v67, v124, v156
	s_waitcnt vmcnt(4)
	v_fma_f32 v68, v121, v186, -v68
	v_mul_f32_e32 v220, v123, v156
	v_add_f32_e32 v65, v65, v69
	v_fmac_f32_e32 v219, v122, v186
	v_add_f32_e32 v66, v66, v218
	s_waitcnt lgkmcnt(0)
	v_mul_f32_e32 v69, v126, v157
	s_waitcnt vmcnt(3)
	v_fma_f32 v67, v123, v187, -v67
	v_add_f32_e32 v65, v65, v68
	v_mul_f32_e32 v221, v125, v157
	v_fmac_f32_e32 v220, v124, v187
	v_add_f32_e32 v66, v66, v219
	s_waitcnt vmcnt(2)
	v_fma_f32 v68, v125, v188, -v69
	v_add_f32_e32 v65, v65, v67
	v_fmac_f32_e32 v221, v126, v188
	v_add_f32_e32 v66, v66, v220
	v_add_f32_e32 v65, v65, v68
	;; [unrolled: 1-line block ×3, first 2 shown]
	s_waitcnt vmcnt(1)
	v_sub_f32_e32 v65, v189, v65
	s_waitcnt vmcnt(0)
	v_sub_f32_e32 v66, v190, v66
	buffer_store_dword v65, off, s[0:3], 0
	buffer_store_dword v66, off, s[0:3], 0 offset:4
	s_cbranch_vccz .LBB31_268
; %bb.206:
	global_load_dword v0, v0, s[20:21] offset:120
	s_waitcnt vmcnt(0)
	v_add_nc_u32_e32 v0, -1, v0
	v_cmp_ne_u32_e32 vcc_lo, 30, v0
	s_cbranch_vccz .LBB31_208
; %bb.207:
	v_lshlrev_b32_e32 v0, 3, v0
	s_clause 0x3
	buffer_load_dword v65, v0, s[0:3], 0 offen
	buffer_load_dword v66, v0, s[0:3], 0 offen offset:4
	buffer_load_dword v67, off, s[0:3], 0 offset:244
	buffer_load_dword v68, off, s[0:3], 0 offset:240
	s_waitcnt vmcnt(3)
	buffer_store_dword v65, off, s[0:3], 0 offset:240
	s_waitcnt vmcnt(2)
	buffer_store_dword v66, off, s[0:3], 0 offset:244
	s_waitcnt vmcnt(1)
	buffer_store_dword v67, v0, s[0:3], 0 offen offset:4
	s_waitcnt vmcnt(0)
	buffer_store_dword v68, v0, s[0:3], 0 offen
.LBB31_208:
	v_mov_b32_e32 v0, 0
	global_load_dword v65, v0, s[20:21] offset:116
	s_waitcnt vmcnt(0)
	v_add_nc_u32_e32 v65, -1, v65
	v_cmp_eq_u32_e32 vcc_lo, 29, v65
	s_cbranch_vccnz .LBB31_210
; %bb.209:
	v_lshlrev_b32_e32 v65, 3, v65
	s_clause 0x3
	buffer_load_dword v66, v65, s[0:3], 0 offen
	buffer_load_dword v67, v65, s[0:3], 0 offen offset:4
	buffer_load_dword v68, off, s[0:3], 0 offset:232
	buffer_load_dword v69, off, s[0:3], 0 offset:236
	s_waitcnt vmcnt(3)
	buffer_store_dword v66, off, s[0:3], 0 offset:232
	s_waitcnt vmcnt(2)
	buffer_store_dword v67, off, s[0:3], 0 offset:236
	s_waitcnt vmcnt(1)
	buffer_store_dword v68, v65, s[0:3], 0 offen
	s_waitcnt vmcnt(0)
	buffer_store_dword v69, v65, s[0:3], 0 offen offset:4
.LBB31_210:
	global_load_dword v0, v0, s[20:21] offset:112
	s_waitcnt vmcnt(0)
	v_add_nc_u32_e32 v0, -1, v0
	v_cmp_eq_u32_e32 vcc_lo, 28, v0
	s_cbranch_vccnz .LBB31_212
; %bb.211:
	v_lshlrev_b32_e32 v0, 3, v0
	s_clause 0x3
	buffer_load_dword v65, v0, s[0:3], 0 offen
	buffer_load_dword v66, v0, s[0:3], 0 offen offset:4
	buffer_load_dword v67, off, s[0:3], 0 offset:228
	buffer_load_dword v68, off, s[0:3], 0 offset:224
	s_waitcnt vmcnt(3)
	buffer_store_dword v65, off, s[0:3], 0 offset:224
	s_waitcnt vmcnt(2)
	buffer_store_dword v66, off, s[0:3], 0 offset:228
	s_waitcnt vmcnt(1)
	buffer_store_dword v67, v0, s[0:3], 0 offen offset:4
	s_waitcnt vmcnt(0)
	buffer_store_dword v68, v0, s[0:3], 0 offen
.LBB31_212:
	v_mov_b32_e32 v0, 0
	global_load_dword v65, v0, s[20:21] offset:108
	s_waitcnt vmcnt(0)
	v_add_nc_u32_e32 v65, -1, v65
	v_cmp_eq_u32_e32 vcc_lo, 27, v65
	s_cbranch_vccnz .LBB31_214
; %bb.213:
	v_lshlrev_b32_e32 v65, 3, v65
	s_clause 0x3
	buffer_load_dword v66, v65, s[0:3], 0 offen
	buffer_load_dword v67, v65, s[0:3], 0 offen offset:4
	buffer_load_dword v68, off, s[0:3], 0 offset:216
	buffer_load_dword v69, off, s[0:3], 0 offset:220
	s_waitcnt vmcnt(3)
	buffer_store_dword v66, off, s[0:3], 0 offset:216
	s_waitcnt vmcnt(2)
	buffer_store_dword v67, off, s[0:3], 0 offset:220
	s_waitcnt vmcnt(1)
	buffer_store_dword v68, v65, s[0:3], 0 offen
	s_waitcnt vmcnt(0)
	buffer_store_dword v69, v65, s[0:3], 0 offen offset:4
.LBB31_214:
	global_load_dword v0, v0, s[20:21] offset:104
	s_waitcnt vmcnt(0)
	v_add_nc_u32_e32 v0, -1, v0
	v_cmp_eq_u32_e32 vcc_lo, 26, v0
	s_cbranch_vccnz .LBB31_216
; %bb.215:
	v_lshlrev_b32_e32 v0, 3, v0
	s_clause 0x3
	buffer_load_dword v65, v0, s[0:3], 0 offen
	buffer_load_dword v66, v0, s[0:3], 0 offen offset:4
	buffer_load_dword v67, off, s[0:3], 0 offset:212
	buffer_load_dword v68, off, s[0:3], 0 offset:208
	s_waitcnt vmcnt(3)
	buffer_store_dword v65, off, s[0:3], 0 offset:208
	s_waitcnt vmcnt(2)
	buffer_store_dword v66, off, s[0:3], 0 offset:212
	s_waitcnt vmcnt(1)
	buffer_store_dword v67, v0, s[0:3], 0 offen offset:4
	s_waitcnt vmcnt(0)
	buffer_store_dword v68, v0, s[0:3], 0 offen
.LBB31_216:
	;; [unrolled: 43-line block ×14, first 2 shown]
	v_mov_b32_e32 v0, 0
	global_load_dword v65, v0, s[20:21] offset:4
	s_waitcnt vmcnt(0)
	v_add_nc_u32_e32 v65, -1, v65
	v_cmp_eq_u32_e32 vcc_lo, 1, v65
	s_cbranch_vccnz .LBB31_266
; %bb.265:
	v_lshlrev_b32_e32 v65, 3, v65
	s_clause 0x3
	buffer_load_dword v66, v65, s[0:3], 0 offen
	buffer_load_dword v67, v65, s[0:3], 0 offen offset:4
	buffer_load_dword v68, off, s[0:3], 0 offset:8
	buffer_load_dword v69, off, s[0:3], 0 offset:12
	s_waitcnt vmcnt(3)
	buffer_store_dword v66, off, s[0:3], 0 offset:8
	s_waitcnt vmcnt(2)
	buffer_store_dword v67, off, s[0:3], 0 offset:12
	s_waitcnt vmcnt(1)
	buffer_store_dword v68, v65, s[0:3], 0 offen
	s_waitcnt vmcnt(0)
	buffer_store_dword v69, v65, s[0:3], 0 offen offset:4
.LBB31_266:
	global_load_dword v0, v0, s[20:21]
	s_waitcnt vmcnt(0)
	v_add_nc_u32_e32 v0, -1, v0
	v_cmp_eq_u32_e32 vcc_lo, 0, v0
	s_cbranch_vccnz .LBB31_268
; %bb.267:
	v_lshlrev_b32_e32 v0, 3, v0
	s_clause 0x3
	buffer_load_dword v65, v0, s[0:3], 0 offen
	buffer_load_dword v66, v0, s[0:3], 0 offen offset:4
	buffer_load_dword v67, off, s[0:3], 0 offset:4
	buffer_load_dword v68, off, s[0:3], 0
	s_waitcnt vmcnt(3)
	buffer_store_dword v65, off, s[0:3], 0
	s_waitcnt vmcnt(2)
	buffer_store_dword v66, off, s[0:3], 0 offset:4
	s_waitcnt vmcnt(1)
	buffer_store_dword v67, v0, s[0:3], 0 offen offset:4
	s_waitcnt vmcnt(0)
	buffer_store_dword v68, v0, s[0:3], 0 offen
.LBB31_268:
	s_clause 0x3e
	buffer_load_dword v65, off, s[0:3], 0
	buffer_load_dword v66, off, s[0:3], 0 offset:4
	buffer_load_dword v67, off, s[0:3], 0 offset:8
	;; [unrolled: 1-line block ×63, first 2 shown]
	s_waitcnt vmcnt(62)
	global_store_dwordx2 v[53:54], v[65:66], off
	s_waitcnt vmcnt(60)
	global_store_dwordx2 v[55:56], v[67:68], off
	;; [unrolled: 2-line block ×9, first 2 shown]
	global_store_dwordx2 v[15:16], v[83:84], off
	global_store_dwordx2 v[17:18], v[85:86], off
	;; [unrolled: 1-line block ×3, first 2 shown]
	s_waitcnt vmcnt(38)
	global_store_dwordx2 v[21:22], v[89:90], off
	s_waitcnt vmcnt(36)
	global_store_dwordx2 v[23:24], v[91:92], off
	;; [unrolled: 2-line block ×20, first 2 shown]
	s_endpgm
	.section	.rodata,"a",@progbits
	.p2align	6, 0x0
	.amdhsa_kernel _ZN9rocsolver6v33100L18getri_kernel_smallILi32E19rocblas_complex_numIfEPS3_EEvT1_iilPiilS6_bb
		.amdhsa_group_segment_fixed_size 516
		.amdhsa_private_segment_fixed_size 272
		.amdhsa_kernarg_size 60
		.amdhsa_user_sgpr_count 6
		.amdhsa_user_sgpr_private_segment_buffer 1
		.amdhsa_user_sgpr_dispatch_ptr 0
		.amdhsa_user_sgpr_queue_ptr 0
		.amdhsa_user_sgpr_kernarg_segment_ptr 1
		.amdhsa_user_sgpr_dispatch_id 0
		.amdhsa_user_sgpr_flat_scratch_init 0
		.amdhsa_user_sgpr_private_segment_size 0
		.amdhsa_wavefront_size32 1
		.amdhsa_uses_dynamic_stack 0
		.amdhsa_system_sgpr_private_segment_wavefront_offset 1
		.amdhsa_system_sgpr_workgroup_id_x 1
		.amdhsa_system_sgpr_workgroup_id_y 0
		.amdhsa_system_sgpr_workgroup_id_z 0
		.amdhsa_system_sgpr_workgroup_info 0
		.amdhsa_system_vgpr_workitem_id 0
		.amdhsa_next_free_vgpr 222
		.amdhsa_next_free_sgpr 23
		.amdhsa_reserve_vcc 1
		.amdhsa_reserve_flat_scratch 0
		.amdhsa_float_round_mode_32 0
		.amdhsa_float_round_mode_16_64 0
		.amdhsa_float_denorm_mode_32 3
		.amdhsa_float_denorm_mode_16_64 3
		.amdhsa_dx10_clamp 1
		.amdhsa_ieee_mode 1
		.amdhsa_fp16_overflow 0
		.amdhsa_workgroup_processor_mode 1
		.amdhsa_memory_ordered 1
		.amdhsa_forward_progress 1
		.amdhsa_shared_vgpr_count 0
		.amdhsa_exception_fp_ieee_invalid_op 0
		.amdhsa_exception_fp_denorm_src 0
		.amdhsa_exception_fp_ieee_div_zero 0
		.amdhsa_exception_fp_ieee_overflow 0
		.amdhsa_exception_fp_ieee_underflow 0
		.amdhsa_exception_fp_ieee_inexact 0
		.amdhsa_exception_int_div_zero 0
	.end_amdhsa_kernel
	.section	.text._ZN9rocsolver6v33100L18getri_kernel_smallILi32E19rocblas_complex_numIfEPS3_EEvT1_iilPiilS6_bb,"axG",@progbits,_ZN9rocsolver6v33100L18getri_kernel_smallILi32E19rocblas_complex_numIfEPS3_EEvT1_iilPiilS6_bb,comdat
.Lfunc_end31:
	.size	_ZN9rocsolver6v33100L18getri_kernel_smallILi32E19rocblas_complex_numIfEPS3_EEvT1_iilPiilS6_bb, .Lfunc_end31-_ZN9rocsolver6v33100L18getri_kernel_smallILi32E19rocblas_complex_numIfEPS3_EEvT1_iilPiilS6_bb
                                        ; -- End function
	.set _ZN9rocsolver6v33100L18getri_kernel_smallILi32E19rocblas_complex_numIfEPS3_EEvT1_iilPiilS6_bb.num_vgpr, 222
	.set _ZN9rocsolver6v33100L18getri_kernel_smallILi32E19rocblas_complex_numIfEPS3_EEvT1_iilPiilS6_bb.num_agpr, 0
	.set _ZN9rocsolver6v33100L18getri_kernel_smallILi32E19rocblas_complex_numIfEPS3_EEvT1_iilPiilS6_bb.numbered_sgpr, 23
	.set _ZN9rocsolver6v33100L18getri_kernel_smallILi32E19rocblas_complex_numIfEPS3_EEvT1_iilPiilS6_bb.num_named_barrier, 0
	.set _ZN9rocsolver6v33100L18getri_kernel_smallILi32E19rocblas_complex_numIfEPS3_EEvT1_iilPiilS6_bb.private_seg_size, 272
	.set _ZN9rocsolver6v33100L18getri_kernel_smallILi32E19rocblas_complex_numIfEPS3_EEvT1_iilPiilS6_bb.uses_vcc, 1
	.set _ZN9rocsolver6v33100L18getri_kernel_smallILi32E19rocblas_complex_numIfEPS3_EEvT1_iilPiilS6_bb.uses_flat_scratch, 0
	.set _ZN9rocsolver6v33100L18getri_kernel_smallILi32E19rocblas_complex_numIfEPS3_EEvT1_iilPiilS6_bb.has_dyn_sized_stack, 0
	.set _ZN9rocsolver6v33100L18getri_kernel_smallILi32E19rocblas_complex_numIfEPS3_EEvT1_iilPiilS6_bb.has_recursion, 0
	.set _ZN9rocsolver6v33100L18getri_kernel_smallILi32E19rocblas_complex_numIfEPS3_EEvT1_iilPiilS6_bb.has_indirect_call, 0
	.section	.AMDGPU.csdata,"",@progbits
; Kernel info:
; codeLenInByte = 47356
; TotalNumSgprs: 25
; NumVgprs: 222
; ScratchSize: 272
; MemoryBound: 0
; FloatMode: 240
; IeeeMode: 1
; LDSByteSize: 516 bytes/workgroup (compile time only)
; SGPRBlocks: 0
; VGPRBlocks: 27
; NumSGPRsForWavesPerEU: 25
; NumVGPRsForWavesPerEU: 222
; Occupancy: 4
; WaveLimiterHint : 1
; COMPUTE_PGM_RSRC2:SCRATCH_EN: 1
; COMPUTE_PGM_RSRC2:USER_SGPR: 6
; COMPUTE_PGM_RSRC2:TRAP_HANDLER: 0
; COMPUTE_PGM_RSRC2:TGID_X_EN: 1
; COMPUTE_PGM_RSRC2:TGID_Y_EN: 0
; COMPUTE_PGM_RSRC2:TGID_Z_EN: 0
; COMPUTE_PGM_RSRC2:TIDIG_COMP_CNT: 0
	.section	.text._ZN9rocsolver6v33100L18getri_kernel_smallILi33E19rocblas_complex_numIfEPS3_EEvT1_iilPiilS6_bb,"axG",@progbits,_ZN9rocsolver6v33100L18getri_kernel_smallILi33E19rocblas_complex_numIfEPS3_EEvT1_iilPiilS6_bb,comdat
	.globl	_ZN9rocsolver6v33100L18getri_kernel_smallILi33E19rocblas_complex_numIfEPS3_EEvT1_iilPiilS6_bb ; -- Begin function _ZN9rocsolver6v33100L18getri_kernel_smallILi33E19rocblas_complex_numIfEPS3_EEvT1_iilPiilS6_bb
	.p2align	8
	.type	_ZN9rocsolver6v33100L18getri_kernel_smallILi33E19rocblas_complex_numIfEPS3_EEvT1_iilPiilS6_bb,@function
_ZN9rocsolver6v33100L18getri_kernel_smallILi33E19rocblas_complex_numIfEPS3_EEvT1_iilPiilS6_bb: ; @_ZN9rocsolver6v33100L18getri_kernel_smallILi33E19rocblas_complex_numIfEPS3_EEvT1_iilPiilS6_bb
; %bb.0:
	s_add_u32 s0, s0, s7
	s_addc_u32 s1, s1, 0
	s_mov_b32 s7, exec_lo
	v_cmpx_gt_u32_e32 33, v0
	s_cbranch_execz .LBB32_146
; %bb.1:
	s_clause 0x2
	s_load_dword s7, s[4:5], 0x38
	s_load_dwordx4 s[16:19], s[4:5], 0x10
	s_load_dwordx4 s[8:11], s[4:5], 0x28
                                        ; implicit-def: $sgpr20_sgpr21
	s_waitcnt lgkmcnt(0)
	s_bitcmp1_b32 s7, 8
	s_cselect_b32 s22, -1, 0
	s_bfe_u32 s12, s7, 0x10008
	s_ashr_i32 s7, s6, 31
	s_cmp_eq_u32 s12, 0
	s_cbranch_scc1 .LBB32_3
; %bb.2:
	s_load_dword s12, s[4:5], 0x20
	s_mul_i32 s13, s8, s7
	s_mul_hi_u32 s14, s8, s6
	s_mul_i32 s9, s9, s6
	s_add_i32 s13, s14, s13
	s_mul_i32 s8, s8, s6
	s_add_i32 s9, s13, s9
	s_lshl_b64 s[8:9], s[8:9], 2
	s_waitcnt lgkmcnt(0)
	s_ashr_i32 s13, s12, 31
	s_add_u32 s14, s18, s8
	s_addc_u32 s15, s19, s9
	s_lshl_b64 s[8:9], s[12:13], 2
	s_add_u32 s20, s14, s8
	s_addc_u32 s21, s15, s9
.LBB32_3:
	s_clause 0x1
	s_load_dwordx4 s[12:15], s[4:5], 0x0
	s_load_dword s8, s[4:5], 0x38
	s_mul_i32 s4, s16, s7
	s_mul_hi_u32 s5, s16, s6
	s_mul_i32 s9, s17, s6
	s_add_i32 s5, s5, s4
	s_mul_i32 s4, s16, s6
	s_add_i32 s5, s5, s9
	v_lshlrev_b32_e32 v69, 3, v0
	s_lshl_b64 s[4:5], s[4:5], 3
	s_waitcnt lgkmcnt(0)
	v_add3_u32 v1, s15, s15, v0
	s_ashr_i32 s17, s14, 31
	s_mov_b32 s16, s14
	s_add_u32 s9, s12, s4
	s_addc_u32 s12, s13, s5
	v_add_nc_u32_e32 v3, s15, v1
	v_ashrrev_i32_e32 v2, 31, v1
	s_lshl_b64 s[4:5], s[16:17], 3
	s_add_u32 s4, s9, s4
	v_add_nc_u32_e32 v5, s15, v3
	v_ashrrev_i32_e32 v4, 31, v3
	v_lshlrev_b64 v[1:2], 3, v[1:2]
	s_addc_u32 s5, s12, s5
	v_add_co_u32 v55, s9, s4, v69
	v_add_nc_u32_e32 v7, s15, v5
	v_ashrrev_i32_e32 v6, 31, v5
	v_lshlrev_b64 v[3:4], 3, v[3:4]
	v_add_co_u32 v1, vcc_lo, s4, v1
	v_add_nc_u32_e32 v9, s15, v7
	v_ashrrev_i32_e32 v8, 31, v7
	v_lshlrev_b64 v[5:6], 3, v[5:6]
	v_add_co_ci_u32_e64 v2, null, s5, v2, vcc_lo
	v_add_nc_u32_e32 v11, s15, v9
	v_ashrrev_i32_e32 v10, 31, v9
	v_lshlrev_b64 v[7:8], 3, v[7:8]
	v_add_co_u32 v3, vcc_lo, s4, v3
	v_add_nc_u32_e32 v13, s15, v11
	v_ashrrev_i32_e32 v12, 31, v11
	v_lshlrev_b64 v[9:10], 3, v[9:10]
	v_add_co_ci_u32_e64 v4, null, s5, v4, vcc_lo
	v_add_nc_u32_e32 v15, s15, v13
	v_ashrrev_i32_e32 v14, 31, v13
	v_add_co_u32 v5, vcc_lo, s4, v5
	v_lshlrev_b64 v[11:12], 3, v[11:12]
	v_add_nc_u32_e32 v17, s15, v15
	v_ashrrev_i32_e32 v16, 31, v15
	v_add_co_ci_u32_e64 v6, null, s5, v6, vcc_lo
	v_add_co_u32 v7, vcc_lo, s4, v7
	v_add_nc_u32_e32 v19, s15, v17
	v_ashrrev_i32_e32 v18, 31, v17
	v_lshlrev_b64 v[13:14], 3, v[13:14]
	v_add_co_ci_u32_e64 v8, null, s5, v8, vcc_lo
	v_add_nc_u32_e32 v21, s15, v19
	v_ashrrev_i32_e32 v20, 31, v19
	v_add_co_u32 v9, vcc_lo, s4, v9
	v_lshlrev_b64 v[15:16], 3, v[15:16]
	v_add_nc_u32_e32 v23, s15, v21
	v_ashrrev_i32_e32 v22, 31, v21
	v_add_co_ci_u32_e64 v10, null, s5, v10, vcc_lo
	v_add_co_u32 v11, vcc_lo, s4, v11
	v_add_nc_u32_e32 v25, s15, v23
	v_lshlrev_b64 v[17:18], 3, v[17:18]
	v_ashrrev_i32_e32 v24, 31, v23
	v_add_co_ci_u32_e64 v12, null, s5, v12, vcc_lo
	v_add_nc_u32_e32 v27, s15, v25
	v_add_co_u32 v13, vcc_lo, s4, v13
	v_lshlrev_b64 v[19:20], 3, v[19:20]
	v_ashrrev_i32_e32 v26, 31, v25
	v_add_nc_u32_e32 v29, s15, v27
	v_add_co_ci_u32_e64 v14, null, s5, v14, vcc_lo
	v_add_co_u32 v15, vcc_lo, s4, v15
	v_add_nc_u32_e32 v31, s15, v29
	v_lshlrev_b64 v[21:22], 3, v[21:22]
	v_ashrrev_i32_e32 v28, 31, v27
	v_add_co_ci_u32_e64 v16, null, s5, v16, vcc_lo
	v_add_nc_u32_e32 v33, s15, v31
	v_add_co_u32 v17, vcc_lo, s4, v17
	v_lshlrev_b64 v[23:24], 3, v[23:24]
	v_ashrrev_i32_e32 v30, 31, v29
	v_add_nc_u32_e32 v35, s15, v33
	;; [unrolled: 11-line block ×4, first 2 shown]
	v_add_co_ci_u32_e64 v26, null, s5, v26, vcc_lo
	v_add_co_u32 v27, vcc_lo, s4, v27
	v_add_nc_u32_e32 v49, s15, v47
	v_lshlrev_b64 v[33:34], 3, v[33:34]
	v_ashrrev_i32_e32 v40, 31, v39
	v_add_co_ci_u32_e64 v28, null, s5, v28, vcc_lo
	v_add_nc_u32_e32 v51, s15, v49
	v_add_co_u32 v29, vcc_lo, s4, v29
	v_lshlrev_b64 v[35:36], 3, v[35:36]
	v_ashrrev_i32_e32 v42, 31, v41
	v_add_co_ci_u32_e64 v30, null, s5, v30, vcc_lo
	v_add_co_u32 v31, vcc_lo, s4, v31
	v_lshlrev_b64 v[37:38], 3, v[37:38]
	v_ashrrev_i32_e32 v44, 31, v43
	v_add_co_ci_u32_e64 v32, null, s5, v32, vcc_lo
	v_add_co_u32 v33, vcc_lo, s4, v33
	v_lshlrev_b64 v[39:40], 3, v[39:40]
	v_add_nc_u32_e32 v53, s15, v51
	v_ashrrev_i32_e32 v46, 31, v45
	v_add_co_ci_u32_e64 v34, null, s5, v34, vcc_lo
	v_add_co_u32 v35, vcc_lo, s4, v35
	v_lshlrev_b64 v[41:42], 3, v[41:42]
	v_ashrrev_i32_e32 v48, 31, v47
	v_add_co_ci_u32_e64 v36, null, s5, v36, vcc_lo
	v_add_co_u32 v37, vcc_lo, s4, v37
	v_lshlrev_b64 v[43:44], 3, v[43:44]
	v_ashrrev_i32_e32 v50, 31, v49
	v_add_nc_u32_e32 v61, s15, v53
	v_add_co_ci_u32_e64 v38, null, s5, v38, vcc_lo
	v_add_co_u32 v39, vcc_lo, s4, v39
	v_lshlrev_b64 v[45:46], 3, v[45:46]
	v_add_co_ci_u32_e64 v40, null, s5, v40, vcc_lo
	v_add_co_u32 v41, vcc_lo, s4, v41
	v_lshlrev_b64 v[47:48], 3, v[47:48]
	v_ashrrev_i32_e32 v52, 31, v51
	v_add_co_ci_u32_e64 v42, null, s5, v42, vcc_lo
	v_add_co_u32 v43, vcc_lo, s4, v43
	v_lshlrev_b64 v[49:50], 3, v[49:50]
	v_add_nc_u32_e32 v63, s15, v61
	v_ashrrev_i32_e32 v54, 31, v53
	v_add_co_ci_u32_e64 v44, null, s5, v44, vcc_lo
	v_add_co_u32 v45, vcc_lo, s4, v45
	v_add_co_ci_u32_e64 v46, null, s5, v46, vcc_lo
	v_add_co_u32 v47, vcc_lo, s4, v47
	v_lshlrev_b64 v[51:52], 3, v[51:52]
	s_mov_b32 s12, s15
	s_ashr_i32 s13, s15, 31
	v_add_co_ci_u32_e64 v56, null, s5, 0, s9
	v_add_nc_u32_e32 v65, s15, v63
	v_add_co_ci_u32_e64 v48, null, s5, v48, vcc_lo
	v_add_co_u32 v49, vcc_lo, s4, v49
	v_lshlrev_b64 v[59:60], 3, v[53:54]
	s_lshl_b64 s[12:13], s[12:13], 3
	v_add_co_ci_u32_e64 v50, null, s5, v50, vcc_lo
	v_add_co_u32 v57, vcc_lo, v55, s12
	v_ashrrev_i32_e32 v62, 31, v61
	v_add_co_ci_u32_e64 v58, null, s13, v56, vcc_lo
	v_add_co_u32 v51, vcc_lo, s4, v51
	v_add_nc_u32_e32 v98, s15, v65
	v_ashrrev_i32_e32 v64, 31, v63
	v_add_co_ci_u32_e64 v52, null, s5, v52, vcc_lo
	v_add_co_u32 v53, vcc_lo, s4, v59
	v_ashrrev_i32_e32 v66, 31, v65
	v_add_co_ci_u32_e64 v54, null, s5, v60, vcc_lo
	v_lshlrev_b64 v[59:60], 3, v[61:62]
	v_ashrrev_i32_e32 v99, 31, v98
	v_lshlrev_b64 v[61:62], 3, v[63:64]
	v_lshlrev_b64 v[63:64], 3, v[65:66]
	s_clause 0x4
	global_load_dwordx2 v[67:68], v69, s[4:5]
	global_load_dwordx2 v[70:71], v[57:58], off
	global_load_dwordx2 v[72:73], v[1:2], off
	;; [unrolled: 1-line block ×4, first 2 shown]
	v_add_co_u32 v59, vcc_lo, s4, v59
	v_lshlrev_b64 v[65:66], 3, v[98:99]
	v_add_co_ci_u32_e64 v60, null, s5, v60, vcc_lo
	v_add_co_u32 v61, vcc_lo, s4, v61
	v_add_co_ci_u32_e64 v62, null, s5, v62, vcc_lo
	v_add_co_u32 v63, vcc_lo, s4, v63
	v_add_co_ci_u32_e64 v64, null, s5, v64, vcc_lo
	v_add_co_u32 v65, vcc_lo, s4, v65
	v_add_co_ci_u32_e64 v66, null, s5, v66, vcc_lo
	s_clause 0x1b
	global_load_dwordx2 v[78:79], v[7:8], off
	global_load_dwordx2 v[80:81], v[9:10], off
	;; [unrolled: 1-line block ×28, first 2 shown]
	s_mov_b32 s5, -1
	s_bitcmp0_b32 s8, 0
	s_waitcnt vmcnt(32)
	buffer_store_dword v68, off, s[0:3], 0 offset:4
	buffer_store_dword v67, off, s[0:3], 0
	s_waitcnt vmcnt(31)
	buffer_store_dword v71, off, s[0:3], 0 offset:12
	buffer_store_dword v70, off, s[0:3], 0 offset:8
	s_waitcnt vmcnt(30)
	buffer_store_dword v73, off, s[0:3], 0 offset:20
	buffer_store_dword v72, off, s[0:3], 0 offset:16
	;; [unrolled: 3-line block ×32, first 2 shown]
	s_cbranch_scc1 .LBB32_144
; %bb.4:
	v_cmp_eq_u32_e64 s4, 0, v0
	s_and_saveexec_b32 s5, s4
; %bb.5:
	v_mov_b32_e32 v67, 0
	ds_write_b32 v67, v67 offset:264
; %bb.6:
	s_or_b32 exec_lo, exec_lo, s5
	v_lshl_add_u32 v71, v0, 3, 0
	s_waitcnt lgkmcnt(0)
	s_waitcnt_vscnt null, 0x0
	s_barrier
	buffer_gl0_inv
	s_clause 0x1
	buffer_load_dword v67, v71, s[0:3], 0 offen
	buffer_load_dword v68, v71, s[0:3], 0 offen offset:4
	s_waitcnt vmcnt(1)
	v_cmp_eq_f32_e32 vcc_lo, 0, v67
	s_waitcnt vmcnt(0)
	v_cmp_eq_f32_e64 s5, 0, v68
	s_and_b32 s5, vcc_lo, s5
	s_and_saveexec_b32 s8, s5
	s_cbranch_execz .LBB32_10
; %bb.7:
	v_mov_b32_e32 v67, 0
	s_mov_b32 s9, 0
	ds_read_b32 v68, v67 offset:264
	s_waitcnt lgkmcnt(0)
	v_readfirstlane_b32 s5, v68
	v_add_nc_u32_e32 v68, 1, v0
	s_cmp_eq_u32 s5, 0
	v_cmp_gt_i32_e32 vcc_lo, s5, v68
	s_cselect_b32 s12, -1, 0
	s_or_b32 s12, s12, vcc_lo
	s_and_b32 exec_lo, exec_lo, s12
	s_cbranch_execz .LBB32_10
; %bb.8:
	v_mov_b32_e32 v70, s5
.LBB32_9:                               ; =>This Inner Loop Header: Depth=1
	ds_cmpst_rtn_b32 v70, v67, v70, v68 offset:264
	s_waitcnt lgkmcnt(0)
	v_cmp_ne_u32_e32 vcc_lo, 0, v70
	v_cmp_le_i32_e64 s5, v70, v68
	s_and_b32 s5, vcc_lo, s5
	s_and_b32 s5, exec_lo, s5
	s_or_b32 s9, s5, s9
	s_andn2_b32 exec_lo, exec_lo, s9
	s_cbranch_execnz .LBB32_9
.LBB32_10:
	s_or_b32 exec_lo, exec_lo, s8
	v_mov_b32_e32 v67, 0
	s_barrier
	buffer_gl0_inv
	ds_read_b32 v68, v67 offset:264
	s_and_saveexec_b32 s5, s4
	s_cbranch_execz .LBB32_12
; %bb.11:
	s_lshl_b64 s[8:9], s[6:7], 2
	s_add_u32 s8, s10, s8
	s_addc_u32 s9, s11, s9
	s_waitcnt lgkmcnt(0)
	global_store_dword v67, v68, s[8:9]
.LBB32_12:
	s_or_b32 exec_lo, exec_lo, s5
	s_waitcnt lgkmcnt(0)
	v_cmp_ne_u32_e32 vcc_lo, 0, v68
	s_mov_b32 s5, 0
	s_cbranch_vccnz .LBB32_144
; %bb.13:
	s_clause 0x1
	buffer_load_dword v68, v71, s[0:3], 0 offen
	buffer_load_dword v70, v71, s[0:3], 0 offen offset:4
                                        ; implicit-def: $vgpr73
                                        ; implicit-def: $vgpr72
                                        ; implicit-def: $vgpr67
	s_waitcnt vmcnt(0)
	v_cmp_ngt_f32_e64 s5, |v68|, |v70|
	s_and_saveexec_b32 s8, s5
	s_xor_b32 s5, exec_lo, s8
	s_cbranch_execz .LBB32_15
; %bb.14:
	v_div_scale_f32 v67, null, v70, v70, v68
	v_div_scale_f32 v74, vcc_lo, v68, v70, v68
	v_rcp_f32_e32 v72, v67
	v_fma_f32 v73, -v67, v72, 1.0
	v_fmac_f32_e32 v72, v73, v72
	v_mul_f32_e32 v73, v74, v72
	v_fma_f32 v75, -v67, v73, v74
	v_fmac_f32_e32 v73, v75, v72
	v_fma_f32 v67, -v67, v73, v74
	v_div_fmas_f32 v67, v67, v72, v73
	v_div_fixup_f32 v67, v67, v70, v68
	v_fmac_f32_e32 v70, v68, v67
	v_div_scale_f32 v68, null, v70, v70, 1.0
	v_rcp_f32_e32 v72, v68
	v_fma_f32 v73, -v68, v72, 1.0
	v_fmac_f32_e32 v72, v73, v72
	v_div_scale_f32 v73, vcc_lo, 1.0, v70, 1.0
	v_mul_f32_e32 v74, v73, v72
	v_fma_f32 v75, -v68, v74, v73
	v_fmac_f32_e32 v74, v75, v72
	v_fma_f32 v68, -v68, v74, v73
	v_div_fmas_f32 v68, v68, v72, v74
	v_div_fixup_f32 v68, v68, v70, 1.0
                                        ; implicit-def: $vgpr70
	v_mul_f32_e32 v73, v67, v68
	v_xor_b32_e32 v72, 0x80000000, v68
                                        ; implicit-def: $vgpr68
	v_xor_b32_e32 v67, 0x80000000, v73
.LBB32_15:
	s_andn2_saveexec_b32 s5, s5
	s_cbranch_execz .LBB32_17
; %bb.16:
	v_div_scale_f32 v67, null, v68, v68, v70
	v_div_scale_f32 v74, vcc_lo, v70, v68, v70
	v_rcp_f32_e32 v72, v67
	v_fma_f32 v73, -v67, v72, 1.0
	v_fmac_f32_e32 v72, v73, v72
	v_mul_f32_e32 v73, v74, v72
	v_fma_f32 v75, -v67, v73, v74
	v_fmac_f32_e32 v73, v75, v72
	v_fma_f32 v67, -v67, v73, v74
	v_div_fmas_f32 v67, v67, v72, v73
	v_div_fixup_f32 v72, v67, v68, v70
	v_fmac_f32_e32 v68, v70, v72
	v_div_scale_f32 v67, null, v68, v68, 1.0
	v_div_scale_f32 v74, vcc_lo, 1.0, v68, 1.0
	v_rcp_f32_e32 v70, v67
	v_fma_f32 v73, -v67, v70, 1.0
	v_fmac_f32_e32 v70, v73, v70
	v_mul_f32_e32 v73, v74, v70
	v_fma_f32 v75, -v67, v73, v74
	v_fmac_f32_e32 v73, v75, v70
	v_fma_f32 v67, -v67, v73, v74
	v_div_fmas_f32 v67, v67, v70, v73
	v_div_fixup_f32 v73, v67, v68, 1.0
	v_xor_b32_e32 v67, 0x80000000, v73
	v_mul_f32_e64 v72, v72, -v73
.LBB32_17:
	s_or_b32 exec_lo, exec_lo, s5
	buffer_store_dword v73, v71, s[0:3], 0 offen
	buffer_store_dword v72, v71, s[0:3], 0 offen offset:4
	s_clause 0x1
	buffer_load_dword v74, off, s[0:3], 0 offset:12
	buffer_load_dword v73, off, s[0:3], 0 offset:8
	v_xor_b32_e32 v68, 0x80000000, v72
	v_add_nc_u32_e32 v70, 0x110, v69
	s_waitcnt vmcnt(0)
	ds_write2_b64 v69, v[67:68], v[73:74] offset1:34
	s_waitcnt lgkmcnt(0)
	s_waitcnt_vscnt null, 0x0
	s_barrier
	buffer_gl0_inv
	s_and_saveexec_b32 s5, s4
	s_cbranch_execz .LBB32_19
; %bb.18:
	s_clause 0x1
	buffer_load_dword v74, v71, s[0:3], 0 offen offset:4
	buffer_load_dword v75, v71, s[0:3], 0 offen
	ds_read_b64 v[67:68], v70
	v_mov_b32_e32 v72, 0
	ds_read_b64 v[72:73], v72 offset:8
	s_waitcnt vmcnt(1) lgkmcnt(1)
	v_mul_f32_e32 v76, v67, v74
	v_mul_f32_e32 v74, v68, v74
	s_waitcnt vmcnt(0)
	v_fmac_f32_e32 v76, v68, v75
	v_fma_f32 v67, v67, v75, -v74
	v_add_f32_e32 v68, 0, v76
	v_add_f32_e32 v67, 0, v67
	s_waitcnt lgkmcnt(0)
	v_mul_f32_e32 v74, v68, v73
	v_mul_f32_e32 v73, v67, v73
	v_fma_f32 v67, v67, v72, -v74
	v_fmac_f32_e32 v73, v68, v72
	buffer_store_dword v67, off, s[0:3], 0 offset:8
	buffer_store_dword v73, off, s[0:3], 0 offset:12
.LBB32_19:
	s_or_b32 exec_lo, exec_lo, s5
	s_waitcnt_vscnt null, 0x0
	s_barrier
	buffer_gl0_inv
	s_clause 0x1
	buffer_load_dword v67, off, s[0:3], 0 offset:16
	buffer_load_dword v68, off, s[0:3], 0 offset:20
	s_mov_b32 s5, exec_lo
	s_waitcnt vmcnt(0)
	ds_write_b64 v70, v[67:68]
	s_waitcnt lgkmcnt(0)
	s_barrier
	buffer_gl0_inv
	v_cmpx_gt_u32_e32 2, v0
	s_cbranch_execz .LBB32_23
; %bb.20:
	s_clause 0x1
	buffer_load_dword v72, v71, s[0:3], 0 offen offset:4
	buffer_load_dword v71, v71, s[0:3], 0 offen
	ds_read_b64 v[67:68], v70
	s_waitcnt vmcnt(1) lgkmcnt(0)
	v_mul_f32_e32 v73, v68, v72
	v_mul_f32_e32 v72, v67, v72
	s_waitcnt vmcnt(0)
	v_fma_f32 v67, v67, v71, -v73
	v_fmac_f32_e32 v72, v68, v71
	v_add_f32_e32 v68, 0, v67
	v_add_f32_e32 v67, 0, v72
	s_and_saveexec_b32 s8, s4
	s_cbranch_execz .LBB32_22
; %bb.21:
	s_clause 0x1
	buffer_load_dword v73, off, s[0:3], 0 offset:12
	buffer_load_dword v74, off, s[0:3], 0 offset:8
	v_mov_b32_e32 v71, 0
	ds_read_b64 v[71:72], v71 offset:280
	s_waitcnt vmcnt(1) lgkmcnt(0)
	v_mul_f32_e32 v75, v71, v73
	v_mul_f32_e32 v73, v72, v73
	s_waitcnt vmcnt(0)
	v_fmac_f32_e32 v75, v72, v74
	v_fma_f32 v71, v71, v74, -v73
	v_add_f32_e32 v67, v67, v75
	v_add_f32_e32 v68, v68, v71
.LBB32_22:
	s_or_b32 exec_lo, exec_lo, s8
	v_mov_b32_e32 v71, 0
	ds_read_b64 v[71:72], v71 offset:16
	s_waitcnt lgkmcnt(0)
	v_mul_f32_e32 v73, v67, v72
	v_mul_f32_e32 v72, v68, v72
	v_fma_f32 v68, v68, v71, -v73
	v_fmac_f32_e32 v72, v67, v71
	buffer_store_dword v68, off, s[0:3], 0 offset:16
	buffer_store_dword v72, off, s[0:3], 0 offset:20
.LBB32_23:
	s_or_b32 exec_lo, exec_lo, s5
	s_waitcnt_vscnt null, 0x0
	s_barrier
	buffer_gl0_inv
	s_clause 0x1
	buffer_load_dword v71, off, s[0:3], 0 offset:24
	buffer_load_dword v72, off, s[0:3], 0 offset:28
	v_add_nc_u32_e32 v67, -1, v0
	s_mov_b32 s4, exec_lo
	s_waitcnt vmcnt(0)
	ds_write_b64 v70, v[71:72]
	s_waitcnt lgkmcnt(0)
	s_barrier
	buffer_gl0_inv
	v_cmpx_gt_u32_e32 3, v0
	s_cbranch_execz .LBB32_27
; %bb.24:
	v_add_nc_u32_e32 v71, -1, v0
	v_add_nc_u32_e32 v72, 0x110, v69
	v_mov_b32_e32 v73, v69
	v_mov_b32_e32 v68, 0
	;; [unrolled: 1-line block ×3, first 2 shown]
	s_mov_b32 s5, 0
	.p2align	6
.LBB32_25:                              ; =>This Inner Loop Header: Depth=1
	s_clause 0x1
	buffer_load_dword v77, v73, s[0:3], 0 offen offset:4
	buffer_load_dword v78, v73, s[0:3], 0 offen
	ds_read_b64 v[75:76], v72
	v_add_nc_u32_e32 v71, 1, v71
	v_add_nc_u32_e32 v72, 8, v72
	;; [unrolled: 1-line block ×3, first 2 shown]
	v_cmp_lt_u32_e32 vcc_lo, 1, v71
	s_or_b32 s5, vcc_lo, s5
	s_waitcnt vmcnt(1) lgkmcnt(0)
	v_mul_f32_e32 v79, v76, v77
	v_mul_f32_e32 v77, v75, v77
	s_waitcnt vmcnt(0)
	v_fma_f32 v75, v75, v78, -v79
	v_fmac_f32_e32 v77, v76, v78
	v_add_f32_e32 v74, v74, v75
	v_add_f32_e32 v68, v68, v77
	s_andn2_b32 exec_lo, exec_lo, s5
	s_cbranch_execnz .LBB32_25
; %bb.26:
	s_or_b32 exec_lo, exec_lo, s5
	v_mov_b32_e32 v71, 0
	ds_read_b64 v[71:72], v71 offset:24
	s_waitcnt lgkmcnt(0)
	v_mul_f32_e32 v73, v68, v72
	v_mul_f32_e32 v72, v74, v72
	v_fma_f32 v73, v74, v71, -v73
	v_fmac_f32_e32 v72, v68, v71
	buffer_store_dword v73, off, s[0:3], 0 offset:24
	buffer_store_dword v72, off, s[0:3], 0 offset:28
.LBB32_27:
	s_or_b32 exec_lo, exec_lo, s4
	s_waitcnt_vscnt null, 0x0
	s_barrier
	buffer_gl0_inv
	s_clause 0x1
	buffer_load_dword v71, off, s[0:3], 0 offset:32
	buffer_load_dword v72, off, s[0:3], 0 offset:36
	s_mov_b32 s4, exec_lo
	s_waitcnt vmcnt(0)
	ds_write_b64 v70, v[71:72]
	s_waitcnt lgkmcnt(0)
	s_barrier
	buffer_gl0_inv
	v_cmpx_gt_u32_e32 4, v0
	s_cbranch_execz .LBB32_31
; %bb.28:
	v_add_nc_u32_e32 v71, -1, v0
	v_add_nc_u32_e32 v72, 0x110, v69
	v_mov_b32_e32 v73, v69
	v_mov_b32_e32 v68, 0
	;; [unrolled: 1-line block ×3, first 2 shown]
	s_mov_b32 s5, 0
	.p2align	6
.LBB32_29:                              ; =>This Inner Loop Header: Depth=1
	s_clause 0x1
	buffer_load_dword v77, v73, s[0:3], 0 offen offset:4
	buffer_load_dword v78, v73, s[0:3], 0 offen
	ds_read_b64 v[75:76], v72
	v_add_nc_u32_e32 v71, 1, v71
	v_add_nc_u32_e32 v72, 8, v72
	;; [unrolled: 1-line block ×3, first 2 shown]
	v_cmp_lt_u32_e32 vcc_lo, 2, v71
	s_or_b32 s5, vcc_lo, s5
	s_waitcnt vmcnt(1) lgkmcnt(0)
	v_mul_f32_e32 v79, v76, v77
	v_mul_f32_e32 v77, v75, v77
	s_waitcnt vmcnt(0)
	v_fma_f32 v75, v75, v78, -v79
	v_fmac_f32_e32 v77, v76, v78
	v_add_f32_e32 v74, v74, v75
	v_add_f32_e32 v68, v68, v77
	s_andn2_b32 exec_lo, exec_lo, s5
	s_cbranch_execnz .LBB32_29
; %bb.30:
	s_or_b32 exec_lo, exec_lo, s5
	v_mov_b32_e32 v71, 0
	ds_read_b64 v[71:72], v71 offset:32
	s_waitcnt lgkmcnt(0)
	v_mul_f32_e32 v73, v68, v72
	v_mul_f32_e32 v72, v74, v72
	v_fma_f32 v73, v74, v71, -v73
	v_fmac_f32_e32 v72, v68, v71
	buffer_store_dword v73, off, s[0:3], 0 offset:32
	buffer_store_dword v72, off, s[0:3], 0 offset:36
.LBB32_31:
	s_or_b32 exec_lo, exec_lo, s4
	s_waitcnt_vscnt null, 0x0
	s_barrier
	buffer_gl0_inv
	s_clause 0x1
	buffer_load_dword v71, off, s[0:3], 0 offset:40
	buffer_load_dword v72, off, s[0:3], 0 offset:44
	s_mov_b32 s4, exec_lo
	s_waitcnt vmcnt(0)
	ds_write_b64 v70, v[71:72]
	s_waitcnt lgkmcnt(0)
	s_barrier
	buffer_gl0_inv
	v_cmpx_gt_u32_e32 5, v0
	s_cbranch_execz .LBB32_35
; %bb.32:
	v_add_nc_u32_e32 v71, -1, v0
	v_add_nc_u32_e32 v72, 0x110, v69
	v_mov_b32_e32 v73, v69
	v_mov_b32_e32 v68, 0
	;; [unrolled: 1-line block ×3, first 2 shown]
	s_mov_b32 s5, 0
	.p2align	6
.LBB32_33:                              ; =>This Inner Loop Header: Depth=1
	s_clause 0x1
	buffer_load_dword v77, v73, s[0:3], 0 offen offset:4
	buffer_load_dword v78, v73, s[0:3], 0 offen
	ds_read_b64 v[75:76], v72
	v_add_nc_u32_e32 v71, 1, v71
	v_add_nc_u32_e32 v72, 8, v72
	;; [unrolled: 1-line block ×3, first 2 shown]
	v_cmp_lt_u32_e32 vcc_lo, 3, v71
	s_or_b32 s5, vcc_lo, s5
	s_waitcnt vmcnt(1) lgkmcnt(0)
	v_mul_f32_e32 v79, v76, v77
	v_mul_f32_e32 v77, v75, v77
	s_waitcnt vmcnt(0)
	v_fma_f32 v75, v75, v78, -v79
	v_fmac_f32_e32 v77, v76, v78
	v_add_f32_e32 v74, v74, v75
	v_add_f32_e32 v68, v68, v77
	s_andn2_b32 exec_lo, exec_lo, s5
	s_cbranch_execnz .LBB32_33
; %bb.34:
	s_or_b32 exec_lo, exec_lo, s5
	v_mov_b32_e32 v71, 0
	ds_read_b64 v[71:72], v71 offset:40
	s_waitcnt lgkmcnt(0)
	v_mul_f32_e32 v73, v68, v72
	v_mul_f32_e32 v72, v74, v72
	v_fma_f32 v73, v74, v71, -v73
	v_fmac_f32_e32 v72, v68, v71
	buffer_store_dword v73, off, s[0:3], 0 offset:40
	buffer_store_dword v72, off, s[0:3], 0 offset:44
.LBB32_35:
	s_or_b32 exec_lo, exec_lo, s4
	s_waitcnt_vscnt null, 0x0
	s_barrier
	buffer_gl0_inv
	s_clause 0x1
	buffer_load_dword v71, off, s[0:3], 0 offset:48
	buffer_load_dword v72, off, s[0:3], 0 offset:52
	s_mov_b32 s4, exec_lo
	s_waitcnt vmcnt(0)
	ds_write_b64 v70, v[71:72]
	s_waitcnt lgkmcnt(0)
	s_barrier
	buffer_gl0_inv
	v_cmpx_gt_u32_e32 6, v0
	s_cbranch_execz .LBB32_39
; %bb.36:
	v_add_nc_u32_e32 v71, -1, v0
	v_add_nc_u32_e32 v72, 0x110, v69
	v_mov_b32_e32 v73, v69
	v_mov_b32_e32 v68, 0
	;; [unrolled: 1-line block ×3, first 2 shown]
	s_mov_b32 s5, 0
	.p2align	6
.LBB32_37:                              ; =>This Inner Loop Header: Depth=1
	s_clause 0x1
	buffer_load_dword v77, v73, s[0:3], 0 offen offset:4
	buffer_load_dword v78, v73, s[0:3], 0 offen
	ds_read_b64 v[75:76], v72
	v_add_nc_u32_e32 v71, 1, v71
	v_add_nc_u32_e32 v72, 8, v72
	;; [unrolled: 1-line block ×3, first 2 shown]
	v_cmp_lt_u32_e32 vcc_lo, 4, v71
	s_or_b32 s5, vcc_lo, s5
	s_waitcnt vmcnt(1) lgkmcnt(0)
	v_mul_f32_e32 v79, v76, v77
	v_mul_f32_e32 v77, v75, v77
	s_waitcnt vmcnt(0)
	v_fma_f32 v75, v75, v78, -v79
	v_fmac_f32_e32 v77, v76, v78
	v_add_f32_e32 v74, v74, v75
	v_add_f32_e32 v68, v68, v77
	s_andn2_b32 exec_lo, exec_lo, s5
	s_cbranch_execnz .LBB32_37
; %bb.38:
	s_or_b32 exec_lo, exec_lo, s5
	v_mov_b32_e32 v71, 0
	ds_read_b64 v[71:72], v71 offset:48
	s_waitcnt lgkmcnt(0)
	v_mul_f32_e32 v73, v68, v72
	v_mul_f32_e32 v72, v74, v72
	v_fma_f32 v73, v74, v71, -v73
	v_fmac_f32_e32 v72, v68, v71
	buffer_store_dword v73, off, s[0:3], 0 offset:48
	buffer_store_dword v72, off, s[0:3], 0 offset:52
.LBB32_39:
	s_or_b32 exec_lo, exec_lo, s4
	s_waitcnt_vscnt null, 0x0
	s_barrier
	buffer_gl0_inv
	s_clause 0x1
	buffer_load_dword v71, off, s[0:3], 0 offset:56
	buffer_load_dword v72, off, s[0:3], 0 offset:60
	s_mov_b32 s4, exec_lo
	s_waitcnt vmcnt(0)
	ds_write_b64 v70, v[71:72]
	s_waitcnt lgkmcnt(0)
	s_barrier
	buffer_gl0_inv
	v_cmpx_gt_u32_e32 7, v0
	s_cbranch_execz .LBB32_43
; %bb.40:
	v_add_nc_u32_e32 v71, -1, v0
	v_add_nc_u32_e32 v72, 0x110, v69
	v_mov_b32_e32 v73, v69
	v_mov_b32_e32 v68, 0
	;; [unrolled: 1-line block ×3, first 2 shown]
	s_mov_b32 s5, 0
	.p2align	6
.LBB32_41:                              ; =>This Inner Loop Header: Depth=1
	s_clause 0x1
	buffer_load_dword v77, v73, s[0:3], 0 offen offset:4
	buffer_load_dword v78, v73, s[0:3], 0 offen
	ds_read_b64 v[75:76], v72
	v_add_nc_u32_e32 v71, 1, v71
	v_add_nc_u32_e32 v72, 8, v72
	;; [unrolled: 1-line block ×3, first 2 shown]
	v_cmp_lt_u32_e32 vcc_lo, 5, v71
	s_or_b32 s5, vcc_lo, s5
	s_waitcnt vmcnt(1) lgkmcnt(0)
	v_mul_f32_e32 v79, v76, v77
	v_mul_f32_e32 v77, v75, v77
	s_waitcnt vmcnt(0)
	v_fma_f32 v75, v75, v78, -v79
	v_fmac_f32_e32 v77, v76, v78
	v_add_f32_e32 v74, v74, v75
	v_add_f32_e32 v68, v68, v77
	s_andn2_b32 exec_lo, exec_lo, s5
	s_cbranch_execnz .LBB32_41
; %bb.42:
	s_or_b32 exec_lo, exec_lo, s5
	v_mov_b32_e32 v71, 0
	ds_read_b64 v[71:72], v71 offset:56
	s_waitcnt lgkmcnt(0)
	v_mul_f32_e32 v73, v68, v72
	v_mul_f32_e32 v72, v74, v72
	v_fma_f32 v73, v74, v71, -v73
	v_fmac_f32_e32 v72, v68, v71
	buffer_store_dword v73, off, s[0:3], 0 offset:56
	buffer_store_dword v72, off, s[0:3], 0 offset:60
.LBB32_43:
	s_or_b32 exec_lo, exec_lo, s4
	s_waitcnt_vscnt null, 0x0
	s_barrier
	buffer_gl0_inv
	s_clause 0x1
	buffer_load_dword v71, off, s[0:3], 0 offset:64
	buffer_load_dword v72, off, s[0:3], 0 offset:68
	s_mov_b32 s4, exec_lo
	s_waitcnt vmcnt(0)
	ds_write_b64 v70, v[71:72]
	s_waitcnt lgkmcnt(0)
	s_barrier
	buffer_gl0_inv
	v_cmpx_gt_u32_e32 8, v0
	s_cbranch_execz .LBB32_47
; %bb.44:
	v_add_nc_u32_e32 v71, -1, v0
	v_add_nc_u32_e32 v72, 0x110, v69
	v_mov_b32_e32 v73, v69
	v_mov_b32_e32 v68, 0
	;; [unrolled: 1-line block ×3, first 2 shown]
	s_mov_b32 s5, 0
	.p2align	6
.LBB32_45:                              ; =>This Inner Loop Header: Depth=1
	s_clause 0x1
	buffer_load_dword v77, v73, s[0:3], 0 offen offset:4
	buffer_load_dword v78, v73, s[0:3], 0 offen
	ds_read_b64 v[75:76], v72
	v_add_nc_u32_e32 v71, 1, v71
	v_add_nc_u32_e32 v72, 8, v72
	;; [unrolled: 1-line block ×3, first 2 shown]
	v_cmp_lt_u32_e32 vcc_lo, 6, v71
	s_or_b32 s5, vcc_lo, s5
	s_waitcnt vmcnt(1) lgkmcnt(0)
	v_mul_f32_e32 v79, v76, v77
	v_mul_f32_e32 v77, v75, v77
	s_waitcnt vmcnt(0)
	v_fma_f32 v75, v75, v78, -v79
	v_fmac_f32_e32 v77, v76, v78
	v_add_f32_e32 v74, v74, v75
	v_add_f32_e32 v68, v68, v77
	s_andn2_b32 exec_lo, exec_lo, s5
	s_cbranch_execnz .LBB32_45
; %bb.46:
	s_or_b32 exec_lo, exec_lo, s5
	v_mov_b32_e32 v71, 0
	ds_read_b64 v[71:72], v71 offset:64
	s_waitcnt lgkmcnt(0)
	v_mul_f32_e32 v73, v68, v72
	v_mul_f32_e32 v72, v74, v72
	v_fma_f32 v73, v74, v71, -v73
	v_fmac_f32_e32 v72, v68, v71
	buffer_store_dword v73, off, s[0:3], 0 offset:64
	buffer_store_dword v72, off, s[0:3], 0 offset:68
.LBB32_47:
	s_or_b32 exec_lo, exec_lo, s4
	s_waitcnt_vscnt null, 0x0
	s_barrier
	buffer_gl0_inv
	s_clause 0x1
	buffer_load_dword v71, off, s[0:3], 0 offset:72
	buffer_load_dword v72, off, s[0:3], 0 offset:76
	s_mov_b32 s4, exec_lo
	s_waitcnt vmcnt(0)
	ds_write_b64 v70, v[71:72]
	s_waitcnt lgkmcnt(0)
	s_barrier
	buffer_gl0_inv
	v_cmpx_gt_u32_e32 9, v0
	s_cbranch_execz .LBB32_51
; %bb.48:
	v_add_nc_u32_e32 v71, -1, v0
	v_add_nc_u32_e32 v72, 0x110, v69
	v_mov_b32_e32 v73, v69
	v_mov_b32_e32 v68, 0
	;; [unrolled: 1-line block ×3, first 2 shown]
	s_mov_b32 s5, 0
	.p2align	6
.LBB32_49:                              ; =>This Inner Loop Header: Depth=1
	s_clause 0x1
	buffer_load_dword v77, v73, s[0:3], 0 offen offset:4
	buffer_load_dword v78, v73, s[0:3], 0 offen
	ds_read_b64 v[75:76], v72
	v_add_nc_u32_e32 v71, 1, v71
	v_add_nc_u32_e32 v72, 8, v72
	v_add_nc_u32_e32 v73, 8, v73
	v_cmp_lt_u32_e32 vcc_lo, 7, v71
	s_or_b32 s5, vcc_lo, s5
	s_waitcnt vmcnt(1) lgkmcnt(0)
	v_mul_f32_e32 v79, v76, v77
	v_mul_f32_e32 v77, v75, v77
	s_waitcnt vmcnt(0)
	v_fma_f32 v75, v75, v78, -v79
	v_fmac_f32_e32 v77, v76, v78
	v_add_f32_e32 v74, v74, v75
	v_add_f32_e32 v68, v68, v77
	s_andn2_b32 exec_lo, exec_lo, s5
	s_cbranch_execnz .LBB32_49
; %bb.50:
	s_or_b32 exec_lo, exec_lo, s5
	v_mov_b32_e32 v71, 0
	ds_read_b64 v[71:72], v71 offset:72
	s_waitcnt lgkmcnt(0)
	v_mul_f32_e32 v73, v68, v72
	v_mul_f32_e32 v72, v74, v72
	v_fma_f32 v73, v74, v71, -v73
	v_fmac_f32_e32 v72, v68, v71
	buffer_store_dword v73, off, s[0:3], 0 offset:72
	buffer_store_dword v72, off, s[0:3], 0 offset:76
.LBB32_51:
	s_or_b32 exec_lo, exec_lo, s4
	s_waitcnt_vscnt null, 0x0
	s_barrier
	buffer_gl0_inv
	s_clause 0x1
	buffer_load_dword v71, off, s[0:3], 0 offset:80
	buffer_load_dword v72, off, s[0:3], 0 offset:84
	s_mov_b32 s4, exec_lo
	s_waitcnt vmcnt(0)
	ds_write_b64 v70, v[71:72]
	s_waitcnt lgkmcnt(0)
	s_barrier
	buffer_gl0_inv
	v_cmpx_gt_u32_e32 10, v0
	s_cbranch_execz .LBB32_55
; %bb.52:
	v_add_nc_u32_e32 v71, -1, v0
	v_add_nc_u32_e32 v72, 0x110, v69
	v_mov_b32_e32 v73, v69
	v_mov_b32_e32 v68, 0
	;; [unrolled: 1-line block ×3, first 2 shown]
	s_mov_b32 s5, 0
	.p2align	6
.LBB32_53:                              ; =>This Inner Loop Header: Depth=1
	s_clause 0x1
	buffer_load_dword v77, v73, s[0:3], 0 offen offset:4
	buffer_load_dword v78, v73, s[0:3], 0 offen
	ds_read_b64 v[75:76], v72
	v_add_nc_u32_e32 v71, 1, v71
	v_add_nc_u32_e32 v72, 8, v72
	;; [unrolled: 1-line block ×3, first 2 shown]
	v_cmp_lt_u32_e32 vcc_lo, 8, v71
	s_or_b32 s5, vcc_lo, s5
	s_waitcnt vmcnt(1) lgkmcnt(0)
	v_mul_f32_e32 v79, v76, v77
	v_mul_f32_e32 v77, v75, v77
	s_waitcnt vmcnt(0)
	v_fma_f32 v75, v75, v78, -v79
	v_fmac_f32_e32 v77, v76, v78
	v_add_f32_e32 v74, v74, v75
	v_add_f32_e32 v68, v68, v77
	s_andn2_b32 exec_lo, exec_lo, s5
	s_cbranch_execnz .LBB32_53
; %bb.54:
	s_or_b32 exec_lo, exec_lo, s5
	v_mov_b32_e32 v71, 0
	ds_read_b64 v[71:72], v71 offset:80
	s_waitcnt lgkmcnt(0)
	v_mul_f32_e32 v73, v68, v72
	v_mul_f32_e32 v72, v74, v72
	v_fma_f32 v73, v74, v71, -v73
	v_fmac_f32_e32 v72, v68, v71
	buffer_store_dword v73, off, s[0:3], 0 offset:80
	buffer_store_dword v72, off, s[0:3], 0 offset:84
.LBB32_55:
	s_or_b32 exec_lo, exec_lo, s4
	s_waitcnt_vscnt null, 0x0
	s_barrier
	buffer_gl0_inv
	s_clause 0x1
	buffer_load_dword v71, off, s[0:3], 0 offset:88
	buffer_load_dword v72, off, s[0:3], 0 offset:92
	s_mov_b32 s4, exec_lo
	s_waitcnt vmcnt(0)
	ds_write_b64 v70, v[71:72]
	s_waitcnt lgkmcnt(0)
	s_barrier
	buffer_gl0_inv
	v_cmpx_gt_u32_e32 11, v0
	s_cbranch_execz .LBB32_59
; %bb.56:
	v_add_nc_u32_e32 v71, -1, v0
	v_add_nc_u32_e32 v72, 0x110, v69
	v_mov_b32_e32 v73, v69
	v_mov_b32_e32 v68, 0
	;; [unrolled: 1-line block ×3, first 2 shown]
	s_mov_b32 s5, 0
	.p2align	6
.LBB32_57:                              ; =>This Inner Loop Header: Depth=1
	s_clause 0x1
	buffer_load_dword v77, v73, s[0:3], 0 offen offset:4
	buffer_load_dword v78, v73, s[0:3], 0 offen
	ds_read_b64 v[75:76], v72
	v_add_nc_u32_e32 v71, 1, v71
	v_add_nc_u32_e32 v72, 8, v72
	;; [unrolled: 1-line block ×3, first 2 shown]
	v_cmp_lt_u32_e32 vcc_lo, 9, v71
	s_or_b32 s5, vcc_lo, s5
	s_waitcnt vmcnt(1) lgkmcnt(0)
	v_mul_f32_e32 v79, v76, v77
	v_mul_f32_e32 v77, v75, v77
	s_waitcnt vmcnt(0)
	v_fma_f32 v75, v75, v78, -v79
	v_fmac_f32_e32 v77, v76, v78
	v_add_f32_e32 v74, v74, v75
	v_add_f32_e32 v68, v68, v77
	s_andn2_b32 exec_lo, exec_lo, s5
	s_cbranch_execnz .LBB32_57
; %bb.58:
	s_or_b32 exec_lo, exec_lo, s5
	v_mov_b32_e32 v71, 0
	ds_read_b64 v[71:72], v71 offset:88
	s_waitcnt lgkmcnt(0)
	v_mul_f32_e32 v73, v68, v72
	v_mul_f32_e32 v72, v74, v72
	v_fma_f32 v73, v74, v71, -v73
	v_fmac_f32_e32 v72, v68, v71
	buffer_store_dword v73, off, s[0:3], 0 offset:88
	buffer_store_dword v72, off, s[0:3], 0 offset:92
.LBB32_59:
	s_or_b32 exec_lo, exec_lo, s4
	s_waitcnt_vscnt null, 0x0
	s_barrier
	buffer_gl0_inv
	s_clause 0x1
	buffer_load_dword v71, off, s[0:3], 0 offset:96
	buffer_load_dword v72, off, s[0:3], 0 offset:100
	s_mov_b32 s4, exec_lo
	s_waitcnt vmcnt(0)
	ds_write_b64 v70, v[71:72]
	s_waitcnt lgkmcnt(0)
	s_barrier
	buffer_gl0_inv
	v_cmpx_gt_u32_e32 12, v0
	s_cbranch_execz .LBB32_63
; %bb.60:
	v_add_nc_u32_e32 v71, -1, v0
	v_add_nc_u32_e32 v72, 0x110, v69
	v_mov_b32_e32 v73, v69
	v_mov_b32_e32 v68, 0
	;; [unrolled: 1-line block ×3, first 2 shown]
	s_mov_b32 s5, 0
	.p2align	6
.LBB32_61:                              ; =>This Inner Loop Header: Depth=1
	s_clause 0x1
	buffer_load_dword v77, v73, s[0:3], 0 offen offset:4
	buffer_load_dword v78, v73, s[0:3], 0 offen
	ds_read_b64 v[75:76], v72
	v_add_nc_u32_e32 v71, 1, v71
	v_add_nc_u32_e32 v72, 8, v72
	;; [unrolled: 1-line block ×3, first 2 shown]
	v_cmp_lt_u32_e32 vcc_lo, 10, v71
	s_or_b32 s5, vcc_lo, s5
	s_waitcnt vmcnt(1) lgkmcnt(0)
	v_mul_f32_e32 v79, v76, v77
	v_mul_f32_e32 v77, v75, v77
	s_waitcnt vmcnt(0)
	v_fma_f32 v75, v75, v78, -v79
	v_fmac_f32_e32 v77, v76, v78
	v_add_f32_e32 v74, v74, v75
	v_add_f32_e32 v68, v68, v77
	s_andn2_b32 exec_lo, exec_lo, s5
	s_cbranch_execnz .LBB32_61
; %bb.62:
	s_or_b32 exec_lo, exec_lo, s5
	v_mov_b32_e32 v71, 0
	ds_read_b64 v[71:72], v71 offset:96
	s_waitcnt lgkmcnt(0)
	v_mul_f32_e32 v73, v68, v72
	v_mul_f32_e32 v72, v74, v72
	v_fma_f32 v73, v74, v71, -v73
	v_fmac_f32_e32 v72, v68, v71
	buffer_store_dword v73, off, s[0:3], 0 offset:96
	buffer_store_dword v72, off, s[0:3], 0 offset:100
.LBB32_63:
	s_or_b32 exec_lo, exec_lo, s4
	s_waitcnt_vscnt null, 0x0
	s_barrier
	buffer_gl0_inv
	s_clause 0x1
	buffer_load_dword v71, off, s[0:3], 0 offset:104
	buffer_load_dword v72, off, s[0:3], 0 offset:108
	s_mov_b32 s4, exec_lo
	s_waitcnt vmcnt(0)
	ds_write_b64 v70, v[71:72]
	s_waitcnt lgkmcnt(0)
	s_barrier
	buffer_gl0_inv
	v_cmpx_gt_u32_e32 13, v0
	s_cbranch_execz .LBB32_67
; %bb.64:
	v_add_nc_u32_e32 v71, -1, v0
	v_add_nc_u32_e32 v72, 0x110, v69
	v_mov_b32_e32 v73, v69
	v_mov_b32_e32 v68, 0
	;; [unrolled: 1-line block ×3, first 2 shown]
	s_mov_b32 s5, 0
	.p2align	6
.LBB32_65:                              ; =>This Inner Loop Header: Depth=1
	s_clause 0x1
	buffer_load_dword v77, v73, s[0:3], 0 offen offset:4
	buffer_load_dword v78, v73, s[0:3], 0 offen
	ds_read_b64 v[75:76], v72
	v_add_nc_u32_e32 v71, 1, v71
	v_add_nc_u32_e32 v72, 8, v72
	;; [unrolled: 1-line block ×3, first 2 shown]
	v_cmp_lt_u32_e32 vcc_lo, 11, v71
	s_or_b32 s5, vcc_lo, s5
	s_waitcnt vmcnt(1) lgkmcnt(0)
	v_mul_f32_e32 v79, v76, v77
	v_mul_f32_e32 v77, v75, v77
	s_waitcnt vmcnt(0)
	v_fma_f32 v75, v75, v78, -v79
	v_fmac_f32_e32 v77, v76, v78
	v_add_f32_e32 v74, v74, v75
	v_add_f32_e32 v68, v68, v77
	s_andn2_b32 exec_lo, exec_lo, s5
	s_cbranch_execnz .LBB32_65
; %bb.66:
	s_or_b32 exec_lo, exec_lo, s5
	v_mov_b32_e32 v71, 0
	ds_read_b64 v[71:72], v71 offset:104
	s_waitcnt lgkmcnt(0)
	v_mul_f32_e32 v73, v68, v72
	v_mul_f32_e32 v72, v74, v72
	v_fma_f32 v73, v74, v71, -v73
	v_fmac_f32_e32 v72, v68, v71
	buffer_store_dword v73, off, s[0:3], 0 offset:104
	buffer_store_dword v72, off, s[0:3], 0 offset:108
.LBB32_67:
	s_or_b32 exec_lo, exec_lo, s4
	s_waitcnt_vscnt null, 0x0
	s_barrier
	buffer_gl0_inv
	s_clause 0x1
	buffer_load_dword v71, off, s[0:3], 0 offset:112
	buffer_load_dword v72, off, s[0:3], 0 offset:116
	s_mov_b32 s4, exec_lo
	s_waitcnt vmcnt(0)
	ds_write_b64 v70, v[71:72]
	s_waitcnt lgkmcnt(0)
	s_barrier
	buffer_gl0_inv
	v_cmpx_gt_u32_e32 14, v0
	s_cbranch_execz .LBB32_71
; %bb.68:
	v_add_nc_u32_e32 v71, -1, v0
	v_add_nc_u32_e32 v72, 0x110, v69
	v_mov_b32_e32 v73, v69
	v_mov_b32_e32 v68, 0
	;; [unrolled: 1-line block ×3, first 2 shown]
	s_mov_b32 s5, 0
	.p2align	6
.LBB32_69:                              ; =>This Inner Loop Header: Depth=1
	s_clause 0x1
	buffer_load_dword v77, v73, s[0:3], 0 offen offset:4
	buffer_load_dword v78, v73, s[0:3], 0 offen
	ds_read_b64 v[75:76], v72
	v_add_nc_u32_e32 v71, 1, v71
	v_add_nc_u32_e32 v72, 8, v72
	;; [unrolled: 1-line block ×3, first 2 shown]
	v_cmp_lt_u32_e32 vcc_lo, 12, v71
	s_or_b32 s5, vcc_lo, s5
	s_waitcnt vmcnt(1) lgkmcnt(0)
	v_mul_f32_e32 v79, v76, v77
	v_mul_f32_e32 v77, v75, v77
	s_waitcnt vmcnt(0)
	v_fma_f32 v75, v75, v78, -v79
	v_fmac_f32_e32 v77, v76, v78
	v_add_f32_e32 v74, v74, v75
	v_add_f32_e32 v68, v68, v77
	s_andn2_b32 exec_lo, exec_lo, s5
	s_cbranch_execnz .LBB32_69
; %bb.70:
	s_or_b32 exec_lo, exec_lo, s5
	v_mov_b32_e32 v71, 0
	ds_read_b64 v[71:72], v71 offset:112
	s_waitcnt lgkmcnt(0)
	v_mul_f32_e32 v73, v68, v72
	v_mul_f32_e32 v72, v74, v72
	v_fma_f32 v73, v74, v71, -v73
	v_fmac_f32_e32 v72, v68, v71
	buffer_store_dword v73, off, s[0:3], 0 offset:112
	buffer_store_dword v72, off, s[0:3], 0 offset:116
.LBB32_71:
	s_or_b32 exec_lo, exec_lo, s4
	s_waitcnt_vscnt null, 0x0
	s_barrier
	buffer_gl0_inv
	s_clause 0x1
	buffer_load_dword v71, off, s[0:3], 0 offset:120
	buffer_load_dword v72, off, s[0:3], 0 offset:124
	s_mov_b32 s4, exec_lo
	s_waitcnt vmcnt(0)
	ds_write_b64 v70, v[71:72]
	s_waitcnt lgkmcnt(0)
	s_barrier
	buffer_gl0_inv
	v_cmpx_gt_u32_e32 15, v0
	s_cbranch_execz .LBB32_75
; %bb.72:
	v_add_nc_u32_e32 v71, -1, v0
	v_add_nc_u32_e32 v72, 0x110, v69
	v_mov_b32_e32 v73, v69
	v_mov_b32_e32 v68, 0
	v_mov_b32_e32 v74, 0
	s_mov_b32 s5, 0
	.p2align	6
.LBB32_73:                              ; =>This Inner Loop Header: Depth=1
	s_clause 0x1
	buffer_load_dword v77, v73, s[0:3], 0 offen offset:4
	buffer_load_dword v78, v73, s[0:3], 0 offen
	ds_read_b64 v[75:76], v72
	v_add_nc_u32_e32 v71, 1, v71
	v_add_nc_u32_e32 v72, 8, v72
	;; [unrolled: 1-line block ×3, first 2 shown]
	v_cmp_lt_u32_e32 vcc_lo, 13, v71
	s_or_b32 s5, vcc_lo, s5
	s_waitcnt vmcnt(1) lgkmcnt(0)
	v_mul_f32_e32 v79, v76, v77
	v_mul_f32_e32 v77, v75, v77
	s_waitcnt vmcnt(0)
	v_fma_f32 v75, v75, v78, -v79
	v_fmac_f32_e32 v77, v76, v78
	v_add_f32_e32 v74, v74, v75
	v_add_f32_e32 v68, v68, v77
	s_andn2_b32 exec_lo, exec_lo, s5
	s_cbranch_execnz .LBB32_73
; %bb.74:
	s_or_b32 exec_lo, exec_lo, s5
	v_mov_b32_e32 v71, 0
	ds_read_b64 v[71:72], v71 offset:120
	s_waitcnt lgkmcnt(0)
	v_mul_f32_e32 v73, v68, v72
	v_mul_f32_e32 v72, v74, v72
	v_fma_f32 v73, v74, v71, -v73
	v_fmac_f32_e32 v72, v68, v71
	buffer_store_dword v73, off, s[0:3], 0 offset:120
	buffer_store_dword v72, off, s[0:3], 0 offset:124
.LBB32_75:
	s_or_b32 exec_lo, exec_lo, s4
	s_waitcnt_vscnt null, 0x0
	s_barrier
	buffer_gl0_inv
	s_clause 0x1
	buffer_load_dword v71, off, s[0:3], 0 offset:128
	buffer_load_dword v72, off, s[0:3], 0 offset:132
	s_mov_b32 s4, exec_lo
	s_waitcnt vmcnt(0)
	ds_write_b64 v70, v[71:72]
	s_waitcnt lgkmcnt(0)
	s_barrier
	buffer_gl0_inv
	v_cmpx_gt_u32_e32 16, v0
	s_cbranch_execz .LBB32_79
; %bb.76:
	v_add_nc_u32_e32 v71, -1, v0
	v_add_nc_u32_e32 v72, 0x110, v69
	v_mov_b32_e32 v73, v69
	v_mov_b32_e32 v68, 0
	;; [unrolled: 1-line block ×3, first 2 shown]
	s_mov_b32 s5, 0
	.p2align	6
.LBB32_77:                              ; =>This Inner Loop Header: Depth=1
	s_clause 0x1
	buffer_load_dword v77, v73, s[0:3], 0 offen offset:4
	buffer_load_dword v78, v73, s[0:3], 0 offen
	ds_read_b64 v[75:76], v72
	v_add_nc_u32_e32 v71, 1, v71
	v_add_nc_u32_e32 v72, 8, v72
	;; [unrolled: 1-line block ×3, first 2 shown]
	v_cmp_lt_u32_e32 vcc_lo, 14, v71
	s_or_b32 s5, vcc_lo, s5
	s_waitcnt vmcnt(1) lgkmcnt(0)
	v_mul_f32_e32 v79, v76, v77
	v_mul_f32_e32 v77, v75, v77
	s_waitcnt vmcnt(0)
	v_fma_f32 v75, v75, v78, -v79
	v_fmac_f32_e32 v77, v76, v78
	v_add_f32_e32 v74, v74, v75
	v_add_f32_e32 v68, v68, v77
	s_andn2_b32 exec_lo, exec_lo, s5
	s_cbranch_execnz .LBB32_77
; %bb.78:
	s_or_b32 exec_lo, exec_lo, s5
	v_mov_b32_e32 v71, 0
	ds_read_b64 v[71:72], v71 offset:128
	s_waitcnt lgkmcnt(0)
	v_mul_f32_e32 v73, v68, v72
	v_mul_f32_e32 v72, v74, v72
	v_fma_f32 v73, v74, v71, -v73
	v_fmac_f32_e32 v72, v68, v71
	buffer_store_dword v73, off, s[0:3], 0 offset:128
	buffer_store_dword v72, off, s[0:3], 0 offset:132
.LBB32_79:
	s_or_b32 exec_lo, exec_lo, s4
	s_waitcnt_vscnt null, 0x0
	s_barrier
	buffer_gl0_inv
	s_clause 0x1
	buffer_load_dword v71, off, s[0:3], 0 offset:136
	buffer_load_dword v72, off, s[0:3], 0 offset:140
	s_mov_b32 s4, exec_lo
	s_waitcnt vmcnt(0)
	ds_write_b64 v70, v[71:72]
	s_waitcnt lgkmcnt(0)
	s_barrier
	buffer_gl0_inv
	v_cmpx_gt_u32_e32 17, v0
	s_cbranch_execz .LBB32_83
; %bb.80:
	v_add_nc_u32_e32 v71, -1, v0
	v_add_nc_u32_e32 v72, 0x110, v69
	v_mov_b32_e32 v73, v69
	v_mov_b32_e32 v68, 0
	;; [unrolled: 1-line block ×3, first 2 shown]
	s_mov_b32 s5, 0
	.p2align	6
.LBB32_81:                              ; =>This Inner Loop Header: Depth=1
	s_clause 0x1
	buffer_load_dword v77, v73, s[0:3], 0 offen offset:4
	buffer_load_dword v78, v73, s[0:3], 0 offen
	ds_read_b64 v[75:76], v72
	v_add_nc_u32_e32 v71, 1, v71
	v_add_nc_u32_e32 v72, 8, v72
	;; [unrolled: 1-line block ×3, first 2 shown]
	v_cmp_lt_u32_e32 vcc_lo, 15, v71
	s_or_b32 s5, vcc_lo, s5
	s_waitcnt vmcnt(1) lgkmcnt(0)
	v_mul_f32_e32 v79, v76, v77
	v_mul_f32_e32 v77, v75, v77
	s_waitcnt vmcnt(0)
	v_fma_f32 v75, v75, v78, -v79
	v_fmac_f32_e32 v77, v76, v78
	v_add_f32_e32 v74, v74, v75
	v_add_f32_e32 v68, v68, v77
	s_andn2_b32 exec_lo, exec_lo, s5
	s_cbranch_execnz .LBB32_81
; %bb.82:
	s_or_b32 exec_lo, exec_lo, s5
	v_mov_b32_e32 v71, 0
	ds_read_b64 v[71:72], v71 offset:136
	s_waitcnt lgkmcnt(0)
	v_mul_f32_e32 v73, v68, v72
	v_mul_f32_e32 v72, v74, v72
	v_fma_f32 v73, v74, v71, -v73
	v_fmac_f32_e32 v72, v68, v71
	buffer_store_dword v73, off, s[0:3], 0 offset:136
	buffer_store_dword v72, off, s[0:3], 0 offset:140
.LBB32_83:
	s_or_b32 exec_lo, exec_lo, s4
	s_waitcnt_vscnt null, 0x0
	s_barrier
	buffer_gl0_inv
	s_clause 0x1
	buffer_load_dword v71, off, s[0:3], 0 offset:144
	buffer_load_dword v72, off, s[0:3], 0 offset:148
	s_mov_b32 s4, exec_lo
	s_waitcnt vmcnt(0)
	ds_write_b64 v70, v[71:72]
	s_waitcnt lgkmcnt(0)
	s_barrier
	buffer_gl0_inv
	v_cmpx_gt_u32_e32 18, v0
	s_cbranch_execz .LBB32_87
; %bb.84:
	v_add_nc_u32_e32 v71, -1, v0
	v_add_nc_u32_e32 v72, 0x110, v69
	v_mov_b32_e32 v73, v69
	v_mov_b32_e32 v68, 0
	;; [unrolled: 1-line block ×3, first 2 shown]
	s_mov_b32 s5, 0
	.p2align	6
.LBB32_85:                              ; =>This Inner Loop Header: Depth=1
	s_clause 0x1
	buffer_load_dword v77, v73, s[0:3], 0 offen offset:4
	buffer_load_dword v78, v73, s[0:3], 0 offen
	ds_read_b64 v[75:76], v72
	v_add_nc_u32_e32 v71, 1, v71
	v_add_nc_u32_e32 v72, 8, v72
	;; [unrolled: 1-line block ×3, first 2 shown]
	v_cmp_lt_u32_e32 vcc_lo, 16, v71
	s_or_b32 s5, vcc_lo, s5
	s_waitcnt vmcnt(1) lgkmcnt(0)
	v_mul_f32_e32 v79, v76, v77
	v_mul_f32_e32 v77, v75, v77
	s_waitcnt vmcnt(0)
	v_fma_f32 v75, v75, v78, -v79
	v_fmac_f32_e32 v77, v76, v78
	v_add_f32_e32 v74, v74, v75
	v_add_f32_e32 v68, v68, v77
	s_andn2_b32 exec_lo, exec_lo, s5
	s_cbranch_execnz .LBB32_85
; %bb.86:
	s_or_b32 exec_lo, exec_lo, s5
	v_mov_b32_e32 v71, 0
	ds_read_b64 v[71:72], v71 offset:144
	s_waitcnt lgkmcnt(0)
	v_mul_f32_e32 v73, v68, v72
	v_mul_f32_e32 v72, v74, v72
	v_fma_f32 v73, v74, v71, -v73
	v_fmac_f32_e32 v72, v68, v71
	buffer_store_dword v73, off, s[0:3], 0 offset:144
	buffer_store_dword v72, off, s[0:3], 0 offset:148
.LBB32_87:
	s_or_b32 exec_lo, exec_lo, s4
	s_waitcnt_vscnt null, 0x0
	s_barrier
	buffer_gl0_inv
	s_clause 0x1
	buffer_load_dword v71, off, s[0:3], 0 offset:152
	buffer_load_dword v72, off, s[0:3], 0 offset:156
	s_mov_b32 s4, exec_lo
	s_waitcnt vmcnt(0)
	ds_write_b64 v70, v[71:72]
	s_waitcnt lgkmcnt(0)
	s_barrier
	buffer_gl0_inv
	v_cmpx_gt_u32_e32 19, v0
	s_cbranch_execz .LBB32_91
; %bb.88:
	v_add_nc_u32_e32 v71, -1, v0
	v_add_nc_u32_e32 v72, 0x110, v69
	v_mov_b32_e32 v73, v69
	v_mov_b32_e32 v68, 0
	;; [unrolled: 1-line block ×3, first 2 shown]
	s_mov_b32 s5, 0
	.p2align	6
.LBB32_89:                              ; =>This Inner Loop Header: Depth=1
	s_clause 0x1
	buffer_load_dword v77, v73, s[0:3], 0 offen offset:4
	buffer_load_dword v78, v73, s[0:3], 0 offen
	ds_read_b64 v[75:76], v72
	v_add_nc_u32_e32 v71, 1, v71
	v_add_nc_u32_e32 v72, 8, v72
	v_add_nc_u32_e32 v73, 8, v73
	v_cmp_lt_u32_e32 vcc_lo, 17, v71
	s_or_b32 s5, vcc_lo, s5
	s_waitcnt vmcnt(1) lgkmcnt(0)
	v_mul_f32_e32 v79, v76, v77
	v_mul_f32_e32 v77, v75, v77
	s_waitcnt vmcnt(0)
	v_fma_f32 v75, v75, v78, -v79
	v_fmac_f32_e32 v77, v76, v78
	v_add_f32_e32 v74, v74, v75
	v_add_f32_e32 v68, v68, v77
	s_andn2_b32 exec_lo, exec_lo, s5
	s_cbranch_execnz .LBB32_89
; %bb.90:
	s_or_b32 exec_lo, exec_lo, s5
	v_mov_b32_e32 v71, 0
	ds_read_b64 v[71:72], v71 offset:152
	s_waitcnt lgkmcnt(0)
	v_mul_f32_e32 v73, v68, v72
	v_mul_f32_e32 v72, v74, v72
	v_fma_f32 v73, v74, v71, -v73
	v_fmac_f32_e32 v72, v68, v71
	buffer_store_dword v73, off, s[0:3], 0 offset:152
	buffer_store_dword v72, off, s[0:3], 0 offset:156
.LBB32_91:
	s_or_b32 exec_lo, exec_lo, s4
	s_waitcnt_vscnt null, 0x0
	s_barrier
	buffer_gl0_inv
	s_clause 0x1
	buffer_load_dword v71, off, s[0:3], 0 offset:160
	buffer_load_dword v72, off, s[0:3], 0 offset:164
	s_mov_b32 s4, exec_lo
	s_waitcnt vmcnt(0)
	ds_write_b64 v70, v[71:72]
	s_waitcnt lgkmcnt(0)
	s_barrier
	buffer_gl0_inv
	v_cmpx_gt_u32_e32 20, v0
	s_cbranch_execz .LBB32_95
; %bb.92:
	v_add_nc_u32_e32 v71, -1, v0
	v_add_nc_u32_e32 v72, 0x110, v69
	v_mov_b32_e32 v73, v69
	v_mov_b32_e32 v68, 0
	;; [unrolled: 1-line block ×3, first 2 shown]
	s_mov_b32 s5, 0
	.p2align	6
.LBB32_93:                              ; =>This Inner Loop Header: Depth=1
	s_clause 0x1
	buffer_load_dword v77, v73, s[0:3], 0 offen offset:4
	buffer_load_dword v78, v73, s[0:3], 0 offen
	ds_read_b64 v[75:76], v72
	v_add_nc_u32_e32 v71, 1, v71
	v_add_nc_u32_e32 v72, 8, v72
	;; [unrolled: 1-line block ×3, first 2 shown]
	v_cmp_lt_u32_e32 vcc_lo, 18, v71
	s_or_b32 s5, vcc_lo, s5
	s_waitcnt vmcnt(1) lgkmcnt(0)
	v_mul_f32_e32 v79, v76, v77
	v_mul_f32_e32 v77, v75, v77
	s_waitcnt vmcnt(0)
	v_fma_f32 v75, v75, v78, -v79
	v_fmac_f32_e32 v77, v76, v78
	v_add_f32_e32 v74, v74, v75
	v_add_f32_e32 v68, v68, v77
	s_andn2_b32 exec_lo, exec_lo, s5
	s_cbranch_execnz .LBB32_93
; %bb.94:
	s_or_b32 exec_lo, exec_lo, s5
	v_mov_b32_e32 v71, 0
	ds_read_b64 v[71:72], v71 offset:160
	s_waitcnt lgkmcnt(0)
	v_mul_f32_e32 v73, v68, v72
	v_mul_f32_e32 v72, v74, v72
	v_fma_f32 v73, v74, v71, -v73
	v_fmac_f32_e32 v72, v68, v71
	buffer_store_dword v73, off, s[0:3], 0 offset:160
	buffer_store_dword v72, off, s[0:3], 0 offset:164
.LBB32_95:
	s_or_b32 exec_lo, exec_lo, s4
	s_waitcnt_vscnt null, 0x0
	s_barrier
	buffer_gl0_inv
	s_clause 0x1
	buffer_load_dword v71, off, s[0:3], 0 offset:168
	buffer_load_dword v72, off, s[0:3], 0 offset:172
	s_mov_b32 s4, exec_lo
	s_waitcnt vmcnt(0)
	ds_write_b64 v70, v[71:72]
	s_waitcnt lgkmcnt(0)
	s_barrier
	buffer_gl0_inv
	v_cmpx_gt_u32_e32 21, v0
	s_cbranch_execz .LBB32_99
; %bb.96:
	v_add_nc_u32_e32 v71, -1, v0
	v_add_nc_u32_e32 v72, 0x110, v69
	v_mov_b32_e32 v73, v69
	v_mov_b32_e32 v68, 0
	;; [unrolled: 1-line block ×3, first 2 shown]
	s_mov_b32 s5, 0
	.p2align	6
.LBB32_97:                              ; =>This Inner Loop Header: Depth=1
	s_clause 0x1
	buffer_load_dword v77, v73, s[0:3], 0 offen offset:4
	buffer_load_dword v78, v73, s[0:3], 0 offen
	ds_read_b64 v[75:76], v72
	v_add_nc_u32_e32 v71, 1, v71
	v_add_nc_u32_e32 v72, 8, v72
	v_add_nc_u32_e32 v73, 8, v73
	v_cmp_lt_u32_e32 vcc_lo, 19, v71
	s_or_b32 s5, vcc_lo, s5
	s_waitcnt vmcnt(1) lgkmcnt(0)
	v_mul_f32_e32 v79, v76, v77
	v_mul_f32_e32 v77, v75, v77
	s_waitcnt vmcnt(0)
	v_fma_f32 v75, v75, v78, -v79
	v_fmac_f32_e32 v77, v76, v78
	v_add_f32_e32 v74, v74, v75
	v_add_f32_e32 v68, v68, v77
	s_andn2_b32 exec_lo, exec_lo, s5
	s_cbranch_execnz .LBB32_97
; %bb.98:
	s_or_b32 exec_lo, exec_lo, s5
	v_mov_b32_e32 v71, 0
	ds_read_b64 v[71:72], v71 offset:168
	s_waitcnt lgkmcnt(0)
	v_mul_f32_e32 v73, v68, v72
	v_mul_f32_e32 v72, v74, v72
	v_fma_f32 v73, v74, v71, -v73
	v_fmac_f32_e32 v72, v68, v71
	buffer_store_dword v73, off, s[0:3], 0 offset:168
	buffer_store_dword v72, off, s[0:3], 0 offset:172
.LBB32_99:
	s_or_b32 exec_lo, exec_lo, s4
	s_waitcnt_vscnt null, 0x0
	s_barrier
	buffer_gl0_inv
	s_clause 0x1
	buffer_load_dword v71, off, s[0:3], 0 offset:176
	buffer_load_dword v72, off, s[0:3], 0 offset:180
	s_mov_b32 s4, exec_lo
	s_waitcnt vmcnt(0)
	ds_write_b64 v70, v[71:72]
	s_waitcnt lgkmcnt(0)
	s_barrier
	buffer_gl0_inv
	v_cmpx_gt_u32_e32 22, v0
	s_cbranch_execz .LBB32_103
; %bb.100:
	v_add_nc_u32_e32 v71, -1, v0
	v_add_nc_u32_e32 v72, 0x110, v69
	v_mov_b32_e32 v73, v69
	v_mov_b32_e32 v68, 0
	;; [unrolled: 1-line block ×3, first 2 shown]
	s_mov_b32 s5, 0
	.p2align	6
.LBB32_101:                             ; =>This Inner Loop Header: Depth=1
	s_clause 0x1
	buffer_load_dword v77, v73, s[0:3], 0 offen offset:4
	buffer_load_dword v78, v73, s[0:3], 0 offen
	ds_read_b64 v[75:76], v72
	v_add_nc_u32_e32 v71, 1, v71
	v_add_nc_u32_e32 v72, 8, v72
	v_add_nc_u32_e32 v73, 8, v73
	v_cmp_lt_u32_e32 vcc_lo, 20, v71
	s_or_b32 s5, vcc_lo, s5
	s_waitcnt vmcnt(1) lgkmcnt(0)
	v_mul_f32_e32 v79, v76, v77
	v_mul_f32_e32 v77, v75, v77
	s_waitcnt vmcnt(0)
	v_fma_f32 v75, v75, v78, -v79
	v_fmac_f32_e32 v77, v76, v78
	v_add_f32_e32 v74, v74, v75
	v_add_f32_e32 v68, v68, v77
	s_andn2_b32 exec_lo, exec_lo, s5
	s_cbranch_execnz .LBB32_101
; %bb.102:
	s_or_b32 exec_lo, exec_lo, s5
	v_mov_b32_e32 v71, 0
	ds_read_b64 v[71:72], v71 offset:176
	s_waitcnt lgkmcnt(0)
	v_mul_f32_e32 v73, v68, v72
	v_mul_f32_e32 v72, v74, v72
	v_fma_f32 v73, v74, v71, -v73
	v_fmac_f32_e32 v72, v68, v71
	buffer_store_dword v73, off, s[0:3], 0 offset:176
	buffer_store_dword v72, off, s[0:3], 0 offset:180
.LBB32_103:
	s_or_b32 exec_lo, exec_lo, s4
	s_waitcnt_vscnt null, 0x0
	s_barrier
	buffer_gl0_inv
	s_clause 0x1
	buffer_load_dword v71, off, s[0:3], 0 offset:184
	buffer_load_dword v72, off, s[0:3], 0 offset:188
	s_mov_b32 s4, exec_lo
	s_waitcnt vmcnt(0)
	ds_write_b64 v70, v[71:72]
	s_waitcnt lgkmcnt(0)
	s_barrier
	buffer_gl0_inv
	v_cmpx_gt_u32_e32 23, v0
	s_cbranch_execz .LBB32_107
; %bb.104:
	v_add_nc_u32_e32 v71, -1, v0
	v_add_nc_u32_e32 v72, 0x110, v69
	v_mov_b32_e32 v73, v69
	v_mov_b32_e32 v68, 0
	;; [unrolled: 1-line block ×3, first 2 shown]
	s_mov_b32 s5, 0
	.p2align	6
.LBB32_105:                             ; =>This Inner Loop Header: Depth=1
	s_clause 0x1
	buffer_load_dword v77, v73, s[0:3], 0 offen offset:4
	buffer_load_dword v78, v73, s[0:3], 0 offen
	ds_read_b64 v[75:76], v72
	v_add_nc_u32_e32 v71, 1, v71
	v_add_nc_u32_e32 v72, 8, v72
	;; [unrolled: 1-line block ×3, first 2 shown]
	v_cmp_lt_u32_e32 vcc_lo, 21, v71
	s_or_b32 s5, vcc_lo, s5
	s_waitcnt vmcnt(1) lgkmcnt(0)
	v_mul_f32_e32 v79, v76, v77
	v_mul_f32_e32 v77, v75, v77
	s_waitcnt vmcnt(0)
	v_fma_f32 v75, v75, v78, -v79
	v_fmac_f32_e32 v77, v76, v78
	v_add_f32_e32 v74, v74, v75
	v_add_f32_e32 v68, v68, v77
	s_andn2_b32 exec_lo, exec_lo, s5
	s_cbranch_execnz .LBB32_105
; %bb.106:
	s_or_b32 exec_lo, exec_lo, s5
	v_mov_b32_e32 v71, 0
	ds_read_b64 v[71:72], v71 offset:184
	s_waitcnt lgkmcnt(0)
	v_mul_f32_e32 v73, v68, v72
	v_mul_f32_e32 v72, v74, v72
	v_fma_f32 v73, v74, v71, -v73
	v_fmac_f32_e32 v72, v68, v71
	buffer_store_dword v73, off, s[0:3], 0 offset:184
	buffer_store_dword v72, off, s[0:3], 0 offset:188
.LBB32_107:
	s_or_b32 exec_lo, exec_lo, s4
	s_waitcnt_vscnt null, 0x0
	s_barrier
	buffer_gl0_inv
	s_clause 0x1
	buffer_load_dword v71, off, s[0:3], 0 offset:192
	buffer_load_dword v72, off, s[0:3], 0 offset:196
	s_mov_b32 s4, exec_lo
	s_waitcnt vmcnt(0)
	ds_write_b64 v70, v[71:72]
	s_waitcnt lgkmcnt(0)
	s_barrier
	buffer_gl0_inv
	v_cmpx_gt_u32_e32 24, v0
	s_cbranch_execz .LBB32_111
; %bb.108:
	v_add_nc_u32_e32 v71, -1, v0
	v_add_nc_u32_e32 v72, 0x110, v69
	v_mov_b32_e32 v73, v69
	v_mov_b32_e32 v68, 0
	;; [unrolled: 1-line block ×3, first 2 shown]
	s_mov_b32 s5, 0
	.p2align	6
.LBB32_109:                             ; =>This Inner Loop Header: Depth=1
	s_clause 0x1
	buffer_load_dword v77, v73, s[0:3], 0 offen offset:4
	buffer_load_dword v78, v73, s[0:3], 0 offen
	ds_read_b64 v[75:76], v72
	v_add_nc_u32_e32 v71, 1, v71
	v_add_nc_u32_e32 v72, 8, v72
	;; [unrolled: 1-line block ×3, first 2 shown]
	v_cmp_lt_u32_e32 vcc_lo, 22, v71
	s_or_b32 s5, vcc_lo, s5
	s_waitcnt vmcnt(1) lgkmcnt(0)
	v_mul_f32_e32 v79, v76, v77
	v_mul_f32_e32 v77, v75, v77
	s_waitcnt vmcnt(0)
	v_fma_f32 v75, v75, v78, -v79
	v_fmac_f32_e32 v77, v76, v78
	v_add_f32_e32 v74, v74, v75
	v_add_f32_e32 v68, v68, v77
	s_andn2_b32 exec_lo, exec_lo, s5
	s_cbranch_execnz .LBB32_109
; %bb.110:
	s_or_b32 exec_lo, exec_lo, s5
	v_mov_b32_e32 v71, 0
	ds_read_b64 v[71:72], v71 offset:192
	s_waitcnt lgkmcnt(0)
	v_mul_f32_e32 v73, v68, v72
	v_mul_f32_e32 v72, v74, v72
	v_fma_f32 v73, v74, v71, -v73
	v_fmac_f32_e32 v72, v68, v71
	buffer_store_dword v73, off, s[0:3], 0 offset:192
	buffer_store_dword v72, off, s[0:3], 0 offset:196
.LBB32_111:
	s_or_b32 exec_lo, exec_lo, s4
	s_waitcnt_vscnt null, 0x0
	s_barrier
	buffer_gl0_inv
	s_clause 0x1
	buffer_load_dword v71, off, s[0:3], 0 offset:200
	buffer_load_dword v72, off, s[0:3], 0 offset:204
	s_mov_b32 s4, exec_lo
	s_waitcnt vmcnt(0)
	ds_write_b64 v70, v[71:72]
	s_waitcnt lgkmcnt(0)
	s_barrier
	buffer_gl0_inv
	v_cmpx_gt_u32_e32 25, v0
	s_cbranch_execz .LBB32_115
; %bb.112:
	v_add_nc_u32_e32 v71, -1, v0
	v_add_nc_u32_e32 v72, 0x110, v69
	v_mov_b32_e32 v73, v69
	v_mov_b32_e32 v68, 0
	;; [unrolled: 1-line block ×3, first 2 shown]
	s_mov_b32 s5, 0
	.p2align	6
.LBB32_113:                             ; =>This Inner Loop Header: Depth=1
	s_clause 0x1
	buffer_load_dword v77, v73, s[0:3], 0 offen offset:4
	buffer_load_dword v78, v73, s[0:3], 0 offen
	ds_read_b64 v[75:76], v72
	v_add_nc_u32_e32 v71, 1, v71
	v_add_nc_u32_e32 v72, 8, v72
	;; [unrolled: 1-line block ×3, first 2 shown]
	v_cmp_lt_u32_e32 vcc_lo, 23, v71
	s_or_b32 s5, vcc_lo, s5
	s_waitcnt vmcnt(1) lgkmcnt(0)
	v_mul_f32_e32 v79, v76, v77
	v_mul_f32_e32 v77, v75, v77
	s_waitcnt vmcnt(0)
	v_fma_f32 v75, v75, v78, -v79
	v_fmac_f32_e32 v77, v76, v78
	v_add_f32_e32 v74, v74, v75
	v_add_f32_e32 v68, v68, v77
	s_andn2_b32 exec_lo, exec_lo, s5
	s_cbranch_execnz .LBB32_113
; %bb.114:
	s_or_b32 exec_lo, exec_lo, s5
	v_mov_b32_e32 v71, 0
	ds_read_b64 v[71:72], v71 offset:200
	s_waitcnt lgkmcnt(0)
	v_mul_f32_e32 v73, v68, v72
	v_mul_f32_e32 v72, v74, v72
	v_fma_f32 v73, v74, v71, -v73
	v_fmac_f32_e32 v72, v68, v71
	buffer_store_dword v73, off, s[0:3], 0 offset:200
	buffer_store_dword v72, off, s[0:3], 0 offset:204
.LBB32_115:
	s_or_b32 exec_lo, exec_lo, s4
	s_waitcnt_vscnt null, 0x0
	s_barrier
	buffer_gl0_inv
	s_clause 0x1
	buffer_load_dword v71, off, s[0:3], 0 offset:208
	buffer_load_dword v72, off, s[0:3], 0 offset:212
	s_mov_b32 s4, exec_lo
	s_waitcnt vmcnt(0)
	ds_write_b64 v70, v[71:72]
	s_waitcnt lgkmcnt(0)
	s_barrier
	buffer_gl0_inv
	v_cmpx_gt_u32_e32 26, v0
	s_cbranch_execz .LBB32_119
; %bb.116:
	v_add_nc_u32_e32 v71, -1, v0
	v_add_nc_u32_e32 v72, 0x110, v69
	v_mov_b32_e32 v73, v69
	v_mov_b32_e32 v68, 0
	v_mov_b32_e32 v74, 0
	s_mov_b32 s5, 0
	.p2align	6
.LBB32_117:                             ; =>This Inner Loop Header: Depth=1
	s_clause 0x1
	buffer_load_dword v77, v73, s[0:3], 0 offen offset:4
	buffer_load_dword v78, v73, s[0:3], 0 offen
	ds_read_b64 v[75:76], v72
	v_add_nc_u32_e32 v71, 1, v71
	v_add_nc_u32_e32 v72, 8, v72
	;; [unrolled: 1-line block ×3, first 2 shown]
	v_cmp_lt_u32_e32 vcc_lo, 24, v71
	s_or_b32 s5, vcc_lo, s5
	s_waitcnt vmcnt(1) lgkmcnt(0)
	v_mul_f32_e32 v79, v76, v77
	v_mul_f32_e32 v77, v75, v77
	s_waitcnt vmcnt(0)
	v_fma_f32 v75, v75, v78, -v79
	v_fmac_f32_e32 v77, v76, v78
	v_add_f32_e32 v74, v74, v75
	v_add_f32_e32 v68, v68, v77
	s_andn2_b32 exec_lo, exec_lo, s5
	s_cbranch_execnz .LBB32_117
; %bb.118:
	s_or_b32 exec_lo, exec_lo, s5
	v_mov_b32_e32 v71, 0
	ds_read_b64 v[71:72], v71 offset:208
	s_waitcnt lgkmcnt(0)
	v_mul_f32_e32 v73, v68, v72
	v_mul_f32_e32 v72, v74, v72
	v_fma_f32 v73, v74, v71, -v73
	v_fmac_f32_e32 v72, v68, v71
	buffer_store_dword v73, off, s[0:3], 0 offset:208
	buffer_store_dword v72, off, s[0:3], 0 offset:212
.LBB32_119:
	s_or_b32 exec_lo, exec_lo, s4
	s_waitcnt_vscnt null, 0x0
	s_barrier
	buffer_gl0_inv
	s_clause 0x1
	buffer_load_dword v71, off, s[0:3], 0 offset:216
	buffer_load_dword v72, off, s[0:3], 0 offset:220
	s_mov_b32 s4, exec_lo
	s_waitcnt vmcnt(0)
	ds_write_b64 v70, v[71:72]
	s_waitcnt lgkmcnt(0)
	s_barrier
	buffer_gl0_inv
	v_cmpx_gt_u32_e32 27, v0
	s_cbranch_execz .LBB32_123
; %bb.120:
	v_add_nc_u32_e32 v71, -1, v0
	v_add_nc_u32_e32 v72, 0x110, v69
	v_mov_b32_e32 v73, v69
	v_mov_b32_e32 v68, 0
	;; [unrolled: 1-line block ×3, first 2 shown]
	s_mov_b32 s5, 0
	.p2align	6
.LBB32_121:                             ; =>This Inner Loop Header: Depth=1
	s_clause 0x1
	buffer_load_dword v77, v73, s[0:3], 0 offen offset:4
	buffer_load_dword v78, v73, s[0:3], 0 offen
	ds_read_b64 v[75:76], v72
	v_add_nc_u32_e32 v71, 1, v71
	v_add_nc_u32_e32 v72, 8, v72
	;; [unrolled: 1-line block ×3, first 2 shown]
	v_cmp_lt_u32_e32 vcc_lo, 25, v71
	s_or_b32 s5, vcc_lo, s5
	s_waitcnt vmcnt(1) lgkmcnt(0)
	v_mul_f32_e32 v79, v76, v77
	v_mul_f32_e32 v77, v75, v77
	s_waitcnt vmcnt(0)
	v_fma_f32 v75, v75, v78, -v79
	v_fmac_f32_e32 v77, v76, v78
	v_add_f32_e32 v74, v74, v75
	v_add_f32_e32 v68, v68, v77
	s_andn2_b32 exec_lo, exec_lo, s5
	s_cbranch_execnz .LBB32_121
; %bb.122:
	s_or_b32 exec_lo, exec_lo, s5
	v_mov_b32_e32 v71, 0
	ds_read_b64 v[71:72], v71 offset:216
	s_waitcnt lgkmcnt(0)
	v_mul_f32_e32 v73, v68, v72
	v_mul_f32_e32 v72, v74, v72
	v_fma_f32 v73, v74, v71, -v73
	v_fmac_f32_e32 v72, v68, v71
	buffer_store_dword v73, off, s[0:3], 0 offset:216
	buffer_store_dword v72, off, s[0:3], 0 offset:220
.LBB32_123:
	s_or_b32 exec_lo, exec_lo, s4
	s_waitcnt_vscnt null, 0x0
	s_barrier
	buffer_gl0_inv
	s_clause 0x1
	buffer_load_dword v71, off, s[0:3], 0 offset:224
	buffer_load_dword v72, off, s[0:3], 0 offset:228
	s_mov_b32 s4, exec_lo
	s_waitcnt vmcnt(0)
	ds_write_b64 v70, v[71:72]
	s_waitcnt lgkmcnt(0)
	s_barrier
	buffer_gl0_inv
	v_cmpx_gt_u32_e32 28, v0
	s_cbranch_execz .LBB32_127
; %bb.124:
	v_add_nc_u32_e32 v71, -1, v0
	v_add_nc_u32_e32 v72, 0x110, v69
	v_mov_b32_e32 v73, v69
	v_mov_b32_e32 v68, 0
	;; [unrolled: 1-line block ×3, first 2 shown]
	s_mov_b32 s5, 0
	.p2align	6
.LBB32_125:                             ; =>This Inner Loop Header: Depth=1
	s_clause 0x1
	buffer_load_dword v77, v73, s[0:3], 0 offen offset:4
	buffer_load_dword v78, v73, s[0:3], 0 offen
	ds_read_b64 v[75:76], v72
	v_add_nc_u32_e32 v71, 1, v71
	v_add_nc_u32_e32 v72, 8, v72
	;; [unrolled: 1-line block ×3, first 2 shown]
	v_cmp_lt_u32_e32 vcc_lo, 26, v71
	s_or_b32 s5, vcc_lo, s5
	s_waitcnt vmcnt(1) lgkmcnt(0)
	v_mul_f32_e32 v79, v76, v77
	v_mul_f32_e32 v77, v75, v77
	s_waitcnt vmcnt(0)
	v_fma_f32 v75, v75, v78, -v79
	v_fmac_f32_e32 v77, v76, v78
	v_add_f32_e32 v74, v74, v75
	v_add_f32_e32 v68, v68, v77
	s_andn2_b32 exec_lo, exec_lo, s5
	s_cbranch_execnz .LBB32_125
; %bb.126:
	s_or_b32 exec_lo, exec_lo, s5
	v_mov_b32_e32 v71, 0
	ds_read_b64 v[71:72], v71 offset:224
	s_waitcnt lgkmcnt(0)
	v_mul_f32_e32 v73, v68, v72
	v_mul_f32_e32 v72, v74, v72
	v_fma_f32 v73, v74, v71, -v73
	v_fmac_f32_e32 v72, v68, v71
	buffer_store_dword v73, off, s[0:3], 0 offset:224
	buffer_store_dword v72, off, s[0:3], 0 offset:228
.LBB32_127:
	s_or_b32 exec_lo, exec_lo, s4
	s_waitcnt_vscnt null, 0x0
	s_barrier
	buffer_gl0_inv
	s_clause 0x1
	buffer_load_dword v71, off, s[0:3], 0 offset:232
	buffer_load_dword v72, off, s[0:3], 0 offset:236
	s_mov_b32 s4, exec_lo
	s_waitcnt vmcnt(0)
	ds_write_b64 v70, v[71:72]
	s_waitcnt lgkmcnt(0)
	s_barrier
	buffer_gl0_inv
	v_cmpx_gt_u32_e32 29, v0
	s_cbranch_execz .LBB32_131
; %bb.128:
	v_add_nc_u32_e32 v71, -1, v0
	v_add_nc_u32_e32 v72, 0x110, v69
	v_mov_b32_e32 v73, v69
	v_mov_b32_e32 v68, 0
	v_mov_b32_e32 v74, 0
	s_mov_b32 s5, 0
	.p2align	6
.LBB32_129:                             ; =>This Inner Loop Header: Depth=1
	s_clause 0x1
	buffer_load_dword v77, v73, s[0:3], 0 offen offset:4
	buffer_load_dword v78, v73, s[0:3], 0 offen
	ds_read_b64 v[75:76], v72
	v_add_nc_u32_e32 v71, 1, v71
	v_add_nc_u32_e32 v72, 8, v72
	;; [unrolled: 1-line block ×3, first 2 shown]
	v_cmp_lt_u32_e32 vcc_lo, 27, v71
	s_or_b32 s5, vcc_lo, s5
	s_waitcnt vmcnt(1) lgkmcnt(0)
	v_mul_f32_e32 v79, v76, v77
	v_mul_f32_e32 v77, v75, v77
	s_waitcnt vmcnt(0)
	v_fma_f32 v75, v75, v78, -v79
	v_fmac_f32_e32 v77, v76, v78
	v_add_f32_e32 v74, v74, v75
	v_add_f32_e32 v68, v68, v77
	s_andn2_b32 exec_lo, exec_lo, s5
	s_cbranch_execnz .LBB32_129
; %bb.130:
	s_or_b32 exec_lo, exec_lo, s5
	v_mov_b32_e32 v71, 0
	ds_read_b64 v[71:72], v71 offset:232
	s_waitcnt lgkmcnt(0)
	v_mul_f32_e32 v73, v68, v72
	v_mul_f32_e32 v72, v74, v72
	v_fma_f32 v73, v74, v71, -v73
	v_fmac_f32_e32 v72, v68, v71
	buffer_store_dword v73, off, s[0:3], 0 offset:232
	buffer_store_dword v72, off, s[0:3], 0 offset:236
.LBB32_131:
	s_or_b32 exec_lo, exec_lo, s4
	s_waitcnt_vscnt null, 0x0
	s_barrier
	buffer_gl0_inv
	s_clause 0x1
	buffer_load_dword v71, off, s[0:3], 0 offset:240
	buffer_load_dword v72, off, s[0:3], 0 offset:244
	s_mov_b32 s4, exec_lo
	s_waitcnt vmcnt(0)
	ds_write_b64 v70, v[71:72]
	s_waitcnt lgkmcnt(0)
	s_barrier
	buffer_gl0_inv
	v_cmpx_gt_u32_e32 30, v0
	s_cbranch_execz .LBB32_135
; %bb.132:
	v_add_nc_u32_e32 v71, -1, v0
	v_add_nc_u32_e32 v72, 0x110, v69
	v_mov_b32_e32 v73, v69
	v_mov_b32_e32 v68, 0
	;; [unrolled: 1-line block ×3, first 2 shown]
	s_mov_b32 s5, 0
	.p2align	6
.LBB32_133:                             ; =>This Inner Loop Header: Depth=1
	s_clause 0x1
	buffer_load_dword v77, v73, s[0:3], 0 offen offset:4
	buffer_load_dword v78, v73, s[0:3], 0 offen
	ds_read_b64 v[75:76], v72
	v_add_nc_u32_e32 v71, 1, v71
	v_add_nc_u32_e32 v72, 8, v72
	;; [unrolled: 1-line block ×3, first 2 shown]
	v_cmp_lt_u32_e32 vcc_lo, 28, v71
	s_or_b32 s5, vcc_lo, s5
	s_waitcnt vmcnt(1) lgkmcnt(0)
	v_mul_f32_e32 v79, v76, v77
	v_mul_f32_e32 v77, v75, v77
	s_waitcnt vmcnt(0)
	v_fma_f32 v75, v75, v78, -v79
	v_fmac_f32_e32 v77, v76, v78
	v_add_f32_e32 v74, v74, v75
	v_add_f32_e32 v68, v68, v77
	s_andn2_b32 exec_lo, exec_lo, s5
	s_cbranch_execnz .LBB32_133
; %bb.134:
	s_or_b32 exec_lo, exec_lo, s5
	v_mov_b32_e32 v71, 0
	ds_read_b64 v[71:72], v71 offset:240
	s_waitcnt lgkmcnt(0)
	v_mul_f32_e32 v73, v68, v72
	v_mul_f32_e32 v72, v74, v72
	v_fma_f32 v73, v74, v71, -v73
	v_fmac_f32_e32 v72, v68, v71
	buffer_store_dword v73, off, s[0:3], 0 offset:240
	buffer_store_dword v72, off, s[0:3], 0 offset:244
.LBB32_135:
	s_or_b32 exec_lo, exec_lo, s4
	s_waitcnt_vscnt null, 0x0
	s_barrier
	buffer_gl0_inv
	s_clause 0x1
	buffer_load_dword v71, off, s[0:3], 0 offset:248
	buffer_load_dword v72, off, s[0:3], 0 offset:252
	s_mov_b32 s4, exec_lo
	s_waitcnt vmcnt(0)
	ds_write_b64 v70, v[71:72]
	s_waitcnt lgkmcnt(0)
	s_barrier
	buffer_gl0_inv
	v_cmpx_gt_u32_e32 31, v0
	s_cbranch_execz .LBB32_139
; %bb.136:
	v_add_nc_u32_e32 v71, -1, v0
	v_add_nc_u32_e32 v72, 0x110, v69
	v_mov_b32_e32 v73, v69
	v_mov_b32_e32 v68, 0
	;; [unrolled: 1-line block ×3, first 2 shown]
	s_mov_b32 s5, 0
	.p2align	6
.LBB32_137:                             ; =>This Inner Loop Header: Depth=1
	s_clause 0x1
	buffer_load_dword v77, v73, s[0:3], 0 offen offset:4
	buffer_load_dword v78, v73, s[0:3], 0 offen
	ds_read_b64 v[75:76], v72
	v_add_nc_u32_e32 v71, 1, v71
	v_add_nc_u32_e32 v72, 8, v72
	;; [unrolled: 1-line block ×3, first 2 shown]
	v_cmp_lt_u32_e32 vcc_lo, 29, v71
	s_or_b32 s5, vcc_lo, s5
	s_waitcnt vmcnt(1) lgkmcnt(0)
	v_mul_f32_e32 v79, v76, v77
	v_mul_f32_e32 v77, v75, v77
	s_waitcnt vmcnt(0)
	v_fma_f32 v75, v75, v78, -v79
	v_fmac_f32_e32 v77, v76, v78
	v_add_f32_e32 v74, v74, v75
	v_add_f32_e32 v68, v68, v77
	s_andn2_b32 exec_lo, exec_lo, s5
	s_cbranch_execnz .LBB32_137
; %bb.138:
	s_or_b32 exec_lo, exec_lo, s5
	v_mov_b32_e32 v71, 0
	ds_read_b64 v[71:72], v71 offset:248
	s_waitcnt lgkmcnt(0)
	v_mul_f32_e32 v73, v68, v72
	v_mul_f32_e32 v72, v74, v72
	v_fma_f32 v73, v74, v71, -v73
	v_fmac_f32_e32 v72, v68, v71
	buffer_store_dword v73, off, s[0:3], 0 offset:248
	buffer_store_dword v72, off, s[0:3], 0 offset:252
.LBB32_139:
	s_or_b32 exec_lo, exec_lo, s4
	s_waitcnt_vscnt null, 0x0
	s_barrier
	buffer_gl0_inv
	s_clause 0x1
	buffer_load_dword v71, off, s[0:3], 0 offset:256
	buffer_load_dword v72, off, s[0:3], 0 offset:260
	s_mov_b32 s4, exec_lo
	s_waitcnt vmcnt(0)
	ds_write_b64 v70, v[71:72]
	s_waitcnt lgkmcnt(0)
	s_barrier
	buffer_gl0_inv
	v_cmpx_ne_u32_e32 32, v0
	s_cbranch_execz .LBB32_143
; %bb.140:
	v_mov_b32_e32 v68, 0
	v_mov_b32_e32 v71, 0
	s_mov_b32 s5, 0
	.p2align	6
.LBB32_141:                             ; =>This Inner Loop Header: Depth=1
	s_clause 0x1
	buffer_load_dword v74, v69, s[0:3], 0 offen offset:4
	buffer_load_dword v75, v69, s[0:3], 0 offen
	ds_read_b64 v[72:73], v70
	v_add_nc_u32_e32 v67, 1, v67
	v_add_nc_u32_e32 v70, 8, v70
	;; [unrolled: 1-line block ×3, first 2 shown]
	v_cmp_lt_u32_e32 vcc_lo, 30, v67
	s_or_b32 s5, vcc_lo, s5
	s_waitcnt vmcnt(1) lgkmcnt(0)
	v_mul_f32_e32 v76, v73, v74
	v_mul_f32_e32 v74, v72, v74
	s_waitcnt vmcnt(0)
	v_fma_f32 v72, v72, v75, -v76
	v_fmac_f32_e32 v74, v73, v75
	v_add_f32_e32 v71, v71, v72
	v_add_f32_e32 v68, v68, v74
	s_andn2_b32 exec_lo, exec_lo, s5
	s_cbranch_execnz .LBB32_141
; %bb.142:
	s_or_b32 exec_lo, exec_lo, s5
	v_mov_b32_e32 v67, 0
	ds_read_b64 v[69:70], v67 offset:256
	s_waitcnt lgkmcnt(0)
	v_mul_f32_e32 v67, v68, v70
	v_mul_f32_e32 v70, v71, v70
	v_fma_f32 v67, v71, v69, -v67
	v_fmac_f32_e32 v70, v68, v69
	buffer_store_dword v67, off, s[0:3], 0 offset:256
	buffer_store_dword v70, off, s[0:3], 0 offset:260
.LBB32_143:
	s_or_b32 exec_lo, exec_lo, s4
	s_mov_b32 s5, -1
	s_waitcnt_vscnt null, 0x0
	s_barrier
	buffer_gl0_inv
.LBB32_144:
	s_and_b32 vcc_lo, exec_lo, s5
	s_cbranch_vccz .LBB32_146
; %bb.145:
	s_lshl_b64 s[4:5], s[6:7], 2
	v_mov_b32_e32 v67, 0
	s_add_u32 s4, s10, s4
	s_addc_u32 s5, s11, s5
	global_load_dword v67, v67, s[4:5]
	s_waitcnt vmcnt(0)
	v_cmp_ne_u32_e32 vcc_lo, 0, v67
	s_cbranch_vccz .LBB32_147
.LBB32_146:
	s_endpgm
.LBB32_147:
	v_lshl_add_u32 v67, v0, 3, 0x110
	s_mov_b32 s4, exec_lo
	v_cmpx_eq_u32_e32 32, v0
	s_cbranch_execz .LBB32_149
; %bb.148:
	s_clause 0x1
	buffer_load_dword v68, off, s[0:3], 0 offset:248
	buffer_load_dword v69, off, s[0:3], 0 offset:252
	v_mov_b32_e32 v70, 0
	buffer_store_dword v70, off, s[0:3], 0 offset:248
	buffer_store_dword v70, off, s[0:3], 0 offset:252
	s_waitcnt vmcnt(0)
	ds_write_b64 v67, v[68:69]
.LBB32_149:
	s_or_b32 exec_lo, exec_lo, s4
	s_waitcnt lgkmcnt(0)
	s_waitcnt_vscnt null, 0x0
	s_barrier
	buffer_gl0_inv
	s_clause 0x3
	buffer_load_dword v71, off, s[0:3], 0 offset:260
	buffer_load_dword v72, off, s[0:3], 0 offset:256
	;; [unrolled: 1-line block ×4, first 2 shown]
	v_mov_b32_e32 v68, 0
	s_mov_b32 s4, exec_lo
	ds_read_b64 v[69:70], v68 offset:528
	s_waitcnt vmcnt(3) lgkmcnt(0)
	v_mul_f32_e32 v75, v70, v71
	v_mul_f32_e32 v71, v69, v71
	s_waitcnt vmcnt(2)
	v_fma_f32 v69, v69, v72, -v75
	v_fmac_f32_e32 v71, v70, v72
	v_add_f32_e32 v69, 0, v69
	v_add_f32_e32 v70, 0, v71
	s_waitcnt vmcnt(1)
	v_sub_f32_e32 v69, v73, v69
	s_waitcnt vmcnt(0)
	v_sub_f32_e32 v70, v74, v70
	buffer_store_dword v69, off, s[0:3], 0 offset:248
	buffer_store_dword v70, off, s[0:3], 0 offset:252
	v_cmpx_lt_u32_e32 30, v0
	s_cbranch_execz .LBB32_151
; %bb.150:
	s_clause 0x1
	buffer_load_dword v69, off, s[0:3], 0 offset:240
	buffer_load_dword v70, off, s[0:3], 0 offset:244
	buffer_store_dword v68, off, s[0:3], 0 offset:240
	buffer_store_dword v68, off, s[0:3], 0 offset:244
	s_waitcnt vmcnt(0)
	ds_write_b64 v67, v[69:70]
.LBB32_151:
	s_or_b32 exec_lo, exec_lo, s4
	s_waitcnt lgkmcnt(0)
	s_waitcnt_vscnt null, 0x0
	s_barrier
	buffer_gl0_inv
	s_clause 0x5
	buffer_load_dword v72, off, s[0:3], 0 offset:252
	buffer_load_dword v73, off, s[0:3], 0 offset:260
	;; [unrolled: 1-line block ×6, first 2 shown]
	ds_read2_b64 v[68:71], v68 offset0:65 offset1:66
	s_mov_b32 s4, exec_lo
	s_waitcnt vmcnt(5) lgkmcnt(0)
	v_mul_f32_e32 v78, v69, v72
	v_mul_f32_e32 v72, v68, v72
	s_waitcnt vmcnt(4)
	v_mul_f32_e32 v79, v70, v73
	v_mul_f32_e32 v73, v71, v73
	s_waitcnt vmcnt(3)
	v_fma_f32 v68, v68, v74, -v78
	v_fmac_f32_e32 v72, v69, v74
	s_waitcnt vmcnt(2)
	v_fmac_f32_e32 v79, v71, v75
	v_fma_f32 v69, v70, v75, -v73
	v_add_f32_e32 v68, 0, v68
	v_add_f32_e32 v70, 0, v72
	v_add_f32_e32 v68, v68, v69
	v_add_f32_e32 v69, v70, v79
	s_waitcnt vmcnt(1)
	v_sub_f32_e32 v68, v76, v68
	s_waitcnt vmcnt(0)
	v_sub_f32_e32 v69, v77, v69
	buffer_store_dword v68, off, s[0:3], 0 offset:240
	buffer_store_dword v69, off, s[0:3], 0 offset:244
	v_cmpx_lt_u32_e32 29, v0
	s_cbranch_execz .LBB32_153
; %bb.152:
	s_clause 0x1
	buffer_load_dword v68, off, s[0:3], 0 offset:232
	buffer_load_dword v69, off, s[0:3], 0 offset:236
	v_mov_b32_e32 v70, 0
	buffer_store_dword v70, off, s[0:3], 0 offset:232
	buffer_store_dword v70, off, s[0:3], 0 offset:236
	s_waitcnt vmcnt(0)
	ds_write_b64 v67, v[68:69]
.LBB32_153:
	s_or_b32 exec_lo, exec_lo, s4
	s_waitcnt lgkmcnt(0)
	s_waitcnt_vscnt null, 0x0
	s_barrier
	buffer_gl0_inv
	s_clause 0x7
	buffer_load_dword v75, off, s[0:3], 0 offset:244
	buffer_load_dword v76, off, s[0:3], 0 offset:252
	;; [unrolled: 1-line block ×8, first 2 shown]
	v_mov_b32_e32 v68, 0
	ds_read_b128 v[69:72], v68 offset:512
	ds_read_b64 v[73:74], v68 offset:528
	s_mov_b32 s4, exec_lo
	s_waitcnt vmcnt(7) lgkmcnt(1)
	v_mul_f32_e32 v83, v70, v75
	v_mul_f32_e32 v75, v69, v75
	s_waitcnt vmcnt(6)
	v_mul_f32_e32 v84, v71, v76
	v_mul_f32_e32 v76, v72, v76
	s_waitcnt vmcnt(5) lgkmcnt(0)
	v_mul_f32_e32 v85, v73, v77
	s_waitcnt vmcnt(4)
	v_fma_f32 v69, v69, v78, -v83
	v_fmac_f32_e32 v75, v70, v78
	v_mul_f32_e32 v70, v74, v77
	s_waitcnt vmcnt(3)
	v_fma_f32 v71, v71, v79, -v76
	v_fmac_f32_e32 v84, v72, v79
	v_add_f32_e32 v69, 0, v69
	v_add_f32_e32 v72, 0, v75
	s_waitcnt vmcnt(2)
	v_fma_f32 v70, v73, v80, -v70
	v_fmac_f32_e32 v85, v74, v80
	v_add_f32_e32 v69, v69, v71
	v_add_f32_e32 v71, v72, v84
	;; [unrolled: 1-line block ×4, first 2 shown]
	s_waitcnt vmcnt(1)
	v_sub_f32_e32 v69, v81, v69
	s_waitcnt vmcnt(0)
	v_sub_f32_e32 v70, v82, v70
	buffer_store_dword v69, off, s[0:3], 0 offset:232
	buffer_store_dword v70, off, s[0:3], 0 offset:236
	v_cmpx_lt_u32_e32 28, v0
	s_cbranch_execz .LBB32_155
; %bb.154:
	s_clause 0x1
	buffer_load_dword v69, off, s[0:3], 0 offset:224
	buffer_load_dword v70, off, s[0:3], 0 offset:228
	buffer_store_dword v68, off, s[0:3], 0 offset:224
	buffer_store_dword v68, off, s[0:3], 0 offset:228
	s_waitcnt vmcnt(0)
	ds_write_b64 v67, v[69:70]
.LBB32_155:
	s_or_b32 exec_lo, exec_lo, s4
	s_waitcnt lgkmcnt(0)
	s_waitcnt_vscnt null, 0x0
	s_barrier
	buffer_gl0_inv
	s_clause 0x9
	buffer_load_dword v77, off, s[0:3], 0 offset:236
	buffer_load_dword v78, off, s[0:3], 0 offset:244
	;; [unrolled: 1-line block ×10, first 2 shown]
	ds_read2_b64 v[69:72], v68 offset0:63 offset1:64
	ds_read2_b64 v[73:76], v68 offset0:65 offset1:66
	s_mov_b32 s4, exec_lo
	s_waitcnt vmcnt(9) lgkmcnt(1)
	v_mul_f32_e32 v68, v69, v77
	v_mul_f32_e32 v77, v70, v77
	s_waitcnt vmcnt(8)
	v_mul_f32_e32 v87, v71, v78
	v_mul_f32_e32 v78, v72, v78
	s_waitcnt vmcnt(7) lgkmcnt(0)
	v_mul_f32_e32 v88, v73, v79
	s_waitcnt vmcnt(5)
	v_fmac_f32_e32 v68, v70, v81
	v_fma_f32 v69, v69, v81, -v77
	v_mul_f32_e32 v70, v74, v79
	s_waitcnt vmcnt(4)
	v_fma_f32 v71, v71, v82, -v78
	v_fmac_f32_e32 v87, v72, v82
	v_add_f32_e32 v68, 0, v68
	v_add_f32_e32 v69, 0, v69
	v_mul_f32_e32 v72, v76, v80
	s_waitcnt vmcnt(3)
	v_fma_f32 v70, v73, v83, -v70
	v_mul_f32_e32 v89, v75, v80
	v_fmac_f32_e32 v88, v74, v83
	v_add_f32_e32 v69, v69, v71
	v_add_f32_e32 v68, v68, v87
	s_waitcnt vmcnt(2)
	v_fma_f32 v71, v75, v84, -v72
	v_fmac_f32_e32 v89, v76, v84
	v_add_f32_e32 v69, v69, v70
	v_add_f32_e32 v68, v68, v88
	;; [unrolled: 1-line block ×4, first 2 shown]
	s_waitcnt vmcnt(1)
	v_sub_f32_e32 v69, v85, v69
	s_waitcnt vmcnt(0)
	v_sub_f32_e32 v68, v86, v68
	buffer_store_dword v69, off, s[0:3], 0 offset:224
	buffer_store_dword v68, off, s[0:3], 0 offset:228
	v_cmpx_lt_u32_e32 27, v0
	s_cbranch_execz .LBB32_157
; %bb.156:
	s_clause 0x1
	buffer_load_dword v68, off, s[0:3], 0 offset:216
	buffer_load_dword v69, off, s[0:3], 0 offset:220
	v_mov_b32_e32 v70, 0
	buffer_store_dword v70, off, s[0:3], 0 offset:216
	buffer_store_dword v70, off, s[0:3], 0 offset:220
	s_waitcnt vmcnt(0)
	ds_write_b64 v67, v[68:69]
.LBB32_157:
	s_or_b32 exec_lo, exec_lo, s4
	s_waitcnt lgkmcnt(0)
	s_waitcnt_vscnt null, 0x0
	s_barrier
	buffer_gl0_inv
	s_clause 0xb
	buffer_load_dword v79, off, s[0:3], 0 offset:228
	buffer_load_dword v80, off, s[0:3], 0 offset:236
	buffer_load_dword v81, off, s[0:3], 0 offset:244
	buffer_load_dword v82, off, s[0:3], 0 offset:252
	buffer_load_dword v83, off, s[0:3], 0 offset:260
	buffer_load_dword v84, off, s[0:3], 0 offset:224
	buffer_load_dword v85, off, s[0:3], 0 offset:232
	buffer_load_dword v86, off, s[0:3], 0 offset:240
	buffer_load_dword v87, off, s[0:3], 0 offset:248
	buffer_load_dword v88, off, s[0:3], 0 offset:256
	buffer_load_dword v89, off, s[0:3], 0 offset:216
	buffer_load_dword v90, off, s[0:3], 0 offset:220
	v_mov_b32_e32 v68, 0
	ds_read_b128 v[69:72], v68 offset:496
	ds_read_b128 v[73:76], v68 offset:512
	ds_read_b64 v[77:78], v68 offset:528
	s_mov_b32 s4, exec_lo
	s_waitcnt vmcnt(11) lgkmcnt(2)
	v_mul_f32_e32 v91, v69, v79
	v_mul_f32_e32 v79, v70, v79
	s_waitcnt vmcnt(10)
	v_mul_f32_e32 v92, v71, v80
	v_mul_f32_e32 v80, v72, v80
	s_waitcnt vmcnt(9) lgkmcnt(1)
	v_mul_f32_e32 v93, v73, v81
	s_waitcnt vmcnt(6)
	v_fmac_f32_e32 v91, v70, v84
	v_fma_f32 v69, v69, v84, -v79
	v_mul_f32_e32 v70, v74, v81
	s_waitcnt vmcnt(5)
	v_fma_f32 v71, v71, v85, -v80
	v_fmac_f32_e32 v92, v72, v85
	v_add_f32_e32 v72, 0, v91
	v_add_f32_e32 v69, 0, v69
	v_mul_f32_e32 v79, v76, v82
	s_waitcnt vmcnt(4)
	v_fma_f32 v70, v73, v86, -v70
	v_mul_f32_e32 v94, v75, v82
	v_fmac_f32_e32 v93, v74, v86
	v_add_f32_e32 v69, v69, v71
	v_add_f32_e32 v71, v72, v92
	s_waitcnt lgkmcnt(0)
	v_mul_f32_e32 v72, v78, v83
	s_waitcnt vmcnt(3)
	v_fma_f32 v73, v75, v87, -v79
	v_mul_f32_e32 v95, v77, v83
	v_add_f32_e32 v69, v69, v70
	v_fmac_f32_e32 v94, v76, v87
	v_add_f32_e32 v70, v71, v93
	s_waitcnt vmcnt(2)
	v_fma_f32 v71, v77, v88, -v72
	v_fmac_f32_e32 v95, v78, v88
	v_add_f32_e32 v69, v69, v73
	v_add_f32_e32 v70, v70, v94
	v_add_f32_e32 v69, v69, v71
	v_add_f32_e32 v70, v70, v95
	s_waitcnt vmcnt(1)
	v_sub_f32_e32 v69, v89, v69
	s_waitcnt vmcnt(0)
	v_sub_f32_e32 v70, v90, v70
	buffer_store_dword v69, off, s[0:3], 0 offset:216
	buffer_store_dword v70, off, s[0:3], 0 offset:220
	v_cmpx_lt_u32_e32 26, v0
	s_cbranch_execz .LBB32_159
; %bb.158:
	s_clause 0x1
	buffer_load_dword v69, off, s[0:3], 0 offset:208
	buffer_load_dword v70, off, s[0:3], 0 offset:212
	buffer_store_dword v68, off, s[0:3], 0 offset:208
	buffer_store_dword v68, off, s[0:3], 0 offset:212
	s_waitcnt vmcnt(0)
	ds_write_b64 v67, v[69:70]
.LBB32_159:
	s_or_b32 exec_lo, exec_lo, s4
	s_waitcnt lgkmcnt(0)
	s_waitcnt_vscnt null, 0x0
	s_barrier
	buffer_gl0_inv
	s_clause 0xd
	buffer_load_dword v81, off, s[0:3], 0 offset:220
	buffer_load_dword v82, off, s[0:3], 0 offset:228
	;; [unrolled: 1-line block ×14, first 2 shown]
	ds_read2_b64 v[69:72], v68 offset0:61 offset1:62
	ds_read2_b64 v[73:76], v68 offset0:63 offset1:64
	;; [unrolled: 1-line block ×3, first 2 shown]
	s_mov_b32 s4, exec_lo
	s_waitcnt vmcnt(13) lgkmcnt(2)
	v_mul_f32_e32 v68, v69, v81
	v_mul_f32_e32 v81, v70, v81
	s_waitcnt vmcnt(12)
	v_mul_f32_e32 v95, v71, v82
	v_mul_f32_e32 v82, v72, v82
	s_waitcnt vmcnt(11) lgkmcnt(1)
	v_mul_f32_e32 v96, v73, v83
	s_waitcnt vmcnt(10)
	v_mul_f32_e32 v97, v75, v84
	s_waitcnt vmcnt(7)
	v_fma_f32 v69, v69, v87, -v81
	v_fmac_f32_e32 v68, v70, v87
	v_mul_f32_e32 v70, v74, v83
	s_waitcnt vmcnt(6)
	v_fma_f32 v71, v71, v88, -v82
	v_fmac_f32_e32 v95, v72, v88
	v_add_f32_e32 v69, 0, v69
	v_add_f32_e32 v68, 0, v68
	v_mul_f32_e32 v72, v76, v84
	s_waitcnt vmcnt(5)
	v_fma_f32 v70, v73, v89, -v70
	v_fmac_f32_e32 v96, v74, v89
	v_add_f32_e32 v69, v69, v71
	v_add_f32_e32 v68, v68, v95
	s_waitcnt lgkmcnt(0)
	v_mul_f32_e32 v71, v78, v85
	s_waitcnt vmcnt(4)
	v_fma_f32 v72, v75, v90, -v72
	v_mul_f32_e32 v98, v77, v85
	v_add_f32_e32 v69, v69, v70
	v_fmac_f32_e32 v97, v76, v90
	v_add_f32_e32 v68, v68, v96
	v_mul_f32_e32 v70, v80, v86
	s_waitcnt vmcnt(3)
	v_fma_f32 v71, v77, v91, -v71
	v_add_f32_e32 v69, v69, v72
	v_mul_f32_e32 v99, v79, v86
	v_fmac_f32_e32 v98, v78, v91
	v_add_f32_e32 v68, v68, v97
	s_waitcnt vmcnt(2)
	v_fma_f32 v70, v79, v92, -v70
	v_add_f32_e32 v69, v69, v71
	v_fmac_f32_e32 v99, v80, v92
	v_add_f32_e32 v68, v68, v98
	v_add_f32_e32 v69, v69, v70
	;; [unrolled: 1-line block ×3, first 2 shown]
	s_waitcnt vmcnt(1)
	v_sub_f32_e32 v69, v93, v69
	s_waitcnt vmcnt(0)
	v_sub_f32_e32 v68, v94, v68
	buffer_store_dword v69, off, s[0:3], 0 offset:208
	buffer_store_dword v68, off, s[0:3], 0 offset:212
	v_cmpx_lt_u32_e32 25, v0
	s_cbranch_execz .LBB32_161
; %bb.160:
	s_clause 0x1
	buffer_load_dword v68, off, s[0:3], 0 offset:200
	buffer_load_dword v69, off, s[0:3], 0 offset:204
	v_mov_b32_e32 v70, 0
	buffer_store_dword v70, off, s[0:3], 0 offset:200
	buffer_store_dword v70, off, s[0:3], 0 offset:204
	s_waitcnt vmcnt(0)
	ds_write_b64 v67, v[68:69]
.LBB32_161:
	s_or_b32 exec_lo, exec_lo, s4
	s_waitcnt lgkmcnt(0)
	s_waitcnt_vscnt null, 0x0
	s_barrier
	buffer_gl0_inv
	s_clause 0xf
	buffer_load_dword v83, off, s[0:3], 0 offset:212
	buffer_load_dword v84, off, s[0:3], 0 offset:220
	;; [unrolled: 1-line block ×16, first 2 shown]
	v_mov_b32_e32 v68, 0
	ds_read_b128 v[69:72], v68 offset:480
	ds_read_b128 v[73:76], v68 offset:496
	;; [unrolled: 1-line block ×3, first 2 shown]
	ds_read_b64 v[81:82], v68 offset:528
	s_mov_b32 s4, exec_lo
	s_waitcnt vmcnt(15) lgkmcnt(3)
	v_mul_f32_e32 v99, v69, v83
	v_mul_f32_e32 v83, v70, v83
	s_waitcnt vmcnt(14)
	v_mul_f32_e32 v100, v71, v84
	v_mul_f32_e32 v84, v72, v84
	s_waitcnt vmcnt(13) lgkmcnt(2)
	v_mul_f32_e32 v101, v73, v85
	s_waitcnt vmcnt(12)
	v_mul_f32_e32 v102, v75, v86
	s_waitcnt vmcnt(11) lgkmcnt(1)
	v_mul_f32_e32 v103, v77, v87
	s_waitcnt vmcnt(8)
	v_fma_f32 v69, v69, v90, -v83
	v_fmac_f32_e32 v99, v70, v90
	v_mul_f32_e32 v70, v74, v85
	s_waitcnt vmcnt(7)
	v_fma_f32 v71, v71, v91, -v84
	v_fmac_f32_e32 v100, v72, v91
	v_add_f32_e32 v69, 0, v69
	v_add_f32_e32 v72, 0, v99
	v_mul_f32_e32 v83, v76, v86
	s_waitcnt vmcnt(6)
	v_fma_f32 v70, v73, v92, -v70
	v_fmac_f32_e32 v101, v74, v92
	v_add_f32_e32 v69, v69, v71
	v_add_f32_e32 v71, v72, v100
	;; [unrolled: 6-line block ×3, first 2 shown]
	v_mul_f32_e32 v71, v80, v88
	s_waitcnt vmcnt(4)
	v_fma_f32 v72, v77, v94, -v72
	v_mul_f32_e32 v104, v79, v88
	v_add_f32_e32 v69, v69, v73
	v_fmac_f32_e32 v103, v78, v94
	v_add_f32_e32 v70, v70, v102
	s_waitcnt lgkmcnt(0)
	v_mul_f32_e32 v73, v82, v89
	s_waitcnt vmcnt(3)
	v_fma_f32 v71, v79, v95, -v71
	v_add_f32_e32 v69, v69, v72
	v_mul_f32_e32 v105, v81, v89
	v_fmac_f32_e32 v104, v80, v95
	v_add_f32_e32 v70, v70, v103
	s_waitcnt vmcnt(2)
	v_fma_f32 v72, v81, v96, -v73
	v_add_f32_e32 v69, v69, v71
	v_fmac_f32_e32 v105, v82, v96
	v_add_f32_e32 v70, v70, v104
	v_add_f32_e32 v69, v69, v72
	;; [unrolled: 1-line block ×3, first 2 shown]
	s_waitcnt vmcnt(1)
	v_sub_f32_e32 v69, v97, v69
	s_waitcnt vmcnt(0)
	v_sub_f32_e32 v70, v98, v70
	buffer_store_dword v69, off, s[0:3], 0 offset:200
	buffer_store_dword v70, off, s[0:3], 0 offset:204
	v_cmpx_lt_u32_e32 24, v0
	s_cbranch_execz .LBB32_163
; %bb.162:
	s_clause 0x1
	buffer_load_dword v69, off, s[0:3], 0 offset:192
	buffer_load_dword v70, off, s[0:3], 0 offset:196
	buffer_store_dword v68, off, s[0:3], 0 offset:192
	buffer_store_dword v68, off, s[0:3], 0 offset:196
	s_waitcnt vmcnt(0)
	ds_write_b64 v67, v[69:70]
.LBB32_163:
	s_or_b32 exec_lo, exec_lo, s4
	s_waitcnt lgkmcnt(0)
	s_waitcnt_vscnt null, 0x0
	s_barrier
	buffer_gl0_inv
	s_clause 0x11
	buffer_load_dword v85, off, s[0:3], 0 offset:204
	buffer_load_dword v86, off, s[0:3], 0 offset:212
	;; [unrolled: 1-line block ×18, first 2 shown]
	ds_read2_b64 v[69:72], v68 offset0:59 offset1:60
	ds_read2_b64 v[73:76], v68 offset0:61 offset1:62
	;; [unrolled: 1-line block ×4, first 2 shown]
	s_mov_b32 s4, exec_lo
	s_waitcnt vmcnt(17) lgkmcnt(3)
	v_mul_f32_e32 v68, v69, v85
	v_mul_f32_e32 v85, v70, v85
	s_waitcnt vmcnt(16)
	v_mul_f32_e32 v103, v71, v86
	v_mul_f32_e32 v86, v72, v86
	s_waitcnt vmcnt(15) lgkmcnt(2)
	v_mul_f32_e32 v104, v73, v87
	s_waitcnt vmcnt(14)
	v_mul_f32_e32 v105, v75, v88
	s_waitcnt vmcnt(13) lgkmcnt(1)
	v_mul_f32_e32 v106, v77, v89
	s_waitcnt vmcnt(12)
	v_mul_f32_e32 v107, v79, v90
	s_waitcnt vmcnt(9)
	v_fma_f32 v69, v69, v93, -v85
	v_fmac_f32_e32 v68, v70, v93
	v_mul_f32_e32 v70, v74, v87
	s_waitcnt vmcnt(8)
	v_fma_f32 v71, v71, v94, -v86
	v_fmac_f32_e32 v103, v72, v94
	v_add_f32_e32 v69, 0, v69
	v_add_f32_e32 v68, 0, v68
	v_mul_f32_e32 v72, v76, v88
	s_waitcnt vmcnt(7)
	v_fma_f32 v70, v73, v95, -v70
	v_fmac_f32_e32 v104, v74, v95
	v_add_f32_e32 v69, v69, v71
	v_add_f32_e32 v68, v68, v103
	;; [unrolled: 6-line block ×4, first 2 shown]
	s_waitcnt lgkmcnt(0)
	v_mul_f32_e32 v72, v82, v91
	s_waitcnt vmcnt(4)
	v_fma_f32 v70, v79, v98, -v70
	v_mul_f32_e32 v108, v81, v91
	v_add_f32_e32 v69, v69, v71
	v_fmac_f32_e32 v107, v80, v98
	v_add_f32_e32 v68, v68, v106
	v_mul_f32_e32 v71, v84, v92
	s_waitcnt vmcnt(3)
	v_fma_f32 v72, v81, v99, -v72
	v_add_f32_e32 v69, v69, v70
	v_mul_f32_e32 v109, v83, v92
	v_fmac_f32_e32 v108, v82, v99
	v_add_f32_e32 v68, v68, v107
	s_waitcnt vmcnt(2)
	v_fma_f32 v70, v83, v100, -v71
	v_add_f32_e32 v69, v69, v72
	v_fmac_f32_e32 v109, v84, v100
	v_add_f32_e32 v68, v68, v108
	v_add_f32_e32 v69, v69, v70
	;; [unrolled: 1-line block ×3, first 2 shown]
	s_waitcnt vmcnt(1)
	v_sub_f32_e32 v69, v101, v69
	s_waitcnt vmcnt(0)
	v_sub_f32_e32 v68, v102, v68
	buffer_store_dword v69, off, s[0:3], 0 offset:192
	buffer_store_dword v68, off, s[0:3], 0 offset:196
	v_cmpx_lt_u32_e32 23, v0
	s_cbranch_execz .LBB32_165
; %bb.164:
	s_clause 0x1
	buffer_load_dword v68, off, s[0:3], 0 offset:184
	buffer_load_dword v69, off, s[0:3], 0 offset:188
	v_mov_b32_e32 v70, 0
	buffer_store_dword v70, off, s[0:3], 0 offset:184
	buffer_store_dword v70, off, s[0:3], 0 offset:188
	s_waitcnt vmcnt(0)
	ds_write_b64 v67, v[68:69]
.LBB32_165:
	s_or_b32 exec_lo, exec_lo, s4
	s_waitcnt lgkmcnt(0)
	s_waitcnt_vscnt null, 0x0
	s_barrier
	buffer_gl0_inv
	s_clause 0x13
	buffer_load_dword v87, off, s[0:3], 0 offset:196
	buffer_load_dword v88, off, s[0:3], 0 offset:204
	;; [unrolled: 1-line block ×20, first 2 shown]
	v_mov_b32_e32 v68, 0
	ds_read_b128 v[69:72], v68 offset:464
	ds_read_b128 v[73:76], v68 offset:480
	;; [unrolled: 1-line block ×4, first 2 shown]
	ds_read_b64 v[85:86], v68 offset:528
	s_mov_b32 s4, exec_lo
	s_waitcnt vmcnt(19) lgkmcnt(4)
	v_mul_f32_e32 v107, v69, v87
	v_mul_f32_e32 v87, v70, v87
	s_waitcnt vmcnt(18)
	v_mul_f32_e32 v108, v71, v88
	v_mul_f32_e32 v88, v72, v88
	s_waitcnt vmcnt(17) lgkmcnt(3)
	v_mul_f32_e32 v109, v73, v89
	s_waitcnt vmcnt(16)
	v_mul_f32_e32 v110, v75, v90
	s_waitcnt vmcnt(15) lgkmcnt(2)
	v_mul_f32_e32 v111, v77, v91
	s_waitcnt vmcnt(14)
	v_mul_f32_e32 v112, v79, v92
	s_waitcnt vmcnt(13) lgkmcnt(1)
	v_mul_f32_e32 v113, v81, v93
	s_waitcnt vmcnt(10)
	v_fma_f32 v69, v69, v96, -v87
	v_fmac_f32_e32 v107, v70, v96
	v_mul_f32_e32 v70, v74, v89
	s_waitcnt vmcnt(9)
	v_fma_f32 v71, v71, v97, -v88
	v_fmac_f32_e32 v108, v72, v97
	v_add_f32_e32 v69, 0, v69
	v_add_f32_e32 v72, 0, v107
	v_mul_f32_e32 v87, v76, v90
	s_waitcnt vmcnt(8)
	v_fma_f32 v70, v73, v98, -v70
	v_fmac_f32_e32 v109, v74, v98
	v_add_f32_e32 v69, v69, v71
	v_add_f32_e32 v71, v72, v108
	;; [unrolled: 6-line block ×5, first 2 shown]
	v_mul_f32_e32 v72, v84, v94
	s_waitcnt vmcnt(4)
	v_fma_f32 v73, v81, v102, -v73
	v_mul_f32_e32 v114, v83, v94
	v_add_f32_e32 v69, v69, v71
	v_fmac_f32_e32 v113, v82, v102
	v_add_f32_e32 v70, v70, v112
	s_waitcnt lgkmcnt(0)
	v_mul_f32_e32 v71, v86, v95
	s_waitcnt vmcnt(3)
	v_fma_f32 v72, v83, v103, -v72
	v_add_f32_e32 v69, v69, v73
	v_mul_f32_e32 v115, v85, v95
	v_fmac_f32_e32 v114, v84, v103
	v_add_f32_e32 v70, v70, v113
	s_waitcnt vmcnt(2)
	v_fma_f32 v71, v85, v104, -v71
	v_add_f32_e32 v69, v69, v72
	v_fmac_f32_e32 v115, v86, v104
	v_add_f32_e32 v70, v70, v114
	v_add_f32_e32 v69, v69, v71
	v_add_f32_e32 v70, v70, v115
	s_waitcnt vmcnt(1)
	v_sub_f32_e32 v69, v105, v69
	s_waitcnt vmcnt(0)
	v_sub_f32_e32 v70, v106, v70
	buffer_store_dword v69, off, s[0:3], 0 offset:184
	buffer_store_dword v70, off, s[0:3], 0 offset:188
	v_cmpx_lt_u32_e32 22, v0
	s_cbranch_execz .LBB32_167
; %bb.166:
	s_clause 0x1
	buffer_load_dword v69, off, s[0:3], 0 offset:176
	buffer_load_dword v70, off, s[0:3], 0 offset:180
	buffer_store_dword v68, off, s[0:3], 0 offset:176
	buffer_store_dword v68, off, s[0:3], 0 offset:180
	s_waitcnt vmcnt(0)
	ds_write_b64 v67, v[69:70]
.LBB32_167:
	s_or_b32 exec_lo, exec_lo, s4
	s_waitcnt lgkmcnt(0)
	s_waitcnt_vscnt null, 0x0
	s_barrier
	buffer_gl0_inv
	s_clause 0x15
	buffer_load_dword v89, off, s[0:3], 0 offset:188
	buffer_load_dword v90, off, s[0:3], 0 offset:196
	;; [unrolled: 1-line block ×22, first 2 shown]
	ds_read2_b64 v[69:72], v68 offset0:57 offset1:58
	ds_read2_b64 v[73:76], v68 offset0:59 offset1:60
	ds_read2_b64 v[77:80], v68 offset0:61 offset1:62
	ds_read2_b64 v[81:84], v68 offset0:63 offset1:64
	ds_read2_b64 v[85:88], v68 offset0:65 offset1:66
	s_mov_b32 s4, exec_lo
	s_waitcnt vmcnt(21) lgkmcnt(4)
	v_mul_f32_e32 v68, v69, v89
	v_mul_f32_e32 v89, v70, v89
	s_waitcnt vmcnt(20)
	v_mul_f32_e32 v111, v71, v90
	v_mul_f32_e32 v90, v72, v90
	s_waitcnt vmcnt(19) lgkmcnt(3)
	v_mul_f32_e32 v112, v73, v91
	s_waitcnt vmcnt(18)
	v_mul_f32_e32 v113, v75, v92
	s_waitcnt vmcnt(17) lgkmcnt(2)
	v_mul_f32_e32 v114, v77, v93
	s_waitcnt vmcnt(16)
	;; [unrolled: 4-line block ×3, first 2 shown]
	v_mul_f32_e32 v117, v83, v96
	s_waitcnt vmcnt(11)
	v_fma_f32 v69, v69, v99, -v89
	v_fmac_f32_e32 v68, v70, v99
	v_mul_f32_e32 v70, v74, v91
	s_waitcnt vmcnt(10)
	v_fma_f32 v71, v71, v100, -v90
	v_fmac_f32_e32 v111, v72, v100
	v_add_f32_e32 v69, 0, v69
	v_add_f32_e32 v68, 0, v68
	v_mul_f32_e32 v72, v76, v92
	s_waitcnt vmcnt(9)
	v_fma_f32 v70, v73, v101, -v70
	v_fmac_f32_e32 v112, v74, v101
	v_add_f32_e32 v69, v69, v71
	v_add_f32_e32 v68, v68, v111
	;; [unrolled: 6-line block ×6, first 2 shown]
	s_waitcnt lgkmcnt(0)
	v_mul_f32_e32 v70, v86, v97
	s_waitcnt vmcnt(4)
	v_fma_f32 v71, v83, v106, -v71
	v_mul_f32_e32 v118, v85, v97
	v_add_f32_e32 v69, v69, v72
	v_fmac_f32_e32 v117, v84, v106
	v_add_f32_e32 v68, v68, v116
	v_mul_f32_e32 v72, v88, v98
	s_waitcnt vmcnt(3)
	v_fma_f32 v70, v85, v107, -v70
	v_add_f32_e32 v69, v69, v71
	v_mul_f32_e32 v119, v87, v98
	v_fmac_f32_e32 v118, v86, v107
	v_add_f32_e32 v68, v68, v117
	s_waitcnt vmcnt(2)
	v_fma_f32 v71, v87, v108, -v72
	v_add_f32_e32 v69, v69, v70
	v_fmac_f32_e32 v119, v88, v108
	v_add_f32_e32 v68, v68, v118
	v_add_f32_e32 v69, v69, v71
	;; [unrolled: 1-line block ×3, first 2 shown]
	s_waitcnt vmcnt(1)
	v_sub_f32_e32 v69, v109, v69
	s_waitcnt vmcnt(0)
	v_sub_f32_e32 v68, v110, v68
	buffer_store_dword v69, off, s[0:3], 0 offset:176
	buffer_store_dword v68, off, s[0:3], 0 offset:180
	v_cmpx_lt_u32_e32 21, v0
	s_cbranch_execz .LBB32_169
; %bb.168:
	s_clause 0x1
	buffer_load_dword v68, off, s[0:3], 0 offset:168
	buffer_load_dword v69, off, s[0:3], 0 offset:172
	v_mov_b32_e32 v70, 0
	buffer_store_dword v70, off, s[0:3], 0 offset:168
	buffer_store_dword v70, off, s[0:3], 0 offset:172
	s_waitcnt vmcnt(0)
	ds_write_b64 v67, v[68:69]
.LBB32_169:
	s_or_b32 exec_lo, exec_lo, s4
	s_waitcnt lgkmcnt(0)
	s_waitcnt_vscnt null, 0x0
	s_barrier
	buffer_gl0_inv
	s_clause 0x17
	buffer_load_dword v91, off, s[0:3], 0 offset:180
	buffer_load_dword v92, off, s[0:3], 0 offset:188
	;; [unrolled: 1-line block ×24, first 2 shown]
	v_mov_b32_e32 v68, 0
	ds_read_b128 v[69:72], v68 offset:448
	ds_read_b128 v[73:76], v68 offset:464
	;; [unrolled: 1-line block ×5, first 2 shown]
	ds_read_b64 v[89:90], v68 offset:528
	s_mov_b32 s4, exec_lo
	s_waitcnt vmcnt(23) lgkmcnt(5)
	v_mul_f32_e32 v115, v69, v91
	v_mul_f32_e32 v91, v70, v91
	s_waitcnt vmcnt(22)
	v_mul_f32_e32 v116, v71, v92
	v_mul_f32_e32 v92, v72, v92
	s_waitcnt vmcnt(21) lgkmcnt(4)
	v_mul_f32_e32 v117, v73, v93
	s_waitcnt vmcnt(20)
	v_mul_f32_e32 v118, v75, v94
	s_waitcnt vmcnt(19) lgkmcnt(3)
	v_mul_f32_e32 v119, v77, v95
	s_waitcnt vmcnt(18)
	;; [unrolled: 4-line block ×4, first 2 shown]
	v_fma_f32 v69, v69, v102, -v91
	v_fmac_f32_e32 v115, v70, v102
	v_mul_f32_e32 v70, v74, v93
	s_waitcnt vmcnt(11)
	v_fma_f32 v71, v71, v103, -v92
	v_fmac_f32_e32 v116, v72, v103
	v_add_f32_e32 v69, 0, v69
	v_add_f32_e32 v72, 0, v115
	v_mul_f32_e32 v91, v76, v94
	s_waitcnt vmcnt(10)
	v_fma_f32 v70, v73, v104, -v70
	v_fmac_f32_e32 v117, v74, v104
	v_add_f32_e32 v69, v69, v71
	v_add_f32_e32 v71, v72, v116
	;; [unrolled: 6-line block ×7, first 2 shown]
	v_mul_f32_e32 v73, v88, v100
	s_waitcnt vmcnt(4)
	v_fma_f32 v71, v85, v110, -v71
	v_mul_f32_e32 v124, v87, v100
	v_add_f32_e32 v69, v69, v72
	v_fmac_f32_e32 v123, v86, v110
	v_add_f32_e32 v70, v70, v122
	s_waitcnt lgkmcnt(0)
	v_mul_f32_e32 v72, v90, v101
	s_waitcnt vmcnt(3)
	v_fma_f32 v73, v87, v111, -v73
	v_add_f32_e32 v69, v69, v71
	v_mul_f32_e32 v125, v89, v101
	v_fmac_f32_e32 v124, v88, v111
	v_add_f32_e32 v70, v70, v123
	s_waitcnt vmcnt(2)
	v_fma_f32 v71, v89, v112, -v72
	v_add_f32_e32 v69, v69, v73
	v_fmac_f32_e32 v125, v90, v112
	v_add_f32_e32 v70, v70, v124
	v_add_f32_e32 v69, v69, v71
	;; [unrolled: 1-line block ×3, first 2 shown]
	s_waitcnt vmcnt(1)
	v_sub_f32_e32 v69, v113, v69
	s_waitcnt vmcnt(0)
	v_sub_f32_e32 v70, v114, v70
	buffer_store_dword v69, off, s[0:3], 0 offset:168
	buffer_store_dword v70, off, s[0:3], 0 offset:172
	v_cmpx_lt_u32_e32 20, v0
	s_cbranch_execz .LBB32_171
; %bb.170:
	s_clause 0x1
	buffer_load_dword v69, off, s[0:3], 0 offset:160
	buffer_load_dword v70, off, s[0:3], 0 offset:164
	buffer_store_dword v68, off, s[0:3], 0 offset:160
	buffer_store_dword v68, off, s[0:3], 0 offset:164
	s_waitcnt vmcnt(0)
	ds_write_b64 v67, v[69:70]
.LBB32_171:
	s_or_b32 exec_lo, exec_lo, s4
	s_waitcnt lgkmcnt(0)
	s_waitcnt_vscnt null, 0x0
	s_barrier
	buffer_gl0_inv
	s_clause 0x19
	buffer_load_dword v93, off, s[0:3], 0 offset:172
	buffer_load_dword v94, off, s[0:3], 0 offset:180
	;; [unrolled: 1-line block ×26, first 2 shown]
	ds_read2_b64 v[69:72], v68 offset0:55 offset1:56
	ds_read2_b64 v[73:76], v68 offset0:57 offset1:58
	;; [unrolled: 1-line block ×6, first 2 shown]
	s_mov_b32 s4, exec_lo
	s_waitcnt vmcnt(25) lgkmcnt(5)
	v_mul_f32_e32 v68, v69, v93
	v_mul_f32_e32 v93, v70, v93
	s_waitcnt vmcnt(24)
	v_mul_f32_e32 v119, v71, v94
	v_mul_f32_e32 v94, v72, v94
	s_waitcnt vmcnt(23) lgkmcnt(4)
	v_mul_f32_e32 v120, v73, v95
	s_waitcnt vmcnt(22)
	v_mul_f32_e32 v121, v75, v96
	s_waitcnt vmcnt(21) lgkmcnt(3)
	v_mul_f32_e32 v122, v77, v97
	s_waitcnt vmcnt(20)
	;; [unrolled: 4-line block ×4, first 2 shown]
	v_mul_f32_e32 v127, v87, v102
	s_waitcnt vmcnt(13)
	v_fma_f32 v69, v69, v105, -v93
	v_fmac_f32_e32 v68, v70, v105
	v_mul_f32_e32 v70, v74, v95
	s_waitcnt vmcnt(12)
	v_fma_f32 v71, v71, v106, -v94
	v_fmac_f32_e32 v119, v72, v106
	v_add_f32_e32 v69, 0, v69
	v_add_f32_e32 v68, 0, v68
	v_mul_f32_e32 v72, v76, v96
	s_waitcnt vmcnt(11)
	v_fma_f32 v70, v73, v107, -v70
	v_fmac_f32_e32 v120, v74, v107
	v_add_f32_e32 v69, v69, v71
	v_add_f32_e32 v68, v68, v119
	;; [unrolled: 6-line block ×8, first 2 shown]
	s_waitcnt lgkmcnt(0)
	v_mul_f32_e32 v71, v90, v103
	s_waitcnt vmcnt(4)
	v_fma_f32 v72, v87, v114, -v72
	v_mul_f32_e32 v128, v89, v103
	v_add_f32_e32 v69, v69, v70
	v_fmac_f32_e32 v127, v88, v114
	v_add_f32_e32 v68, v68, v126
	v_mul_f32_e32 v70, v92, v104
	s_waitcnt vmcnt(3)
	v_fma_f32 v71, v89, v115, -v71
	v_add_f32_e32 v69, v69, v72
	v_mul_f32_e32 v129, v91, v104
	v_fmac_f32_e32 v128, v90, v115
	v_add_f32_e32 v68, v68, v127
	s_waitcnt vmcnt(2)
	v_fma_f32 v70, v91, v116, -v70
	v_add_f32_e32 v69, v69, v71
	v_fmac_f32_e32 v129, v92, v116
	v_add_f32_e32 v68, v68, v128
	v_add_f32_e32 v69, v69, v70
	;; [unrolled: 1-line block ×3, first 2 shown]
	s_waitcnt vmcnt(1)
	v_sub_f32_e32 v69, v117, v69
	s_waitcnt vmcnt(0)
	v_sub_f32_e32 v68, v118, v68
	buffer_store_dword v69, off, s[0:3], 0 offset:160
	buffer_store_dword v68, off, s[0:3], 0 offset:164
	v_cmpx_lt_u32_e32 19, v0
	s_cbranch_execz .LBB32_173
; %bb.172:
	s_clause 0x1
	buffer_load_dword v68, off, s[0:3], 0 offset:152
	buffer_load_dword v69, off, s[0:3], 0 offset:156
	v_mov_b32_e32 v70, 0
	buffer_store_dword v70, off, s[0:3], 0 offset:152
	buffer_store_dword v70, off, s[0:3], 0 offset:156
	s_waitcnt vmcnt(0)
	ds_write_b64 v67, v[68:69]
.LBB32_173:
	s_or_b32 exec_lo, exec_lo, s4
	s_waitcnt lgkmcnt(0)
	s_waitcnt_vscnt null, 0x0
	s_barrier
	buffer_gl0_inv
	s_clause 0x1b
	buffer_load_dword v95, off, s[0:3], 0 offset:164
	buffer_load_dword v96, off, s[0:3], 0 offset:172
	;; [unrolled: 1-line block ×28, first 2 shown]
	v_mov_b32_e32 v68, 0
	ds_read_b128 v[69:72], v68 offset:432
	ds_read_b128 v[73:76], v68 offset:448
	ds_read_b128 v[77:80], v68 offset:464
	ds_read_b128 v[81:84], v68 offset:480
	ds_read_b128 v[85:88], v68 offset:496
	ds_read_b128 v[89:92], v68 offset:512
	ds_read_b64 v[93:94], v68 offset:528
	s_mov_b32 s4, exec_lo
	s_waitcnt vmcnt(27) lgkmcnt(6)
	v_mul_f32_e32 v123, v69, v95
	v_mul_f32_e32 v95, v70, v95
	s_waitcnt vmcnt(26)
	v_mul_f32_e32 v124, v71, v96
	v_mul_f32_e32 v96, v72, v96
	s_waitcnt vmcnt(25) lgkmcnt(5)
	v_mul_f32_e32 v125, v73, v97
	s_waitcnt vmcnt(24)
	v_mul_f32_e32 v126, v75, v98
	s_waitcnt vmcnt(23) lgkmcnt(4)
	v_mul_f32_e32 v127, v77, v99
	s_waitcnt vmcnt(22)
	;; [unrolled: 4-line block ×5, first 2 shown]
	v_fma_f32 v69, v69, v108, -v95
	v_fmac_f32_e32 v123, v70, v108
	v_mul_f32_e32 v70, v74, v97
	s_waitcnt vmcnt(13)
	v_fma_f32 v71, v71, v109, -v96
	v_fmac_f32_e32 v124, v72, v109
	v_add_f32_e32 v69, 0, v69
	v_add_f32_e32 v72, 0, v123
	v_mul_f32_e32 v95, v76, v98
	s_waitcnt vmcnt(12)
	v_fma_f32 v70, v73, v110, -v70
	v_fmac_f32_e32 v125, v74, v110
	v_add_f32_e32 v69, v69, v71
	v_add_f32_e32 v71, v72, v124
	;; [unrolled: 6-line block ×9, first 2 shown]
	v_mul_f32_e32 v71, v92, v106
	s_waitcnt vmcnt(4)
	v_fma_f32 v72, v89, v118, -v72
	v_mul_f32_e32 v134, v91, v106
	v_add_f32_e32 v69, v69, v73
	v_fmac_f32_e32 v133, v90, v118
	v_add_f32_e32 v70, v70, v132
	s_waitcnt lgkmcnt(0)
	v_mul_f32_e32 v73, v94, v107
	s_waitcnt vmcnt(3)
	v_fma_f32 v71, v91, v119, -v71
	v_add_f32_e32 v69, v69, v72
	v_mul_f32_e32 v135, v93, v107
	v_fmac_f32_e32 v134, v92, v119
	v_add_f32_e32 v70, v70, v133
	s_waitcnt vmcnt(2)
	v_fma_f32 v72, v93, v120, -v73
	v_add_f32_e32 v69, v69, v71
	v_fmac_f32_e32 v135, v94, v120
	v_add_f32_e32 v70, v70, v134
	v_add_f32_e32 v69, v69, v72
	;; [unrolled: 1-line block ×3, first 2 shown]
	s_waitcnt vmcnt(1)
	v_sub_f32_e32 v69, v121, v69
	s_waitcnt vmcnt(0)
	v_sub_f32_e32 v70, v122, v70
	buffer_store_dword v69, off, s[0:3], 0 offset:152
	buffer_store_dword v70, off, s[0:3], 0 offset:156
	v_cmpx_lt_u32_e32 18, v0
	s_cbranch_execz .LBB32_175
; %bb.174:
	s_clause 0x1
	buffer_load_dword v69, off, s[0:3], 0 offset:144
	buffer_load_dword v70, off, s[0:3], 0 offset:148
	buffer_store_dword v68, off, s[0:3], 0 offset:144
	buffer_store_dword v68, off, s[0:3], 0 offset:148
	s_waitcnt vmcnt(0)
	ds_write_b64 v67, v[69:70]
.LBB32_175:
	s_or_b32 exec_lo, exec_lo, s4
	s_waitcnt lgkmcnt(0)
	s_waitcnt_vscnt null, 0x0
	s_barrier
	buffer_gl0_inv
	s_clause 0x1d
	buffer_load_dword v97, off, s[0:3], 0 offset:156
	buffer_load_dword v98, off, s[0:3], 0 offset:164
	;; [unrolled: 1-line block ×30, first 2 shown]
	ds_read2_b64 v[69:72], v68 offset0:53 offset1:54
	ds_read2_b64 v[73:76], v68 offset0:55 offset1:56
	;; [unrolled: 1-line block ×7, first 2 shown]
	s_mov_b32 s4, exec_lo
	s_waitcnt vmcnt(29) lgkmcnt(6)
	v_mul_f32_e32 v68, v69, v97
	v_mul_f32_e32 v97, v70, v97
	s_waitcnt vmcnt(28)
	v_mul_f32_e32 v127, v71, v98
	v_mul_f32_e32 v98, v72, v98
	s_waitcnt vmcnt(27) lgkmcnt(5)
	v_mul_f32_e32 v128, v73, v99
	s_waitcnt vmcnt(26)
	v_mul_f32_e32 v129, v75, v100
	s_waitcnt vmcnt(25) lgkmcnt(4)
	v_mul_f32_e32 v130, v77, v101
	s_waitcnt vmcnt(24)
	;; [unrolled: 4-line block ×5, first 2 shown]
	v_mul_f32_e32 v137, v91, v108
	s_waitcnt vmcnt(15)
	v_fma_f32 v69, v69, v111, -v97
	v_fmac_f32_e32 v68, v70, v111
	v_mul_f32_e32 v70, v74, v99
	s_waitcnt vmcnt(14)
	v_fma_f32 v71, v71, v112, -v98
	v_fmac_f32_e32 v127, v72, v112
	v_add_f32_e32 v69, 0, v69
	v_add_f32_e32 v68, 0, v68
	v_mul_f32_e32 v72, v76, v100
	s_waitcnt vmcnt(13)
	v_fma_f32 v70, v73, v113, -v70
	v_fmac_f32_e32 v128, v74, v113
	v_add_f32_e32 v69, v69, v71
	v_add_f32_e32 v68, v68, v127
	;; [unrolled: 6-line block ×10, first 2 shown]
	s_waitcnt lgkmcnt(0)
	v_mul_f32_e32 v72, v94, v109
	s_waitcnt vmcnt(4)
	v_fma_f32 v70, v91, v122, -v70
	v_mul_f32_e32 v138, v93, v109
	v_add_f32_e32 v69, v69, v71
	v_fmac_f32_e32 v137, v92, v122
	v_add_f32_e32 v68, v68, v136
	v_mul_f32_e32 v71, v96, v110
	s_waitcnt vmcnt(3)
	v_fma_f32 v72, v93, v123, -v72
	v_add_f32_e32 v69, v69, v70
	v_mul_f32_e32 v139, v95, v110
	v_fmac_f32_e32 v138, v94, v123
	v_add_f32_e32 v68, v68, v137
	s_waitcnt vmcnt(2)
	v_fma_f32 v70, v95, v124, -v71
	v_add_f32_e32 v69, v69, v72
	v_fmac_f32_e32 v139, v96, v124
	v_add_f32_e32 v68, v68, v138
	v_add_f32_e32 v69, v69, v70
	;; [unrolled: 1-line block ×3, first 2 shown]
	s_waitcnt vmcnt(1)
	v_sub_f32_e32 v69, v125, v69
	s_waitcnt vmcnt(0)
	v_sub_f32_e32 v68, v126, v68
	buffer_store_dword v69, off, s[0:3], 0 offset:144
	buffer_store_dword v68, off, s[0:3], 0 offset:148
	v_cmpx_lt_u32_e32 17, v0
	s_cbranch_execz .LBB32_177
; %bb.176:
	s_clause 0x1
	buffer_load_dword v68, off, s[0:3], 0 offset:136
	buffer_load_dword v69, off, s[0:3], 0 offset:140
	v_mov_b32_e32 v70, 0
	buffer_store_dword v70, off, s[0:3], 0 offset:136
	buffer_store_dword v70, off, s[0:3], 0 offset:140
	s_waitcnt vmcnt(0)
	ds_write_b64 v67, v[68:69]
.LBB32_177:
	s_or_b32 exec_lo, exec_lo, s4
	s_waitcnt lgkmcnt(0)
	s_waitcnt_vscnt null, 0x0
	s_barrier
	buffer_gl0_inv
	s_clause 0x1f
	buffer_load_dword v99, off, s[0:3], 0 offset:148
	buffer_load_dword v100, off, s[0:3], 0 offset:156
	;; [unrolled: 1-line block ×32, first 2 shown]
	v_mov_b32_e32 v68, 0
	ds_read_b128 v[69:72], v68 offset:416
	ds_read_b128 v[73:76], v68 offset:432
	;; [unrolled: 1-line block ×7, first 2 shown]
	ds_read_b64 v[97:98], v68 offset:528
	s_mov_b32 s4, exec_lo
	s_waitcnt vmcnt(31) lgkmcnt(7)
	v_mul_f32_e32 v131, v69, v99
	v_mul_f32_e32 v99, v70, v99
	s_waitcnt vmcnt(30)
	v_mul_f32_e32 v132, v71, v100
	v_mul_f32_e32 v100, v72, v100
	s_waitcnt vmcnt(29) lgkmcnt(6)
	v_mul_f32_e32 v133, v73, v101
	s_waitcnt vmcnt(28)
	v_mul_f32_e32 v134, v75, v102
	s_waitcnt vmcnt(27) lgkmcnt(5)
	v_mul_f32_e32 v135, v77, v103
	s_waitcnt vmcnt(26)
	;; [unrolled: 4-line block ×6, first 2 shown]
	v_fma_f32 v69, v69, v114, -v99
	v_fmac_f32_e32 v131, v70, v114
	v_mul_f32_e32 v70, v74, v101
	s_waitcnt vmcnt(15)
	v_fma_f32 v71, v71, v115, -v100
	v_fmac_f32_e32 v132, v72, v115
	v_add_f32_e32 v69, 0, v69
	v_add_f32_e32 v72, 0, v131
	v_mul_f32_e32 v99, v76, v102
	s_waitcnt vmcnt(14)
	v_fma_f32 v70, v73, v116, -v70
	v_fmac_f32_e32 v133, v74, v116
	v_add_f32_e32 v69, v69, v71
	v_add_f32_e32 v71, v72, v132
	;; [unrolled: 6-line block ×11, first 2 shown]
	v_mul_f32_e32 v72, v96, v112
	s_waitcnt vmcnt(4)
	v_fma_f32 v73, v93, v126, -v73
	v_mul_f32_e32 v144, v95, v112
	v_add_f32_e32 v69, v69, v71
	v_fmac_f32_e32 v143, v94, v126
	v_add_f32_e32 v70, v70, v142
	s_waitcnt lgkmcnt(0)
	v_mul_f32_e32 v71, v98, v113
	s_waitcnt vmcnt(3)
	v_fma_f32 v72, v95, v127, -v72
	v_add_f32_e32 v69, v69, v73
	v_mul_f32_e32 v145, v97, v113
	v_fmac_f32_e32 v144, v96, v127
	v_add_f32_e32 v70, v70, v143
	s_waitcnt vmcnt(2)
	v_fma_f32 v71, v97, v128, -v71
	v_add_f32_e32 v69, v69, v72
	v_fmac_f32_e32 v145, v98, v128
	v_add_f32_e32 v70, v70, v144
	v_add_f32_e32 v69, v69, v71
	;; [unrolled: 1-line block ×3, first 2 shown]
	s_waitcnt vmcnt(1)
	v_sub_f32_e32 v69, v129, v69
	s_waitcnt vmcnt(0)
	v_sub_f32_e32 v70, v130, v70
	buffer_store_dword v69, off, s[0:3], 0 offset:136
	buffer_store_dword v70, off, s[0:3], 0 offset:140
	v_cmpx_lt_u32_e32 16, v0
	s_cbranch_execz .LBB32_179
; %bb.178:
	s_clause 0x1
	buffer_load_dword v69, off, s[0:3], 0 offset:128
	buffer_load_dword v70, off, s[0:3], 0 offset:132
	buffer_store_dword v68, off, s[0:3], 0 offset:128
	buffer_store_dword v68, off, s[0:3], 0 offset:132
	s_waitcnt vmcnt(0)
	ds_write_b64 v67, v[69:70]
.LBB32_179:
	s_or_b32 exec_lo, exec_lo, s4
	s_waitcnt lgkmcnt(0)
	s_waitcnt_vscnt null, 0x0
	s_barrier
	buffer_gl0_inv
	s_clause 0x21
	buffer_load_dword v101, off, s[0:3], 0 offset:140
	buffer_load_dword v102, off, s[0:3], 0 offset:148
	;; [unrolled: 1-line block ×34, first 2 shown]
	ds_read2_b64 v[69:72], v68 offset0:51 offset1:52
	ds_read2_b64 v[73:76], v68 offset0:53 offset1:54
	;; [unrolled: 1-line block ×8, first 2 shown]
	s_mov_b32 s4, exec_lo
	s_waitcnt vmcnt(33) lgkmcnt(7)
	v_mul_f32_e32 v68, v69, v101
	v_mul_f32_e32 v101, v70, v101
	s_waitcnt vmcnt(32)
	v_mul_f32_e32 v135, v71, v102
	v_mul_f32_e32 v102, v72, v102
	s_waitcnt vmcnt(31) lgkmcnt(6)
	v_mul_f32_e32 v136, v73, v103
	s_waitcnt vmcnt(30)
	v_mul_f32_e32 v137, v75, v104
	s_waitcnt vmcnt(29) lgkmcnt(5)
	v_mul_f32_e32 v138, v77, v105
	s_waitcnt vmcnt(28)
	v_mul_f32_e32 v139, v79, v106
	s_waitcnt vmcnt(27) lgkmcnt(4)
	v_mul_f32_e32 v140, v81, v107
	s_waitcnt vmcnt(26)
	v_mul_f32_e32 v141, v83, v108
	s_waitcnt vmcnt(25) lgkmcnt(3)
	v_mul_f32_e32 v142, v85, v109
	s_waitcnt vmcnt(24)
	v_mul_f32_e32 v143, v87, v110
	s_waitcnt vmcnt(23) lgkmcnt(2)
	v_mul_f32_e32 v144, v89, v111
	s_waitcnt vmcnt(22)
	v_mul_f32_e32 v145, v91, v112
	s_waitcnt vmcnt(21) lgkmcnt(1)
	v_mul_f32_e32 v146, v93, v113
	s_waitcnt vmcnt(20)
	v_mul_f32_e32 v147, v95, v114
	s_waitcnt vmcnt(17)
	v_fma_f32 v69, v69, v117, -v101
	v_fmac_f32_e32 v68, v70, v117
	v_mul_f32_e32 v70, v74, v103
	s_waitcnt vmcnt(16)
	v_fma_f32 v71, v71, v118, -v102
	v_fmac_f32_e32 v135, v72, v118
	v_add_f32_e32 v69, 0, v69
	v_add_f32_e32 v68, 0, v68
	v_mul_f32_e32 v72, v76, v104
	s_waitcnt vmcnt(15)
	v_fma_f32 v70, v73, v119, -v70
	v_fmac_f32_e32 v136, v74, v119
	v_add_f32_e32 v69, v69, v71
	v_add_f32_e32 v68, v68, v135
	;; [unrolled: 6-line block ×12, first 2 shown]
	s_waitcnt lgkmcnt(0)
	v_mul_f32_e32 v70, v98, v115
	s_waitcnt vmcnt(4)
	v_fma_f32 v71, v95, v130, -v71
	v_mul_f32_e32 v148, v97, v115
	v_add_f32_e32 v69, v69, v72
	v_fmac_f32_e32 v147, v96, v130
	v_add_f32_e32 v68, v68, v146
	v_mul_f32_e32 v72, v100, v116
	s_waitcnt vmcnt(3)
	v_fma_f32 v70, v97, v131, -v70
	v_add_f32_e32 v69, v69, v71
	v_mul_f32_e32 v149, v99, v116
	v_fmac_f32_e32 v148, v98, v131
	v_add_f32_e32 v68, v68, v147
	s_waitcnt vmcnt(2)
	v_fma_f32 v71, v99, v132, -v72
	v_add_f32_e32 v69, v69, v70
	v_fmac_f32_e32 v149, v100, v132
	v_add_f32_e32 v68, v68, v148
	v_add_f32_e32 v69, v69, v71
	;; [unrolled: 1-line block ×3, first 2 shown]
	s_waitcnt vmcnt(1)
	v_sub_f32_e32 v69, v133, v69
	s_waitcnt vmcnt(0)
	v_sub_f32_e32 v68, v134, v68
	buffer_store_dword v69, off, s[0:3], 0 offset:128
	buffer_store_dword v68, off, s[0:3], 0 offset:132
	v_cmpx_lt_u32_e32 15, v0
	s_cbranch_execz .LBB32_181
; %bb.180:
	s_clause 0x1
	buffer_load_dword v68, off, s[0:3], 0 offset:120
	buffer_load_dword v69, off, s[0:3], 0 offset:124
	v_mov_b32_e32 v70, 0
	buffer_store_dword v70, off, s[0:3], 0 offset:120
	buffer_store_dword v70, off, s[0:3], 0 offset:124
	s_waitcnt vmcnt(0)
	ds_write_b64 v67, v[68:69]
.LBB32_181:
	s_or_b32 exec_lo, exec_lo, s4
	s_waitcnt lgkmcnt(0)
	s_waitcnt_vscnt null, 0x0
	s_barrier
	buffer_gl0_inv
	s_clause 0x23
	buffer_load_dword v103, off, s[0:3], 0 offset:132
	buffer_load_dword v104, off, s[0:3], 0 offset:140
	;; [unrolled: 1-line block ×36, first 2 shown]
	v_mov_b32_e32 v68, 0
	ds_read_b128 v[69:72], v68 offset:400
	ds_read_b128 v[73:76], v68 offset:416
	ds_read_b128 v[77:80], v68 offset:432
	ds_read_b128 v[81:84], v68 offset:448
	ds_read_b128 v[85:88], v68 offset:464
	ds_read_b128 v[89:92], v68 offset:480
	ds_read_b128 v[93:96], v68 offset:496
	ds_read_b128 v[97:100], v68 offset:512
	ds_read_b64 v[101:102], v68 offset:528
	s_mov_b32 s4, exec_lo
	s_waitcnt vmcnt(35) lgkmcnt(8)
	v_mul_f32_e32 v139, v69, v103
	v_mul_f32_e32 v103, v70, v103
	s_waitcnt vmcnt(34)
	v_mul_f32_e32 v140, v71, v104
	v_mul_f32_e32 v104, v72, v104
	s_waitcnt vmcnt(33) lgkmcnt(7)
	v_mul_f32_e32 v141, v73, v105
	s_waitcnt vmcnt(32)
	v_mul_f32_e32 v142, v75, v106
	s_waitcnt vmcnt(31) lgkmcnt(6)
	v_mul_f32_e32 v143, v77, v107
	s_waitcnt vmcnt(30)
	;; [unrolled: 4-line block ×7, first 2 shown]
	v_fma_f32 v69, v69, v120, -v103
	v_fmac_f32_e32 v139, v70, v120
	v_mul_f32_e32 v70, v74, v105
	s_waitcnt vmcnt(17)
	v_fma_f32 v71, v71, v121, -v104
	v_fmac_f32_e32 v140, v72, v121
	v_add_f32_e32 v69, 0, v69
	v_add_f32_e32 v72, 0, v139
	v_mul_f32_e32 v103, v76, v106
	s_waitcnt vmcnt(16)
	v_fma_f32 v70, v73, v122, -v70
	v_fmac_f32_e32 v141, v74, v122
	v_add_f32_e32 v69, v69, v71
	v_add_f32_e32 v71, v72, v140
	;; [unrolled: 6-line block ×13, first 2 shown]
	v_mul_f32_e32 v73, v100, v118
	s_waitcnt vmcnt(4)
	v_fma_f32 v71, v97, v134, -v71
	v_mul_f32_e32 v154, v99, v118
	v_add_f32_e32 v69, v69, v72
	v_fmac_f32_e32 v153, v98, v134
	v_add_f32_e32 v70, v70, v152
	s_waitcnt lgkmcnt(0)
	v_mul_f32_e32 v72, v102, v119
	s_waitcnt vmcnt(3)
	v_fma_f32 v73, v99, v135, -v73
	v_add_f32_e32 v69, v69, v71
	v_mul_f32_e32 v155, v101, v119
	v_fmac_f32_e32 v154, v100, v135
	v_add_f32_e32 v70, v70, v153
	s_waitcnt vmcnt(2)
	v_fma_f32 v71, v101, v136, -v72
	v_add_f32_e32 v69, v69, v73
	v_fmac_f32_e32 v155, v102, v136
	v_add_f32_e32 v70, v70, v154
	v_add_f32_e32 v69, v69, v71
	;; [unrolled: 1-line block ×3, first 2 shown]
	s_waitcnt vmcnt(1)
	v_sub_f32_e32 v69, v137, v69
	s_waitcnt vmcnt(0)
	v_sub_f32_e32 v70, v138, v70
	buffer_store_dword v69, off, s[0:3], 0 offset:120
	buffer_store_dword v70, off, s[0:3], 0 offset:124
	v_cmpx_lt_u32_e32 14, v0
	s_cbranch_execz .LBB32_183
; %bb.182:
	s_clause 0x1
	buffer_load_dword v69, off, s[0:3], 0 offset:112
	buffer_load_dword v70, off, s[0:3], 0 offset:116
	buffer_store_dword v68, off, s[0:3], 0 offset:112
	buffer_store_dword v68, off, s[0:3], 0 offset:116
	s_waitcnt vmcnt(0)
	ds_write_b64 v67, v[69:70]
.LBB32_183:
	s_or_b32 exec_lo, exec_lo, s4
	s_waitcnt lgkmcnt(0)
	s_waitcnt_vscnt null, 0x0
	s_barrier
	buffer_gl0_inv
	s_clause 0x25
	buffer_load_dword v105, off, s[0:3], 0 offset:124
	buffer_load_dword v106, off, s[0:3], 0 offset:132
	;; [unrolled: 1-line block ×38, first 2 shown]
	ds_read2_b64 v[69:72], v68 offset0:49 offset1:50
	ds_read2_b64 v[73:76], v68 offset0:51 offset1:52
	;; [unrolled: 1-line block ×9, first 2 shown]
	s_mov_b32 s4, exec_lo
	s_waitcnt vmcnt(37) lgkmcnt(8)
	v_mul_f32_e32 v68, v69, v105
	v_mul_f32_e32 v105, v70, v105
	s_waitcnt vmcnt(36)
	v_mul_f32_e32 v143, v71, v106
	v_mul_f32_e32 v106, v72, v106
	s_waitcnt vmcnt(35) lgkmcnt(7)
	v_mul_f32_e32 v144, v73, v107
	s_waitcnt vmcnt(34)
	v_mul_f32_e32 v145, v75, v108
	s_waitcnt vmcnt(33) lgkmcnt(6)
	v_mul_f32_e32 v146, v77, v109
	s_waitcnt vmcnt(32)
	v_mul_f32_e32 v147, v79, v110
	s_waitcnt vmcnt(31) lgkmcnt(5)
	v_mul_f32_e32 v148, v81, v111
	s_waitcnt vmcnt(30)
	v_mul_f32_e32 v149, v83, v112
	s_waitcnt vmcnt(29) lgkmcnt(4)
	v_mul_f32_e32 v150, v85, v113
	s_waitcnt vmcnt(28)
	v_mul_f32_e32 v151, v87, v114
	s_waitcnt vmcnt(27) lgkmcnt(3)
	v_mul_f32_e32 v152, v89, v115
	s_waitcnt vmcnt(26)
	v_mul_f32_e32 v153, v91, v116
	s_waitcnt vmcnt(25) lgkmcnt(2)
	v_mul_f32_e32 v154, v93, v117
	s_waitcnt vmcnt(24)
	v_mul_f32_e32 v155, v95, v118
	s_waitcnt vmcnt(23) lgkmcnt(1)
	v_mul_f32_e32 v156, v97, v119
	s_waitcnt vmcnt(22)
	v_mul_f32_e32 v157, v99, v120
	s_waitcnt vmcnt(19)
	v_fma_f32 v69, v69, v123, -v105
	v_fmac_f32_e32 v68, v70, v123
	v_mul_f32_e32 v70, v74, v107
	s_waitcnt vmcnt(18)
	v_fma_f32 v71, v71, v124, -v106
	v_fmac_f32_e32 v143, v72, v124
	v_add_f32_e32 v69, 0, v69
	v_add_f32_e32 v68, 0, v68
	v_mul_f32_e32 v72, v76, v108
	s_waitcnt vmcnt(17)
	v_fma_f32 v70, v73, v125, -v70
	v_fmac_f32_e32 v144, v74, v125
	v_add_f32_e32 v69, v69, v71
	v_add_f32_e32 v68, v68, v143
	;; [unrolled: 6-line block ×14, first 2 shown]
	s_waitcnt lgkmcnt(0)
	v_mul_f32_e32 v71, v102, v121
	s_waitcnt vmcnt(4)
	v_fma_f32 v72, v99, v138, -v72
	v_mul_f32_e32 v158, v101, v121
	v_add_f32_e32 v69, v69, v70
	v_fmac_f32_e32 v157, v100, v138
	v_add_f32_e32 v68, v68, v156
	v_mul_f32_e32 v70, v104, v122
	s_waitcnt vmcnt(3)
	v_fma_f32 v71, v101, v139, -v71
	v_add_f32_e32 v69, v69, v72
	v_mul_f32_e32 v159, v103, v122
	v_fmac_f32_e32 v158, v102, v139
	v_add_f32_e32 v68, v68, v157
	s_waitcnt vmcnt(2)
	v_fma_f32 v70, v103, v140, -v70
	v_add_f32_e32 v69, v69, v71
	v_fmac_f32_e32 v159, v104, v140
	v_add_f32_e32 v68, v68, v158
	v_add_f32_e32 v69, v69, v70
	;; [unrolled: 1-line block ×3, first 2 shown]
	s_waitcnt vmcnt(1)
	v_sub_f32_e32 v69, v141, v69
	s_waitcnt vmcnt(0)
	v_sub_f32_e32 v68, v142, v68
	buffer_store_dword v69, off, s[0:3], 0 offset:112
	buffer_store_dword v68, off, s[0:3], 0 offset:116
	v_cmpx_lt_u32_e32 13, v0
	s_cbranch_execz .LBB32_185
; %bb.184:
	s_clause 0x1
	buffer_load_dword v68, off, s[0:3], 0 offset:104
	buffer_load_dword v69, off, s[0:3], 0 offset:108
	v_mov_b32_e32 v70, 0
	buffer_store_dword v70, off, s[0:3], 0 offset:104
	buffer_store_dword v70, off, s[0:3], 0 offset:108
	s_waitcnt vmcnt(0)
	ds_write_b64 v67, v[68:69]
.LBB32_185:
	s_or_b32 exec_lo, exec_lo, s4
	s_waitcnt lgkmcnt(0)
	s_waitcnt_vscnt null, 0x0
	s_barrier
	buffer_gl0_inv
	s_clause 0x27
	buffer_load_dword v107, off, s[0:3], 0 offset:116
	buffer_load_dword v108, off, s[0:3], 0 offset:124
	;; [unrolled: 1-line block ×40, first 2 shown]
	v_mov_b32_e32 v68, 0
	ds_read_b128 v[69:72], v68 offset:384
	ds_read_b128 v[73:76], v68 offset:400
	;; [unrolled: 1-line block ×9, first 2 shown]
	ds_read_b64 v[105:106], v68 offset:528
	s_mov_b32 s4, exec_lo
	s_waitcnt vmcnt(39) lgkmcnt(9)
	v_mul_f32_e32 v147, v69, v107
	v_mul_f32_e32 v107, v70, v107
	s_waitcnt vmcnt(38)
	v_mul_f32_e32 v148, v71, v108
	v_mul_f32_e32 v108, v72, v108
	s_waitcnt vmcnt(37) lgkmcnt(8)
	v_mul_f32_e32 v149, v73, v109
	s_waitcnt vmcnt(36)
	v_mul_f32_e32 v150, v75, v110
	s_waitcnt vmcnt(35) lgkmcnt(7)
	v_mul_f32_e32 v151, v77, v111
	s_waitcnt vmcnt(34)
	;; [unrolled: 4-line block ×8, first 2 shown]
	v_fma_f32 v69, v69, v126, -v107
	v_fmac_f32_e32 v147, v70, v126
	v_mul_f32_e32 v70, v74, v109
	s_waitcnt vmcnt(19)
	v_fma_f32 v71, v71, v127, -v108
	v_fmac_f32_e32 v148, v72, v127
	v_add_f32_e32 v69, 0, v69
	v_add_f32_e32 v72, 0, v147
	v_mul_f32_e32 v107, v76, v110
	s_waitcnt vmcnt(18)
	v_fma_f32 v70, v73, v128, -v70
	v_fmac_f32_e32 v149, v74, v128
	v_add_f32_e32 v69, v69, v71
	v_add_f32_e32 v71, v72, v148
	;; [unrolled: 6-line block ×15, first 2 shown]
	v_mul_f32_e32 v71, v104, v124
	s_waitcnt vmcnt(4)
	v_fma_f32 v72, v101, v142, -v72
	v_mul_f32_e32 v164, v103, v124
	v_add_f32_e32 v69, v69, v73
	v_fmac_f32_e32 v163, v102, v142
	v_add_f32_e32 v70, v70, v162
	s_waitcnt lgkmcnt(0)
	v_mul_f32_e32 v73, v106, v125
	s_waitcnt vmcnt(3)
	v_fma_f32 v71, v103, v143, -v71
	v_add_f32_e32 v69, v69, v72
	v_mul_f32_e32 v165, v105, v125
	v_fmac_f32_e32 v164, v104, v143
	v_add_f32_e32 v70, v70, v163
	s_waitcnt vmcnt(2)
	v_fma_f32 v72, v105, v144, -v73
	v_add_f32_e32 v69, v69, v71
	v_fmac_f32_e32 v165, v106, v144
	v_add_f32_e32 v70, v70, v164
	v_add_f32_e32 v69, v69, v72
	;; [unrolled: 1-line block ×3, first 2 shown]
	s_waitcnt vmcnt(1)
	v_sub_f32_e32 v69, v145, v69
	s_waitcnt vmcnt(0)
	v_sub_f32_e32 v70, v146, v70
	buffer_store_dword v69, off, s[0:3], 0 offset:104
	buffer_store_dword v70, off, s[0:3], 0 offset:108
	v_cmpx_lt_u32_e32 12, v0
	s_cbranch_execz .LBB32_187
; %bb.186:
	s_clause 0x1
	buffer_load_dword v69, off, s[0:3], 0 offset:96
	buffer_load_dword v70, off, s[0:3], 0 offset:100
	buffer_store_dword v68, off, s[0:3], 0 offset:96
	buffer_store_dword v68, off, s[0:3], 0 offset:100
	s_waitcnt vmcnt(0)
	ds_write_b64 v67, v[69:70]
.LBB32_187:
	s_or_b32 exec_lo, exec_lo, s4
	s_waitcnt lgkmcnt(0)
	s_waitcnt_vscnt null, 0x0
	s_barrier
	buffer_gl0_inv
	s_clause 0x29
	buffer_load_dword v109, off, s[0:3], 0 offset:108
	buffer_load_dword v110, off, s[0:3], 0 offset:116
	;; [unrolled: 1-line block ×42, first 2 shown]
	ds_read2_b64 v[69:72], v68 offset0:47 offset1:48
	ds_read2_b64 v[73:76], v68 offset0:49 offset1:50
	;; [unrolled: 1-line block ×10, first 2 shown]
	s_mov_b32 s4, exec_lo
	s_waitcnt vmcnt(41) lgkmcnt(9)
	v_mul_f32_e32 v68, v69, v109
	v_mul_f32_e32 v109, v70, v109
	s_waitcnt vmcnt(40)
	v_mul_f32_e32 v151, v71, v110
	v_mul_f32_e32 v110, v72, v110
	s_waitcnt vmcnt(39) lgkmcnt(8)
	v_mul_f32_e32 v152, v73, v111
	s_waitcnt vmcnt(38)
	v_mul_f32_e32 v153, v75, v112
	s_waitcnt vmcnt(37) lgkmcnt(7)
	v_mul_f32_e32 v154, v77, v113
	s_waitcnt vmcnt(36)
	;; [unrolled: 4-line block ×8, first 2 shown]
	v_mul_f32_e32 v167, v103, v126
	s_waitcnt vmcnt(21)
	v_fma_f32 v69, v69, v129, -v109
	v_fmac_f32_e32 v68, v70, v129
	v_mul_f32_e32 v70, v74, v111
	s_waitcnt vmcnt(20)
	v_fma_f32 v71, v71, v130, -v110
	v_fmac_f32_e32 v151, v72, v130
	v_add_f32_e32 v69, 0, v69
	v_add_f32_e32 v68, 0, v68
	v_mul_f32_e32 v72, v76, v112
	s_waitcnt vmcnt(19)
	v_fma_f32 v70, v73, v131, -v70
	v_fmac_f32_e32 v152, v74, v131
	v_add_f32_e32 v69, v69, v71
	v_add_f32_e32 v68, v68, v151
	;; [unrolled: 6-line block ×16, first 2 shown]
	s_waitcnt lgkmcnt(0)
	v_mul_f32_e32 v72, v106, v127
	s_waitcnt vmcnt(4)
	v_fma_f32 v70, v103, v146, -v70
	v_mul_f32_e32 v168, v105, v127
	v_add_f32_e32 v69, v69, v71
	v_fmac_f32_e32 v167, v104, v146
	v_add_f32_e32 v68, v68, v166
	v_mul_f32_e32 v71, v108, v128
	s_waitcnt vmcnt(3)
	v_fma_f32 v72, v105, v147, -v72
	v_add_f32_e32 v69, v69, v70
	v_mul_f32_e32 v169, v107, v128
	v_fmac_f32_e32 v168, v106, v147
	v_add_f32_e32 v68, v68, v167
	s_waitcnt vmcnt(2)
	v_fma_f32 v70, v107, v148, -v71
	v_add_f32_e32 v69, v69, v72
	v_fmac_f32_e32 v169, v108, v148
	v_add_f32_e32 v68, v68, v168
	v_add_f32_e32 v69, v69, v70
	;; [unrolled: 1-line block ×3, first 2 shown]
	s_waitcnt vmcnt(1)
	v_sub_f32_e32 v69, v149, v69
	s_waitcnt vmcnt(0)
	v_sub_f32_e32 v68, v150, v68
	buffer_store_dword v69, off, s[0:3], 0 offset:96
	buffer_store_dword v68, off, s[0:3], 0 offset:100
	v_cmpx_lt_u32_e32 11, v0
	s_cbranch_execz .LBB32_189
; %bb.188:
	s_clause 0x1
	buffer_load_dword v68, off, s[0:3], 0 offset:88
	buffer_load_dword v69, off, s[0:3], 0 offset:92
	v_mov_b32_e32 v70, 0
	buffer_store_dword v70, off, s[0:3], 0 offset:88
	buffer_store_dword v70, off, s[0:3], 0 offset:92
	s_waitcnt vmcnt(0)
	ds_write_b64 v67, v[68:69]
.LBB32_189:
	s_or_b32 exec_lo, exec_lo, s4
	s_waitcnt lgkmcnt(0)
	s_waitcnt_vscnt null, 0x0
	s_barrier
	buffer_gl0_inv
	s_clause 0x2b
	buffer_load_dword v111, off, s[0:3], 0 offset:100
	buffer_load_dword v112, off, s[0:3], 0 offset:108
	;; [unrolled: 1-line block ×44, first 2 shown]
	v_mov_b32_e32 v68, 0
	ds_read_b128 v[69:72], v68 offset:368
	ds_read_b128 v[73:76], v68 offset:384
	ds_read_b128 v[77:80], v68 offset:400
	ds_read_b128 v[81:84], v68 offset:416
	ds_read_b128 v[85:88], v68 offset:432
	ds_read_b128 v[89:92], v68 offset:448
	ds_read_b128 v[93:96], v68 offset:464
	ds_read_b128 v[97:100], v68 offset:480
	ds_read_b128 v[101:104], v68 offset:496
	ds_read_b128 v[105:108], v68 offset:512
	ds_read_b64 v[109:110], v68 offset:528
	s_mov_b32 s4, exec_lo
	s_waitcnt vmcnt(43) lgkmcnt(10)
	v_mul_f32_e32 v155, v69, v111
	v_mul_f32_e32 v111, v70, v111
	s_waitcnt vmcnt(42)
	v_mul_f32_e32 v156, v71, v112
	v_mul_f32_e32 v112, v72, v112
	s_waitcnt vmcnt(41) lgkmcnt(9)
	v_mul_f32_e32 v157, v73, v113
	s_waitcnt vmcnt(40)
	v_mul_f32_e32 v158, v75, v114
	s_waitcnt vmcnt(39) lgkmcnt(8)
	v_mul_f32_e32 v159, v77, v115
	s_waitcnt vmcnt(38)
	;; [unrolled: 4-line block ×9, first 2 shown]
	v_fma_f32 v69, v69, v132, -v111
	v_fmac_f32_e32 v155, v70, v132
	v_mul_f32_e32 v70, v74, v113
	s_waitcnt vmcnt(21)
	v_fma_f32 v71, v71, v133, -v112
	v_fmac_f32_e32 v156, v72, v133
	v_add_f32_e32 v69, 0, v69
	v_add_f32_e32 v72, 0, v155
	v_mul_f32_e32 v111, v76, v114
	s_waitcnt vmcnt(20)
	v_fma_f32 v70, v73, v134, -v70
	v_fmac_f32_e32 v157, v74, v134
	v_add_f32_e32 v69, v69, v71
	v_add_f32_e32 v71, v72, v156
	;; [unrolled: 6-line block ×17, first 2 shown]
	v_mul_f32_e32 v72, v108, v130
	s_waitcnt vmcnt(4)
	v_fma_f32 v73, v105, v150, -v73
	v_mul_f32_e32 v174, v107, v130
	v_add_f32_e32 v69, v69, v71
	v_fmac_f32_e32 v173, v106, v150
	v_add_f32_e32 v70, v70, v172
	s_waitcnt lgkmcnt(0)
	v_mul_f32_e32 v71, v110, v131
	s_waitcnt vmcnt(3)
	v_fma_f32 v72, v107, v151, -v72
	v_add_f32_e32 v69, v69, v73
	v_mul_f32_e32 v175, v109, v131
	v_fmac_f32_e32 v174, v108, v151
	v_add_f32_e32 v70, v70, v173
	s_waitcnt vmcnt(2)
	v_fma_f32 v71, v109, v152, -v71
	v_add_f32_e32 v69, v69, v72
	v_fmac_f32_e32 v175, v110, v152
	v_add_f32_e32 v70, v70, v174
	v_add_f32_e32 v69, v69, v71
	;; [unrolled: 1-line block ×3, first 2 shown]
	s_waitcnt vmcnt(1)
	v_sub_f32_e32 v69, v153, v69
	s_waitcnt vmcnt(0)
	v_sub_f32_e32 v70, v154, v70
	buffer_store_dword v69, off, s[0:3], 0 offset:88
	buffer_store_dword v70, off, s[0:3], 0 offset:92
	v_cmpx_lt_u32_e32 10, v0
	s_cbranch_execz .LBB32_191
; %bb.190:
	s_clause 0x1
	buffer_load_dword v69, off, s[0:3], 0 offset:80
	buffer_load_dword v70, off, s[0:3], 0 offset:84
	buffer_store_dword v68, off, s[0:3], 0 offset:80
	buffer_store_dword v68, off, s[0:3], 0 offset:84
	s_waitcnt vmcnt(0)
	ds_write_b64 v67, v[69:70]
.LBB32_191:
	s_or_b32 exec_lo, exec_lo, s4
	s_waitcnt lgkmcnt(0)
	s_waitcnt_vscnt null, 0x0
	s_barrier
	buffer_gl0_inv
	s_clause 0x2d
	buffer_load_dword v113, off, s[0:3], 0 offset:92
	buffer_load_dword v114, off, s[0:3], 0 offset:100
	;; [unrolled: 1-line block ×46, first 2 shown]
	ds_read2_b64 v[69:72], v68 offset0:45 offset1:46
	ds_read2_b64 v[73:76], v68 offset0:47 offset1:48
	;; [unrolled: 1-line block ×11, first 2 shown]
	s_mov_b32 s4, exec_lo
	s_waitcnt vmcnt(45) lgkmcnt(10)
	v_mul_f32_e32 v68, v69, v113
	v_mul_f32_e32 v113, v70, v113
	s_waitcnt vmcnt(44)
	v_mul_f32_e32 v159, v71, v114
	v_mul_f32_e32 v114, v72, v114
	s_waitcnt vmcnt(43) lgkmcnt(9)
	v_mul_f32_e32 v160, v73, v115
	s_waitcnt vmcnt(42)
	v_mul_f32_e32 v161, v75, v116
	s_waitcnt vmcnt(41) lgkmcnt(8)
	v_mul_f32_e32 v162, v77, v117
	s_waitcnt vmcnt(40)
	;; [unrolled: 4-line block ×9, first 2 shown]
	v_mul_f32_e32 v177, v107, v132
	s_waitcnt vmcnt(23)
	v_fma_f32 v69, v69, v135, -v113
	v_fmac_f32_e32 v68, v70, v135
	v_mul_f32_e32 v70, v74, v115
	s_waitcnt vmcnt(22)
	v_fma_f32 v71, v71, v136, -v114
	v_fmac_f32_e32 v159, v72, v136
	v_add_f32_e32 v69, 0, v69
	v_add_f32_e32 v68, 0, v68
	v_mul_f32_e32 v72, v76, v116
	s_waitcnt vmcnt(21)
	v_fma_f32 v70, v73, v137, -v70
	v_fmac_f32_e32 v160, v74, v137
	v_add_f32_e32 v69, v69, v71
	v_add_f32_e32 v68, v68, v159
	;; [unrolled: 6-line block ×18, first 2 shown]
	s_waitcnt lgkmcnt(0)
	v_mul_f32_e32 v70, v110, v133
	s_waitcnt vmcnt(4)
	v_fma_f32 v71, v107, v154, -v71
	v_mul_f32_e32 v178, v109, v133
	v_add_f32_e32 v69, v69, v72
	v_fmac_f32_e32 v177, v108, v154
	v_add_f32_e32 v68, v68, v176
	v_mul_f32_e32 v72, v112, v134
	s_waitcnt vmcnt(3)
	v_fma_f32 v70, v109, v155, -v70
	v_add_f32_e32 v69, v69, v71
	v_mul_f32_e32 v179, v111, v134
	v_fmac_f32_e32 v178, v110, v155
	v_add_f32_e32 v68, v68, v177
	s_waitcnt vmcnt(2)
	v_fma_f32 v71, v111, v156, -v72
	v_add_f32_e32 v69, v69, v70
	v_fmac_f32_e32 v179, v112, v156
	v_add_f32_e32 v68, v68, v178
	v_add_f32_e32 v69, v69, v71
	;; [unrolled: 1-line block ×3, first 2 shown]
	s_waitcnt vmcnt(1)
	v_sub_f32_e32 v69, v157, v69
	s_waitcnt vmcnt(0)
	v_sub_f32_e32 v68, v158, v68
	buffer_store_dword v69, off, s[0:3], 0 offset:80
	buffer_store_dword v68, off, s[0:3], 0 offset:84
	v_cmpx_lt_u32_e32 9, v0
	s_cbranch_execz .LBB32_193
; %bb.192:
	s_clause 0x1
	buffer_load_dword v68, off, s[0:3], 0 offset:72
	buffer_load_dword v69, off, s[0:3], 0 offset:76
	v_mov_b32_e32 v70, 0
	buffer_store_dword v70, off, s[0:3], 0 offset:72
	buffer_store_dword v70, off, s[0:3], 0 offset:76
	s_waitcnt vmcnt(0)
	ds_write_b64 v67, v[68:69]
.LBB32_193:
	s_or_b32 exec_lo, exec_lo, s4
	s_waitcnt lgkmcnt(0)
	s_waitcnt_vscnt null, 0x0
	s_barrier
	buffer_gl0_inv
	s_clause 0x2f
	buffer_load_dword v115, off, s[0:3], 0 offset:84
	buffer_load_dword v116, off, s[0:3], 0 offset:92
	;; [unrolled: 1-line block ×48, first 2 shown]
	v_mov_b32_e32 v68, 0
	ds_read_b128 v[69:72], v68 offset:352
	ds_read_b128 v[73:76], v68 offset:368
	;; [unrolled: 1-line block ×11, first 2 shown]
	ds_read_b64 v[113:114], v68 offset:528
	s_mov_b32 s4, exec_lo
	s_waitcnt vmcnt(47) lgkmcnt(11)
	v_mul_f32_e32 v163, v69, v115
	v_mul_f32_e32 v115, v70, v115
	s_waitcnt vmcnt(46)
	v_mul_f32_e32 v164, v71, v116
	v_mul_f32_e32 v116, v72, v116
	s_waitcnt vmcnt(45) lgkmcnt(10)
	v_mul_f32_e32 v165, v73, v117
	s_waitcnt vmcnt(44)
	v_mul_f32_e32 v166, v75, v118
	s_waitcnt vmcnt(43) lgkmcnt(9)
	v_mul_f32_e32 v167, v77, v119
	s_waitcnt vmcnt(42)
	;; [unrolled: 4-line block ×10, first 2 shown]
	v_fma_f32 v69, v69, v138, -v115
	v_fmac_f32_e32 v163, v70, v138
	v_mul_f32_e32 v70, v74, v117
	s_waitcnt vmcnt(23)
	v_fma_f32 v71, v71, v139, -v116
	v_fmac_f32_e32 v164, v72, v139
	v_add_f32_e32 v69, 0, v69
	v_add_f32_e32 v72, 0, v163
	v_mul_f32_e32 v115, v76, v118
	s_waitcnt vmcnt(22)
	v_fma_f32 v70, v73, v140, -v70
	v_fmac_f32_e32 v165, v74, v140
	v_add_f32_e32 v69, v69, v71
	v_add_f32_e32 v71, v72, v164
	;; [unrolled: 6-line block ×19, first 2 shown]
	v_mul_f32_e32 v73, v112, v136
	s_waitcnt vmcnt(4)
	v_fma_f32 v71, v109, v158, -v71
	v_mul_f32_e32 v184, v111, v136
	v_add_f32_e32 v69, v69, v72
	v_fmac_f32_e32 v183, v110, v158
	v_add_f32_e32 v70, v70, v182
	s_waitcnt lgkmcnt(0)
	v_mul_f32_e32 v72, v114, v137
	s_waitcnt vmcnt(3)
	v_fma_f32 v73, v111, v159, -v73
	v_add_f32_e32 v69, v69, v71
	v_mul_f32_e32 v185, v113, v137
	v_fmac_f32_e32 v184, v112, v159
	v_add_f32_e32 v70, v70, v183
	s_waitcnt vmcnt(2)
	v_fma_f32 v71, v113, v160, -v72
	v_add_f32_e32 v69, v69, v73
	v_fmac_f32_e32 v185, v114, v160
	v_add_f32_e32 v70, v70, v184
	v_add_f32_e32 v69, v69, v71
	;; [unrolled: 1-line block ×3, first 2 shown]
	s_waitcnt vmcnt(1)
	v_sub_f32_e32 v69, v161, v69
	s_waitcnt vmcnt(0)
	v_sub_f32_e32 v70, v162, v70
	buffer_store_dword v69, off, s[0:3], 0 offset:72
	buffer_store_dword v70, off, s[0:3], 0 offset:76
	v_cmpx_lt_u32_e32 8, v0
	s_cbranch_execz .LBB32_195
; %bb.194:
	s_clause 0x1
	buffer_load_dword v69, off, s[0:3], 0 offset:64
	buffer_load_dword v70, off, s[0:3], 0 offset:68
	buffer_store_dword v68, off, s[0:3], 0 offset:64
	buffer_store_dword v68, off, s[0:3], 0 offset:68
	s_waitcnt vmcnt(0)
	ds_write_b64 v67, v[69:70]
.LBB32_195:
	s_or_b32 exec_lo, exec_lo, s4
	s_waitcnt lgkmcnt(0)
	s_waitcnt_vscnt null, 0x0
	s_barrier
	buffer_gl0_inv
	s_clause 0x31
	buffer_load_dword v117, off, s[0:3], 0 offset:76
	buffer_load_dword v118, off, s[0:3], 0 offset:84
	;; [unrolled: 1-line block ×50, first 2 shown]
	ds_read2_b64 v[69:72], v68 offset0:43 offset1:44
	ds_read2_b64 v[73:76], v68 offset0:45 offset1:46
	ds_read2_b64 v[77:80], v68 offset0:47 offset1:48
	ds_read2_b64 v[81:84], v68 offset0:49 offset1:50
	ds_read2_b64 v[85:88], v68 offset0:51 offset1:52
	ds_read2_b64 v[89:92], v68 offset0:53 offset1:54
	ds_read2_b64 v[93:96], v68 offset0:55 offset1:56
	ds_read2_b64 v[97:100], v68 offset0:57 offset1:58
	ds_read2_b64 v[101:104], v68 offset0:59 offset1:60
	ds_read2_b64 v[105:108], v68 offset0:61 offset1:62
	ds_read2_b64 v[109:112], v68 offset0:63 offset1:64
	ds_read2_b64 v[113:116], v68 offset0:65 offset1:66
	s_mov_b32 s4, exec_lo
	s_waitcnt vmcnt(49) lgkmcnt(11)
	v_mul_f32_e32 v68, v69, v117
	v_mul_f32_e32 v117, v70, v117
	s_waitcnt vmcnt(48)
	v_mul_f32_e32 v167, v71, v118
	v_mul_f32_e32 v118, v72, v118
	s_waitcnt vmcnt(47) lgkmcnt(10)
	v_mul_f32_e32 v168, v73, v119
	s_waitcnt vmcnt(46)
	v_mul_f32_e32 v169, v75, v120
	s_waitcnt vmcnt(45) lgkmcnt(9)
	v_mul_f32_e32 v170, v77, v121
	s_waitcnt vmcnt(44)
	v_mul_f32_e32 v171, v79, v122
	s_waitcnt vmcnt(43) lgkmcnt(8)
	v_mul_f32_e32 v172, v81, v123
	s_waitcnt vmcnt(42)
	v_mul_f32_e32 v173, v83, v124
	s_waitcnt vmcnt(41) lgkmcnt(7)
	v_mul_f32_e32 v174, v85, v125
	s_waitcnt vmcnt(40)
	v_mul_f32_e32 v175, v87, v126
	s_waitcnt vmcnt(39) lgkmcnt(6)
	v_mul_f32_e32 v176, v89, v127
	s_waitcnt vmcnt(38)
	v_mul_f32_e32 v177, v91, v128
	s_waitcnt vmcnt(37) lgkmcnt(5)
	v_mul_f32_e32 v178, v93, v129
	s_waitcnt vmcnt(36)
	v_mul_f32_e32 v179, v95, v130
	s_waitcnt vmcnt(35) lgkmcnt(4)
	v_mul_f32_e32 v180, v97, v131
	s_waitcnt vmcnt(34)
	v_mul_f32_e32 v181, v99, v132
	s_waitcnt vmcnt(33) lgkmcnt(3)
	v_mul_f32_e32 v182, v101, v133
	s_waitcnt vmcnt(32)
	v_mul_f32_e32 v183, v103, v134
	s_waitcnt vmcnt(31) lgkmcnt(2)
	v_mul_f32_e32 v184, v105, v135
	s_waitcnt vmcnt(30)
	v_mul_f32_e32 v185, v107, v136
	s_waitcnt vmcnt(29) lgkmcnt(1)
	v_mul_f32_e32 v186, v109, v137
	s_waitcnt vmcnt(28)
	v_mul_f32_e32 v187, v111, v138
	s_waitcnt vmcnt(25)
	v_fma_f32 v69, v69, v141, -v117
	v_fmac_f32_e32 v68, v70, v141
	v_mul_f32_e32 v70, v74, v119
	s_waitcnt vmcnt(24)
	v_fma_f32 v71, v71, v142, -v118
	v_fmac_f32_e32 v167, v72, v142
	v_add_f32_e32 v69, 0, v69
	v_add_f32_e32 v68, 0, v68
	v_mul_f32_e32 v72, v76, v120
	s_waitcnt vmcnt(23)
	v_fma_f32 v70, v73, v143, -v70
	v_fmac_f32_e32 v168, v74, v143
	v_add_f32_e32 v69, v69, v71
	v_add_f32_e32 v68, v68, v167
	;; [unrolled: 6-line block ×20, first 2 shown]
	s_waitcnt lgkmcnt(0)
	v_mul_f32_e32 v71, v114, v139
	s_waitcnt vmcnt(4)
	v_fma_f32 v72, v111, v162, -v72
	v_mul_f32_e32 v188, v113, v139
	v_add_f32_e32 v69, v69, v70
	v_fmac_f32_e32 v187, v112, v162
	v_add_f32_e32 v68, v68, v186
	v_mul_f32_e32 v70, v116, v140
	s_waitcnt vmcnt(3)
	v_fma_f32 v71, v113, v163, -v71
	v_add_f32_e32 v69, v69, v72
	v_mul_f32_e32 v189, v115, v140
	v_fmac_f32_e32 v188, v114, v163
	v_add_f32_e32 v68, v68, v187
	s_waitcnt vmcnt(2)
	v_fma_f32 v70, v115, v164, -v70
	v_add_f32_e32 v69, v69, v71
	v_fmac_f32_e32 v189, v116, v164
	v_add_f32_e32 v68, v68, v188
	v_add_f32_e32 v69, v69, v70
	;; [unrolled: 1-line block ×3, first 2 shown]
	s_waitcnt vmcnt(1)
	v_sub_f32_e32 v69, v165, v69
	s_waitcnt vmcnt(0)
	v_sub_f32_e32 v68, v166, v68
	buffer_store_dword v69, off, s[0:3], 0 offset:64
	buffer_store_dword v68, off, s[0:3], 0 offset:68
	v_cmpx_lt_u32_e32 7, v0
	s_cbranch_execz .LBB32_197
; %bb.196:
	s_clause 0x1
	buffer_load_dword v68, off, s[0:3], 0 offset:56
	buffer_load_dword v69, off, s[0:3], 0 offset:60
	v_mov_b32_e32 v70, 0
	buffer_store_dword v70, off, s[0:3], 0 offset:56
	buffer_store_dword v70, off, s[0:3], 0 offset:60
	s_waitcnt vmcnt(0)
	ds_write_b64 v67, v[68:69]
.LBB32_197:
	s_or_b32 exec_lo, exec_lo, s4
	s_waitcnt lgkmcnt(0)
	s_waitcnt_vscnt null, 0x0
	s_barrier
	buffer_gl0_inv
	s_clause 0x33
	buffer_load_dword v119, off, s[0:3], 0 offset:68
	buffer_load_dword v120, off, s[0:3], 0 offset:76
	;; [unrolled: 1-line block ×52, first 2 shown]
	v_mov_b32_e32 v68, 0
	ds_read_b128 v[69:72], v68 offset:336
	ds_read_b128 v[73:76], v68 offset:352
	;; [unrolled: 1-line block ×12, first 2 shown]
	ds_read_b64 v[117:118], v68 offset:528
	s_mov_b32 s4, exec_lo
	s_waitcnt vmcnt(51) lgkmcnt(12)
	v_mul_f32_e32 v171, v69, v119
	v_mul_f32_e32 v119, v70, v119
	s_waitcnt vmcnt(50)
	v_mul_f32_e32 v172, v71, v120
	v_mul_f32_e32 v120, v72, v120
	s_waitcnt vmcnt(49) lgkmcnt(11)
	v_mul_f32_e32 v173, v73, v121
	s_waitcnt vmcnt(48)
	v_mul_f32_e32 v174, v75, v122
	s_waitcnt vmcnt(47) lgkmcnt(10)
	v_mul_f32_e32 v175, v77, v123
	s_waitcnt vmcnt(46)
	;; [unrolled: 4-line block ×11, first 2 shown]
	v_fma_f32 v69, v69, v144, -v119
	v_fmac_f32_e32 v171, v70, v144
	v_mul_f32_e32 v70, v74, v121
	s_waitcnt vmcnt(25)
	v_fma_f32 v71, v71, v145, -v120
	v_fmac_f32_e32 v172, v72, v145
	v_add_f32_e32 v69, 0, v69
	v_add_f32_e32 v72, 0, v171
	v_mul_f32_e32 v119, v76, v122
	s_waitcnt vmcnt(24)
	v_fma_f32 v70, v73, v146, -v70
	v_fmac_f32_e32 v173, v74, v146
	v_add_f32_e32 v69, v69, v71
	v_add_f32_e32 v71, v72, v172
	;; [unrolled: 6-line block ×21, first 2 shown]
	v_mul_f32_e32 v71, v116, v142
	s_waitcnt vmcnt(4)
	v_fma_f32 v72, v113, v166, -v72
	v_mul_f32_e32 v194, v115, v142
	v_add_f32_e32 v69, v69, v73
	v_fmac_f32_e32 v193, v114, v166
	v_add_f32_e32 v70, v70, v192
	s_waitcnt lgkmcnt(0)
	v_mul_f32_e32 v73, v118, v143
	s_waitcnt vmcnt(3)
	v_fma_f32 v71, v115, v167, -v71
	v_add_f32_e32 v69, v69, v72
	v_mul_f32_e32 v195, v117, v143
	v_fmac_f32_e32 v194, v116, v167
	v_add_f32_e32 v70, v70, v193
	s_waitcnt vmcnt(2)
	v_fma_f32 v72, v117, v168, -v73
	v_add_f32_e32 v69, v69, v71
	v_fmac_f32_e32 v195, v118, v168
	v_add_f32_e32 v70, v70, v194
	v_add_f32_e32 v69, v69, v72
	;; [unrolled: 1-line block ×3, first 2 shown]
	s_waitcnt vmcnt(1)
	v_sub_f32_e32 v69, v169, v69
	s_waitcnt vmcnt(0)
	v_sub_f32_e32 v70, v170, v70
	buffer_store_dword v69, off, s[0:3], 0 offset:56
	buffer_store_dword v70, off, s[0:3], 0 offset:60
	v_cmpx_lt_u32_e32 6, v0
	s_cbranch_execz .LBB32_199
; %bb.198:
	s_clause 0x1
	buffer_load_dword v69, off, s[0:3], 0 offset:48
	buffer_load_dword v70, off, s[0:3], 0 offset:52
	buffer_store_dword v68, off, s[0:3], 0 offset:48
	buffer_store_dword v68, off, s[0:3], 0 offset:52
	s_waitcnt vmcnt(0)
	ds_write_b64 v67, v[69:70]
.LBB32_199:
	s_or_b32 exec_lo, exec_lo, s4
	s_waitcnt lgkmcnt(0)
	s_waitcnt_vscnt null, 0x0
	s_barrier
	buffer_gl0_inv
	s_clause 0x35
	buffer_load_dword v121, off, s[0:3], 0 offset:60
	buffer_load_dword v122, off, s[0:3], 0 offset:68
	;; [unrolled: 1-line block ×54, first 2 shown]
	ds_read2_b64 v[69:72], v68 offset0:41 offset1:42
	ds_read2_b64 v[73:76], v68 offset0:43 offset1:44
	;; [unrolled: 1-line block ×13, first 2 shown]
	s_mov_b32 s4, exec_lo
	s_waitcnt vmcnt(53) lgkmcnt(12)
	v_mul_f32_e32 v68, v69, v121
	v_mul_f32_e32 v121, v70, v121
	s_waitcnt vmcnt(52)
	v_mul_f32_e32 v175, v71, v122
	v_mul_f32_e32 v122, v72, v122
	s_waitcnt vmcnt(51) lgkmcnt(11)
	v_mul_f32_e32 v176, v73, v123
	s_waitcnt vmcnt(50)
	v_mul_f32_e32 v177, v75, v124
	s_waitcnt vmcnt(49) lgkmcnt(10)
	v_mul_f32_e32 v178, v77, v125
	s_waitcnt vmcnt(48)
	;; [unrolled: 4-line block ×11, first 2 shown]
	v_mul_f32_e32 v197, v115, v144
	s_waitcnt vmcnt(27)
	v_fma_f32 v69, v69, v147, -v121
	v_fmac_f32_e32 v68, v70, v147
	v_mul_f32_e32 v70, v74, v123
	s_waitcnt vmcnt(26)
	v_fma_f32 v71, v71, v148, -v122
	v_fmac_f32_e32 v175, v72, v148
	v_add_f32_e32 v69, 0, v69
	v_add_f32_e32 v68, 0, v68
	v_mul_f32_e32 v72, v76, v124
	s_waitcnt vmcnt(25)
	v_fma_f32 v70, v73, v149, -v70
	v_fmac_f32_e32 v176, v74, v149
	v_add_f32_e32 v69, v69, v71
	v_add_f32_e32 v68, v68, v175
	;; [unrolled: 6-line block ×22, first 2 shown]
	s_waitcnt lgkmcnt(0)
	v_mul_f32_e32 v72, v118, v145
	s_waitcnt vmcnt(4)
	v_fma_f32 v70, v115, v170, -v70
	v_mul_f32_e32 v198, v117, v145
	v_add_f32_e32 v69, v69, v71
	v_fmac_f32_e32 v197, v116, v170
	v_add_f32_e32 v68, v68, v196
	v_mul_f32_e32 v71, v120, v146
	s_waitcnt vmcnt(3)
	v_fma_f32 v72, v117, v171, -v72
	v_add_f32_e32 v69, v69, v70
	v_mul_f32_e32 v199, v119, v146
	v_fmac_f32_e32 v198, v118, v171
	v_add_f32_e32 v68, v68, v197
	s_waitcnt vmcnt(2)
	v_fma_f32 v70, v119, v172, -v71
	v_add_f32_e32 v69, v69, v72
	v_fmac_f32_e32 v199, v120, v172
	v_add_f32_e32 v68, v68, v198
	v_add_f32_e32 v69, v69, v70
	;; [unrolled: 1-line block ×3, first 2 shown]
	s_waitcnt vmcnt(1)
	v_sub_f32_e32 v69, v173, v69
	s_waitcnt vmcnt(0)
	v_sub_f32_e32 v68, v174, v68
	buffer_store_dword v69, off, s[0:3], 0 offset:48
	buffer_store_dword v68, off, s[0:3], 0 offset:52
	v_cmpx_lt_u32_e32 5, v0
	s_cbranch_execz .LBB32_201
; %bb.200:
	s_clause 0x1
	buffer_load_dword v68, off, s[0:3], 0 offset:40
	buffer_load_dword v69, off, s[0:3], 0 offset:44
	v_mov_b32_e32 v70, 0
	buffer_store_dword v70, off, s[0:3], 0 offset:40
	buffer_store_dword v70, off, s[0:3], 0 offset:44
	s_waitcnt vmcnt(0)
	ds_write_b64 v67, v[68:69]
.LBB32_201:
	s_or_b32 exec_lo, exec_lo, s4
	s_waitcnt lgkmcnt(0)
	s_waitcnt_vscnt null, 0x0
	s_barrier
	buffer_gl0_inv
	s_clause 0x37
	buffer_load_dword v123, off, s[0:3], 0 offset:52
	buffer_load_dword v124, off, s[0:3], 0 offset:60
	;; [unrolled: 1-line block ×56, first 2 shown]
	v_mov_b32_e32 v68, 0
	ds_read_b128 v[69:72], v68 offset:320
	ds_read_b128 v[73:76], v68 offset:336
	;; [unrolled: 1-line block ×13, first 2 shown]
	ds_read_b64 v[121:122], v68 offset:528
	s_mov_b32 s4, exec_lo
	s_waitcnt vmcnt(55) lgkmcnt(13)
	v_mul_f32_e32 v179, v69, v123
	v_mul_f32_e32 v123, v70, v123
	s_waitcnt vmcnt(54)
	v_mul_f32_e32 v180, v71, v124
	v_mul_f32_e32 v124, v72, v124
	s_waitcnt vmcnt(53) lgkmcnt(12)
	v_mul_f32_e32 v181, v73, v125
	s_waitcnt vmcnt(52)
	v_mul_f32_e32 v182, v75, v126
	s_waitcnt vmcnt(51) lgkmcnt(11)
	v_mul_f32_e32 v183, v77, v127
	s_waitcnt vmcnt(50)
	;; [unrolled: 4-line block ×12, first 2 shown]
	v_fma_f32 v69, v69, v150, -v123
	v_fmac_f32_e32 v179, v70, v150
	v_mul_f32_e32 v70, v74, v125
	s_waitcnt vmcnt(27)
	v_fma_f32 v71, v71, v151, -v124
	v_fmac_f32_e32 v180, v72, v151
	v_add_f32_e32 v69, 0, v69
	v_add_f32_e32 v72, 0, v179
	v_mul_f32_e32 v123, v76, v126
	s_waitcnt vmcnt(26)
	v_fma_f32 v70, v73, v152, -v70
	v_fmac_f32_e32 v181, v74, v152
	v_add_f32_e32 v69, v69, v71
	v_add_f32_e32 v71, v72, v180
	;; [unrolled: 6-line block ×23, first 2 shown]
	v_mul_f32_e32 v72, v120, v148
	s_waitcnt vmcnt(4)
	v_fma_f32 v73, v117, v174, -v73
	v_mul_f32_e32 v204, v119, v148
	v_add_f32_e32 v69, v69, v71
	v_fmac_f32_e32 v203, v118, v174
	v_add_f32_e32 v70, v70, v202
	s_waitcnt lgkmcnt(0)
	v_mul_f32_e32 v71, v122, v149
	s_waitcnt vmcnt(3)
	v_fma_f32 v72, v119, v175, -v72
	v_add_f32_e32 v69, v69, v73
	v_mul_f32_e32 v205, v121, v149
	v_fmac_f32_e32 v204, v120, v175
	v_add_f32_e32 v70, v70, v203
	s_waitcnt vmcnt(2)
	v_fma_f32 v71, v121, v176, -v71
	v_add_f32_e32 v69, v69, v72
	v_fmac_f32_e32 v205, v122, v176
	v_add_f32_e32 v70, v70, v204
	v_add_f32_e32 v69, v69, v71
	;; [unrolled: 1-line block ×3, first 2 shown]
	s_waitcnt vmcnt(1)
	v_sub_f32_e32 v69, v177, v69
	s_waitcnt vmcnt(0)
	v_sub_f32_e32 v70, v178, v70
	buffer_store_dword v69, off, s[0:3], 0 offset:40
	buffer_store_dword v70, off, s[0:3], 0 offset:44
	v_cmpx_lt_u32_e32 4, v0
	s_cbranch_execz .LBB32_203
; %bb.202:
	s_clause 0x1
	buffer_load_dword v69, off, s[0:3], 0 offset:32
	buffer_load_dword v70, off, s[0:3], 0 offset:36
	buffer_store_dword v68, off, s[0:3], 0 offset:32
	buffer_store_dword v68, off, s[0:3], 0 offset:36
	s_waitcnt vmcnt(0)
	ds_write_b64 v67, v[69:70]
.LBB32_203:
	s_or_b32 exec_lo, exec_lo, s4
	s_waitcnt lgkmcnt(0)
	s_waitcnt_vscnt null, 0x0
	s_barrier
	buffer_gl0_inv
	s_clause 0x39
	buffer_load_dword v125, off, s[0:3], 0 offset:44
	buffer_load_dword v126, off, s[0:3], 0 offset:52
	;; [unrolled: 1-line block ×58, first 2 shown]
	ds_read2_b64 v[69:72], v68 offset0:39 offset1:40
	ds_read2_b64 v[73:76], v68 offset0:41 offset1:42
	;; [unrolled: 1-line block ×14, first 2 shown]
	s_mov_b32 s4, exec_lo
	s_waitcnt vmcnt(57) lgkmcnt(13)
	v_mul_f32_e32 v68, v69, v125
	v_mul_f32_e32 v125, v70, v125
	s_waitcnt vmcnt(56)
	v_mul_f32_e32 v183, v71, v126
	v_mul_f32_e32 v126, v72, v126
	s_waitcnt vmcnt(55) lgkmcnt(12)
	v_mul_f32_e32 v184, v73, v127
	s_waitcnt vmcnt(54)
	v_mul_f32_e32 v185, v75, v128
	s_waitcnt vmcnt(53) lgkmcnt(11)
	v_mul_f32_e32 v186, v77, v129
	s_waitcnt vmcnt(52)
	;; [unrolled: 4-line block ×12, first 2 shown]
	v_mul_f32_e32 v207, v119, v150
	s_waitcnt vmcnt(29)
	v_fma_f32 v69, v69, v153, -v125
	v_fmac_f32_e32 v68, v70, v153
	v_mul_f32_e32 v70, v74, v127
	s_waitcnt vmcnt(28)
	v_fma_f32 v71, v71, v154, -v126
	v_fmac_f32_e32 v183, v72, v154
	v_add_f32_e32 v69, 0, v69
	v_add_f32_e32 v68, 0, v68
	v_mul_f32_e32 v72, v76, v128
	s_waitcnt vmcnt(27)
	v_fma_f32 v70, v73, v155, -v70
	v_fmac_f32_e32 v184, v74, v155
	v_add_f32_e32 v69, v69, v71
	v_add_f32_e32 v68, v68, v183
	;; [unrolled: 6-line block ×24, first 2 shown]
	s_waitcnt lgkmcnt(0)
	v_mul_f32_e32 v70, v122, v151
	s_waitcnt vmcnt(4)
	v_fma_f32 v71, v119, v178, -v71
	v_mul_f32_e32 v208, v121, v151
	v_add_f32_e32 v69, v69, v72
	v_fmac_f32_e32 v207, v120, v178
	v_add_f32_e32 v68, v68, v206
	v_mul_f32_e32 v72, v124, v152
	s_waitcnt vmcnt(3)
	v_fma_f32 v70, v121, v179, -v70
	v_add_f32_e32 v69, v69, v71
	v_mul_f32_e32 v209, v123, v152
	v_fmac_f32_e32 v208, v122, v179
	v_add_f32_e32 v68, v68, v207
	s_waitcnt vmcnt(2)
	v_fma_f32 v71, v123, v180, -v72
	v_add_f32_e32 v69, v69, v70
	v_fmac_f32_e32 v209, v124, v180
	v_add_f32_e32 v68, v68, v208
	v_add_f32_e32 v69, v69, v71
	;; [unrolled: 1-line block ×3, first 2 shown]
	s_waitcnt vmcnt(1)
	v_sub_f32_e32 v69, v181, v69
	s_waitcnt vmcnt(0)
	v_sub_f32_e32 v68, v182, v68
	buffer_store_dword v69, off, s[0:3], 0 offset:32
	buffer_store_dword v68, off, s[0:3], 0 offset:36
	v_cmpx_lt_u32_e32 3, v0
	s_cbranch_execz .LBB32_205
; %bb.204:
	s_clause 0x1
	buffer_load_dword v68, off, s[0:3], 0 offset:24
	buffer_load_dword v69, off, s[0:3], 0 offset:28
	v_mov_b32_e32 v70, 0
	buffer_store_dword v70, off, s[0:3], 0 offset:24
	buffer_store_dword v70, off, s[0:3], 0 offset:28
	s_waitcnt vmcnt(0)
	ds_write_b64 v67, v[68:69]
.LBB32_205:
	s_or_b32 exec_lo, exec_lo, s4
	s_waitcnt lgkmcnt(0)
	s_waitcnt_vscnt null, 0x0
	s_barrier
	buffer_gl0_inv
	s_clause 0x3b
	buffer_load_dword v127, off, s[0:3], 0 offset:36
	buffer_load_dword v128, off, s[0:3], 0 offset:44
	;; [unrolled: 1-line block ×60, first 2 shown]
	v_mov_b32_e32 v68, 0
	ds_read_b128 v[69:72], v68 offset:304
	ds_read_b128 v[73:76], v68 offset:320
	;; [unrolled: 1-line block ×14, first 2 shown]
	ds_read_b64 v[125:126], v68 offset:528
	s_mov_b32 s4, exec_lo
	s_waitcnt vmcnt(59) lgkmcnt(14)
	v_mul_f32_e32 v187, v69, v127
	v_mul_f32_e32 v127, v70, v127
	s_waitcnt vmcnt(58)
	v_mul_f32_e32 v188, v71, v128
	v_mul_f32_e32 v128, v72, v128
	s_waitcnt vmcnt(57) lgkmcnt(13)
	v_mul_f32_e32 v189, v73, v129
	s_waitcnt vmcnt(56)
	v_mul_f32_e32 v190, v75, v130
	s_waitcnt vmcnt(55) lgkmcnt(12)
	v_mul_f32_e32 v191, v77, v131
	s_waitcnt vmcnt(54)
	;; [unrolled: 4-line block ×13, first 2 shown]
	v_fma_f32 v69, v69, v156, -v127
	v_fmac_f32_e32 v187, v70, v156
	v_mul_f32_e32 v70, v74, v129
	s_waitcnt vmcnt(29)
	v_fma_f32 v71, v71, v157, -v128
	v_fmac_f32_e32 v188, v72, v157
	v_add_f32_e32 v69, 0, v69
	v_add_f32_e32 v72, 0, v187
	v_mul_f32_e32 v127, v76, v130
	s_waitcnt vmcnt(28)
	v_fma_f32 v70, v73, v158, -v70
	v_fmac_f32_e32 v189, v74, v158
	v_add_f32_e32 v69, v69, v71
	v_add_f32_e32 v71, v72, v188
	;; [unrolled: 6-line block ×25, first 2 shown]
	v_mul_f32_e32 v73, v124, v154
	s_waitcnt vmcnt(4)
	v_fma_f32 v71, v121, v182, -v71
	v_mul_f32_e32 v214, v123, v154
	v_add_f32_e32 v69, v69, v72
	v_fmac_f32_e32 v213, v122, v182
	v_add_f32_e32 v70, v70, v212
	s_waitcnt lgkmcnt(0)
	v_mul_f32_e32 v72, v126, v155
	s_waitcnt vmcnt(3)
	v_fma_f32 v73, v123, v183, -v73
	v_add_f32_e32 v69, v69, v71
	v_mul_f32_e32 v215, v125, v155
	v_fmac_f32_e32 v214, v124, v183
	v_add_f32_e32 v70, v70, v213
	s_waitcnt vmcnt(2)
	v_fma_f32 v71, v125, v184, -v72
	v_add_f32_e32 v69, v69, v73
	v_fmac_f32_e32 v215, v126, v184
	v_add_f32_e32 v70, v70, v214
	v_add_f32_e32 v69, v69, v71
	;; [unrolled: 1-line block ×3, first 2 shown]
	s_waitcnt vmcnt(1)
	v_sub_f32_e32 v69, v185, v69
	s_waitcnt vmcnt(0)
	v_sub_f32_e32 v70, v186, v70
	buffer_store_dword v69, off, s[0:3], 0 offset:24
	buffer_store_dword v70, off, s[0:3], 0 offset:28
	v_cmpx_lt_u32_e32 2, v0
	s_cbranch_execz .LBB32_207
; %bb.206:
	s_clause 0x1
	buffer_load_dword v69, off, s[0:3], 0 offset:16
	buffer_load_dword v70, off, s[0:3], 0 offset:20
	buffer_store_dword v68, off, s[0:3], 0 offset:16
	buffer_store_dword v68, off, s[0:3], 0 offset:20
	s_waitcnt vmcnt(0)
	ds_write_b64 v67, v[69:70]
.LBB32_207:
	s_or_b32 exec_lo, exec_lo, s4
	s_waitcnt lgkmcnt(0)
	s_waitcnt_vscnt null, 0x0
	s_barrier
	buffer_gl0_inv
	s_clause 0x3d
	buffer_load_dword v129, off, s[0:3], 0 offset:28
	buffer_load_dword v130, off, s[0:3], 0 offset:36
	;; [unrolled: 1-line block ×62, first 2 shown]
	ds_read2_b64 v[69:72], v68 offset0:37 offset1:38
	ds_read2_b64 v[73:76], v68 offset0:39 offset1:40
	;; [unrolled: 1-line block ×15, first 2 shown]
	s_mov_b32 s4, exec_lo
	s_waitcnt vmcnt(61) lgkmcnt(14)
	v_mul_f32_e32 v68, v69, v129
	v_mul_f32_e32 v129, v70, v129
	s_waitcnt vmcnt(60)
	v_mul_f32_e32 v191, v71, v130
	v_mul_f32_e32 v130, v72, v130
	s_waitcnt vmcnt(59) lgkmcnt(13)
	v_mul_f32_e32 v192, v73, v131
	s_waitcnt vmcnt(58)
	v_mul_f32_e32 v193, v75, v132
	s_waitcnt vmcnt(57) lgkmcnt(12)
	v_mul_f32_e32 v194, v77, v133
	s_waitcnt vmcnt(56)
	;; [unrolled: 4-line block ×13, first 2 shown]
	v_mul_f32_e32 v217, v123, v156
	s_waitcnt vmcnt(31)
	v_fma_f32 v69, v69, v159, -v129
	v_fmac_f32_e32 v68, v70, v159
	v_mul_f32_e32 v70, v74, v131
	s_waitcnt vmcnt(30)
	v_fma_f32 v71, v71, v160, -v130
	v_fmac_f32_e32 v191, v72, v160
	v_add_f32_e32 v69, 0, v69
	v_add_f32_e32 v68, 0, v68
	v_mul_f32_e32 v72, v76, v132
	s_waitcnt vmcnt(29)
	v_fma_f32 v70, v73, v161, -v70
	v_fmac_f32_e32 v192, v74, v161
	v_add_f32_e32 v69, v69, v71
	v_add_f32_e32 v68, v68, v191
	;; [unrolled: 6-line block ×26, first 2 shown]
	s_waitcnt lgkmcnt(0)
	v_mul_f32_e32 v71, v126, v157
	s_waitcnt vmcnt(4)
	v_fma_f32 v72, v123, v186, -v72
	v_mul_f32_e32 v218, v125, v157
	v_add_f32_e32 v69, v69, v70
	v_fmac_f32_e32 v217, v124, v186
	v_add_f32_e32 v68, v68, v216
	v_mul_f32_e32 v70, v128, v158
	s_waitcnt vmcnt(3)
	v_fma_f32 v71, v125, v187, -v71
	v_add_f32_e32 v69, v69, v72
	v_mul_f32_e32 v219, v127, v158
	v_fmac_f32_e32 v218, v126, v187
	v_add_f32_e32 v68, v68, v217
	s_waitcnt vmcnt(2)
	v_fma_f32 v70, v127, v188, -v70
	v_add_f32_e32 v69, v69, v71
	v_fmac_f32_e32 v219, v128, v188
	v_add_f32_e32 v68, v68, v218
	v_add_f32_e32 v69, v69, v70
	;; [unrolled: 1-line block ×3, first 2 shown]
	s_waitcnt vmcnt(1)
	v_sub_f32_e32 v69, v189, v69
	s_waitcnt vmcnt(0)
	v_sub_f32_e32 v68, v190, v68
	buffer_store_dword v69, off, s[0:3], 0 offset:16
	buffer_store_dword v68, off, s[0:3], 0 offset:20
	v_cmpx_lt_u32_e32 1, v0
	s_cbranch_execz .LBB32_209
; %bb.208:
	s_clause 0x1
	buffer_load_dword v68, off, s[0:3], 0 offset:8
	buffer_load_dword v69, off, s[0:3], 0 offset:12
	v_mov_b32_e32 v70, 0
	buffer_store_dword v70, off, s[0:3], 0 offset:8
	buffer_store_dword v70, off, s[0:3], 0 offset:12
	s_waitcnt vmcnt(0)
	ds_write_b64 v67, v[68:69]
.LBB32_209:
	s_or_b32 exec_lo, exec_lo, s4
	s_waitcnt lgkmcnt(0)
	s_waitcnt_vscnt null, 0x0
	s_barrier
	buffer_gl0_inv
	s_clause 0x3e
	buffer_load_dword v131, off, s[0:3], 0 offset:20
	buffer_load_dword v132, off, s[0:3], 0 offset:28
	;; [unrolled: 1-line block ×64, first 2 shown]
	v_mov_b32_e32 v68, 0
	ds_read_b128 v[69:72], v68 offset:288
	ds_read_b128 v[73:76], v68 offset:304
	;; [unrolled: 1-line block ×15, first 2 shown]
	ds_read_b64 v[129:130], v68 offset:528
	s_mov_b32 s4, exec_lo
	s_waitcnt vmcnt(62) lgkmcnt(15)
	v_mul_f32_e32 v195, v69, v131
	v_mul_f32_e32 v131, v70, v131
	;; [unrolled: 1-line block ×4, first 2 shown]
	s_waitcnt vmcnt(61) lgkmcnt(14)
	v_mul_f32_e32 v197, v73, v133
	s_waitcnt vmcnt(60)
	v_mul_f32_e32 v198, v75, v134
	s_waitcnt vmcnt(59) lgkmcnt(13)
	v_mul_f32_e32 v199, v77, v135
	s_waitcnt vmcnt(58)
	v_mul_f32_e32 v200, v79, v136
	;; [unrolled: 4-line block ×13, first 2 shown]
	s_waitcnt vmcnt(35) lgkmcnt(1)
	v_mul_f32_e32 v223, v125, v159
	s_waitcnt vmcnt(32)
	v_fma_f32 v69, v69, v162, -v131
	v_fmac_f32_e32 v195, v70, v162
	v_mul_f32_e32 v70, v74, v133
	s_waitcnt vmcnt(31)
	v_fma_f32 v71, v71, v163, -v132
	v_fmac_f32_e32 v196, v72, v163
	v_add_f32_e32 v69, 0, v69
	v_add_f32_e32 v72, 0, v195
	v_mul_f32_e32 v131, v76, v134
	s_waitcnt vmcnt(30)
	v_fma_f32 v70, v73, v164, -v70
	v_fmac_f32_e32 v197, v74, v164
	v_add_f32_e32 v69, v69, v71
	v_add_f32_e32 v71, v72, v196
	;; [unrolled: 6-line block ×27, first 2 shown]
	v_mul_f32_e32 v71, v128, v160
	s_waitcnt vmcnt(4)
	v_fma_f32 v72, v125, v190, -v72
	v_mul_f32_e32 v224, v127, v160
	v_add_f32_e32 v69, v69, v73
	v_fmac_f32_e32 v223, v126, v190
	v_add_f32_e32 v70, v70, v222
	s_waitcnt lgkmcnt(0)
	v_mul_f32_e32 v73, v130, v161
	s_waitcnt vmcnt(3)
	v_fma_f32 v71, v127, v191, -v71
	v_add_f32_e32 v69, v69, v72
	v_mul_f32_e32 v225, v129, v161
	v_fmac_f32_e32 v224, v128, v191
	v_add_f32_e32 v70, v70, v223
	s_waitcnt vmcnt(2)
	v_fma_f32 v72, v129, v192, -v73
	v_add_f32_e32 v69, v69, v71
	v_fmac_f32_e32 v225, v130, v192
	v_add_f32_e32 v70, v70, v224
	v_add_f32_e32 v69, v69, v72
	;; [unrolled: 1-line block ×3, first 2 shown]
	s_waitcnt vmcnt(1)
	v_sub_f32_e32 v69, v193, v69
	s_waitcnt vmcnt(0)
	v_sub_f32_e32 v70, v194, v70
	buffer_store_dword v69, off, s[0:3], 0 offset:8
	buffer_store_dword v70, off, s[0:3], 0 offset:12
	v_cmpx_ne_u32_e32 0, v0
	s_cbranch_execz .LBB32_211
; %bb.210:
	s_clause 0x1
	buffer_load_dword v69, off, s[0:3], 0
	buffer_load_dword v70, off, s[0:3], 0 offset:4
	buffer_store_dword v68, off, s[0:3], 0
	buffer_store_dword v68, off, s[0:3], 0 offset:4
	s_waitcnt vmcnt(0)
	ds_write_b64 v67, v[69:70]
.LBB32_211:
	s_or_b32 exec_lo, exec_lo, s4
	s_waitcnt lgkmcnt(0)
	s_waitcnt_vscnt null, 0x0
	s_barrier
	buffer_gl0_inv
	s_clause 0x3e
	buffer_load_dword v0, off, s[0:3], 0 offset:12
	buffer_load_dword v67, off, s[0:3], 0 offset:20
	;; [unrolled: 1-line block ×63, first 2 shown]
	s_clause 0x2
	buffer_load_dword v194, off, s[0:3], 0 offset:256
	buffer_load_dword v195, off, s[0:3], 0
	buffer_load_dword v196, off, s[0:3], 0 offset:4
	ds_read2_b64 v[69:72], v68 offset0:35 offset1:36
	ds_read2_b64 v[73:76], v68 offset0:37 offset1:38
	;; [unrolled: 1-line block ×16, first 2 shown]
	s_and_b32 vcc_lo, exec_lo, s22
	s_waitcnt vmcnt(62) lgkmcnt(15)
	v_mul_f32_e32 v68, v69, v0
	v_mul_f32_e32 v0, v70, v0
	;; [unrolled: 1-line block ×4, first 2 shown]
	s_waitcnt lgkmcnt(14)
	v_mul_f32_e32 v198, v73, v133
	v_mul_f32_e32 v199, v75, v134
	s_waitcnt vmcnt(61) lgkmcnt(13)
	v_mul_f32_e32 v200, v77, v135
	s_waitcnt vmcnt(60)
	v_mul_f32_e32 v201, v79, v136
	s_waitcnt vmcnt(59) lgkmcnt(12)
	v_mul_f32_e32 v202, v81, v137
	s_waitcnt vmcnt(58)
	;; [unrolled: 4-line block ×13, first 2 shown]
	v_mul_f32_e32 v225, v127, v160
	s_waitcnt vmcnt(33)
	v_fma_f32 v0, v69, v163, -v0
	v_fmac_f32_e32 v68, v70, v163
	v_mul_f32_e32 v69, v74, v133
	s_waitcnt vmcnt(32)
	v_fma_f32 v67, v71, v164, -v67
	v_fmac_f32_e32 v197, v72, v164
	v_add_f32_e32 v0, 0, v0
	v_add_f32_e32 v68, 0, v68
	v_mul_f32_e32 v70, v76, v134
	s_waitcnt vmcnt(31)
	v_fma_f32 v69, v73, v165, -v69
	v_fmac_f32_e32 v198, v74, v165
	v_add_f32_e32 v0, v0, v67
	v_add_f32_e32 v67, v68, v197
	;; [unrolled: 6-line block ×28, first 2 shown]
	s_waitcnt lgkmcnt(0)
	v_mul_f32_e32 v70, v130, v161
	s_waitcnt vmcnt(4)
	v_fma_f32 v69, v127, v192, -v69
	v_mul_f32_e32 v226, v129, v161
	v_add_f32_e32 v0, v0, v68
	v_fmac_f32_e32 v225, v128, v192
	v_add_f32_e32 v67, v67, v224
	v_mul_f32_e32 v68, v132, v162
	s_waitcnt vmcnt(3)
	v_fma_f32 v70, v129, v193, -v70
	v_add_f32_e32 v0, v0, v69
	v_mul_f32_e32 v227, v131, v162
	v_fmac_f32_e32 v226, v130, v193
	v_add_f32_e32 v67, v67, v225
	s_waitcnt vmcnt(2)
	v_fma_f32 v68, v131, v194, -v68
	v_add_f32_e32 v0, v0, v70
	v_fmac_f32_e32 v227, v132, v194
	v_add_f32_e32 v67, v67, v226
	v_add_f32_e32 v0, v0, v68
	;; [unrolled: 1-line block ×3, first 2 shown]
	s_waitcnt vmcnt(1)
	v_sub_f32_e32 v0, v195, v0
	s_waitcnt vmcnt(0)
	v_sub_f32_e32 v67, v196, v67
	buffer_store_dword v0, off, s[0:3], 0
	buffer_store_dword v67, off, s[0:3], 0 offset:4
	s_cbranch_vccz .LBB32_276
; %bb.212:
	v_mov_b32_e32 v0, 0
	global_load_dword v67, v0, s[20:21] offset:124
	s_waitcnt vmcnt(0)
	v_add_nc_u32_e32 v67, -1, v67
	v_cmp_ne_u32_e32 vcc_lo, 31, v67
	s_cbranch_vccz .LBB32_214
; %bb.213:
	v_lshlrev_b32_e32 v67, 3, v67
	s_clause 0x3
	buffer_load_dword v68, v67, s[0:3], 0 offen
	buffer_load_dword v69, v67, s[0:3], 0 offen offset:4
	buffer_load_dword v70, off, s[0:3], 0 offset:248
	buffer_load_dword v71, off, s[0:3], 0 offset:252
	s_waitcnt vmcnt(3)
	buffer_store_dword v68, off, s[0:3], 0 offset:248
	s_waitcnt vmcnt(2)
	buffer_store_dword v69, off, s[0:3], 0 offset:252
	s_waitcnt vmcnt(1)
	buffer_store_dword v70, v67, s[0:3], 0 offen
	s_waitcnt vmcnt(0)
	buffer_store_dword v71, v67, s[0:3], 0 offen offset:4
.LBB32_214:
	global_load_dword v0, v0, s[20:21] offset:120
	s_waitcnt vmcnt(0)
	v_add_nc_u32_e32 v0, -1, v0
	v_cmp_eq_u32_e32 vcc_lo, 30, v0
	s_cbranch_vccnz .LBB32_216
; %bb.215:
	v_lshlrev_b32_e32 v0, 3, v0
	s_clause 0x3
	buffer_load_dword v67, v0, s[0:3], 0 offen
	buffer_load_dword v68, v0, s[0:3], 0 offen offset:4
	buffer_load_dword v69, off, s[0:3], 0 offset:244
	buffer_load_dword v70, off, s[0:3], 0 offset:240
	s_waitcnt vmcnt(3)
	buffer_store_dword v67, off, s[0:3], 0 offset:240
	s_waitcnt vmcnt(2)
	buffer_store_dword v68, off, s[0:3], 0 offset:244
	s_waitcnt vmcnt(1)
	buffer_store_dword v69, v0, s[0:3], 0 offen offset:4
	s_waitcnt vmcnt(0)
	buffer_store_dword v70, v0, s[0:3], 0 offen
.LBB32_216:
	v_mov_b32_e32 v0, 0
	global_load_dword v67, v0, s[20:21] offset:116
	s_waitcnt vmcnt(0)
	v_add_nc_u32_e32 v67, -1, v67
	v_cmp_eq_u32_e32 vcc_lo, 29, v67
	s_cbranch_vccnz .LBB32_218
; %bb.217:
	v_lshlrev_b32_e32 v67, 3, v67
	s_clause 0x3
	buffer_load_dword v68, v67, s[0:3], 0 offen
	buffer_load_dword v69, v67, s[0:3], 0 offen offset:4
	buffer_load_dword v70, off, s[0:3], 0 offset:232
	buffer_load_dword v71, off, s[0:3], 0 offset:236
	s_waitcnt vmcnt(3)
	buffer_store_dword v68, off, s[0:3], 0 offset:232
	s_waitcnt vmcnt(2)
	buffer_store_dword v69, off, s[0:3], 0 offset:236
	s_waitcnt vmcnt(1)
	buffer_store_dword v70, v67, s[0:3], 0 offen
	s_waitcnt vmcnt(0)
	buffer_store_dword v71, v67, s[0:3], 0 offen offset:4
.LBB32_218:
	global_load_dword v0, v0, s[20:21] offset:112
	s_waitcnt vmcnt(0)
	v_add_nc_u32_e32 v0, -1, v0
	v_cmp_eq_u32_e32 vcc_lo, 28, v0
	s_cbranch_vccnz .LBB32_220
; %bb.219:
	v_lshlrev_b32_e32 v0, 3, v0
	s_clause 0x3
	buffer_load_dword v67, v0, s[0:3], 0 offen
	buffer_load_dword v68, v0, s[0:3], 0 offen offset:4
	buffer_load_dword v69, off, s[0:3], 0 offset:228
	buffer_load_dword v70, off, s[0:3], 0 offset:224
	s_waitcnt vmcnt(3)
	buffer_store_dword v67, off, s[0:3], 0 offset:224
	s_waitcnt vmcnt(2)
	buffer_store_dword v68, off, s[0:3], 0 offset:228
	s_waitcnt vmcnt(1)
	buffer_store_dword v69, v0, s[0:3], 0 offen offset:4
	s_waitcnt vmcnt(0)
	buffer_store_dword v70, v0, s[0:3], 0 offen
.LBB32_220:
	v_mov_b32_e32 v0, 0
	global_load_dword v67, v0, s[20:21] offset:108
	s_waitcnt vmcnt(0)
	v_add_nc_u32_e32 v67, -1, v67
	v_cmp_eq_u32_e32 vcc_lo, 27, v67
	s_cbranch_vccnz .LBB32_222
; %bb.221:
	v_lshlrev_b32_e32 v67, 3, v67
	s_clause 0x3
	buffer_load_dword v68, v67, s[0:3], 0 offen
	buffer_load_dword v69, v67, s[0:3], 0 offen offset:4
	buffer_load_dword v70, off, s[0:3], 0 offset:216
	buffer_load_dword v71, off, s[0:3], 0 offset:220
	s_waitcnt vmcnt(3)
	buffer_store_dword v68, off, s[0:3], 0 offset:216
	s_waitcnt vmcnt(2)
	buffer_store_dword v69, off, s[0:3], 0 offset:220
	s_waitcnt vmcnt(1)
	buffer_store_dword v70, v67, s[0:3], 0 offen
	s_waitcnt vmcnt(0)
	buffer_store_dword v71, v67, s[0:3], 0 offen offset:4
.LBB32_222:
	;; [unrolled: 43-line block ×15, first 2 shown]
	global_load_dword v0, v0, s[20:21]
	s_waitcnt vmcnt(0)
	v_add_nc_u32_e32 v0, -1, v0
	v_cmp_eq_u32_e32 vcc_lo, 0, v0
	s_cbranch_vccnz .LBB32_276
; %bb.275:
	v_lshlrev_b32_e32 v0, 3, v0
	s_clause 0x3
	buffer_load_dword v67, v0, s[0:3], 0 offen
	buffer_load_dword v68, v0, s[0:3], 0 offen offset:4
	buffer_load_dword v69, off, s[0:3], 0 offset:4
	buffer_load_dword v70, off, s[0:3], 0
	s_waitcnt vmcnt(3)
	buffer_store_dword v67, off, s[0:3], 0
	s_waitcnt vmcnt(2)
	buffer_store_dword v68, off, s[0:3], 0 offset:4
	s_waitcnt vmcnt(1)
	buffer_store_dword v69, v0, s[0:3], 0 offen offset:4
	s_waitcnt vmcnt(0)
	buffer_store_dword v70, v0, s[0:3], 0 offen
.LBB32_276:
	s_clause 0x3e
	buffer_load_dword v67, off, s[0:3], 0
	buffer_load_dword v68, off, s[0:3], 0 offset:4
	buffer_load_dword v69, off, s[0:3], 0 offset:8
	;; [unrolled: 1-line block ×62, first 2 shown]
	s_clause 0x2
	buffer_load_dword v130, off, s[0:3], 0 offset:252
	buffer_load_dword v131, off, s[0:3], 0 offset:256
	;; [unrolled: 1-line block ×3, first 2 shown]
	s_waitcnt vmcnt(62)
	global_store_dwordx2 v[55:56], v[67:68], off
	global_store_dwordx2 v[57:58], v[69:70], off
	s_waitcnt vmcnt(60)
	global_store_dwordx2 v[1:2], v[71:72], off
	s_waitcnt vmcnt(58)
	;; [unrolled: 2-line block ×7, first 2 shown]
	global_store_dwordx2 v[13:14], v[83:84], off
	global_store_dwordx2 v[15:16], v[85:86], off
	;; [unrolled: 1-line block ×4, first 2 shown]
	s_waitcnt vmcnt(40)
	global_store_dwordx2 v[21:22], v[91:92], off
	s_waitcnt vmcnt(38)
	global_store_dwordx2 v[23:24], v[93:94], off
	;; [unrolled: 2-line block ×21, first 2 shown]
	s_endpgm
	.section	.rodata,"a",@progbits
	.p2align	6, 0x0
	.amdhsa_kernel _ZN9rocsolver6v33100L18getri_kernel_smallILi33E19rocblas_complex_numIfEPS3_EEvT1_iilPiilS6_bb
		.amdhsa_group_segment_fixed_size 536
		.amdhsa_private_segment_fixed_size 272
		.amdhsa_kernarg_size 60
		.amdhsa_user_sgpr_count 6
		.amdhsa_user_sgpr_private_segment_buffer 1
		.amdhsa_user_sgpr_dispatch_ptr 0
		.amdhsa_user_sgpr_queue_ptr 0
		.amdhsa_user_sgpr_kernarg_segment_ptr 1
		.amdhsa_user_sgpr_dispatch_id 0
		.amdhsa_user_sgpr_flat_scratch_init 0
		.amdhsa_user_sgpr_private_segment_size 0
		.amdhsa_wavefront_size32 1
		.amdhsa_uses_dynamic_stack 0
		.amdhsa_system_sgpr_private_segment_wavefront_offset 1
		.amdhsa_system_sgpr_workgroup_id_x 1
		.amdhsa_system_sgpr_workgroup_id_y 0
		.amdhsa_system_sgpr_workgroup_id_z 0
		.amdhsa_system_sgpr_workgroup_info 0
		.amdhsa_system_vgpr_workitem_id 0
		.amdhsa_next_free_vgpr 228
		.amdhsa_next_free_sgpr 23
		.amdhsa_reserve_vcc 1
		.amdhsa_reserve_flat_scratch 0
		.amdhsa_float_round_mode_32 0
		.amdhsa_float_round_mode_16_64 0
		.amdhsa_float_denorm_mode_32 3
		.amdhsa_float_denorm_mode_16_64 3
		.amdhsa_dx10_clamp 1
		.amdhsa_ieee_mode 1
		.amdhsa_fp16_overflow 0
		.amdhsa_workgroup_processor_mode 1
		.amdhsa_memory_ordered 1
		.amdhsa_forward_progress 1
		.amdhsa_shared_vgpr_count 0
		.amdhsa_exception_fp_ieee_invalid_op 0
		.amdhsa_exception_fp_denorm_src 0
		.amdhsa_exception_fp_ieee_div_zero 0
		.amdhsa_exception_fp_ieee_overflow 0
		.amdhsa_exception_fp_ieee_underflow 0
		.amdhsa_exception_fp_ieee_inexact 0
		.amdhsa_exception_int_div_zero 0
	.end_amdhsa_kernel
	.section	.text._ZN9rocsolver6v33100L18getri_kernel_smallILi33E19rocblas_complex_numIfEPS3_EEvT1_iilPiilS6_bb,"axG",@progbits,_ZN9rocsolver6v33100L18getri_kernel_smallILi33E19rocblas_complex_numIfEPS3_EEvT1_iilPiilS6_bb,comdat
.Lfunc_end32:
	.size	_ZN9rocsolver6v33100L18getri_kernel_smallILi33E19rocblas_complex_numIfEPS3_EEvT1_iilPiilS6_bb, .Lfunc_end32-_ZN9rocsolver6v33100L18getri_kernel_smallILi33E19rocblas_complex_numIfEPS3_EEvT1_iilPiilS6_bb
                                        ; -- End function
	.set _ZN9rocsolver6v33100L18getri_kernel_smallILi33E19rocblas_complex_numIfEPS3_EEvT1_iilPiilS6_bb.num_vgpr, 228
	.set _ZN9rocsolver6v33100L18getri_kernel_smallILi33E19rocblas_complex_numIfEPS3_EEvT1_iilPiilS6_bb.num_agpr, 0
	.set _ZN9rocsolver6v33100L18getri_kernel_smallILi33E19rocblas_complex_numIfEPS3_EEvT1_iilPiilS6_bb.numbered_sgpr, 23
	.set _ZN9rocsolver6v33100L18getri_kernel_smallILi33E19rocblas_complex_numIfEPS3_EEvT1_iilPiilS6_bb.num_named_barrier, 0
	.set _ZN9rocsolver6v33100L18getri_kernel_smallILi33E19rocblas_complex_numIfEPS3_EEvT1_iilPiilS6_bb.private_seg_size, 272
	.set _ZN9rocsolver6v33100L18getri_kernel_smallILi33E19rocblas_complex_numIfEPS3_EEvT1_iilPiilS6_bb.uses_vcc, 1
	.set _ZN9rocsolver6v33100L18getri_kernel_smallILi33E19rocblas_complex_numIfEPS3_EEvT1_iilPiilS6_bb.uses_flat_scratch, 0
	.set _ZN9rocsolver6v33100L18getri_kernel_smallILi33E19rocblas_complex_numIfEPS3_EEvT1_iilPiilS6_bb.has_dyn_sized_stack, 0
	.set _ZN9rocsolver6v33100L18getri_kernel_smallILi33E19rocblas_complex_numIfEPS3_EEvT1_iilPiilS6_bb.has_recursion, 0
	.set _ZN9rocsolver6v33100L18getri_kernel_smallILi33E19rocblas_complex_numIfEPS3_EEvT1_iilPiilS6_bb.has_indirect_call, 0
	.section	.AMDGPU.csdata,"",@progbits
; Kernel info:
; codeLenInByte = 49740
; TotalNumSgprs: 25
; NumVgprs: 228
; ScratchSize: 272
; MemoryBound: 0
; FloatMode: 240
; IeeeMode: 1
; LDSByteSize: 536 bytes/workgroup (compile time only)
; SGPRBlocks: 0
; VGPRBlocks: 28
; NumSGPRsForWavesPerEU: 25
; NumVGPRsForWavesPerEU: 228
; Occupancy: 4
; WaveLimiterHint : 1
; COMPUTE_PGM_RSRC2:SCRATCH_EN: 1
; COMPUTE_PGM_RSRC2:USER_SGPR: 6
; COMPUTE_PGM_RSRC2:TRAP_HANDLER: 0
; COMPUTE_PGM_RSRC2:TGID_X_EN: 1
; COMPUTE_PGM_RSRC2:TGID_Y_EN: 0
; COMPUTE_PGM_RSRC2:TGID_Z_EN: 0
; COMPUTE_PGM_RSRC2:TIDIG_COMP_CNT: 0
	.section	.text._ZN9rocsolver6v33100L18getri_kernel_smallILi34E19rocblas_complex_numIfEPS3_EEvT1_iilPiilS6_bb,"axG",@progbits,_ZN9rocsolver6v33100L18getri_kernel_smallILi34E19rocblas_complex_numIfEPS3_EEvT1_iilPiilS6_bb,comdat
	.globl	_ZN9rocsolver6v33100L18getri_kernel_smallILi34E19rocblas_complex_numIfEPS3_EEvT1_iilPiilS6_bb ; -- Begin function _ZN9rocsolver6v33100L18getri_kernel_smallILi34E19rocblas_complex_numIfEPS3_EEvT1_iilPiilS6_bb
	.p2align	8
	.type	_ZN9rocsolver6v33100L18getri_kernel_smallILi34E19rocblas_complex_numIfEPS3_EEvT1_iilPiilS6_bb,@function
_ZN9rocsolver6v33100L18getri_kernel_smallILi34E19rocblas_complex_numIfEPS3_EEvT1_iilPiilS6_bb: ; @_ZN9rocsolver6v33100L18getri_kernel_smallILi34E19rocblas_complex_numIfEPS3_EEvT1_iilPiilS6_bb
; %bb.0:
	s_add_u32 s0, s0, s7
	s_addc_u32 s1, s1, 0
	s_mov_b32 s7, exec_lo
	v_cmpx_gt_u32_e32 34, v0
	s_cbranch_execz .LBB33_150
; %bb.1:
	s_clause 0x2
	s_load_dword s7, s[4:5], 0x38
	s_load_dwordx4 s[16:19], s[4:5], 0x10
	s_load_dwordx4 s[8:11], s[4:5], 0x28
                                        ; implicit-def: $sgpr20_sgpr21
	s_waitcnt lgkmcnt(0)
	s_bitcmp1_b32 s7, 8
	s_cselect_b32 s22, -1, 0
	s_bfe_u32 s12, s7, 0x10008
	s_ashr_i32 s7, s6, 31
	s_cmp_eq_u32 s12, 0
	s_cbranch_scc1 .LBB33_3
; %bb.2:
	s_load_dword s12, s[4:5], 0x20
	s_mul_i32 s13, s8, s7
	s_mul_hi_u32 s14, s8, s6
	s_mul_i32 s9, s9, s6
	s_add_i32 s13, s14, s13
	s_mul_i32 s8, s8, s6
	s_add_i32 s9, s13, s9
	s_lshl_b64 s[8:9], s[8:9], 2
	s_waitcnt lgkmcnt(0)
	s_ashr_i32 s13, s12, 31
	s_add_u32 s14, s18, s8
	s_addc_u32 s15, s19, s9
	s_lshl_b64 s[8:9], s[12:13], 2
	s_add_u32 s20, s14, s8
	s_addc_u32 s21, s15, s9
.LBB33_3:
	s_clause 0x1
	s_load_dwordx4 s[12:15], s[4:5], 0x0
	s_load_dword s8, s[4:5], 0x38
	s_mul_i32 s4, s16, s7
	s_mul_hi_u32 s5, s16, s6
	s_mul_i32 s9, s17, s6
	s_add_i32 s5, s5, s4
	s_mul_i32 s4, s16, s6
	s_add_i32 s5, s5, s9
	v_lshlrev_b32_e32 v71, 3, v0
	s_lshl_b64 s[4:5], s[4:5], 3
	s_waitcnt lgkmcnt(0)
	v_add3_u32 v1, s15, s15, v0
	s_ashr_i32 s17, s14, 31
	s_mov_b32 s16, s14
	s_add_u32 s9, s12, s4
	s_addc_u32 s12, s13, s5
	v_add_nc_u32_e32 v3, s15, v1
	v_ashrrev_i32_e32 v2, 31, v1
	s_lshl_b64 s[4:5], s[16:17], 3
	s_add_u32 s4, s9, s4
	v_add_nc_u32_e32 v5, s15, v3
	v_ashrrev_i32_e32 v4, 31, v3
	v_lshlrev_b64 v[1:2], 3, v[1:2]
	s_addc_u32 s5, s12, s5
	v_add_co_u32 v57, s9, s4, v71
	v_add_nc_u32_e32 v7, s15, v5
	v_ashrrev_i32_e32 v6, 31, v5
	v_lshlrev_b64 v[3:4], 3, v[3:4]
	v_add_co_u32 v1, vcc_lo, s4, v1
	v_add_nc_u32_e32 v9, s15, v7
	v_ashrrev_i32_e32 v8, 31, v7
	v_lshlrev_b64 v[5:6], 3, v[5:6]
	v_add_co_ci_u32_e64 v2, null, s5, v2, vcc_lo
	v_add_nc_u32_e32 v11, s15, v9
	v_ashrrev_i32_e32 v10, 31, v9
	v_lshlrev_b64 v[7:8], 3, v[7:8]
	v_add_co_u32 v3, vcc_lo, s4, v3
	v_add_nc_u32_e32 v13, s15, v11
	v_ashrrev_i32_e32 v12, 31, v11
	v_lshlrev_b64 v[9:10], 3, v[9:10]
	v_add_co_ci_u32_e64 v4, null, s5, v4, vcc_lo
	v_add_nc_u32_e32 v15, s15, v13
	v_ashrrev_i32_e32 v14, 31, v13
	v_add_co_u32 v5, vcc_lo, s4, v5
	v_lshlrev_b64 v[11:12], 3, v[11:12]
	v_add_nc_u32_e32 v17, s15, v15
	v_ashrrev_i32_e32 v16, 31, v15
	v_add_co_ci_u32_e64 v6, null, s5, v6, vcc_lo
	v_add_co_u32 v7, vcc_lo, s4, v7
	v_add_nc_u32_e32 v19, s15, v17
	v_ashrrev_i32_e32 v18, 31, v17
	v_lshlrev_b64 v[13:14], 3, v[13:14]
	v_add_co_ci_u32_e64 v8, null, s5, v8, vcc_lo
	v_add_nc_u32_e32 v21, s15, v19
	v_ashrrev_i32_e32 v20, 31, v19
	v_add_co_u32 v9, vcc_lo, s4, v9
	v_lshlrev_b64 v[15:16], 3, v[15:16]
	v_add_nc_u32_e32 v23, s15, v21
	v_ashrrev_i32_e32 v22, 31, v21
	v_add_co_ci_u32_e64 v10, null, s5, v10, vcc_lo
	v_add_co_u32 v11, vcc_lo, s4, v11
	v_add_nc_u32_e32 v25, s15, v23
	v_lshlrev_b64 v[17:18], 3, v[17:18]
	v_ashrrev_i32_e32 v24, 31, v23
	v_add_co_ci_u32_e64 v12, null, s5, v12, vcc_lo
	v_add_nc_u32_e32 v27, s15, v25
	v_add_co_u32 v13, vcc_lo, s4, v13
	v_lshlrev_b64 v[19:20], 3, v[19:20]
	v_ashrrev_i32_e32 v26, 31, v25
	v_add_nc_u32_e32 v29, s15, v27
	v_add_co_ci_u32_e64 v14, null, s5, v14, vcc_lo
	v_add_co_u32 v15, vcc_lo, s4, v15
	v_add_nc_u32_e32 v31, s15, v29
	v_lshlrev_b64 v[21:22], 3, v[21:22]
	v_ashrrev_i32_e32 v28, 31, v27
	v_add_co_ci_u32_e64 v16, null, s5, v16, vcc_lo
	v_add_nc_u32_e32 v33, s15, v31
	v_add_co_u32 v17, vcc_lo, s4, v17
	v_lshlrev_b64 v[23:24], 3, v[23:24]
	v_ashrrev_i32_e32 v30, 31, v29
	v_add_nc_u32_e32 v35, s15, v33
	;; [unrolled: 11-line block ×5, first 2 shown]
	v_add_co_ci_u32_e64 v30, null, s5, v30, vcc_lo
	v_add_co_u32 v31, vcc_lo, s4, v31
	v_lshlrev_b64 v[37:38], 3, v[37:38]
	v_ashrrev_i32_e32 v44, 31, v43
	v_add_co_ci_u32_e64 v32, null, s5, v32, vcc_lo
	v_add_co_u32 v33, vcc_lo, s4, v33
	v_lshlrev_b64 v[39:40], 3, v[39:40]
	v_ashrrev_i32_e32 v46, 31, v45
	v_add_co_ci_u32_e64 v34, null, s5, v34, vcc_lo
	v_add_co_u32 v35, vcc_lo, s4, v35
	v_lshlrev_b64 v[41:42], 3, v[41:42]
	v_add_nc_u32_e32 v61, s15, v53
	v_ashrrev_i32_e32 v48, 31, v47
	v_add_co_ci_u32_e64 v36, null, s5, v36, vcc_lo
	v_add_co_u32 v37, vcc_lo, s4, v37
	v_lshlrev_b64 v[43:44], 3, v[43:44]
	v_ashrrev_i32_e32 v50, 31, v49
	v_add_co_ci_u32_e64 v38, null, s5, v38, vcc_lo
	v_add_co_u32 v39, vcc_lo, s4, v39
	v_lshlrev_b64 v[45:46], 3, v[45:46]
	v_ashrrev_i32_e32 v52, 31, v51
	v_add_nc_u32_e32 v63, s15, v61
	v_add_co_ci_u32_e64 v40, null, s5, v40, vcc_lo
	v_add_co_u32 v41, vcc_lo, s4, v41
	v_lshlrev_b64 v[47:48], 3, v[47:48]
	v_add_co_ci_u32_e64 v42, null, s5, v42, vcc_lo
	v_add_co_u32 v43, vcc_lo, s4, v43
	v_lshlrev_b64 v[49:50], 3, v[49:50]
	v_ashrrev_i32_e32 v54, 31, v53
	v_add_co_ci_u32_e64 v44, null, s5, v44, vcc_lo
	v_add_co_u32 v45, vcc_lo, s4, v45
	v_lshlrev_b64 v[51:52], 3, v[51:52]
	v_add_nc_u32_e32 v65, s15, v63
	v_add_co_ci_u32_e64 v46, null, s5, v46, vcc_lo
	v_add_co_u32 v47, vcc_lo, s4, v47
	v_add_co_ci_u32_e64 v48, null, s5, v48, vcc_lo
	v_add_co_u32 v49, vcc_lo, s4, v49
	v_lshlrev_b64 v[54:55], 3, v[53:54]
	s_mov_b32 s12, s15
	s_ashr_i32 s13, s15, 31
	v_add_co_ci_u32_e64 v58, null, s5, 0, s9
	v_add_nc_u32_e32 v67, s15, v65
	v_add_co_ci_u32_e64 v50, null, s5, v50, vcc_lo
	v_add_co_u32 v51, vcc_lo, s4, v51
	s_lshl_b64 s[12:13], s[12:13], 3
	v_ashrrev_i32_e32 v62, 31, v61
	v_add_co_ci_u32_e64 v52, null, s5, v52, vcc_lo
	v_add_co_u32 v59, vcc_lo, v57, s12
	v_ashrrev_i32_e32 v64, 31, v63
	v_add_co_ci_u32_e64 v60, null, s13, v58, vcc_lo
	v_add_co_u32 v53, vcc_lo, s4, v54
	v_add_nc_u32_e32 v102, s15, v67
	v_ashrrev_i32_e32 v66, 31, v65
	v_add_co_ci_u32_e64 v54, null, s5, v55, vcc_lo
	v_lshlrev_b64 v[55:56], 3, v[61:62]
	v_ashrrev_i32_e32 v68, 31, v67
	v_lshlrev_b64 v[61:62], 3, v[63:64]
	v_ashrrev_i32_e32 v103, 31, v102
	v_lshlrev_b64 v[63:64], 3, v[65:66]
	s_clause 0x1
	global_load_dwordx2 v[69:70], v71, s[4:5]
	global_load_dwordx2 v[72:73], v[59:60], off
	v_add_co_u32 v55, vcc_lo, s4, v55
	v_lshlrev_b64 v[65:66], 3, v[67:68]
	v_add_co_ci_u32_e64 v56, null, s5, v56, vcc_lo
	v_add_co_u32 v61, vcc_lo, s4, v61
	v_lshlrev_b64 v[67:68], 3, v[102:103]
	v_add_co_ci_u32_e64 v62, null, s5, v62, vcc_lo
	v_add_co_u32 v63, vcc_lo, s4, v63
	v_add_co_ci_u32_e64 v64, null, s5, v64, vcc_lo
	v_add_co_u32 v65, vcc_lo, s4, v65
	;; [unrolled: 2-line block ×3, first 2 shown]
	v_add_co_ci_u32_e64 v68, null, s5, v68, vcc_lo
	s_clause 0x1f
	global_load_dwordx2 v[74:75], v[1:2], off
	global_load_dwordx2 v[76:77], v[3:4], off
	;; [unrolled: 1-line block ×32, first 2 shown]
	s_mov_b32 s5, -1
	s_bitcmp0_b32 s8, 0
	s_waitcnt vmcnt(33)
	buffer_store_dword v70, off, s[0:3], 0 offset:4
	buffer_store_dword v69, off, s[0:3], 0
	s_waitcnt vmcnt(32)
	buffer_store_dword v73, off, s[0:3], 0 offset:12
	buffer_store_dword v72, off, s[0:3], 0 offset:8
	s_waitcnt vmcnt(31)
	buffer_store_dword v75, off, s[0:3], 0 offset:20
	buffer_store_dword v74, off, s[0:3], 0 offset:16
	;; [unrolled: 3-line block ×33, first 2 shown]
	s_cbranch_scc1 .LBB33_148
; %bb.4:
	v_cmp_eq_u32_e64 s4, 0, v0
	s_and_saveexec_b32 s5, s4
; %bb.5:
	v_mov_b32_e32 v69, 0
	ds_write_b32 v69, v69 offset:544
; %bb.6:
	s_or_b32 exec_lo, exec_lo, s5
	v_lshl_add_u32 v73, v0, 3, 0
	s_waitcnt lgkmcnt(0)
	s_waitcnt_vscnt null, 0x0
	s_barrier
	buffer_gl0_inv
	s_clause 0x1
	buffer_load_dword v69, v73, s[0:3], 0 offen
	buffer_load_dword v70, v73, s[0:3], 0 offen offset:4
	s_waitcnt vmcnt(1)
	v_cmp_eq_f32_e32 vcc_lo, 0, v69
	s_waitcnt vmcnt(0)
	v_cmp_eq_f32_e64 s5, 0, v70
	s_and_b32 s5, vcc_lo, s5
	s_and_saveexec_b32 s8, s5
	s_cbranch_execz .LBB33_10
; %bb.7:
	v_mov_b32_e32 v69, 0
	s_mov_b32 s9, 0
	ds_read_b32 v70, v69 offset:544
	s_waitcnt lgkmcnt(0)
	v_readfirstlane_b32 s5, v70
	v_add_nc_u32_e32 v70, 1, v0
	s_cmp_eq_u32 s5, 0
	v_cmp_gt_i32_e32 vcc_lo, s5, v70
	s_cselect_b32 s12, -1, 0
	s_or_b32 s12, s12, vcc_lo
	s_and_b32 exec_lo, exec_lo, s12
	s_cbranch_execz .LBB33_10
; %bb.8:
	v_mov_b32_e32 v72, s5
.LBB33_9:                               ; =>This Inner Loop Header: Depth=1
	ds_cmpst_rtn_b32 v72, v69, v72, v70 offset:544
	s_waitcnt lgkmcnt(0)
	v_cmp_ne_u32_e32 vcc_lo, 0, v72
	v_cmp_le_i32_e64 s5, v72, v70
	s_and_b32 s5, vcc_lo, s5
	s_and_b32 s5, exec_lo, s5
	s_or_b32 s9, s5, s9
	s_andn2_b32 exec_lo, exec_lo, s9
	s_cbranch_execnz .LBB33_9
.LBB33_10:
	s_or_b32 exec_lo, exec_lo, s8
	v_mov_b32_e32 v69, 0
	s_barrier
	buffer_gl0_inv
	ds_read_b32 v70, v69 offset:544
	s_and_saveexec_b32 s5, s4
	s_cbranch_execz .LBB33_12
; %bb.11:
	s_lshl_b64 s[8:9], s[6:7], 2
	s_add_u32 s8, s10, s8
	s_addc_u32 s9, s11, s9
	s_waitcnt lgkmcnt(0)
	global_store_dword v69, v70, s[8:9]
.LBB33_12:
	s_or_b32 exec_lo, exec_lo, s5
	s_waitcnt lgkmcnt(0)
	v_cmp_ne_u32_e32 vcc_lo, 0, v70
	s_mov_b32 s5, 0
	s_cbranch_vccnz .LBB33_148
; %bb.13:
	s_clause 0x1
	buffer_load_dword v70, v73, s[0:3], 0 offen
	buffer_load_dword v72, v73, s[0:3], 0 offen offset:4
                                        ; implicit-def: $vgpr75
                                        ; implicit-def: $vgpr74
                                        ; implicit-def: $vgpr69
	s_waitcnt vmcnt(0)
	v_cmp_ngt_f32_e64 s5, |v70|, |v72|
	s_and_saveexec_b32 s8, s5
	s_xor_b32 s5, exec_lo, s8
	s_cbranch_execz .LBB33_15
; %bb.14:
	v_div_scale_f32 v69, null, v72, v72, v70
	v_div_scale_f32 v76, vcc_lo, v70, v72, v70
	v_rcp_f32_e32 v74, v69
	v_fma_f32 v75, -v69, v74, 1.0
	v_fmac_f32_e32 v74, v75, v74
	v_mul_f32_e32 v75, v76, v74
	v_fma_f32 v77, -v69, v75, v76
	v_fmac_f32_e32 v75, v77, v74
	v_fma_f32 v69, -v69, v75, v76
	v_div_fmas_f32 v69, v69, v74, v75
	v_div_fixup_f32 v69, v69, v72, v70
	v_fmac_f32_e32 v72, v70, v69
	v_div_scale_f32 v70, null, v72, v72, 1.0
	v_rcp_f32_e32 v74, v70
	v_fma_f32 v75, -v70, v74, 1.0
	v_fmac_f32_e32 v74, v75, v74
	v_div_scale_f32 v75, vcc_lo, 1.0, v72, 1.0
	v_mul_f32_e32 v76, v75, v74
	v_fma_f32 v77, -v70, v76, v75
	v_fmac_f32_e32 v76, v77, v74
	v_fma_f32 v70, -v70, v76, v75
	v_div_fmas_f32 v70, v70, v74, v76
	v_div_fixup_f32 v70, v70, v72, 1.0
                                        ; implicit-def: $vgpr72
	v_mul_f32_e32 v75, v69, v70
	v_xor_b32_e32 v74, 0x80000000, v70
                                        ; implicit-def: $vgpr70
	v_xor_b32_e32 v69, 0x80000000, v75
.LBB33_15:
	s_andn2_saveexec_b32 s5, s5
	s_cbranch_execz .LBB33_17
; %bb.16:
	v_div_scale_f32 v69, null, v70, v70, v72
	v_div_scale_f32 v76, vcc_lo, v72, v70, v72
	v_rcp_f32_e32 v74, v69
	v_fma_f32 v75, -v69, v74, 1.0
	v_fmac_f32_e32 v74, v75, v74
	v_mul_f32_e32 v75, v76, v74
	v_fma_f32 v77, -v69, v75, v76
	v_fmac_f32_e32 v75, v77, v74
	v_fma_f32 v69, -v69, v75, v76
	v_div_fmas_f32 v69, v69, v74, v75
	v_div_fixup_f32 v74, v69, v70, v72
	v_fmac_f32_e32 v70, v72, v74
	v_div_scale_f32 v69, null, v70, v70, 1.0
	v_div_scale_f32 v76, vcc_lo, 1.0, v70, 1.0
	v_rcp_f32_e32 v72, v69
	v_fma_f32 v75, -v69, v72, 1.0
	v_fmac_f32_e32 v72, v75, v72
	v_mul_f32_e32 v75, v76, v72
	v_fma_f32 v77, -v69, v75, v76
	v_fmac_f32_e32 v75, v77, v72
	v_fma_f32 v69, -v69, v75, v76
	v_div_fmas_f32 v69, v69, v72, v75
	v_div_fixup_f32 v75, v69, v70, 1.0
	v_xor_b32_e32 v69, 0x80000000, v75
	v_mul_f32_e64 v74, v74, -v75
.LBB33_17:
	s_or_b32 exec_lo, exec_lo, s5
	buffer_store_dword v75, v73, s[0:3], 0 offen
	buffer_store_dword v74, v73, s[0:3], 0 offen offset:4
	s_clause 0x1
	buffer_load_dword v76, off, s[0:3], 0 offset:12
	buffer_load_dword v75, off, s[0:3], 0 offset:8
	v_xor_b32_e32 v70, 0x80000000, v74
	v_add_nc_u32_e32 v72, 0x110, v71
	s_waitcnt vmcnt(0)
	ds_write2_b64 v71, v[69:70], v[75:76] offset1:34
	s_waitcnt lgkmcnt(0)
	s_waitcnt_vscnt null, 0x0
	s_barrier
	buffer_gl0_inv
	s_and_saveexec_b32 s5, s4
	s_cbranch_execz .LBB33_19
; %bb.18:
	s_clause 0x1
	buffer_load_dword v76, v73, s[0:3], 0 offen offset:4
	buffer_load_dword v77, v73, s[0:3], 0 offen
	ds_read_b64 v[69:70], v72
	v_mov_b32_e32 v74, 0
	ds_read_b64 v[74:75], v74 offset:8
	s_waitcnt vmcnt(1) lgkmcnt(1)
	v_mul_f32_e32 v78, v69, v76
	v_mul_f32_e32 v76, v70, v76
	s_waitcnt vmcnt(0)
	v_fmac_f32_e32 v78, v70, v77
	v_fma_f32 v69, v69, v77, -v76
	v_add_f32_e32 v70, 0, v78
	v_add_f32_e32 v69, 0, v69
	s_waitcnt lgkmcnt(0)
	v_mul_f32_e32 v76, v70, v75
	v_mul_f32_e32 v75, v69, v75
	v_fma_f32 v69, v69, v74, -v76
	v_fmac_f32_e32 v75, v70, v74
	buffer_store_dword v69, off, s[0:3], 0 offset:8
	buffer_store_dword v75, off, s[0:3], 0 offset:12
.LBB33_19:
	s_or_b32 exec_lo, exec_lo, s5
	s_waitcnt_vscnt null, 0x0
	s_barrier
	buffer_gl0_inv
	s_clause 0x1
	buffer_load_dword v69, off, s[0:3], 0 offset:16
	buffer_load_dword v70, off, s[0:3], 0 offset:20
	s_mov_b32 s5, exec_lo
	s_waitcnt vmcnt(0)
	ds_write_b64 v72, v[69:70]
	s_waitcnt lgkmcnt(0)
	s_barrier
	buffer_gl0_inv
	v_cmpx_gt_u32_e32 2, v0
	s_cbranch_execz .LBB33_23
; %bb.20:
	s_clause 0x1
	buffer_load_dword v74, v73, s[0:3], 0 offen offset:4
	buffer_load_dword v73, v73, s[0:3], 0 offen
	ds_read_b64 v[69:70], v72
	s_waitcnt vmcnt(1) lgkmcnt(0)
	v_mul_f32_e32 v75, v70, v74
	v_mul_f32_e32 v74, v69, v74
	s_waitcnt vmcnt(0)
	v_fma_f32 v69, v69, v73, -v75
	v_fmac_f32_e32 v74, v70, v73
	v_add_f32_e32 v70, 0, v69
	v_add_f32_e32 v69, 0, v74
	s_and_saveexec_b32 s8, s4
	s_cbranch_execz .LBB33_22
; %bb.21:
	s_clause 0x1
	buffer_load_dword v75, off, s[0:3], 0 offset:12
	buffer_load_dword v76, off, s[0:3], 0 offset:8
	v_mov_b32_e32 v73, 0
	ds_read_b64 v[73:74], v73 offset:280
	s_waitcnt vmcnt(1) lgkmcnt(0)
	v_mul_f32_e32 v77, v73, v75
	v_mul_f32_e32 v75, v74, v75
	s_waitcnt vmcnt(0)
	v_fmac_f32_e32 v77, v74, v76
	v_fma_f32 v73, v73, v76, -v75
	v_add_f32_e32 v69, v69, v77
	v_add_f32_e32 v70, v70, v73
.LBB33_22:
	s_or_b32 exec_lo, exec_lo, s8
	v_mov_b32_e32 v73, 0
	ds_read_b64 v[73:74], v73 offset:16
	s_waitcnt lgkmcnt(0)
	v_mul_f32_e32 v75, v69, v74
	v_mul_f32_e32 v74, v70, v74
	v_fma_f32 v70, v70, v73, -v75
	v_fmac_f32_e32 v74, v69, v73
	buffer_store_dword v70, off, s[0:3], 0 offset:16
	buffer_store_dword v74, off, s[0:3], 0 offset:20
.LBB33_23:
	s_or_b32 exec_lo, exec_lo, s5
	s_waitcnt_vscnt null, 0x0
	s_barrier
	buffer_gl0_inv
	s_clause 0x1
	buffer_load_dword v73, off, s[0:3], 0 offset:24
	buffer_load_dword v74, off, s[0:3], 0 offset:28
	v_add_nc_u32_e32 v69, -1, v0
	s_mov_b32 s4, exec_lo
	s_waitcnt vmcnt(0)
	ds_write_b64 v72, v[73:74]
	s_waitcnt lgkmcnt(0)
	s_barrier
	buffer_gl0_inv
	v_cmpx_gt_u32_e32 3, v0
	s_cbranch_execz .LBB33_27
; %bb.24:
	v_add_nc_u32_e32 v73, -1, v0
	v_add_nc_u32_e32 v74, 0x110, v71
	v_mov_b32_e32 v75, v71
	v_mov_b32_e32 v70, 0
	;; [unrolled: 1-line block ×3, first 2 shown]
	s_mov_b32 s5, 0
	.p2align	6
.LBB33_25:                              ; =>This Inner Loop Header: Depth=1
	s_clause 0x1
	buffer_load_dword v79, v75, s[0:3], 0 offen offset:4
	buffer_load_dword v80, v75, s[0:3], 0 offen
	ds_read_b64 v[77:78], v74
	v_add_nc_u32_e32 v73, 1, v73
	v_add_nc_u32_e32 v74, 8, v74
	;; [unrolled: 1-line block ×3, first 2 shown]
	v_cmp_lt_u32_e32 vcc_lo, 1, v73
	s_or_b32 s5, vcc_lo, s5
	s_waitcnt vmcnt(1) lgkmcnt(0)
	v_mul_f32_e32 v81, v78, v79
	v_mul_f32_e32 v79, v77, v79
	s_waitcnt vmcnt(0)
	v_fma_f32 v77, v77, v80, -v81
	v_fmac_f32_e32 v79, v78, v80
	v_add_f32_e32 v76, v76, v77
	v_add_f32_e32 v70, v70, v79
	s_andn2_b32 exec_lo, exec_lo, s5
	s_cbranch_execnz .LBB33_25
; %bb.26:
	s_or_b32 exec_lo, exec_lo, s5
	v_mov_b32_e32 v73, 0
	ds_read_b64 v[73:74], v73 offset:24
	s_waitcnt lgkmcnt(0)
	v_mul_f32_e32 v75, v70, v74
	v_mul_f32_e32 v74, v76, v74
	v_fma_f32 v75, v76, v73, -v75
	v_fmac_f32_e32 v74, v70, v73
	buffer_store_dword v75, off, s[0:3], 0 offset:24
	buffer_store_dword v74, off, s[0:3], 0 offset:28
.LBB33_27:
	s_or_b32 exec_lo, exec_lo, s4
	s_waitcnt_vscnt null, 0x0
	s_barrier
	buffer_gl0_inv
	s_clause 0x1
	buffer_load_dword v73, off, s[0:3], 0 offset:32
	buffer_load_dword v74, off, s[0:3], 0 offset:36
	s_mov_b32 s4, exec_lo
	s_waitcnt vmcnt(0)
	ds_write_b64 v72, v[73:74]
	s_waitcnt lgkmcnt(0)
	s_barrier
	buffer_gl0_inv
	v_cmpx_gt_u32_e32 4, v0
	s_cbranch_execz .LBB33_31
; %bb.28:
	v_add_nc_u32_e32 v73, -1, v0
	v_add_nc_u32_e32 v74, 0x110, v71
	v_mov_b32_e32 v75, v71
	v_mov_b32_e32 v70, 0
	;; [unrolled: 1-line block ×3, first 2 shown]
	s_mov_b32 s5, 0
	.p2align	6
.LBB33_29:                              ; =>This Inner Loop Header: Depth=1
	s_clause 0x1
	buffer_load_dword v79, v75, s[0:3], 0 offen offset:4
	buffer_load_dword v80, v75, s[0:3], 0 offen
	ds_read_b64 v[77:78], v74
	v_add_nc_u32_e32 v73, 1, v73
	v_add_nc_u32_e32 v74, 8, v74
	;; [unrolled: 1-line block ×3, first 2 shown]
	v_cmp_lt_u32_e32 vcc_lo, 2, v73
	s_or_b32 s5, vcc_lo, s5
	s_waitcnt vmcnt(1) lgkmcnt(0)
	v_mul_f32_e32 v81, v78, v79
	v_mul_f32_e32 v79, v77, v79
	s_waitcnt vmcnt(0)
	v_fma_f32 v77, v77, v80, -v81
	v_fmac_f32_e32 v79, v78, v80
	v_add_f32_e32 v76, v76, v77
	v_add_f32_e32 v70, v70, v79
	s_andn2_b32 exec_lo, exec_lo, s5
	s_cbranch_execnz .LBB33_29
; %bb.30:
	s_or_b32 exec_lo, exec_lo, s5
	v_mov_b32_e32 v73, 0
	ds_read_b64 v[73:74], v73 offset:32
	s_waitcnt lgkmcnt(0)
	v_mul_f32_e32 v75, v70, v74
	v_mul_f32_e32 v74, v76, v74
	v_fma_f32 v75, v76, v73, -v75
	v_fmac_f32_e32 v74, v70, v73
	buffer_store_dword v75, off, s[0:3], 0 offset:32
	buffer_store_dword v74, off, s[0:3], 0 offset:36
.LBB33_31:
	s_or_b32 exec_lo, exec_lo, s4
	s_waitcnt_vscnt null, 0x0
	s_barrier
	buffer_gl0_inv
	s_clause 0x1
	buffer_load_dword v73, off, s[0:3], 0 offset:40
	buffer_load_dword v74, off, s[0:3], 0 offset:44
	s_mov_b32 s4, exec_lo
	s_waitcnt vmcnt(0)
	ds_write_b64 v72, v[73:74]
	s_waitcnt lgkmcnt(0)
	s_barrier
	buffer_gl0_inv
	v_cmpx_gt_u32_e32 5, v0
	s_cbranch_execz .LBB33_35
; %bb.32:
	v_add_nc_u32_e32 v73, -1, v0
	v_add_nc_u32_e32 v74, 0x110, v71
	v_mov_b32_e32 v75, v71
	v_mov_b32_e32 v70, 0
	;; [unrolled: 1-line block ×3, first 2 shown]
	s_mov_b32 s5, 0
	.p2align	6
.LBB33_33:                              ; =>This Inner Loop Header: Depth=1
	s_clause 0x1
	buffer_load_dword v79, v75, s[0:3], 0 offen offset:4
	buffer_load_dword v80, v75, s[0:3], 0 offen
	ds_read_b64 v[77:78], v74
	v_add_nc_u32_e32 v73, 1, v73
	v_add_nc_u32_e32 v74, 8, v74
	;; [unrolled: 1-line block ×3, first 2 shown]
	v_cmp_lt_u32_e32 vcc_lo, 3, v73
	s_or_b32 s5, vcc_lo, s5
	s_waitcnt vmcnt(1) lgkmcnt(0)
	v_mul_f32_e32 v81, v78, v79
	v_mul_f32_e32 v79, v77, v79
	s_waitcnt vmcnt(0)
	v_fma_f32 v77, v77, v80, -v81
	v_fmac_f32_e32 v79, v78, v80
	v_add_f32_e32 v76, v76, v77
	v_add_f32_e32 v70, v70, v79
	s_andn2_b32 exec_lo, exec_lo, s5
	s_cbranch_execnz .LBB33_33
; %bb.34:
	s_or_b32 exec_lo, exec_lo, s5
	v_mov_b32_e32 v73, 0
	ds_read_b64 v[73:74], v73 offset:40
	s_waitcnt lgkmcnt(0)
	v_mul_f32_e32 v75, v70, v74
	v_mul_f32_e32 v74, v76, v74
	v_fma_f32 v75, v76, v73, -v75
	v_fmac_f32_e32 v74, v70, v73
	buffer_store_dword v75, off, s[0:3], 0 offset:40
	buffer_store_dword v74, off, s[0:3], 0 offset:44
.LBB33_35:
	s_or_b32 exec_lo, exec_lo, s4
	s_waitcnt_vscnt null, 0x0
	s_barrier
	buffer_gl0_inv
	s_clause 0x1
	buffer_load_dword v73, off, s[0:3], 0 offset:48
	buffer_load_dword v74, off, s[0:3], 0 offset:52
	s_mov_b32 s4, exec_lo
	s_waitcnt vmcnt(0)
	ds_write_b64 v72, v[73:74]
	s_waitcnt lgkmcnt(0)
	s_barrier
	buffer_gl0_inv
	v_cmpx_gt_u32_e32 6, v0
	s_cbranch_execz .LBB33_39
; %bb.36:
	v_add_nc_u32_e32 v73, -1, v0
	v_add_nc_u32_e32 v74, 0x110, v71
	v_mov_b32_e32 v75, v71
	v_mov_b32_e32 v70, 0
	;; [unrolled: 1-line block ×3, first 2 shown]
	s_mov_b32 s5, 0
	.p2align	6
.LBB33_37:                              ; =>This Inner Loop Header: Depth=1
	s_clause 0x1
	buffer_load_dword v79, v75, s[0:3], 0 offen offset:4
	buffer_load_dword v80, v75, s[0:3], 0 offen
	ds_read_b64 v[77:78], v74
	v_add_nc_u32_e32 v73, 1, v73
	v_add_nc_u32_e32 v74, 8, v74
	v_add_nc_u32_e32 v75, 8, v75
	v_cmp_lt_u32_e32 vcc_lo, 4, v73
	s_or_b32 s5, vcc_lo, s5
	s_waitcnt vmcnt(1) lgkmcnt(0)
	v_mul_f32_e32 v81, v78, v79
	v_mul_f32_e32 v79, v77, v79
	s_waitcnt vmcnt(0)
	v_fma_f32 v77, v77, v80, -v81
	v_fmac_f32_e32 v79, v78, v80
	v_add_f32_e32 v76, v76, v77
	v_add_f32_e32 v70, v70, v79
	s_andn2_b32 exec_lo, exec_lo, s5
	s_cbranch_execnz .LBB33_37
; %bb.38:
	s_or_b32 exec_lo, exec_lo, s5
	v_mov_b32_e32 v73, 0
	ds_read_b64 v[73:74], v73 offset:48
	s_waitcnt lgkmcnt(0)
	v_mul_f32_e32 v75, v70, v74
	v_mul_f32_e32 v74, v76, v74
	v_fma_f32 v75, v76, v73, -v75
	v_fmac_f32_e32 v74, v70, v73
	buffer_store_dword v75, off, s[0:3], 0 offset:48
	buffer_store_dword v74, off, s[0:3], 0 offset:52
.LBB33_39:
	s_or_b32 exec_lo, exec_lo, s4
	s_waitcnt_vscnt null, 0x0
	s_barrier
	buffer_gl0_inv
	s_clause 0x1
	buffer_load_dword v73, off, s[0:3], 0 offset:56
	buffer_load_dword v74, off, s[0:3], 0 offset:60
	s_mov_b32 s4, exec_lo
	s_waitcnt vmcnt(0)
	ds_write_b64 v72, v[73:74]
	s_waitcnt lgkmcnt(0)
	s_barrier
	buffer_gl0_inv
	v_cmpx_gt_u32_e32 7, v0
	s_cbranch_execz .LBB33_43
; %bb.40:
	v_add_nc_u32_e32 v73, -1, v0
	v_add_nc_u32_e32 v74, 0x110, v71
	v_mov_b32_e32 v75, v71
	v_mov_b32_e32 v70, 0
	;; [unrolled: 1-line block ×3, first 2 shown]
	s_mov_b32 s5, 0
	.p2align	6
.LBB33_41:                              ; =>This Inner Loop Header: Depth=1
	s_clause 0x1
	buffer_load_dword v79, v75, s[0:3], 0 offen offset:4
	buffer_load_dword v80, v75, s[0:3], 0 offen
	ds_read_b64 v[77:78], v74
	v_add_nc_u32_e32 v73, 1, v73
	v_add_nc_u32_e32 v74, 8, v74
	;; [unrolled: 1-line block ×3, first 2 shown]
	v_cmp_lt_u32_e32 vcc_lo, 5, v73
	s_or_b32 s5, vcc_lo, s5
	s_waitcnt vmcnt(1) lgkmcnt(0)
	v_mul_f32_e32 v81, v78, v79
	v_mul_f32_e32 v79, v77, v79
	s_waitcnt vmcnt(0)
	v_fma_f32 v77, v77, v80, -v81
	v_fmac_f32_e32 v79, v78, v80
	v_add_f32_e32 v76, v76, v77
	v_add_f32_e32 v70, v70, v79
	s_andn2_b32 exec_lo, exec_lo, s5
	s_cbranch_execnz .LBB33_41
; %bb.42:
	s_or_b32 exec_lo, exec_lo, s5
	v_mov_b32_e32 v73, 0
	ds_read_b64 v[73:74], v73 offset:56
	s_waitcnt lgkmcnt(0)
	v_mul_f32_e32 v75, v70, v74
	v_mul_f32_e32 v74, v76, v74
	v_fma_f32 v75, v76, v73, -v75
	v_fmac_f32_e32 v74, v70, v73
	buffer_store_dword v75, off, s[0:3], 0 offset:56
	buffer_store_dword v74, off, s[0:3], 0 offset:60
.LBB33_43:
	s_or_b32 exec_lo, exec_lo, s4
	s_waitcnt_vscnt null, 0x0
	s_barrier
	buffer_gl0_inv
	s_clause 0x1
	buffer_load_dword v73, off, s[0:3], 0 offset:64
	buffer_load_dword v74, off, s[0:3], 0 offset:68
	s_mov_b32 s4, exec_lo
	s_waitcnt vmcnt(0)
	ds_write_b64 v72, v[73:74]
	s_waitcnt lgkmcnt(0)
	s_barrier
	buffer_gl0_inv
	v_cmpx_gt_u32_e32 8, v0
	s_cbranch_execz .LBB33_47
; %bb.44:
	v_add_nc_u32_e32 v73, -1, v0
	v_add_nc_u32_e32 v74, 0x110, v71
	v_mov_b32_e32 v75, v71
	v_mov_b32_e32 v70, 0
	;; [unrolled: 1-line block ×3, first 2 shown]
	s_mov_b32 s5, 0
	.p2align	6
.LBB33_45:                              ; =>This Inner Loop Header: Depth=1
	s_clause 0x1
	buffer_load_dword v79, v75, s[0:3], 0 offen offset:4
	buffer_load_dword v80, v75, s[0:3], 0 offen
	ds_read_b64 v[77:78], v74
	v_add_nc_u32_e32 v73, 1, v73
	v_add_nc_u32_e32 v74, 8, v74
	;; [unrolled: 1-line block ×3, first 2 shown]
	v_cmp_lt_u32_e32 vcc_lo, 6, v73
	s_or_b32 s5, vcc_lo, s5
	s_waitcnt vmcnt(1) lgkmcnt(0)
	v_mul_f32_e32 v81, v78, v79
	v_mul_f32_e32 v79, v77, v79
	s_waitcnt vmcnt(0)
	v_fma_f32 v77, v77, v80, -v81
	v_fmac_f32_e32 v79, v78, v80
	v_add_f32_e32 v76, v76, v77
	v_add_f32_e32 v70, v70, v79
	s_andn2_b32 exec_lo, exec_lo, s5
	s_cbranch_execnz .LBB33_45
; %bb.46:
	s_or_b32 exec_lo, exec_lo, s5
	v_mov_b32_e32 v73, 0
	ds_read_b64 v[73:74], v73 offset:64
	s_waitcnt lgkmcnt(0)
	v_mul_f32_e32 v75, v70, v74
	v_mul_f32_e32 v74, v76, v74
	v_fma_f32 v75, v76, v73, -v75
	v_fmac_f32_e32 v74, v70, v73
	buffer_store_dword v75, off, s[0:3], 0 offset:64
	buffer_store_dword v74, off, s[0:3], 0 offset:68
.LBB33_47:
	s_or_b32 exec_lo, exec_lo, s4
	s_waitcnt_vscnt null, 0x0
	s_barrier
	buffer_gl0_inv
	s_clause 0x1
	buffer_load_dword v73, off, s[0:3], 0 offset:72
	buffer_load_dword v74, off, s[0:3], 0 offset:76
	s_mov_b32 s4, exec_lo
	s_waitcnt vmcnt(0)
	ds_write_b64 v72, v[73:74]
	s_waitcnt lgkmcnt(0)
	s_barrier
	buffer_gl0_inv
	v_cmpx_gt_u32_e32 9, v0
	s_cbranch_execz .LBB33_51
; %bb.48:
	v_add_nc_u32_e32 v73, -1, v0
	v_add_nc_u32_e32 v74, 0x110, v71
	v_mov_b32_e32 v75, v71
	v_mov_b32_e32 v70, 0
	;; [unrolled: 1-line block ×3, first 2 shown]
	s_mov_b32 s5, 0
	.p2align	6
.LBB33_49:                              ; =>This Inner Loop Header: Depth=1
	s_clause 0x1
	buffer_load_dword v79, v75, s[0:3], 0 offen offset:4
	buffer_load_dword v80, v75, s[0:3], 0 offen
	ds_read_b64 v[77:78], v74
	v_add_nc_u32_e32 v73, 1, v73
	v_add_nc_u32_e32 v74, 8, v74
	;; [unrolled: 1-line block ×3, first 2 shown]
	v_cmp_lt_u32_e32 vcc_lo, 7, v73
	s_or_b32 s5, vcc_lo, s5
	s_waitcnt vmcnt(1) lgkmcnt(0)
	v_mul_f32_e32 v81, v78, v79
	v_mul_f32_e32 v79, v77, v79
	s_waitcnt vmcnt(0)
	v_fma_f32 v77, v77, v80, -v81
	v_fmac_f32_e32 v79, v78, v80
	v_add_f32_e32 v76, v76, v77
	v_add_f32_e32 v70, v70, v79
	s_andn2_b32 exec_lo, exec_lo, s5
	s_cbranch_execnz .LBB33_49
; %bb.50:
	s_or_b32 exec_lo, exec_lo, s5
	v_mov_b32_e32 v73, 0
	ds_read_b64 v[73:74], v73 offset:72
	s_waitcnt lgkmcnt(0)
	v_mul_f32_e32 v75, v70, v74
	v_mul_f32_e32 v74, v76, v74
	v_fma_f32 v75, v76, v73, -v75
	v_fmac_f32_e32 v74, v70, v73
	buffer_store_dword v75, off, s[0:3], 0 offset:72
	buffer_store_dword v74, off, s[0:3], 0 offset:76
.LBB33_51:
	s_or_b32 exec_lo, exec_lo, s4
	s_waitcnt_vscnt null, 0x0
	s_barrier
	buffer_gl0_inv
	s_clause 0x1
	buffer_load_dword v73, off, s[0:3], 0 offset:80
	buffer_load_dword v74, off, s[0:3], 0 offset:84
	s_mov_b32 s4, exec_lo
	s_waitcnt vmcnt(0)
	ds_write_b64 v72, v[73:74]
	s_waitcnt lgkmcnt(0)
	s_barrier
	buffer_gl0_inv
	v_cmpx_gt_u32_e32 10, v0
	s_cbranch_execz .LBB33_55
; %bb.52:
	v_add_nc_u32_e32 v73, -1, v0
	v_add_nc_u32_e32 v74, 0x110, v71
	v_mov_b32_e32 v75, v71
	v_mov_b32_e32 v70, 0
	;; [unrolled: 1-line block ×3, first 2 shown]
	s_mov_b32 s5, 0
	.p2align	6
.LBB33_53:                              ; =>This Inner Loop Header: Depth=1
	s_clause 0x1
	buffer_load_dword v79, v75, s[0:3], 0 offen offset:4
	buffer_load_dword v80, v75, s[0:3], 0 offen
	ds_read_b64 v[77:78], v74
	v_add_nc_u32_e32 v73, 1, v73
	v_add_nc_u32_e32 v74, 8, v74
	;; [unrolled: 1-line block ×3, first 2 shown]
	v_cmp_lt_u32_e32 vcc_lo, 8, v73
	s_or_b32 s5, vcc_lo, s5
	s_waitcnt vmcnt(1) lgkmcnt(0)
	v_mul_f32_e32 v81, v78, v79
	v_mul_f32_e32 v79, v77, v79
	s_waitcnt vmcnt(0)
	v_fma_f32 v77, v77, v80, -v81
	v_fmac_f32_e32 v79, v78, v80
	v_add_f32_e32 v76, v76, v77
	v_add_f32_e32 v70, v70, v79
	s_andn2_b32 exec_lo, exec_lo, s5
	s_cbranch_execnz .LBB33_53
; %bb.54:
	s_or_b32 exec_lo, exec_lo, s5
	v_mov_b32_e32 v73, 0
	ds_read_b64 v[73:74], v73 offset:80
	s_waitcnt lgkmcnt(0)
	v_mul_f32_e32 v75, v70, v74
	v_mul_f32_e32 v74, v76, v74
	v_fma_f32 v75, v76, v73, -v75
	v_fmac_f32_e32 v74, v70, v73
	buffer_store_dword v75, off, s[0:3], 0 offset:80
	buffer_store_dword v74, off, s[0:3], 0 offset:84
.LBB33_55:
	s_or_b32 exec_lo, exec_lo, s4
	s_waitcnt_vscnt null, 0x0
	s_barrier
	buffer_gl0_inv
	s_clause 0x1
	buffer_load_dword v73, off, s[0:3], 0 offset:88
	buffer_load_dword v74, off, s[0:3], 0 offset:92
	s_mov_b32 s4, exec_lo
	s_waitcnt vmcnt(0)
	ds_write_b64 v72, v[73:74]
	s_waitcnt lgkmcnt(0)
	s_barrier
	buffer_gl0_inv
	v_cmpx_gt_u32_e32 11, v0
	s_cbranch_execz .LBB33_59
; %bb.56:
	v_add_nc_u32_e32 v73, -1, v0
	v_add_nc_u32_e32 v74, 0x110, v71
	v_mov_b32_e32 v75, v71
	v_mov_b32_e32 v70, 0
	;; [unrolled: 1-line block ×3, first 2 shown]
	s_mov_b32 s5, 0
	.p2align	6
.LBB33_57:                              ; =>This Inner Loop Header: Depth=1
	s_clause 0x1
	buffer_load_dword v79, v75, s[0:3], 0 offen offset:4
	buffer_load_dword v80, v75, s[0:3], 0 offen
	ds_read_b64 v[77:78], v74
	v_add_nc_u32_e32 v73, 1, v73
	v_add_nc_u32_e32 v74, 8, v74
	v_add_nc_u32_e32 v75, 8, v75
	v_cmp_lt_u32_e32 vcc_lo, 9, v73
	s_or_b32 s5, vcc_lo, s5
	s_waitcnt vmcnt(1) lgkmcnt(0)
	v_mul_f32_e32 v81, v78, v79
	v_mul_f32_e32 v79, v77, v79
	s_waitcnt vmcnt(0)
	v_fma_f32 v77, v77, v80, -v81
	v_fmac_f32_e32 v79, v78, v80
	v_add_f32_e32 v76, v76, v77
	v_add_f32_e32 v70, v70, v79
	s_andn2_b32 exec_lo, exec_lo, s5
	s_cbranch_execnz .LBB33_57
; %bb.58:
	s_or_b32 exec_lo, exec_lo, s5
	v_mov_b32_e32 v73, 0
	ds_read_b64 v[73:74], v73 offset:88
	s_waitcnt lgkmcnt(0)
	v_mul_f32_e32 v75, v70, v74
	v_mul_f32_e32 v74, v76, v74
	v_fma_f32 v75, v76, v73, -v75
	v_fmac_f32_e32 v74, v70, v73
	buffer_store_dword v75, off, s[0:3], 0 offset:88
	buffer_store_dword v74, off, s[0:3], 0 offset:92
.LBB33_59:
	s_or_b32 exec_lo, exec_lo, s4
	s_waitcnt_vscnt null, 0x0
	s_barrier
	buffer_gl0_inv
	s_clause 0x1
	buffer_load_dword v73, off, s[0:3], 0 offset:96
	buffer_load_dword v74, off, s[0:3], 0 offset:100
	s_mov_b32 s4, exec_lo
	s_waitcnt vmcnt(0)
	ds_write_b64 v72, v[73:74]
	s_waitcnt lgkmcnt(0)
	s_barrier
	buffer_gl0_inv
	v_cmpx_gt_u32_e32 12, v0
	s_cbranch_execz .LBB33_63
; %bb.60:
	v_add_nc_u32_e32 v73, -1, v0
	v_add_nc_u32_e32 v74, 0x110, v71
	v_mov_b32_e32 v75, v71
	v_mov_b32_e32 v70, 0
	;; [unrolled: 1-line block ×3, first 2 shown]
	s_mov_b32 s5, 0
	.p2align	6
.LBB33_61:                              ; =>This Inner Loop Header: Depth=1
	s_clause 0x1
	buffer_load_dword v79, v75, s[0:3], 0 offen offset:4
	buffer_load_dword v80, v75, s[0:3], 0 offen
	ds_read_b64 v[77:78], v74
	v_add_nc_u32_e32 v73, 1, v73
	v_add_nc_u32_e32 v74, 8, v74
	;; [unrolled: 1-line block ×3, first 2 shown]
	v_cmp_lt_u32_e32 vcc_lo, 10, v73
	s_or_b32 s5, vcc_lo, s5
	s_waitcnt vmcnt(1) lgkmcnt(0)
	v_mul_f32_e32 v81, v78, v79
	v_mul_f32_e32 v79, v77, v79
	s_waitcnt vmcnt(0)
	v_fma_f32 v77, v77, v80, -v81
	v_fmac_f32_e32 v79, v78, v80
	v_add_f32_e32 v76, v76, v77
	v_add_f32_e32 v70, v70, v79
	s_andn2_b32 exec_lo, exec_lo, s5
	s_cbranch_execnz .LBB33_61
; %bb.62:
	s_or_b32 exec_lo, exec_lo, s5
	v_mov_b32_e32 v73, 0
	ds_read_b64 v[73:74], v73 offset:96
	s_waitcnt lgkmcnt(0)
	v_mul_f32_e32 v75, v70, v74
	v_mul_f32_e32 v74, v76, v74
	v_fma_f32 v75, v76, v73, -v75
	v_fmac_f32_e32 v74, v70, v73
	buffer_store_dword v75, off, s[0:3], 0 offset:96
	buffer_store_dword v74, off, s[0:3], 0 offset:100
.LBB33_63:
	s_or_b32 exec_lo, exec_lo, s4
	s_waitcnt_vscnt null, 0x0
	s_barrier
	buffer_gl0_inv
	s_clause 0x1
	buffer_load_dword v73, off, s[0:3], 0 offset:104
	buffer_load_dword v74, off, s[0:3], 0 offset:108
	s_mov_b32 s4, exec_lo
	s_waitcnt vmcnt(0)
	ds_write_b64 v72, v[73:74]
	s_waitcnt lgkmcnt(0)
	s_barrier
	buffer_gl0_inv
	v_cmpx_gt_u32_e32 13, v0
	s_cbranch_execz .LBB33_67
; %bb.64:
	v_add_nc_u32_e32 v73, -1, v0
	v_add_nc_u32_e32 v74, 0x110, v71
	v_mov_b32_e32 v75, v71
	v_mov_b32_e32 v70, 0
	;; [unrolled: 1-line block ×3, first 2 shown]
	s_mov_b32 s5, 0
	.p2align	6
.LBB33_65:                              ; =>This Inner Loop Header: Depth=1
	s_clause 0x1
	buffer_load_dword v79, v75, s[0:3], 0 offen offset:4
	buffer_load_dword v80, v75, s[0:3], 0 offen
	ds_read_b64 v[77:78], v74
	v_add_nc_u32_e32 v73, 1, v73
	v_add_nc_u32_e32 v74, 8, v74
	;; [unrolled: 1-line block ×3, first 2 shown]
	v_cmp_lt_u32_e32 vcc_lo, 11, v73
	s_or_b32 s5, vcc_lo, s5
	s_waitcnt vmcnt(1) lgkmcnt(0)
	v_mul_f32_e32 v81, v78, v79
	v_mul_f32_e32 v79, v77, v79
	s_waitcnt vmcnt(0)
	v_fma_f32 v77, v77, v80, -v81
	v_fmac_f32_e32 v79, v78, v80
	v_add_f32_e32 v76, v76, v77
	v_add_f32_e32 v70, v70, v79
	s_andn2_b32 exec_lo, exec_lo, s5
	s_cbranch_execnz .LBB33_65
; %bb.66:
	s_or_b32 exec_lo, exec_lo, s5
	v_mov_b32_e32 v73, 0
	ds_read_b64 v[73:74], v73 offset:104
	s_waitcnt lgkmcnt(0)
	v_mul_f32_e32 v75, v70, v74
	v_mul_f32_e32 v74, v76, v74
	v_fma_f32 v75, v76, v73, -v75
	v_fmac_f32_e32 v74, v70, v73
	buffer_store_dword v75, off, s[0:3], 0 offset:104
	buffer_store_dword v74, off, s[0:3], 0 offset:108
.LBB33_67:
	s_or_b32 exec_lo, exec_lo, s4
	s_waitcnt_vscnt null, 0x0
	s_barrier
	buffer_gl0_inv
	s_clause 0x1
	buffer_load_dword v73, off, s[0:3], 0 offset:112
	buffer_load_dword v74, off, s[0:3], 0 offset:116
	s_mov_b32 s4, exec_lo
	s_waitcnt vmcnt(0)
	ds_write_b64 v72, v[73:74]
	s_waitcnt lgkmcnt(0)
	s_barrier
	buffer_gl0_inv
	v_cmpx_gt_u32_e32 14, v0
	s_cbranch_execz .LBB33_71
; %bb.68:
	v_add_nc_u32_e32 v73, -1, v0
	v_add_nc_u32_e32 v74, 0x110, v71
	v_mov_b32_e32 v75, v71
	v_mov_b32_e32 v70, 0
	;; [unrolled: 1-line block ×3, first 2 shown]
	s_mov_b32 s5, 0
	.p2align	6
.LBB33_69:                              ; =>This Inner Loop Header: Depth=1
	s_clause 0x1
	buffer_load_dword v79, v75, s[0:3], 0 offen offset:4
	buffer_load_dword v80, v75, s[0:3], 0 offen
	ds_read_b64 v[77:78], v74
	v_add_nc_u32_e32 v73, 1, v73
	v_add_nc_u32_e32 v74, 8, v74
	;; [unrolled: 1-line block ×3, first 2 shown]
	v_cmp_lt_u32_e32 vcc_lo, 12, v73
	s_or_b32 s5, vcc_lo, s5
	s_waitcnt vmcnt(1) lgkmcnt(0)
	v_mul_f32_e32 v81, v78, v79
	v_mul_f32_e32 v79, v77, v79
	s_waitcnt vmcnt(0)
	v_fma_f32 v77, v77, v80, -v81
	v_fmac_f32_e32 v79, v78, v80
	v_add_f32_e32 v76, v76, v77
	v_add_f32_e32 v70, v70, v79
	s_andn2_b32 exec_lo, exec_lo, s5
	s_cbranch_execnz .LBB33_69
; %bb.70:
	s_or_b32 exec_lo, exec_lo, s5
	v_mov_b32_e32 v73, 0
	ds_read_b64 v[73:74], v73 offset:112
	s_waitcnt lgkmcnt(0)
	v_mul_f32_e32 v75, v70, v74
	v_mul_f32_e32 v74, v76, v74
	v_fma_f32 v75, v76, v73, -v75
	v_fmac_f32_e32 v74, v70, v73
	buffer_store_dword v75, off, s[0:3], 0 offset:112
	buffer_store_dword v74, off, s[0:3], 0 offset:116
.LBB33_71:
	s_or_b32 exec_lo, exec_lo, s4
	s_waitcnt_vscnt null, 0x0
	s_barrier
	buffer_gl0_inv
	s_clause 0x1
	buffer_load_dword v73, off, s[0:3], 0 offset:120
	buffer_load_dword v74, off, s[0:3], 0 offset:124
	s_mov_b32 s4, exec_lo
	s_waitcnt vmcnt(0)
	ds_write_b64 v72, v[73:74]
	s_waitcnt lgkmcnt(0)
	s_barrier
	buffer_gl0_inv
	v_cmpx_gt_u32_e32 15, v0
	s_cbranch_execz .LBB33_75
; %bb.72:
	v_add_nc_u32_e32 v73, -1, v0
	v_add_nc_u32_e32 v74, 0x110, v71
	v_mov_b32_e32 v75, v71
	v_mov_b32_e32 v70, 0
	;; [unrolled: 1-line block ×3, first 2 shown]
	s_mov_b32 s5, 0
	.p2align	6
.LBB33_73:                              ; =>This Inner Loop Header: Depth=1
	s_clause 0x1
	buffer_load_dword v79, v75, s[0:3], 0 offen offset:4
	buffer_load_dword v80, v75, s[0:3], 0 offen
	ds_read_b64 v[77:78], v74
	v_add_nc_u32_e32 v73, 1, v73
	v_add_nc_u32_e32 v74, 8, v74
	;; [unrolled: 1-line block ×3, first 2 shown]
	v_cmp_lt_u32_e32 vcc_lo, 13, v73
	s_or_b32 s5, vcc_lo, s5
	s_waitcnt vmcnt(1) lgkmcnt(0)
	v_mul_f32_e32 v81, v78, v79
	v_mul_f32_e32 v79, v77, v79
	s_waitcnt vmcnt(0)
	v_fma_f32 v77, v77, v80, -v81
	v_fmac_f32_e32 v79, v78, v80
	v_add_f32_e32 v76, v76, v77
	v_add_f32_e32 v70, v70, v79
	s_andn2_b32 exec_lo, exec_lo, s5
	s_cbranch_execnz .LBB33_73
; %bb.74:
	s_or_b32 exec_lo, exec_lo, s5
	v_mov_b32_e32 v73, 0
	ds_read_b64 v[73:74], v73 offset:120
	s_waitcnt lgkmcnt(0)
	v_mul_f32_e32 v75, v70, v74
	v_mul_f32_e32 v74, v76, v74
	v_fma_f32 v75, v76, v73, -v75
	v_fmac_f32_e32 v74, v70, v73
	buffer_store_dword v75, off, s[0:3], 0 offset:120
	buffer_store_dword v74, off, s[0:3], 0 offset:124
.LBB33_75:
	s_or_b32 exec_lo, exec_lo, s4
	s_waitcnt_vscnt null, 0x0
	s_barrier
	buffer_gl0_inv
	s_clause 0x1
	buffer_load_dword v73, off, s[0:3], 0 offset:128
	buffer_load_dword v74, off, s[0:3], 0 offset:132
	s_mov_b32 s4, exec_lo
	s_waitcnt vmcnt(0)
	ds_write_b64 v72, v[73:74]
	s_waitcnt lgkmcnt(0)
	s_barrier
	buffer_gl0_inv
	v_cmpx_gt_u32_e32 16, v0
	s_cbranch_execz .LBB33_79
; %bb.76:
	v_add_nc_u32_e32 v73, -1, v0
	v_add_nc_u32_e32 v74, 0x110, v71
	v_mov_b32_e32 v75, v71
	v_mov_b32_e32 v70, 0
	;; [unrolled: 1-line block ×3, first 2 shown]
	s_mov_b32 s5, 0
	.p2align	6
.LBB33_77:                              ; =>This Inner Loop Header: Depth=1
	s_clause 0x1
	buffer_load_dword v79, v75, s[0:3], 0 offen offset:4
	buffer_load_dword v80, v75, s[0:3], 0 offen
	ds_read_b64 v[77:78], v74
	v_add_nc_u32_e32 v73, 1, v73
	v_add_nc_u32_e32 v74, 8, v74
	;; [unrolled: 1-line block ×3, first 2 shown]
	v_cmp_lt_u32_e32 vcc_lo, 14, v73
	s_or_b32 s5, vcc_lo, s5
	s_waitcnt vmcnt(1) lgkmcnt(0)
	v_mul_f32_e32 v81, v78, v79
	v_mul_f32_e32 v79, v77, v79
	s_waitcnt vmcnt(0)
	v_fma_f32 v77, v77, v80, -v81
	v_fmac_f32_e32 v79, v78, v80
	v_add_f32_e32 v76, v76, v77
	v_add_f32_e32 v70, v70, v79
	s_andn2_b32 exec_lo, exec_lo, s5
	s_cbranch_execnz .LBB33_77
; %bb.78:
	s_or_b32 exec_lo, exec_lo, s5
	v_mov_b32_e32 v73, 0
	ds_read_b64 v[73:74], v73 offset:128
	s_waitcnt lgkmcnt(0)
	v_mul_f32_e32 v75, v70, v74
	v_mul_f32_e32 v74, v76, v74
	v_fma_f32 v75, v76, v73, -v75
	v_fmac_f32_e32 v74, v70, v73
	buffer_store_dword v75, off, s[0:3], 0 offset:128
	buffer_store_dword v74, off, s[0:3], 0 offset:132
.LBB33_79:
	s_or_b32 exec_lo, exec_lo, s4
	s_waitcnt_vscnt null, 0x0
	s_barrier
	buffer_gl0_inv
	s_clause 0x1
	buffer_load_dword v73, off, s[0:3], 0 offset:136
	buffer_load_dword v74, off, s[0:3], 0 offset:140
	s_mov_b32 s4, exec_lo
	s_waitcnt vmcnt(0)
	ds_write_b64 v72, v[73:74]
	s_waitcnt lgkmcnt(0)
	s_barrier
	buffer_gl0_inv
	v_cmpx_gt_u32_e32 17, v0
	s_cbranch_execz .LBB33_83
; %bb.80:
	v_add_nc_u32_e32 v73, -1, v0
	v_add_nc_u32_e32 v74, 0x110, v71
	v_mov_b32_e32 v75, v71
	v_mov_b32_e32 v70, 0
	;; [unrolled: 1-line block ×3, first 2 shown]
	s_mov_b32 s5, 0
	.p2align	6
.LBB33_81:                              ; =>This Inner Loop Header: Depth=1
	s_clause 0x1
	buffer_load_dword v79, v75, s[0:3], 0 offen offset:4
	buffer_load_dword v80, v75, s[0:3], 0 offen
	ds_read_b64 v[77:78], v74
	v_add_nc_u32_e32 v73, 1, v73
	v_add_nc_u32_e32 v74, 8, v74
	;; [unrolled: 1-line block ×3, first 2 shown]
	v_cmp_lt_u32_e32 vcc_lo, 15, v73
	s_or_b32 s5, vcc_lo, s5
	s_waitcnt vmcnt(1) lgkmcnt(0)
	v_mul_f32_e32 v81, v78, v79
	v_mul_f32_e32 v79, v77, v79
	s_waitcnt vmcnt(0)
	v_fma_f32 v77, v77, v80, -v81
	v_fmac_f32_e32 v79, v78, v80
	v_add_f32_e32 v76, v76, v77
	v_add_f32_e32 v70, v70, v79
	s_andn2_b32 exec_lo, exec_lo, s5
	s_cbranch_execnz .LBB33_81
; %bb.82:
	s_or_b32 exec_lo, exec_lo, s5
	v_mov_b32_e32 v73, 0
	ds_read_b64 v[73:74], v73 offset:136
	s_waitcnt lgkmcnt(0)
	v_mul_f32_e32 v75, v70, v74
	v_mul_f32_e32 v74, v76, v74
	v_fma_f32 v75, v76, v73, -v75
	v_fmac_f32_e32 v74, v70, v73
	buffer_store_dword v75, off, s[0:3], 0 offset:136
	buffer_store_dword v74, off, s[0:3], 0 offset:140
.LBB33_83:
	s_or_b32 exec_lo, exec_lo, s4
	s_waitcnt_vscnt null, 0x0
	s_barrier
	buffer_gl0_inv
	s_clause 0x1
	buffer_load_dword v73, off, s[0:3], 0 offset:144
	buffer_load_dword v74, off, s[0:3], 0 offset:148
	s_mov_b32 s4, exec_lo
	s_waitcnt vmcnt(0)
	ds_write_b64 v72, v[73:74]
	s_waitcnt lgkmcnt(0)
	s_barrier
	buffer_gl0_inv
	v_cmpx_gt_u32_e32 18, v0
	s_cbranch_execz .LBB33_87
; %bb.84:
	v_add_nc_u32_e32 v73, -1, v0
	v_add_nc_u32_e32 v74, 0x110, v71
	v_mov_b32_e32 v75, v71
	v_mov_b32_e32 v70, 0
	;; [unrolled: 1-line block ×3, first 2 shown]
	s_mov_b32 s5, 0
	.p2align	6
.LBB33_85:                              ; =>This Inner Loop Header: Depth=1
	s_clause 0x1
	buffer_load_dword v79, v75, s[0:3], 0 offen offset:4
	buffer_load_dword v80, v75, s[0:3], 0 offen
	ds_read_b64 v[77:78], v74
	v_add_nc_u32_e32 v73, 1, v73
	v_add_nc_u32_e32 v74, 8, v74
	;; [unrolled: 1-line block ×3, first 2 shown]
	v_cmp_lt_u32_e32 vcc_lo, 16, v73
	s_or_b32 s5, vcc_lo, s5
	s_waitcnt vmcnt(1) lgkmcnt(0)
	v_mul_f32_e32 v81, v78, v79
	v_mul_f32_e32 v79, v77, v79
	s_waitcnt vmcnt(0)
	v_fma_f32 v77, v77, v80, -v81
	v_fmac_f32_e32 v79, v78, v80
	v_add_f32_e32 v76, v76, v77
	v_add_f32_e32 v70, v70, v79
	s_andn2_b32 exec_lo, exec_lo, s5
	s_cbranch_execnz .LBB33_85
; %bb.86:
	s_or_b32 exec_lo, exec_lo, s5
	v_mov_b32_e32 v73, 0
	ds_read_b64 v[73:74], v73 offset:144
	s_waitcnt lgkmcnt(0)
	v_mul_f32_e32 v75, v70, v74
	v_mul_f32_e32 v74, v76, v74
	v_fma_f32 v75, v76, v73, -v75
	v_fmac_f32_e32 v74, v70, v73
	buffer_store_dword v75, off, s[0:3], 0 offset:144
	buffer_store_dword v74, off, s[0:3], 0 offset:148
.LBB33_87:
	s_or_b32 exec_lo, exec_lo, s4
	s_waitcnt_vscnt null, 0x0
	s_barrier
	buffer_gl0_inv
	s_clause 0x1
	buffer_load_dword v73, off, s[0:3], 0 offset:152
	buffer_load_dword v74, off, s[0:3], 0 offset:156
	s_mov_b32 s4, exec_lo
	s_waitcnt vmcnt(0)
	ds_write_b64 v72, v[73:74]
	s_waitcnt lgkmcnt(0)
	s_barrier
	buffer_gl0_inv
	v_cmpx_gt_u32_e32 19, v0
	s_cbranch_execz .LBB33_91
; %bb.88:
	v_add_nc_u32_e32 v73, -1, v0
	v_add_nc_u32_e32 v74, 0x110, v71
	v_mov_b32_e32 v75, v71
	v_mov_b32_e32 v70, 0
	;; [unrolled: 1-line block ×3, first 2 shown]
	s_mov_b32 s5, 0
	.p2align	6
.LBB33_89:                              ; =>This Inner Loop Header: Depth=1
	s_clause 0x1
	buffer_load_dword v79, v75, s[0:3], 0 offen offset:4
	buffer_load_dword v80, v75, s[0:3], 0 offen
	ds_read_b64 v[77:78], v74
	v_add_nc_u32_e32 v73, 1, v73
	v_add_nc_u32_e32 v74, 8, v74
	;; [unrolled: 1-line block ×3, first 2 shown]
	v_cmp_lt_u32_e32 vcc_lo, 17, v73
	s_or_b32 s5, vcc_lo, s5
	s_waitcnt vmcnt(1) lgkmcnt(0)
	v_mul_f32_e32 v81, v78, v79
	v_mul_f32_e32 v79, v77, v79
	s_waitcnt vmcnt(0)
	v_fma_f32 v77, v77, v80, -v81
	v_fmac_f32_e32 v79, v78, v80
	v_add_f32_e32 v76, v76, v77
	v_add_f32_e32 v70, v70, v79
	s_andn2_b32 exec_lo, exec_lo, s5
	s_cbranch_execnz .LBB33_89
; %bb.90:
	s_or_b32 exec_lo, exec_lo, s5
	v_mov_b32_e32 v73, 0
	ds_read_b64 v[73:74], v73 offset:152
	s_waitcnt lgkmcnt(0)
	v_mul_f32_e32 v75, v70, v74
	v_mul_f32_e32 v74, v76, v74
	v_fma_f32 v75, v76, v73, -v75
	v_fmac_f32_e32 v74, v70, v73
	buffer_store_dword v75, off, s[0:3], 0 offset:152
	buffer_store_dword v74, off, s[0:3], 0 offset:156
.LBB33_91:
	s_or_b32 exec_lo, exec_lo, s4
	s_waitcnt_vscnt null, 0x0
	s_barrier
	buffer_gl0_inv
	s_clause 0x1
	buffer_load_dword v73, off, s[0:3], 0 offset:160
	buffer_load_dword v74, off, s[0:3], 0 offset:164
	s_mov_b32 s4, exec_lo
	s_waitcnt vmcnt(0)
	ds_write_b64 v72, v[73:74]
	s_waitcnt lgkmcnt(0)
	s_barrier
	buffer_gl0_inv
	v_cmpx_gt_u32_e32 20, v0
	s_cbranch_execz .LBB33_95
; %bb.92:
	v_add_nc_u32_e32 v73, -1, v0
	v_add_nc_u32_e32 v74, 0x110, v71
	v_mov_b32_e32 v75, v71
	v_mov_b32_e32 v70, 0
	;; [unrolled: 1-line block ×3, first 2 shown]
	s_mov_b32 s5, 0
	.p2align	6
.LBB33_93:                              ; =>This Inner Loop Header: Depth=1
	s_clause 0x1
	buffer_load_dword v79, v75, s[0:3], 0 offen offset:4
	buffer_load_dword v80, v75, s[0:3], 0 offen
	ds_read_b64 v[77:78], v74
	v_add_nc_u32_e32 v73, 1, v73
	v_add_nc_u32_e32 v74, 8, v74
	;; [unrolled: 1-line block ×3, first 2 shown]
	v_cmp_lt_u32_e32 vcc_lo, 18, v73
	s_or_b32 s5, vcc_lo, s5
	s_waitcnt vmcnt(1) lgkmcnt(0)
	v_mul_f32_e32 v81, v78, v79
	v_mul_f32_e32 v79, v77, v79
	s_waitcnt vmcnt(0)
	v_fma_f32 v77, v77, v80, -v81
	v_fmac_f32_e32 v79, v78, v80
	v_add_f32_e32 v76, v76, v77
	v_add_f32_e32 v70, v70, v79
	s_andn2_b32 exec_lo, exec_lo, s5
	s_cbranch_execnz .LBB33_93
; %bb.94:
	s_or_b32 exec_lo, exec_lo, s5
	v_mov_b32_e32 v73, 0
	ds_read_b64 v[73:74], v73 offset:160
	s_waitcnt lgkmcnt(0)
	v_mul_f32_e32 v75, v70, v74
	v_mul_f32_e32 v74, v76, v74
	v_fma_f32 v75, v76, v73, -v75
	v_fmac_f32_e32 v74, v70, v73
	buffer_store_dword v75, off, s[0:3], 0 offset:160
	buffer_store_dword v74, off, s[0:3], 0 offset:164
.LBB33_95:
	s_or_b32 exec_lo, exec_lo, s4
	s_waitcnt_vscnt null, 0x0
	s_barrier
	buffer_gl0_inv
	s_clause 0x1
	buffer_load_dword v73, off, s[0:3], 0 offset:168
	buffer_load_dword v74, off, s[0:3], 0 offset:172
	s_mov_b32 s4, exec_lo
	s_waitcnt vmcnt(0)
	ds_write_b64 v72, v[73:74]
	s_waitcnt lgkmcnt(0)
	s_barrier
	buffer_gl0_inv
	v_cmpx_gt_u32_e32 21, v0
	s_cbranch_execz .LBB33_99
; %bb.96:
	v_add_nc_u32_e32 v73, -1, v0
	v_add_nc_u32_e32 v74, 0x110, v71
	v_mov_b32_e32 v75, v71
	v_mov_b32_e32 v70, 0
	;; [unrolled: 1-line block ×3, first 2 shown]
	s_mov_b32 s5, 0
	.p2align	6
.LBB33_97:                              ; =>This Inner Loop Header: Depth=1
	s_clause 0x1
	buffer_load_dword v79, v75, s[0:3], 0 offen offset:4
	buffer_load_dword v80, v75, s[0:3], 0 offen
	ds_read_b64 v[77:78], v74
	v_add_nc_u32_e32 v73, 1, v73
	v_add_nc_u32_e32 v74, 8, v74
	;; [unrolled: 1-line block ×3, first 2 shown]
	v_cmp_lt_u32_e32 vcc_lo, 19, v73
	s_or_b32 s5, vcc_lo, s5
	s_waitcnt vmcnt(1) lgkmcnt(0)
	v_mul_f32_e32 v81, v78, v79
	v_mul_f32_e32 v79, v77, v79
	s_waitcnt vmcnt(0)
	v_fma_f32 v77, v77, v80, -v81
	v_fmac_f32_e32 v79, v78, v80
	v_add_f32_e32 v76, v76, v77
	v_add_f32_e32 v70, v70, v79
	s_andn2_b32 exec_lo, exec_lo, s5
	s_cbranch_execnz .LBB33_97
; %bb.98:
	s_or_b32 exec_lo, exec_lo, s5
	v_mov_b32_e32 v73, 0
	ds_read_b64 v[73:74], v73 offset:168
	s_waitcnt lgkmcnt(0)
	v_mul_f32_e32 v75, v70, v74
	v_mul_f32_e32 v74, v76, v74
	v_fma_f32 v75, v76, v73, -v75
	v_fmac_f32_e32 v74, v70, v73
	buffer_store_dword v75, off, s[0:3], 0 offset:168
	buffer_store_dword v74, off, s[0:3], 0 offset:172
.LBB33_99:
	s_or_b32 exec_lo, exec_lo, s4
	s_waitcnt_vscnt null, 0x0
	s_barrier
	buffer_gl0_inv
	s_clause 0x1
	buffer_load_dword v73, off, s[0:3], 0 offset:176
	buffer_load_dword v74, off, s[0:3], 0 offset:180
	s_mov_b32 s4, exec_lo
	s_waitcnt vmcnt(0)
	ds_write_b64 v72, v[73:74]
	s_waitcnt lgkmcnt(0)
	s_barrier
	buffer_gl0_inv
	v_cmpx_gt_u32_e32 22, v0
	s_cbranch_execz .LBB33_103
; %bb.100:
	v_add_nc_u32_e32 v73, -1, v0
	v_add_nc_u32_e32 v74, 0x110, v71
	v_mov_b32_e32 v75, v71
	v_mov_b32_e32 v70, 0
	;; [unrolled: 1-line block ×3, first 2 shown]
	s_mov_b32 s5, 0
	.p2align	6
.LBB33_101:                             ; =>This Inner Loop Header: Depth=1
	s_clause 0x1
	buffer_load_dword v79, v75, s[0:3], 0 offen offset:4
	buffer_load_dword v80, v75, s[0:3], 0 offen
	ds_read_b64 v[77:78], v74
	v_add_nc_u32_e32 v73, 1, v73
	v_add_nc_u32_e32 v74, 8, v74
	v_add_nc_u32_e32 v75, 8, v75
	v_cmp_lt_u32_e32 vcc_lo, 20, v73
	s_or_b32 s5, vcc_lo, s5
	s_waitcnt vmcnt(1) lgkmcnt(0)
	v_mul_f32_e32 v81, v78, v79
	v_mul_f32_e32 v79, v77, v79
	s_waitcnt vmcnt(0)
	v_fma_f32 v77, v77, v80, -v81
	v_fmac_f32_e32 v79, v78, v80
	v_add_f32_e32 v76, v76, v77
	v_add_f32_e32 v70, v70, v79
	s_andn2_b32 exec_lo, exec_lo, s5
	s_cbranch_execnz .LBB33_101
; %bb.102:
	s_or_b32 exec_lo, exec_lo, s5
	v_mov_b32_e32 v73, 0
	ds_read_b64 v[73:74], v73 offset:176
	s_waitcnt lgkmcnt(0)
	v_mul_f32_e32 v75, v70, v74
	v_mul_f32_e32 v74, v76, v74
	v_fma_f32 v75, v76, v73, -v75
	v_fmac_f32_e32 v74, v70, v73
	buffer_store_dword v75, off, s[0:3], 0 offset:176
	buffer_store_dword v74, off, s[0:3], 0 offset:180
.LBB33_103:
	s_or_b32 exec_lo, exec_lo, s4
	s_waitcnt_vscnt null, 0x0
	s_barrier
	buffer_gl0_inv
	s_clause 0x1
	buffer_load_dword v73, off, s[0:3], 0 offset:184
	buffer_load_dword v74, off, s[0:3], 0 offset:188
	s_mov_b32 s4, exec_lo
	s_waitcnt vmcnt(0)
	ds_write_b64 v72, v[73:74]
	s_waitcnt lgkmcnt(0)
	s_barrier
	buffer_gl0_inv
	v_cmpx_gt_u32_e32 23, v0
	s_cbranch_execz .LBB33_107
; %bb.104:
	v_add_nc_u32_e32 v73, -1, v0
	v_add_nc_u32_e32 v74, 0x110, v71
	v_mov_b32_e32 v75, v71
	v_mov_b32_e32 v70, 0
	;; [unrolled: 1-line block ×3, first 2 shown]
	s_mov_b32 s5, 0
	.p2align	6
.LBB33_105:                             ; =>This Inner Loop Header: Depth=1
	s_clause 0x1
	buffer_load_dword v79, v75, s[0:3], 0 offen offset:4
	buffer_load_dword v80, v75, s[0:3], 0 offen
	ds_read_b64 v[77:78], v74
	v_add_nc_u32_e32 v73, 1, v73
	v_add_nc_u32_e32 v74, 8, v74
	v_add_nc_u32_e32 v75, 8, v75
	v_cmp_lt_u32_e32 vcc_lo, 21, v73
	s_or_b32 s5, vcc_lo, s5
	s_waitcnt vmcnt(1) lgkmcnt(0)
	v_mul_f32_e32 v81, v78, v79
	v_mul_f32_e32 v79, v77, v79
	s_waitcnt vmcnt(0)
	v_fma_f32 v77, v77, v80, -v81
	v_fmac_f32_e32 v79, v78, v80
	v_add_f32_e32 v76, v76, v77
	v_add_f32_e32 v70, v70, v79
	s_andn2_b32 exec_lo, exec_lo, s5
	s_cbranch_execnz .LBB33_105
; %bb.106:
	s_or_b32 exec_lo, exec_lo, s5
	v_mov_b32_e32 v73, 0
	ds_read_b64 v[73:74], v73 offset:184
	s_waitcnt lgkmcnt(0)
	v_mul_f32_e32 v75, v70, v74
	v_mul_f32_e32 v74, v76, v74
	v_fma_f32 v75, v76, v73, -v75
	v_fmac_f32_e32 v74, v70, v73
	buffer_store_dword v75, off, s[0:3], 0 offset:184
	buffer_store_dword v74, off, s[0:3], 0 offset:188
.LBB33_107:
	s_or_b32 exec_lo, exec_lo, s4
	s_waitcnt_vscnt null, 0x0
	s_barrier
	buffer_gl0_inv
	s_clause 0x1
	buffer_load_dword v73, off, s[0:3], 0 offset:192
	buffer_load_dword v74, off, s[0:3], 0 offset:196
	s_mov_b32 s4, exec_lo
	s_waitcnt vmcnt(0)
	ds_write_b64 v72, v[73:74]
	s_waitcnt lgkmcnt(0)
	s_barrier
	buffer_gl0_inv
	v_cmpx_gt_u32_e32 24, v0
	s_cbranch_execz .LBB33_111
; %bb.108:
	v_add_nc_u32_e32 v73, -1, v0
	v_add_nc_u32_e32 v74, 0x110, v71
	v_mov_b32_e32 v75, v71
	v_mov_b32_e32 v70, 0
	;; [unrolled: 1-line block ×3, first 2 shown]
	s_mov_b32 s5, 0
	.p2align	6
.LBB33_109:                             ; =>This Inner Loop Header: Depth=1
	s_clause 0x1
	buffer_load_dword v79, v75, s[0:3], 0 offen offset:4
	buffer_load_dword v80, v75, s[0:3], 0 offen
	ds_read_b64 v[77:78], v74
	v_add_nc_u32_e32 v73, 1, v73
	v_add_nc_u32_e32 v74, 8, v74
	;; [unrolled: 1-line block ×3, first 2 shown]
	v_cmp_lt_u32_e32 vcc_lo, 22, v73
	s_or_b32 s5, vcc_lo, s5
	s_waitcnt vmcnt(1) lgkmcnt(0)
	v_mul_f32_e32 v81, v78, v79
	v_mul_f32_e32 v79, v77, v79
	s_waitcnt vmcnt(0)
	v_fma_f32 v77, v77, v80, -v81
	v_fmac_f32_e32 v79, v78, v80
	v_add_f32_e32 v76, v76, v77
	v_add_f32_e32 v70, v70, v79
	s_andn2_b32 exec_lo, exec_lo, s5
	s_cbranch_execnz .LBB33_109
; %bb.110:
	s_or_b32 exec_lo, exec_lo, s5
	v_mov_b32_e32 v73, 0
	ds_read_b64 v[73:74], v73 offset:192
	s_waitcnt lgkmcnt(0)
	v_mul_f32_e32 v75, v70, v74
	v_mul_f32_e32 v74, v76, v74
	v_fma_f32 v75, v76, v73, -v75
	v_fmac_f32_e32 v74, v70, v73
	buffer_store_dword v75, off, s[0:3], 0 offset:192
	buffer_store_dword v74, off, s[0:3], 0 offset:196
.LBB33_111:
	s_or_b32 exec_lo, exec_lo, s4
	s_waitcnt_vscnt null, 0x0
	s_barrier
	buffer_gl0_inv
	s_clause 0x1
	buffer_load_dword v73, off, s[0:3], 0 offset:200
	buffer_load_dword v74, off, s[0:3], 0 offset:204
	s_mov_b32 s4, exec_lo
	s_waitcnt vmcnt(0)
	ds_write_b64 v72, v[73:74]
	s_waitcnt lgkmcnt(0)
	s_barrier
	buffer_gl0_inv
	v_cmpx_gt_u32_e32 25, v0
	s_cbranch_execz .LBB33_115
; %bb.112:
	v_add_nc_u32_e32 v73, -1, v0
	v_add_nc_u32_e32 v74, 0x110, v71
	v_mov_b32_e32 v75, v71
	v_mov_b32_e32 v70, 0
	;; [unrolled: 1-line block ×3, first 2 shown]
	s_mov_b32 s5, 0
	.p2align	6
.LBB33_113:                             ; =>This Inner Loop Header: Depth=1
	s_clause 0x1
	buffer_load_dword v79, v75, s[0:3], 0 offen offset:4
	buffer_load_dword v80, v75, s[0:3], 0 offen
	ds_read_b64 v[77:78], v74
	v_add_nc_u32_e32 v73, 1, v73
	v_add_nc_u32_e32 v74, 8, v74
	;; [unrolled: 1-line block ×3, first 2 shown]
	v_cmp_lt_u32_e32 vcc_lo, 23, v73
	s_or_b32 s5, vcc_lo, s5
	s_waitcnt vmcnt(1) lgkmcnt(0)
	v_mul_f32_e32 v81, v78, v79
	v_mul_f32_e32 v79, v77, v79
	s_waitcnt vmcnt(0)
	v_fma_f32 v77, v77, v80, -v81
	v_fmac_f32_e32 v79, v78, v80
	v_add_f32_e32 v76, v76, v77
	v_add_f32_e32 v70, v70, v79
	s_andn2_b32 exec_lo, exec_lo, s5
	s_cbranch_execnz .LBB33_113
; %bb.114:
	s_or_b32 exec_lo, exec_lo, s5
	v_mov_b32_e32 v73, 0
	ds_read_b64 v[73:74], v73 offset:200
	s_waitcnt lgkmcnt(0)
	v_mul_f32_e32 v75, v70, v74
	v_mul_f32_e32 v74, v76, v74
	v_fma_f32 v75, v76, v73, -v75
	v_fmac_f32_e32 v74, v70, v73
	buffer_store_dword v75, off, s[0:3], 0 offset:200
	buffer_store_dword v74, off, s[0:3], 0 offset:204
.LBB33_115:
	s_or_b32 exec_lo, exec_lo, s4
	s_waitcnt_vscnt null, 0x0
	s_barrier
	buffer_gl0_inv
	s_clause 0x1
	buffer_load_dword v73, off, s[0:3], 0 offset:208
	buffer_load_dword v74, off, s[0:3], 0 offset:212
	s_mov_b32 s4, exec_lo
	s_waitcnt vmcnt(0)
	ds_write_b64 v72, v[73:74]
	s_waitcnt lgkmcnt(0)
	s_barrier
	buffer_gl0_inv
	v_cmpx_gt_u32_e32 26, v0
	s_cbranch_execz .LBB33_119
; %bb.116:
	v_add_nc_u32_e32 v73, -1, v0
	v_add_nc_u32_e32 v74, 0x110, v71
	v_mov_b32_e32 v75, v71
	v_mov_b32_e32 v70, 0
	;; [unrolled: 1-line block ×3, first 2 shown]
	s_mov_b32 s5, 0
	.p2align	6
.LBB33_117:                             ; =>This Inner Loop Header: Depth=1
	s_clause 0x1
	buffer_load_dword v79, v75, s[0:3], 0 offen offset:4
	buffer_load_dword v80, v75, s[0:3], 0 offen
	ds_read_b64 v[77:78], v74
	v_add_nc_u32_e32 v73, 1, v73
	v_add_nc_u32_e32 v74, 8, v74
	;; [unrolled: 1-line block ×3, first 2 shown]
	v_cmp_lt_u32_e32 vcc_lo, 24, v73
	s_or_b32 s5, vcc_lo, s5
	s_waitcnt vmcnt(1) lgkmcnt(0)
	v_mul_f32_e32 v81, v78, v79
	v_mul_f32_e32 v79, v77, v79
	s_waitcnt vmcnt(0)
	v_fma_f32 v77, v77, v80, -v81
	v_fmac_f32_e32 v79, v78, v80
	v_add_f32_e32 v76, v76, v77
	v_add_f32_e32 v70, v70, v79
	s_andn2_b32 exec_lo, exec_lo, s5
	s_cbranch_execnz .LBB33_117
; %bb.118:
	s_or_b32 exec_lo, exec_lo, s5
	v_mov_b32_e32 v73, 0
	ds_read_b64 v[73:74], v73 offset:208
	s_waitcnt lgkmcnt(0)
	v_mul_f32_e32 v75, v70, v74
	v_mul_f32_e32 v74, v76, v74
	v_fma_f32 v75, v76, v73, -v75
	v_fmac_f32_e32 v74, v70, v73
	buffer_store_dword v75, off, s[0:3], 0 offset:208
	buffer_store_dword v74, off, s[0:3], 0 offset:212
.LBB33_119:
	s_or_b32 exec_lo, exec_lo, s4
	s_waitcnt_vscnt null, 0x0
	s_barrier
	buffer_gl0_inv
	s_clause 0x1
	buffer_load_dword v73, off, s[0:3], 0 offset:216
	buffer_load_dword v74, off, s[0:3], 0 offset:220
	s_mov_b32 s4, exec_lo
	s_waitcnt vmcnt(0)
	ds_write_b64 v72, v[73:74]
	s_waitcnt lgkmcnt(0)
	s_barrier
	buffer_gl0_inv
	v_cmpx_gt_u32_e32 27, v0
	s_cbranch_execz .LBB33_123
; %bb.120:
	v_add_nc_u32_e32 v73, -1, v0
	v_add_nc_u32_e32 v74, 0x110, v71
	v_mov_b32_e32 v75, v71
	v_mov_b32_e32 v70, 0
	;; [unrolled: 1-line block ×3, first 2 shown]
	s_mov_b32 s5, 0
	.p2align	6
.LBB33_121:                             ; =>This Inner Loop Header: Depth=1
	s_clause 0x1
	buffer_load_dword v79, v75, s[0:3], 0 offen offset:4
	buffer_load_dword v80, v75, s[0:3], 0 offen
	ds_read_b64 v[77:78], v74
	v_add_nc_u32_e32 v73, 1, v73
	v_add_nc_u32_e32 v74, 8, v74
	;; [unrolled: 1-line block ×3, first 2 shown]
	v_cmp_lt_u32_e32 vcc_lo, 25, v73
	s_or_b32 s5, vcc_lo, s5
	s_waitcnt vmcnt(1) lgkmcnt(0)
	v_mul_f32_e32 v81, v78, v79
	v_mul_f32_e32 v79, v77, v79
	s_waitcnt vmcnt(0)
	v_fma_f32 v77, v77, v80, -v81
	v_fmac_f32_e32 v79, v78, v80
	v_add_f32_e32 v76, v76, v77
	v_add_f32_e32 v70, v70, v79
	s_andn2_b32 exec_lo, exec_lo, s5
	s_cbranch_execnz .LBB33_121
; %bb.122:
	s_or_b32 exec_lo, exec_lo, s5
	v_mov_b32_e32 v73, 0
	ds_read_b64 v[73:74], v73 offset:216
	s_waitcnt lgkmcnt(0)
	v_mul_f32_e32 v75, v70, v74
	v_mul_f32_e32 v74, v76, v74
	v_fma_f32 v75, v76, v73, -v75
	v_fmac_f32_e32 v74, v70, v73
	buffer_store_dword v75, off, s[0:3], 0 offset:216
	buffer_store_dword v74, off, s[0:3], 0 offset:220
.LBB33_123:
	s_or_b32 exec_lo, exec_lo, s4
	s_waitcnt_vscnt null, 0x0
	s_barrier
	buffer_gl0_inv
	s_clause 0x1
	buffer_load_dword v73, off, s[0:3], 0 offset:224
	buffer_load_dword v74, off, s[0:3], 0 offset:228
	s_mov_b32 s4, exec_lo
	s_waitcnt vmcnt(0)
	ds_write_b64 v72, v[73:74]
	s_waitcnt lgkmcnt(0)
	s_barrier
	buffer_gl0_inv
	v_cmpx_gt_u32_e32 28, v0
	s_cbranch_execz .LBB33_127
; %bb.124:
	v_add_nc_u32_e32 v73, -1, v0
	v_add_nc_u32_e32 v74, 0x110, v71
	v_mov_b32_e32 v75, v71
	v_mov_b32_e32 v70, 0
	;; [unrolled: 1-line block ×3, first 2 shown]
	s_mov_b32 s5, 0
	.p2align	6
.LBB33_125:                             ; =>This Inner Loop Header: Depth=1
	s_clause 0x1
	buffer_load_dword v79, v75, s[0:3], 0 offen offset:4
	buffer_load_dword v80, v75, s[0:3], 0 offen
	ds_read_b64 v[77:78], v74
	v_add_nc_u32_e32 v73, 1, v73
	v_add_nc_u32_e32 v74, 8, v74
	;; [unrolled: 1-line block ×3, first 2 shown]
	v_cmp_lt_u32_e32 vcc_lo, 26, v73
	s_or_b32 s5, vcc_lo, s5
	s_waitcnt vmcnt(1) lgkmcnt(0)
	v_mul_f32_e32 v81, v78, v79
	v_mul_f32_e32 v79, v77, v79
	s_waitcnt vmcnt(0)
	v_fma_f32 v77, v77, v80, -v81
	v_fmac_f32_e32 v79, v78, v80
	v_add_f32_e32 v76, v76, v77
	v_add_f32_e32 v70, v70, v79
	s_andn2_b32 exec_lo, exec_lo, s5
	s_cbranch_execnz .LBB33_125
; %bb.126:
	s_or_b32 exec_lo, exec_lo, s5
	v_mov_b32_e32 v73, 0
	ds_read_b64 v[73:74], v73 offset:224
	s_waitcnt lgkmcnt(0)
	v_mul_f32_e32 v75, v70, v74
	v_mul_f32_e32 v74, v76, v74
	v_fma_f32 v75, v76, v73, -v75
	v_fmac_f32_e32 v74, v70, v73
	buffer_store_dword v75, off, s[0:3], 0 offset:224
	buffer_store_dword v74, off, s[0:3], 0 offset:228
.LBB33_127:
	s_or_b32 exec_lo, exec_lo, s4
	s_waitcnt_vscnt null, 0x0
	s_barrier
	buffer_gl0_inv
	s_clause 0x1
	buffer_load_dword v73, off, s[0:3], 0 offset:232
	buffer_load_dword v74, off, s[0:3], 0 offset:236
	s_mov_b32 s4, exec_lo
	s_waitcnt vmcnt(0)
	ds_write_b64 v72, v[73:74]
	s_waitcnt lgkmcnt(0)
	s_barrier
	buffer_gl0_inv
	v_cmpx_gt_u32_e32 29, v0
	s_cbranch_execz .LBB33_131
; %bb.128:
	v_add_nc_u32_e32 v73, -1, v0
	v_add_nc_u32_e32 v74, 0x110, v71
	v_mov_b32_e32 v75, v71
	v_mov_b32_e32 v70, 0
	;; [unrolled: 1-line block ×3, first 2 shown]
	s_mov_b32 s5, 0
	.p2align	6
.LBB33_129:                             ; =>This Inner Loop Header: Depth=1
	s_clause 0x1
	buffer_load_dword v79, v75, s[0:3], 0 offen offset:4
	buffer_load_dword v80, v75, s[0:3], 0 offen
	ds_read_b64 v[77:78], v74
	v_add_nc_u32_e32 v73, 1, v73
	v_add_nc_u32_e32 v74, 8, v74
	;; [unrolled: 1-line block ×3, first 2 shown]
	v_cmp_lt_u32_e32 vcc_lo, 27, v73
	s_or_b32 s5, vcc_lo, s5
	s_waitcnt vmcnt(1) lgkmcnt(0)
	v_mul_f32_e32 v81, v78, v79
	v_mul_f32_e32 v79, v77, v79
	s_waitcnt vmcnt(0)
	v_fma_f32 v77, v77, v80, -v81
	v_fmac_f32_e32 v79, v78, v80
	v_add_f32_e32 v76, v76, v77
	v_add_f32_e32 v70, v70, v79
	s_andn2_b32 exec_lo, exec_lo, s5
	s_cbranch_execnz .LBB33_129
; %bb.130:
	s_or_b32 exec_lo, exec_lo, s5
	v_mov_b32_e32 v73, 0
	ds_read_b64 v[73:74], v73 offset:232
	s_waitcnt lgkmcnt(0)
	v_mul_f32_e32 v75, v70, v74
	v_mul_f32_e32 v74, v76, v74
	v_fma_f32 v75, v76, v73, -v75
	v_fmac_f32_e32 v74, v70, v73
	buffer_store_dword v75, off, s[0:3], 0 offset:232
	buffer_store_dword v74, off, s[0:3], 0 offset:236
.LBB33_131:
	s_or_b32 exec_lo, exec_lo, s4
	s_waitcnt_vscnt null, 0x0
	s_barrier
	buffer_gl0_inv
	s_clause 0x1
	buffer_load_dword v73, off, s[0:3], 0 offset:240
	buffer_load_dword v74, off, s[0:3], 0 offset:244
	s_mov_b32 s4, exec_lo
	s_waitcnt vmcnt(0)
	ds_write_b64 v72, v[73:74]
	s_waitcnt lgkmcnt(0)
	s_barrier
	buffer_gl0_inv
	v_cmpx_gt_u32_e32 30, v0
	s_cbranch_execz .LBB33_135
; %bb.132:
	v_add_nc_u32_e32 v73, -1, v0
	v_add_nc_u32_e32 v74, 0x110, v71
	v_mov_b32_e32 v75, v71
	v_mov_b32_e32 v70, 0
	;; [unrolled: 1-line block ×3, first 2 shown]
	s_mov_b32 s5, 0
	.p2align	6
.LBB33_133:                             ; =>This Inner Loop Header: Depth=1
	s_clause 0x1
	buffer_load_dword v79, v75, s[0:3], 0 offen offset:4
	buffer_load_dword v80, v75, s[0:3], 0 offen
	ds_read_b64 v[77:78], v74
	v_add_nc_u32_e32 v73, 1, v73
	v_add_nc_u32_e32 v74, 8, v74
	;; [unrolled: 1-line block ×3, first 2 shown]
	v_cmp_lt_u32_e32 vcc_lo, 28, v73
	s_or_b32 s5, vcc_lo, s5
	s_waitcnt vmcnt(1) lgkmcnt(0)
	v_mul_f32_e32 v81, v78, v79
	v_mul_f32_e32 v79, v77, v79
	s_waitcnt vmcnt(0)
	v_fma_f32 v77, v77, v80, -v81
	v_fmac_f32_e32 v79, v78, v80
	v_add_f32_e32 v76, v76, v77
	v_add_f32_e32 v70, v70, v79
	s_andn2_b32 exec_lo, exec_lo, s5
	s_cbranch_execnz .LBB33_133
; %bb.134:
	s_or_b32 exec_lo, exec_lo, s5
	v_mov_b32_e32 v73, 0
	ds_read_b64 v[73:74], v73 offset:240
	s_waitcnt lgkmcnt(0)
	v_mul_f32_e32 v75, v70, v74
	v_mul_f32_e32 v74, v76, v74
	v_fma_f32 v75, v76, v73, -v75
	v_fmac_f32_e32 v74, v70, v73
	buffer_store_dword v75, off, s[0:3], 0 offset:240
	buffer_store_dword v74, off, s[0:3], 0 offset:244
.LBB33_135:
	s_or_b32 exec_lo, exec_lo, s4
	s_waitcnt_vscnt null, 0x0
	s_barrier
	buffer_gl0_inv
	s_clause 0x1
	buffer_load_dword v73, off, s[0:3], 0 offset:248
	buffer_load_dword v74, off, s[0:3], 0 offset:252
	s_mov_b32 s4, exec_lo
	s_waitcnt vmcnt(0)
	ds_write_b64 v72, v[73:74]
	s_waitcnt lgkmcnt(0)
	s_barrier
	buffer_gl0_inv
	v_cmpx_gt_u32_e32 31, v0
	s_cbranch_execz .LBB33_139
; %bb.136:
	v_add_nc_u32_e32 v73, -1, v0
	v_add_nc_u32_e32 v74, 0x110, v71
	v_mov_b32_e32 v75, v71
	v_mov_b32_e32 v70, 0
	;; [unrolled: 1-line block ×3, first 2 shown]
	s_mov_b32 s5, 0
	.p2align	6
.LBB33_137:                             ; =>This Inner Loop Header: Depth=1
	s_clause 0x1
	buffer_load_dword v79, v75, s[0:3], 0 offen offset:4
	buffer_load_dword v80, v75, s[0:3], 0 offen
	ds_read_b64 v[77:78], v74
	v_add_nc_u32_e32 v73, 1, v73
	v_add_nc_u32_e32 v74, 8, v74
	;; [unrolled: 1-line block ×3, first 2 shown]
	v_cmp_lt_u32_e32 vcc_lo, 29, v73
	s_or_b32 s5, vcc_lo, s5
	s_waitcnt vmcnt(1) lgkmcnt(0)
	v_mul_f32_e32 v81, v78, v79
	v_mul_f32_e32 v79, v77, v79
	s_waitcnt vmcnt(0)
	v_fma_f32 v77, v77, v80, -v81
	v_fmac_f32_e32 v79, v78, v80
	v_add_f32_e32 v76, v76, v77
	v_add_f32_e32 v70, v70, v79
	s_andn2_b32 exec_lo, exec_lo, s5
	s_cbranch_execnz .LBB33_137
; %bb.138:
	s_or_b32 exec_lo, exec_lo, s5
	v_mov_b32_e32 v73, 0
	ds_read_b64 v[73:74], v73 offset:248
	s_waitcnt lgkmcnt(0)
	v_mul_f32_e32 v75, v70, v74
	v_mul_f32_e32 v74, v76, v74
	v_fma_f32 v75, v76, v73, -v75
	v_fmac_f32_e32 v74, v70, v73
	buffer_store_dword v75, off, s[0:3], 0 offset:248
	buffer_store_dword v74, off, s[0:3], 0 offset:252
.LBB33_139:
	s_or_b32 exec_lo, exec_lo, s4
	s_waitcnt_vscnt null, 0x0
	s_barrier
	buffer_gl0_inv
	s_clause 0x1
	buffer_load_dword v73, off, s[0:3], 0 offset:256
	buffer_load_dword v74, off, s[0:3], 0 offset:260
	s_mov_b32 s4, exec_lo
	s_waitcnt vmcnt(0)
	ds_write_b64 v72, v[73:74]
	s_waitcnt lgkmcnt(0)
	s_barrier
	buffer_gl0_inv
	v_cmpx_gt_u32_e32 32, v0
	s_cbranch_execz .LBB33_143
; %bb.140:
	v_add_nc_u32_e32 v73, -1, v0
	v_add_nc_u32_e32 v74, 0x110, v71
	v_mov_b32_e32 v75, v71
	v_mov_b32_e32 v70, 0
	;; [unrolled: 1-line block ×3, first 2 shown]
	s_mov_b32 s5, 0
	.p2align	6
.LBB33_141:                             ; =>This Inner Loop Header: Depth=1
	s_clause 0x1
	buffer_load_dword v79, v75, s[0:3], 0 offen offset:4
	buffer_load_dword v80, v75, s[0:3], 0 offen
	ds_read_b64 v[77:78], v74
	v_add_nc_u32_e32 v73, 1, v73
	v_add_nc_u32_e32 v74, 8, v74
	;; [unrolled: 1-line block ×3, first 2 shown]
	v_cmp_lt_u32_e32 vcc_lo, 30, v73
	s_or_b32 s5, vcc_lo, s5
	s_waitcnt vmcnt(1) lgkmcnt(0)
	v_mul_f32_e32 v81, v78, v79
	v_mul_f32_e32 v79, v77, v79
	s_waitcnt vmcnt(0)
	v_fma_f32 v77, v77, v80, -v81
	v_fmac_f32_e32 v79, v78, v80
	v_add_f32_e32 v76, v76, v77
	v_add_f32_e32 v70, v70, v79
	s_andn2_b32 exec_lo, exec_lo, s5
	s_cbranch_execnz .LBB33_141
; %bb.142:
	s_or_b32 exec_lo, exec_lo, s5
	v_mov_b32_e32 v73, 0
	ds_read_b64 v[73:74], v73 offset:256
	s_waitcnt lgkmcnt(0)
	v_mul_f32_e32 v75, v70, v74
	v_mul_f32_e32 v74, v76, v74
	v_fma_f32 v75, v76, v73, -v75
	v_fmac_f32_e32 v74, v70, v73
	buffer_store_dword v75, off, s[0:3], 0 offset:256
	buffer_store_dword v74, off, s[0:3], 0 offset:260
.LBB33_143:
	s_or_b32 exec_lo, exec_lo, s4
	s_waitcnt_vscnt null, 0x0
	s_barrier
	buffer_gl0_inv
	s_clause 0x1
	buffer_load_dword v73, off, s[0:3], 0 offset:264
	buffer_load_dword v74, off, s[0:3], 0 offset:268
	s_mov_b32 s4, exec_lo
	s_waitcnt vmcnt(0)
	ds_write_b64 v72, v[73:74]
	s_waitcnt lgkmcnt(0)
	s_barrier
	buffer_gl0_inv
	v_cmpx_ne_u32_e32 33, v0
	s_cbranch_execz .LBB33_147
; %bb.144:
	v_mov_b32_e32 v70, 0
	v_mov_b32_e32 v73, 0
	s_mov_b32 s5, 0
	.p2align	6
.LBB33_145:                             ; =>This Inner Loop Header: Depth=1
	s_clause 0x1
	buffer_load_dword v76, v71, s[0:3], 0 offen offset:4
	buffer_load_dword v77, v71, s[0:3], 0 offen
	ds_read_b64 v[74:75], v72
	v_add_nc_u32_e32 v69, 1, v69
	v_add_nc_u32_e32 v72, 8, v72
	;; [unrolled: 1-line block ×3, first 2 shown]
	v_cmp_lt_u32_e32 vcc_lo, 31, v69
	s_or_b32 s5, vcc_lo, s5
	s_waitcnt vmcnt(1) lgkmcnt(0)
	v_mul_f32_e32 v78, v75, v76
	v_mul_f32_e32 v76, v74, v76
	s_waitcnt vmcnt(0)
	v_fma_f32 v74, v74, v77, -v78
	v_fmac_f32_e32 v76, v75, v77
	v_add_f32_e32 v73, v73, v74
	v_add_f32_e32 v70, v70, v76
	s_andn2_b32 exec_lo, exec_lo, s5
	s_cbranch_execnz .LBB33_145
; %bb.146:
	s_or_b32 exec_lo, exec_lo, s5
	v_mov_b32_e32 v69, 0
	ds_read_b64 v[71:72], v69 offset:264
	s_waitcnt lgkmcnt(0)
	v_mul_f32_e32 v69, v70, v72
	v_mul_f32_e32 v72, v73, v72
	v_fma_f32 v69, v73, v71, -v69
	v_fmac_f32_e32 v72, v70, v71
	buffer_store_dword v69, off, s[0:3], 0 offset:264
	buffer_store_dword v72, off, s[0:3], 0 offset:268
.LBB33_147:
	s_or_b32 exec_lo, exec_lo, s4
	s_mov_b32 s5, -1
	s_waitcnt_vscnt null, 0x0
	s_barrier
	buffer_gl0_inv
.LBB33_148:
	s_and_b32 vcc_lo, exec_lo, s5
	s_cbranch_vccz .LBB33_150
; %bb.149:
	s_lshl_b64 s[4:5], s[6:7], 2
	v_mov_b32_e32 v69, 0
	s_add_u32 s4, s10, s4
	s_addc_u32 s5, s11, s5
	global_load_dword v69, v69, s[4:5]
	s_waitcnt vmcnt(0)
	v_cmp_ne_u32_e32 vcc_lo, 0, v69
	s_cbranch_vccz .LBB33_151
.LBB33_150:
	s_endpgm
.LBB33_151:
	v_lshl_add_u32 v69, v0, 3, 0x110
	s_mov_b32 s4, exec_lo
	v_cmpx_eq_u32_e32 33, v0
	s_cbranch_execz .LBB33_153
; %bb.152:
	s_clause 0x1
	buffer_load_dword v70, off, s[0:3], 0 offset:256
	buffer_load_dword v71, off, s[0:3], 0 offset:260
	v_mov_b32_e32 v72, 0
	buffer_store_dword v72, off, s[0:3], 0 offset:256
	buffer_store_dword v72, off, s[0:3], 0 offset:260
	s_waitcnt vmcnt(0)
	ds_write_b64 v69, v[70:71]
.LBB33_153:
	s_or_b32 exec_lo, exec_lo, s4
	s_waitcnt lgkmcnt(0)
	s_waitcnt_vscnt null, 0x0
	s_barrier
	buffer_gl0_inv
	s_clause 0x3
	buffer_load_dword v73, off, s[0:3], 0 offset:268
	buffer_load_dword v74, off, s[0:3], 0 offset:264
	;; [unrolled: 1-line block ×4, first 2 shown]
	v_mov_b32_e32 v70, 0
	s_mov_b32 s4, exec_lo
	ds_read_b64 v[71:72], v70 offset:536
	s_waitcnt vmcnt(3) lgkmcnt(0)
	v_mul_f32_e32 v77, v72, v73
	v_mul_f32_e32 v73, v71, v73
	s_waitcnt vmcnt(2)
	v_fma_f32 v71, v71, v74, -v77
	v_fmac_f32_e32 v73, v72, v74
	v_add_f32_e32 v71, 0, v71
	v_add_f32_e32 v72, 0, v73
	s_waitcnt vmcnt(1)
	v_sub_f32_e32 v71, v75, v71
	s_waitcnt vmcnt(0)
	v_sub_f32_e32 v72, v76, v72
	buffer_store_dword v71, off, s[0:3], 0 offset:256
	buffer_store_dword v72, off, s[0:3], 0 offset:260
	v_cmpx_lt_u32_e32 31, v0
	s_cbranch_execz .LBB33_155
; %bb.154:
	s_clause 0x1
	buffer_load_dword v71, off, s[0:3], 0 offset:248
	buffer_load_dword v72, off, s[0:3], 0 offset:252
	buffer_store_dword v70, off, s[0:3], 0 offset:248
	buffer_store_dword v70, off, s[0:3], 0 offset:252
	s_waitcnt vmcnt(0)
	ds_write_b64 v69, v[71:72]
.LBB33_155:
	s_or_b32 exec_lo, exec_lo, s4
	s_waitcnt lgkmcnt(0)
	s_waitcnt_vscnt null, 0x0
	s_barrier
	buffer_gl0_inv
	s_clause 0x5
	buffer_load_dword v74, off, s[0:3], 0 offset:260
	buffer_load_dword v75, off, s[0:3], 0 offset:268
	;; [unrolled: 1-line block ×6, first 2 shown]
	ds_read_b128 v[70:73], v70 offset:528
	s_mov_b32 s4, exec_lo
	s_waitcnt vmcnt(5) lgkmcnt(0)
	v_mul_f32_e32 v80, v71, v74
	v_mul_f32_e32 v74, v70, v74
	s_waitcnt vmcnt(4)
	v_mul_f32_e32 v81, v72, v75
	v_mul_f32_e32 v75, v73, v75
	s_waitcnt vmcnt(3)
	v_fma_f32 v70, v70, v76, -v80
	v_fmac_f32_e32 v74, v71, v76
	s_waitcnt vmcnt(2)
	v_fmac_f32_e32 v81, v73, v77
	v_fma_f32 v71, v72, v77, -v75
	v_add_f32_e32 v70, 0, v70
	v_add_f32_e32 v72, 0, v74
	;; [unrolled: 1-line block ×4, first 2 shown]
	s_waitcnt vmcnt(1)
	v_sub_f32_e32 v70, v78, v70
	s_waitcnt vmcnt(0)
	v_sub_f32_e32 v71, v79, v71
	buffer_store_dword v70, off, s[0:3], 0 offset:248
	buffer_store_dword v71, off, s[0:3], 0 offset:252
	v_cmpx_lt_u32_e32 30, v0
	s_cbranch_execz .LBB33_157
; %bb.156:
	s_clause 0x1
	buffer_load_dword v70, off, s[0:3], 0 offset:240
	buffer_load_dword v71, off, s[0:3], 0 offset:244
	v_mov_b32_e32 v72, 0
	buffer_store_dword v72, off, s[0:3], 0 offset:240
	buffer_store_dword v72, off, s[0:3], 0 offset:244
	s_waitcnt vmcnt(0)
	ds_write_b64 v69, v[70:71]
.LBB33_157:
	s_or_b32 exec_lo, exec_lo, s4
	s_waitcnt lgkmcnt(0)
	s_waitcnt_vscnt null, 0x0
	s_barrier
	buffer_gl0_inv
	s_clause 0x7
	buffer_load_dword v77, off, s[0:3], 0 offset:252
	buffer_load_dword v78, off, s[0:3], 0 offset:260
	;; [unrolled: 1-line block ×8, first 2 shown]
	v_mov_b32_e32 v70, 0
	ds_read2_b64 v[71:74], v70 offset0:65 offset1:66
	ds_read_b64 v[75:76], v70 offset:536
	s_mov_b32 s4, exec_lo
	s_waitcnt vmcnt(7) lgkmcnt(1)
	v_mul_f32_e32 v85, v72, v77
	v_mul_f32_e32 v77, v71, v77
	s_waitcnt vmcnt(6)
	v_mul_f32_e32 v86, v73, v78
	v_mul_f32_e32 v78, v74, v78
	s_waitcnt vmcnt(5) lgkmcnt(0)
	v_mul_f32_e32 v87, v75, v79
	s_waitcnt vmcnt(4)
	v_fma_f32 v71, v71, v80, -v85
	v_fmac_f32_e32 v77, v72, v80
	v_mul_f32_e32 v72, v76, v79
	s_waitcnt vmcnt(3)
	v_fma_f32 v73, v73, v81, -v78
	v_fmac_f32_e32 v86, v74, v81
	v_add_f32_e32 v71, 0, v71
	v_add_f32_e32 v74, 0, v77
	s_waitcnt vmcnt(2)
	v_fma_f32 v72, v75, v82, -v72
	v_fmac_f32_e32 v87, v76, v82
	v_add_f32_e32 v71, v71, v73
	v_add_f32_e32 v73, v74, v86
	;; [unrolled: 1-line block ×4, first 2 shown]
	s_waitcnt vmcnt(1)
	v_sub_f32_e32 v71, v83, v71
	s_waitcnt vmcnt(0)
	v_sub_f32_e32 v72, v84, v72
	buffer_store_dword v71, off, s[0:3], 0 offset:240
	buffer_store_dword v72, off, s[0:3], 0 offset:244
	v_cmpx_lt_u32_e32 29, v0
	s_cbranch_execz .LBB33_159
; %bb.158:
	s_clause 0x1
	buffer_load_dword v71, off, s[0:3], 0 offset:232
	buffer_load_dword v72, off, s[0:3], 0 offset:236
	buffer_store_dword v70, off, s[0:3], 0 offset:232
	buffer_store_dword v70, off, s[0:3], 0 offset:236
	s_waitcnt vmcnt(0)
	ds_write_b64 v69, v[71:72]
.LBB33_159:
	s_or_b32 exec_lo, exec_lo, s4
	s_waitcnt lgkmcnt(0)
	s_waitcnt_vscnt null, 0x0
	s_barrier
	buffer_gl0_inv
	s_clause 0x9
	buffer_load_dword v79, off, s[0:3], 0 offset:244
	buffer_load_dword v80, off, s[0:3], 0 offset:252
	;; [unrolled: 1-line block ×10, first 2 shown]
	ds_read_b128 v[71:74], v70 offset:512
	ds_read_b128 v[75:78], v70 offset:528
	s_mov_b32 s4, exec_lo
	s_waitcnt vmcnt(9) lgkmcnt(1)
	v_mul_f32_e32 v70, v71, v79
	v_mul_f32_e32 v79, v72, v79
	s_waitcnt vmcnt(8)
	v_mul_f32_e32 v89, v73, v80
	v_mul_f32_e32 v80, v74, v80
	s_waitcnt vmcnt(7) lgkmcnt(0)
	v_mul_f32_e32 v90, v75, v81
	s_waitcnt vmcnt(5)
	v_fmac_f32_e32 v70, v72, v83
	v_fma_f32 v71, v71, v83, -v79
	v_mul_f32_e32 v72, v76, v81
	s_waitcnt vmcnt(4)
	v_fma_f32 v73, v73, v84, -v80
	v_fmac_f32_e32 v89, v74, v84
	v_add_f32_e32 v70, 0, v70
	v_add_f32_e32 v71, 0, v71
	v_mul_f32_e32 v74, v78, v82
	s_waitcnt vmcnt(3)
	v_fma_f32 v72, v75, v85, -v72
	v_mul_f32_e32 v91, v77, v82
	v_fmac_f32_e32 v90, v76, v85
	v_add_f32_e32 v71, v71, v73
	v_add_f32_e32 v70, v70, v89
	s_waitcnt vmcnt(2)
	v_fma_f32 v73, v77, v86, -v74
	v_fmac_f32_e32 v91, v78, v86
	v_add_f32_e32 v71, v71, v72
	v_add_f32_e32 v70, v70, v90
	;; [unrolled: 1-line block ×4, first 2 shown]
	s_waitcnt vmcnt(1)
	v_sub_f32_e32 v71, v87, v71
	s_waitcnt vmcnt(0)
	v_sub_f32_e32 v70, v88, v70
	buffer_store_dword v71, off, s[0:3], 0 offset:232
	buffer_store_dword v70, off, s[0:3], 0 offset:236
	v_cmpx_lt_u32_e32 28, v0
	s_cbranch_execz .LBB33_161
; %bb.160:
	s_clause 0x1
	buffer_load_dword v70, off, s[0:3], 0 offset:224
	buffer_load_dword v71, off, s[0:3], 0 offset:228
	v_mov_b32_e32 v72, 0
	buffer_store_dword v72, off, s[0:3], 0 offset:224
	buffer_store_dword v72, off, s[0:3], 0 offset:228
	s_waitcnt vmcnt(0)
	ds_write_b64 v69, v[70:71]
.LBB33_161:
	s_or_b32 exec_lo, exec_lo, s4
	s_waitcnt lgkmcnt(0)
	s_waitcnt_vscnt null, 0x0
	s_barrier
	buffer_gl0_inv
	s_clause 0xb
	buffer_load_dword v81, off, s[0:3], 0 offset:236
	buffer_load_dword v82, off, s[0:3], 0 offset:244
	buffer_load_dword v83, off, s[0:3], 0 offset:252
	buffer_load_dword v84, off, s[0:3], 0 offset:260
	buffer_load_dword v85, off, s[0:3], 0 offset:268
	buffer_load_dword v86, off, s[0:3], 0 offset:232
	buffer_load_dword v87, off, s[0:3], 0 offset:240
	buffer_load_dword v88, off, s[0:3], 0 offset:248
	buffer_load_dword v89, off, s[0:3], 0 offset:256
	buffer_load_dword v90, off, s[0:3], 0 offset:264
	buffer_load_dword v91, off, s[0:3], 0 offset:224
	buffer_load_dword v92, off, s[0:3], 0 offset:228
	v_mov_b32_e32 v70, 0
	ds_read2_b64 v[71:74], v70 offset0:63 offset1:64
	ds_read2_b64 v[75:78], v70 offset0:65 offset1:66
	ds_read_b64 v[79:80], v70 offset:536
	s_mov_b32 s4, exec_lo
	s_waitcnt vmcnt(11) lgkmcnt(2)
	v_mul_f32_e32 v93, v71, v81
	v_mul_f32_e32 v81, v72, v81
	s_waitcnt vmcnt(10)
	v_mul_f32_e32 v94, v73, v82
	v_mul_f32_e32 v82, v74, v82
	s_waitcnt vmcnt(9) lgkmcnt(1)
	v_mul_f32_e32 v95, v75, v83
	s_waitcnt vmcnt(6)
	v_fmac_f32_e32 v93, v72, v86
	v_fma_f32 v71, v71, v86, -v81
	v_mul_f32_e32 v72, v76, v83
	s_waitcnt vmcnt(5)
	v_fma_f32 v73, v73, v87, -v82
	v_fmac_f32_e32 v94, v74, v87
	v_add_f32_e32 v74, 0, v93
	v_add_f32_e32 v71, 0, v71
	v_mul_f32_e32 v81, v78, v84
	s_waitcnt vmcnt(4)
	v_fma_f32 v72, v75, v88, -v72
	v_mul_f32_e32 v96, v77, v84
	v_fmac_f32_e32 v95, v76, v88
	v_add_f32_e32 v71, v71, v73
	v_add_f32_e32 v73, v74, v94
	s_waitcnt lgkmcnt(0)
	v_mul_f32_e32 v74, v80, v85
	s_waitcnt vmcnt(3)
	v_fma_f32 v75, v77, v89, -v81
	v_mul_f32_e32 v97, v79, v85
	v_add_f32_e32 v71, v71, v72
	v_fmac_f32_e32 v96, v78, v89
	v_add_f32_e32 v72, v73, v95
	s_waitcnt vmcnt(2)
	v_fma_f32 v73, v79, v90, -v74
	v_fmac_f32_e32 v97, v80, v90
	v_add_f32_e32 v71, v71, v75
	v_add_f32_e32 v72, v72, v96
	;; [unrolled: 1-line block ×4, first 2 shown]
	s_waitcnt vmcnt(1)
	v_sub_f32_e32 v71, v91, v71
	s_waitcnt vmcnt(0)
	v_sub_f32_e32 v72, v92, v72
	buffer_store_dword v71, off, s[0:3], 0 offset:224
	buffer_store_dword v72, off, s[0:3], 0 offset:228
	v_cmpx_lt_u32_e32 27, v0
	s_cbranch_execz .LBB33_163
; %bb.162:
	s_clause 0x1
	buffer_load_dword v71, off, s[0:3], 0 offset:216
	buffer_load_dword v72, off, s[0:3], 0 offset:220
	buffer_store_dword v70, off, s[0:3], 0 offset:216
	buffer_store_dword v70, off, s[0:3], 0 offset:220
	s_waitcnt vmcnt(0)
	ds_write_b64 v69, v[71:72]
.LBB33_163:
	s_or_b32 exec_lo, exec_lo, s4
	s_waitcnt lgkmcnt(0)
	s_waitcnt_vscnt null, 0x0
	s_barrier
	buffer_gl0_inv
	s_clause 0xd
	buffer_load_dword v83, off, s[0:3], 0 offset:228
	buffer_load_dword v84, off, s[0:3], 0 offset:236
	buffer_load_dword v85, off, s[0:3], 0 offset:244
	buffer_load_dword v86, off, s[0:3], 0 offset:252
	buffer_load_dword v87, off, s[0:3], 0 offset:260
	buffer_load_dword v88, off, s[0:3], 0 offset:268
	buffer_load_dword v89, off, s[0:3], 0 offset:224
	buffer_load_dword v90, off, s[0:3], 0 offset:232
	buffer_load_dword v91, off, s[0:3], 0 offset:240
	buffer_load_dword v92, off, s[0:3], 0 offset:248
	buffer_load_dword v93, off, s[0:3], 0 offset:256
	buffer_load_dword v94, off, s[0:3], 0 offset:264
	buffer_load_dword v95, off, s[0:3], 0 offset:216
	buffer_load_dword v96, off, s[0:3], 0 offset:220
	ds_read_b128 v[71:74], v70 offset:496
	ds_read_b128 v[75:78], v70 offset:512
	;; [unrolled: 1-line block ×3, first 2 shown]
	s_mov_b32 s4, exec_lo
	s_waitcnt vmcnt(13) lgkmcnt(2)
	v_mul_f32_e32 v70, v71, v83
	v_mul_f32_e32 v83, v72, v83
	s_waitcnt vmcnt(12)
	v_mul_f32_e32 v97, v73, v84
	v_mul_f32_e32 v84, v74, v84
	s_waitcnt vmcnt(11) lgkmcnt(1)
	v_mul_f32_e32 v98, v75, v85
	s_waitcnt vmcnt(10)
	v_mul_f32_e32 v99, v77, v86
	s_waitcnt vmcnt(7)
	v_fma_f32 v71, v71, v89, -v83
	v_fmac_f32_e32 v70, v72, v89
	v_mul_f32_e32 v72, v76, v85
	s_waitcnt vmcnt(6)
	v_fma_f32 v73, v73, v90, -v84
	v_fmac_f32_e32 v97, v74, v90
	v_add_f32_e32 v71, 0, v71
	v_add_f32_e32 v70, 0, v70
	v_mul_f32_e32 v74, v78, v86
	s_waitcnt vmcnt(5)
	v_fma_f32 v72, v75, v91, -v72
	v_fmac_f32_e32 v98, v76, v91
	v_add_f32_e32 v71, v71, v73
	v_add_f32_e32 v70, v70, v97
	s_waitcnt lgkmcnt(0)
	v_mul_f32_e32 v73, v80, v87
	s_waitcnt vmcnt(4)
	v_fma_f32 v74, v77, v92, -v74
	v_mul_f32_e32 v100, v79, v87
	v_add_f32_e32 v71, v71, v72
	v_fmac_f32_e32 v99, v78, v92
	v_add_f32_e32 v70, v70, v98
	v_mul_f32_e32 v72, v82, v88
	s_waitcnt vmcnt(3)
	v_fma_f32 v73, v79, v93, -v73
	v_add_f32_e32 v71, v71, v74
	v_mul_f32_e32 v101, v81, v88
	v_fmac_f32_e32 v100, v80, v93
	v_add_f32_e32 v70, v70, v99
	s_waitcnt vmcnt(2)
	v_fma_f32 v72, v81, v94, -v72
	v_add_f32_e32 v71, v71, v73
	v_fmac_f32_e32 v101, v82, v94
	v_add_f32_e32 v70, v70, v100
	v_add_f32_e32 v71, v71, v72
	;; [unrolled: 1-line block ×3, first 2 shown]
	s_waitcnt vmcnt(1)
	v_sub_f32_e32 v71, v95, v71
	s_waitcnt vmcnt(0)
	v_sub_f32_e32 v70, v96, v70
	buffer_store_dword v71, off, s[0:3], 0 offset:216
	buffer_store_dword v70, off, s[0:3], 0 offset:220
	v_cmpx_lt_u32_e32 26, v0
	s_cbranch_execz .LBB33_165
; %bb.164:
	s_clause 0x1
	buffer_load_dword v70, off, s[0:3], 0 offset:208
	buffer_load_dword v71, off, s[0:3], 0 offset:212
	v_mov_b32_e32 v72, 0
	buffer_store_dword v72, off, s[0:3], 0 offset:208
	buffer_store_dword v72, off, s[0:3], 0 offset:212
	s_waitcnt vmcnt(0)
	ds_write_b64 v69, v[70:71]
.LBB33_165:
	s_or_b32 exec_lo, exec_lo, s4
	s_waitcnt lgkmcnt(0)
	s_waitcnt_vscnt null, 0x0
	s_barrier
	buffer_gl0_inv
	s_clause 0xf
	buffer_load_dword v85, off, s[0:3], 0 offset:220
	buffer_load_dword v86, off, s[0:3], 0 offset:228
	buffer_load_dword v87, off, s[0:3], 0 offset:236
	buffer_load_dword v88, off, s[0:3], 0 offset:244
	buffer_load_dword v89, off, s[0:3], 0 offset:252
	buffer_load_dword v90, off, s[0:3], 0 offset:260
	buffer_load_dword v91, off, s[0:3], 0 offset:268
	buffer_load_dword v92, off, s[0:3], 0 offset:216
	buffer_load_dword v93, off, s[0:3], 0 offset:224
	buffer_load_dword v94, off, s[0:3], 0 offset:232
	buffer_load_dword v95, off, s[0:3], 0 offset:240
	buffer_load_dword v96, off, s[0:3], 0 offset:248
	buffer_load_dword v97, off, s[0:3], 0 offset:256
	buffer_load_dword v98, off, s[0:3], 0 offset:264
	buffer_load_dword v99, off, s[0:3], 0 offset:208
	buffer_load_dword v100, off, s[0:3], 0 offset:212
	v_mov_b32_e32 v70, 0
	ds_read2_b64 v[71:74], v70 offset0:61 offset1:62
	ds_read2_b64 v[75:78], v70 offset0:63 offset1:64
	;; [unrolled: 1-line block ×3, first 2 shown]
	ds_read_b64 v[83:84], v70 offset:536
	s_mov_b32 s4, exec_lo
	s_waitcnt vmcnt(15) lgkmcnt(3)
	v_mul_f32_e32 v101, v71, v85
	v_mul_f32_e32 v85, v72, v85
	s_waitcnt vmcnt(14)
	v_mul_f32_e32 v102, v73, v86
	v_mul_f32_e32 v86, v74, v86
	s_waitcnt vmcnt(13) lgkmcnt(2)
	v_mul_f32_e32 v103, v75, v87
	s_waitcnt vmcnt(12)
	v_mul_f32_e32 v104, v77, v88
	s_waitcnt vmcnt(11) lgkmcnt(1)
	v_mul_f32_e32 v105, v79, v89
	s_waitcnt vmcnt(8)
	v_fma_f32 v71, v71, v92, -v85
	v_fmac_f32_e32 v101, v72, v92
	v_mul_f32_e32 v72, v76, v87
	s_waitcnt vmcnt(7)
	v_fma_f32 v73, v73, v93, -v86
	v_fmac_f32_e32 v102, v74, v93
	v_add_f32_e32 v71, 0, v71
	v_add_f32_e32 v74, 0, v101
	v_mul_f32_e32 v85, v78, v88
	s_waitcnt vmcnt(6)
	v_fma_f32 v72, v75, v94, -v72
	v_fmac_f32_e32 v103, v76, v94
	v_add_f32_e32 v71, v71, v73
	v_add_f32_e32 v73, v74, v102
	v_mul_f32_e32 v74, v80, v89
	s_waitcnt vmcnt(5)
	v_fma_f32 v75, v77, v95, -v85
	v_fmac_f32_e32 v104, v78, v95
	v_add_f32_e32 v71, v71, v72
	v_add_f32_e32 v72, v73, v103
	v_mul_f32_e32 v73, v82, v90
	s_waitcnt vmcnt(4)
	v_fma_f32 v74, v79, v96, -v74
	v_mul_f32_e32 v106, v81, v90
	v_add_f32_e32 v71, v71, v75
	v_fmac_f32_e32 v105, v80, v96
	v_add_f32_e32 v72, v72, v104
	s_waitcnt lgkmcnt(0)
	v_mul_f32_e32 v75, v84, v91
	s_waitcnt vmcnt(3)
	v_fma_f32 v73, v81, v97, -v73
	v_add_f32_e32 v71, v71, v74
	v_mul_f32_e32 v107, v83, v91
	v_fmac_f32_e32 v106, v82, v97
	v_add_f32_e32 v72, v72, v105
	s_waitcnt vmcnt(2)
	v_fma_f32 v74, v83, v98, -v75
	v_add_f32_e32 v71, v71, v73
	v_fmac_f32_e32 v107, v84, v98
	v_add_f32_e32 v72, v72, v106
	v_add_f32_e32 v71, v71, v74
	;; [unrolled: 1-line block ×3, first 2 shown]
	s_waitcnt vmcnt(1)
	v_sub_f32_e32 v71, v99, v71
	s_waitcnt vmcnt(0)
	v_sub_f32_e32 v72, v100, v72
	buffer_store_dword v71, off, s[0:3], 0 offset:208
	buffer_store_dword v72, off, s[0:3], 0 offset:212
	v_cmpx_lt_u32_e32 25, v0
	s_cbranch_execz .LBB33_167
; %bb.166:
	s_clause 0x1
	buffer_load_dword v71, off, s[0:3], 0 offset:200
	buffer_load_dword v72, off, s[0:3], 0 offset:204
	buffer_store_dword v70, off, s[0:3], 0 offset:200
	buffer_store_dword v70, off, s[0:3], 0 offset:204
	s_waitcnt vmcnt(0)
	ds_write_b64 v69, v[71:72]
.LBB33_167:
	s_or_b32 exec_lo, exec_lo, s4
	s_waitcnt lgkmcnt(0)
	s_waitcnt_vscnt null, 0x0
	s_barrier
	buffer_gl0_inv
	s_clause 0x11
	buffer_load_dword v87, off, s[0:3], 0 offset:212
	buffer_load_dword v88, off, s[0:3], 0 offset:220
	;; [unrolled: 1-line block ×18, first 2 shown]
	ds_read_b128 v[71:74], v70 offset:480
	ds_read_b128 v[75:78], v70 offset:496
	;; [unrolled: 1-line block ×4, first 2 shown]
	s_mov_b32 s4, exec_lo
	s_waitcnt vmcnt(17) lgkmcnt(3)
	v_mul_f32_e32 v70, v71, v87
	v_mul_f32_e32 v87, v72, v87
	s_waitcnt vmcnt(16)
	v_mul_f32_e32 v105, v73, v88
	v_mul_f32_e32 v88, v74, v88
	s_waitcnt vmcnt(15) lgkmcnt(2)
	v_mul_f32_e32 v106, v75, v89
	s_waitcnt vmcnt(14)
	v_mul_f32_e32 v107, v77, v90
	s_waitcnt vmcnt(13) lgkmcnt(1)
	v_mul_f32_e32 v108, v79, v91
	s_waitcnt vmcnt(12)
	v_mul_f32_e32 v109, v81, v92
	s_waitcnt vmcnt(9)
	v_fma_f32 v71, v71, v95, -v87
	v_fmac_f32_e32 v70, v72, v95
	v_mul_f32_e32 v72, v76, v89
	s_waitcnt vmcnt(8)
	v_fma_f32 v73, v73, v96, -v88
	v_fmac_f32_e32 v105, v74, v96
	v_add_f32_e32 v71, 0, v71
	v_add_f32_e32 v70, 0, v70
	v_mul_f32_e32 v74, v78, v90
	s_waitcnt vmcnt(7)
	v_fma_f32 v72, v75, v97, -v72
	v_fmac_f32_e32 v106, v76, v97
	v_add_f32_e32 v71, v71, v73
	v_add_f32_e32 v70, v70, v105
	;; [unrolled: 6-line block ×4, first 2 shown]
	s_waitcnt lgkmcnt(0)
	v_mul_f32_e32 v74, v84, v93
	s_waitcnt vmcnt(4)
	v_fma_f32 v72, v81, v100, -v72
	v_mul_f32_e32 v110, v83, v93
	v_add_f32_e32 v71, v71, v73
	v_fmac_f32_e32 v109, v82, v100
	v_add_f32_e32 v70, v70, v108
	v_mul_f32_e32 v73, v86, v94
	s_waitcnt vmcnt(3)
	v_fma_f32 v74, v83, v101, -v74
	v_add_f32_e32 v71, v71, v72
	v_mul_f32_e32 v111, v85, v94
	v_fmac_f32_e32 v110, v84, v101
	v_add_f32_e32 v70, v70, v109
	s_waitcnt vmcnt(2)
	v_fma_f32 v72, v85, v102, -v73
	v_add_f32_e32 v71, v71, v74
	v_fmac_f32_e32 v111, v86, v102
	v_add_f32_e32 v70, v70, v110
	v_add_f32_e32 v71, v71, v72
	;; [unrolled: 1-line block ×3, first 2 shown]
	s_waitcnt vmcnt(1)
	v_sub_f32_e32 v71, v103, v71
	s_waitcnt vmcnt(0)
	v_sub_f32_e32 v70, v104, v70
	buffer_store_dword v71, off, s[0:3], 0 offset:200
	buffer_store_dword v70, off, s[0:3], 0 offset:204
	v_cmpx_lt_u32_e32 24, v0
	s_cbranch_execz .LBB33_169
; %bb.168:
	s_clause 0x1
	buffer_load_dword v70, off, s[0:3], 0 offset:192
	buffer_load_dword v71, off, s[0:3], 0 offset:196
	v_mov_b32_e32 v72, 0
	buffer_store_dword v72, off, s[0:3], 0 offset:192
	buffer_store_dword v72, off, s[0:3], 0 offset:196
	s_waitcnt vmcnt(0)
	ds_write_b64 v69, v[70:71]
.LBB33_169:
	s_or_b32 exec_lo, exec_lo, s4
	s_waitcnt lgkmcnt(0)
	s_waitcnt_vscnt null, 0x0
	s_barrier
	buffer_gl0_inv
	s_clause 0x13
	buffer_load_dword v89, off, s[0:3], 0 offset:204
	buffer_load_dword v90, off, s[0:3], 0 offset:212
	;; [unrolled: 1-line block ×20, first 2 shown]
	v_mov_b32_e32 v70, 0
	ds_read2_b64 v[71:74], v70 offset0:59 offset1:60
	ds_read2_b64 v[75:78], v70 offset0:61 offset1:62
	;; [unrolled: 1-line block ×4, first 2 shown]
	ds_read_b64 v[87:88], v70 offset:536
	s_mov_b32 s4, exec_lo
	s_waitcnt vmcnt(19) lgkmcnt(4)
	v_mul_f32_e32 v109, v71, v89
	v_mul_f32_e32 v89, v72, v89
	s_waitcnt vmcnt(18)
	v_mul_f32_e32 v110, v73, v90
	v_mul_f32_e32 v90, v74, v90
	s_waitcnt vmcnt(17) lgkmcnt(3)
	v_mul_f32_e32 v111, v75, v91
	s_waitcnt vmcnt(16)
	v_mul_f32_e32 v112, v77, v92
	s_waitcnt vmcnt(15) lgkmcnt(2)
	v_mul_f32_e32 v113, v79, v93
	s_waitcnt vmcnt(14)
	;; [unrolled: 4-line block ×3, first 2 shown]
	v_fma_f32 v71, v71, v98, -v89
	v_fmac_f32_e32 v109, v72, v98
	v_mul_f32_e32 v72, v76, v91
	s_waitcnt vmcnt(9)
	v_fma_f32 v73, v73, v99, -v90
	v_fmac_f32_e32 v110, v74, v99
	v_add_f32_e32 v71, 0, v71
	v_add_f32_e32 v74, 0, v109
	v_mul_f32_e32 v89, v78, v92
	s_waitcnt vmcnt(8)
	v_fma_f32 v72, v75, v100, -v72
	v_fmac_f32_e32 v111, v76, v100
	v_add_f32_e32 v71, v71, v73
	v_add_f32_e32 v73, v74, v110
	v_mul_f32_e32 v74, v80, v93
	s_waitcnt vmcnt(7)
	v_fma_f32 v75, v77, v101, -v89
	v_fmac_f32_e32 v112, v78, v101
	v_add_f32_e32 v71, v71, v72
	v_add_f32_e32 v72, v73, v111
	v_mul_f32_e32 v73, v82, v94
	s_waitcnt vmcnt(6)
	v_fma_f32 v74, v79, v102, -v74
	v_fmac_f32_e32 v113, v80, v102
	v_add_f32_e32 v71, v71, v75
	v_add_f32_e32 v72, v72, v112
	v_mul_f32_e32 v75, v84, v95
	s_waitcnt vmcnt(5)
	v_fma_f32 v73, v81, v103, -v73
	v_fmac_f32_e32 v114, v82, v103
	v_add_f32_e32 v71, v71, v74
	v_add_f32_e32 v72, v72, v113
	v_mul_f32_e32 v74, v86, v96
	s_waitcnt vmcnt(4)
	v_fma_f32 v75, v83, v104, -v75
	v_mul_f32_e32 v116, v85, v96
	v_add_f32_e32 v71, v71, v73
	v_fmac_f32_e32 v115, v84, v104
	v_add_f32_e32 v72, v72, v114
	s_waitcnt lgkmcnt(0)
	v_mul_f32_e32 v73, v88, v97
	s_waitcnt vmcnt(3)
	v_fma_f32 v74, v85, v105, -v74
	v_add_f32_e32 v71, v71, v75
	v_mul_f32_e32 v117, v87, v97
	v_fmac_f32_e32 v116, v86, v105
	v_add_f32_e32 v72, v72, v115
	s_waitcnt vmcnt(2)
	v_fma_f32 v73, v87, v106, -v73
	v_add_f32_e32 v71, v71, v74
	v_fmac_f32_e32 v117, v88, v106
	v_add_f32_e32 v72, v72, v116
	v_add_f32_e32 v71, v71, v73
	;; [unrolled: 1-line block ×3, first 2 shown]
	s_waitcnt vmcnt(1)
	v_sub_f32_e32 v71, v107, v71
	s_waitcnt vmcnt(0)
	v_sub_f32_e32 v72, v108, v72
	buffer_store_dword v71, off, s[0:3], 0 offset:192
	buffer_store_dword v72, off, s[0:3], 0 offset:196
	v_cmpx_lt_u32_e32 23, v0
	s_cbranch_execz .LBB33_171
; %bb.170:
	s_clause 0x1
	buffer_load_dword v71, off, s[0:3], 0 offset:184
	buffer_load_dword v72, off, s[0:3], 0 offset:188
	buffer_store_dword v70, off, s[0:3], 0 offset:184
	buffer_store_dword v70, off, s[0:3], 0 offset:188
	s_waitcnt vmcnt(0)
	ds_write_b64 v69, v[71:72]
.LBB33_171:
	s_or_b32 exec_lo, exec_lo, s4
	s_waitcnt lgkmcnt(0)
	s_waitcnt_vscnt null, 0x0
	s_barrier
	buffer_gl0_inv
	s_clause 0x15
	buffer_load_dword v91, off, s[0:3], 0 offset:196
	buffer_load_dword v92, off, s[0:3], 0 offset:204
	;; [unrolled: 1-line block ×22, first 2 shown]
	ds_read_b128 v[71:74], v70 offset:464
	ds_read_b128 v[75:78], v70 offset:480
	ds_read_b128 v[79:82], v70 offset:496
	ds_read_b128 v[83:86], v70 offset:512
	ds_read_b128 v[87:90], v70 offset:528
	s_mov_b32 s4, exec_lo
	s_waitcnt vmcnt(21) lgkmcnt(4)
	v_mul_f32_e32 v70, v71, v91
	v_mul_f32_e32 v91, v72, v91
	s_waitcnt vmcnt(20)
	v_mul_f32_e32 v113, v73, v92
	v_mul_f32_e32 v92, v74, v92
	s_waitcnt vmcnt(19) lgkmcnt(3)
	v_mul_f32_e32 v114, v75, v93
	s_waitcnt vmcnt(18)
	v_mul_f32_e32 v115, v77, v94
	s_waitcnt vmcnt(17) lgkmcnt(2)
	v_mul_f32_e32 v116, v79, v95
	s_waitcnt vmcnt(16)
	;; [unrolled: 4-line block ×3, first 2 shown]
	v_mul_f32_e32 v119, v85, v98
	s_waitcnt vmcnt(11)
	v_fma_f32 v71, v71, v101, -v91
	v_fmac_f32_e32 v70, v72, v101
	v_mul_f32_e32 v72, v76, v93
	s_waitcnt vmcnt(10)
	v_fma_f32 v73, v73, v102, -v92
	v_fmac_f32_e32 v113, v74, v102
	v_add_f32_e32 v71, 0, v71
	v_add_f32_e32 v70, 0, v70
	v_mul_f32_e32 v74, v78, v94
	s_waitcnt vmcnt(9)
	v_fma_f32 v72, v75, v103, -v72
	v_fmac_f32_e32 v114, v76, v103
	v_add_f32_e32 v71, v71, v73
	v_add_f32_e32 v70, v70, v113
	v_mul_f32_e32 v73, v80, v95
	s_waitcnt vmcnt(8)
	v_fma_f32 v74, v77, v104, -v74
	v_fmac_f32_e32 v115, v78, v104
	v_add_f32_e32 v71, v71, v72
	v_add_f32_e32 v70, v70, v114
	v_mul_f32_e32 v72, v82, v96
	s_waitcnt vmcnt(7)
	v_fma_f32 v73, v79, v105, -v73
	v_fmac_f32_e32 v116, v80, v105
	v_add_f32_e32 v71, v71, v74
	v_add_f32_e32 v70, v70, v115
	v_mul_f32_e32 v74, v84, v97
	s_waitcnt vmcnt(6)
	v_fma_f32 v72, v81, v106, -v72
	v_fmac_f32_e32 v117, v82, v106
	v_add_f32_e32 v71, v71, v73
	v_add_f32_e32 v70, v70, v116
	v_mul_f32_e32 v73, v86, v98
	s_waitcnt vmcnt(5)
	v_fma_f32 v74, v83, v107, -v74
	v_fmac_f32_e32 v118, v84, v107
	v_add_f32_e32 v71, v71, v72
	v_add_f32_e32 v70, v70, v117
	s_waitcnt lgkmcnt(0)
	v_mul_f32_e32 v72, v88, v99
	s_waitcnt vmcnt(4)
	v_fma_f32 v73, v85, v108, -v73
	v_mul_f32_e32 v120, v87, v99
	v_add_f32_e32 v71, v71, v74
	v_fmac_f32_e32 v119, v86, v108
	v_add_f32_e32 v70, v70, v118
	v_mul_f32_e32 v74, v90, v100
	s_waitcnt vmcnt(3)
	v_fma_f32 v72, v87, v109, -v72
	v_add_f32_e32 v71, v71, v73
	v_mul_f32_e32 v121, v89, v100
	v_fmac_f32_e32 v120, v88, v109
	v_add_f32_e32 v70, v70, v119
	s_waitcnt vmcnt(2)
	v_fma_f32 v73, v89, v110, -v74
	v_add_f32_e32 v71, v71, v72
	v_fmac_f32_e32 v121, v90, v110
	v_add_f32_e32 v70, v70, v120
	v_add_f32_e32 v71, v71, v73
	;; [unrolled: 1-line block ×3, first 2 shown]
	s_waitcnt vmcnt(1)
	v_sub_f32_e32 v71, v111, v71
	s_waitcnt vmcnt(0)
	v_sub_f32_e32 v70, v112, v70
	buffer_store_dword v71, off, s[0:3], 0 offset:184
	buffer_store_dword v70, off, s[0:3], 0 offset:188
	v_cmpx_lt_u32_e32 22, v0
	s_cbranch_execz .LBB33_173
; %bb.172:
	s_clause 0x1
	buffer_load_dword v70, off, s[0:3], 0 offset:176
	buffer_load_dword v71, off, s[0:3], 0 offset:180
	v_mov_b32_e32 v72, 0
	buffer_store_dword v72, off, s[0:3], 0 offset:176
	buffer_store_dword v72, off, s[0:3], 0 offset:180
	s_waitcnt vmcnt(0)
	ds_write_b64 v69, v[70:71]
.LBB33_173:
	s_or_b32 exec_lo, exec_lo, s4
	s_waitcnt lgkmcnt(0)
	s_waitcnt_vscnt null, 0x0
	s_barrier
	buffer_gl0_inv
	s_clause 0x17
	buffer_load_dword v93, off, s[0:3], 0 offset:188
	buffer_load_dword v94, off, s[0:3], 0 offset:196
	;; [unrolled: 1-line block ×24, first 2 shown]
	v_mov_b32_e32 v70, 0
	ds_read2_b64 v[71:74], v70 offset0:57 offset1:58
	ds_read2_b64 v[75:78], v70 offset0:59 offset1:60
	;; [unrolled: 1-line block ×5, first 2 shown]
	ds_read_b64 v[91:92], v70 offset:536
	s_mov_b32 s4, exec_lo
	s_waitcnt vmcnt(23) lgkmcnt(5)
	v_mul_f32_e32 v117, v71, v93
	v_mul_f32_e32 v93, v72, v93
	s_waitcnt vmcnt(22)
	v_mul_f32_e32 v118, v73, v94
	v_mul_f32_e32 v94, v74, v94
	s_waitcnt vmcnt(21) lgkmcnt(4)
	v_mul_f32_e32 v119, v75, v95
	s_waitcnt vmcnt(20)
	v_mul_f32_e32 v120, v77, v96
	s_waitcnt vmcnt(19) lgkmcnt(3)
	v_mul_f32_e32 v121, v79, v97
	s_waitcnt vmcnt(18)
	;; [unrolled: 4-line block ×4, first 2 shown]
	v_fma_f32 v71, v71, v104, -v93
	v_fmac_f32_e32 v117, v72, v104
	v_mul_f32_e32 v72, v76, v95
	s_waitcnt vmcnt(11)
	v_fma_f32 v73, v73, v105, -v94
	v_fmac_f32_e32 v118, v74, v105
	v_add_f32_e32 v71, 0, v71
	v_add_f32_e32 v74, 0, v117
	v_mul_f32_e32 v93, v78, v96
	s_waitcnt vmcnt(10)
	v_fma_f32 v72, v75, v106, -v72
	v_fmac_f32_e32 v119, v76, v106
	v_add_f32_e32 v71, v71, v73
	v_add_f32_e32 v73, v74, v118
	;; [unrolled: 6-line block ×7, first 2 shown]
	v_mul_f32_e32 v75, v90, v102
	s_waitcnt vmcnt(4)
	v_fma_f32 v73, v87, v112, -v73
	v_mul_f32_e32 v126, v89, v102
	v_add_f32_e32 v71, v71, v74
	v_fmac_f32_e32 v125, v88, v112
	v_add_f32_e32 v72, v72, v124
	s_waitcnt lgkmcnt(0)
	v_mul_f32_e32 v74, v92, v103
	s_waitcnt vmcnt(3)
	v_fma_f32 v75, v89, v113, -v75
	v_add_f32_e32 v71, v71, v73
	v_mul_f32_e32 v127, v91, v103
	v_fmac_f32_e32 v126, v90, v113
	v_add_f32_e32 v72, v72, v125
	s_waitcnt vmcnt(2)
	v_fma_f32 v73, v91, v114, -v74
	v_add_f32_e32 v71, v71, v75
	v_fmac_f32_e32 v127, v92, v114
	v_add_f32_e32 v72, v72, v126
	v_add_f32_e32 v71, v71, v73
	;; [unrolled: 1-line block ×3, first 2 shown]
	s_waitcnt vmcnt(1)
	v_sub_f32_e32 v71, v115, v71
	s_waitcnt vmcnt(0)
	v_sub_f32_e32 v72, v116, v72
	buffer_store_dword v71, off, s[0:3], 0 offset:176
	buffer_store_dword v72, off, s[0:3], 0 offset:180
	v_cmpx_lt_u32_e32 21, v0
	s_cbranch_execz .LBB33_175
; %bb.174:
	s_clause 0x1
	buffer_load_dword v71, off, s[0:3], 0 offset:168
	buffer_load_dword v72, off, s[0:3], 0 offset:172
	buffer_store_dword v70, off, s[0:3], 0 offset:168
	buffer_store_dword v70, off, s[0:3], 0 offset:172
	s_waitcnt vmcnt(0)
	ds_write_b64 v69, v[71:72]
.LBB33_175:
	s_or_b32 exec_lo, exec_lo, s4
	s_waitcnt lgkmcnt(0)
	s_waitcnt_vscnt null, 0x0
	s_barrier
	buffer_gl0_inv
	s_clause 0x19
	buffer_load_dword v95, off, s[0:3], 0 offset:180
	buffer_load_dword v96, off, s[0:3], 0 offset:188
	;; [unrolled: 1-line block ×26, first 2 shown]
	ds_read_b128 v[71:74], v70 offset:448
	ds_read_b128 v[75:78], v70 offset:464
	;; [unrolled: 1-line block ×6, first 2 shown]
	s_mov_b32 s4, exec_lo
	s_waitcnt vmcnt(25) lgkmcnt(5)
	v_mul_f32_e32 v70, v71, v95
	v_mul_f32_e32 v95, v72, v95
	s_waitcnt vmcnt(24)
	v_mul_f32_e32 v121, v73, v96
	v_mul_f32_e32 v96, v74, v96
	s_waitcnt vmcnt(23) lgkmcnt(4)
	v_mul_f32_e32 v122, v75, v97
	s_waitcnt vmcnt(22)
	v_mul_f32_e32 v123, v77, v98
	s_waitcnt vmcnt(21) lgkmcnt(3)
	v_mul_f32_e32 v124, v79, v99
	s_waitcnt vmcnt(20)
	;; [unrolled: 4-line block ×4, first 2 shown]
	v_mul_f32_e32 v129, v89, v104
	s_waitcnt vmcnt(13)
	v_fma_f32 v71, v71, v107, -v95
	v_fmac_f32_e32 v70, v72, v107
	v_mul_f32_e32 v72, v76, v97
	s_waitcnt vmcnt(12)
	v_fma_f32 v73, v73, v108, -v96
	v_fmac_f32_e32 v121, v74, v108
	v_add_f32_e32 v71, 0, v71
	v_add_f32_e32 v70, 0, v70
	v_mul_f32_e32 v74, v78, v98
	s_waitcnt vmcnt(11)
	v_fma_f32 v72, v75, v109, -v72
	v_fmac_f32_e32 v122, v76, v109
	v_add_f32_e32 v71, v71, v73
	v_add_f32_e32 v70, v70, v121
	;; [unrolled: 6-line block ×8, first 2 shown]
	s_waitcnt lgkmcnt(0)
	v_mul_f32_e32 v73, v92, v105
	s_waitcnt vmcnt(4)
	v_fma_f32 v74, v89, v116, -v74
	v_mul_f32_e32 v130, v91, v105
	v_add_f32_e32 v71, v71, v72
	v_fmac_f32_e32 v129, v90, v116
	v_add_f32_e32 v70, v70, v128
	v_mul_f32_e32 v72, v94, v106
	s_waitcnt vmcnt(3)
	v_fma_f32 v73, v91, v117, -v73
	v_add_f32_e32 v71, v71, v74
	v_mul_f32_e32 v131, v93, v106
	v_fmac_f32_e32 v130, v92, v117
	v_add_f32_e32 v70, v70, v129
	s_waitcnt vmcnt(2)
	v_fma_f32 v72, v93, v118, -v72
	v_add_f32_e32 v71, v71, v73
	v_fmac_f32_e32 v131, v94, v118
	v_add_f32_e32 v70, v70, v130
	v_add_f32_e32 v71, v71, v72
	;; [unrolled: 1-line block ×3, first 2 shown]
	s_waitcnt vmcnt(1)
	v_sub_f32_e32 v71, v119, v71
	s_waitcnt vmcnt(0)
	v_sub_f32_e32 v70, v120, v70
	buffer_store_dword v71, off, s[0:3], 0 offset:168
	buffer_store_dword v70, off, s[0:3], 0 offset:172
	v_cmpx_lt_u32_e32 20, v0
	s_cbranch_execz .LBB33_177
; %bb.176:
	s_clause 0x1
	buffer_load_dword v70, off, s[0:3], 0 offset:160
	buffer_load_dword v71, off, s[0:3], 0 offset:164
	v_mov_b32_e32 v72, 0
	buffer_store_dword v72, off, s[0:3], 0 offset:160
	buffer_store_dword v72, off, s[0:3], 0 offset:164
	s_waitcnt vmcnt(0)
	ds_write_b64 v69, v[70:71]
.LBB33_177:
	s_or_b32 exec_lo, exec_lo, s4
	s_waitcnt lgkmcnt(0)
	s_waitcnt_vscnt null, 0x0
	s_barrier
	buffer_gl0_inv
	s_clause 0x1b
	buffer_load_dword v97, off, s[0:3], 0 offset:172
	buffer_load_dword v98, off, s[0:3], 0 offset:180
	;; [unrolled: 1-line block ×28, first 2 shown]
	v_mov_b32_e32 v70, 0
	ds_read2_b64 v[71:74], v70 offset0:55 offset1:56
	ds_read2_b64 v[75:78], v70 offset0:57 offset1:58
	;; [unrolled: 1-line block ×6, first 2 shown]
	ds_read_b64 v[95:96], v70 offset:536
	s_mov_b32 s4, exec_lo
	s_waitcnt vmcnt(27) lgkmcnt(6)
	v_mul_f32_e32 v125, v71, v97
	v_mul_f32_e32 v97, v72, v97
	s_waitcnt vmcnt(26)
	v_mul_f32_e32 v126, v73, v98
	v_mul_f32_e32 v98, v74, v98
	s_waitcnt vmcnt(25) lgkmcnt(5)
	v_mul_f32_e32 v127, v75, v99
	s_waitcnt vmcnt(24)
	v_mul_f32_e32 v128, v77, v100
	s_waitcnt vmcnt(23) lgkmcnt(4)
	v_mul_f32_e32 v129, v79, v101
	s_waitcnt vmcnt(22)
	;; [unrolled: 4-line block ×5, first 2 shown]
	v_fma_f32 v71, v71, v110, -v97
	v_fmac_f32_e32 v125, v72, v110
	v_mul_f32_e32 v72, v76, v99
	s_waitcnt vmcnt(13)
	v_fma_f32 v73, v73, v111, -v98
	v_fmac_f32_e32 v126, v74, v111
	v_add_f32_e32 v71, 0, v71
	v_add_f32_e32 v74, 0, v125
	v_mul_f32_e32 v97, v78, v100
	s_waitcnt vmcnt(12)
	v_fma_f32 v72, v75, v112, -v72
	v_fmac_f32_e32 v127, v76, v112
	v_add_f32_e32 v71, v71, v73
	v_add_f32_e32 v73, v74, v126
	;; [unrolled: 6-line block ×9, first 2 shown]
	v_mul_f32_e32 v73, v94, v108
	s_waitcnt vmcnt(4)
	v_fma_f32 v74, v91, v120, -v74
	v_mul_f32_e32 v136, v93, v108
	v_add_f32_e32 v71, v71, v75
	v_fmac_f32_e32 v135, v92, v120
	v_add_f32_e32 v72, v72, v134
	s_waitcnt lgkmcnt(0)
	v_mul_f32_e32 v75, v96, v109
	s_waitcnt vmcnt(3)
	v_fma_f32 v73, v93, v121, -v73
	v_add_f32_e32 v71, v71, v74
	v_mul_f32_e32 v137, v95, v109
	v_fmac_f32_e32 v136, v94, v121
	v_add_f32_e32 v72, v72, v135
	s_waitcnt vmcnt(2)
	v_fma_f32 v74, v95, v122, -v75
	v_add_f32_e32 v71, v71, v73
	v_fmac_f32_e32 v137, v96, v122
	v_add_f32_e32 v72, v72, v136
	v_add_f32_e32 v71, v71, v74
	;; [unrolled: 1-line block ×3, first 2 shown]
	s_waitcnt vmcnt(1)
	v_sub_f32_e32 v71, v123, v71
	s_waitcnt vmcnt(0)
	v_sub_f32_e32 v72, v124, v72
	buffer_store_dword v71, off, s[0:3], 0 offset:160
	buffer_store_dword v72, off, s[0:3], 0 offset:164
	v_cmpx_lt_u32_e32 19, v0
	s_cbranch_execz .LBB33_179
; %bb.178:
	s_clause 0x1
	buffer_load_dword v71, off, s[0:3], 0 offset:152
	buffer_load_dword v72, off, s[0:3], 0 offset:156
	buffer_store_dword v70, off, s[0:3], 0 offset:152
	buffer_store_dword v70, off, s[0:3], 0 offset:156
	s_waitcnt vmcnt(0)
	ds_write_b64 v69, v[71:72]
.LBB33_179:
	s_or_b32 exec_lo, exec_lo, s4
	s_waitcnt lgkmcnt(0)
	s_waitcnt_vscnt null, 0x0
	s_barrier
	buffer_gl0_inv
	s_clause 0x1d
	buffer_load_dword v99, off, s[0:3], 0 offset:164
	buffer_load_dword v100, off, s[0:3], 0 offset:172
	;; [unrolled: 1-line block ×30, first 2 shown]
	ds_read_b128 v[71:74], v70 offset:432
	ds_read_b128 v[75:78], v70 offset:448
	;; [unrolled: 1-line block ×7, first 2 shown]
	s_mov_b32 s4, exec_lo
	s_waitcnt vmcnt(29) lgkmcnt(6)
	v_mul_f32_e32 v70, v71, v99
	v_mul_f32_e32 v99, v72, v99
	s_waitcnt vmcnt(28)
	v_mul_f32_e32 v129, v73, v100
	v_mul_f32_e32 v100, v74, v100
	s_waitcnt vmcnt(27) lgkmcnt(5)
	v_mul_f32_e32 v130, v75, v101
	s_waitcnt vmcnt(26)
	v_mul_f32_e32 v131, v77, v102
	s_waitcnt vmcnt(25) lgkmcnt(4)
	v_mul_f32_e32 v132, v79, v103
	s_waitcnt vmcnt(24)
	;; [unrolled: 4-line block ×5, first 2 shown]
	v_mul_f32_e32 v139, v93, v110
	s_waitcnt vmcnt(15)
	v_fma_f32 v71, v71, v113, -v99
	v_fmac_f32_e32 v70, v72, v113
	v_mul_f32_e32 v72, v76, v101
	s_waitcnt vmcnt(14)
	v_fma_f32 v73, v73, v114, -v100
	v_fmac_f32_e32 v129, v74, v114
	v_add_f32_e32 v71, 0, v71
	v_add_f32_e32 v70, 0, v70
	v_mul_f32_e32 v74, v78, v102
	s_waitcnt vmcnt(13)
	v_fma_f32 v72, v75, v115, -v72
	v_fmac_f32_e32 v130, v76, v115
	v_add_f32_e32 v71, v71, v73
	v_add_f32_e32 v70, v70, v129
	;; [unrolled: 6-line block ×10, first 2 shown]
	s_waitcnt lgkmcnt(0)
	v_mul_f32_e32 v74, v96, v111
	s_waitcnt vmcnt(4)
	v_fma_f32 v72, v93, v124, -v72
	v_mul_f32_e32 v140, v95, v111
	v_add_f32_e32 v71, v71, v73
	v_fmac_f32_e32 v139, v94, v124
	v_add_f32_e32 v70, v70, v138
	v_mul_f32_e32 v73, v98, v112
	s_waitcnt vmcnt(3)
	v_fma_f32 v74, v95, v125, -v74
	v_add_f32_e32 v71, v71, v72
	v_mul_f32_e32 v141, v97, v112
	v_fmac_f32_e32 v140, v96, v125
	v_add_f32_e32 v70, v70, v139
	s_waitcnt vmcnt(2)
	v_fma_f32 v72, v97, v126, -v73
	v_add_f32_e32 v71, v71, v74
	v_fmac_f32_e32 v141, v98, v126
	v_add_f32_e32 v70, v70, v140
	v_add_f32_e32 v71, v71, v72
	;; [unrolled: 1-line block ×3, first 2 shown]
	s_waitcnt vmcnt(1)
	v_sub_f32_e32 v71, v127, v71
	s_waitcnt vmcnt(0)
	v_sub_f32_e32 v70, v128, v70
	buffer_store_dword v71, off, s[0:3], 0 offset:152
	buffer_store_dword v70, off, s[0:3], 0 offset:156
	v_cmpx_lt_u32_e32 18, v0
	s_cbranch_execz .LBB33_181
; %bb.180:
	s_clause 0x1
	buffer_load_dword v70, off, s[0:3], 0 offset:144
	buffer_load_dword v71, off, s[0:3], 0 offset:148
	v_mov_b32_e32 v72, 0
	buffer_store_dword v72, off, s[0:3], 0 offset:144
	buffer_store_dword v72, off, s[0:3], 0 offset:148
	s_waitcnt vmcnt(0)
	ds_write_b64 v69, v[70:71]
.LBB33_181:
	s_or_b32 exec_lo, exec_lo, s4
	s_waitcnt lgkmcnt(0)
	s_waitcnt_vscnt null, 0x0
	s_barrier
	buffer_gl0_inv
	s_clause 0x1f
	buffer_load_dword v101, off, s[0:3], 0 offset:156
	buffer_load_dword v102, off, s[0:3], 0 offset:164
	;; [unrolled: 1-line block ×32, first 2 shown]
	v_mov_b32_e32 v70, 0
	ds_read2_b64 v[71:74], v70 offset0:53 offset1:54
	ds_read2_b64 v[75:78], v70 offset0:55 offset1:56
	;; [unrolled: 1-line block ×7, first 2 shown]
	ds_read_b64 v[99:100], v70 offset:536
	s_mov_b32 s4, exec_lo
	s_waitcnt vmcnt(31) lgkmcnt(7)
	v_mul_f32_e32 v133, v71, v101
	v_mul_f32_e32 v101, v72, v101
	s_waitcnt vmcnt(30)
	v_mul_f32_e32 v134, v73, v102
	v_mul_f32_e32 v102, v74, v102
	s_waitcnt vmcnt(29) lgkmcnt(6)
	v_mul_f32_e32 v135, v75, v103
	s_waitcnt vmcnt(28)
	v_mul_f32_e32 v136, v77, v104
	s_waitcnt vmcnt(27) lgkmcnt(5)
	v_mul_f32_e32 v137, v79, v105
	s_waitcnt vmcnt(26)
	v_mul_f32_e32 v138, v81, v106
	s_waitcnt vmcnt(25) lgkmcnt(4)
	v_mul_f32_e32 v139, v83, v107
	s_waitcnt vmcnt(24)
	v_mul_f32_e32 v140, v85, v108
	s_waitcnt vmcnt(23) lgkmcnt(3)
	v_mul_f32_e32 v141, v87, v109
	s_waitcnt vmcnt(22)
	v_mul_f32_e32 v142, v89, v110
	s_waitcnt vmcnt(21) lgkmcnt(2)
	v_mul_f32_e32 v143, v91, v111
	s_waitcnt vmcnt(20)
	v_mul_f32_e32 v144, v93, v112
	s_waitcnt vmcnt(19) lgkmcnt(1)
	v_mul_f32_e32 v145, v95, v113
	s_waitcnt vmcnt(16)
	v_fma_f32 v71, v71, v116, -v101
	v_fmac_f32_e32 v133, v72, v116
	v_mul_f32_e32 v72, v76, v103
	s_waitcnt vmcnt(15)
	v_fma_f32 v73, v73, v117, -v102
	v_fmac_f32_e32 v134, v74, v117
	v_add_f32_e32 v71, 0, v71
	v_add_f32_e32 v74, 0, v133
	v_mul_f32_e32 v101, v78, v104
	s_waitcnt vmcnt(14)
	v_fma_f32 v72, v75, v118, -v72
	v_fmac_f32_e32 v135, v76, v118
	v_add_f32_e32 v71, v71, v73
	v_add_f32_e32 v73, v74, v134
	;; [unrolled: 6-line block ×11, first 2 shown]
	v_mul_f32_e32 v74, v98, v114
	s_waitcnt vmcnt(4)
	v_fma_f32 v75, v95, v128, -v75
	v_mul_f32_e32 v146, v97, v114
	v_add_f32_e32 v71, v71, v73
	v_fmac_f32_e32 v145, v96, v128
	v_add_f32_e32 v72, v72, v144
	s_waitcnt lgkmcnt(0)
	v_mul_f32_e32 v73, v100, v115
	s_waitcnt vmcnt(3)
	v_fma_f32 v74, v97, v129, -v74
	v_add_f32_e32 v71, v71, v75
	v_mul_f32_e32 v147, v99, v115
	v_fmac_f32_e32 v146, v98, v129
	v_add_f32_e32 v72, v72, v145
	s_waitcnt vmcnt(2)
	v_fma_f32 v73, v99, v130, -v73
	v_add_f32_e32 v71, v71, v74
	v_fmac_f32_e32 v147, v100, v130
	v_add_f32_e32 v72, v72, v146
	v_add_f32_e32 v71, v71, v73
	;; [unrolled: 1-line block ×3, first 2 shown]
	s_waitcnt vmcnt(1)
	v_sub_f32_e32 v71, v131, v71
	s_waitcnt vmcnt(0)
	v_sub_f32_e32 v72, v132, v72
	buffer_store_dword v71, off, s[0:3], 0 offset:144
	buffer_store_dword v72, off, s[0:3], 0 offset:148
	v_cmpx_lt_u32_e32 17, v0
	s_cbranch_execz .LBB33_183
; %bb.182:
	s_clause 0x1
	buffer_load_dword v71, off, s[0:3], 0 offset:136
	buffer_load_dword v72, off, s[0:3], 0 offset:140
	buffer_store_dword v70, off, s[0:3], 0 offset:136
	buffer_store_dword v70, off, s[0:3], 0 offset:140
	s_waitcnt vmcnt(0)
	ds_write_b64 v69, v[71:72]
.LBB33_183:
	s_or_b32 exec_lo, exec_lo, s4
	s_waitcnt lgkmcnt(0)
	s_waitcnt_vscnt null, 0x0
	s_barrier
	buffer_gl0_inv
	s_clause 0x21
	buffer_load_dword v103, off, s[0:3], 0 offset:148
	buffer_load_dword v104, off, s[0:3], 0 offset:156
	;; [unrolled: 1-line block ×34, first 2 shown]
	ds_read_b128 v[71:74], v70 offset:416
	ds_read_b128 v[75:78], v70 offset:432
	;; [unrolled: 1-line block ×8, first 2 shown]
	s_mov_b32 s4, exec_lo
	s_waitcnt vmcnt(33) lgkmcnt(7)
	v_mul_f32_e32 v70, v71, v103
	v_mul_f32_e32 v103, v72, v103
	s_waitcnt vmcnt(32)
	v_mul_f32_e32 v137, v73, v104
	v_mul_f32_e32 v104, v74, v104
	s_waitcnt vmcnt(31) lgkmcnt(6)
	v_mul_f32_e32 v138, v75, v105
	s_waitcnt vmcnt(30)
	v_mul_f32_e32 v139, v77, v106
	s_waitcnt vmcnt(29) lgkmcnt(5)
	v_mul_f32_e32 v140, v79, v107
	s_waitcnt vmcnt(28)
	;; [unrolled: 4-line block ×6, first 2 shown]
	v_mul_f32_e32 v149, v97, v116
	s_waitcnt vmcnt(17)
	v_fma_f32 v71, v71, v119, -v103
	v_fmac_f32_e32 v70, v72, v119
	v_mul_f32_e32 v72, v76, v105
	s_waitcnt vmcnt(16)
	v_fma_f32 v73, v73, v120, -v104
	v_fmac_f32_e32 v137, v74, v120
	v_add_f32_e32 v71, 0, v71
	v_add_f32_e32 v70, 0, v70
	v_mul_f32_e32 v74, v78, v106
	s_waitcnt vmcnt(15)
	v_fma_f32 v72, v75, v121, -v72
	v_fmac_f32_e32 v138, v76, v121
	v_add_f32_e32 v71, v71, v73
	v_add_f32_e32 v70, v70, v137
	;; [unrolled: 6-line block ×12, first 2 shown]
	s_waitcnt lgkmcnt(0)
	v_mul_f32_e32 v72, v100, v117
	s_waitcnt vmcnt(4)
	v_fma_f32 v73, v97, v132, -v73
	v_mul_f32_e32 v150, v99, v117
	v_add_f32_e32 v71, v71, v74
	v_fmac_f32_e32 v149, v98, v132
	v_add_f32_e32 v70, v70, v148
	v_mul_f32_e32 v74, v102, v118
	s_waitcnt vmcnt(3)
	v_fma_f32 v72, v99, v133, -v72
	v_add_f32_e32 v71, v71, v73
	v_mul_f32_e32 v151, v101, v118
	v_fmac_f32_e32 v150, v100, v133
	v_add_f32_e32 v70, v70, v149
	s_waitcnt vmcnt(2)
	v_fma_f32 v73, v101, v134, -v74
	v_add_f32_e32 v71, v71, v72
	v_fmac_f32_e32 v151, v102, v134
	v_add_f32_e32 v70, v70, v150
	v_add_f32_e32 v71, v71, v73
	;; [unrolled: 1-line block ×3, first 2 shown]
	s_waitcnt vmcnt(1)
	v_sub_f32_e32 v71, v135, v71
	s_waitcnt vmcnt(0)
	v_sub_f32_e32 v70, v136, v70
	buffer_store_dword v71, off, s[0:3], 0 offset:136
	buffer_store_dword v70, off, s[0:3], 0 offset:140
	v_cmpx_lt_u32_e32 16, v0
	s_cbranch_execz .LBB33_185
; %bb.184:
	s_clause 0x1
	buffer_load_dword v70, off, s[0:3], 0 offset:128
	buffer_load_dword v71, off, s[0:3], 0 offset:132
	v_mov_b32_e32 v72, 0
	buffer_store_dword v72, off, s[0:3], 0 offset:128
	buffer_store_dword v72, off, s[0:3], 0 offset:132
	s_waitcnt vmcnt(0)
	ds_write_b64 v69, v[70:71]
.LBB33_185:
	s_or_b32 exec_lo, exec_lo, s4
	s_waitcnt lgkmcnt(0)
	s_waitcnt_vscnt null, 0x0
	s_barrier
	buffer_gl0_inv
	s_clause 0x23
	buffer_load_dword v105, off, s[0:3], 0 offset:140
	buffer_load_dword v106, off, s[0:3], 0 offset:148
	;; [unrolled: 1-line block ×36, first 2 shown]
	v_mov_b32_e32 v70, 0
	ds_read2_b64 v[71:74], v70 offset0:51 offset1:52
	ds_read2_b64 v[75:78], v70 offset0:53 offset1:54
	;; [unrolled: 1-line block ×8, first 2 shown]
	ds_read_b64 v[103:104], v70 offset:536
	s_mov_b32 s4, exec_lo
	s_waitcnt vmcnt(35) lgkmcnt(8)
	v_mul_f32_e32 v141, v71, v105
	v_mul_f32_e32 v105, v72, v105
	s_waitcnt vmcnt(34)
	v_mul_f32_e32 v142, v73, v106
	v_mul_f32_e32 v106, v74, v106
	s_waitcnt vmcnt(33) lgkmcnt(7)
	v_mul_f32_e32 v143, v75, v107
	s_waitcnt vmcnt(32)
	v_mul_f32_e32 v144, v77, v108
	s_waitcnt vmcnt(31) lgkmcnt(6)
	v_mul_f32_e32 v145, v79, v109
	s_waitcnt vmcnt(30)
	v_mul_f32_e32 v146, v81, v110
	s_waitcnt vmcnt(29) lgkmcnt(5)
	v_mul_f32_e32 v147, v83, v111
	s_waitcnt vmcnt(28)
	v_mul_f32_e32 v148, v85, v112
	s_waitcnt vmcnt(27) lgkmcnt(4)
	v_mul_f32_e32 v149, v87, v113
	s_waitcnt vmcnt(26)
	v_mul_f32_e32 v150, v89, v114
	s_waitcnt vmcnt(25) lgkmcnt(3)
	v_mul_f32_e32 v151, v91, v115
	s_waitcnt vmcnt(24)
	v_mul_f32_e32 v152, v93, v116
	s_waitcnt vmcnt(23) lgkmcnt(2)
	v_mul_f32_e32 v153, v95, v117
	s_waitcnt vmcnt(22)
	v_mul_f32_e32 v154, v97, v118
	s_waitcnt vmcnt(21) lgkmcnt(1)
	v_mul_f32_e32 v155, v99, v119
	s_waitcnt vmcnt(18)
	v_fma_f32 v71, v71, v122, -v105
	v_fmac_f32_e32 v141, v72, v122
	v_mul_f32_e32 v72, v76, v107
	s_waitcnt vmcnt(17)
	v_fma_f32 v73, v73, v123, -v106
	v_fmac_f32_e32 v142, v74, v123
	v_add_f32_e32 v71, 0, v71
	v_add_f32_e32 v74, 0, v141
	v_mul_f32_e32 v105, v78, v108
	s_waitcnt vmcnt(16)
	v_fma_f32 v72, v75, v124, -v72
	v_fmac_f32_e32 v143, v76, v124
	v_add_f32_e32 v71, v71, v73
	v_add_f32_e32 v73, v74, v142
	;; [unrolled: 6-line block ×13, first 2 shown]
	v_mul_f32_e32 v75, v102, v120
	s_waitcnt vmcnt(4)
	v_fma_f32 v73, v99, v136, -v73
	v_mul_f32_e32 v156, v101, v120
	v_add_f32_e32 v71, v71, v74
	v_fmac_f32_e32 v155, v100, v136
	v_add_f32_e32 v72, v72, v154
	s_waitcnt lgkmcnt(0)
	v_mul_f32_e32 v74, v104, v121
	s_waitcnt vmcnt(3)
	v_fma_f32 v75, v101, v137, -v75
	v_add_f32_e32 v71, v71, v73
	v_mul_f32_e32 v157, v103, v121
	v_fmac_f32_e32 v156, v102, v137
	v_add_f32_e32 v72, v72, v155
	s_waitcnt vmcnt(2)
	v_fma_f32 v73, v103, v138, -v74
	v_add_f32_e32 v71, v71, v75
	v_fmac_f32_e32 v157, v104, v138
	v_add_f32_e32 v72, v72, v156
	v_add_f32_e32 v71, v71, v73
	;; [unrolled: 1-line block ×3, first 2 shown]
	s_waitcnt vmcnt(1)
	v_sub_f32_e32 v71, v139, v71
	s_waitcnt vmcnt(0)
	v_sub_f32_e32 v72, v140, v72
	buffer_store_dword v71, off, s[0:3], 0 offset:128
	buffer_store_dword v72, off, s[0:3], 0 offset:132
	v_cmpx_lt_u32_e32 15, v0
	s_cbranch_execz .LBB33_187
; %bb.186:
	s_clause 0x1
	buffer_load_dword v71, off, s[0:3], 0 offset:120
	buffer_load_dword v72, off, s[0:3], 0 offset:124
	buffer_store_dword v70, off, s[0:3], 0 offset:120
	buffer_store_dword v70, off, s[0:3], 0 offset:124
	s_waitcnt vmcnt(0)
	ds_write_b64 v69, v[71:72]
.LBB33_187:
	s_or_b32 exec_lo, exec_lo, s4
	s_waitcnt lgkmcnt(0)
	s_waitcnt_vscnt null, 0x0
	s_barrier
	buffer_gl0_inv
	s_clause 0x25
	buffer_load_dword v107, off, s[0:3], 0 offset:132
	buffer_load_dword v108, off, s[0:3], 0 offset:140
	;; [unrolled: 1-line block ×38, first 2 shown]
	ds_read_b128 v[71:74], v70 offset:400
	ds_read_b128 v[75:78], v70 offset:416
	;; [unrolled: 1-line block ×9, first 2 shown]
	s_mov_b32 s4, exec_lo
	s_waitcnt vmcnt(37) lgkmcnt(8)
	v_mul_f32_e32 v70, v71, v107
	v_mul_f32_e32 v107, v72, v107
	s_waitcnt vmcnt(36)
	v_mul_f32_e32 v145, v73, v108
	v_mul_f32_e32 v108, v74, v108
	s_waitcnt vmcnt(35) lgkmcnt(7)
	v_mul_f32_e32 v146, v75, v109
	s_waitcnt vmcnt(34)
	v_mul_f32_e32 v147, v77, v110
	s_waitcnt vmcnt(33) lgkmcnt(6)
	v_mul_f32_e32 v148, v79, v111
	s_waitcnt vmcnt(32)
	;; [unrolled: 4-line block ×7, first 2 shown]
	v_mul_f32_e32 v159, v101, v122
	s_waitcnt vmcnt(19)
	v_fma_f32 v71, v71, v125, -v107
	v_fmac_f32_e32 v70, v72, v125
	v_mul_f32_e32 v72, v76, v109
	s_waitcnt vmcnt(18)
	v_fma_f32 v73, v73, v126, -v108
	v_fmac_f32_e32 v145, v74, v126
	v_add_f32_e32 v71, 0, v71
	v_add_f32_e32 v70, 0, v70
	v_mul_f32_e32 v74, v78, v110
	s_waitcnt vmcnt(17)
	v_fma_f32 v72, v75, v127, -v72
	v_fmac_f32_e32 v146, v76, v127
	v_add_f32_e32 v71, v71, v73
	v_add_f32_e32 v70, v70, v145
	;; [unrolled: 6-line block ×14, first 2 shown]
	s_waitcnt lgkmcnt(0)
	v_mul_f32_e32 v73, v104, v123
	s_waitcnt vmcnt(4)
	v_fma_f32 v74, v101, v140, -v74
	v_mul_f32_e32 v160, v103, v123
	v_add_f32_e32 v71, v71, v72
	v_fmac_f32_e32 v159, v102, v140
	v_add_f32_e32 v70, v70, v158
	v_mul_f32_e32 v72, v106, v124
	s_waitcnt vmcnt(3)
	v_fma_f32 v73, v103, v141, -v73
	v_add_f32_e32 v71, v71, v74
	v_mul_f32_e32 v161, v105, v124
	v_fmac_f32_e32 v160, v104, v141
	v_add_f32_e32 v70, v70, v159
	s_waitcnt vmcnt(2)
	v_fma_f32 v72, v105, v142, -v72
	v_add_f32_e32 v71, v71, v73
	v_fmac_f32_e32 v161, v106, v142
	v_add_f32_e32 v70, v70, v160
	v_add_f32_e32 v71, v71, v72
	;; [unrolled: 1-line block ×3, first 2 shown]
	s_waitcnt vmcnt(1)
	v_sub_f32_e32 v71, v143, v71
	s_waitcnt vmcnt(0)
	v_sub_f32_e32 v70, v144, v70
	buffer_store_dword v71, off, s[0:3], 0 offset:120
	buffer_store_dword v70, off, s[0:3], 0 offset:124
	v_cmpx_lt_u32_e32 14, v0
	s_cbranch_execz .LBB33_189
; %bb.188:
	s_clause 0x1
	buffer_load_dword v70, off, s[0:3], 0 offset:112
	buffer_load_dword v71, off, s[0:3], 0 offset:116
	v_mov_b32_e32 v72, 0
	buffer_store_dword v72, off, s[0:3], 0 offset:112
	buffer_store_dword v72, off, s[0:3], 0 offset:116
	s_waitcnt vmcnt(0)
	ds_write_b64 v69, v[70:71]
.LBB33_189:
	s_or_b32 exec_lo, exec_lo, s4
	s_waitcnt lgkmcnt(0)
	s_waitcnt_vscnt null, 0x0
	s_barrier
	buffer_gl0_inv
	s_clause 0x27
	buffer_load_dword v109, off, s[0:3], 0 offset:124
	buffer_load_dword v110, off, s[0:3], 0 offset:132
	;; [unrolled: 1-line block ×40, first 2 shown]
	v_mov_b32_e32 v70, 0
	ds_read2_b64 v[71:74], v70 offset0:49 offset1:50
	ds_read2_b64 v[75:78], v70 offset0:51 offset1:52
	;; [unrolled: 1-line block ×9, first 2 shown]
	ds_read_b64 v[107:108], v70 offset:536
	s_mov_b32 s4, exec_lo
	s_waitcnt vmcnt(39) lgkmcnt(9)
	v_mul_f32_e32 v149, v71, v109
	v_mul_f32_e32 v109, v72, v109
	s_waitcnt vmcnt(38)
	v_mul_f32_e32 v150, v73, v110
	v_mul_f32_e32 v110, v74, v110
	s_waitcnt vmcnt(37) lgkmcnt(8)
	v_mul_f32_e32 v151, v75, v111
	s_waitcnt vmcnt(36)
	v_mul_f32_e32 v152, v77, v112
	s_waitcnt vmcnt(35) lgkmcnt(7)
	v_mul_f32_e32 v153, v79, v113
	s_waitcnt vmcnt(34)
	;; [unrolled: 4-line block ×8, first 2 shown]
	v_fma_f32 v71, v71, v128, -v109
	v_fmac_f32_e32 v149, v72, v128
	v_mul_f32_e32 v72, v76, v111
	s_waitcnt vmcnt(19)
	v_fma_f32 v73, v73, v129, -v110
	v_fmac_f32_e32 v150, v74, v129
	v_add_f32_e32 v71, 0, v71
	v_add_f32_e32 v74, 0, v149
	v_mul_f32_e32 v109, v78, v112
	s_waitcnt vmcnt(18)
	v_fma_f32 v72, v75, v130, -v72
	v_fmac_f32_e32 v151, v76, v130
	v_add_f32_e32 v71, v71, v73
	v_add_f32_e32 v73, v74, v150
	;; [unrolled: 6-line block ×15, first 2 shown]
	v_mul_f32_e32 v73, v106, v126
	s_waitcnt vmcnt(4)
	v_fma_f32 v74, v103, v144, -v74
	v_mul_f32_e32 v166, v105, v126
	v_add_f32_e32 v71, v71, v75
	v_fmac_f32_e32 v165, v104, v144
	v_add_f32_e32 v72, v72, v164
	s_waitcnt lgkmcnt(0)
	v_mul_f32_e32 v75, v108, v127
	s_waitcnt vmcnt(3)
	v_fma_f32 v73, v105, v145, -v73
	v_add_f32_e32 v71, v71, v74
	v_mul_f32_e32 v167, v107, v127
	v_fmac_f32_e32 v166, v106, v145
	v_add_f32_e32 v72, v72, v165
	s_waitcnt vmcnt(2)
	v_fma_f32 v74, v107, v146, -v75
	v_add_f32_e32 v71, v71, v73
	v_fmac_f32_e32 v167, v108, v146
	v_add_f32_e32 v72, v72, v166
	v_add_f32_e32 v71, v71, v74
	;; [unrolled: 1-line block ×3, first 2 shown]
	s_waitcnt vmcnt(1)
	v_sub_f32_e32 v71, v147, v71
	s_waitcnt vmcnt(0)
	v_sub_f32_e32 v72, v148, v72
	buffer_store_dword v71, off, s[0:3], 0 offset:112
	buffer_store_dword v72, off, s[0:3], 0 offset:116
	v_cmpx_lt_u32_e32 13, v0
	s_cbranch_execz .LBB33_191
; %bb.190:
	s_clause 0x1
	buffer_load_dword v71, off, s[0:3], 0 offset:104
	buffer_load_dword v72, off, s[0:3], 0 offset:108
	buffer_store_dword v70, off, s[0:3], 0 offset:104
	buffer_store_dword v70, off, s[0:3], 0 offset:108
	s_waitcnt vmcnt(0)
	ds_write_b64 v69, v[71:72]
.LBB33_191:
	s_or_b32 exec_lo, exec_lo, s4
	s_waitcnt lgkmcnt(0)
	s_waitcnt_vscnt null, 0x0
	s_barrier
	buffer_gl0_inv
	s_clause 0x29
	buffer_load_dword v111, off, s[0:3], 0 offset:116
	buffer_load_dword v112, off, s[0:3], 0 offset:124
	;; [unrolled: 1-line block ×42, first 2 shown]
	ds_read_b128 v[71:74], v70 offset:384
	ds_read_b128 v[75:78], v70 offset:400
	ds_read_b128 v[79:82], v70 offset:416
	ds_read_b128 v[83:86], v70 offset:432
	ds_read_b128 v[87:90], v70 offset:448
	ds_read_b128 v[91:94], v70 offset:464
	ds_read_b128 v[95:98], v70 offset:480
	ds_read_b128 v[99:102], v70 offset:496
	ds_read_b128 v[103:106], v70 offset:512
	ds_read_b128 v[107:110], v70 offset:528
	s_mov_b32 s4, exec_lo
	s_waitcnt vmcnt(41) lgkmcnt(9)
	v_mul_f32_e32 v70, v71, v111
	v_mul_f32_e32 v111, v72, v111
	s_waitcnt vmcnt(40)
	v_mul_f32_e32 v153, v73, v112
	v_mul_f32_e32 v112, v74, v112
	s_waitcnt vmcnt(39) lgkmcnt(8)
	v_mul_f32_e32 v154, v75, v113
	s_waitcnt vmcnt(38)
	v_mul_f32_e32 v155, v77, v114
	s_waitcnt vmcnt(37) lgkmcnt(7)
	v_mul_f32_e32 v156, v79, v115
	s_waitcnt vmcnt(36)
	;; [unrolled: 4-line block ×8, first 2 shown]
	v_mul_f32_e32 v169, v105, v128
	s_waitcnt vmcnt(21)
	v_fma_f32 v71, v71, v131, -v111
	v_fmac_f32_e32 v70, v72, v131
	v_mul_f32_e32 v72, v76, v113
	s_waitcnt vmcnt(20)
	v_fma_f32 v73, v73, v132, -v112
	v_fmac_f32_e32 v153, v74, v132
	v_add_f32_e32 v71, 0, v71
	v_add_f32_e32 v70, 0, v70
	v_mul_f32_e32 v74, v78, v114
	s_waitcnt vmcnt(19)
	v_fma_f32 v72, v75, v133, -v72
	v_fmac_f32_e32 v154, v76, v133
	v_add_f32_e32 v71, v71, v73
	v_add_f32_e32 v70, v70, v153
	;; [unrolled: 6-line block ×16, first 2 shown]
	s_waitcnt lgkmcnt(0)
	v_mul_f32_e32 v74, v108, v129
	s_waitcnt vmcnt(4)
	v_fma_f32 v72, v105, v148, -v72
	v_mul_f32_e32 v170, v107, v129
	v_add_f32_e32 v71, v71, v73
	v_fmac_f32_e32 v169, v106, v148
	v_add_f32_e32 v70, v70, v168
	v_mul_f32_e32 v73, v110, v130
	s_waitcnt vmcnt(3)
	v_fma_f32 v74, v107, v149, -v74
	v_add_f32_e32 v71, v71, v72
	v_mul_f32_e32 v171, v109, v130
	v_fmac_f32_e32 v170, v108, v149
	v_add_f32_e32 v70, v70, v169
	s_waitcnt vmcnt(2)
	v_fma_f32 v72, v109, v150, -v73
	v_add_f32_e32 v71, v71, v74
	v_fmac_f32_e32 v171, v110, v150
	v_add_f32_e32 v70, v70, v170
	v_add_f32_e32 v71, v71, v72
	;; [unrolled: 1-line block ×3, first 2 shown]
	s_waitcnt vmcnt(1)
	v_sub_f32_e32 v71, v151, v71
	s_waitcnt vmcnt(0)
	v_sub_f32_e32 v70, v152, v70
	buffer_store_dword v71, off, s[0:3], 0 offset:104
	buffer_store_dword v70, off, s[0:3], 0 offset:108
	v_cmpx_lt_u32_e32 12, v0
	s_cbranch_execz .LBB33_193
; %bb.192:
	s_clause 0x1
	buffer_load_dword v70, off, s[0:3], 0 offset:96
	buffer_load_dword v71, off, s[0:3], 0 offset:100
	v_mov_b32_e32 v72, 0
	buffer_store_dword v72, off, s[0:3], 0 offset:96
	buffer_store_dword v72, off, s[0:3], 0 offset:100
	s_waitcnt vmcnt(0)
	ds_write_b64 v69, v[70:71]
.LBB33_193:
	s_or_b32 exec_lo, exec_lo, s4
	s_waitcnt lgkmcnt(0)
	s_waitcnt_vscnt null, 0x0
	s_barrier
	buffer_gl0_inv
	s_clause 0x2b
	buffer_load_dword v113, off, s[0:3], 0 offset:108
	buffer_load_dword v114, off, s[0:3], 0 offset:116
	;; [unrolled: 1-line block ×44, first 2 shown]
	v_mov_b32_e32 v70, 0
	ds_read2_b64 v[71:74], v70 offset0:47 offset1:48
	ds_read2_b64 v[75:78], v70 offset0:49 offset1:50
	;; [unrolled: 1-line block ×10, first 2 shown]
	ds_read_b64 v[111:112], v70 offset:536
	s_mov_b32 s4, exec_lo
	s_waitcnt vmcnt(43) lgkmcnt(10)
	v_mul_f32_e32 v157, v71, v113
	v_mul_f32_e32 v113, v72, v113
	s_waitcnt vmcnt(42)
	v_mul_f32_e32 v158, v73, v114
	v_mul_f32_e32 v114, v74, v114
	s_waitcnt vmcnt(41) lgkmcnt(9)
	v_mul_f32_e32 v159, v75, v115
	s_waitcnt vmcnt(40)
	v_mul_f32_e32 v160, v77, v116
	s_waitcnt vmcnt(39) lgkmcnt(8)
	v_mul_f32_e32 v161, v79, v117
	s_waitcnt vmcnt(38)
	;; [unrolled: 4-line block ×9, first 2 shown]
	v_fma_f32 v71, v71, v134, -v113
	v_fmac_f32_e32 v157, v72, v134
	v_mul_f32_e32 v72, v76, v115
	s_waitcnt vmcnt(21)
	v_fma_f32 v73, v73, v135, -v114
	v_fmac_f32_e32 v158, v74, v135
	v_add_f32_e32 v71, 0, v71
	v_add_f32_e32 v74, 0, v157
	v_mul_f32_e32 v113, v78, v116
	s_waitcnt vmcnt(20)
	v_fma_f32 v72, v75, v136, -v72
	v_fmac_f32_e32 v159, v76, v136
	v_add_f32_e32 v71, v71, v73
	v_add_f32_e32 v73, v74, v158
	;; [unrolled: 6-line block ×17, first 2 shown]
	v_mul_f32_e32 v74, v110, v132
	s_waitcnt vmcnt(4)
	v_fma_f32 v75, v107, v152, -v75
	v_mul_f32_e32 v176, v109, v132
	v_add_f32_e32 v71, v71, v73
	v_fmac_f32_e32 v175, v108, v152
	v_add_f32_e32 v72, v72, v174
	s_waitcnt lgkmcnt(0)
	v_mul_f32_e32 v73, v112, v133
	s_waitcnt vmcnt(3)
	v_fma_f32 v74, v109, v153, -v74
	v_add_f32_e32 v71, v71, v75
	v_mul_f32_e32 v177, v111, v133
	v_fmac_f32_e32 v176, v110, v153
	v_add_f32_e32 v72, v72, v175
	s_waitcnt vmcnt(2)
	v_fma_f32 v73, v111, v154, -v73
	v_add_f32_e32 v71, v71, v74
	v_fmac_f32_e32 v177, v112, v154
	v_add_f32_e32 v72, v72, v176
	v_add_f32_e32 v71, v71, v73
	;; [unrolled: 1-line block ×3, first 2 shown]
	s_waitcnt vmcnt(1)
	v_sub_f32_e32 v71, v155, v71
	s_waitcnt vmcnt(0)
	v_sub_f32_e32 v72, v156, v72
	buffer_store_dword v71, off, s[0:3], 0 offset:96
	buffer_store_dword v72, off, s[0:3], 0 offset:100
	v_cmpx_lt_u32_e32 11, v0
	s_cbranch_execz .LBB33_195
; %bb.194:
	s_clause 0x1
	buffer_load_dword v71, off, s[0:3], 0 offset:88
	buffer_load_dword v72, off, s[0:3], 0 offset:92
	buffer_store_dword v70, off, s[0:3], 0 offset:88
	buffer_store_dword v70, off, s[0:3], 0 offset:92
	s_waitcnt vmcnt(0)
	ds_write_b64 v69, v[71:72]
.LBB33_195:
	s_or_b32 exec_lo, exec_lo, s4
	s_waitcnt lgkmcnt(0)
	s_waitcnt_vscnt null, 0x0
	s_barrier
	buffer_gl0_inv
	s_clause 0x2d
	buffer_load_dword v115, off, s[0:3], 0 offset:100
	buffer_load_dword v116, off, s[0:3], 0 offset:108
	;; [unrolled: 1-line block ×46, first 2 shown]
	ds_read_b128 v[71:74], v70 offset:368
	ds_read_b128 v[75:78], v70 offset:384
	;; [unrolled: 1-line block ×11, first 2 shown]
	s_mov_b32 s4, exec_lo
	s_waitcnt vmcnt(45) lgkmcnt(10)
	v_mul_f32_e32 v70, v71, v115
	v_mul_f32_e32 v115, v72, v115
	s_waitcnt vmcnt(44)
	v_mul_f32_e32 v161, v73, v116
	v_mul_f32_e32 v116, v74, v116
	s_waitcnt vmcnt(43) lgkmcnt(9)
	v_mul_f32_e32 v162, v75, v117
	s_waitcnt vmcnt(42)
	v_mul_f32_e32 v163, v77, v118
	s_waitcnt vmcnt(41) lgkmcnt(8)
	v_mul_f32_e32 v164, v79, v119
	s_waitcnt vmcnt(40)
	;; [unrolled: 4-line block ×9, first 2 shown]
	v_mul_f32_e32 v179, v109, v134
	s_waitcnt vmcnt(23)
	v_fma_f32 v71, v71, v137, -v115
	v_fmac_f32_e32 v70, v72, v137
	v_mul_f32_e32 v72, v76, v117
	s_waitcnt vmcnt(22)
	v_fma_f32 v73, v73, v138, -v116
	v_fmac_f32_e32 v161, v74, v138
	v_add_f32_e32 v71, 0, v71
	v_add_f32_e32 v70, 0, v70
	v_mul_f32_e32 v74, v78, v118
	s_waitcnt vmcnt(21)
	v_fma_f32 v72, v75, v139, -v72
	v_fmac_f32_e32 v162, v76, v139
	v_add_f32_e32 v71, v71, v73
	v_add_f32_e32 v70, v70, v161
	;; [unrolled: 6-line block ×18, first 2 shown]
	s_waitcnt lgkmcnt(0)
	v_mul_f32_e32 v72, v112, v135
	s_waitcnt vmcnt(4)
	v_fma_f32 v73, v109, v156, -v73
	v_mul_f32_e32 v180, v111, v135
	v_add_f32_e32 v71, v71, v74
	v_fmac_f32_e32 v179, v110, v156
	v_add_f32_e32 v70, v70, v178
	v_mul_f32_e32 v74, v114, v136
	s_waitcnt vmcnt(3)
	v_fma_f32 v72, v111, v157, -v72
	v_add_f32_e32 v71, v71, v73
	v_mul_f32_e32 v181, v113, v136
	v_fmac_f32_e32 v180, v112, v157
	v_add_f32_e32 v70, v70, v179
	s_waitcnt vmcnt(2)
	v_fma_f32 v73, v113, v158, -v74
	v_add_f32_e32 v71, v71, v72
	v_fmac_f32_e32 v181, v114, v158
	v_add_f32_e32 v70, v70, v180
	v_add_f32_e32 v71, v71, v73
	;; [unrolled: 1-line block ×3, first 2 shown]
	s_waitcnt vmcnt(1)
	v_sub_f32_e32 v71, v159, v71
	s_waitcnt vmcnt(0)
	v_sub_f32_e32 v70, v160, v70
	buffer_store_dword v71, off, s[0:3], 0 offset:88
	buffer_store_dword v70, off, s[0:3], 0 offset:92
	v_cmpx_lt_u32_e32 10, v0
	s_cbranch_execz .LBB33_197
; %bb.196:
	s_clause 0x1
	buffer_load_dword v70, off, s[0:3], 0 offset:80
	buffer_load_dword v71, off, s[0:3], 0 offset:84
	v_mov_b32_e32 v72, 0
	buffer_store_dword v72, off, s[0:3], 0 offset:80
	buffer_store_dword v72, off, s[0:3], 0 offset:84
	s_waitcnt vmcnt(0)
	ds_write_b64 v69, v[70:71]
.LBB33_197:
	s_or_b32 exec_lo, exec_lo, s4
	s_waitcnt lgkmcnt(0)
	s_waitcnt_vscnt null, 0x0
	s_barrier
	buffer_gl0_inv
	s_clause 0x2f
	buffer_load_dword v117, off, s[0:3], 0 offset:92
	buffer_load_dword v118, off, s[0:3], 0 offset:100
	;; [unrolled: 1-line block ×48, first 2 shown]
	v_mov_b32_e32 v70, 0
	ds_read2_b64 v[71:74], v70 offset0:45 offset1:46
	ds_read2_b64 v[75:78], v70 offset0:47 offset1:48
	;; [unrolled: 1-line block ×11, first 2 shown]
	ds_read_b64 v[115:116], v70 offset:536
	s_mov_b32 s4, exec_lo
	s_waitcnt vmcnt(47) lgkmcnt(11)
	v_mul_f32_e32 v165, v71, v117
	v_mul_f32_e32 v117, v72, v117
	s_waitcnt vmcnt(46)
	v_mul_f32_e32 v166, v73, v118
	v_mul_f32_e32 v118, v74, v118
	s_waitcnt vmcnt(45) lgkmcnt(10)
	v_mul_f32_e32 v167, v75, v119
	s_waitcnt vmcnt(44)
	v_mul_f32_e32 v168, v77, v120
	s_waitcnt vmcnt(43) lgkmcnt(9)
	v_mul_f32_e32 v169, v79, v121
	s_waitcnt vmcnt(42)
	v_mul_f32_e32 v170, v81, v122
	s_waitcnt vmcnt(41) lgkmcnt(8)
	v_mul_f32_e32 v171, v83, v123
	s_waitcnt vmcnt(40)
	v_mul_f32_e32 v172, v85, v124
	s_waitcnt vmcnt(39) lgkmcnt(7)
	v_mul_f32_e32 v173, v87, v125
	s_waitcnt vmcnt(38)
	v_mul_f32_e32 v174, v89, v126
	s_waitcnt vmcnt(37) lgkmcnt(6)
	v_mul_f32_e32 v175, v91, v127
	s_waitcnt vmcnt(36)
	v_mul_f32_e32 v176, v93, v128
	s_waitcnt vmcnt(35) lgkmcnt(5)
	v_mul_f32_e32 v177, v95, v129
	s_waitcnt vmcnt(34)
	v_mul_f32_e32 v178, v97, v130
	s_waitcnt vmcnt(33) lgkmcnt(4)
	v_mul_f32_e32 v179, v99, v131
	s_waitcnt vmcnt(32)
	v_mul_f32_e32 v180, v101, v132
	s_waitcnt vmcnt(31) lgkmcnt(3)
	v_mul_f32_e32 v181, v103, v133
	s_waitcnt vmcnt(30)
	v_mul_f32_e32 v182, v105, v134
	s_waitcnt vmcnt(29) lgkmcnt(2)
	v_mul_f32_e32 v183, v107, v135
	s_waitcnt vmcnt(28)
	v_mul_f32_e32 v184, v109, v136
	s_waitcnt vmcnt(27) lgkmcnt(1)
	v_mul_f32_e32 v185, v111, v137
	s_waitcnt vmcnt(24)
	v_fma_f32 v71, v71, v140, -v117
	v_fmac_f32_e32 v165, v72, v140
	v_mul_f32_e32 v72, v76, v119
	s_waitcnt vmcnt(23)
	v_fma_f32 v73, v73, v141, -v118
	v_fmac_f32_e32 v166, v74, v141
	v_add_f32_e32 v71, 0, v71
	v_add_f32_e32 v74, 0, v165
	v_mul_f32_e32 v117, v78, v120
	s_waitcnt vmcnt(22)
	v_fma_f32 v72, v75, v142, -v72
	v_fmac_f32_e32 v167, v76, v142
	v_add_f32_e32 v71, v71, v73
	v_add_f32_e32 v73, v74, v166
	;; [unrolled: 6-line block ×19, first 2 shown]
	v_mul_f32_e32 v75, v114, v138
	s_waitcnt vmcnt(4)
	v_fma_f32 v73, v111, v160, -v73
	v_mul_f32_e32 v186, v113, v138
	v_add_f32_e32 v71, v71, v74
	v_fmac_f32_e32 v185, v112, v160
	v_add_f32_e32 v72, v72, v184
	s_waitcnt lgkmcnt(0)
	v_mul_f32_e32 v74, v116, v139
	s_waitcnt vmcnt(3)
	v_fma_f32 v75, v113, v161, -v75
	v_add_f32_e32 v71, v71, v73
	v_mul_f32_e32 v187, v115, v139
	v_fmac_f32_e32 v186, v114, v161
	v_add_f32_e32 v72, v72, v185
	s_waitcnt vmcnt(2)
	v_fma_f32 v73, v115, v162, -v74
	v_add_f32_e32 v71, v71, v75
	v_fmac_f32_e32 v187, v116, v162
	v_add_f32_e32 v72, v72, v186
	v_add_f32_e32 v71, v71, v73
	;; [unrolled: 1-line block ×3, first 2 shown]
	s_waitcnt vmcnt(1)
	v_sub_f32_e32 v71, v163, v71
	s_waitcnt vmcnt(0)
	v_sub_f32_e32 v72, v164, v72
	buffer_store_dword v71, off, s[0:3], 0 offset:80
	buffer_store_dword v72, off, s[0:3], 0 offset:84
	v_cmpx_lt_u32_e32 9, v0
	s_cbranch_execz .LBB33_199
; %bb.198:
	s_clause 0x1
	buffer_load_dword v71, off, s[0:3], 0 offset:72
	buffer_load_dword v72, off, s[0:3], 0 offset:76
	buffer_store_dword v70, off, s[0:3], 0 offset:72
	buffer_store_dword v70, off, s[0:3], 0 offset:76
	s_waitcnt vmcnt(0)
	ds_write_b64 v69, v[71:72]
.LBB33_199:
	s_or_b32 exec_lo, exec_lo, s4
	s_waitcnt lgkmcnt(0)
	s_waitcnt_vscnt null, 0x0
	s_barrier
	buffer_gl0_inv
	s_clause 0x31
	buffer_load_dword v119, off, s[0:3], 0 offset:84
	buffer_load_dword v120, off, s[0:3], 0 offset:92
	buffer_load_dword v121, off, s[0:3], 0 offset:100
	buffer_load_dword v122, off, s[0:3], 0 offset:108
	buffer_load_dword v123, off, s[0:3], 0 offset:116
	buffer_load_dword v124, off, s[0:3], 0 offset:124
	buffer_load_dword v125, off, s[0:3], 0 offset:132
	buffer_load_dword v126, off, s[0:3], 0 offset:140
	buffer_load_dword v127, off, s[0:3], 0 offset:148
	buffer_load_dword v128, off, s[0:3], 0 offset:156
	buffer_load_dword v129, off, s[0:3], 0 offset:164
	buffer_load_dword v130, off, s[0:3], 0 offset:172
	buffer_load_dword v131, off, s[0:3], 0 offset:180
	buffer_load_dword v132, off, s[0:3], 0 offset:188
	buffer_load_dword v133, off, s[0:3], 0 offset:196
	buffer_load_dword v134, off, s[0:3], 0 offset:204
	buffer_load_dword v135, off, s[0:3], 0 offset:212
	buffer_load_dword v136, off, s[0:3], 0 offset:220
	buffer_load_dword v137, off, s[0:3], 0 offset:228
	buffer_load_dword v138, off, s[0:3], 0 offset:236
	buffer_load_dword v139, off, s[0:3], 0 offset:244
	buffer_load_dword v140, off, s[0:3], 0 offset:252
	buffer_load_dword v141, off, s[0:3], 0 offset:260
	buffer_load_dword v142, off, s[0:3], 0 offset:268
	buffer_load_dword v143, off, s[0:3], 0 offset:80
	buffer_load_dword v144, off, s[0:3], 0 offset:88
	buffer_load_dword v145, off, s[0:3], 0 offset:96
	buffer_load_dword v146, off, s[0:3], 0 offset:104
	buffer_load_dword v147, off, s[0:3], 0 offset:112
	buffer_load_dword v148, off, s[0:3], 0 offset:120
	buffer_load_dword v149, off, s[0:3], 0 offset:128
	buffer_load_dword v150, off, s[0:3], 0 offset:136
	buffer_load_dword v151, off, s[0:3], 0 offset:144
	buffer_load_dword v152, off, s[0:3], 0 offset:152
	buffer_load_dword v153, off, s[0:3], 0 offset:160
	buffer_load_dword v154, off, s[0:3], 0 offset:168
	buffer_load_dword v155, off, s[0:3], 0 offset:176
	buffer_load_dword v156, off, s[0:3], 0 offset:184
	buffer_load_dword v157, off, s[0:3], 0 offset:192
	buffer_load_dword v158, off, s[0:3], 0 offset:200
	buffer_load_dword v159, off, s[0:3], 0 offset:208
	buffer_load_dword v160, off, s[0:3], 0 offset:216
	buffer_load_dword v161, off, s[0:3], 0 offset:224
	buffer_load_dword v162, off, s[0:3], 0 offset:232
	buffer_load_dword v163, off, s[0:3], 0 offset:240
	buffer_load_dword v164, off, s[0:3], 0 offset:248
	buffer_load_dword v165, off, s[0:3], 0 offset:256
	buffer_load_dword v166, off, s[0:3], 0 offset:264
	buffer_load_dword v167, off, s[0:3], 0 offset:72
	buffer_load_dword v168, off, s[0:3], 0 offset:76
	ds_read_b128 v[71:74], v70 offset:352
	ds_read_b128 v[75:78], v70 offset:368
	;; [unrolled: 1-line block ×12, first 2 shown]
	s_mov_b32 s4, exec_lo
	s_waitcnt vmcnt(49) lgkmcnt(11)
	v_mul_f32_e32 v70, v71, v119
	v_mul_f32_e32 v119, v72, v119
	s_waitcnt vmcnt(48)
	v_mul_f32_e32 v169, v73, v120
	v_mul_f32_e32 v120, v74, v120
	s_waitcnt vmcnt(47) lgkmcnt(10)
	v_mul_f32_e32 v170, v75, v121
	s_waitcnt vmcnt(46)
	v_mul_f32_e32 v171, v77, v122
	s_waitcnt vmcnt(45) lgkmcnt(9)
	v_mul_f32_e32 v172, v79, v123
	s_waitcnt vmcnt(44)
	;; [unrolled: 4-line block ×10, first 2 shown]
	v_mul_f32_e32 v189, v113, v140
	s_waitcnt vmcnt(25)
	v_fma_f32 v71, v71, v143, -v119
	v_fmac_f32_e32 v70, v72, v143
	v_mul_f32_e32 v72, v76, v121
	s_waitcnt vmcnt(24)
	v_fma_f32 v73, v73, v144, -v120
	v_fmac_f32_e32 v169, v74, v144
	v_add_f32_e32 v71, 0, v71
	v_add_f32_e32 v70, 0, v70
	v_mul_f32_e32 v74, v78, v122
	s_waitcnt vmcnt(23)
	v_fma_f32 v72, v75, v145, -v72
	v_fmac_f32_e32 v170, v76, v145
	v_add_f32_e32 v71, v71, v73
	v_add_f32_e32 v70, v70, v169
	;; [unrolled: 6-line block ×20, first 2 shown]
	s_waitcnt lgkmcnt(0)
	v_mul_f32_e32 v73, v116, v141
	s_waitcnt vmcnt(4)
	v_fma_f32 v74, v113, v164, -v74
	v_mul_f32_e32 v190, v115, v141
	v_add_f32_e32 v71, v71, v72
	v_fmac_f32_e32 v189, v114, v164
	v_add_f32_e32 v70, v70, v188
	v_mul_f32_e32 v72, v118, v142
	s_waitcnt vmcnt(3)
	v_fma_f32 v73, v115, v165, -v73
	v_add_f32_e32 v71, v71, v74
	v_mul_f32_e32 v191, v117, v142
	v_fmac_f32_e32 v190, v116, v165
	v_add_f32_e32 v70, v70, v189
	s_waitcnt vmcnt(2)
	v_fma_f32 v72, v117, v166, -v72
	v_add_f32_e32 v71, v71, v73
	v_fmac_f32_e32 v191, v118, v166
	v_add_f32_e32 v70, v70, v190
	v_add_f32_e32 v71, v71, v72
	v_add_f32_e32 v70, v70, v191
	s_waitcnt vmcnt(1)
	v_sub_f32_e32 v71, v167, v71
	s_waitcnt vmcnt(0)
	v_sub_f32_e32 v70, v168, v70
	buffer_store_dword v71, off, s[0:3], 0 offset:72
	buffer_store_dword v70, off, s[0:3], 0 offset:76
	v_cmpx_lt_u32_e32 8, v0
	s_cbranch_execz .LBB33_201
; %bb.200:
	s_clause 0x1
	buffer_load_dword v70, off, s[0:3], 0 offset:64
	buffer_load_dword v71, off, s[0:3], 0 offset:68
	v_mov_b32_e32 v72, 0
	buffer_store_dword v72, off, s[0:3], 0 offset:64
	buffer_store_dword v72, off, s[0:3], 0 offset:68
	s_waitcnt vmcnt(0)
	ds_write_b64 v69, v[70:71]
.LBB33_201:
	s_or_b32 exec_lo, exec_lo, s4
	s_waitcnt lgkmcnt(0)
	s_waitcnt_vscnt null, 0x0
	s_barrier
	buffer_gl0_inv
	s_clause 0x33
	buffer_load_dword v121, off, s[0:3], 0 offset:76
	buffer_load_dword v122, off, s[0:3], 0 offset:84
	;; [unrolled: 1-line block ×52, first 2 shown]
	v_mov_b32_e32 v70, 0
	ds_read2_b64 v[71:74], v70 offset0:43 offset1:44
	ds_read2_b64 v[75:78], v70 offset0:45 offset1:46
	;; [unrolled: 1-line block ×12, first 2 shown]
	ds_read_b64 v[119:120], v70 offset:536
	s_mov_b32 s4, exec_lo
	s_waitcnt vmcnt(51) lgkmcnt(12)
	v_mul_f32_e32 v173, v71, v121
	v_mul_f32_e32 v121, v72, v121
	s_waitcnt vmcnt(50)
	v_mul_f32_e32 v174, v73, v122
	v_mul_f32_e32 v122, v74, v122
	s_waitcnt vmcnt(49) lgkmcnt(11)
	v_mul_f32_e32 v175, v75, v123
	s_waitcnt vmcnt(48)
	v_mul_f32_e32 v176, v77, v124
	s_waitcnt vmcnt(47) lgkmcnt(10)
	v_mul_f32_e32 v177, v79, v125
	s_waitcnt vmcnt(46)
	;; [unrolled: 4-line block ×11, first 2 shown]
	v_fma_f32 v71, v71, v146, -v121
	v_fmac_f32_e32 v173, v72, v146
	v_mul_f32_e32 v72, v76, v123
	s_waitcnt vmcnt(25)
	v_fma_f32 v73, v73, v147, -v122
	v_fmac_f32_e32 v174, v74, v147
	v_add_f32_e32 v71, 0, v71
	v_add_f32_e32 v74, 0, v173
	v_mul_f32_e32 v121, v78, v124
	s_waitcnt vmcnt(24)
	v_fma_f32 v72, v75, v148, -v72
	v_fmac_f32_e32 v175, v76, v148
	v_add_f32_e32 v71, v71, v73
	v_add_f32_e32 v73, v74, v174
	;; [unrolled: 6-line block ×21, first 2 shown]
	v_mul_f32_e32 v73, v118, v144
	s_waitcnt vmcnt(4)
	v_fma_f32 v74, v115, v168, -v74
	v_mul_f32_e32 v196, v117, v144
	v_add_f32_e32 v71, v71, v75
	v_fmac_f32_e32 v195, v116, v168
	v_add_f32_e32 v72, v72, v194
	s_waitcnt lgkmcnt(0)
	v_mul_f32_e32 v75, v120, v145
	s_waitcnt vmcnt(3)
	v_fma_f32 v73, v117, v169, -v73
	v_add_f32_e32 v71, v71, v74
	v_mul_f32_e32 v197, v119, v145
	v_fmac_f32_e32 v196, v118, v169
	v_add_f32_e32 v72, v72, v195
	s_waitcnt vmcnt(2)
	v_fma_f32 v74, v119, v170, -v75
	v_add_f32_e32 v71, v71, v73
	v_fmac_f32_e32 v197, v120, v170
	v_add_f32_e32 v72, v72, v196
	v_add_f32_e32 v71, v71, v74
	;; [unrolled: 1-line block ×3, first 2 shown]
	s_waitcnt vmcnt(1)
	v_sub_f32_e32 v71, v171, v71
	s_waitcnt vmcnt(0)
	v_sub_f32_e32 v72, v172, v72
	buffer_store_dword v71, off, s[0:3], 0 offset:64
	buffer_store_dword v72, off, s[0:3], 0 offset:68
	v_cmpx_lt_u32_e32 7, v0
	s_cbranch_execz .LBB33_203
; %bb.202:
	s_clause 0x1
	buffer_load_dword v71, off, s[0:3], 0 offset:56
	buffer_load_dword v72, off, s[0:3], 0 offset:60
	buffer_store_dword v70, off, s[0:3], 0 offset:56
	buffer_store_dword v70, off, s[0:3], 0 offset:60
	s_waitcnt vmcnt(0)
	ds_write_b64 v69, v[71:72]
.LBB33_203:
	s_or_b32 exec_lo, exec_lo, s4
	s_waitcnt lgkmcnt(0)
	s_waitcnt_vscnt null, 0x0
	s_barrier
	buffer_gl0_inv
	s_clause 0x35
	buffer_load_dword v123, off, s[0:3], 0 offset:68
	buffer_load_dword v124, off, s[0:3], 0 offset:76
	;; [unrolled: 1-line block ×54, first 2 shown]
	ds_read_b128 v[71:74], v70 offset:336
	ds_read_b128 v[75:78], v70 offset:352
	;; [unrolled: 1-line block ×13, first 2 shown]
	s_mov_b32 s4, exec_lo
	s_waitcnt vmcnt(53) lgkmcnt(12)
	v_mul_f32_e32 v70, v71, v123
	v_mul_f32_e32 v123, v72, v123
	s_waitcnt vmcnt(52)
	v_mul_f32_e32 v177, v73, v124
	v_mul_f32_e32 v124, v74, v124
	s_waitcnt vmcnt(51) lgkmcnt(11)
	v_mul_f32_e32 v178, v75, v125
	s_waitcnt vmcnt(50)
	v_mul_f32_e32 v179, v77, v126
	s_waitcnt vmcnt(49) lgkmcnt(10)
	v_mul_f32_e32 v180, v79, v127
	s_waitcnt vmcnt(48)
	;; [unrolled: 4-line block ×11, first 2 shown]
	v_mul_f32_e32 v199, v117, v146
	s_waitcnt vmcnt(27)
	v_fma_f32 v71, v71, v149, -v123
	v_fmac_f32_e32 v70, v72, v149
	v_mul_f32_e32 v72, v76, v125
	s_waitcnt vmcnt(26)
	v_fma_f32 v73, v73, v150, -v124
	v_fmac_f32_e32 v177, v74, v150
	v_add_f32_e32 v71, 0, v71
	v_add_f32_e32 v70, 0, v70
	v_mul_f32_e32 v74, v78, v126
	s_waitcnt vmcnt(25)
	v_fma_f32 v72, v75, v151, -v72
	v_fmac_f32_e32 v178, v76, v151
	v_add_f32_e32 v71, v71, v73
	v_add_f32_e32 v70, v70, v177
	;; [unrolled: 6-line block ×22, first 2 shown]
	s_waitcnt lgkmcnt(0)
	v_mul_f32_e32 v74, v120, v147
	s_waitcnt vmcnt(4)
	v_fma_f32 v72, v117, v172, -v72
	v_mul_f32_e32 v200, v119, v147
	v_add_f32_e32 v71, v71, v73
	v_fmac_f32_e32 v199, v118, v172
	v_add_f32_e32 v70, v70, v198
	v_mul_f32_e32 v73, v122, v148
	s_waitcnt vmcnt(3)
	v_fma_f32 v74, v119, v173, -v74
	v_add_f32_e32 v71, v71, v72
	v_mul_f32_e32 v201, v121, v148
	v_fmac_f32_e32 v200, v120, v173
	v_add_f32_e32 v70, v70, v199
	s_waitcnt vmcnt(2)
	v_fma_f32 v72, v121, v174, -v73
	v_add_f32_e32 v71, v71, v74
	v_fmac_f32_e32 v201, v122, v174
	v_add_f32_e32 v70, v70, v200
	v_add_f32_e32 v71, v71, v72
	;; [unrolled: 1-line block ×3, first 2 shown]
	s_waitcnt vmcnt(1)
	v_sub_f32_e32 v71, v175, v71
	s_waitcnt vmcnt(0)
	v_sub_f32_e32 v70, v176, v70
	buffer_store_dword v71, off, s[0:3], 0 offset:56
	buffer_store_dword v70, off, s[0:3], 0 offset:60
	v_cmpx_lt_u32_e32 6, v0
	s_cbranch_execz .LBB33_205
; %bb.204:
	s_clause 0x1
	buffer_load_dword v70, off, s[0:3], 0 offset:48
	buffer_load_dword v71, off, s[0:3], 0 offset:52
	v_mov_b32_e32 v72, 0
	buffer_store_dword v72, off, s[0:3], 0 offset:48
	buffer_store_dword v72, off, s[0:3], 0 offset:52
	s_waitcnt vmcnt(0)
	ds_write_b64 v69, v[70:71]
.LBB33_205:
	s_or_b32 exec_lo, exec_lo, s4
	s_waitcnt lgkmcnt(0)
	s_waitcnt_vscnt null, 0x0
	s_barrier
	buffer_gl0_inv
	s_clause 0x37
	buffer_load_dword v125, off, s[0:3], 0 offset:60
	buffer_load_dword v126, off, s[0:3], 0 offset:68
	;; [unrolled: 1-line block ×56, first 2 shown]
	v_mov_b32_e32 v70, 0
	ds_read2_b64 v[71:74], v70 offset0:41 offset1:42
	ds_read2_b64 v[75:78], v70 offset0:43 offset1:44
	;; [unrolled: 1-line block ×13, first 2 shown]
	ds_read_b64 v[123:124], v70 offset:536
	s_mov_b32 s4, exec_lo
	s_waitcnt vmcnt(55) lgkmcnt(13)
	v_mul_f32_e32 v181, v71, v125
	v_mul_f32_e32 v125, v72, v125
	s_waitcnt vmcnt(54)
	v_mul_f32_e32 v182, v73, v126
	v_mul_f32_e32 v126, v74, v126
	s_waitcnt vmcnt(53) lgkmcnt(12)
	v_mul_f32_e32 v183, v75, v127
	s_waitcnt vmcnt(52)
	v_mul_f32_e32 v184, v77, v128
	s_waitcnt vmcnt(51) lgkmcnt(11)
	v_mul_f32_e32 v185, v79, v129
	s_waitcnt vmcnt(50)
	;; [unrolled: 4-line block ×12, first 2 shown]
	v_fma_f32 v71, v71, v152, -v125
	v_fmac_f32_e32 v181, v72, v152
	v_mul_f32_e32 v72, v76, v127
	s_waitcnt vmcnt(27)
	v_fma_f32 v73, v73, v153, -v126
	v_fmac_f32_e32 v182, v74, v153
	v_add_f32_e32 v71, 0, v71
	v_add_f32_e32 v74, 0, v181
	v_mul_f32_e32 v125, v78, v128
	s_waitcnt vmcnt(26)
	v_fma_f32 v72, v75, v154, -v72
	v_fmac_f32_e32 v183, v76, v154
	v_add_f32_e32 v71, v71, v73
	v_add_f32_e32 v73, v74, v182
	;; [unrolled: 6-line block ×23, first 2 shown]
	v_mul_f32_e32 v74, v122, v150
	s_waitcnt vmcnt(4)
	v_fma_f32 v75, v119, v176, -v75
	v_mul_f32_e32 v206, v121, v150
	v_add_f32_e32 v71, v71, v73
	v_fmac_f32_e32 v205, v120, v176
	v_add_f32_e32 v72, v72, v204
	s_waitcnt lgkmcnt(0)
	v_mul_f32_e32 v73, v124, v151
	s_waitcnt vmcnt(3)
	v_fma_f32 v74, v121, v177, -v74
	v_add_f32_e32 v71, v71, v75
	v_mul_f32_e32 v207, v123, v151
	v_fmac_f32_e32 v206, v122, v177
	v_add_f32_e32 v72, v72, v205
	s_waitcnt vmcnt(2)
	v_fma_f32 v73, v123, v178, -v73
	v_add_f32_e32 v71, v71, v74
	v_fmac_f32_e32 v207, v124, v178
	v_add_f32_e32 v72, v72, v206
	v_add_f32_e32 v71, v71, v73
	;; [unrolled: 1-line block ×3, first 2 shown]
	s_waitcnt vmcnt(1)
	v_sub_f32_e32 v71, v179, v71
	s_waitcnt vmcnt(0)
	v_sub_f32_e32 v72, v180, v72
	buffer_store_dword v71, off, s[0:3], 0 offset:48
	buffer_store_dword v72, off, s[0:3], 0 offset:52
	v_cmpx_lt_u32_e32 5, v0
	s_cbranch_execz .LBB33_207
; %bb.206:
	s_clause 0x1
	buffer_load_dword v71, off, s[0:3], 0 offset:40
	buffer_load_dword v72, off, s[0:3], 0 offset:44
	buffer_store_dword v70, off, s[0:3], 0 offset:40
	buffer_store_dword v70, off, s[0:3], 0 offset:44
	s_waitcnt vmcnt(0)
	ds_write_b64 v69, v[71:72]
.LBB33_207:
	s_or_b32 exec_lo, exec_lo, s4
	s_waitcnt lgkmcnt(0)
	s_waitcnt_vscnt null, 0x0
	s_barrier
	buffer_gl0_inv
	s_clause 0x39
	buffer_load_dword v127, off, s[0:3], 0 offset:52
	buffer_load_dword v128, off, s[0:3], 0 offset:60
	;; [unrolled: 1-line block ×58, first 2 shown]
	ds_read_b128 v[71:74], v70 offset:320
	ds_read_b128 v[75:78], v70 offset:336
	;; [unrolled: 1-line block ×14, first 2 shown]
	s_mov_b32 s4, exec_lo
	s_waitcnt vmcnt(57) lgkmcnt(13)
	v_mul_f32_e32 v70, v71, v127
	v_mul_f32_e32 v127, v72, v127
	s_waitcnt vmcnt(56)
	v_mul_f32_e32 v185, v73, v128
	v_mul_f32_e32 v128, v74, v128
	s_waitcnt vmcnt(55) lgkmcnt(12)
	v_mul_f32_e32 v186, v75, v129
	s_waitcnt vmcnt(54)
	v_mul_f32_e32 v187, v77, v130
	s_waitcnt vmcnt(53) lgkmcnt(11)
	v_mul_f32_e32 v188, v79, v131
	s_waitcnt vmcnt(52)
	;; [unrolled: 4-line block ×12, first 2 shown]
	v_mul_f32_e32 v209, v121, v152
	s_waitcnt vmcnt(29)
	v_fma_f32 v71, v71, v155, -v127
	v_fmac_f32_e32 v70, v72, v155
	v_mul_f32_e32 v72, v76, v129
	s_waitcnt vmcnt(28)
	v_fma_f32 v73, v73, v156, -v128
	v_fmac_f32_e32 v185, v74, v156
	v_add_f32_e32 v71, 0, v71
	v_add_f32_e32 v70, 0, v70
	v_mul_f32_e32 v74, v78, v130
	s_waitcnt vmcnt(27)
	v_fma_f32 v72, v75, v157, -v72
	v_fmac_f32_e32 v186, v76, v157
	v_add_f32_e32 v71, v71, v73
	v_add_f32_e32 v70, v70, v185
	v_mul_f32_e32 v73, v80, v131
	s_waitcnt vmcnt(26)
	v_fma_f32 v74, v77, v158, -v74
	v_fmac_f32_e32 v187, v78, v158
	v_add_f32_e32 v71, v71, v72
	v_add_f32_e32 v70, v70, v186
	v_mul_f32_e32 v72, v82, v132
	s_waitcnt vmcnt(25)
	v_fma_f32 v73, v79, v159, -v73
	v_fmac_f32_e32 v188, v80, v159
	v_add_f32_e32 v71, v71, v74
	v_add_f32_e32 v70, v70, v187
	v_mul_f32_e32 v74, v84, v133
	s_waitcnt vmcnt(24)
	v_fma_f32 v72, v81, v160, -v72
	v_fmac_f32_e32 v189, v82, v160
	v_add_f32_e32 v71, v71, v73
	v_add_f32_e32 v70, v70, v188
	v_mul_f32_e32 v73, v86, v134
	s_waitcnt vmcnt(23)
	v_fma_f32 v74, v83, v161, -v74
	v_fmac_f32_e32 v190, v84, v161
	v_add_f32_e32 v71, v71, v72
	v_add_f32_e32 v70, v70, v189
	v_mul_f32_e32 v72, v88, v135
	s_waitcnt vmcnt(22)
	v_fma_f32 v73, v85, v162, -v73
	v_fmac_f32_e32 v191, v86, v162
	v_add_f32_e32 v71, v71, v74
	v_add_f32_e32 v70, v70, v190
	v_mul_f32_e32 v74, v90, v136
	s_waitcnt vmcnt(21)
	v_fma_f32 v72, v87, v163, -v72
	v_fmac_f32_e32 v192, v88, v163
	v_add_f32_e32 v71, v71, v73
	v_add_f32_e32 v70, v70, v191
	v_mul_f32_e32 v73, v92, v137
	s_waitcnt vmcnt(20)
	v_fma_f32 v74, v89, v164, -v74
	v_fmac_f32_e32 v193, v90, v164
	v_add_f32_e32 v71, v71, v72
	v_add_f32_e32 v70, v70, v192
	v_mul_f32_e32 v72, v94, v138
	s_waitcnt vmcnt(19)
	v_fma_f32 v73, v91, v165, -v73
	v_fmac_f32_e32 v194, v92, v165
	v_add_f32_e32 v71, v71, v74
	v_add_f32_e32 v70, v70, v193
	v_mul_f32_e32 v74, v96, v139
	s_waitcnt vmcnt(18)
	v_fma_f32 v72, v93, v166, -v72
	v_fmac_f32_e32 v195, v94, v166
	v_add_f32_e32 v71, v71, v73
	v_add_f32_e32 v70, v70, v194
	v_mul_f32_e32 v73, v98, v140
	s_waitcnt vmcnt(17)
	v_fma_f32 v74, v95, v167, -v74
	v_fmac_f32_e32 v196, v96, v167
	v_add_f32_e32 v71, v71, v72
	v_add_f32_e32 v70, v70, v195
	v_mul_f32_e32 v72, v100, v141
	s_waitcnt vmcnt(16)
	v_fma_f32 v73, v97, v168, -v73
	v_fmac_f32_e32 v197, v98, v168
	v_add_f32_e32 v71, v71, v74
	v_add_f32_e32 v70, v70, v196
	v_mul_f32_e32 v74, v102, v142
	s_waitcnt vmcnt(15)
	v_fma_f32 v72, v99, v169, -v72
	v_fmac_f32_e32 v198, v100, v169
	v_add_f32_e32 v71, v71, v73
	v_add_f32_e32 v70, v70, v197
	v_mul_f32_e32 v73, v104, v143
	s_waitcnt vmcnt(14)
	v_fma_f32 v74, v101, v170, -v74
	v_fmac_f32_e32 v199, v102, v170
	v_add_f32_e32 v71, v71, v72
	v_add_f32_e32 v70, v70, v198
	v_mul_f32_e32 v72, v106, v144
	s_waitcnt vmcnt(13)
	v_fma_f32 v73, v103, v171, -v73
	v_fmac_f32_e32 v200, v104, v171
	v_add_f32_e32 v71, v71, v74
	v_add_f32_e32 v70, v70, v199
	v_mul_f32_e32 v74, v108, v145
	s_waitcnt vmcnt(12)
	v_fma_f32 v72, v105, v172, -v72
	v_fmac_f32_e32 v201, v106, v172
	v_add_f32_e32 v71, v71, v73
	v_add_f32_e32 v70, v70, v200
	v_mul_f32_e32 v73, v110, v146
	s_waitcnt vmcnt(11)
	v_fma_f32 v74, v107, v173, -v74
	v_fmac_f32_e32 v202, v108, v173
	v_add_f32_e32 v71, v71, v72
	v_add_f32_e32 v70, v70, v201
	v_mul_f32_e32 v72, v112, v147
	s_waitcnt vmcnt(10)
	v_fma_f32 v73, v109, v174, -v73
	v_fmac_f32_e32 v203, v110, v174
	v_add_f32_e32 v71, v71, v74
	v_add_f32_e32 v70, v70, v202
	v_mul_f32_e32 v74, v114, v148
	s_waitcnt vmcnt(9)
	v_fma_f32 v72, v111, v175, -v72
	v_fmac_f32_e32 v204, v112, v175
	v_add_f32_e32 v71, v71, v73
	v_add_f32_e32 v70, v70, v203
	v_mul_f32_e32 v73, v116, v149
	s_waitcnt vmcnt(8)
	v_fma_f32 v74, v113, v176, -v74
	v_fmac_f32_e32 v205, v114, v176
	v_add_f32_e32 v71, v71, v72
	v_add_f32_e32 v70, v70, v204
	v_mul_f32_e32 v72, v118, v150
	s_waitcnt vmcnt(7)
	v_fma_f32 v73, v115, v177, -v73
	v_fmac_f32_e32 v206, v116, v177
	v_add_f32_e32 v71, v71, v74
	v_add_f32_e32 v70, v70, v205
	v_mul_f32_e32 v74, v120, v151
	s_waitcnt vmcnt(6)
	v_fma_f32 v72, v117, v178, -v72
	v_fmac_f32_e32 v207, v118, v178
	v_add_f32_e32 v71, v71, v73
	v_add_f32_e32 v70, v70, v206
	v_mul_f32_e32 v73, v122, v152
	s_waitcnt vmcnt(5)
	v_fma_f32 v74, v119, v179, -v74
	v_fmac_f32_e32 v208, v120, v179
	v_add_f32_e32 v71, v71, v72
	v_add_f32_e32 v70, v70, v207
	s_waitcnt lgkmcnt(0)
	v_mul_f32_e32 v72, v124, v153
	s_waitcnt vmcnt(4)
	v_fma_f32 v73, v121, v180, -v73
	v_mul_f32_e32 v210, v123, v153
	v_add_f32_e32 v71, v71, v74
	v_fmac_f32_e32 v209, v122, v180
	v_add_f32_e32 v70, v70, v208
	v_mul_f32_e32 v74, v126, v154
	s_waitcnt vmcnt(3)
	v_fma_f32 v72, v123, v181, -v72
	v_add_f32_e32 v71, v71, v73
	v_mul_f32_e32 v211, v125, v154
	v_fmac_f32_e32 v210, v124, v181
	v_add_f32_e32 v70, v70, v209
	s_waitcnt vmcnt(2)
	v_fma_f32 v73, v125, v182, -v74
	v_add_f32_e32 v71, v71, v72
	v_fmac_f32_e32 v211, v126, v182
	v_add_f32_e32 v70, v70, v210
	v_add_f32_e32 v71, v71, v73
	;; [unrolled: 1-line block ×3, first 2 shown]
	s_waitcnt vmcnt(1)
	v_sub_f32_e32 v71, v183, v71
	s_waitcnt vmcnt(0)
	v_sub_f32_e32 v70, v184, v70
	buffer_store_dword v71, off, s[0:3], 0 offset:40
	buffer_store_dword v70, off, s[0:3], 0 offset:44
	v_cmpx_lt_u32_e32 4, v0
	s_cbranch_execz .LBB33_209
; %bb.208:
	s_clause 0x1
	buffer_load_dword v70, off, s[0:3], 0 offset:32
	buffer_load_dword v71, off, s[0:3], 0 offset:36
	v_mov_b32_e32 v72, 0
	buffer_store_dword v72, off, s[0:3], 0 offset:32
	buffer_store_dword v72, off, s[0:3], 0 offset:36
	s_waitcnt vmcnt(0)
	ds_write_b64 v69, v[70:71]
.LBB33_209:
	s_or_b32 exec_lo, exec_lo, s4
	s_waitcnt lgkmcnt(0)
	s_waitcnt_vscnt null, 0x0
	s_barrier
	buffer_gl0_inv
	s_clause 0x3b
	buffer_load_dword v129, off, s[0:3], 0 offset:44
	buffer_load_dword v130, off, s[0:3], 0 offset:52
	;; [unrolled: 1-line block ×60, first 2 shown]
	v_mov_b32_e32 v70, 0
	ds_read2_b64 v[71:74], v70 offset0:39 offset1:40
	ds_read2_b64 v[75:78], v70 offset0:41 offset1:42
	;; [unrolled: 1-line block ×14, first 2 shown]
	ds_read_b64 v[127:128], v70 offset:536
	s_mov_b32 s4, exec_lo
	s_waitcnt vmcnt(59) lgkmcnt(14)
	v_mul_f32_e32 v189, v71, v129
	v_mul_f32_e32 v129, v72, v129
	s_waitcnt vmcnt(58)
	v_mul_f32_e32 v190, v73, v130
	v_mul_f32_e32 v130, v74, v130
	s_waitcnt vmcnt(57) lgkmcnt(13)
	v_mul_f32_e32 v191, v75, v131
	s_waitcnt vmcnt(56)
	v_mul_f32_e32 v192, v77, v132
	s_waitcnt vmcnt(55) lgkmcnt(12)
	v_mul_f32_e32 v193, v79, v133
	s_waitcnt vmcnt(54)
	;; [unrolled: 4-line block ×13, first 2 shown]
	v_fma_f32 v71, v71, v158, -v129
	v_fmac_f32_e32 v189, v72, v158
	v_mul_f32_e32 v72, v76, v131
	s_waitcnt vmcnt(29)
	v_fma_f32 v73, v73, v159, -v130
	v_fmac_f32_e32 v190, v74, v159
	v_add_f32_e32 v71, 0, v71
	v_add_f32_e32 v74, 0, v189
	v_mul_f32_e32 v129, v78, v132
	s_waitcnt vmcnt(28)
	v_fma_f32 v72, v75, v160, -v72
	v_fmac_f32_e32 v191, v76, v160
	v_add_f32_e32 v71, v71, v73
	v_add_f32_e32 v73, v74, v190
	;; [unrolled: 6-line block ×25, first 2 shown]
	v_mul_f32_e32 v75, v126, v156
	s_waitcnt vmcnt(4)
	v_fma_f32 v73, v123, v184, -v73
	v_mul_f32_e32 v216, v125, v156
	v_add_f32_e32 v71, v71, v74
	v_fmac_f32_e32 v215, v124, v184
	v_add_f32_e32 v72, v72, v214
	s_waitcnt lgkmcnt(0)
	v_mul_f32_e32 v74, v128, v157
	s_waitcnt vmcnt(3)
	v_fma_f32 v75, v125, v185, -v75
	v_add_f32_e32 v71, v71, v73
	v_mul_f32_e32 v217, v127, v157
	v_fmac_f32_e32 v216, v126, v185
	v_add_f32_e32 v72, v72, v215
	s_waitcnt vmcnt(2)
	v_fma_f32 v73, v127, v186, -v74
	v_add_f32_e32 v71, v71, v75
	v_fmac_f32_e32 v217, v128, v186
	v_add_f32_e32 v72, v72, v216
	v_add_f32_e32 v71, v71, v73
	;; [unrolled: 1-line block ×3, first 2 shown]
	s_waitcnt vmcnt(1)
	v_sub_f32_e32 v71, v187, v71
	s_waitcnt vmcnt(0)
	v_sub_f32_e32 v72, v188, v72
	buffer_store_dword v71, off, s[0:3], 0 offset:32
	buffer_store_dword v72, off, s[0:3], 0 offset:36
	v_cmpx_lt_u32_e32 3, v0
	s_cbranch_execz .LBB33_211
; %bb.210:
	s_clause 0x1
	buffer_load_dword v71, off, s[0:3], 0 offset:24
	buffer_load_dword v72, off, s[0:3], 0 offset:28
	buffer_store_dword v70, off, s[0:3], 0 offset:24
	buffer_store_dword v70, off, s[0:3], 0 offset:28
	s_waitcnt vmcnt(0)
	ds_write_b64 v69, v[71:72]
.LBB33_211:
	s_or_b32 exec_lo, exec_lo, s4
	s_waitcnt lgkmcnt(0)
	s_waitcnt_vscnt null, 0x0
	s_barrier
	buffer_gl0_inv
	s_clause 0x3d
	buffer_load_dword v131, off, s[0:3], 0 offset:36
	buffer_load_dword v132, off, s[0:3], 0 offset:44
	;; [unrolled: 1-line block ×62, first 2 shown]
	ds_read_b128 v[71:74], v70 offset:304
	ds_read_b128 v[75:78], v70 offset:320
	;; [unrolled: 1-line block ×15, first 2 shown]
	s_mov_b32 s4, exec_lo
	s_waitcnt vmcnt(61) lgkmcnt(14)
	v_mul_f32_e32 v70, v71, v131
	v_mul_f32_e32 v131, v72, v131
	s_waitcnt vmcnt(60)
	v_mul_f32_e32 v193, v73, v132
	v_mul_f32_e32 v132, v74, v132
	s_waitcnt vmcnt(59) lgkmcnt(13)
	v_mul_f32_e32 v194, v75, v133
	s_waitcnt vmcnt(58)
	v_mul_f32_e32 v195, v77, v134
	s_waitcnt vmcnt(57) lgkmcnt(12)
	v_mul_f32_e32 v196, v79, v135
	s_waitcnt vmcnt(56)
	;; [unrolled: 4-line block ×13, first 2 shown]
	v_mul_f32_e32 v219, v125, v158
	s_waitcnt vmcnt(31)
	v_fma_f32 v71, v71, v161, -v131
	v_fmac_f32_e32 v70, v72, v161
	v_mul_f32_e32 v72, v76, v133
	s_waitcnt vmcnt(30)
	v_fma_f32 v73, v73, v162, -v132
	v_fmac_f32_e32 v193, v74, v162
	v_add_f32_e32 v71, 0, v71
	v_add_f32_e32 v70, 0, v70
	v_mul_f32_e32 v74, v78, v134
	s_waitcnt vmcnt(29)
	v_fma_f32 v72, v75, v163, -v72
	v_fmac_f32_e32 v194, v76, v163
	v_add_f32_e32 v71, v71, v73
	v_add_f32_e32 v70, v70, v193
	;; [unrolled: 6-line block ×26, first 2 shown]
	s_waitcnt lgkmcnt(0)
	v_mul_f32_e32 v73, v128, v159
	s_waitcnt vmcnt(4)
	v_fma_f32 v74, v125, v188, -v74
	v_mul_f32_e32 v220, v127, v159
	v_add_f32_e32 v71, v71, v72
	v_fmac_f32_e32 v219, v126, v188
	v_add_f32_e32 v70, v70, v218
	v_mul_f32_e32 v72, v130, v160
	s_waitcnt vmcnt(3)
	v_fma_f32 v73, v127, v189, -v73
	v_add_f32_e32 v71, v71, v74
	v_mul_f32_e32 v221, v129, v160
	v_fmac_f32_e32 v220, v128, v189
	v_add_f32_e32 v70, v70, v219
	s_waitcnt vmcnt(2)
	v_fma_f32 v72, v129, v190, -v72
	v_add_f32_e32 v71, v71, v73
	v_fmac_f32_e32 v221, v130, v190
	v_add_f32_e32 v70, v70, v220
	v_add_f32_e32 v71, v71, v72
	;; [unrolled: 1-line block ×3, first 2 shown]
	s_waitcnt vmcnt(1)
	v_sub_f32_e32 v71, v191, v71
	s_waitcnt vmcnt(0)
	v_sub_f32_e32 v70, v192, v70
	buffer_store_dword v71, off, s[0:3], 0 offset:24
	buffer_store_dword v70, off, s[0:3], 0 offset:28
	v_cmpx_lt_u32_e32 2, v0
	s_cbranch_execz .LBB33_213
; %bb.212:
	s_clause 0x1
	buffer_load_dword v70, off, s[0:3], 0 offset:16
	buffer_load_dword v71, off, s[0:3], 0 offset:20
	v_mov_b32_e32 v72, 0
	buffer_store_dword v72, off, s[0:3], 0 offset:16
	buffer_store_dword v72, off, s[0:3], 0 offset:20
	s_waitcnt vmcnt(0)
	ds_write_b64 v69, v[70:71]
.LBB33_213:
	s_or_b32 exec_lo, exec_lo, s4
	s_waitcnt lgkmcnt(0)
	s_waitcnt_vscnt null, 0x0
	s_barrier
	buffer_gl0_inv
	s_clause 0x3e
	buffer_load_dword v133, off, s[0:3], 0 offset:28
	buffer_load_dword v134, off, s[0:3], 0 offset:36
	;; [unrolled: 1-line block ×64, first 2 shown]
	v_mov_b32_e32 v70, 0
	ds_read2_b64 v[71:74], v70 offset0:37 offset1:38
	ds_read2_b64 v[75:78], v70 offset0:39 offset1:40
	ds_read2_b64 v[79:82], v70 offset0:41 offset1:42
	ds_read2_b64 v[83:86], v70 offset0:43 offset1:44
	ds_read2_b64 v[87:90], v70 offset0:45 offset1:46
	ds_read2_b64 v[91:94], v70 offset0:47 offset1:48
	ds_read2_b64 v[95:98], v70 offset0:49 offset1:50
	ds_read2_b64 v[99:102], v70 offset0:51 offset1:52
	ds_read2_b64 v[103:106], v70 offset0:53 offset1:54
	ds_read2_b64 v[107:110], v70 offset0:55 offset1:56
	ds_read2_b64 v[111:114], v70 offset0:57 offset1:58
	ds_read2_b64 v[115:118], v70 offset0:59 offset1:60
	ds_read2_b64 v[119:122], v70 offset0:61 offset1:62
	ds_read2_b64 v[123:126], v70 offset0:63 offset1:64
	ds_read2_b64 v[127:130], v70 offset0:65 offset1:66
	ds_read_b64 v[131:132], v70 offset:536
	s_mov_b32 s4, exec_lo
	s_waitcnt vmcnt(62) lgkmcnt(15)
	v_mul_f32_e32 v197, v71, v133
	v_mul_f32_e32 v133, v72, v133
	;; [unrolled: 1-line block ×4, first 2 shown]
	s_waitcnt vmcnt(61) lgkmcnt(14)
	v_mul_f32_e32 v199, v75, v135
	s_waitcnt vmcnt(60)
	v_mul_f32_e32 v200, v77, v136
	s_waitcnt vmcnt(59) lgkmcnt(13)
	v_mul_f32_e32 v201, v79, v137
	s_waitcnt vmcnt(58)
	v_mul_f32_e32 v202, v81, v138
	;; [unrolled: 4-line block ×13, first 2 shown]
	s_waitcnt vmcnt(35) lgkmcnt(1)
	v_mul_f32_e32 v225, v127, v161
	s_waitcnt vmcnt(32)
	v_fma_f32 v71, v71, v164, -v133
	v_fmac_f32_e32 v197, v72, v164
	v_mul_f32_e32 v72, v76, v135
	s_waitcnt vmcnt(31)
	v_fma_f32 v73, v73, v165, -v134
	v_fmac_f32_e32 v198, v74, v165
	v_add_f32_e32 v71, 0, v71
	v_add_f32_e32 v74, 0, v197
	v_mul_f32_e32 v133, v78, v136
	s_waitcnt vmcnt(30)
	v_fma_f32 v72, v75, v166, -v72
	v_fmac_f32_e32 v199, v76, v166
	v_add_f32_e32 v71, v71, v73
	v_add_f32_e32 v73, v74, v198
	;; [unrolled: 6-line block ×27, first 2 shown]
	v_mul_f32_e32 v73, v130, v162
	s_waitcnt vmcnt(4)
	v_fma_f32 v74, v127, v192, -v74
	v_mul_f32_e32 v226, v129, v162
	v_add_f32_e32 v71, v71, v75
	v_fmac_f32_e32 v225, v128, v192
	v_add_f32_e32 v72, v72, v224
	s_waitcnt lgkmcnt(0)
	v_mul_f32_e32 v75, v132, v163
	s_waitcnt vmcnt(3)
	v_fma_f32 v73, v129, v193, -v73
	v_add_f32_e32 v71, v71, v74
	v_mul_f32_e32 v227, v131, v163
	v_fmac_f32_e32 v226, v130, v193
	v_add_f32_e32 v72, v72, v225
	s_waitcnt vmcnt(2)
	v_fma_f32 v74, v131, v194, -v75
	v_add_f32_e32 v71, v71, v73
	v_fmac_f32_e32 v227, v132, v194
	v_add_f32_e32 v72, v72, v226
	v_add_f32_e32 v71, v71, v74
	;; [unrolled: 1-line block ×3, first 2 shown]
	s_waitcnt vmcnt(1)
	v_sub_f32_e32 v71, v195, v71
	s_waitcnt vmcnt(0)
	v_sub_f32_e32 v72, v196, v72
	buffer_store_dword v71, off, s[0:3], 0 offset:16
	buffer_store_dword v72, off, s[0:3], 0 offset:20
	v_cmpx_lt_u32_e32 1, v0
	s_cbranch_execz .LBB33_215
; %bb.214:
	s_clause 0x1
	buffer_load_dword v71, off, s[0:3], 0 offset:8
	buffer_load_dword v72, off, s[0:3], 0 offset:12
	buffer_store_dword v70, off, s[0:3], 0 offset:8
	buffer_store_dword v70, off, s[0:3], 0 offset:12
	s_waitcnt vmcnt(0)
	ds_write_b64 v69, v[71:72]
.LBB33_215:
	s_or_b32 exec_lo, exec_lo, s4
	s_waitcnt lgkmcnt(0)
	s_waitcnt_vscnt null, 0x0
	s_barrier
	buffer_gl0_inv
	s_clause 0x3e
	buffer_load_dword v135, off, s[0:3], 0 offset:20
	buffer_load_dword v136, off, s[0:3], 0 offset:28
	;; [unrolled: 1-line block ×63, first 2 shown]
	s_clause 0x2
	buffer_load_dword v198, off, s[0:3], 0 offset:264
	buffer_load_dword v199, off, s[0:3], 0 offset:8
	;; [unrolled: 1-line block ×3, first 2 shown]
	ds_read_b128 v[71:74], v70 offset:288
	ds_read_b128 v[75:78], v70 offset:304
	ds_read_b128 v[79:82], v70 offset:320
	ds_read_b128 v[83:86], v70 offset:336
	ds_read_b128 v[87:90], v70 offset:352
	ds_read_b128 v[91:94], v70 offset:368
	ds_read_b128 v[95:98], v70 offset:384
	ds_read_b128 v[99:102], v70 offset:400
	ds_read_b128 v[103:106], v70 offset:416
	ds_read_b128 v[107:110], v70 offset:432
	ds_read_b128 v[111:114], v70 offset:448
	ds_read_b128 v[115:118], v70 offset:464
	ds_read_b128 v[119:122], v70 offset:480
	ds_read_b128 v[123:126], v70 offset:496
	ds_read_b128 v[127:130], v70 offset:512
	ds_read_b128 v[131:134], v70 offset:528
	s_mov_b32 s4, exec_lo
	s_waitcnt vmcnt(62) lgkmcnt(15)
	v_mul_f32_e32 v70, v71, v135
	v_mul_f32_e32 v135, v72, v135
	;; [unrolled: 1-line block ×4, first 2 shown]
	s_waitcnt lgkmcnt(14)
	v_mul_f32_e32 v202, v75, v137
	v_mul_f32_e32 v203, v77, v138
	s_waitcnt vmcnt(61) lgkmcnt(13)
	v_mul_f32_e32 v204, v79, v139
	s_waitcnt vmcnt(60)
	v_mul_f32_e32 v205, v81, v140
	s_waitcnt vmcnt(59) lgkmcnt(12)
	v_mul_f32_e32 v206, v83, v141
	s_waitcnt vmcnt(58)
	;; [unrolled: 4-line block ×13, first 2 shown]
	v_mul_f32_e32 v229, v129, v164
	s_waitcnt vmcnt(33)
	v_fma_f32 v71, v71, v167, -v135
	v_fmac_f32_e32 v70, v72, v167
	v_mul_f32_e32 v72, v76, v137
	s_waitcnt vmcnt(32)
	v_fma_f32 v73, v73, v168, -v136
	v_fmac_f32_e32 v201, v74, v168
	v_add_f32_e32 v71, 0, v71
	v_add_f32_e32 v70, 0, v70
	v_mul_f32_e32 v74, v78, v138
	s_waitcnt vmcnt(31)
	v_fma_f32 v72, v75, v169, -v72
	v_fmac_f32_e32 v202, v76, v169
	v_add_f32_e32 v71, v71, v73
	v_add_f32_e32 v70, v70, v201
	;; [unrolled: 6-line block ×28, first 2 shown]
	s_waitcnt lgkmcnt(0)
	v_mul_f32_e32 v74, v132, v165
	s_waitcnt vmcnt(4)
	v_fma_f32 v72, v129, v196, -v72
	v_mul_f32_e32 v230, v131, v165
	v_add_f32_e32 v71, v71, v73
	v_fmac_f32_e32 v229, v130, v196
	v_add_f32_e32 v70, v70, v228
	v_mul_f32_e32 v73, v134, v166
	s_waitcnt vmcnt(3)
	v_fma_f32 v74, v131, v197, -v74
	v_add_f32_e32 v71, v71, v72
	v_mul_f32_e32 v231, v133, v166
	v_fmac_f32_e32 v230, v132, v197
	v_add_f32_e32 v70, v70, v229
	s_waitcnt vmcnt(2)
	v_fma_f32 v72, v133, v198, -v73
	v_add_f32_e32 v71, v71, v74
	v_fmac_f32_e32 v231, v134, v198
	v_add_f32_e32 v70, v70, v230
	v_add_f32_e32 v71, v71, v72
	;; [unrolled: 1-line block ×3, first 2 shown]
	s_waitcnt vmcnt(1)
	v_sub_f32_e32 v71, v199, v71
	s_waitcnt vmcnt(0)
	v_sub_f32_e32 v70, v200, v70
	buffer_store_dword v71, off, s[0:3], 0 offset:8
	buffer_store_dword v70, off, s[0:3], 0 offset:12
	v_cmpx_ne_u32_e32 0, v0
	s_cbranch_execz .LBB33_217
; %bb.216:
	s_clause 0x1
	buffer_load_dword v70, off, s[0:3], 0
	buffer_load_dword v71, off, s[0:3], 0 offset:4
	v_mov_b32_e32 v0, 0
	buffer_store_dword v0, off, s[0:3], 0
	buffer_store_dword v0, off, s[0:3], 0 offset:4
	s_waitcnt vmcnt(0)
	ds_write_b64 v69, v[70:71]
.LBB33_217:
	s_or_b32 exec_lo, exec_lo, s4
	s_waitcnt lgkmcnt(0)
	s_waitcnt_vscnt null, 0x0
	s_barrier
	buffer_gl0_inv
	s_clause 0x3e
	buffer_load_dword v135, off, s[0:3], 0 offset:12
	buffer_load_dword v136, off, s[0:3], 0 offset:20
	;; [unrolled: 1-line block ×63, first 2 shown]
	s_clause 0x4
	buffer_load_dword v198, off, s[0:3], 0 offset:248
	buffer_load_dword v199, off, s[0:3], 0 offset:256
	;; [unrolled: 1-line block ×3, first 2 shown]
	buffer_load_dword v201, off, s[0:3], 0
	buffer_load_dword v202, off, s[0:3], 0 offset:4
	v_mov_b32_e32 v0, 0
	ds_read2_b64 v[69:72], v0 offset0:35 offset1:36
	ds_read2_b64 v[73:76], v0 offset0:37 offset1:38
	;; [unrolled: 1-line block ×16, first 2 shown]
	ds_read_b64 v[133:134], v0 offset:536
	s_and_b32 vcc_lo, exec_lo, s22
	s_waitcnt vmcnt(62) lgkmcnt(16)
	v_mul_f32_e32 v203, v69, v135
	v_mul_f32_e32 v135, v70, v135
	;; [unrolled: 1-line block ×4, first 2 shown]
	s_waitcnt lgkmcnt(15)
	v_mul_f32_e32 v205, v73, v137
	v_mul_f32_e32 v206, v75, v138
	s_waitcnt lgkmcnt(14)
	v_mul_f32_e32 v207, v77, v139
	v_mul_f32_e32 v208, v79, v140
	s_waitcnt vmcnt(61) lgkmcnt(13)
	v_mul_f32_e32 v209, v81, v141
	s_waitcnt vmcnt(60)
	v_mul_f32_e32 v210, v83, v142
	s_waitcnt vmcnt(59) lgkmcnt(12)
	v_mul_f32_e32 v211, v85, v143
	s_waitcnt vmcnt(58)
	;; [unrolled: 4-line block ×13, first 2 shown]
	v_fma_f32 v69, v69, v168, -v135
	v_fmac_f32_e32 v203, v70, v168
	v_mul_f32_e32 v70, v74, v137
	s_waitcnt vmcnt(33)
	v_fma_f32 v71, v71, v169, -v136
	v_fmac_f32_e32 v204, v72, v169
	v_add_f32_e32 v69, 0, v69
	v_add_f32_e32 v72, 0, v203
	v_mul_f32_e32 v135, v76, v138
	s_waitcnt vmcnt(32)
	v_fma_f32 v70, v73, v170, -v70
	v_fmac_f32_e32 v205, v74, v170
	v_add_f32_e32 v69, v69, v71
	v_add_f32_e32 v71, v72, v204
	;; [unrolled: 6-line block ×29, first 2 shown]
	v_mul_f32_e32 v72, v132, v166
	s_waitcnt vmcnt(4)
	v_fma_f32 v73, v129, v198, -v73
	v_mul_f32_e32 v234, v131, v166
	v_add_f32_e32 v69, v69, v71
	v_fmac_f32_e32 v233, v130, v198
	v_add_f32_e32 v70, v70, v232
	s_waitcnt lgkmcnt(0)
	v_mul_f32_e32 v71, v134, v167
	s_waitcnt vmcnt(3)
	v_fma_f32 v72, v131, v199, -v72
	v_add_f32_e32 v69, v69, v73
	v_mul_f32_e32 v235, v133, v167
	v_fmac_f32_e32 v234, v132, v199
	v_add_f32_e32 v70, v70, v233
	s_waitcnt vmcnt(2)
	v_fma_f32 v71, v133, v200, -v71
	v_add_f32_e32 v69, v69, v72
	v_fmac_f32_e32 v235, v134, v200
	v_add_f32_e32 v70, v70, v234
	v_add_f32_e32 v69, v69, v71
	;; [unrolled: 1-line block ×3, first 2 shown]
	s_waitcnt vmcnt(1)
	v_sub_f32_e32 v69, v201, v69
	s_waitcnt vmcnt(0)
	v_sub_f32_e32 v70, v202, v70
	buffer_store_dword v69, off, s[0:3], 0
	buffer_store_dword v70, off, s[0:3], 0 offset:4
	s_cbranch_vccz .LBB33_284
; %bb.218:
	global_load_dword v0, v0, s[20:21] offset:128
	s_waitcnt vmcnt(0)
	v_add_nc_u32_e32 v0, -1, v0
	v_cmp_ne_u32_e32 vcc_lo, 32, v0
	s_cbranch_vccz .LBB33_220
; %bb.219:
	v_lshlrev_b32_e32 v0, 3, v0
	s_clause 0x3
	buffer_load_dword v69, v0, s[0:3], 0 offen
	buffer_load_dword v70, v0, s[0:3], 0 offen offset:4
	buffer_load_dword v71, off, s[0:3], 0 offset:260
	buffer_load_dword v72, off, s[0:3], 0 offset:256
	s_waitcnt vmcnt(3)
	buffer_store_dword v69, off, s[0:3], 0 offset:256
	s_waitcnt vmcnt(2)
	buffer_store_dword v70, off, s[0:3], 0 offset:260
	s_waitcnt vmcnt(1)
	buffer_store_dword v71, v0, s[0:3], 0 offen offset:4
	s_waitcnt vmcnt(0)
	buffer_store_dword v72, v0, s[0:3], 0 offen
.LBB33_220:
	v_mov_b32_e32 v0, 0
	global_load_dword v69, v0, s[20:21] offset:124
	s_waitcnt vmcnt(0)
	v_add_nc_u32_e32 v69, -1, v69
	v_cmp_eq_u32_e32 vcc_lo, 31, v69
	s_cbranch_vccnz .LBB33_222
; %bb.221:
	v_lshlrev_b32_e32 v69, 3, v69
	s_clause 0x3
	buffer_load_dword v70, v69, s[0:3], 0 offen
	buffer_load_dword v71, v69, s[0:3], 0 offen offset:4
	buffer_load_dword v72, off, s[0:3], 0 offset:248
	buffer_load_dword v73, off, s[0:3], 0 offset:252
	s_waitcnt vmcnt(3)
	buffer_store_dword v70, off, s[0:3], 0 offset:248
	s_waitcnt vmcnt(2)
	buffer_store_dword v71, off, s[0:3], 0 offset:252
	s_waitcnt vmcnt(1)
	buffer_store_dword v72, v69, s[0:3], 0 offen
	s_waitcnt vmcnt(0)
	buffer_store_dword v73, v69, s[0:3], 0 offen offset:4
.LBB33_222:
	global_load_dword v0, v0, s[20:21] offset:120
	s_waitcnt vmcnt(0)
	v_add_nc_u32_e32 v0, -1, v0
	v_cmp_eq_u32_e32 vcc_lo, 30, v0
	s_cbranch_vccnz .LBB33_224
; %bb.223:
	v_lshlrev_b32_e32 v0, 3, v0
	s_clause 0x3
	buffer_load_dword v69, v0, s[0:3], 0 offen
	buffer_load_dword v70, v0, s[0:3], 0 offen offset:4
	buffer_load_dword v71, off, s[0:3], 0 offset:244
	buffer_load_dword v72, off, s[0:3], 0 offset:240
	s_waitcnt vmcnt(3)
	buffer_store_dword v69, off, s[0:3], 0 offset:240
	s_waitcnt vmcnt(2)
	buffer_store_dword v70, off, s[0:3], 0 offset:244
	s_waitcnt vmcnt(1)
	buffer_store_dword v71, v0, s[0:3], 0 offen offset:4
	s_waitcnt vmcnt(0)
	buffer_store_dword v72, v0, s[0:3], 0 offen
.LBB33_224:
	v_mov_b32_e32 v0, 0
	global_load_dword v69, v0, s[20:21] offset:116
	s_waitcnt vmcnt(0)
	v_add_nc_u32_e32 v69, -1, v69
	v_cmp_eq_u32_e32 vcc_lo, 29, v69
	s_cbranch_vccnz .LBB33_226
; %bb.225:
	v_lshlrev_b32_e32 v69, 3, v69
	s_clause 0x3
	buffer_load_dword v70, v69, s[0:3], 0 offen
	buffer_load_dword v71, v69, s[0:3], 0 offen offset:4
	buffer_load_dword v72, off, s[0:3], 0 offset:232
	buffer_load_dword v73, off, s[0:3], 0 offset:236
	s_waitcnt vmcnt(3)
	buffer_store_dword v70, off, s[0:3], 0 offset:232
	s_waitcnt vmcnt(2)
	buffer_store_dword v71, off, s[0:3], 0 offset:236
	s_waitcnt vmcnt(1)
	buffer_store_dword v72, v69, s[0:3], 0 offen
	s_waitcnt vmcnt(0)
	buffer_store_dword v73, v69, s[0:3], 0 offen offset:4
.LBB33_226:
	global_load_dword v0, v0, s[20:21] offset:112
	s_waitcnt vmcnt(0)
	v_add_nc_u32_e32 v0, -1, v0
	v_cmp_eq_u32_e32 vcc_lo, 28, v0
	s_cbranch_vccnz .LBB33_228
; %bb.227:
	v_lshlrev_b32_e32 v0, 3, v0
	s_clause 0x3
	buffer_load_dword v69, v0, s[0:3], 0 offen
	buffer_load_dword v70, v0, s[0:3], 0 offen offset:4
	buffer_load_dword v71, off, s[0:3], 0 offset:228
	buffer_load_dword v72, off, s[0:3], 0 offset:224
	s_waitcnt vmcnt(3)
	buffer_store_dword v69, off, s[0:3], 0 offset:224
	s_waitcnt vmcnt(2)
	buffer_store_dword v70, off, s[0:3], 0 offset:228
	s_waitcnt vmcnt(1)
	buffer_store_dword v71, v0, s[0:3], 0 offen offset:4
	s_waitcnt vmcnt(0)
	buffer_store_dword v72, v0, s[0:3], 0 offen
.LBB33_228:
	;; [unrolled: 43-line block ×15, first 2 shown]
	v_mov_b32_e32 v0, 0
	global_load_dword v69, v0, s[20:21] offset:4
	s_waitcnt vmcnt(0)
	v_add_nc_u32_e32 v69, -1, v69
	v_cmp_eq_u32_e32 vcc_lo, 1, v69
	s_cbranch_vccnz .LBB33_282
; %bb.281:
	v_lshlrev_b32_e32 v69, 3, v69
	s_clause 0x3
	buffer_load_dword v70, v69, s[0:3], 0 offen
	buffer_load_dword v71, v69, s[0:3], 0 offen offset:4
	buffer_load_dword v72, off, s[0:3], 0 offset:8
	buffer_load_dword v73, off, s[0:3], 0 offset:12
	s_waitcnt vmcnt(3)
	buffer_store_dword v70, off, s[0:3], 0 offset:8
	s_waitcnt vmcnt(2)
	buffer_store_dword v71, off, s[0:3], 0 offset:12
	s_waitcnt vmcnt(1)
	buffer_store_dword v72, v69, s[0:3], 0 offen
	s_waitcnt vmcnt(0)
	buffer_store_dword v73, v69, s[0:3], 0 offen offset:4
.LBB33_282:
	global_load_dword v0, v0, s[20:21]
	s_waitcnt vmcnt(0)
	v_add_nc_u32_e32 v0, -1, v0
	v_cmp_eq_u32_e32 vcc_lo, 0, v0
	s_cbranch_vccnz .LBB33_284
; %bb.283:
	v_lshlrev_b32_e32 v0, 3, v0
	s_clause 0x3
	buffer_load_dword v69, v0, s[0:3], 0 offen
	buffer_load_dword v70, v0, s[0:3], 0 offen offset:4
	buffer_load_dword v71, off, s[0:3], 0 offset:4
	buffer_load_dword v72, off, s[0:3], 0
	s_waitcnt vmcnt(3)
	buffer_store_dword v69, off, s[0:3], 0
	s_waitcnt vmcnt(2)
	buffer_store_dword v70, off, s[0:3], 0 offset:4
	s_waitcnt vmcnt(1)
	buffer_store_dword v71, v0, s[0:3], 0 offen offset:4
	s_waitcnt vmcnt(0)
	buffer_store_dword v72, v0, s[0:3], 0 offen
.LBB33_284:
	s_clause 0x3e
	buffer_load_dword v69, off, s[0:3], 0
	buffer_load_dword v70, off, s[0:3], 0 offset:4
	buffer_load_dword v71, off, s[0:3], 0 offset:8
	;; [unrolled: 1-line block ×62, first 2 shown]
	s_clause 0x4
	buffer_load_dword v132, off, s[0:3], 0 offset:252
	buffer_load_dword v133, off, s[0:3], 0 offset:256
	;; [unrolled: 1-line block ×5, first 2 shown]
	s_waitcnt vmcnt(62)
	global_store_dwordx2 v[57:58], v[69:70], off
	global_store_dwordx2 v[59:60], v[71:72], off
	;; [unrolled: 1-line block ×3, first 2 shown]
	s_waitcnt vmcnt(60)
	global_store_dwordx2 v[3:4], v[75:76], off
	s_waitcnt vmcnt(58)
	global_store_dwordx2 v[5:6], v[77:78], off
	;; [unrolled: 2-line block ×6, first 2 shown]
	global_store_dwordx2 v[15:16], v[87:88], off
	global_store_dwordx2 v[17:18], v[89:90], off
	;; [unrolled: 1-line block ×3, first 2 shown]
	s_waitcnt vmcnt(42)
	global_store_dwordx2 v[21:22], v[93:94], off
	s_waitcnt vmcnt(40)
	global_store_dwordx2 v[23:24], v[95:96], off
	;; [unrolled: 2-line block ×22, first 2 shown]
	s_endpgm
	.section	.rodata,"a",@progbits
	.p2align	6, 0x0
	.amdhsa_kernel _ZN9rocsolver6v33100L18getri_kernel_smallILi34E19rocblas_complex_numIfEPS3_EEvT1_iilPiilS6_bb
		.amdhsa_group_segment_fixed_size 548
		.amdhsa_private_segment_fixed_size 288
		.amdhsa_kernarg_size 60
		.amdhsa_user_sgpr_count 6
		.amdhsa_user_sgpr_private_segment_buffer 1
		.amdhsa_user_sgpr_dispatch_ptr 0
		.amdhsa_user_sgpr_queue_ptr 0
		.amdhsa_user_sgpr_kernarg_segment_ptr 1
		.amdhsa_user_sgpr_dispatch_id 0
		.amdhsa_user_sgpr_flat_scratch_init 0
		.amdhsa_user_sgpr_private_segment_size 0
		.amdhsa_wavefront_size32 1
		.amdhsa_uses_dynamic_stack 0
		.amdhsa_system_sgpr_private_segment_wavefront_offset 1
		.amdhsa_system_sgpr_workgroup_id_x 1
		.amdhsa_system_sgpr_workgroup_id_y 0
		.amdhsa_system_sgpr_workgroup_id_z 0
		.amdhsa_system_sgpr_workgroup_info 0
		.amdhsa_system_vgpr_workitem_id 0
		.amdhsa_next_free_vgpr 236
		.amdhsa_next_free_sgpr 23
		.amdhsa_reserve_vcc 1
		.amdhsa_reserve_flat_scratch 0
		.amdhsa_float_round_mode_32 0
		.amdhsa_float_round_mode_16_64 0
		.amdhsa_float_denorm_mode_32 3
		.amdhsa_float_denorm_mode_16_64 3
		.amdhsa_dx10_clamp 1
		.amdhsa_ieee_mode 1
		.amdhsa_fp16_overflow 0
		.amdhsa_workgroup_processor_mode 1
		.amdhsa_memory_ordered 1
		.amdhsa_forward_progress 1
		.amdhsa_shared_vgpr_count 0
		.amdhsa_exception_fp_ieee_invalid_op 0
		.amdhsa_exception_fp_denorm_src 0
		.amdhsa_exception_fp_ieee_div_zero 0
		.amdhsa_exception_fp_ieee_overflow 0
		.amdhsa_exception_fp_ieee_underflow 0
		.amdhsa_exception_fp_ieee_inexact 0
		.amdhsa_exception_int_div_zero 0
	.end_amdhsa_kernel
	.section	.text._ZN9rocsolver6v33100L18getri_kernel_smallILi34E19rocblas_complex_numIfEPS3_EEvT1_iilPiilS6_bb,"axG",@progbits,_ZN9rocsolver6v33100L18getri_kernel_smallILi34E19rocblas_complex_numIfEPS3_EEvT1_iilPiilS6_bb,comdat
.Lfunc_end33:
	.size	_ZN9rocsolver6v33100L18getri_kernel_smallILi34E19rocblas_complex_numIfEPS3_EEvT1_iilPiilS6_bb, .Lfunc_end33-_ZN9rocsolver6v33100L18getri_kernel_smallILi34E19rocblas_complex_numIfEPS3_EEvT1_iilPiilS6_bb
                                        ; -- End function
	.set _ZN9rocsolver6v33100L18getri_kernel_smallILi34E19rocblas_complex_numIfEPS3_EEvT1_iilPiilS6_bb.num_vgpr, 236
	.set _ZN9rocsolver6v33100L18getri_kernel_smallILi34E19rocblas_complex_numIfEPS3_EEvT1_iilPiilS6_bb.num_agpr, 0
	.set _ZN9rocsolver6v33100L18getri_kernel_smallILi34E19rocblas_complex_numIfEPS3_EEvT1_iilPiilS6_bb.numbered_sgpr, 23
	.set _ZN9rocsolver6v33100L18getri_kernel_smallILi34E19rocblas_complex_numIfEPS3_EEvT1_iilPiilS6_bb.num_named_barrier, 0
	.set _ZN9rocsolver6v33100L18getri_kernel_smallILi34E19rocblas_complex_numIfEPS3_EEvT1_iilPiilS6_bb.private_seg_size, 288
	.set _ZN9rocsolver6v33100L18getri_kernel_smallILi34E19rocblas_complex_numIfEPS3_EEvT1_iilPiilS6_bb.uses_vcc, 1
	.set _ZN9rocsolver6v33100L18getri_kernel_smallILi34E19rocblas_complex_numIfEPS3_EEvT1_iilPiilS6_bb.uses_flat_scratch, 0
	.set _ZN9rocsolver6v33100L18getri_kernel_smallILi34E19rocblas_complex_numIfEPS3_EEvT1_iilPiilS6_bb.has_dyn_sized_stack, 0
	.set _ZN9rocsolver6v33100L18getri_kernel_smallILi34E19rocblas_complex_numIfEPS3_EEvT1_iilPiilS6_bb.has_recursion, 0
	.set _ZN9rocsolver6v33100L18getri_kernel_smallILi34E19rocblas_complex_numIfEPS3_EEvT1_iilPiilS6_bb.has_indirect_call, 0
	.section	.AMDGPU.csdata,"",@progbits
; Kernel info:
; codeLenInByte = 52180
; TotalNumSgprs: 25
; NumVgprs: 236
; ScratchSize: 288
; MemoryBound: 0
; FloatMode: 240
; IeeeMode: 1
; LDSByteSize: 548 bytes/workgroup (compile time only)
; SGPRBlocks: 0
; VGPRBlocks: 29
; NumSGPRsForWavesPerEU: 25
; NumVGPRsForWavesPerEU: 236
; Occupancy: 4
; WaveLimiterHint : 1
; COMPUTE_PGM_RSRC2:SCRATCH_EN: 1
; COMPUTE_PGM_RSRC2:USER_SGPR: 6
; COMPUTE_PGM_RSRC2:TRAP_HANDLER: 0
; COMPUTE_PGM_RSRC2:TGID_X_EN: 1
; COMPUTE_PGM_RSRC2:TGID_Y_EN: 0
; COMPUTE_PGM_RSRC2:TGID_Z_EN: 0
; COMPUTE_PGM_RSRC2:TIDIG_COMP_CNT: 0
	.section	.text._ZN9rocsolver6v33100L18getri_kernel_smallILi35E19rocblas_complex_numIfEPS3_EEvT1_iilPiilS6_bb,"axG",@progbits,_ZN9rocsolver6v33100L18getri_kernel_smallILi35E19rocblas_complex_numIfEPS3_EEvT1_iilPiilS6_bb,comdat
	.globl	_ZN9rocsolver6v33100L18getri_kernel_smallILi35E19rocblas_complex_numIfEPS3_EEvT1_iilPiilS6_bb ; -- Begin function _ZN9rocsolver6v33100L18getri_kernel_smallILi35E19rocblas_complex_numIfEPS3_EEvT1_iilPiilS6_bb
	.p2align	8
	.type	_ZN9rocsolver6v33100L18getri_kernel_smallILi35E19rocblas_complex_numIfEPS3_EEvT1_iilPiilS6_bb,@function
_ZN9rocsolver6v33100L18getri_kernel_smallILi35E19rocblas_complex_numIfEPS3_EEvT1_iilPiilS6_bb: ; @_ZN9rocsolver6v33100L18getri_kernel_smallILi35E19rocblas_complex_numIfEPS3_EEvT1_iilPiilS6_bb
; %bb.0:
	s_add_u32 s0, s0, s7
	s_addc_u32 s1, s1, 0
	s_mov_b32 s7, exec_lo
	v_cmpx_gt_u32_e32 35, v0
	s_cbranch_execz .LBB34_154
; %bb.1:
	s_clause 0x2
	s_load_dword s7, s[4:5], 0x38
	s_load_dwordx4 s[16:19], s[4:5], 0x10
	s_load_dwordx4 s[8:11], s[4:5], 0x28
                                        ; implicit-def: $sgpr20_sgpr21
	s_waitcnt lgkmcnt(0)
	s_bitcmp1_b32 s7, 8
	s_cselect_b32 s22, -1, 0
	s_bfe_u32 s12, s7, 0x10008
	s_ashr_i32 s7, s6, 31
	s_cmp_eq_u32 s12, 0
	s_cbranch_scc1 .LBB34_3
; %bb.2:
	s_load_dword s12, s[4:5], 0x20
	s_mul_i32 s13, s8, s7
	s_mul_hi_u32 s14, s8, s6
	s_mul_i32 s9, s9, s6
	s_add_i32 s13, s14, s13
	s_mul_i32 s8, s8, s6
	s_add_i32 s9, s13, s9
	s_lshl_b64 s[8:9], s[8:9], 2
	s_waitcnt lgkmcnt(0)
	s_ashr_i32 s13, s12, 31
	s_add_u32 s14, s18, s8
	s_addc_u32 s15, s19, s9
	s_lshl_b64 s[8:9], s[12:13], 2
	s_add_u32 s20, s14, s8
	s_addc_u32 s21, s15, s9
.LBB34_3:
	s_clause 0x1
	s_load_dwordx4 s[12:15], s[4:5], 0x0
	s_load_dword s8, s[4:5], 0x38
	s_mul_i32 s4, s16, s7
	s_mul_hi_u32 s5, s16, s6
	s_mul_i32 s9, s17, s6
	s_add_i32 s5, s5, s4
	s_mul_i32 s4, s16, s6
	s_add_i32 s5, s5, s9
	v_lshlrev_b32_e32 v73, 3, v0
	s_lshl_b64 s[4:5], s[4:5], 3
	s_waitcnt lgkmcnt(0)
	v_add3_u32 v1, s15, s15, v0
	s_ashr_i32 s17, s14, 31
	s_mov_b32 s16, s14
	s_add_u32 s9, s12, s4
	s_addc_u32 s12, s13, s5
	v_add_nc_u32_e32 v3, s15, v1
	v_ashrrev_i32_e32 v2, 31, v1
	s_lshl_b64 s[4:5], s[16:17], 3
	s_add_u32 s4, s9, s4
	v_add_nc_u32_e32 v5, s15, v3
	v_ashrrev_i32_e32 v4, 31, v3
	v_lshlrev_b64 v[1:2], 3, v[1:2]
	s_addc_u32 s5, s12, s5
	v_add_co_u32 v59, s9, s4, v73
	v_add_nc_u32_e32 v7, s15, v5
	v_ashrrev_i32_e32 v6, 31, v5
	v_lshlrev_b64 v[3:4], 3, v[3:4]
	v_add_co_u32 v1, vcc_lo, s4, v1
	v_add_nc_u32_e32 v9, s15, v7
	v_ashrrev_i32_e32 v8, 31, v7
	v_lshlrev_b64 v[5:6], 3, v[5:6]
	v_add_co_ci_u32_e64 v2, null, s5, v2, vcc_lo
	v_add_nc_u32_e32 v11, s15, v9
	v_ashrrev_i32_e32 v10, 31, v9
	v_lshlrev_b64 v[7:8], 3, v[7:8]
	v_add_co_u32 v3, vcc_lo, s4, v3
	v_add_nc_u32_e32 v13, s15, v11
	v_ashrrev_i32_e32 v12, 31, v11
	v_lshlrev_b64 v[9:10], 3, v[9:10]
	v_add_co_ci_u32_e64 v4, null, s5, v4, vcc_lo
	v_add_nc_u32_e32 v15, s15, v13
	v_ashrrev_i32_e32 v14, 31, v13
	v_add_co_u32 v5, vcc_lo, s4, v5
	v_lshlrev_b64 v[11:12], 3, v[11:12]
	v_add_nc_u32_e32 v17, s15, v15
	v_ashrrev_i32_e32 v16, 31, v15
	v_add_co_ci_u32_e64 v6, null, s5, v6, vcc_lo
	v_add_co_u32 v7, vcc_lo, s4, v7
	v_add_nc_u32_e32 v19, s15, v17
	v_ashrrev_i32_e32 v18, 31, v17
	v_lshlrev_b64 v[13:14], 3, v[13:14]
	v_add_co_ci_u32_e64 v8, null, s5, v8, vcc_lo
	v_add_nc_u32_e32 v21, s15, v19
	v_ashrrev_i32_e32 v20, 31, v19
	v_add_co_u32 v9, vcc_lo, s4, v9
	v_lshlrev_b64 v[15:16], 3, v[15:16]
	v_add_nc_u32_e32 v23, s15, v21
	v_ashrrev_i32_e32 v22, 31, v21
	v_add_co_ci_u32_e64 v10, null, s5, v10, vcc_lo
	v_add_co_u32 v11, vcc_lo, s4, v11
	v_add_nc_u32_e32 v25, s15, v23
	v_lshlrev_b64 v[17:18], 3, v[17:18]
	v_ashrrev_i32_e32 v24, 31, v23
	v_add_co_ci_u32_e64 v12, null, s5, v12, vcc_lo
	v_add_nc_u32_e32 v27, s15, v25
	v_add_co_u32 v13, vcc_lo, s4, v13
	v_lshlrev_b64 v[19:20], 3, v[19:20]
	v_ashrrev_i32_e32 v26, 31, v25
	v_add_nc_u32_e32 v29, s15, v27
	v_add_co_ci_u32_e64 v14, null, s5, v14, vcc_lo
	v_add_co_u32 v15, vcc_lo, s4, v15
	v_add_nc_u32_e32 v31, s15, v29
	v_lshlrev_b64 v[21:22], 3, v[21:22]
	v_ashrrev_i32_e32 v28, 31, v27
	v_add_co_ci_u32_e64 v16, null, s5, v16, vcc_lo
	v_add_nc_u32_e32 v33, s15, v31
	v_add_co_u32 v17, vcc_lo, s4, v17
	v_lshlrev_b64 v[23:24], 3, v[23:24]
	v_ashrrev_i32_e32 v30, 31, v29
	v_add_nc_u32_e32 v35, s15, v33
	;; [unrolled: 11-line block ×5, first 2 shown]
	v_add_co_ci_u32_e64 v30, null, s5, v30, vcc_lo
	v_add_co_u32 v31, vcc_lo, s4, v31
	v_add_nc_u32_e32 v56, s15, v53
	v_lshlrev_b64 v[37:38], 3, v[37:38]
	v_ashrrev_i32_e32 v44, 31, v43
	v_add_co_ci_u32_e64 v32, null, s5, v32, vcc_lo
	v_add_co_u32 v33, vcc_lo, s4, v33
	v_lshlrev_b64 v[39:40], 3, v[39:40]
	v_ashrrev_i32_e32 v46, 31, v45
	v_add_co_ci_u32_e64 v34, null, s5, v34, vcc_lo
	v_add_co_u32 v35, vcc_lo, s4, v35
	v_lshlrev_b64 v[41:42], 3, v[41:42]
	v_add_nc_u32_e32 v63, s15, v56
	v_ashrrev_i32_e32 v48, 31, v47
	v_add_co_ci_u32_e64 v36, null, s5, v36, vcc_lo
	v_add_co_u32 v37, vcc_lo, s4, v37
	v_lshlrev_b64 v[43:44], 3, v[43:44]
	v_ashrrev_i32_e32 v50, 31, v49
	v_add_co_ci_u32_e64 v38, null, s5, v38, vcc_lo
	v_add_co_u32 v39, vcc_lo, s4, v39
	v_lshlrev_b64 v[45:46], 3, v[45:46]
	v_ashrrev_i32_e32 v52, 31, v51
	v_add_nc_u32_e32 v65, s15, v63
	v_add_co_ci_u32_e64 v40, null, s5, v40, vcc_lo
	v_add_co_u32 v41, vcc_lo, s4, v41
	v_lshlrev_b64 v[47:48], 3, v[47:48]
	v_ashrrev_i32_e32 v54, 31, v53
	v_add_co_ci_u32_e64 v42, null, s5, v42, vcc_lo
	v_add_co_u32 v43, vcc_lo, s4, v43
	v_lshlrev_b64 v[49:50], 3, v[49:50]
	v_add_co_ci_u32_e64 v44, null, s5, v44, vcc_lo
	v_add_co_u32 v45, vcc_lo, s4, v45
	v_lshlrev_b64 v[51:52], 3, v[51:52]
	v_add_nc_u32_e32 v67, s15, v65
	v_add_co_ci_u32_e64 v46, null, s5, v46, vcc_lo
	v_add_co_u32 v47, vcc_lo, s4, v47
	v_lshlrev_b64 v[54:55], 3, v[53:54]
	v_add_co_ci_u32_e64 v48, null, s5, v48, vcc_lo
	v_add_co_u32 v49, vcc_lo, s4, v49
	v_ashrrev_i32_e32 v57, 31, v56
	v_add_nc_u32_e32 v69, s15, v67
	v_add_co_ci_u32_e64 v50, null, s5, v50, vcc_lo
	v_add_co_u32 v51, vcc_lo, s4, v51
	v_ashrrev_i32_e32 v64, 31, v63
	v_add_co_ci_u32_e64 v52, null, s5, v52, vcc_lo
	v_add_co_u32 v53, vcc_lo, s4, v54
	v_ashrrev_i32_e32 v66, 31, v65
	v_add_co_ci_u32_e64 v54, null, s5, v55, vcc_lo
	v_lshlrev_b64 v[55:56], 3, v[56:57]
	s_mov_b32 s12, s15
	s_ashr_i32 s13, s15, 31
	v_add_nc_u32_e32 v106, s15, v69
	v_add_co_ci_u32_e64 v60, null, s5, 0, s9
	v_ashrrev_i32_e32 v68, 31, v67
	s_lshl_b64 s[12:13], s[12:13], 3
	v_lshlrev_b64 v[57:58], 3, v[63:64]
	v_ashrrev_i32_e32 v70, 31, v69
	v_add_co_u32 v61, vcc_lo, v59, s12
	v_lshlrev_b64 v[63:64], 3, v[65:66]
	v_ashrrev_i32_e32 v107, 31, v106
	v_add_co_ci_u32_e64 v62, null, s13, v60, vcc_lo
	v_add_co_u32 v55, vcc_lo, s4, v55
	v_lshlrev_b64 v[65:66], 3, v[67:68]
	v_add_co_ci_u32_e64 v56, null, s5, v56, vcc_lo
	v_add_co_u32 v57, vcc_lo, s4, v57
	v_lshlrev_b64 v[67:68], 3, v[69:70]
	;; [unrolled: 3-line block ×3, first 2 shown]
	v_add_co_ci_u32_e64 v64, null, s5, v64, vcc_lo
	v_add_co_u32 v65, vcc_lo, s4, v65
	v_add_co_ci_u32_e64 v66, null, s5, v66, vcc_lo
	v_add_co_u32 v67, vcc_lo, s4, v67
	;; [unrolled: 2-line block ×3, first 2 shown]
	v_add_co_ci_u32_e64 v70, null, s5, v70, vcc_lo
	s_clause 0x22
	global_load_dwordx2 v[71:72], v73, s[4:5]
	global_load_dwordx2 v[74:75], v[61:62], off
	global_load_dwordx2 v[76:77], v[1:2], off
	;; [unrolled: 1-line block ×34, first 2 shown]
	s_mov_b32 s5, -1
	s_bitcmp0_b32 s8, 0
	s_waitcnt vmcnt(34)
	buffer_store_dword v72, off, s[0:3], 0 offset:4
	buffer_store_dword v71, off, s[0:3], 0
	s_waitcnt vmcnt(33)
	buffer_store_dword v75, off, s[0:3], 0 offset:12
	buffer_store_dword v74, off, s[0:3], 0 offset:8
	s_waitcnt vmcnt(32)
	buffer_store_dword v77, off, s[0:3], 0 offset:20
	buffer_store_dword v76, off, s[0:3], 0 offset:16
	;; [unrolled: 3-line block ×34, first 2 shown]
	s_cbranch_scc1 .LBB34_152
; %bb.4:
	v_cmp_eq_u32_e64 s4, 0, v0
	s_and_saveexec_b32 s5, s4
; %bb.5:
	v_mov_b32_e32 v71, 0
	ds_write_b32 v71, v71 offset:280
; %bb.6:
	s_or_b32 exec_lo, exec_lo, s5
	v_lshl_add_u32 v75, v0, 3, 0
	s_waitcnt lgkmcnt(0)
	s_waitcnt_vscnt null, 0x0
	s_barrier
	buffer_gl0_inv
	s_clause 0x1
	buffer_load_dword v71, v75, s[0:3], 0 offen
	buffer_load_dword v72, v75, s[0:3], 0 offen offset:4
	s_waitcnt vmcnt(1)
	v_cmp_eq_f32_e32 vcc_lo, 0, v71
	s_waitcnt vmcnt(0)
	v_cmp_eq_f32_e64 s5, 0, v72
	s_and_b32 s5, vcc_lo, s5
	s_and_saveexec_b32 s8, s5
	s_cbranch_execz .LBB34_10
; %bb.7:
	v_mov_b32_e32 v71, 0
	s_mov_b32 s9, 0
	ds_read_b32 v72, v71 offset:280
	s_waitcnt lgkmcnt(0)
	v_readfirstlane_b32 s5, v72
	v_add_nc_u32_e32 v72, 1, v0
	s_cmp_eq_u32 s5, 0
	v_cmp_gt_i32_e32 vcc_lo, s5, v72
	s_cselect_b32 s12, -1, 0
	s_or_b32 s12, s12, vcc_lo
	s_and_b32 exec_lo, exec_lo, s12
	s_cbranch_execz .LBB34_10
; %bb.8:
	v_mov_b32_e32 v74, s5
.LBB34_9:                               ; =>This Inner Loop Header: Depth=1
	ds_cmpst_rtn_b32 v74, v71, v74, v72 offset:280
	s_waitcnt lgkmcnt(0)
	v_cmp_ne_u32_e32 vcc_lo, 0, v74
	v_cmp_le_i32_e64 s5, v74, v72
	s_and_b32 s5, vcc_lo, s5
	s_and_b32 s5, exec_lo, s5
	s_or_b32 s9, s5, s9
	s_andn2_b32 exec_lo, exec_lo, s9
	s_cbranch_execnz .LBB34_9
.LBB34_10:
	s_or_b32 exec_lo, exec_lo, s8
	v_mov_b32_e32 v71, 0
	s_barrier
	buffer_gl0_inv
	ds_read_b32 v72, v71 offset:280
	s_and_saveexec_b32 s5, s4
	s_cbranch_execz .LBB34_12
; %bb.11:
	s_lshl_b64 s[8:9], s[6:7], 2
	s_add_u32 s8, s10, s8
	s_addc_u32 s9, s11, s9
	s_waitcnt lgkmcnt(0)
	global_store_dword v71, v72, s[8:9]
.LBB34_12:
	s_or_b32 exec_lo, exec_lo, s5
	s_waitcnt lgkmcnt(0)
	v_cmp_ne_u32_e32 vcc_lo, 0, v72
	s_mov_b32 s5, 0
	s_cbranch_vccnz .LBB34_152
; %bb.13:
	s_clause 0x1
	buffer_load_dword v72, v75, s[0:3], 0 offen
	buffer_load_dword v74, v75, s[0:3], 0 offen offset:4
                                        ; implicit-def: $vgpr77
                                        ; implicit-def: $vgpr76
                                        ; implicit-def: $vgpr71
	s_waitcnt vmcnt(0)
	v_cmp_ngt_f32_e64 s5, |v72|, |v74|
	s_and_saveexec_b32 s8, s5
	s_xor_b32 s5, exec_lo, s8
	s_cbranch_execz .LBB34_15
; %bb.14:
	v_div_scale_f32 v71, null, v74, v74, v72
	v_div_scale_f32 v78, vcc_lo, v72, v74, v72
	v_rcp_f32_e32 v76, v71
	v_fma_f32 v77, -v71, v76, 1.0
	v_fmac_f32_e32 v76, v77, v76
	v_mul_f32_e32 v77, v78, v76
	v_fma_f32 v79, -v71, v77, v78
	v_fmac_f32_e32 v77, v79, v76
	v_fma_f32 v71, -v71, v77, v78
	v_div_fmas_f32 v71, v71, v76, v77
	v_div_fixup_f32 v71, v71, v74, v72
	v_fmac_f32_e32 v74, v72, v71
	v_div_scale_f32 v72, null, v74, v74, 1.0
	v_rcp_f32_e32 v76, v72
	v_fma_f32 v77, -v72, v76, 1.0
	v_fmac_f32_e32 v76, v77, v76
	v_div_scale_f32 v77, vcc_lo, 1.0, v74, 1.0
	v_mul_f32_e32 v78, v77, v76
	v_fma_f32 v79, -v72, v78, v77
	v_fmac_f32_e32 v78, v79, v76
	v_fma_f32 v72, -v72, v78, v77
	v_div_fmas_f32 v72, v72, v76, v78
	v_div_fixup_f32 v72, v72, v74, 1.0
                                        ; implicit-def: $vgpr74
	v_mul_f32_e32 v77, v71, v72
	v_xor_b32_e32 v76, 0x80000000, v72
                                        ; implicit-def: $vgpr72
	v_xor_b32_e32 v71, 0x80000000, v77
.LBB34_15:
	s_andn2_saveexec_b32 s5, s5
	s_cbranch_execz .LBB34_17
; %bb.16:
	v_div_scale_f32 v71, null, v72, v72, v74
	v_div_scale_f32 v78, vcc_lo, v74, v72, v74
	v_rcp_f32_e32 v76, v71
	v_fma_f32 v77, -v71, v76, 1.0
	v_fmac_f32_e32 v76, v77, v76
	v_mul_f32_e32 v77, v78, v76
	v_fma_f32 v79, -v71, v77, v78
	v_fmac_f32_e32 v77, v79, v76
	v_fma_f32 v71, -v71, v77, v78
	v_div_fmas_f32 v71, v71, v76, v77
	v_div_fixup_f32 v76, v71, v72, v74
	v_fmac_f32_e32 v72, v74, v76
	v_div_scale_f32 v71, null, v72, v72, 1.0
	v_div_scale_f32 v78, vcc_lo, 1.0, v72, 1.0
	v_rcp_f32_e32 v74, v71
	v_fma_f32 v77, -v71, v74, 1.0
	v_fmac_f32_e32 v74, v77, v74
	v_mul_f32_e32 v77, v78, v74
	v_fma_f32 v79, -v71, v77, v78
	v_fmac_f32_e32 v77, v79, v74
	v_fma_f32 v71, -v71, v77, v78
	v_div_fmas_f32 v71, v71, v74, v77
	v_div_fixup_f32 v77, v71, v72, 1.0
	v_xor_b32_e32 v71, 0x80000000, v77
	v_mul_f32_e64 v76, v76, -v77
.LBB34_17:
	s_or_b32 exec_lo, exec_lo, s5
	buffer_store_dword v77, v75, s[0:3], 0 offen
	buffer_store_dword v76, v75, s[0:3], 0 offen offset:4
	s_clause 0x1
	buffer_load_dword v78, off, s[0:3], 0 offset:12
	buffer_load_dword v77, off, s[0:3], 0 offset:8
	v_xor_b32_e32 v72, 0x80000000, v76
	v_add_nc_u32_e32 v74, 0x120, v73
	s_waitcnt vmcnt(0)
	ds_write2_b64 v73, v[71:72], v[77:78] offset1:36
	s_waitcnt lgkmcnt(0)
	s_waitcnt_vscnt null, 0x0
	s_barrier
	buffer_gl0_inv
	s_and_saveexec_b32 s5, s4
	s_cbranch_execz .LBB34_19
; %bb.18:
	s_clause 0x1
	buffer_load_dword v78, v75, s[0:3], 0 offen offset:4
	buffer_load_dword v79, v75, s[0:3], 0 offen
	ds_read_b64 v[71:72], v74
	v_mov_b32_e32 v76, 0
	ds_read_b64 v[76:77], v76 offset:8
	s_waitcnt vmcnt(1) lgkmcnt(1)
	v_mul_f32_e32 v80, v71, v78
	v_mul_f32_e32 v78, v72, v78
	s_waitcnt vmcnt(0)
	v_fmac_f32_e32 v80, v72, v79
	v_fma_f32 v71, v71, v79, -v78
	v_add_f32_e32 v72, 0, v80
	v_add_f32_e32 v71, 0, v71
	s_waitcnt lgkmcnt(0)
	v_mul_f32_e32 v78, v72, v77
	v_mul_f32_e32 v77, v71, v77
	v_fma_f32 v71, v71, v76, -v78
	v_fmac_f32_e32 v77, v72, v76
	buffer_store_dword v71, off, s[0:3], 0 offset:8
	buffer_store_dword v77, off, s[0:3], 0 offset:12
.LBB34_19:
	s_or_b32 exec_lo, exec_lo, s5
	s_waitcnt_vscnt null, 0x0
	s_barrier
	buffer_gl0_inv
	s_clause 0x1
	buffer_load_dword v71, off, s[0:3], 0 offset:16
	buffer_load_dword v72, off, s[0:3], 0 offset:20
	s_mov_b32 s5, exec_lo
	s_waitcnt vmcnt(0)
	ds_write_b64 v74, v[71:72]
	s_waitcnt lgkmcnt(0)
	s_barrier
	buffer_gl0_inv
	v_cmpx_gt_u32_e32 2, v0
	s_cbranch_execz .LBB34_23
; %bb.20:
	s_clause 0x1
	buffer_load_dword v76, v75, s[0:3], 0 offen offset:4
	buffer_load_dword v75, v75, s[0:3], 0 offen
	ds_read_b64 v[71:72], v74
	s_waitcnt vmcnt(1) lgkmcnt(0)
	v_mul_f32_e32 v77, v72, v76
	v_mul_f32_e32 v76, v71, v76
	s_waitcnt vmcnt(0)
	v_fma_f32 v71, v71, v75, -v77
	v_fmac_f32_e32 v76, v72, v75
	v_add_f32_e32 v72, 0, v71
	v_add_f32_e32 v71, 0, v76
	s_and_saveexec_b32 s8, s4
	s_cbranch_execz .LBB34_22
; %bb.21:
	s_clause 0x1
	buffer_load_dword v77, off, s[0:3], 0 offset:12
	buffer_load_dword v78, off, s[0:3], 0 offset:8
	v_mov_b32_e32 v75, 0
	ds_read_b64 v[75:76], v75 offset:296
	s_waitcnt vmcnt(1) lgkmcnt(0)
	v_mul_f32_e32 v79, v75, v77
	v_mul_f32_e32 v77, v76, v77
	s_waitcnt vmcnt(0)
	v_fmac_f32_e32 v79, v76, v78
	v_fma_f32 v75, v75, v78, -v77
	v_add_f32_e32 v71, v71, v79
	v_add_f32_e32 v72, v72, v75
.LBB34_22:
	s_or_b32 exec_lo, exec_lo, s8
	v_mov_b32_e32 v75, 0
	ds_read_b64 v[75:76], v75 offset:16
	s_waitcnt lgkmcnt(0)
	v_mul_f32_e32 v77, v71, v76
	v_mul_f32_e32 v76, v72, v76
	v_fma_f32 v72, v72, v75, -v77
	v_fmac_f32_e32 v76, v71, v75
	buffer_store_dword v72, off, s[0:3], 0 offset:16
	buffer_store_dword v76, off, s[0:3], 0 offset:20
.LBB34_23:
	s_or_b32 exec_lo, exec_lo, s5
	s_waitcnt_vscnt null, 0x0
	s_barrier
	buffer_gl0_inv
	s_clause 0x1
	buffer_load_dword v75, off, s[0:3], 0 offset:24
	buffer_load_dword v76, off, s[0:3], 0 offset:28
	v_add_nc_u32_e32 v71, -1, v0
	s_mov_b32 s4, exec_lo
	s_waitcnt vmcnt(0)
	ds_write_b64 v74, v[75:76]
	s_waitcnt lgkmcnt(0)
	s_barrier
	buffer_gl0_inv
	v_cmpx_gt_u32_e32 3, v0
	s_cbranch_execz .LBB34_27
; %bb.24:
	v_add_nc_u32_e32 v75, -1, v0
	v_add_nc_u32_e32 v76, 0x120, v73
	v_mov_b32_e32 v77, v73
	v_mov_b32_e32 v72, 0
	v_mov_b32_e32 v78, 0
	s_mov_b32 s5, 0
	.p2align	6
.LBB34_25:                              ; =>This Inner Loop Header: Depth=1
	s_clause 0x1
	buffer_load_dword v81, v77, s[0:3], 0 offen offset:4
	buffer_load_dword v82, v77, s[0:3], 0 offen
	ds_read_b64 v[79:80], v76
	v_add_nc_u32_e32 v75, 1, v75
	v_add_nc_u32_e32 v76, 8, v76
	;; [unrolled: 1-line block ×3, first 2 shown]
	v_cmp_lt_u32_e32 vcc_lo, 1, v75
	s_or_b32 s5, vcc_lo, s5
	s_waitcnt vmcnt(1) lgkmcnt(0)
	v_mul_f32_e32 v83, v80, v81
	v_mul_f32_e32 v81, v79, v81
	s_waitcnt vmcnt(0)
	v_fma_f32 v79, v79, v82, -v83
	v_fmac_f32_e32 v81, v80, v82
	v_add_f32_e32 v78, v78, v79
	v_add_f32_e32 v72, v72, v81
	s_andn2_b32 exec_lo, exec_lo, s5
	s_cbranch_execnz .LBB34_25
; %bb.26:
	s_or_b32 exec_lo, exec_lo, s5
	v_mov_b32_e32 v75, 0
	ds_read_b64 v[75:76], v75 offset:24
	s_waitcnt lgkmcnt(0)
	v_mul_f32_e32 v77, v72, v76
	v_mul_f32_e32 v76, v78, v76
	v_fma_f32 v77, v78, v75, -v77
	v_fmac_f32_e32 v76, v72, v75
	buffer_store_dword v77, off, s[0:3], 0 offset:24
	buffer_store_dword v76, off, s[0:3], 0 offset:28
.LBB34_27:
	s_or_b32 exec_lo, exec_lo, s4
	s_waitcnt_vscnt null, 0x0
	s_barrier
	buffer_gl0_inv
	s_clause 0x1
	buffer_load_dword v75, off, s[0:3], 0 offset:32
	buffer_load_dword v76, off, s[0:3], 0 offset:36
	s_mov_b32 s4, exec_lo
	s_waitcnt vmcnt(0)
	ds_write_b64 v74, v[75:76]
	s_waitcnt lgkmcnt(0)
	s_barrier
	buffer_gl0_inv
	v_cmpx_gt_u32_e32 4, v0
	s_cbranch_execz .LBB34_31
; %bb.28:
	v_add_nc_u32_e32 v75, -1, v0
	v_add_nc_u32_e32 v76, 0x120, v73
	v_mov_b32_e32 v77, v73
	v_mov_b32_e32 v72, 0
	;; [unrolled: 1-line block ×3, first 2 shown]
	s_mov_b32 s5, 0
	.p2align	6
.LBB34_29:                              ; =>This Inner Loop Header: Depth=1
	s_clause 0x1
	buffer_load_dword v81, v77, s[0:3], 0 offen offset:4
	buffer_load_dword v82, v77, s[0:3], 0 offen
	ds_read_b64 v[79:80], v76
	v_add_nc_u32_e32 v75, 1, v75
	v_add_nc_u32_e32 v76, 8, v76
	;; [unrolled: 1-line block ×3, first 2 shown]
	v_cmp_lt_u32_e32 vcc_lo, 2, v75
	s_or_b32 s5, vcc_lo, s5
	s_waitcnt vmcnt(1) lgkmcnt(0)
	v_mul_f32_e32 v83, v80, v81
	v_mul_f32_e32 v81, v79, v81
	s_waitcnt vmcnt(0)
	v_fma_f32 v79, v79, v82, -v83
	v_fmac_f32_e32 v81, v80, v82
	v_add_f32_e32 v78, v78, v79
	v_add_f32_e32 v72, v72, v81
	s_andn2_b32 exec_lo, exec_lo, s5
	s_cbranch_execnz .LBB34_29
; %bb.30:
	s_or_b32 exec_lo, exec_lo, s5
	v_mov_b32_e32 v75, 0
	ds_read_b64 v[75:76], v75 offset:32
	s_waitcnt lgkmcnt(0)
	v_mul_f32_e32 v77, v72, v76
	v_mul_f32_e32 v76, v78, v76
	v_fma_f32 v77, v78, v75, -v77
	v_fmac_f32_e32 v76, v72, v75
	buffer_store_dword v77, off, s[0:3], 0 offset:32
	buffer_store_dword v76, off, s[0:3], 0 offset:36
.LBB34_31:
	s_or_b32 exec_lo, exec_lo, s4
	s_waitcnt_vscnt null, 0x0
	s_barrier
	buffer_gl0_inv
	s_clause 0x1
	buffer_load_dword v75, off, s[0:3], 0 offset:40
	buffer_load_dword v76, off, s[0:3], 0 offset:44
	s_mov_b32 s4, exec_lo
	s_waitcnt vmcnt(0)
	ds_write_b64 v74, v[75:76]
	s_waitcnt lgkmcnt(0)
	s_barrier
	buffer_gl0_inv
	v_cmpx_gt_u32_e32 5, v0
	s_cbranch_execz .LBB34_35
; %bb.32:
	v_add_nc_u32_e32 v75, -1, v0
	v_add_nc_u32_e32 v76, 0x120, v73
	v_mov_b32_e32 v77, v73
	v_mov_b32_e32 v72, 0
	;; [unrolled: 1-line block ×3, first 2 shown]
	s_mov_b32 s5, 0
	.p2align	6
.LBB34_33:                              ; =>This Inner Loop Header: Depth=1
	s_clause 0x1
	buffer_load_dword v81, v77, s[0:3], 0 offen offset:4
	buffer_load_dword v82, v77, s[0:3], 0 offen
	ds_read_b64 v[79:80], v76
	v_add_nc_u32_e32 v75, 1, v75
	v_add_nc_u32_e32 v76, 8, v76
	;; [unrolled: 1-line block ×3, first 2 shown]
	v_cmp_lt_u32_e32 vcc_lo, 3, v75
	s_or_b32 s5, vcc_lo, s5
	s_waitcnt vmcnt(1) lgkmcnt(0)
	v_mul_f32_e32 v83, v80, v81
	v_mul_f32_e32 v81, v79, v81
	s_waitcnt vmcnt(0)
	v_fma_f32 v79, v79, v82, -v83
	v_fmac_f32_e32 v81, v80, v82
	v_add_f32_e32 v78, v78, v79
	v_add_f32_e32 v72, v72, v81
	s_andn2_b32 exec_lo, exec_lo, s5
	s_cbranch_execnz .LBB34_33
; %bb.34:
	s_or_b32 exec_lo, exec_lo, s5
	v_mov_b32_e32 v75, 0
	ds_read_b64 v[75:76], v75 offset:40
	s_waitcnt lgkmcnt(0)
	v_mul_f32_e32 v77, v72, v76
	v_mul_f32_e32 v76, v78, v76
	v_fma_f32 v77, v78, v75, -v77
	v_fmac_f32_e32 v76, v72, v75
	buffer_store_dword v77, off, s[0:3], 0 offset:40
	buffer_store_dword v76, off, s[0:3], 0 offset:44
.LBB34_35:
	s_or_b32 exec_lo, exec_lo, s4
	s_waitcnt_vscnt null, 0x0
	s_barrier
	buffer_gl0_inv
	s_clause 0x1
	buffer_load_dword v75, off, s[0:3], 0 offset:48
	buffer_load_dword v76, off, s[0:3], 0 offset:52
	s_mov_b32 s4, exec_lo
	s_waitcnt vmcnt(0)
	ds_write_b64 v74, v[75:76]
	s_waitcnt lgkmcnt(0)
	s_barrier
	buffer_gl0_inv
	v_cmpx_gt_u32_e32 6, v0
	s_cbranch_execz .LBB34_39
; %bb.36:
	v_add_nc_u32_e32 v75, -1, v0
	v_add_nc_u32_e32 v76, 0x120, v73
	v_mov_b32_e32 v77, v73
	v_mov_b32_e32 v72, 0
	;; [unrolled: 1-line block ×3, first 2 shown]
	s_mov_b32 s5, 0
	.p2align	6
.LBB34_37:                              ; =>This Inner Loop Header: Depth=1
	s_clause 0x1
	buffer_load_dword v81, v77, s[0:3], 0 offen offset:4
	buffer_load_dword v82, v77, s[0:3], 0 offen
	ds_read_b64 v[79:80], v76
	v_add_nc_u32_e32 v75, 1, v75
	v_add_nc_u32_e32 v76, 8, v76
	;; [unrolled: 1-line block ×3, first 2 shown]
	v_cmp_lt_u32_e32 vcc_lo, 4, v75
	s_or_b32 s5, vcc_lo, s5
	s_waitcnt vmcnt(1) lgkmcnt(0)
	v_mul_f32_e32 v83, v80, v81
	v_mul_f32_e32 v81, v79, v81
	s_waitcnt vmcnt(0)
	v_fma_f32 v79, v79, v82, -v83
	v_fmac_f32_e32 v81, v80, v82
	v_add_f32_e32 v78, v78, v79
	v_add_f32_e32 v72, v72, v81
	s_andn2_b32 exec_lo, exec_lo, s5
	s_cbranch_execnz .LBB34_37
; %bb.38:
	s_or_b32 exec_lo, exec_lo, s5
	v_mov_b32_e32 v75, 0
	ds_read_b64 v[75:76], v75 offset:48
	s_waitcnt lgkmcnt(0)
	v_mul_f32_e32 v77, v72, v76
	v_mul_f32_e32 v76, v78, v76
	v_fma_f32 v77, v78, v75, -v77
	v_fmac_f32_e32 v76, v72, v75
	buffer_store_dword v77, off, s[0:3], 0 offset:48
	buffer_store_dword v76, off, s[0:3], 0 offset:52
.LBB34_39:
	s_or_b32 exec_lo, exec_lo, s4
	s_waitcnt_vscnt null, 0x0
	s_barrier
	buffer_gl0_inv
	s_clause 0x1
	buffer_load_dword v75, off, s[0:3], 0 offset:56
	buffer_load_dword v76, off, s[0:3], 0 offset:60
	s_mov_b32 s4, exec_lo
	s_waitcnt vmcnt(0)
	ds_write_b64 v74, v[75:76]
	s_waitcnt lgkmcnt(0)
	s_barrier
	buffer_gl0_inv
	v_cmpx_gt_u32_e32 7, v0
	s_cbranch_execz .LBB34_43
; %bb.40:
	v_add_nc_u32_e32 v75, -1, v0
	v_add_nc_u32_e32 v76, 0x120, v73
	v_mov_b32_e32 v77, v73
	v_mov_b32_e32 v72, 0
	;; [unrolled: 1-line block ×3, first 2 shown]
	s_mov_b32 s5, 0
	.p2align	6
.LBB34_41:                              ; =>This Inner Loop Header: Depth=1
	s_clause 0x1
	buffer_load_dword v81, v77, s[0:3], 0 offen offset:4
	buffer_load_dword v82, v77, s[0:3], 0 offen
	ds_read_b64 v[79:80], v76
	v_add_nc_u32_e32 v75, 1, v75
	v_add_nc_u32_e32 v76, 8, v76
	;; [unrolled: 1-line block ×3, first 2 shown]
	v_cmp_lt_u32_e32 vcc_lo, 5, v75
	s_or_b32 s5, vcc_lo, s5
	s_waitcnt vmcnt(1) lgkmcnt(0)
	v_mul_f32_e32 v83, v80, v81
	v_mul_f32_e32 v81, v79, v81
	s_waitcnt vmcnt(0)
	v_fma_f32 v79, v79, v82, -v83
	v_fmac_f32_e32 v81, v80, v82
	v_add_f32_e32 v78, v78, v79
	v_add_f32_e32 v72, v72, v81
	s_andn2_b32 exec_lo, exec_lo, s5
	s_cbranch_execnz .LBB34_41
; %bb.42:
	s_or_b32 exec_lo, exec_lo, s5
	v_mov_b32_e32 v75, 0
	ds_read_b64 v[75:76], v75 offset:56
	s_waitcnt lgkmcnt(0)
	v_mul_f32_e32 v77, v72, v76
	v_mul_f32_e32 v76, v78, v76
	v_fma_f32 v77, v78, v75, -v77
	v_fmac_f32_e32 v76, v72, v75
	buffer_store_dword v77, off, s[0:3], 0 offset:56
	buffer_store_dword v76, off, s[0:3], 0 offset:60
.LBB34_43:
	s_or_b32 exec_lo, exec_lo, s4
	s_waitcnt_vscnt null, 0x0
	s_barrier
	buffer_gl0_inv
	s_clause 0x1
	buffer_load_dword v75, off, s[0:3], 0 offset:64
	buffer_load_dword v76, off, s[0:3], 0 offset:68
	s_mov_b32 s4, exec_lo
	s_waitcnt vmcnt(0)
	ds_write_b64 v74, v[75:76]
	s_waitcnt lgkmcnt(0)
	s_barrier
	buffer_gl0_inv
	v_cmpx_gt_u32_e32 8, v0
	s_cbranch_execz .LBB34_47
; %bb.44:
	v_add_nc_u32_e32 v75, -1, v0
	v_add_nc_u32_e32 v76, 0x120, v73
	v_mov_b32_e32 v77, v73
	v_mov_b32_e32 v72, 0
	;; [unrolled: 1-line block ×3, first 2 shown]
	s_mov_b32 s5, 0
	.p2align	6
.LBB34_45:                              ; =>This Inner Loop Header: Depth=1
	s_clause 0x1
	buffer_load_dword v81, v77, s[0:3], 0 offen offset:4
	buffer_load_dword v82, v77, s[0:3], 0 offen
	ds_read_b64 v[79:80], v76
	v_add_nc_u32_e32 v75, 1, v75
	v_add_nc_u32_e32 v76, 8, v76
	;; [unrolled: 1-line block ×3, first 2 shown]
	v_cmp_lt_u32_e32 vcc_lo, 6, v75
	s_or_b32 s5, vcc_lo, s5
	s_waitcnt vmcnt(1) lgkmcnt(0)
	v_mul_f32_e32 v83, v80, v81
	v_mul_f32_e32 v81, v79, v81
	s_waitcnt vmcnt(0)
	v_fma_f32 v79, v79, v82, -v83
	v_fmac_f32_e32 v81, v80, v82
	v_add_f32_e32 v78, v78, v79
	v_add_f32_e32 v72, v72, v81
	s_andn2_b32 exec_lo, exec_lo, s5
	s_cbranch_execnz .LBB34_45
; %bb.46:
	s_or_b32 exec_lo, exec_lo, s5
	v_mov_b32_e32 v75, 0
	ds_read_b64 v[75:76], v75 offset:64
	s_waitcnt lgkmcnt(0)
	v_mul_f32_e32 v77, v72, v76
	v_mul_f32_e32 v76, v78, v76
	v_fma_f32 v77, v78, v75, -v77
	v_fmac_f32_e32 v76, v72, v75
	buffer_store_dword v77, off, s[0:3], 0 offset:64
	buffer_store_dword v76, off, s[0:3], 0 offset:68
.LBB34_47:
	s_or_b32 exec_lo, exec_lo, s4
	s_waitcnt_vscnt null, 0x0
	s_barrier
	buffer_gl0_inv
	s_clause 0x1
	buffer_load_dword v75, off, s[0:3], 0 offset:72
	buffer_load_dword v76, off, s[0:3], 0 offset:76
	s_mov_b32 s4, exec_lo
	s_waitcnt vmcnt(0)
	ds_write_b64 v74, v[75:76]
	s_waitcnt lgkmcnt(0)
	s_barrier
	buffer_gl0_inv
	v_cmpx_gt_u32_e32 9, v0
	s_cbranch_execz .LBB34_51
; %bb.48:
	v_add_nc_u32_e32 v75, -1, v0
	v_add_nc_u32_e32 v76, 0x120, v73
	v_mov_b32_e32 v77, v73
	v_mov_b32_e32 v72, 0
	;; [unrolled: 1-line block ×3, first 2 shown]
	s_mov_b32 s5, 0
	.p2align	6
.LBB34_49:                              ; =>This Inner Loop Header: Depth=1
	s_clause 0x1
	buffer_load_dword v81, v77, s[0:3], 0 offen offset:4
	buffer_load_dword v82, v77, s[0:3], 0 offen
	ds_read_b64 v[79:80], v76
	v_add_nc_u32_e32 v75, 1, v75
	v_add_nc_u32_e32 v76, 8, v76
	;; [unrolled: 1-line block ×3, first 2 shown]
	v_cmp_lt_u32_e32 vcc_lo, 7, v75
	s_or_b32 s5, vcc_lo, s5
	s_waitcnt vmcnt(1) lgkmcnt(0)
	v_mul_f32_e32 v83, v80, v81
	v_mul_f32_e32 v81, v79, v81
	s_waitcnt vmcnt(0)
	v_fma_f32 v79, v79, v82, -v83
	v_fmac_f32_e32 v81, v80, v82
	v_add_f32_e32 v78, v78, v79
	v_add_f32_e32 v72, v72, v81
	s_andn2_b32 exec_lo, exec_lo, s5
	s_cbranch_execnz .LBB34_49
; %bb.50:
	s_or_b32 exec_lo, exec_lo, s5
	v_mov_b32_e32 v75, 0
	ds_read_b64 v[75:76], v75 offset:72
	s_waitcnt lgkmcnt(0)
	v_mul_f32_e32 v77, v72, v76
	v_mul_f32_e32 v76, v78, v76
	v_fma_f32 v77, v78, v75, -v77
	v_fmac_f32_e32 v76, v72, v75
	buffer_store_dword v77, off, s[0:3], 0 offset:72
	buffer_store_dword v76, off, s[0:3], 0 offset:76
.LBB34_51:
	s_or_b32 exec_lo, exec_lo, s4
	s_waitcnt_vscnt null, 0x0
	s_barrier
	buffer_gl0_inv
	s_clause 0x1
	buffer_load_dword v75, off, s[0:3], 0 offset:80
	buffer_load_dword v76, off, s[0:3], 0 offset:84
	s_mov_b32 s4, exec_lo
	s_waitcnt vmcnt(0)
	ds_write_b64 v74, v[75:76]
	s_waitcnt lgkmcnt(0)
	s_barrier
	buffer_gl0_inv
	v_cmpx_gt_u32_e32 10, v0
	s_cbranch_execz .LBB34_55
; %bb.52:
	v_add_nc_u32_e32 v75, -1, v0
	v_add_nc_u32_e32 v76, 0x120, v73
	v_mov_b32_e32 v77, v73
	v_mov_b32_e32 v72, 0
	;; [unrolled: 1-line block ×3, first 2 shown]
	s_mov_b32 s5, 0
	.p2align	6
.LBB34_53:                              ; =>This Inner Loop Header: Depth=1
	s_clause 0x1
	buffer_load_dword v81, v77, s[0:3], 0 offen offset:4
	buffer_load_dword v82, v77, s[0:3], 0 offen
	ds_read_b64 v[79:80], v76
	v_add_nc_u32_e32 v75, 1, v75
	v_add_nc_u32_e32 v76, 8, v76
	v_add_nc_u32_e32 v77, 8, v77
	v_cmp_lt_u32_e32 vcc_lo, 8, v75
	s_or_b32 s5, vcc_lo, s5
	s_waitcnt vmcnt(1) lgkmcnt(0)
	v_mul_f32_e32 v83, v80, v81
	v_mul_f32_e32 v81, v79, v81
	s_waitcnt vmcnt(0)
	v_fma_f32 v79, v79, v82, -v83
	v_fmac_f32_e32 v81, v80, v82
	v_add_f32_e32 v78, v78, v79
	v_add_f32_e32 v72, v72, v81
	s_andn2_b32 exec_lo, exec_lo, s5
	s_cbranch_execnz .LBB34_53
; %bb.54:
	s_or_b32 exec_lo, exec_lo, s5
	v_mov_b32_e32 v75, 0
	ds_read_b64 v[75:76], v75 offset:80
	s_waitcnt lgkmcnt(0)
	v_mul_f32_e32 v77, v72, v76
	v_mul_f32_e32 v76, v78, v76
	v_fma_f32 v77, v78, v75, -v77
	v_fmac_f32_e32 v76, v72, v75
	buffer_store_dword v77, off, s[0:3], 0 offset:80
	buffer_store_dword v76, off, s[0:3], 0 offset:84
.LBB34_55:
	s_or_b32 exec_lo, exec_lo, s4
	s_waitcnt_vscnt null, 0x0
	s_barrier
	buffer_gl0_inv
	s_clause 0x1
	buffer_load_dword v75, off, s[0:3], 0 offset:88
	buffer_load_dword v76, off, s[0:3], 0 offset:92
	s_mov_b32 s4, exec_lo
	s_waitcnt vmcnt(0)
	ds_write_b64 v74, v[75:76]
	s_waitcnt lgkmcnt(0)
	s_barrier
	buffer_gl0_inv
	v_cmpx_gt_u32_e32 11, v0
	s_cbranch_execz .LBB34_59
; %bb.56:
	v_add_nc_u32_e32 v75, -1, v0
	v_add_nc_u32_e32 v76, 0x120, v73
	v_mov_b32_e32 v77, v73
	v_mov_b32_e32 v72, 0
	;; [unrolled: 1-line block ×3, first 2 shown]
	s_mov_b32 s5, 0
	.p2align	6
.LBB34_57:                              ; =>This Inner Loop Header: Depth=1
	s_clause 0x1
	buffer_load_dword v81, v77, s[0:3], 0 offen offset:4
	buffer_load_dword v82, v77, s[0:3], 0 offen
	ds_read_b64 v[79:80], v76
	v_add_nc_u32_e32 v75, 1, v75
	v_add_nc_u32_e32 v76, 8, v76
	;; [unrolled: 1-line block ×3, first 2 shown]
	v_cmp_lt_u32_e32 vcc_lo, 9, v75
	s_or_b32 s5, vcc_lo, s5
	s_waitcnt vmcnt(1) lgkmcnt(0)
	v_mul_f32_e32 v83, v80, v81
	v_mul_f32_e32 v81, v79, v81
	s_waitcnt vmcnt(0)
	v_fma_f32 v79, v79, v82, -v83
	v_fmac_f32_e32 v81, v80, v82
	v_add_f32_e32 v78, v78, v79
	v_add_f32_e32 v72, v72, v81
	s_andn2_b32 exec_lo, exec_lo, s5
	s_cbranch_execnz .LBB34_57
; %bb.58:
	s_or_b32 exec_lo, exec_lo, s5
	v_mov_b32_e32 v75, 0
	ds_read_b64 v[75:76], v75 offset:88
	s_waitcnt lgkmcnt(0)
	v_mul_f32_e32 v77, v72, v76
	v_mul_f32_e32 v76, v78, v76
	v_fma_f32 v77, v78, v75, -v77
	v_fmac_f32_e32 v76, v72, v75
	buffer_store_dword v77, off, s[0:3], 0 offset:88
	buffer_store_dword v76, off, s[0:3], 0 offset:92
.LBB34_59:
	s_or_b32 exec_lo, exec_lo, s4
	s_waitcnt_vscnt null, 0x0
	s_barrier
	buffer_gl0_inv
	s_clause 0x1
	buffer_load_dword v75, off, s[0:3], 0 offset:96
	buffer_load_dword v76, off, s[0:3], 0 offset:100
	s_mov_b32 s4, exec_lo
	s_waitcnt vmcnt(0)
	ds_write_b64 v74, v[75:76]
	s_waitcnt lgkmcnt(0)
	s_barrier
	buffer_gl0_inv
	v_cmpx_gt_u32_e32 12, v0
	s_cbranch_execz .LBB34_63
; %bb.60:
	v_add_nc_u32_e32 v75, -1, v0
	v_add_nc_u32_e32 v76, 0x120, v73
	v_mov_b32_e32 v77, v73
	v_mov_b32_e32 v72, 0
	;; [unrolled: 1-line block ×3, first 2 shown]
	s_mov_b32 s5, 0
	.p2align	6
.LBB34_61:                              ; =>This Inner Loop Header: Depth=1
	s_clause 0x1
	buffer_load_dword v81, v77, s[0:3], 0 offen offset:4
	buffer_load_dword v82, v77, s[0:3], 0 offen
	ds_read_b64 v[79:80], v76
	v_add_nc_u32_e32 v75, 1, v75
	v_add_nc_u32_e32 v76, 8, v76
	;; [unrolled: 1-line block ×3, first 2 shown]
	v_cmp_lt_u32_e32 vcc_lo, 10, v75
	s_or_b32 s5, vcc_lo, s5
	s_waitcnt vmcnt(1) lgkmcnt(0)
	v_mul_f32_e32 v83, v80, v81
	v_mul_f32_e32 v81, v79, v81
	s_waitcnt vmcnt(0)
	v_fma_f32 v79, v79, v82, -v83
	v_fmac_f32_e32 v81, v80, v82
	v_add_f32_e32 v78, v78, v79
	v_add_f32_e32 v72, v72, v81
	s_andn2_b32 exec_lo, exec_lo, s5
	s_cbranch_execnz .LBB34_61
; %bb.62:
	s_or_b32 exec_lo, exec_lo, s5
	v_mov_b32_e32 v75, 0
	ds_read_b64 v[75:76], v75 offset:96
	s_waitcnt lgkmcnt(0)
	v_mul_f32_e32 v77, v72, v76
	v_mul_f32_e32 v76, v78, v76
	v_fma_f32 v77, v78, v75, -v77
	v_fmac_f32_e32 v76, v72, v75
	buffer_store_dword v77, off, s[0:3], 0 offset:96
	buffer_store_dword v76, off, s[0:3], 0 offset:100
.LBB34_63:
	s_or_b32 exec_lo, exec_lo, s4
	s_waitcnt_vscnt null, 0x0
	s_barrier
	buffer_gl0_inv
	s_clause 0x1
	buffer_load_dword v75, off, s[0:3], 0 offset:104
	buffer_load_dword v76, off, s[0:3], 0 offset:108
	s_mov_b32 s4, exec_lo
	s_waitcnt vmcnt(0)
	ds_write_b64 v74, v[75:76]
	s_waitcnt lgkmcnt(0)
	s_barrier
	buffer_gl0_inv
	v_cmpx_gt_u32_e32 13, v0
	s_cbranch_execz .LBB34_67
; %bb.64:
	v_add_nc_u32_e32 v75, -1, v0
	v_add_nc_u32_e32 v76, 0x120, v73
	v_mov_b32_e32 v77, v73
	v_mov_b32_e32 v72, 0
	;; [unrolled: 1-line block ×3, first 2 shown]
	s_mov_b32 s5, 0
	.p2align	6
.LBB34_65:                              ; =>This Inner Loop Header: Depth=1
	s_clause 0x1
	buffer_load_dword v81, v77, s[0:3], 0 offen offset:4
	buffer_load_dword v82, v77, s[0:3], 0 offen
	ds_read_b64 v[79:80], v76
	v_add_nc_u32_e32 v75, 1, v75
	v_add_nc_u32_e32 v76, 8, v76
	;; [unrolled: 1-line block ×3, first 2 shown]
	v_cmp_lt_u32_e32 vcc_lo, 11, v75
	s_or_b32 s5, vcc_lo, s5
	s_waitcnt vmcnt(1) lgkmcnt(0)
	v_mul_f32_e32 v83, v80, v81
	v_mul_f32_e32 v81, v79, v81
	s_waitcnt vmcnt(0)
	v_fma_f32 v79, v79, v82, -v83
	v_fmac_f32_e32 v81, v80, v82
	v_add_f32_e32 v78, v78, v79
	v_add_f32_e32 v72, v72, v81
	s_andn2_b32 exec_lo, exec_lo, s5
	s_cbranch_execnz .LBB34_65
; %bb.66:
	s_or_b32 exec_lo, exec_lo, s5
	v_mov_b32_e32 v75, 0
	ds_read_b64 v[75:76], v75 offset:104
	s_waitcnt lgkmcnt(0)
	v_mul_f32_e32 v77, v72, v76
	v_mul_f32_e32 v76, v78, v76
	v_fma_f32 v77, v78, v75, -v77
	v_fmac_f32_e32 v76, v72, v75
	buffer_store_dword v77, off, s[0:3], 0 offset:104
	buffer_store_dword v76, off, s[0:3], 0 offset:108
.LBB34_67:
	s_or_b32 exec_lo, exec_lo, s4
	s_waitcnt_vscnt null, 0x0
	s_barrier
	buffer_gl0_inv
	s_clause 0x1
	buffer_load_dword v75, off, s[0:3], 0 offset:112
	buffer_load_dword v76, off, s[0:3], 0 offset:116
	s_mov_b32 s4, exec_lo
	s_waitcnt vmcnt(0)
	ds_write_b64 v74, v[75:76]
	s_waitcnt lgkmcnt(0)
	s_barrier
	buffer_gl0_inv
	v_cmpx_gt_u32_e32 14, v0
	s_cbranch_execz .LBB34_71
; %bb.68:
	v_add_nc_u32_e32 v75, -1, v0
	v_add_nc_u32_e32 v76, 0x120, v73
	v_mov_b32_e32 v77, v73
	v_mov_b32_e32 v72, 0
	;; [unrolled: 1-line block ×3, first 2 shown]
	s_mov_b32 s5, 0
	.p2align	6
.LBB34_69:                              ; =>This Inner Loop Header: Depth=1
	s_clause 0x1
	buffer_load_dword v81, v77, s[0:3], 0 offen offset:4
	buffer_load_dword v82, v77, s[0:3], 0 offen
	ds_read_b64 v[79:80], v76
	v_add_nc_u32_e32 v75, 1, v75
	v_add_nc_u32_e32 v76, 8, v76
	;; [unrolled: 1-line block ×3, first 2 shown]
	v_cmp_lt_u32_e32 vcc_lo, 12, v75
	s_or_b32 s5, vcc_lo, s5
	s_waitcnt vmcnt(1) lgkmcnt(0)
	v_mul_f32_e32 v83, v80, v81
	v_mul_f32_e32 v81, v79, v81
	s_waitcnt vmcnt(0)
	v_fma_f32 v79, v79, v82, -v83
	v_fmac_f32_e32 v81, v80, v82
	v_add_f32_e32 v78, v78, v79
	v_add_f32_e32 v72, v72, v81
	s_andn2_b32 exec_lo, exec_lo, s5
	s_cbranch_execnz .LBB34_69
; %bb.70:
	s_or_b32 exec_lo, exec_lo, s5
	v_mov_b32_e32 v75, 0
	ds_read_b64 v[75:76], v75 offset:112
	s_waitcnt lgkmcnt(0)
	v_mul_f32_e32 v77, v72, v76
	v_mul_f32_e32 v76, v78, v76
	v_fma_f32 v77, v78, v75, -v77
	v_fmac_f32_e32 v76, v72, v75
	buffer_store_dword v77, off, s[0:3], 0 offset:112
	buffer_store_dword v76, off, s[0:3], 0 offset:116
.LBB34_71:
	s_or_b32 exec_lo, exec_lo, s4
	s_waitcnt_vscnt null, 0x0
	s_barrier
	buffer_gl0_inv
	s_clause 0x1
	buffer_load_dword v75, off, s[0:3], 0 offset:120
	buffer_load_dword v76, off, s[0:3], 0 offset:124
	s_mov_b32 s4, exec_lo
	s_waitcnt vmcnt(0)
	ds_write_b64 v74, v[75:76]
	s_waitcnt lgkmcnt(0)
	s_barrier
	buffer_gl0_inv
	v_cmpx_gt_u32_e32 15, v0
	s_cbranch_execz .LBB34_75
; %bb.72:
	v_add_nc_u32_e32 v75, -1, v0
	v_add_nc_u32_e32 v76, 0x120, v73
	v_mov_b32_e32 v77, v73
	v_mov_b32_e32 v72, 0
	;; [unrolled: 1-line block ×3, first 2 shown]
	s_mov_b32 s5, 0
	.p2align	6
.LBB34_73:                              ; =>This Inner Loop Header: Depth=1
	s_clause 0x1
	buffer_load_dword v81, v77, s[0:3], 0 offen offset:4
	buffer_load_dword v82, v77, s[0:3], 0 offen
	ds_read_b64 v[79:80], v76
	v_add_nc_u32_e32 v75, 1, v75
	v_add_nc_u32_e32 v76, 8, v76
	;; [unrolled: 1-line block ×3, first 2 shown]
	v_cmp_lt_u32_e32 vcc_lo, 13, v75
	s_or_b32 s5, vcc_lo, s5
	s_waitcnt vmcnt(1) lgkmcnt(0)
	v_mul_f32_e32 v83, v80, v81
	v_mul_f32_e32 v81, v79, v81
	s_waitcnt vmcnt(0)
	v_fma_f32 v79, v79, v82, -v83
	v_fmac_f32_e32 v81, v80, v82
	v_add_f32_e32 v78, v78, v79
	v_add_f32_e32 v72, v72, v81
	s_andn2_b32 exec_lo, exec_lo, s5
	s_cbranch_execnz .LBB34_73
; %bb.74:
	s_or_b32 exec_lo, exec_lo, s5
	v_mov_b32_e32 v75, 0
	ds_read_b64 v[75:76], v75 offset:120
	s_waitcnt lgkmcnt(0)
	v_mul_f32_e32 v77, v72, v76
	v_mul_f32_e32 v76, v78, v76
	v_fma_f32 v77, v78, v75, -v77
	v_fmac_f32_e32 v76, v72, v75
	buffer_store_dword v77, off, s[0:3], 0 offset:120
	buffer_store_dword v76, off, s[0:3], 0 offset:124
.LBB34_75:
	s_or_b32 exec_lo, exec_lo, s4
	s_waitcnt_vscnt null, 0x0
	s_barrier
	buffer_gl0_inv
	s_clause 0x1
	buffer_load_dword v75, off, s[0:3], 0 offset:128
	buffer_load_dword v76, off, s[0:3], 0 offset:132
	s_mov_b32 s4, exec_lo
	s_waitcnt vmcnt(0)
	ds_write_b64 v74, v[75:76]
	s_waitcnt lgkmcnt(0)
	s_barrier
	buffer_gl0_inv
	v_cmpx_gt_u32_e32 16, v0
	s_cbranch_execz .LBB34_79
; %bb.76:
	v_add_nc_u32_e32 v75, -1, v0
	v_add_nc_u32_e32 v76, 0x120, v73
	v_mov_b32_e32 v77, v73
	v_mov_b32_e32 v72, 0
	;; [unrolled: 1-line block ×3, first 2 shown]
	s_mov_b32 s5, 0
	.p2align	6
.LBB34_77:                              ; =>This Inner Loop Header: Depth=1
	s_clause 0x1
	buffer_load_dword v81, v77, s[0:3], 0 offen offset:4
	buffer_load_dword v82, v77, s[0:3], 0 offen
	ds_read_b64 v[79:80], v76
	v_add_nc_u32_e32 v75, 1, v75
	v_add_nc_u32_e32 v76, 8, v76
	;; [unrolled: 1-line block ×3, first 2 shown]
	v_cmp_lt_u32_e32 vcc_lo, 14, v75
	s_or_b32 s5, vcc_lo, s5
	s_waitcnt vmcnt(1) lgkmcnt(0)
	v_mul_f32_e32 v83, v80, v81
	v_mul_f32_e32 v81, v79, v81
	s_waitcnt vmcnt(0)
	v_fma_f32 v79, v79, v82, -v83
	v_fmac_f32_e32 v81, v80, v82
	v_add_f32_e32 v78, v78, v79
	v_add_f32_e32 v72, v72, v81
	s_andn2_b32 exec_lo, exec_lo, s5
	s_cbranch_execnz .LBB34_77
; %bb.78:
	s_or_b32 exec_lo, exec_lo, s5
	v_mov_b32_e32 v75, 0
	ds_read_b64 v[75:76], v75 offset:128
	s_waitcnt lgkmcnt(0)
	v_mul_f32_e32 v77, v72, v76
	v_mul_f32_e32 v76, v78, v76
	v_fma_f32 v77, v78, v75, -v77
	v_fmac_f32_e32 v76, v72, v75
	buffer_store_dword v77, off, s[0:3], 0 offset:128
	buffer_store_dword v76, off, s[0:3], 0 offset:132
.LBB34_79:
	s_or_b32 exec_lo, exec_lo, s4
	s_waitcnt_vscnt null, 0x0
	s_barrier
	buffer_gl0_inv
	s_clause 0x1
	buffer_load_dword v75, off, s[0:3], 0 offset:136
	buffer_load_dword v76, off, s[0:3], 0 offset:140
	s_mov_b32 s4, exec_lo
	s_waitcnt vmcnt(0)
	ds_write_b64 v74, v[75:76]
	s_waitcnt lgkmcnt(0)
	s_barrier
	buffer_gl0_inv
	v_cmpx_gt_u32_e32 17, v0
	s_cbranch_execz .LBB34_83
; %bb.80:
	v_add_nc_u32_e32 v75, -1, v0
	v_add_nc_u32_e32 v76, 0x120, v73
	v_mov_b32_e32 v77, v73
	v_mov_b32_e32 v72, 0
	;; [unrolled: 1-line block ×3, first 2 shown]
	s_mov_b32 s5, 0
	.p2align	6
.LBB34_81:                              ; =>This Inner Loop Header: Depth=1
	s_clause 0x1
	buffer_load_dword v81, v77, s[0:3], 0 offen offset:4
	buffer_load_dword v82, v77, s[0:3], 0 offen
	ds_read_b64 v[79:80], v76
	v_add_nc_u32_e32 v75, 1, v75
	v_add_nc_u32_e32 v76, 8, v76
	v_add_nc_u32_e32 v77, 8, v77
	v_cmp_lt_u32_e32 vcc_lo, 15, v75
	s_or_b32 s5, vcc_lo, s5
	s_waitcnt vmcnt(1) lgkmcnt(0)
	v_mul_f32_e32 v83, v80, v81
	v_mul_f32_e32 v81, v79, v81
	s_waitcnt vmcnt(0)
	v_fma_f32 v79, v79, v82, -v83
	v_fmac_f32_e32 v81, v80, v82
	v_add_f32_e32 v78, v78, v79
	v_add_f32_e32 v72, v72, v81
	s_andn2_b32 exec_lo, exec_lo, s5
	s_cbranch_execnz .LBB34_81
; %bb.82:
	s_or_b32 exec_lo, exec_lo, s5
	v_mov_b32_e32 v75, 0
	ds_read_b64 v[75:76], v75 offset:136
	s_waitcnt lgkmcnt(0)
	v_mul_f32_e32 v77, v72, v76
	v_mul_f32_e32 v76, v78, v76
	v_fma_f32 v77, v78, v75, -v77
	v_fmac_f32_e32 v76, v72, v75
	buffer_store_dword v77, off, s[0:3], 0 offset:136
	buffer_store_dword v76, off, s[0:3], 0 offset:140
.LBB34_83:
	s_or_b32 exec_lo, exec_lo, s4
	s_waitcnt_vscnt null, 0x0
	s_barrier
	buffer_gl0_inv
	s_clause 0x1
	buffer_load_dword v75, off, s[0:3], 0 offset:144
	buffer_load_dword v76, off, s[0:3], 0 offset:148
	s_mov_b32 s4, exec_lo
	s_waitcnt vmcnt(0)
	ds_write_b64 v74, v[75:76]
	s_waitcnt lgkmcnt(0)
	s_barrier
	buffer_gl0_inv
	v_cmpx_gt_u32_e32 18, v0
	s_cbranch_execz .LBB34_87
; %bb.84:
	v_add_nc_u32_e32 v75, -1, v0
	v_add_nc_u32_e32 v76, 0x120, v73
	v_mov_b32_e32 v77, v73
	v_mov_b32_e32 v72, 0
	v_mov_b32_e32 v78, 0
	s_mov_b32 s5, 0
	.p2align	6
.LBB34_85:                              ; =>This Inner Loop Header: Depth=1
	s_clause 0x1
	buffer_load_dword v81, v77, s[0:3], 0 offen offset:4
	buffer_load_dword v82, v77, s[0:3], 0 offen
	ds_read_b64 v[79:80], v76
	v_add_nc_u32_e32 v75, 1, v75
	v_add_nc_u32_e32 v76, 8, v76
	;; [unrolled: 1-line block ×3, first 2 shown]
	v_cmp_lt_u32_e32 vcc_lo, 16, v75
	s_or_b32 s5, vcc_lo, s5
	s_waitcnt vmcnt(1) lgkmcnt(0)
	v_mul_f32_e32 v83, v80, v81
	v_mul_f32_e32 v81, v79, v81
	s_waitcnt vmcnt(0)
	v_fma_f32 v79, v79, v82, -v83
	v_fmac_f32_e32 v81, v80, v82
	v_add_f32_e32 v78, v78, v79
	v_add_f32_e32 v72, v72, v81
	s_andn2_b32 exec_lo, exec_lo, s5
	s_cbranch_execnz .LBB34_85
; %bb.86:
	s_or_b32 exec_lo, exec_lo, s5
	v_mov_b32_e32 v75, 0
	ds_read_b64 v[75:76], v75 offset:144
	s_waitcnt lgkmcnt(0)
	v_mul_f32_e32 v77, v72, v76
	v_mul_f32_e32 v76, v78, v76
	v_fma_f32 v77, v78, v75, -v77
	v_fmac_f32_e32 v76, v72, v75
	buffer_store_dword v77, off, s[0:3], 0 offset:144
	buffer_store_dword v76, off, s[0:3], 0 offset:148
.LBB34_87:
	s_or_b32 exec_lo, exec_lo, s4
	s_waitcnt_vscnt null, 0x0
	s_barrier
	buffer_gl0_inv
	s_clause 0x1
	buffer_load_dword v75, off, s[0:3], 0 offset:152
	buffer_load_dword v76, off, s[0:3], 0 offset:156
	s_mov_b32 s4, exec_lo
	s_waitcnt vmcnt(0)
	ds_write_b64 v74, v[75:76]
	s_waitcnt lgkmcnt(0)
	s_barrier
	buffer_gl0_inv
	v_cmpx_gt_u32_e32 19, v0
	s_cbranch_execz .LBB34_91
; %bb.88:
	v_add_nc_u32_e32 v75, -1, v0
	v_add_nc_u32_e32 v76, 0x120, v73
	v_mov_b32_e32 v77, v73
	v_mov_b32_e32 v72, 0
	;; [unrolled: 1-line block ×3, first 2 shown]
	s_mov_b32 s5, 0
	.p2align	6
.LBB34_89:                              ; =>This Inner Loop Header: Depth=1
	s_clause 0x1
	buffer_load_dword v81, v77, s[0:3], 0 offen offset:4
	buffer_load_dword v82, v77, s[0:3], 0 offen
	ds_read_b64 v[79:80], v76
	v_add_nc_u32_e32 v75, 1, v75
	v_add_nc_u32_e32 v76, 8, v76
	;; [unrolled: 1-line block ×3, first 2 shown]
	v_cmp_lt_u32_e32 vcc_lo, 17, v75
	s_or_b32 s5, vcc_lo, s5
	s_waitcnt vmcnt(1) lgkmcnt(0)
	v_mul_f32_e32 v83, v80, v81
	v_mul_f32_e32 v81, v79, v81
	s_waitcnt vmcnt(0)
	v_fma_f32 v79, v79, v82, -v83
	v_fmac_f32_e32 v81, v80, v82
	v_add_f32_e32 v78, v78, v79
	v_add_f32_e32 v72, v72, v81
	s_andn2_b32 exec_lo, exec_lo, s5
	s_cbranch_execnz .LBB34_89
; %bb.90:
	s_or_b32 exec_lo, exec_lo, s5
	v_mov_b32_e32 v75, 0
	ds_read_b64 v[75:76], v75 offset:152
	s_waitcnt lgkmcnt(0)
	v_mul_f32_e32 v77, v72, v76
	v_mul_f32_e32 v76, v78, v76
	v_fma_f32 v77, v78, v75, -v77
	v_fmac_f32_e32 v76, v72, v75
	buffer_store_dword v77, off, s[0:3], 0 offset:152
	buffer_store_dword v76, off, s[0:3], 0 offset:156
.LBB34_91:
	s_or_b32 exec_lo, exec_lo, s4
	s_waitcnt_vscnt null, 0x0
	s_barrier
	buffer_gl0_inv
	s_clause 0x1
	buffer_load_dword v75, off, s[0:3], 0 offset:160
	buffer_load_dword v76, off, s[0:3], 0 offset:164
	s_mov_b32 s4, exec_lo
	s_waitcnt vmcnt(0)
	ds_write_b64 v74, v[75:76]
	s_waitcnt lgkmcnt(0)
	s_barrier
	buffer_gl0_inv
	v_cmpx_gt_u32_e32 20, v0
	s_cbranch_execz .LBB34_95
; %bb.92:
	v_add_nc_u32_e32 v75, -1, v0
	v_add_nc_u32_e32 v76, 0x120, v73
	v_mov_b32_e32 v77, v73
	v_mov_b32_e32 v72, 0
	;; [unrolled: 1-line block ×3, first 2 shown]
	s_mov_b32 s5, 0
	.p2align	6
.LBB34_93:                              ; =>This Inner Loop Header: Depth=1
	s_clause 0x1
	buffer_load_dword v81, v77, s[0:3], 0 offen offset:4
	buffer_load_dword v82, v77, s[0:3], 0 offen
	ds_read_b64 v[79:80], v76
	v_add_nc_u32_e32 v75, 1, v75
	v_add_nc_u32_e32 v76, 8, v76
	v_add_nc_u32_e32 v77, 8, v77
	v_cmp_lt_u32_e32 vcc_lo, 18, v75
	s_or_b32 s5, vcc_lo, s5
	s_waitcnt vmcnt(1) lgkmcnt(0)
	v_mul_f32_e32 v83, v80, v81
	v_mul_f32_e32 v81, v79, v81
	s_waitcnt vmcnt(0)
	v_fma_f32 v79, v79, v82, -v83
	v_fmac_f32_e32 v81, v80, v82
	v_add_f32_e32 v78, v78, v79
	v_add_f32_e32 v72, v72, v81
	s_andn2_b32 exec_lo, exec_lo, s5
	s_cbranch_execnz .LBB34_93
; %bb.94:
	s_or_b32 exec_lo, exec_lo, s5
	v_mov_b32_e32 v75, 0
	ds_read_b64 v[75:76], v75 offset:160
	s_waitcnt lgkmcnt(0)
	v_mul_f32_e32 v77, v72, v76
	v_mul_f32_e32 v76, v78, v76
	v_fma_f32 v77, v78, v75, -v77
	v_fmac_f32_e32 v76, v72, v75
	buffer_store_dword v77, off, s[0:3], 0 offset:160
	buffer_store_dword v76, off, s[0:3], 0 offset:164
.LBB34_95:
	s_or_b32 exec_lo, exec_lo, s4
	s_waitcnt_vscnt null, 0x0
	s_barrier
	buffer_gl0_inv
	s_clause 0x1
	buffer_load_dword v75, off, s[0:3], 0 offset:168
	buffer_load_dword v76, off, s[0:3], 0 offset:172
	s_mov_b32 s4, exec_lo
	s_waitcnt vmcnt(0)
	ds_write_b64 v74, v[75:76]
	s_waitcnt lgkmcnt(0)
	s_barrier
	buffer_gl0_inv
	v_cmpx_gt_u32_e32 21, v0
	s_cbranch_execz .LBB34_99
; %bb.96:
	v_add_nc_u32_e32 v75, -1, v0
	v_add_nc_u32_e32 v76, 0x120, v73
	v_mov_b32_e32 v77, v73
	v_mov_b32_e32 v72, 0
	v_mov_b32_e32 v78, 0
	s_mov_b32 s5, 0
	.p2align	6
.LBB34_97:                              ; =>This Inner Loop Header: Depth=1
	s_clause 0x1
	buffer_load_dword v81, v77, s[0:3], 0 offen offset:4
	buffer_load_dword v82, v77, s[0:3], 0 offen
	ds_read_b64 v[79:80], v76
	v_add_nc_u32_e32 v75, 1, v75
	v_add_nc_u32_e32 v76, 8, v76
	v_add_nc_u32_e32 v77, 8, v77
	v_cmp_lt_u32_e32 vcc_lo, 19, v75
	s_or_b32 s5, vcc_lo, s5
	s_waitcnt vmcnt(1) lgkmcnt(0)
	v_mul_f32_e32 v83, v80, v81
	v_mul_f32_e32 v81, v79, v81
	s_waitcnt vmcnt(0)
	v_fma_f32 v79, v79, v82, -v83
	v_fmac_f32_e32 v81, v80, v82
	v_add_f32_e32 v78, v78, v79
	v_add_f32_e32 v72, v72, v81
	s_andn2_b32 exec_lo, exec_lo, s5
	s_cbranch_execnz .LBB34_97
; %bb.98:
	s_or_b32 exec_lo, exec_lo, s5
	v_mov_b32_e32 v75, 0
	ds_read_b64 v[75:76], v75 offset:168
	s_waitcnt lgkmcnt(0)
	v_mul_f32_e32 v77, v72, v76
	v_mul_f32_e32 v76, v78, v76
	v_fma_f32 v77, v78, v75, -v77
	v_fmac_f32_e32 v76, v72, v75
	buffer_store_dword v77, off, s[0:3], 0 offset:168
	buffer_store_dword v76, off, s[0:3], 0 offset:172
.LBB34_99:
	s_or_b32 exec_lo, exec_lo, s4
	s_waitcnt_vscnt null, 0x0
	s_barrier
	buffer_gl0_inv
	s_clause 0x1
	buffer_load_dword v75, off, s[0:3], 0 offset:176
	buffer_load_dword v76, off, s[0:3], 0 offset:180
	s_mov_b32 s4, exec_lo
	s_waitcnt vmcnt(0)
	ds_write_b64 v74, v[75:76]
	s_waitcnt lgkmcnt(0)
	s_barrier
	buffer_gl0_inv
	v_cmpx_gt_u32_e32 22, v0
	s_cbranch_execz .LBB34_103
; %bb.100:
	v_add_nc_u32_e32 v75, -1, v0
	v_add_nc_u32_e32 v76, 0x120, v73
	v_mov_b32_e32 v77, v73
	v_mov_b32_e32 v72, 0
	;; [unrolled: 1-line block ×3, first 2 shown]
	s_mov_b32 s5, 0
	.p2align	6
.LBB34_101:                             ; =>This Inner Loop Header: Depth=1
	s_clause 0x1
	buffer_load_dword v81, v77, s[0:3], 0 offen offset:4
	buffer_load_dword v82, v77, s[0:3], 0 offen
	ds_read_b64 v[79:80], v76
	v_add_nc_u32_e32 v75, 1, v75
	v_add_nc_u32_e32 v76, 8, v76
	;; [unrolled: 1-line block ×3, first 2 shown]
	v_cmp_lt_u32_e32 vcc_lo, 20, v75
	s_or_b32 s5, vcc_lo, s5
	s_waitcnt vmcnt(1) lgkmcnt(0)
	v_mul_f32_e32 v83, v80, v81
	v_mul_f32_e32 v81, v79, v81
	s_waitcnt vmcnt(0)
	v_fma_f32 v79, v79, v82, -v83
	v_fmac_f32_e32 v81, v80, v82
	v_add_f32_e32 v78, v78, v79
	v_add_f32_e32 v72, v72, v81
	s_andn2_b32 exec_lo, exec_lo, s5
	s_cbranch_execnz .LBB34_101
; %bb.102:
	s_or_b32 exec_lo, exec_lo, s5
	v_mov_b32_e32 v75, 0
	ds_read_b64 v[75:76], v75 offset:176
	s_waitcnt lgkmcnt(0)
	v_mul_f32_e32 v77, v72, v76
	v_mul_f32_e32 v76, v78, v76
	v_fma_f32 v77, v78, v75, -v77
	v_fmac_f32_e32 v76, v72, v75
	buffer_store_dword v77, off, s[0:3], 0 offset:176
	buffer_store_dword v76, off, s[0:3], 0 offset:180
.LBB34_103:
	s_or_b32 exec_lo, exec_lo, s4
	s_waitcnt_vscnt null, 0x0
	s_barrier
	buffer_gl0_inv
	s_clause 0x1
	buffer_load_dword v75, off, s[0:3], 0 offset:184
	buffer_load_dword v76, off, s[0:3], 0 offset:188
	s_mov_b32 s4, exec_lo
	s_waitcnt vmcnt(0)
	ds_write_b64 v74, v[75:76]
	s_waitcnt lgkmcnt(0)
	s_barrier
	buffer_gl0_inv
	v_cmpx_gt_u32_e32 23, v0
	s_cbranch_execz .LBB34_107
; %bb.104:
	v_add_nc_u32_e32 v75, -1, v0
	v_add_nc_u32_e32 v76, 0x120, v73
	v_mov_b32_e32 v77, v73
	v_mov_b32_e32 v72, 0
	v_mov_b32_e32 v78, 0
	s_mov_b32 s5, 0
	.p2align	6
.LBB34_105:                             ; =>This Inner Loop Header: Depth=1
	s_clause 0x1
	buffer_load_dword v81, v77, s[0:3], 0 offen offset:4
	buffer_load_dword v82, v77, s[0:3], 0 offen
	ds_read_b64 v[79:80], v76
	v_add_nc_u32_e32 v75, 1, v75
	v_add_nc_u32_e32 v76, 8, v76
	;; [unrolled: 1-line block ×3, first 2 shown]
	v_cmp_lt_u32_e32 vcc_lo, 21, v75
	s_or_b32 s5, vcc_lo, s5
	s_waitcnt vmcnt(1) lgkmcnt(0)
	v_mul_f32_e32 v83, v80, v81
	v_mul_f32_e32 v81, v79, v81
	s_waitcnt vmcnt(0)
	v_fma_f32 v79, v79, v82, -v83
	v_fmac_f32_e32 v81, v80, v82
	v_add_f32_e32 v78, v78, v79
	v_add_f32_e32 v72, v72, v81
	s_andn2_b32 exec_lo, exec_lo, s5
	s_cbranch_execnz .LBB34_105
; %bb.106:
	s_or_b32 exec_lo, exec_lo, s5
	v_mov_b32_e32 v75, 0
	ds_read_b64 v[75:76], v75 offset:184
	s_waitcnt lgkmcnt(0)
	v_mul_f32_e32 v77, v72, v76
	v_mul_f32_e32 v76, v78, v76
	v_fma_f32 v77, v78, v75, -v77
	v_fmac_f32_e32 v76, v72, v75
	buffer_store_dword v77, off, s[0:3], 0 offset:184
	buffer_store_dword v76, off, s[0:3], 0 offset:188
.LBB34_107:
	s_or_b32 exec_lo, exec_lo, s4
	s_waitcnt_vscnt null, 0x0
	s_barrier
	buffer_gl0_inv
	s_clause 0x1
	buffer_load_dword v75, off, s[0:3], 0 offset:192
	buffer_load_dword v76, off, s[0:3], 0 offset:196
	s_mov_b32 s4, exec_lo
	s_waitcnt vmcnt(0)
	ds_write_b64 v74, v[75:76]
	s_waitcnt lgkmcnt(0)
	s_barrier
	buffer_gl0_inv
	v_cmpx_gt_u32_e32 24, v0
	s_cbranch_execz .LBB34_111
; %bb.108:
	v_add_nc_u32_e32 v75, -1, v0
	v_add_nc_u32_e32 v76, 0x120, v73
	v_mov_b32_e32 v77, v73
	v_mov_b32_e32 v72, 0
	v_mov_b32_e32 v78, 0
	s_mov_b32 s5, 0
	.p2align	6
.LBB34_109:                             ; =>This Inner Loop Header: Depth=1
	s_clause 0x1
	buffer_load_dword v81, v77, s[0:3], 0 offen offset:4
	buffer_load_dword v82, v77, s[0:3], 0 offen
	ds_read_b64 v[79:80], v76
	v_add_nc_u32_e32 v75, 1, v75
	v_add_nc_u32_e32 v76, 8, v76
	;; [unrolled: 1-line block ×3, first 2 shown]
	v_cmp_lt_u32_e32 vcc_lo, 22, v75
	s_or_b32 s5, vcc_lo, s5
	s_waitcnt vmcnt(1) lgkmcnt(0)
	v_mul_f32_e32 v83, v80, v81
	v_mul_f32_e32 v81, v79, v81
	s_waitcnt vmcnt(0)
	v_fma_f32 v79, v79, v82, -v83
	v_fmac_f32_e32 v81, v80, v82
	v_add_f32_e32 v78, v78, v79
	v_add_f32_e32 v72, v72, v81
	s_andn2_b32 exec_lo, exec_lo, s5
	s_cbranch_execnz .LBB34_109
; %bb.110:
	s_or_b32 exec_lo, exec_lo, s5
	v_mov_b32_e32 v75, 0
	ds_read_b64 v[75:76], v75 offset:192
	s_waitcnt lgkmcnt(0)
	v_mul_f32_e32 v77, v72, v76
	v_mul_f32_e32 v76, v78, v76
	v_fma_f32 v77, v78, v75, -v77
	v_fmac_f32_e32 v76, v72, v75
	buffer_store_dword v77, off, s[0:3], 0 offset:192
	buffer_store_dword v76, off, s[0:3], 0 offset:196
.LBB34_111:
	s_or_b32 exec_lo, exec_lo, s4
	s_waitcnt_vscnt null, 0x0
	s_barrier
	buffer_gl0_inv
	s_clause 0x1
	buffer_load_dword v75, off, s[0:3], 0 offset:200
	buffer_load_dword v76, off, s[0:3], 0 offset:204
	s_mov_b32 s4, exec_lo
	s_waitcnt vmcnt(0)
	ds_write_b64 v74, v[75:76]
	s_waitcnt lgkmcnt(0)
	s_barrier
	buffer_gl0_inv
	v_cmpx_gt_u32_e32 25, v0
	s_cbranch_execz .LBB34_115
; %bb.112:
	v_add_nc_u32_e32 v75, -1, v0
	v_add_nc_u32_e32 v76, 0x120, v73
	v_mov_b32_e32 v77, v73
	v_mov_b32_e32 v72, 0
	;; [unrolled: 1-line block ×3, first 2 shown]
	s_mov_b32 s5, 0
	.p2align	6
.LBB34_113:                             ; =>This Inner Loop Header: Depth=1
	s_clause 0x1
	buffer_load_dword v81, v77, s[0:3], 0 offen offset:4
	buffer_load_dword v82, v77, s[0:3], 0 offen
	ds_read_b64 v[79:80], v76
	v_add_nc_u32_e32 v75, 1, v75
	v_add_nc_u32_e32 v76, 8, v76
	;; [unrolled: 1-line block ×3, first 2 shown]
	v_cmp_lt_u32_e32 vcc_lo, 23, v75
	s_or_b32 s5, vcc_lo, s5
	s_waitcnt vmcnt(1) lgkmcnt(0)
	v_mul_f32_e32 v83, v80, v81
	v_mul_f32_e32 v81, v79, v81
	s_waitcnt vmcnt(0)
	v_fma_f32 v79, v79, v82, -v83
	v_fmac_f32_e32 v81, v80, v82
	v_add_f32_e32 v78, v78, v79
	v_add_f32_e32 v72, v72, v81
	s_andn2_b32 exec_lo, exec_lo, s5
	s_cbranch_execnz .LBB34_113
; %bb.114:
	s_or_b32 exec_lo, exec_lo, s5
	v_mov_b32_e32 v75, 0
	ds_read_b64 v[75:76], v75 offset:200
	s_waitcnt lgkmcnt(0)
	v_mul_f32_e32 v77, v72, v76
	v_mul_f32_e32 v76, v78, v76
	v_fma_f32 v77, v78, v75, -v77
	v_fmac_f32_e32 v76, v72, v75
	buffer_store_dword v77, off, s[0:3], 0 offset:200
	buffer_store_dword v76, off, s[0:3], 0 offset:204
.LBB34_115:
	s_or_b32 exec_lo, exec_lo, s4
	s_waitcnt_vscnt null, 0x0
	s_barrier
	buffer_gl0_inv
	s_clause 0x1
	buffer_load_dword v75, off, s[0:3], 0 offset:208
	buffer_load_dword v76, off, s[0:3], 0 offset:212
	s_mov_b32 s4, exec_lo
	s_waitcnt vmcnt(0)
	ds_write_b64 v74, v[75:76]
	s_waitcnt lgkmcnt(0)
	s_barrier
	buffer_gl0_inv
	v_cmpx_gt_u32_e32 26, v0
	s_cbranch_execz .LBB34_119
; %bb.116:
	v_add_nc_u32_e32 v75, -1, v0
	v_add_nc_u32_e32 v76, 0x120, v73
	v_mov_b32_e32 v77, v73
	v_mov_b32_e32 v72, 0
	;; [unrolled: 1-line block ×3, first 2 shown]
	s_mov_b32 s5, 0
	.p2align	6
.LBB34_117:                             ; =>This Inner Loop Header: Depth=1
	s_clause 0x1
	buffer_load_dword v81, v77, s[0:3], 0 offen offset:4
	buffer_load_dword v82, v77, s[0:3], 0 offen
	ds_read_b64 v[79:80], v76
	v_add_nc_u32_e32 v75, 1, v75
	v_add_nc_u32_e32 v76, 8, v76
	;; [unrolled: 1-line block ×3, first 2 shown]
	v_cmp_lt_u32_e32 vcc_lo, 24, v75
	s_or_b32 s5, vcc_lo, s5
	s_waitcnt vmcnt(1) lgkmcnt(0)
	v_mul_f32_e32 v83, v80, v81
	v_mul_f32_e32 v81, v79, v81
	s_waitcnt vmcnt(0)
	v_fma_f32 v79, v79, v82, -v83
	v_fmac_f32_e32 v81, v80, v82
	v_add_f32_e32 v78, v78, v79
	v_add_f32_e32 v72, v72, v81
	s_andn2_b32 exec_lo, exec_lo, s5
	s_cbranch_execnz .LBB34_117
; %bb.118:
	s_or_b32 exec_lo, exec_lo, s5
	v_mov_b32_e32 v75, 0
	ds_read_b64 v[75:76], v75 offset:208
	s_waitcnt lgkmcnt(0)
	v_mul_f32_e32 v77, v72, v76
	v_mul_f32_e32 v76, v78, v76
	v_fma_f32 v77, v78, v75, -v77
	v_fmac_f32_e32 v76, v72, v75
	buffer_store_dword v77, off, s[0:3], 0 offset:208
	buffer_store_dword v76, off, s[0:3], 0 offset:212
.LBB34_119:
	s_or_b32 exec_lo, exec_lo, s4
	s_waitcnt_vscnt null, 0x0
	s_barrier
	buffer_gl0_inv
	s_clause 0x1
	buffer_load_dword v75, off, s[0:3], 0 offset:216
	buffer_load_dword v76, off, s[0:3], 0 offset:220
	s_mov_b32 s4, exec_lo
	s_waitcnt vmcnt(0)
	ds_write_b64 v74, v[75:76]
	s_waitcnt lgkmcnt(0)
	s_barrier
	buffer_gl0_inv
	v_cmpx_gt_u32_e32 27, v0
	s_cbranch_execz .LBB34_123
; %bb.120:
	v_add_nc_u32_e32 v75, -1, v0
	v_add_nc_u32_e32 v76, 0x120, v73
	v_mov_b32_e32 v77, v73
	v_mov_b32_e32 v72, 0
	;; [unrolled: 1-line block ×3, first 2 shown]
	s_mov_b32 s5, 0
	.p2align	6
.LBB34_121:                             ; =>This Inner Loop Header: Depth=1
	s_clause 0x1
	buffer_load_dword v81, v77, s[0:3], 0 offen offset:4
	buffer_load_dword v82, v77, s[0:3], 0 offen
	ds_read_b64 v[79:80], v76
	v_add_nc_u32_e32 v75, 1, v75
	v_add_nc_u32_e32 v76, 8, v76
	;; [unrolled: 1-line block ×3, first 2 shown]
	v_cmp_lt_u32_e32 vcc_lo, 25, v75
	s_or_b32 s5, vcc_lo, s5
	s_waitcnt vmcnt(1) lgkmcnt(0)
	v_mul_f32_e32 v83, v80, v81
	v_mul_f32_e32 v81, v79, v81
	s_waitcnt vmcnt(0)
	v_fma_f32 v79, v79, v82, -v83
	v_fmac_f32_e32 v81, v80, v82
	v_add_f32_e32 v78, v78, v79
	v_add_f32_e32 v72, v72, v81
	s_andn2_b32 exec_lo, exec_lo, s5
	s_cbranch_execnz .LBB34_121
; %bb.122:
	s_or_b32 exec_lo, exec_lo, s5
	v_mov_b32_e32 v75, 0
	ds_read_b64 v[75:76], v75 offset:216
	s_waitcnt lgkmcnt(0)
	v_mul_f32_e32 v77, v72, v76
	v_mul_f32_e32 v76, v78, v76
	v_fma_f32 v77, v78, v75, -v77
	v_fmac_f32_e32 v76, v72, v75
	buffer_store_dword v77, off, s[0:3], 0 offset:216
	buffer_store_dword v76, off, s[0:3], 0 offset:220
.LBB34_123:
	s_or_b32 exec_lo, exec_lo, s4
	s_waitcnt_vscnt null, 0x0
	s_barrier
	buffer_gl0_inv
	s_clause 0x1
	buffer_load_dword v75, off, s[0:3], 0 offset:224
	buffer_load_dword v76, off, s[0:3], 0 offset:228
	s_mov_b32 s4, exec_lo
	s_waitcnt vmcnt(0)
	ds_write_b64 v74, v[75:76]
	s_waitcnt lgkmcnt(0)
	s_barrier
	buffer_gl0_inv
	v_cmpx_gt_u32_e32 28, v0
	s_cbranch_execz .LBB34_127
; %bb.124:
	v_add_nc_u32_e32 v75, -1, v0
	v_add_nc_u32_e32 v76, 0x120, v73
	v_mov_b32_e32 v77, v73
	v_mov_b32_e32 v72, 0
	;; [unrolled: 1-line block ×3, first 2 shown]
	s_mov_b32 s5, 0
	.p2align	6
.LBB34_125:                             ; =>This Inner Loop Header: Depth=1
	s_clause 0x1
	buffer_load_dword v81, v77, s[0:3], 0 offen offset:4
	buffer_load_dword v82, v77, s[0:3], 0 offen
	ds_read_b64 v[79:80], v76
	v_add_nc_u32_e32 v75, 1, v75
	v_add_nc_u32_e32 v76, 8, v76
	;; [unrolled: 1-line block ×3, first 2 shown]
	v_cmp_lt_u32_e32 vcc_lo, 26, v75
	s_or_b32 s5, vcc_lo, s5
	s_waitcnt vmcnt(1) lgkmcnt(0)
	v_mul_f32_e32 v83, v80, v81
	v_mul_f32_e32 v81, v79, v81
	s_waitcnt vmcnt(0)
	v_fma_f32 v79, v79, v82, -v83
	v_fmac_f32_e32 v81, v80, v82
	v_add_f32_e32 v78, v78, v79
	v_add_f32_e32 v72, v72, v81
	s_andn2_b32 exec_lo, exec_lo, s5
	s_cbranch_execnz .LBB34_125
; %bb.126:
	s_or_b32 exec_lo, exec_lo, s5
	v_mov_b32_e32 v75, 0
	ds_read_b64 v[75:76], v75 offset:224
	s_waitcnt lgkmcnt(0)
	v_mul_f32_e32 v77, v72, v76
	v_mul_f32_e32 v76, v78, v76
	v_fma_f32 v77, v78, v75, -v77
	v_fmac_f32_e32 v76, v72, v75
	buffer_store_dword v77, off, s[0:3], 0 offset:224
	buffer_store_dword v76, off, s[0:3], 0 offset:228
.LBB34_127:
	s_or_b32 exec_lo, exec_lo, s4
	s_waitcnt_vscnt null, 0x0
	s_barrier
	buffer_gl0_inv
	s_clause 0x1
	buffer_load_dword v75, off, s[0:3], 0 offset:232
	buffer_load_dword v76, off, s[0:3], 0 offset:236
	s_mov_b32 s4, exec_lo
	s_waitcnt vmcnt(0)
	ds_write_b64 v74, v[75:76]
	s_waitcnt lgkmcnt(0)
	s_barrier
	buffer_gl0_inv
	v_cmpx_gt_u32_e32 29, v0
	s_cbranch_execz .LBB34_131
; %bb.128:
	v_add_nc_u32_e32 v75, -1, v0
	v_add_nc_u32_e32 v76, 0x120, v73
	v_mov_b32_e32 v77, v73
	v_mov_b32_e32 v72, 0
	;; [unrolled: 1-line block ×3, first 2 shown]
	s_mov_b32 s5, 0
	.p2align	6
.LBB34_129:                             ; =>This Inner Loop Header: Depth=1
	s_clause 0x1
	buffer_load_dword v81, v77, s[0:3], 0 offen offset:4
	buffer_load_dword v82, v77, s[0:3], 0 offen
	ds_read_b64 v[79:80], v76
	v_add_nc_u32_e32 v75, 1, v75
	v_add_nc_u32_e32 v76, 8, v76
	;; [unrolled: 1-line block ×3, first 2 shown]
	v_cmp_lt_u32_e32 vcc_lo, 27, v75
	s_or_b32 s5, vcc_lo, s5
	s_waitcnt vmcnt(1) lgkmcnt(0)
	v_mul_f32_e32 v83, v80, v81
	v_mul_f32_e32 v81, v79, v81
	s_waitcnt vmcnt(0)
	v_fma_f32 v79, v79, v82, -v83
	v_fmac_f32_e32 v81, v80, v82
	v_add_f32_e32 v78, v78, v79
	v_add_f32_e32 v72, v72, v81
	s_andn2_b32 exec_lo, exec_lo, s5
	s_cbranch_execnz .LBB34_129
; %bb.130:
	s_or_b32 exec_lo, exec_lo, s5
	v_mov_b32_e32 v75, 0
	ds_read_b64 v[75:76], v75 offset:232
	s_waitcnt lgkmcnt(0)
	v_mul_f32_e32 v77, v72, v76
	v_mul_f32_e32 v76, v78, v76
	v_fma_f32 v77, v78, v75, -v77
	v_fmac_f32_e32 v76, v72, v75
	buffer_store_dword v77, off, s[0:3], 0 offset:232
	buffer_store_dword v76, off, s[0:3], 0 offset:236
.LBB34_131:
	s_or_b32 exec_lo, exec_lo, s4
	s_waitcnt_vscnt null, 0x0
	s_barrier
	buffer_gl0_inv
	s_clause 0x1
	buffer_load_dword v75, off, s[0:3], 0 offset:240
	buffer_load_dword v76, off, s[0:3], 0 offset:244
	s_mov_b32 s4, exec_lo
	s_waitcnt vmcnt(0)
	ds_write_b64 v74, v[75:76]
	s_waitcnt lgkmcnt(0)
	s_barrier
	buffer_gl0_inv
	v_cmpx_gt_u32_e32 30, v0
	s_cbranch_execz .LBB34_135
; %bb.132:
	v_add_nc_u32_e32 v75, -1, v0
	v_add_nc_u32_e32 v76, 0x120, v73
	v_mov_b32_e32 v77, v73
	v_mov_b32_e32 v72, 0
	;; [unrolled: 1-line block ×3, first 2 shown]
	s_mov_b32 s5, 0
	.p2align	6
.LBB34_133:                             ; =>This Inner Loop Header: Depth=1
	s_clause 0x1
	buffer_load_dword v81, v77, s[0:3], 0 offen offset:4
	buffer_load_dword v82, v77, s[0:3], 0 offen
	ds_read_b64 v[79:80], v76
	v_add_nc_u32_e32 v75, 1, v75
	v_add_nc_u32_e32 v76, 8, v76
	v_add_nc_u32_e32 v77, 8, v77
	v_cmp_lt_u32_e32 vcc_lo, 28, v75
	s_or_b32 s5, vcc_lo, s5
	s_waitcnt vmcnt(1) lgkmcnt(0)
	v_mul_f32_e32 v83, v80, v81
	v_mul_f32_e32 v81, v79, v81
	s_waitcnt vmcnt(0)
	v_fma_f32 v79, v79, v82, -v83
	v_fmac_f32_e32 v81, v80, v82
	v_add_f32_e32 v78, v78, v79
	v_add_f32_e32 v72, v72, v81
	s_andn2_b32 exec_lo, exec_lo, s5
	s_cbranch_execnz .LBB34_133
; %bb.134:
	s_or_b32 exec_lo, exec_lo, s5
	v_mov_b32_e32 v75, 0
	ds_read_b64 v[75:76], v75 offset:240
	s_waitcnt lgkmcnt(0)
	v_mul_f32_e32 v77, v72, v76
	v_mul_f32_e32 v76, v78, v76
	v_fma_f32 v77, v78, v75, -v77
	v_fmac_f32_e32 v76, v72, v75
	buffer_store_dword v77, off, s[0:3], 0 offset:240
	buffer_store_dword v76, off, s[0:3], 0 offset:244
.LBB34_135:
	s_or_b32 exec_lo, exec_lo, s4
	s_waitcnt_vscnt null, 0x0
	s_barrier
	buffer_gl0_inv
	s_clause 0x1
	buffer_load_dword v75, off, s[0:3], 0 offset:248
	buffer_load_dword v76, off, s[0:3], 0 offset:252
	s_mov_b32 s4, exec_lo
	s_waitcnt vmcnt(0)
	ds_write_b64 v74, v[75:76]
	s_waitcnt lgkmcnt(0)
	s_barrier
	buffer_gl0_inv
	v_cmpx_gt_u32_e32 31, v0
	s_cbranch_execz .LBB34_139
; %bb.136:
	v_add_nc_u32_e32 v75, -1, v0
	v_add_nc_u32_e32 v76, 0x120, v73
	v_mov_b32_e32 v77, v73
	v_mov_b32_e32 v72, 0
	v_mov_b32_e32 v78, 0
	s_mov_b32 s5, 0
	.p2align	6
.LBB34_137:                             ; =>This Inner Loop Header: Depth=1
	s_clause 0x1
	buffer_load_dword v81, v77, s[0:3], 0 offen offset:4
	buffer_load_dword v82, v77, s[0:3], 0 offen
	ds_read_b64 v[79:80], v76
	v_add_nc_u32_e32 v75, 1, v75
	v_add_nc_u32_e32 v76, 8, v76
	;; [unrolled: 1-line block ×3, first 2 shown]
	v_cmp_lt_u32_e32 vcc_lo, 29, v75
	s_or_b32 s5, vcc_lo, s5
	s_waitcnt vmcnt(1) lgkmcnt(0)
	v_mul_f32_e32 v83, v80, v81
	v_mul_f32_e32 v81, v79, v81
	s_waitcnt vmcnt(0)
	v_fma_f32 v79, v79, v82, -v83
	v_fmac_f32_e32 v81, v80, v82
	v_add_f32_e32 v78, v78, v79
	v_add_f32_e32 v72, v72, v81
	s_andn2_b32 exec_lo, exec_lo, s5
	s_cbranch_execnz .LBB34_137
; %bb.138:
	s_or_b32 exec_lo, exec_lo, s5
	v_mov_b32_e32 v75, 0
	ds_read_b64 v[75:76], v75 offset:248
	s_waitcnt lgkmcnt(0)
	v_mul_f32_e32 v77, v72, v76
	v_mul_f32_e32 v76, v78, v76
	v_fma_f32 v77, v78, v75, -v77
	v_fmac_f32_e32 v76, v72, v75
	buffer_store_dword v77, off, s[0:3], 0 offset:248
	buffer_store_dword v76, off, s[0:3], 0 offset:252
.LBB34_139:
	s_or_b32 exec_lo, exec_lo, s4
	s_waitcnt_vscnt null, 0x0
	s_barrier
	buffer_gl0_inv
	s_clause 0x1
	buffer_load_dword v75, off, s[0:3], 0 offset:256
	buffer_load_dword v76, off, s[0:3], 0 offset:260
	s_mov_b32 s4, exec_lo
	s_waitcnt vmcnt(0)
	ds_write_b64 v74, v[75:76]
	s_waitcnt lgkmcnt(0)
	s_barrier
	buffer_gl0_inv
	v_cmpx_gt_u32_e32 32, v0
	s_cbranch_execz .LBB34_143
; %bb.140:
	v_add_nc_u32_e32 v75, -1, v0
	v_add_nc_u32_e32 v76, 0x120, v73
	v_mov_b32_e32 v77, v73
	v_mov_b32_e32 v72, 0
	;; [unrolled: 1-line block ×3, first 2 shown]
	s_mov_b32 s5, 0
	.p2align	6
.LBB34_141:                             ; =>This Inner Loop Header: Depth=1
	s_clause 0x1
	buffer_load_dword v81, v77, s[0:3], 0 offen offset:4
	buffer_load_dword v82, v77, s[0:3], 0 offen
	ds_read_b64 v[79:80], v76
	v_add_nc_u32_e32 v75, 1, v75
	v_add_nc_u32_e32 v76, 8, v76
	;; [unrolled: 1-line block ×3, first 2 shown]
	v_cmp_lt_u32_e32 vcc_lo, 30, v75
	s_or_b32 s5, vcc_lo, s5
	s_waitcnt vmcnt(1) lgkmcnt(0)
	v_mul_f32_e32 v83, v80, v81
	v_mul_f32_e32 v81, v79, v81
	s_waitcnt vmcnt(0)
	v_fma_f32 v79, v79, v82, -v83
	v_fmac_f32_e32 v81, v80, v82
	v_add_f32_e32 v78, v78, v79
	v_add_f32_e32 v72, v72, v81
	s_andn2_b32 exec_lo, exec_lo, s5
	s_cbranch_execnz .LBB34_141
; %bb.142:
	s_or_b32 exec_lo, exec_lo, s5
	v_mov_b32_e32 v75, 0
	ds_read_b64 v[75:76], v75 offset:256
	s_waitcnt lgkmcnt(0)
	v_mul_f32_e32 v77, v72, v76
	v_mul_f32_e32 v76, v78, v76
	v_fma_f32 v77, v78, v75, -v77
	v_fmac_f32_e32 v76, v72, v75
	buffer_store_dword v77, off, s[0:3], 0 offset:256
	buffer_store_dword v76, off, s[0:3], 0 offset:260
.LBB34_143:
	s_or_b32 exec_lo, exec_lo, s4
	s_waitcnt_vscnt null, 0x0
	s_barrier
	buffer_gl0_inv
	s_clause 0x1
	buffer_load_dword v75, off, s[0:3], 0 offset:264
	buffer_load_dword v76, off, s[0:3], 0 offset:268
	s_mov_b32 s4, exec_lo
	s_waitcnt vmcnt(0)
	ds_write_b64 v74, v[75:76]
	s_waitcnt lgkmcnt(0)
	s_barrier
	buffer_gl0_inv
	v_cmpx_gt_u32_e32 33, v0
	s_cbranch_execz .LBB34_147
; %bb.144:
	v_add_nc_u32_e32 v75, -1, v0
	v_add_nc_u32_e32 v76, 0x120, v73
	v_mov_b32_e32 v77, v73
	v_mov_b32_e32 v72, 0
	;; [unrolled: 1-line block ×3, first 2 shown]
	s_mov_b32 s5, 0
	.p2align	6
.LBB34_145:                             ; =>This Inner Loop Header: Depth=1
	s_clause 0x1
	buffer_load_dword v81, v77, s[0:3], 0 offen offset:4
	buffer_load_dword v82, v77, s[0:3], 0 offen
	ds_read_b64 v[79:80], v76
	v_add_nc_u32_e32 v75, 1, v75
	v_add_nc_u32_e32 v76, 8, v76
	v_add_nc_u32_e32 v77, 8, v77
	v_cmp_lt_u32_e32 vcc_lo, 31, v75
	s_or_b32 s5, vcc_lo, s5
	s_waitcnt vmcnt(1) lgkmcnt(0)
	v_mul_f32_e32 v83, v80, v81
	v_mul_f32_e32 v81, v79, v81
	s_waitcnt vmcnt(0)
	v_fma_f32 v79, v79, v82, -v83
	v_fmac_f32_e32 v81, v80, v82
	v_add_f32_e32 v78, v78, v79
	v_add_f32_e32 v72, v72, v81
	s_andn2_b32 exec_lo, exec_lo, s5
	s_cbranch_execnz .LBB34_145
; %bb.146:
	s_or_b32 exec_lo, exec_lo, s5
	v_mov_b32_e32 v75, 0
	ds_read_b64 v[75:76], v75 offset:264
	s_waitcnt lgkmcnt(0)
	v_mul_f32_e32 v77, v72, v76
	v_mul_f32_e32 v76, v78, v76
	v_fma_f32 v77, v78, v75, -v77
	v_fmac_f32_e32 v76, v72, v75
	buffer_store_dword v77, off, s[0:3], 0 offset:264
	buffer_store_dword v76, off, s[0:3], 0 offset:268
.LBB34_147:
	s_or_b32 exec_lo, exec_lo, s4
	s_waitcnt_vscnt null, 0x0
	s_barrier
	buffer_gl0_inv
	s_clause 0x1
	buffer_load_dword v75, off, s[0:3], 0 offset:272
	buffer_load_dword v76, off, s[0:3], 0 offset:276
	s_mov_b32 s4, exec_lo
	s_waitcnt vmcnt(0)
	ds_write_b64 v74, v[75:76]
	s_waitcnt lgkmcnt(0)
	s_barrier
	buffer_gl0_inv
	v_cmpx_ne_u32_e32 34, v0
	s_cbranch_execz .LBB34_151
; %bb.148:
	v_mov_b32_e32 v72, 0
	v_mov_b32_e32 v75, 0
	s_mov_b32 s5, 0
	.p2align	6
.LBB34_149:                             ; =>This Inner Loop Header: Depth=1
	s_clause 0x1
	buffer_load_dword v78, v73, s[0:3], 0 offen offset:4
	buffer_load_dword v79, v73, s[0:3], 0 offen
	ds_read_b64 v[76:77], v74
	v_add_nc_u32_e32 v71, 1, v71
	v_add_nc_u32_e32 v74, 8, v74
	;; [unrolled: 1-line block ×3, first 2 shown]
	v_cmp_lt_u32_e32 vcc_lo, 32, v71
	s_or_b32 s5, vcc_lo, s5
	s_waitcnt vmcnt(1) lgkmcnt(0)
	v_mul_f32_e32 v80, v77, v78
	v_mul_f32_e32 v78, v76, v78
	s_waitcnt vmcnt(0)
	v_fma_f32 v76, v76, v79, -v80
	v_fmac_f32_e32 v78, v77, v79
	v_add_f32_e32 v75, v75, v76
	v_add_f32_e32 v72, v72, v78
	s_andn2_b32 exec_lo, exec_lo, s5
	s_cbranch_execnz .LBB34_149
; %bb.150:
	s_or_b32 exec_lo, exec_lo, s5
	v_mov_b32_e32 v71, 0
	ds_read_b64 v[73:74], v71 offset:272
	s_waitcnt lgkmcnt(0)
	v_mul_f32_e32 v71, v72, v74
	v_mul_f32_e32 v74, v75, v74
	v_fma_f32 v71, v75, v73, -v71
	v_fmac_f32_e32 v74, v72, v73
	buffer_store_dword v71, off, s[0:3], 0 offset:272
	buffer_store_dword v74, off, s[0:3], 0 offset:276
.LBB34_151:
	s_or_b32 exec_lo, exec_lo, s4
	s_mov_b32 s5, -1
	s_waitcnt_vscnt null, 0x0
	s_barrier
	buffer_gl0_inv
.LBB34_152:
	s_and_b32 vcc_lo, exec_lo, s5
	s_cbranch_vccz .LBB34_154
; %bb.153:
	s_lshl_b64 s[4:5], s[6:7], 2
	v_mov_b32_e32 v71, 0
	s_add_u32 s4, s10, s4
	s_addc_u32 s5, s11, s5
	global_load_dword v71, v71, s[4:5]
	s_waitcnt vmcnt(0)
	v_cmp_ne_u32_e32 vcc_lo, 0, v71
	s_cbranch_vccz .LBB34_155
.LBB34_154:
	s_endpgm
.LBB34_155:
	v_lshl_add_u32 v71, v0, 3, 0x120
	s_mov_b32 s4, exec_lo
	v_cmpx_eq_u32_e32 34, v0
	s_cbranch_execz .LBB34_157
; %bb.156:
	s_clause 0x1
	buffer_load_dword v72, off, s[0:3], 0 offset:264
	buffer_load_dword v73, off, s[0:3], 0 offset:268
	v_mov_b32_e32 v74, 0
	buffer_store_dword v74, off, s[0:3], 0 offset:264
	buffer_store_dword v74, off, s[0:3], 0 offset:268
	s_waitcnt vmcnt(0)
	ds_write_b64 v71, v[72:73]
.LBB34_157:
	s_or_b32 exec_lo, exec_lo, s4
	s_waitcnt lgkmcnt(0)
	s_waitcnt_vscnt null, 0x0
	s_barrier
	buffer_gl0_inv
	s_clause 0x3
	buffer_load_dword v75, off, s[0:3], 0 offset:276
	buffer_load_dword v76, off, s[0:3], 0 offset:272
	;; [unrolled: 1-line block ×4, first 2 shown]
	v_mov_b32_e32 v72, 0
	s_mov_b32 s4, exec_lo
	ds_read_b64 v[73:74], v72 offset:560
	s_waitcnt vmcnt(3) lgkmcnt(0)
	v_mul_f32_e32 v79, v74, v75
	v_mul_f32_e32 v75, v73, v75
	s_waitcnt vmcnt(2)
	v_fma_f32 v73, v73, v76, -v79
	v_fmac_f32_e32 v75, v74, v76
	v_add_f32_e32 v73, 0, v73
	v_add_f32_e32 v74, 0, v75
	s_waitcnt vmcnt(1)
	v_sub_f32_e32 v73, v77, v73
	s_waitcnt vmcnt(0)
	v_sub_f32_e32 v74, v78, v74
	buffer_store_dword v73, off, s[0:3], 0 offset:264
	buffer_store_dword v74, off, s[0:3], 0 offset:268
	v_cmpx_lt_u32_e32 32, v0
	s_cbranch_execz .LBB34_159
; %bb.158:
	s_clause 0x1
	buffer_load_dword v73, off, s[0:3], 0 offset:256
	buffer_load_dword v74, off, s[0:3], 0 offset:260
	buffer_store_dword v72, off, s[0:3], 0 offset:256
	buffer_store_dword v72, off, s[0:3], 0 offset:260
	s_waitcnt vmcnt(0)
	ds_write_b64 v71, v[73:74]
.LBB34_159:
	s_or_b32 exec_lo, exec_lo, s4
	s_waitcnt lgkmcnt(0)
	s_waitcnt_vscnt null, 0x0
	s_barrier
	buffer_gl0_inv
	s_clause 0x5
	buffer_load_dword v76, off, s[0:3], 0 offset:268
	buffer_load_dword v77, off, s[0:3], 0 offset:276
	;; [unrolled: 1-line block ×6, first 2 shown]
	ds_read2_b64 v[72:75], v72 offset0:69 offset1:70
	s_mov_b32 s4, exec_lo
	s_waitcnt vmcnt(5) lgkmcnt(0)
	v_mul_f32_e32 v82, v73, v76
	v_mul_f32_e32 v76, v72, v76
	s_waitcnt vmcnt(4)
	v_mul_f32_e32 v83, v74, v77
	v_mul_f32_e32 v77, v75, v77
	s_waitcnt vmcnt(3)
	v_fma_f32 v72, v72, v78, -v82
	v_fmac_f32_e32 v76, v73, v78
	s_waitcnt vmcnt(2)
	v_fmac_f32_e32 v83, v75, v79
	v_fma_f32 v73, v74, v79, -v77
	v_add_f32_e32 v72, 0, v72
	v_add_f32_e32 v74, 0, v76
	;; [unrolled: 1-line block ×4, first 2 shown]
	s_waitcnt vmcnt(1)
	v_sub_f32_e32 v72, v80, v72
	s_waitcnt vmcnt(0)
	v_sub_f32_e32 v73, v81, v73
	buffer_store_dword v72, off, s[0:3], 0 offset:256
	buffer_store_dword v73, off, s[0:3], 0 offset:260
	v_cmpx_lt_u32_e32 31, v0
	s_cbranch_execz .LBB34_161
; %bb.160:
	s_clause 0x1
	buffer_load_dword v72, off, s[0:3], 0 offset:248
	buffer_load_dword v73, off, s[0:3], 0 offset:252
	v_mov_b32_e32 v74, 0
	buffer_store_dword v74, off, s[0:3], 0 offset:248
	buffer_store_dword v74, off, s[0:3], 0 offset:252
	s_waitcnt vmcnt(0)
	ds_write_b64 v71, v[72:73]
.LBB34_161:
	s_or_b32 exec_lo, exec_lo, s4
	s_waitcnt lgkmcnt(0)
	s_waitcnt_vscnt null, 0x0
	s_barrier
	buffer_gl0_inv
	s_clause 0x7
	buffer_load_dword v79, off, s[0:3], 0 offset:260
	buffer_load_dword v80, off, s[0:3], 0 offset:268
	;; [unrolled: 1-line block ×8, first 2 shown]
	v_mov_b32_e32 v72, 0
	ds_read_b128 v[73:76], v72 offset:544
	ds_read_b64 v[77:78], v72 offset:560
	s_mov_b32 s4, exec_lo
	s_waitcnt vmcnt(7) lgkmcnt(1)
	v_mul_f32_e32 v87, v74, v79
	v_mul_f32_e32 v79, v73, v79
	s_waitcnt vmcnt(6)
	v_mul_f32_e32 v88, v75, v80
	v_mul_f32_e32 v80, v76, v80
	s_waitcnt vmcnt(5) lgkmcnt(0)
	v_mul_f32_e32 v89, v77, v81
	s_waitcnt vmcnt(4)
	v_fma_f32 v73, v73, v82, -v87
	v_fmac_f32_e32 v79, v74, v82
	v_mul_f32_e32 v74, v78, v81
	s_waitcnt vmcnt(3)
	v_fma_f32 v75, v75, v83, -v80
	v_fmac_f32_e32 v88, v76, v83
	v_add_f32_e32 v73, 0, v73
	v_add_f32_e32 v76, 0, v79
	s_waitcnt vmcnt(2)
	v_fma_f32 v74, v77, v84, -v74
	v_fmac_f32_e32 v89, v78, v84
	v_add_f32_e32 v73, v73, v75
	v_add_f32_e32 v75, v76, v88
	;; [unrolled: 1-line block ×4, first 2 shown]
	s_waitcnt vmcnt(1)
	v_sub_f32_e32 v73, v85, v73
	s_waitcnt vmcnt(0)
	v_sub_f32_e32 v74, v86, v74
	buffer_store_dword v73, off, s[0:3], 0 offset:248
	buffer_store_dword v74, off, s[0:3], 0 offset:252
	v_cmpx_lt_u32_e32 30, v0
	s_cbranch_execz .LBB34_163
; %bb.162:
	s_clause 0x1
	buffer_load_dword v73, off, s[0:3], 0 offset:240
	buffer_load_dword v74, off, s[0:3], 0 offset:244
	buffer_store_dword v72, off, s[0:3], 0 offset:240
	buffer_store_dword v72, off, s[0:3], 0 offset:244
	s_waitcnt vmcnt(0)
	ds_write_b64 v71, v[73:74]
.LBB34_163:
	s_or_b32 exec_lo, exec_lo, s4
	s_waitcnt lgkmcnt(0)
	s_waitcnt_vscnt null, 0x0
	s_barrier
	buffer_gl0_inv
	s_clause 0x9
	buffer_load_dword v81, off, s[0:3], 0 offset:252
	buffer_load_dword v82, off, s[0:3], 0 offset:260
	;; [unrolled: 1-line block ×10, first 2 shown]
	ds_read2_b64 v[73:76], v72 offset0:67 offset1:68
	ds_read2_b64 v[77:80], v72 offset0:69 offset1:70
	s_mov_b32 s4, exec_lo
	s_waitcnt vmcnt(9) lgkmcnt(1)
	v_mul_f32_e32 v72, v73, v81
	v_mul_f32_e32 v81, v74, v81
	s_waitcnt vmcnt(8)
	v_mul_f32_e32 v91, v75, v82
	v_mul_f32_e32 v82, v76, v82
	s_waitcnt vmcnt(7) lgkmcnt(0)
	v_mul_f32_e32 v92, v77, v83
	s_waitcnt vmcnt(5)
	v_fmac_f32_e32 v72, v74, v85
	v_fma_f32 v73, v73, v85, -v81
	v_mul_f32_e32 v74, v78, v83
	s_waitcnt vmcnt(4)
	v_fma_f32 v75, v75, v86, -v82
	v_fmac_f32_e32 v91, v76, v86
	v_add_f32_e32 v72, 0, v72
	v_add_f32_e32 v73, 0, v73
	v_mul_f32_e32 v76, v80, v84
	s_waitcnt vmcnt(3)
	v_fma_f32 v74, v77, v87, -v74
	v_mul_f32_e32 v93, v79, v84
	v_fmac_f32_e32 v92, v78, v87
	v_add_f32_e32 v73, v73, v75
	v_add_f32_e32 v72, v72, v91
	s_waitcnt vmcnt(2)
	v_fma_f32 v75, v79, v88, -v76
	v_fmac_f32_e32 v93, v80, v88
	v_add_f32_e32 v73, v73, v74
	v_add_f32_e32 v72, v72, v92
	v_add_f32_e32 v73, v73, v75
	v_add_f32_e32 v72, v72, v93
	s_waitcnt vmcnt(1)
	v_sub_f32_e32 v73, v89, v73
	s_waitcnt vmcnt(0)
	v_sub_f32_e32 v72, v90, v72
	buffer_store_dword v73, off, s[0:3], 0 offset:240
	buffer_store_dword v72, off, s[0:3], 0 offset:244
	v_cmpx_lt_u32_e32 29, v0
	s_cbranch_execz .LBB34_165
; %bb.164:
	s_clause 0x1
	buffer_load_dword v72, off, s[0:3], 0 offset:232
	buffer_load_dword v73, off, s[0:3], 0 offset:236
	v_mov_b32_e32 v74, 0
	buffer_store_dword v74, off, s[0:3], 0 offset:232
	buffer_store_dword v74, off, s[0:3], 0 offset:236
	s_waitcnt vmcnt(0)
	ds_write_b64 v71, v[72:73]
.LBB34_165:
	s_or_b32 exec_lo, exec_lo, s4
	s_waitcnt lgkmcnt(0)
	s_waitcnt_vscnt null, 0x0
	s_barrier
	buffer_gl0_inv
	s_clause 0xb
	buffer_load_dword v83, off, s[0:3], 0 offset:244
	buffer_load_dword v84, off, s[0:3], 0 offset:252
	;; [unrolled: 1-line block ×12, first 2 shown]
	v_mov_b32_e32 v72, 0
	ds_read_b128 v[73:76], v72 offset:528
	ds_read_b128 v[77:80], v72 offset:544
	ds_read_b64 v[81:82], v72 offset:560
	s_mov_b32 s4, exec_lo
	s_waitcnt vmcnt(11) lgkmcnt(2)
	v_mul_f32_e32 v95, v73, v83
	v_mul_f32_e32 v83, v74, v83
	s_waitcnt vmcnt(10)
	v_mul_f32_e32 v96, v75, v84
	v_mul_f32_e32 v84, v76, v84
	s_waitcnt vmcnt(9) lgkmcnt(1)
	v_mul_f32_e32 v97, v77, v85
	s_waitcnt vmcnt(6)
	v_fmac_f32_e32 v95, v74, v88
	v_fma_f32 v73, v73, v88, -v83
	v_mul_f32_e32 v74, v78, v85
	s_waitcnt vmcnt(5)
	v_fma_f32 v75, v75, v89, -v84
	v_fmac_f32_e32 v96, v76, v89
	v_add_f32_e32 v76, 0, v95
	v_add_f32_e32 v73, 0, v73
	v_mul_f32_e32 v83, v80, v86
	s_waitcnt vmcnt(4)
	v_fma_f32 v74, v77, v90, -v74
	v_mul_f32_e32 v98, v79, v86
	v_fmac_f32_e32 v97, v78, v90
	v_add_f32_e32 v73, v73, v75
	v_add_f32_e32 v75, v76, v96
	s_waitcnt lgkmcnt(0)
	v_mul_f32_e32 v76, v82, v87
	s_waitcnt vmcnt(3)
	v_fma_f32 v77, v79, v91, -v83
	v_mul_f32_e32 v99, v81, v87
	v_add_f32_e32 v73, v73, v74
	v_fmac_f32_e32 v98, v80, v91
	v_add_f32_e32 v74, v75, v97
	s_waitcnt vmcnt(2)
	v_fma_f32 v75, v81, v92, -v76
	v_fmac_f32_e32 v99, v82, v92
	v_add_f32_e32 v73, v73, v77
	v_add_f32_e32 v74, v74, v98
	;; [unrolled: 1-line block ×4, first 2 shown]
	s_waitcnt vmcnt(1)
	v_sub_f32_e32 v73, v93, v73
	s_waitcnt vmcnt(0)
	v_sub_f32_e32 v74, v94, v74
	buffer_store_dword v73, off, s[0:3], 0 offset:232
	buffer_store_dword v74, off, s[0:3], 0 offset:236
	v_cmpx_lt_u32_e32 28, v0
	s_cbranch_execz .LBB34_167
; %bb.166:
	s_clause 0x1
	buffer_load_dword v73, off, s[0:3], 0 offset:224
	buffer_load_dword v74, off, s[0:3], 0 offset:228
	buffer_store_dword v72, off, s[0:3], 0 offset:224
	buffer_store_dword v72, off, s[0:3], 0 offset:228
	s_waitcnt vmcnt(0)
	ds_write_b64 v71, v[73:74]
.LBB34_167:
	s_or_b32 exec_lo, exec_lo, s4
	s_waitcnt lgkmcnt(0)
	s_waitcnt_vscnt null, 0x0
	s_barrier
	buffer_gl0_inv
	s_clause 0xd
	buffer_load_dword v85, off, s[0:3], 0 offset:236
	buffer_load_dword v86, off, s[0:3], 0 offset:244
	;; [unrolled: 1-line block ×14, first 2 shown]
	ds_read2_b64 v[73:76], v72 offset0:65 offset1:66
	ds_read2_b64 v[77:80], v72 offset0:67 offset1:68
	;; [unrolled: 1-line block ×3, first 2 shown]
	s_mov_b32 s4, exec_lo
	s_waitcnt vmcnt(13) lgkmcnt(2)
	v_mul_f32_e32 v72, v73, v85
	v_mul_f32_e32 v85, v74, v85
	s_waitcnt vmcnt(12)
	v_mul_f32_e32 v99, v75, v86
	v_mul_f32_e32 v86, v76, v86
	s_waitcnt vmcnt(11) lgkmcnt(1)
	v_mul_f32_e32 v100, v77, v87
	s_waitcnt vmcnt(10)
	v_mul_f32_e32 v101, v79, v88
	s_waitcnt vmcnt(7)
	v_fma_f32 v73, v73, v91, -v85
	v_fmac_f32_e32 v72, v74, v91
	v_mul_f32_e32 v74, v78, v87
	s_waitcnt vmcnt(6)
	v_fma_f32 v75, v75, v92, -v86
	v_fmac_f32_e32 v99, v76, v92
	v_add_f32_e32 v73, 0, v73
	v_add_f32_e32 v72, 0, v72
	v_mul_f32_e32 v76, v80, v88
	s_waitcnt vmcnt(5)
	v_fma_f32 v74, v77, v93, -v74
	v_fmac_f32_e32 v100, v78, v93
	v_add_f32_e32 v73, v73, v75
	v_add_f32_e32 v72, v72, v99
	s_waitcnt lgkmcnt(0)
	v_mul_f32_e32 v75, v82, v89
	s_waitcnt vmcnt(4)
	v_fma_f32 v76, v79, v94, -v76
	v_mul_f32_e32 v102, v81, v89
	v_add_f32_e32 v73, v73, v74
	v_fmac_f32_e32 v101, v80, v94
	v_add_f32_e32 v72, v72, v100
	v_mul_f32_e32 v74, v84, v90
	s_waitcnt vmcnt(3)
	v_fma_f32 v75, v81, v95, -v75
	v_add_f32_e32 v73, v73, v76
	v_mul_f32_e32 v103, v83, v90
	v_fmac_f32_e32 v102, v82, v95
	v_add_f32_e32 v72, v72, v101
	s_waitcnt vmcnt(2)
	v_fma_f32 v74, v83, v96, -v74
	v_add_f32_e32 v73, v73, v75
	v_fmac_f32_e32 v103, v84, v96
	v_add_f32_e32 v72, v72, v102
	v_add_f32_e32 v73, v73, v74
	;; [unrolled: 1-line block ×3, first 2 shown]
	s_waitcnt vmcnt(1)
	v_sub_f32_e32 v73, v97, v73
	s_waitcnt vmcnt(0)
	v_sub_f32_e32 v72, v98, v72
	buffer_store_dword v73, off, s[0:3], 0 offset:224
	buffer_store_dword v72, off, s[0:3], 0 offset:228
	v_cmpx_lt_u32_e32 27, v0
	s_cbranch_execz .LBB34_169
; %bb.168:
	s_clause 0x1
	buffer_load_dword v72, off, s[0:3], 0 offset:216
	buffer_load_dword v73, off, s[0:3], 0 offset:220
	v_mov_b32_e32 v74, 0
	buffer_store_dword v74, off, s[0:3], 0 offset:216
	buffer_store_dword v74, off, s[0:3], 0 offset:220
	s_waitcnt vmcnt(0)
	ds_write_b64 v71, v[72:73]
.LBB34_169:
	s_or_b32 exec_lo, exec_lo, s4
	s_waitcnt lgkmcnt(0)
	s_waitcnt_vscnt null, 0x0
	s_barrier
	buffer_gl0_inv
	s_clause 0xf
	buffer_load_dword v87, off, s[0:3], 0 offset:228
	buffer_load_dword v88, off, s[0:3], 0 offset:236
	;; [unrolled: 1-line block ×16, first 2 shown]
	v_mov_b32_e32 v72, 0
	ds_read_b128 v[73:76], v72 offset:512
	ds_read_b128 v[77:80], v72 offset:528
	;; [unrolled: 1-line block ×3, first 2 shown]
	ds_read_b64 v[85:86], v72 offset:560
	s_mov_b32 s4, exec_lo
	s_waitcnt vmcnt(15) lgkmcnt(3)
	v_mul_f32_e32 v103, v73, v87
	v_mul_f32_e32 v87, v74, v87
	s_waitcnt vmcnt(14)
	v_mul_f32_e32 v104, v75, v88
	v_mul_f32_e32 v88, v76, v88
	s_waitcnt vmcnt(13) lgkmcnt(2)
	v_mul_f32_e32 v105, v77, v89
	s_waitcnt vmcnt(12)
	v_mul_f32_e32 v106, v79, v90
	s_waitcnt vmcnt(11) lgkmcnt(1)
	v_mul_f32_e32 v107, v81, v91
	s_waitcnt vmcnt(8)
	v_fma_f32 v73, v73, v94, -v87
	v_fmac_f32_e32 v103, v74, v94
	v_mul_f32_e32 v74, v78, v89
	s_waitcnt vmcnt(7)
	v_fma_f32 v75, v75, v95, -v88
	v_fmac_f32_e32 v104, v76, v95
	v_add_f32_e32 v73, 0, v73
	v_add_f32_e32 v76, 0, v103
	v_mul_f32_e32 v87, v80, v90
	s_waitcnt vmcnt(6)
	v_fma_f32 v74, v77, v96, -v74
	v_fmac_f32_e32 v105, v78, v96
	v_add_f32_e32 v73, v73, v75
	v_add_f32_e32 v75, v76, v104
	;; [unrolled: 6-line block ×3, first 2 shown]
	v_mul_f32_e32 v75, v84, v92
	s_waitcnt vmcnt(4)
	v_fma_f32 v76, v81, v98, -v76
	v_mul_f32_e32 v108, v83, v92
	v_add_f32_e32 v73, v73, v77
	v_fmac_f32_e32 v107, v82, v98
	v_add_f32_e32 v74, v74, v106
	s_waitcnt lgkmcnt(0)
	v_mul_f32_e32 v77, v86, v93
	s_waitcnt vmcnt(3)
	v_fma_f32 v75, v83, v99, -v75
	v_add_f32_e32 v73, v73, v76
	v_mul_f32_e32 v109, v85, v93
	v_fmac_f32_e32 v108, v84, v99
	v_add_f32_e32 v74, v74, v107
	s_waitcnt vmcnt(2)
	v_fma_f32 v76, v85, v100, -v77
	v_add_f32_e32 v73, v73, v75
	v_fmac_f32_e32 v109, v86, v100
	v_add_f32_e32 v74, v74, v108
	v_add_f32_e32 v73, v73, v76
	;; [unrolled: 1-line block ×3, first 2 shown]
	s_waitcnt vmcnt(1)
	v_sub_f32_e32 v73, v101, v73
	s_waitcnt vmcnt(0)
	v_sub_f32_e32 v74, v102, v74
	buffer_store_dword v73, off, s[0:3], 0 offset:216
	buffer_store_dword v74, off, s[0:3], 0 offset:220
	v_cmpx_lt_u32_e32 26, v0
	s_cbranch_execz .LBB34_171
; %bb.170:
	s_clause 0x1
	buffer_load_dword v73, off, s[0:3], 0 offset:208
	buffer_load_dword v74, off, s[0:3], 0 offset:212
	buffer_store_dword v72, off, s[0:3], 0 offset:208
	buffer_store_dword v72, off, s[0:3], 0 offset:212
	s_waitcnt vmcnt(0)
	ds_write_b64 v71, v[73:74]
.LBB34_171:
	s_or_b32 exec_lo, exec_lo, s4
	s_waitcnt lgkmcnt(0)
	s_waitcnt_vscnt null, 0x0
	s_barrier
	buffer_gl0_inv
	s_clause 0x11
	buffer_load_dword v89, off, s[0:3], 0 offset:220
	buffer_load_dword v90, off, s[0:3], 0 offset:228
	;; [unrolled: 1-line block ×18, first 2 shown]
	ds_read2_b64 v[73:76], v72 offset0:63 offset1:64
	ds_read2_b64 v[77:80], v72 offset0:65 offset1:66
	ds_read2_b64 v[81:84], v72 offset0:67 offset1:68
	ds_read2_b64 v[85:88], v72 offset0:69 offset1:70
	s_mov_b32 s4, exec_lo
	s_waitcnt vmcnt(17) lgkmcnt(3)
	v_mul_f32_e32 v72, v73, v89
	v_mul_f32_e32 v89, v74, v89
	s_waitcnt vmcnt(16)
	v_mul_f32_e32 v107, v75, v90
	v_mul_f32_e32 v90, v76, v90
	s_waitcnt vmcnt(15) lgkmcnt(2)
	v_mul_f32_e32 v108, v77, v91
	s_waitcnt vmcnt(14)
	v_mul_f32_e32 v109, v79, v92
	s_waitcnt vmcnt(13) lgkmcnt(1)
	v_mul_f32_e32 v110, v81, v93
	s_waitcnt vmcnt(12)
	v_mul_f32_e32 v111, v83, v94
	s_waitcnt vmcnt(9)
	v_fma_f32 v73, v73, v97, -v89
	v_fmac_f32_e32 v72, v74, v97
	v_mul_f32_e32 v74, v78, v91
	s_waitcnt vmcnt(8)
	v_fma_f32 v75, v75, v98, -v90
	v_fmac_f32_e32 v107, v76, v98
	v_add_f32_e32 v73, 0, v73
	v_add_f32_e32 v72, 0, v72
	v_mul_f32_e32 v76, v80, v92
	s_waitcnt vmcnt(7)
	v_fma_f32 v74, v77, v99, -v74
	v_fmac_f32_e32 v108, v78, v99
	v_add_f32_e32 v73, v73, v75
	v_add_f32_e32 v72, v72, v107
	;; [unrolled: 6-line block ×4, first 2 shown]
	s_waitcnt lgkmcnt(0)
	v_mul_f32_e32 v76, v86, v95
	s_waitcnt vmcnt(4)
	v_fma_f32 v74, v83, v102, -v74
	v_mul_f32_e32 v112, v85, v95
	v_add_f32_e32 v73, v73, v75
	v_fmac_f32_e32 v111, v84, v102
	v_add_f32_e32 v72, v72, v110
	v_mul_f32_e32 v75, v88, v96
	s_waitcnt vmcnt(3)
	v_fma_f32 v76, v85, v103, -v76
	v_add_f32_e32 v73, v73, v74
	v_mul_f32_e32 v113, v87, v96
	v_fmac_f32_e32 v112, v86, v103
	v_add_f32_e32 v72, v72, v111
	s_waitcnt vmcnt(2)
	v_fma_f32 v74, v87, v104, -v75
	v_add_f32_e32 v73, v73, v76
	v_fmac_f32_e32 v113, v88, v104
	v_add_f32_e32 v72, v72, v112
	v_add_f32_e32 v73, v73, v74
	;; [unrolled: 1-line block ×3, first 2 shown]
	s_waitcnt vmcnt(1)
	v_sub_f32_e32 v73, v105, v73
	s_waitcnt vmcnt(0)
	v_sub_f32_e32 v72, v106, v72
	buffer_store_dword v73, off, s[0:3], 0 offset:208
	buffer_store_dword v72, off, s[0:3], 0 offset:212
	v_cmpx_lt_u32_e32 25, v0
	s_cbranch_execz .LBB34_173
; %bb.172:
	s_clause 0x1
	buffer_load_dword v72, off, s[0:3], 0 offset:200
	buffer_load_dword v73, off, s[0:3], 0 offset:204
	v_mov_b32_e32 v74, 0
	buffer_store_dword v74, off, s[0:3], 0 offset:200
	buffer_store_dword v74, off, s[0:3], 0 offset:204
	s_waitcnt vmcnt(0)
	ds_write_b64 v71, v[72:73]
.LBB34_173:
	s_or_b32 exec_lo, exec_lo, s4
	s_waitcnt lgkmcnt(0)
	s_waitcnt_vscnt null, 0x0
	s_barrier
	buffer_gl0_inv
	s_clause 0x13
	buffer_load_dword v91, off, s[0:3], 0 offset:212
	buffer_load_dword v92, off, s[0:3], 0 offset:220
	;; [unrolled: 1-line block ×20, first 2 shown]
	v_mov_b32_e32 v72, 0
	ds_read_b128 v[73:76], v72 offset:496
	ds_read_b128 v[77:80], v72 offset:512
	;; [unrolled: 1-line block ×4, first 2 shown]
	ds_read_b64 v[89:90], v72 offset:560
	s_mov_b32 s4, exec_lo
	s_waitcnt vmcnt(19) lgkmcnt(4)
	v_mul_f32_e32 v111, v73, v91
	v_mul_f32_e32 v91, v74, v91
	s_waitcnt vmcnt(18)
	v_mul_f32_e32 v112, v75, v92
	v_mul_f32_e32 v92, v76, v92
	s_waitcnt vmcnt(17) lgkmcnt(3)
	v_mul_f32_e32 v113, v77, v93
	s_waitcnt vmcnt(16)
	v_mul_f32_e32 v114, v79, v94
	s_waitcnt vmcnt(15) lgkmcnt(2)
	v_mul_f32_e32 v115, v81, v95
	s_waitcnt vmcnt(14)
	;; [unrolled: 4-line block ×3, first 2 shown]
	v_fma_f32 v73, v73, v100, -v91
	v_fmac_f32_e32 v111, v74, v100
	v_mul_f32_e32 v74, v78, v93
	s_waitcnt vmcnt(9)
	v_fma_f32 v75, v75, v101, -v92
	v_fmac_f32_e32 v112, v76, v101
	v_add_f32_e32 v73, 0, v73
	v_add_f32_e32 v76, 0, v111
	v_mul_f32_e32 v91, v80, v94
	s_waitcnt vmcnt(8)
	v_fma_f32 v74, v77, v102, -v74
	v_fmac_f32_e32 v113, v78, v102
	v_add_f32_e32 v73, v73, v75
	v_add_f32_e32 v75, v76, v112
	;; [unrolled: 6-line block ×5, first 2 shown]
	v_mul_f32_e32 v76, v88, v98
	s_waitcnt vmcnt(4)
	v_fma_f32 v77, v85, v106, -v77
	v_mul_f32_e32 v118, v87, v98
	v_add_f32_e32 v73, v73, v75
	v_fmac_f32_e32 v117, v86, v106
	v_add_f32_e32 v74, v74, v116
	s_waitcnt lgkmcnt(0)
	v_mul_f32_e32 v75, v90, v99
	s_waitcnt vmcnt(3)
	v_fma_f32 v76, v87, v107, -v76
	v_add_f32_e32 v73, v73, v77
	v_mul_f32_e32 v119, v89, v99
	v_fmac_f32_e32 v118, v88, v107
	v_add_f32_e32 v74, v74, v117
	s_waitcnt vmcnt(2)
	v_fma_f32 v75, v89, v108, -v75
	v_add_f32_e32 v73, v73, v76
	v_fmac_f32_e32 v119, v90, v108
	v_add_f32_e32 v74, v74, v118
	v_add_f32_e32 v73, v73, v75
	;; [unrolled: 1-line block ×3, first 2 shown]
	s_waitcnt vmcnt(1)
	v_sub_f32_e32 v73, v109, v73
	s_waitcnt vmcnt(0)
	v_sub_f32_e32 v74, v110, v74
	buffer_store_dword v73, off, s[0:3], 0 offset:200
	buffer_store_dword v74, off, s[0:3], 0 offset:204
	v_cmpx_lt_u32_e32 24, v0
	s_cbranch_execz .LBB34_175
; %bb.174:
	s_clause 0x1
	buffer_load_dword v73, off, s[0:3], 0 offset:192
	buffer_load_dword v74, off, s[0:3], 0 offset:196
	buffer_store_dword v72, off, s[0:3], 0 offset:192
	buffer_store_dword v72, off, s[0:3], 0 offset:196
	s_waitcnt vmcnt(0)
	ds_write_b64 v71, v[73:74]
.LBB34_175:
	s_or_b32 exec_lo, exec_lo, s4
	s_waitcnt lgkmcnt(0)
	s_waitcnt_vscnt null, 0x0
	s_barrier
	buffer_gl0_inv
	s_clause 0x15
	buffer_load_dword v93, off, s[0:3], 0 offset:204
	buffer_load_dword v94, off, s[0:3], 0 offset:212
	;; [unrolled: 1-line block ×22, first 2 shown]
	ds_read2_b64 v[73:76], v72 offset0:61 offset1:62
	ds_read2_b64 v[77:80], v72 offset0:63 offset1:64
	;; [unrolled: 1-line block ×5, first 2 shown]
	s_mov_b32 s4, exec_lo
	s_waitcnt vmcnt(21) lgkmcnt(4)
	v_mul_f32_e32 v72, v73, v93
	v_mul_f32_e32 v93, v74, v93
	s_waitcnt vmcnt(20)
	v_mul_f32_e32 v115, v75, v94
	v_mul_f32_e32 v94, v76, v94
	s_waitcnt vmcnt(19) lgkmcnt(3)
	v_mul_f32_e32 v116, v77, v95
	s_waitcnt vmcnt(18)
	v_mul_f32_e32 v117, v79, v96
	s_waitcnt vmcnt(17) lgkmcnt(2)
	v_mul_f32_e32 v118, v81, v97
	s_waitcnt vmcnt(16)
	;; [unrolled: 4-line block ×3, first 2 shown]
	v_mul_f32_e32 v121, v87, v100
	s_waitcnt vmcnt(11)
	v_fma_f32 v73, v73, v103, -v93
	v_fmac_f32_e32 v72, v74, v103
	v_mul_f32_e32 v74, v78, v95
	s_waitcnt vmcnt(10)
	v_fma_f32 v75, v75, v104, -v94
	v_fmac_f32_e32 v115, v76, v104
	v_add_f32_e32 v73, 0, v73
	v_add_f32_e32 v72, 0, v72
	v_mul_f32_e32 v76, v80, v96
	s_waitcnt vmcnt(9)
	v_fma_f32 v74, v77, v105, -v74
	v_fmac_f32_e32 v116, v78, v105
	v_add_f32_e32 v73, v73, v75
	v_add_f32_e32 v72, v72, v115
	;; [unrolled: 6-line block ×6, first 2 shown]
	s_waitcnt lgkmcnt(0)
	v_mul_f32_e32 v74, v90, v101
	s_waitcnt vmcnt(4)
	v_fma_f32 v75, v87, v110, -v75
	v_mul_f32_e32 v122, v89, v101
	v_add_f32_e32 v73, v73, v76
	v_fmac_f32_e32 v121, v88, v110
	v_add_f32_e32 v72, v72, v120
	v_mul_f32_e32 v76, v92, v102
	s_waitcnt vmcnt(3)
	v_fma_f32 v74, v89, v111, -v74
	v_add_f32_e32 v73, v73, v75
	v_mul_f32_e32 v123, v91, v102
	v_fmac_f32_e32 v122, v90, v111
	v_add_f32_e32 v72, v72, v121
	s_waitcnt vmcnt(2)
	v_fma_f32 v75, v91, v112, -v76
	v_add_f32_e32 v73, v73, v74
	v_fmac_f32_e32 v123, v92, v112
	v_add_f32_e32 v72, v72, v122
	v_add_f32_e32 v73, v73, v75
	;; [unrolled: 1-line block ×3, first 2 shown]
	s_waitcnt vmcnt(1)
	v_sub_f32_e32 v73, v113, v73
	s_waitcnt vmcnt(0)
	v_sub_f32_e32 v72, v114, v72
	buffer_store_dword v73, off, s[0:3], 0 offset:192
	buffer_store_dword v72, off, s[0:3], 0 offset:196
	v_cmpx_lt_u32_e32 23, v0
	s_cbranch_execz .LBB34_177
; %bb.176:
	s_clause 0x1
	buffer_load_dword v72, off, s[0:3], 0 offset:184
	buffer_load_dword v73, off, s[0:3], 0 offset:188
	v_mov_b32_e32 v74, 0
	buffer_store_dword v74, off, s[0:3], 0 offset:184
	buffer_store_dword v74, off, s[0:3], 0 offset:188
	s_waitcnt vmcnt(0)
	ds_write_b64 v71, v[72:73]
.LBB34_177:
	s_or_b32 exec_lo, exec_lo, s4
	s_waitcnt lgkmcnt(0)
	s_waitcnt_vscnt null, 0x0
	s_barrier
	buffer_gl0_inv
	s_clause 0x17
	buffer_load_dword v95, off, s[0:3], 0 offset:196
	buffer_load_dword v96, off, s[0:3], 0 offset:204
	;; [unrolled: 1-line block ×24, first 2 shown]
	v_mov_b32_e32 v72, 0
	ds_read_b128 v[73:76], v72 offset:480
	ds_read_b128 v[77:80], v72 offset:496
	;; [unrolled: 1-line block ×5, first 2 shown]
	ds_read_b64 v[93:94], v72 offset:560
	s_mov_b32 s4, exec_lo
	s_waitcnt vmcnt(23) lgkmcnt(5)
	v_mul_f32_e32 v119, v73, v95
	v_mul_f32_e32 v95, v74, v95
	s_waitcnt vmcnt(22)
	v_mul_f32_e32 v120, v75, v96
	v_mul_f32_e32 v96, v76, v96
	s_waitcnt vmcnt(21) lgkmcnt(4)
	v_mul_f32_e32 v121, v77, v97
	s_waitcnt vmcnt(20)
	v_mul_f32_e32 v122, v79, v98
	s_waitcnt vmcnt(19) lgkmcnt(3)
	v_mul_f32_e32 v123, v81, v99
	s_waitcnt vmcnt(18)
	v_mul_f32_e32 v124, v83, v100
	s_waitcnt vmcnt(17) lgkmcnt(2)
	v_mul_f32_e32 v125, v85, v101
	s_waitcnt vmcnt(16)
	v_mul_f32_e32 v126, v87, v102
	s_waitcnt vmcnt(15) lgkmcnt(1)
	v_mul_f32_e32 v127, v89, v103
	s_waitcnt vmcnt(12)
	v_fma_f32 v73, v73, v106, -v95
	v_fmac_f32_e32 v119, v74, v106
	v_mul_f32_e32 v74, v78, v97
	s_waitcnt vmcnt(11)
	v_fma_f32 v75, v75, v107, -v96
	v_fmac_f32_e32 v120, v76, v107
	v_add_f32_e32 v73, 0, v73
	v_add_f32_e32 v76, 0, v119
	v_mul_f32_e32 v95, v80, v98
	s_waitcnt vmcnt(10)
	v_fma_f32 v74, v77, v108, -v74
	v_fmac_f32_e32 v121, v78, v108
	v_add_f32_e32 v73, v73, v75
	v_add_f32_e32 v75, v76, v120
	;; [unrolled: 6-line block ×7, first 2 shown]
	v_mul_f32_e32 v77, v92, v104
	s_waitcnt vmcnt(4)
	v_fma_f32 v75, v89, v114, -v75
	v_mul_f32_e32 v128, v91, v104
	v_add_f32_e32 v73, v73, v76
	v_fmac_f32_e32 v127, v90, v114
	v_add_f32_e32 v74, v74, v126
	s_waitcnt lgkmcnt(0)
	v_mul_f32_e32 v76, v94, v105
	s_waitcnt vmcnt(3)
	v_fma_f32 v77, v91, v115, -v77
	v_add_f32_e32 v73, v73, v75
	v_mul_f32_e32 v129, v93, v105
	v_fmac_f32_e32 v128, v92, v115
	v_add_f32_e32 v74, v74, v127
	s_waitcnt vmcnt(2)
	v_fma_f32 v75, v93, v116, -v76
	v_add_f32_e32 v73, v73, v77
	v_fmac_f32_e32 v129, v94, v116
	v_add_f32_e32 v74, v74, v128
	v_add_f32_e32 v73, v73, v75
	;; [unrolled: 1-line block ×3, first 2 shown]
	s_waitcnt vmcnt(1)
	v_sub_f32_e32 v73, v117, v73
	s_waitcnt vmcnt(0)
	v_sub_f32_e32 v74, v118, v74
	buffer_store_dword v73, off, s[0:3], 0 offset:184
	buffer_store_dword v74, off, s[0:3], 0 offset:188
	v_cmpx_lt_u32_e32 22, v0
	s_cbranch_execz .LBB34_179
; %bb.178:
	s_clause 0x1
	buffer_load_dword v73, off, s[0:3], 0 offset:176
	buffer_load_dword v74, off, s[0:3], 0 offset:180
	buffer_store_dword v72, off, s[0:3], 0 offset:176
	buffer_store_dword v72, off, s[0:3], 0 offset:180
	s_waitcnt vmcnt(0)
	ds_write_b64 v71, v[73:74]
.LBB34_179:
	s_or_b32 exec_lo, exec_lo, s4
	s_waitcnt lgkmcnt(0)
	s_waitcnt_vscnt null, 0x0
	s_barrier
	buffer_gl0_inv
	s_clause 0x19
	buffer_load_dword v97, off, s[0:3], 0 offset:188
	buffer_load_dword v98, off, s[0:3], 0 offset:196
	;; [unrolled: 1-line block ×26, first 2 shown]
	ds_read2_b64 v[73:76], v72 offset0:59 offset1:60
	ds_read2_b64 v[77:80], v72 offset0:61 offset1:62
	;; [unrolled: 1-line block ×6, first 2 shown]
	s_mov_b32 s4, exec_lo
	s_waitcnt vmcnt(25) lgkmcnt(5)
	v_mul_f32_e32 v72, v73, v97
	v_mul_f32_e32 v97, v74, v97
	s_waitcnt vmcnt(24)
	v_mul_f32_e32 v123, v75, v98
	v_mul_f32_e32 v98, v76, v98
	s_waitcnt vmcnt(23) lgkmcnt(4)
	v_mul_f32_e32 v124, v77, v99
	s_waitcnt vmcnt(22)
	v_mul_f32_e32 v125, v79, v100
	s_waitcnt vmcnt(21) lgkmcnt(3)
	v_mul_f32_e32 v126, v81, v101
	s_waitcnt vmcnt(20)
	;; [unrolled: 4-line block ×4, first 2 shown]
	v_mul_f32_e32 v131, v91, v106
	s_waitcnt vmcnt(13)
	v_fma_f32 v73, v73, v109, -v97
	v_fmac_f32_e32 v72, v74, v109
	v_mul_f32_e32 v74, v78, v99
	s_waitcnt vmcnt(12)
	v_fma_f32 v75, v75, v110, -v98
	v_fmac_f32_e32 v123, v76, v110
	v_add_f32_e32 v73, 0, v73
	v_add_f32_e32 v72, 0, v72
	v_mul_f32_e32 v76, v80, v100
	s_waitcnt vmcnt(11)
	v_fma_f32 v74, v77, v111, -v74
	v_fmac_f32_e32 v124, v78, v111
	v_add_f32_e32 v73, v73, v75
	v_add_f32_e32 v72, v72, v123
	v_mul_f32_e32 v75, v82, v101
	s_waitcnt vmcnt(10)
	v_fma_f32 v76, v79, v112, -v76
	v_fmac_f32_e32 v125, v80, v112
	v_add_f32_e32 v73, v73, v74
	v_add_f32_e32 v72, v72, v124
	v_mul_f32_e32 v74, v84, v102
	s_waitcnt vmcnt(9)
	v_fma_f32 v75, v81, v113, -v75
	v_fmac_f32_e32 v126, v82, v113
	v_add_f32_e32 v73, v73, v76
	v_add_f32_e32 v72, v72, v125
	v_mul_f32_e32 v76, v86, v103
	s_waitcnt vmcnt(8)
	v_fma_f32 v74, v83, v114, -v74
	v_fmac_f32_e32 v127, v84, v114
	v_add_f32_e32 v73, v73, v75
	v_add_f32_e32 v72, v72, v126
	v_mul_f32_e32 v75, v88, v104
	s_waitcnt vmcnt(7)
	v_fma_f32 v76, v85, v115, -v76
	v_fmac_f32_e32 v128, v86, v115
	v_add_f32_e32 v73, v73, v74
	v_add_f32_e32 v72, v72, v127
	v_mul_f32_e32 v74, v90, v105
	s_waitcnt vmcnt(6)
	v_fma_f32 v75, v87, v116, -v75
	v_fmac_f32_e32 v129, v88, v116
	v_add_f32_e32 v73, v73, v76
	v_add_f32_e32 v72, v72, v128
	v_mul_f32_e32 v76, v92, v106
	s_waitcnt vmcnt(5)
	v_fma_f32 v74, v89, v117, -v74
	v_fmac_f32_e32 v130, v90, v117
	v_add_f32_e32 v73, v73, v75
	v_add_f32_e32 v72, v72, v129
	s_waitcnt lgkmcnt(0)
	v_mul_f32_e32 v75, v94, v107
	s_waitcnt vmcnt(4)
	v_fma_f32 v76, v91, v118, -v76
	v_mul_f32_e32 v132, v93, v107
	v_add_f32_e32 v73, v73, v74
	v_fmac_f32_e32 v131, v92, v118
	v_add_f32_e32 v72, v72, v130
	v_mul_f32_e32 v74, v96, v108
	s_waitcnt vmcnt(3)
	v_fma_f32 v75, v93, v119, -v75
	v_add_f32_e32 v73, v73, v76
	v_mul_f32_e32 v133, v95, v108
	v_fmac_f32_e32 v132, v94, v119
	v_add_f32_e32 v72, v72, v131
	s_waitcnt vmcnt(2)
	v_fma_f32 v74, v95, v120, -v74
	v_add_f32_e32 v73, v73, v75
	v_fmac_f32_e32 v133, v96, v120
	v_add_f32_e32 v72, v72, v132
	v_add_f32_e32 v73, v73, v74
	;; [unrolled: 1-line block ×3, first 2 shown]
	s_waitcnt vmcnt(1)
	v_sub_f32_e32 v73, v121, v73
	s_waitcnt vmcnt(0)
	v_sub_f32_e32 v72, v122, v72
	buffer_store_dword v73, off, s[0:3], 0 offset:176
	buffer_store_dword v72, off, s[0:3], 0 offset:180
	v_cmpx_lt_u32_e32 21, v0
	s_cbranch_execz .LBB34_181
; %bb.180:
	s_clause 0x1
	buffer_load_dword v72, off, s[0:3], 0 offset:168
	buffer_load_dword v73, off, s[0:3], 0 offset:172
	v_mov_b32_e32 v74, 0
	buffer_store_dword v74, off, s[0:3], 0 offset:168
	buffer_store_dword v74, off, s[0:3], 0 offset:172
	s_waitcnt vmcnt(0)
	ds_write_b64 v71, v[72:73]
.LBB34_181:
	s_or_b32 exec_lo, exec_lo, s4
	s_waitcnt lgkmcnt(0)
	s_waitcnt_vscnt null, 0x0
	s_barrier
	buffer_gl0_inv
	s_clause 0x1b
	buffer_load_dword v99, off, s[0:3], 0 offset:180
	buffer_load_dword v100, off, s[0:3], 0 offset:188
	;; [unrolled: 1-line block ×28, first 2 shown]
	v_mov_b32_e32 v72, 0
	ds_read_b128 v[73:76], v72 offset:464
	ds_read_b128 v[77:80], v72 offset:480
	;; [unrolled: 1-line block ×6, first 2 shown]
	ds_read_b64 v[97:98], v72 offset:560
	s_mov_b32 s4, exec_lo
	s_waitcnt vmcnt(27) lgkmcnt(6)
	v_mul_f32_e32 v127, v73, v99
	v_mul_f32_e32 v99, v74, v99
	s_waitcnt vmcnt(26)
	v_mul_f32_e32 v128, v75, v100
	v_mul_f32_e32 v100, v76, v100
	s_waitcnt vmcnt(25) lgkmcnt(5)
	v_mul_f32_e32 v129, v77, v101
	s_waitcnt vmcnt(24)
	v_mul_f32_e32 v130, v79, v102
	s_waitcnt vmcnt(23) lgkmcnt(4)
	v_mul_f32_e32 v131, v81, v103
	s_waitcnt vmcnt(22)
	;; [unrolled: 4-line block ×5, first 2 shown]
	v_fma_f32 v73, v73, v112, -v99
	v_fmac_f32_e32 v127, v74, v112
	v_mul_f32_e32 v74, v78, v101
	s_waitcnt vmcnt(13)
	v_fma_f32 v75, v75, v113, -v100
	v_fmac_f32_e32 v128, v76, v113
	v_add_f32_e32 v73, 0, v73
	v_add_f32_e32 v76, 0, v127
	v_mul_f32_e32 v99, v80, v102
	s_waitcnt vmcnt(12)
	v_fma_f32 v74, v77, v114, -v74
	v_fmac_f32_e32 v129, v78, v114
	v_add_f32_e32 v73, v73, v75
	v_add_f32_e32 v75, v76, v128
	;; [unrolled: 6-line block ×9, first 2 shown]
	v_mul_f32_e32 v75, v96, v110
	s_waitcnt vmcnt(4)
	v_fma_f32 v76, v93, v122, -v76
	v_mul_f32_e32 v138, v95, v110
	v_add_f32_e32 v73, v73, v77
	v_fmac_f32_e32 v137, v94, v122
	v_add_f32_e32 v74, v74, v136
	s_waitcnt lgkmcnt(0)
	v_mul_f32_e32 v77, v98, v111
	s_waitcnt vmcnt(3)
	v_fma_f32 v75, v95, v123, -v75
	v_add_f32_e32 v73, v73, v76
	v_mul_f32_e32 v139, v97, v111
	v_fmac_f32_e32 v138, v96, v123
	v_add_f32_e32 v74, v74, v137
	s_waitcnt vmcnt(2)
	v_fma_f32 v76, v97, v124, -v77
	v_add_f32_e32 v73, v73, v75
	v_fmac_f32_e32 v139, v98, v124
	v_add_f32_e32 v74, v74, v138
	v_add_f32_e32 v73, v73, v76
	;; [unrolled: 1-line block ×3, first 2 shown]
	s_waitcnt vmcnt(1)
	v_sub_f32_e32 v73, v125, v73
	s_waitcnt vmcnt(0)
	v_sub_f32_e32 v74, v126, v74
	buffer_store_dword v73, off, s[0:3], 0 offset:168
	buffer_store_dword v74, off, s[0:3], 0 offset:172
	v_cmpx_lt_u32_e32 20, v0
	s_cbranch_execz .LBB34_183
; %bb.182:
	s_clause 0x1
	buffer_load_dword v73, off, s[0:3], 0 offset:160
	buffer_load_dword v74, off, s[0:3], 0 offset:164
	buffer_store_dword v72, off, s[0:3], 0 offset:160
	buffer_store_dword v72, off, s[0:3], 0 offset:164
	s_waitcnt vmcnt(0)
	ds_write_b64 v71, v[73:74]
.LBB34_183:
	s_or_b32 exec_lo, exec_lo, s4
	s_waitcnt lgkmcnt(0)
	s_waitcnt_vscnt null, 0x0
	s_barrier
	buffer_gl0_inv
	s_clause 0x1d
	buffer_load_dword v101, off, s[0:3], 0 offset:172
	buffer_load_dword v102, off, s[0:3], 0 offset:180
	;; [unrolled: 1-line block ×30, first 2 shown]
	ds_read2_b64 v[73:76], v72 offset0:57 offset1:58
	ds_read2_b64 v[77:80], v72 offset0:59 offset1:60
	;; [unrolled: 1-line block ×7, first 2 shown]
	s_mov_b32 s4, exec_lo
	s_waitcnt vmcnt(29) lgkmcnt(6)
	v_mul_f32_e32 v72, v73, v101
	v_mul_f32_e32 v101, v74, v101
	s_waitcnt vmcnt(28)
	v_mul_f32_e32 v131, v75, v102
	v_mul_f32_e32 v102, v76, v102
	s_waitcnt vmcnt(27) lgkmcnt(5)
	v_mul_f32_e32 v132, v77, v103
	s_waitcnt vmcnt(26)
	v_mul_f32_e32 v133, v79, v104
	s_waitcnt vmcnt(25) lgkmcnt(4)
	v_mul_f32_e32 v134, v81, v105
	s_waitcnt vmcnt(24)
	;; [unrolled: 4-line block ×5, first 2 shown]
	v_mul_f32_e32 v141, v95, v112
	s_waitcnt vmcnt(15)
	v_fma_f32 v73, v73, v115, -v101
	v_fmac_f32_e32 v72, v74, v115
	v_mul_f32_e32 v74, v78, v103
	s_waitcnt vmcnt(14)
	v_fma_f32 v75, v75, v116, -v102
	v_fmac_f32_e32 v131, v76, v116
	v_add_f32_e32 v73, 0, v73
	v_add_f32_e32 v72, 0, v72
	v_mul_f32_e32 v76, v80, v104
	s_waitcnt vmcnt(13)
	v_fma_f32 v74, v77, v117, -v74
	v_fmac_f32_e32 v132, v78, v117
	v_add_f32_e32 v73, v73, v75
	v_add_f32_e32 v72, v72, v131
	;; [unrolled: 6-line block ×10, first 2 shown]
	s_waitcnt lgkmcnt(0)
	v_mul_f32_e32 v76, v98, v113
	s_waitcnt vmcnt(4)
	v_fma_f32 v74, v95, v126, -v74
	v_mul_f32_e32 v142, v97, v113
	v_add_f32_e32 v73, v73, v75
	v_fmac_f32_e32 v141, v96, v126
	v_add_f32_e32 v72, v72, v140
	v_mul_f32_e32 v75, v100, v114
	s_waitcnt vmcnt(3)
	v_fma_f32 v76, v97, v127, -v76
	v_add_f32_e32 v73, v73, v74
	v_mul_f32_e32 v143, v99, v114
	v_fmac_f32_e32 v142, v98, v127
	v_add_f32_e32 v72, v72, v141
	s_waitcnt vmcnt(2)
	v_fma_f32 v74, v99, v128, -v75
	v_add_f32_e32 v73, v73, v76
	v_fmac_f32_e32 v143, v100, v128
	v_add_f32_e32 v72, v72, v142
	v_add_f32_e32 v73, v73, v74
	;; [unrolled: 1-line block ×3, first 2 shown]
	s_waitcnt vmcnt(1)
	v_sub_f32_e32 v73, v129, v73
	s_waitcnt vmcnt(0)
	v_sub_f32_e32 v72, v130, v72
	buffer_store_dword v73, off, s[0:3], 0 offset:160
	buffer_store_dword v72, off, s[0:3], 0 offset:164
	v_cmpx_lt_u32_e32 19, v0
	s_cbranch_execz .LBB34_185
; %bb.184:
	s_clause 0x1
	buffer_load_dword v72, off, s[0:3], 0 offset:152
	buffer_load_dword v73, off, s[0:3], 0 offset:156
	v_mov_b32_e32 v74, 0
	buffer_store_dword v74, off, s[0:3], 0 offset:152
	buffer_store_dword v74, off, s[0:3], 0 offset:156
	s_waitcnt vmcnt(0)
	ds_write_b64 v71, v[72:73]
.LBB34_185:
	s_or_b32 exec_lo, exec_lo, s4
	s_waitcnt lgkmcnt(0)
	s_waitcnt_vscnt null, 0x0
	s_barrier
	buffer_gl0_inv
	s_clause 0x1f
	buffer_load_dword v103, off, s[0:3], 0 offset:164
	buffer_load_dword v104, off, s[0:3], 0 offset:172
	;; [unrolled: 1-line block ×32, first 2 shown]
	v_mov_b32_e32 v72, 0
	ds_read_b128 v[73:76], v72 offset:448
	ds_read_b128 v[77:80], v72 offset:464
	;; [unrolled: 1-line block ×7, first 2 shown]
	ds_read_b64 v[101:102], v72 offset:560
	s_mov_b32 s4, exec_lo
	s_waitcnt vmcnt(31) lgkmcnt(7)
	v_mul_f32_e32 v135, v73, v103
	v_mul_f32_e32 v103, v74, v103
	s_waitcnt vmcnt(30)
	v_mul_f32_e32 v136, v75, v104
	v_mul_f32_e32 v104, v76, v104
	s_waitcnt vmcnt(29) lgkmcnt(6)
	v_mul_f32_e32 v137, v77, v105
	s_waitcnt vmcnt(28)
	v_mul_f32_e32 v138, v79, v106
	s_waitcnt vmcnt(27) lgkmcnt(5)
	v_mul_f32_e32 v139, v81, v107
	s_waitcnt vmcnt(26)
	;; [unrolled: 4-line block ×6, first 2 shown]
	v_fma_f32 v73, v73, v118, -v103
	v_fmac_f32_e32 v135, v74, v118
	v_mul_f32_e32 v74, v78, v105
	s_waitcnt vmcnt(15)
	v_fma_f32 v75, v75, v119, -v104
	v_fmac_f32_e32 v136, v76, v119
	v_add_f32_e32 v73, 0, v73
	v_add_f32_e32 v76, 0, v135
	v_mul_f32_e32 v103, v80, v106
	s_waitcnt vmcnt(14)
	v_fma_f32 v74, v77, v120, -v74
	v_fmac_f32_e32 v137, v78, v120
	v_add_f32_e32 v73, v73, v75
	v_add_f32_e32 v75, v76, v136
	;; [unrolled: 6-line block ×11, first 2 shown]
	v_mul_f32_e32 v76, v100, v116
	s_waitcnt vmcnt(4)
	v_fma_f32 v77, v97, v130, -v77
	v_mul_f32_e32 v148, v99, v116
	v_add_f32_e32 v73, v73, v75
	v_fmac_f32_e32 v147, v98, v130
	v_add_f32_e32 v74, v74, v146
	s_waitcnt lgkmcnt(0)
	v_mul_f32_e32 v75, v102, v117
	s_waitcnt vmcnt(3)
	v_fma_f32 v76, v99, v131, -v76
	v_add_f32_e32 v73, v73, v77
	v_mul_f32_e32 v149, v101, v117
	v_fmac_f32_e32 v148, v100, v131
	v_add_f32_e32 v74, v74, v147
	s_waitcnt vmcnt(2)
	v_fma_f32 v75, v101, v132, -v75
	v_add_f32_e32 v73, v73, v76
	v_fmac_f32_e32 v149, v102, v132
	v_add_f32_e32 v74, v74, v148
	v_add_f32_e32 v73, v73, v75
	;; [unrolled: 1-line block ×3, first 2 shown]
	s_waitcnt vmcnt(1)
	v_sub_f32_e32 v73, v133, v73
	s_waitcnt vmcnt(0)
	v_sub_f32_e32 v74, v134, v74
	buffer_store_dword v73, off, s[0:3], 0 offset:152
	buffer_store_dword v74, off, s[0:3], 0 offset:156
	v_cmpx_lt_u32_e32 18, v0
	s_cbranch_execz .LBB34_187
; %bb.186:
	s_clause 0x1
	buffer_load_dword v73, off, s[0:3], 0 offset:144
	buffer_load_dword v74, off, s[0:3], 0 offset:148
	buffer_store_dword v72, off, s[0:3], 0 offset:144
	buffer_store_dword v72, off, s[0:3], 0 offset:148
	s_waitcnt vmcnt(0)
	ds_write_b64 v71, v[73:74]
.LBB34_187:
	s_or_b32 exec_lo, exec_lo, s4
	s_waitcnt lgkmcnt(0)
	s_waitcnt_vscnt null, 0x0
	s_barrier
	buffer_gl0_inv
	s_clause 0x21
	buffer_load_dword v105, off, s[0:3], 0 offset:156
	buffer_load_dword v106, off, s[0:3], 0 offset:164
	;; [unrolled: 1-line block ×34, first 2 shown]
	ds_read2_b64 v[73:76], v72 offset0:55 offset1:56
	ds_read2_b64 v[77:80], v72 offset0:57 offset1:58
	;; [unrolled: 1-line block ×8, first 2 shown]
	s_mov_b32 s4, exec_lo
	s_waitcnt vmcnt(33) lgkmcnt(7)
	v_mul_f32_e32 v72, v73, v105
	v_mul_f32_e32 v105, v74, v105
	s_waitcnt vmcnt(32)
	v_mul_f32_e32 v139, v75, v106
	v_mul_f32_e32 v106, v76, v106
	s_waitcnt vmcnt(31) lgkmcnt(6)
	v_mul_f32_e32 v140, v77, v107
	s_waitcnt vmcnt(30)
	v_mul_f32_e32 v141, v79, v108
	s_waitcnt vmcnt(29) lgkmcnt(5)
	v_mul_f32_e32 v142, v81, v109
	s_waitcnt vmcnt(28)
	;; [unrolled: 4-line block ×6, first 2 shown]
	v_mul_f32_e32 v151, v99, v118
	s_waitcnt vmcnt(17)
	v_fma_f32 v73, v73, v121, -v105
	v_fmac_f32_e32 v72, v74, v121
	v_mul_f32_e32 v74, v78, v107
	s_waitcnt vmcnt(16)
	v_fma_f32 v75, v75, v122, -v106
	v_fmac_f32_e32 v139, v76, v122
	v_add_f32_e32 v73, 0, v73
	v_add_f32_e32 v72, 0, v72
	v_mul_f32_e32 v76, v80, v108
	s_waitcnt vmcnt(15)
	v_fma_f32 v74, v77, v123, -v74
	v_fmac_f32_e32 v140, v78, v123
	v_add_f32_e32 v73, v73, v75
	v_add_f32_e32 v72, v72, v139
	;; [unrolled: 6-line block ×12, first 2 shown]
	s_waitcnt lgkmcnt(0)
	v_mul_f32_e32 v74, v102, v119
	s_waitcnt vmcnt(4)
	v_fma_f32 v75, v99, v134, -v75
	v_mul_f32_e32 v152, v101, v119
	v_add_f32_e32 v73, v73, v76
	v_fmac_f32_e32 v151, v100, v134
	v_add_f32_e32 v72, v72, v150
	v_mul_f32_e32 v76, v104, v120
	s_waitcnt vmcnt(3)
	v_fma_f32 v74, v101, v135, -v74
	v_add_f32_e32 v73, v73, v75
	v_mul_f32_e32 v153, v103, v120
	v_fmac_f32_e32 v152, v102, v135
	v_add_f32_e32 v72, v72, v151
	s_waitcnt vmcnt(2)
	v_fma_f32 v75, v103, v136, -v76
	v_add_f32_e32 v73, v73, v74
	v_fmac_f32_e32 v153, v104, v136
	v_add_f32_e32 v72, v72, v152
	v_add_f32_e32 v73, v73, v75
	;; [unrolled: 1-line block ×3, first 2 shown]
	s_waitcnt vmcnt(1)
	v_sub_f32_e32 v73, v137, v73
	s_waitcnt vmcnt(0)
	v_sub_f32_e32 v72, v138, v72
	buffer_store_dword v73, off, s[0:3], 0 offset:144
	buffer_store_dword v72, off, s[0:3], 0 offset:148
	v_cmpx_lt_u32_e32 17, v0
	s_cbranch_execz .LBB34_189
; %bb.188:
	s_clause 0x1
	buffer_load_dword v72, off, s[0:3], 0 offset:136
	buffer_load_dword v73, off, s[0:3], 0 offset:140
	v_mov_b32_e32 v74, 0
	buffer_store_dword v74, off, s[0:3], 0 offset:136
	buffer_store_dword v74, off, s[0:3], 0 offset:140
	s_waitcnt vmcnt(0)
	ds_write_b64 v71, v[72:73]
.LBB34_189:
	s_or_b32 exec_lo, exec_lo, s4
	s_waitcnt lgkmcnt(0)
	s_waitcnt_vscnt null, 0x0
	s_barrier
	buffer_gl0_inv
	s_clause 0x23
	buffer_load_dword v107, off, s[0:3], 0 offset:148
	buffer_load_dword v108, off, s[0:3], 0 offset:156
	buffer_load_dword v109, off, s[0:3], 0 offset:164
	buffer_load_dword v110, off, s[0:3], 0 offset:172
	buffer_load_dword v111, off, s[0:3], 0 offset:180
	buffer_load_dword v112, off, s[0:3], 0 offset:188
	buffer_load_dword v113, off, s[0:3], 0 offset:196
	buffer_load_dword v114, off, s[0:3], 0 offset:204
	buffer_load_dword v115, off, s[0:3], 0 offset:212
	buffer_load_dword v116, off, s[0:3], 0 offset:220
	buffer_load_dword v117, off, s[0:3], 0 offset:228
	buffer_load_dword v118, off, s[0:3], 0 offset:236
	buffer_load_dword v119, off, s[0:3], 0 offset:244
	buffer_load_dword v120, off, s[0:3], 0 offset:252
	buffer_load_dword v121, off, s[0:3], 0 offset:260
	buffer_load_dword v122, off, s[0:3], 0 offset:268
	buffer_load_dword v123, off, s[0:3], 0 offset:276
	buffer_load_dword v124, off, s[0:3], 0 offset:144
	buffer_load_dword v125, off, s[0:3], 0 offset:152
	buffer_load_dword v126, off, s[0:3], 0 offset:160
	buffer_load_dword v127, off, s[0:3], 0 offset:168
	buffer_load_dword v128, off, s[0:3], 0 offset:176
	buffer_load_dword v129, off, s[0:3], 0 offset:184
	buffer_load_dword v130, off, s[0:3], 0 offset:192
	buffer_load_dword v131, off, s[0:3], 0 offset:200
	buffer_load_dword v132, off, s[0:3], 0 offset:208
	buffer_load_dword v133, off, s[0:3], 0 offset:216
	buffer_load_dword v134, off, s[0:3], 0 offset:224
	buffer_load_dword v135, off, s[0:3], 0 offset:232
	buffer_load_dword v136, off, s[0:3], 0 offset:240
	buffer_load_dword v137, off, s[0:3], 0 offset:248
	buffer_load_dword v138, off, s[0:3], 0 offset:256
	buffer_load_dword v139, off, s[0:3], 0 offset:264
	buffer_load_dword v140, off, s[0:3], 0 offset:272
	buffer_load_dword v141, off, s[0:3], 0 offset:136
	buffer_load_dword v142, off, s[0:3], 0 offset:140
	v_mov_b32_e32 v72, 0
	ds_read_b128 v[73:76], v72 offset:432
	ds_read_b128 v[77:80], v72 offset:448
	;; [unrolled: 1-line block ×8, first 2 shown]
	ds_read_b64 v[105:106], v72 offset:560
	s_mov_b32 s4, exec_lo
	s_waitcnt vmcnt(35) lgkmcnt(8)
	v_mul_f32_e32 v143, v73, v107
	v_mul_f32_e32 v107, v74, v107
	s_waitcnt vmcnt(34)
	v_mul_f32_e32 v144, v75, v108
	v_mul_f32_e32 v108, v76, v108
	s_waitcnt vmcnt(33) lgkmcnt(7)
	v_mul_f32_e32 v145, v77, v109
	s_waitcnt vmcnt(32)
	v_mul_f32_e32 v146, v79, v110
	s_waitcnt vmcnt(31) lgkmcnt(6)
	v_mul_f32_e32 v147, v81, v111
	s_waitcnt vmcnt(30)
	;; [unrolled: 4-line block ×7, first 2 shown]
	v_fma_f32 v73, v73, v124, -v107
	v_fmac_f32_e32 v143, v74, v124
	v_mul_f32_e32 v74, v78, v109
	s_waitcnt vmcnt(17)
	v_fma_f32 v75, v75, v125, -v108
	v_fmac_f32_e32 v144, v76, v125
	v_add_f32_e32 v73, 0, v73
	v_add_f32_e32 v76, 0, v143
	v_mul_f32_e32 v107, v80, v110
	s_waitcnt vmcnt(16)
	v_fma_f32 v74, v77, v126, -v74
	v_fmac_f32_e32 v145, v78, v126
	v_add_f32_e32 v73, v73, v75
	v_add_f32_e32 v75, v76, v144
	v_mul_f32_e32 v76, v82, v111
	s_waitcnt vmcnt(15)
	v_fma_f32 v77, v79, v127, -v107
	v_fmac_f32_e32 v146, v80, v127
	v_add_f32_e32 v73, v73, v74
	v_add_f32_e32 v74, v75, v145
	v_mul_f32_e32 v75, v84, v112
	s_waitcnt vmcnt(14)
	v_fma_f32 v76, v81, v128, -v76
	v_fmac_f32_e32 v147, v82, v128
	v_add_f32_e32 v73, v73, v77
	v_add_f32_e32 v74, v74, v146
	v_mul_f32_e32 v77, v86, v113
	s_waitcnt vmcnt(13)
	v_fma_f32 v75, v83, v129, -v75
	v_fmac_f32_e32 v148, v84, v129
	v_add_f32_e32 v73, v73, v76
	v_add_f32_e32 v74, v74, v147
	v_mul_f32_e32 v76, v88, v114
	s_waitcnt vmcnt(12)
	v_fma_f32 v77, v85, v130, -v77
	v_fmac_f32_e32 v149, v86, v130
	v_add_f32_e32 v73, v73, v75
	v_add_f32_e32 v74, v74, v148
	v_mul_f32_e32 v75, v90, v115
	s_waitcnt vmcnt(11)
	v_fma_f32 v76, v87, v131, -v76
	v_fmac_f32_e32 v150, v88, v131
	v_add_f32_e32 v73, v73, v77
	v_add_f32_e32 v74, v74, v149
	v_mul_f32_e32 v77, v92, v116
	s_waitcnt vmcnt(10)
	v_fma_f32 v75, v89, v132, -v75
	v_fmac_f32_e32 v151, v90, v132
	v_add_f32_e32 v73, v73, v76
	v_add_f32_e32 v74, v74, v150
	v_mul_f32_e32 v76, v94, v117
	s_waitcnt vmcnt(9)
	v_fma_f32 v77, v91, v133, -v77
	v_fmac_f32_e32 v152, v92, v133
	v_add_f32_e32 v73, v73, v75
	v_add_f32_e32 v74, v74, v151
	v_mul_f32_e32 v75, v96, v118
	s_waitcnt vmcnt(8)
	v_fma_f32 v76, v93, v134, -v76
	v_fmac_f32_e32 v153, v94, v134
	v_add_f32_e32 v73, v73, v77
	v_add_f32_e32 v74, v74, v152
	v_mul_f32_e32 v77, v98, v119
	s_waitcnt vmcnt(7)
	v_fma_f32 v75, v95, v135, -v75
	v_fmac_f32_e32 v154, v96, v135
	v_add_f32_e32 v73, v73, v76
	v_add_f32_e32 v74, v74, v153
	v_mul_f32_e32 v76, v100, v120
	s_waitcnt vmcnt(6)
	v_fma_f32 v77, v97, v136, -v77
	v_fmac_f32_e32 v155, v98, v136
	v_add_f32_e32 v73, v73, v75
	v_add_f32_e32 v74, v74, v154
	v_mul_f32_e32 v75, v102, v121
	s_waitcnt vmcnt(5)
	v_fma_f32 v76, v99, v137, -v76
	v_fmac_f32_e32 v156, v100, v137
	v_add_f32_e32 v73, v73, v77
	v_add_f32_e32 v74, v74, v155
	v_mul_f32_e32 v77, v104, v122
	s_waitcnt vmcnt(4)
	v_fma_f32 v75, v101, v138, -v75
	v_mul_f32_e32 v158, v103, v122
	v_add_f32_e32 v73, v73, v76
	v_fmac_f32_e32 v157, v102, v138
	v_add_f32_e32 v74, v74, v156
	s_waitcnt lgkmcnt(0)
	v_mul_f32_e32 v76, v106, v123
	s_waitcnt vmcnt(3)
	v_fma_f32 v77, v103, v139, -v77
	v_add_f32_e32 v73, v73, v75
	v_mul_f32_e32 v159, v105, v123
	v_fmac_f32_e32 v158, v104, v139
	v_add_f32_e32 v74, v74, v157
	s_waitcnt vmcnt(2)
	v_fma_f32 v75, v105, v140, -v76
	v_add_f32_e32 v73, v73, v77
	v_fmac_f32_e32 v159, v106, v140
	v_add_f32_e32 v74, v74, v158
	v_add_f32_e32 v73, v73, v75
	;; [unrolled: 1-line block ×3, first 2 shown]
	s_waitcnt vmcnt(1)
	v_sub_f32_e32 v73, v141, v73
	s_waitcnt vmcnt(0)
	v_sub_f32_e32 v74, v142, v74
	buffer_store_dword v73, off, s[0:3], 0 offset:136
	buffer_store_dword v74, off, s[0:3], 0 offset:140
	v_cmpx_lt_u32_e32 16, v0
	s_cbranch_execz .LBB34_191
; %bb.190:
	s_clause 0x1
	buffer_load_dword v73, off, s[0:3], 0 offset:128
	buffer_load_dword v74, off, s[0:3], 0 offset:132
	buffer_store_dword v72, off, s[0:3], 0 offset:128
	buffer_store_dword v72, off, s[0:3], 0 offset:132
	s_waitcnt vmcnt(0)
	ds_write_b64 v71, v[73:74]
.LBB34_191:
	s_or_b32 exec_lo, exec_lo, s4
	s_waitcnt lgkmcnt(0)
	s_waitcnt_vscnt null, 0x0
	s_barrier
	buffer_gl0_inv
	s_clause 0x25
	buffer_load_dword v109, off, s[0:3], 0 offset:140
	buffer_load_dword v110, off, s[0:3], 0 offset:148
	;; [unrolled: 1-line block ×38, first 2 shown]
	ds_read2_b64 v[73:76], v72 offset0:53 offset1:54
	ds_read2_b64 v[77:80], v72 offset0:55 offset1:56
	;; [unrolled: 1-line block ×9, first 2 shown]
	s_mov_b32 s4, exec_lo
	s_waitcnt vmcnt(37) lgkmcnt(8)
	v_mul_f32_e32 v72, v73, v109
	v_mul_f32_e32 v109, v74, v109
	s_waitcnt vmcnt(36)
	v_mul_f32_e32 v147, v75, v110
	v_mul_f32_e32 v110, v76, v110
	s_waitcnt vmcnt(35) lgkmcnt(7)
	v_mul_f32_e32 v148, v77, v111
	s_waitcnt vmcnt(34)
	v_mul_f32_e32 v149, v79, v112
	s_waitcnt vmcnt(33) lgkmcnt(6)
	v_mul_f32_e32 v150, v81, v113
	s_waitcnt vmcnt(32)
	;; [unrolled: 4-line block ×7, first 2 shown]
	v_mul_f32_e32 v161, v103, v124
	s_waitcnt vmcnt(19)
	v_fma_f32 v73, v73, v127, -v109
	v_fmac_f32_e32 v72, v74, v127
	v_mul_f32_e32 v74, v78, v111
	s_waitcnt vmcnt(18)
	v_fma_f32 v75, v75, v128, -v110
	v_fmac_f32_e32 v147, v76, v128
	v_add_f32_e32 v73, 0, v73
	v_add_f32_e32 v72, 0, v72
	v_mul_f32_e32 v76, v80, v112
	s_waitcnt vmcnt(17)
	v_fma_f32 v74, v77, v129, -v74
	v_fmac_f32_e32 v148, v78, v129
	v_add_f32_e32 v73, v73, v75
	v_add_f32_e32 v72, v72, v147
	;; [unrolled: 6-line block ×14, first 2 shown]
	s_waitcnt lgkmcnt(0)
	v_mul_f32_e32 v75, v106, v125
	s_waitcnt vmcnt(4)
	v_fma_f32 v76, v103, v142, -v76
	v_mul_f32_e32 v162, v105, v125
	v_add_f32_e32 v73, v73, v74
	v_fmac_f32_e32 v161, v104, v142
	v_add_f32_e32 v72, v72, v160
	v_mul_f32_e32 v74, v108, v126
	s_waitcnt vmcnt(3)
	v_fma_f32 v75, v105, v143, -v75
	v_add_f32_e32 v73, v73, v76
	v_mul_f32_e32 v163, v107, v126
	v_fmac_f32_e32 v162, v106, v143
	v_add_f32_e32 v72, v72, v161
	s_waitcnt vmcnt(2)
	v_fma_f32 v74, v107, v144, -v74
	v_add_f32_e32 v73, v73, v75
	v_fmac_f32_e32 v163, v108, v144
	v_add_f32_e32 v72, v72, v162
	v_add_f32_e32 v73, v73, v74
	v_add_f32_e32 v72, v72, v163
	s_waitcnt vmcnt(1)
	v_sub_f32_e32 v73, v145, v73
	s_waitcnt vmcnt(0)
	v_sub_f32_e32 v72, v146, v72
	buffer_store_dword v73, off, s[0:3], 0 offset:128
	buffer_store_dword v72, off, s[0:3], 0 offset:132
	v_cmpx_lt_u32_e32 15, v0
	s_cbranch_execz .LBB34_193
; %bb.192:
	s_clause 0x1
	buffer_load_dword v72, off, s[0:3], 0 offset:120
	buffer_load_dword v73, off, s[0:3], 0 offset:124
	v_mov_b32_e32 v74, 0
	buffer_store_dword v74, off, s[0:3], 0 offset:120
	buffer_store_dword v74, off, s[0:3], 0 offset:124
	s_waitcnt vmcnt(0)
	ds_write_b64 v71, v[72:73]
.LBB34_193:
	s_or_b32 exec_lo, exec_lo, s4
	s_waitcnt lgkmcnt(0)
	s_waitcnt_vscnt null, 0x0
	s_barrier
	buffer_gl0_inv
	s_clause 0x27
	buffer_load_dword v111, off, s[0:3], 0 offset:132
	buffer_load_dword v112, off, s[0:3], 0 offset:140
	;; [unrolled: 1-line block ×40, first 2 shown]
	v_mov_b32_e32 v72, 0
	ds_read_b128 v[73:76], v72 offset:416
	ds_read_b128 v[77:80], v72 offset:432
	;; [unrolled: 1-line block ×9, first 2 shown]
	ds_read_b64 v[109:110], v72 offset:560
	s_mov_b32 s4, exec_lo
	s_waitcnt vmcnt(39) lgkmcnt(9)
	v_mul_f32_e32 v151, v73, v111
	v_mul_f32_e32 v111, v74, v111
	s_waitcnt vmcnt(38)
	v_mul_f32_e32 v152, v75, v112
	v_mul_f32_e32 v112, v76, v112
	s_waitcnt vmcnt(37) lgkmcnt(8)
	v_mul_f32_e32 v153, v77, v113
	s_waitcnt vmcnt(36)
	v_mul_f32_e32 v154, v79, v114
	s_waitcnt vmcnt(35) lgkmcnt(7)
	v_mul_f32_e32 v155, v81, v115
	s_waitcnt vmcnt(34)
	v_mul_f32_e32 v156, v83, v116
	s_waitcnt vmcnt(33) lgkmcnt(6)
	v_mul_f32_e32 v157, v85, v117
	s_waitcnt vmcnt(32)
	v_mul_f32_e32 v158, v87, v118
	s_waitcnt vmcnt(31) lgkmcnt(5)
	v_mul_f32_e32 v159, v89, v119
	s_waitcnt vmcnt(30)
	v_mul_f32_e32 v160, v91, v120
	s_waitcnt vmcnt(29) lgkmcnt(4)
	v_mul_f32_e32 v161, v93, v121
	s_waitcnt vmcnt(28)
	v_mul_f32_e32 v162, v95, v122
	s_waitcnt vmcnt(27) lgkmcnt(3)
	v_mul_f32_e32 v163, v97, v123
	s_waitcnt vmcnt(26)
	v_mul_f32_e32 v164, v99, v124
	s_waitcnt vmcnt(25) lgkmcnt(2)
	v_mul_f32_e32 v165, v101, v125
	s_waitcnt vmcnt(24)
	v_mul_f32_e32 v166, v103, v126
	s_waitcnt vmcnt(23) lgkmcnt(1)
	v_mul_f32_e32 v167, v105, v127
	s_waitcnt vmcnt(20)
	v_fma_f32 v73, v73, v130, -v111
	v_fmac_f32_e32 v151, v74, v130
	v_mul_f32_e32 v74, v78, v113
	s_waitcnt vmcnt(19)
	v_fma_f32 v75, v75, v131, -v112
	v_fmac_f32_e32 v152, v76, v131
	v_add_f32_e32 v73, 0, v73
	v_add_f32_e32 v76, 0, v151
	v_mul_f32_e32 v111, v80, v114
	s_waitcnt vmcnt(18)
	v_fma_f32 v74, v77, v132, -v74
	v_fmac_f32_e32 v153, v78, v132
	v_add_f32_e32 v73, v73, v75
	v_add_f32_e32 v75, v76, v152
	;; [unrolled: 6-line block ×15, first 2 shown]
	v_mul_f32_e32 v75, v108, v128
	s_waitcnt vmcnt(4)
	v_fma_f32 v76, v105, v146, -v76
	v_mul_f32_e32 v168, v107, v128
	v_add_f32_e32 v73, v73, v77
	v_fmac_f32_e32 v167, v106, v146
	v_add_f32_e32 v74, v74, v166
	s_waitcnt lgkmcnt(0)
	v_mul_f32_e32 v77, v110, v129
	s_waitcnt vmcnt(3)
	v_fma_f32 v75, v107, v147, -v75
	v_add_f32_e32 v73, v73, v76
	v_mul_f32_e32 v169, v109, v129
	v_fmac_f32_e32 v168, v108, v147
	v_add_f32_e32 v74, v74, v167
	s_waitcnt vmcnt(2)
	v_fma_f32 v76, v109, v148, -v77
	v_add_f32_e32 v73, v73, v75
	v_fmac_f32_e32 v169, v110, v148
	v_add_f32_e32 v74, v74, v168
	v_add_f32_e32 v73, v73, v76
	;; [unrolled: 1-line block ×3, first 2 shown]
	s_waitcnt vmcnt(1)
	v_sub_f32_e32 v73, v149, v73
	s_waitcnt vmcnt(0)
	v_sub_f32_e32 v74, v150, v74
	buffer_store_dword v73, off, s[0:3], 0 offset:120
	buffer_store_dword v74, off, s[0:3], 0 offset:124
	v_cmpx_lt_u32_e32 14, v0
	s_cbranch_execz .LBB34_195
; %bb.194:
	s_clause 0x1
	buffer_load_dword v73, off, s[0:3], 0 offset:112
	buffer_load_dword v74, off, s[0:3], 0 offset:116
	buffer_store_dword v72, off, s[0:3], 0 offset:112
	buffer_store_dword v72, off, s[0:3], 0 offset:116
	s_waitcnt vmcnt(0)
	ds_write_b64 v71, v[73:74]
.LBB34_195:
	s_or_b32 exec_lo, exec_lo, s4
	s_waitcnt lgkmcnt(0)
	s_waitcnt_vscnt null, 0x0
	s_barrier
	buffer_gl0_inv
	s_clause 0x29
	buffer_load_dword v113, off, s[0:3], 0 offset:124
	buffer_load_dword v114, off, s[0:3], 0 offset:132
	;; [unrolled: 1-line block ×42, first 2 shown]
	ds_read2_b64 v[73:76], v72 offset0:51 offset1:52
	ds_read2_b64 v[77:80], v72 offset0:53 offset1:54
	ds_read2_b64 v[81:84], v72 offset0:55 offset1:56
	ds_read2_b64 v[85:88], v72 offset0:57 offset1:58
	ds_read2_b64 v[89:92], v72 offset0:59 offset1:60
	ds_read2_b64 v[93:96], v72 offset0:61 offset1:62
	ds_read2_b64 v[97:100], v72 offset0:63 offset1:64
	ds_read2_b64 v[101:104], v72 offset0:65 offset1:66
	ds_read2_b64 v[105:108], v72 offset0:67 offset1:68
	ds_read2_b64 v[109:112], v72 offset0:69 offset1:70
	s_mov_b32 s4, exec_lo
	s_waitcnt vmcnt(41) lgkmcnt(9)
	v_mul_f32_e32 v72, v73, v113
	v_mul_f32_e32 v113, v74, v113
	s_waitcnt vmcnt(40)
	v_mul_f32_e32 v155, v75, v114
	v_mul_f32_e32 v114, v76, v114
	s_waitcnt vmcnt(39) lgkmcnt(8)
	v_mul_f32_e32 v156, v77, v115
	s_waitcnt vmcnt(38)
	v_mul_f32_e32 v157, v79, v116
	s_waitcnt vmcnt(37) lgkmcnt(7)
	v_mul_f32_e32 v158, v81, v117
	s_waitcnt vmcnt(36)
	;; [unrolled: 4-line block ×8, first 2 shown]
	v_mul_f32_e32 v171, v107, v130
	s_waitcnt vmcnt(21)
	v_fma_f32 v73, v73, v133, -v113
	v_fmac_f32_e32 v72, v74, v133
	v_mul_f32_e32 v74, v78, v115
	s_waitcnt vmcnt(20)
	v_fma_f32 v75, v75, v134, -v114
	v_fmac_f32_e32 v155, v76, v134
	v_add_f32_e32 v73, 0, v73
	v_add_f32_e32 v72, 0, v72
	v_mul_f32_e32 v76, v80, v116
	s_waitcnt vmcnt(19)
	v_fma_f32 v74, v77, v135, -v74
	v_fmac_f32_e32 v156, v78, v135
	v_add_f32_e32 v73, v73, v75
	v_add_f32_e32 v72, v72, v155
	;; [unrolled: 6-line block ×16, first 2 shown]
	s_waitcnt lgkmcnt(0)
	v_mul_f32_e32 v76, v110, v131
	s_waitcnt vmcnt(4)
	v_fma_f32 v74, v107, v150, -v74
	v_mul_f32_e32 v172, v109, v131
	v_add_f32_e32 v73, v73, v75
	v_fmac_f32_e32 v171, v108, v150
	v_add_f32_e32 v72, v72, v170
	v_mul_f32_e32 v75, v112, v132
	s_waitcnt vmcnt(3)
	v_fma_f32 v76, v109, v151, -v76
	v_add_f32_e32 v73, v73, v74
	v_mul_f32_e32 v173, v111, v132
	v_fmac_f32_e32 v172, v110, v151
	v_add_f32_e32 v72, v72, v171
	s_waitcnt vmcnt(2)
	v_fma_f32 v74, v111, v152, -v75
	v_add_f32_e32 v73, v73, v76
	v_fmac_f32_e32 v173, v112, v152
	v_add_f32_e32 v72, v72, v172
	v_add_f32_e32 v73, v73, v74
	;; [unrolled: 1-line block ×3, first 2 shown]
	s_waitcnt vmcnt(1)
	v_sub_f32_e32 v73, v153, v73
	s_waitcnt vmcnt(0)
	v_sub_f32_e32 v72, v154, v72
	buffer_store_dword v73, off, s[0:3], 0 offset:112
	buffer_store_dword v72, off, s[0:3], 0 offset:116
	v_cmpx_lt_u32_e32 13, v0
	s_cbranch_execz .LBB34_197
; %bb.196:
	s_clause 0x1
	buffer_load_dword v72, off, s[0:3], 0 offset:104
	buffer_load_dword v73, off, s[0:3], 0 offset:108
	v_mov_b32_e32 v74, 0
	buffer_store_dword v74, off, s[0:3], 0 offset:104
	buffer_store_dword v74, off, s[0:3], 0 offset:108
	s_waitcnt vmcnt(0)
	ds_write_b64 v71, v[72:73]
.LBB34_197:
	s_or_b32 exec_lo, exec_lo, s4
	s_waitcnt lgkmcnt(0)
	s_waitcnt_vscnt null, 0x0
	s_barrier
	buffer_gl0_inv
	s_clause 0x2b
	buffer_load_dword v115, off, s[0:3], 0 offset:116
	buffer_load_dword v116, off, s[0:3], 0 offset:124
	;; [unrolled: 1-line block ×44, first 2 shown]
	v_mov_b32_e32 v72, 0
	ds_read_b128 v[73:76], v72 offset:400
	ds_read_b128 v[77:80], v72 offset:416
	;; [unrolled: 1-line block ×10, first 2 shown]
	ds_read_b64 v[113:114], v72 offset:560
	s_mov_b32 s4, exec_lo
	s_waitcnt vmcnt(43) lgkmcnt(10)
	v_mul_f32_e32 v159, v73, v115
	v_mul_f32_e32 v115, v74, v115
	s_waitcnt vmcnt(42)
	v_mul_f32_e32 v160, v75, v116
	v_mul_f32_e32 v116, v76, v116
	s_waitcnt vmcnt(41) lgkmcnt(9)
	v_mul_f32_e32 v161, v77, v117
	s_waitcnt vmcnt(40)
	v_mul_f32_e32 v162, v79, v118
	s_waitcnt vmcnt(39) lgkmcnt(8)
	v_mul_f32_e32 v163, v81, v119
	s_waitcnt vmcnt(38)
	;; [unrolled: 4-line block ×9, first 2 shown]
	v_fma_f32 v73, v73, v136, -v115
	v_fmac_f32_e32 v159, v74, v136
	v_mul_f32_e32 v74, v78, v117
	s_waitcnt vmcnt(21)
	v_fma_f32 v75, v75, v137, -v116
	v_fmac_f32_e32 v160, v76, v137
	v_add_f32_e32 v73, 0, v73
	v_add_f32_e32 v76, 0, v159
	v_mul_f32_e32 v115, v80, v118
	s_waitcnt vmcnt(20)
	v_fma_f32 v74, v77, v138, -v74
	v_fmac_f32_e32 v161, v78, v138
	v_add_f32_e32 v73, v73, v75
	v_add_f32_e32 v75, v76, v160
	;; [unrolled: 6-line block ×17, first 2 shown]
	v_mul_f32_e32 v76, v112, v134
	s_waitcnt vmcnt(4)
	v_fma_f32 v77, v109, v154, -v77
	v_mul_f32_e32 v178, v111, v134
	v_add_f32_e32 v73, v73, v75
	v_fmac_f32_e32 v177, v110, v154
	v_add_f32_e32 v74, v74, v176
	s_waitcnt lgkmcnt(0)
	v_mul_f32_e32 v75, v114, v135
	s_waitcnt vmcnt(3)
	v_fma_f32 v76, v111, v155, -v76
	v_add_f32_e32 v73, v73, v77
	v_mul_f32_e32 v179, v113, v135
	v_fmac_f32_e32 v178, v112, v155
	v_add_f32_e32 v74, v74, v177
	s_waitcnt vmcnt(2)
	v_fma_f32 v75, v113, v156, -v75
	v_add_f32_e32 v73, v73, v76
	v_fmac_f32_e32 v179, v114, v156
	v_add_f32_e32 v74, v74, v178
	v_add_f32_e32 v73, v73, v75
	;; [unrolled: 1-line block ×3, first 2 shown]
	s_waitcnt vmcnt(1)
	v_sub_f32_e32 v73, v157, v73
	s_waitcnt vmcnt(0)
	v_sub_f32_e32 v74, v158, v74
	buffer_store_dword v73, off, s[0:3], 0 offset:104
	buffer_store_dword v74, off, s[0:3], 0 offset:108
	v_cmpx_lt_u32_e32 12, v0
	s_cbranch_execz .LBB34_199
; %bb.198:
	s_clause 0x1
	buffer_load_dword v73, off, s[0:3], 0 offset:96
	buffer_load_dword v74, off, s[0:3], 0 offset:100
	buffer_store_dword v72, off, s[0:3], 0 offset:96
	buffer_store_dword v72, off, s[0:3], 0 offset:100
	s_waitcnt vmcnt(0)
	ds_write_b64 v71, v[73:74]
.LBB34_199:
	s_or_b32 exec_lo, exec_lo, s4
	s_waitcnt lgkmcnt(0)
	s_waitcnt_vscnt null, 0x0
	s_barrier
	buffer_gl0_inv
	s_clause 0x2d
	buffer_load_dword v117, off, s[0:3], 0 offset:108
	buffer_load_dword v118, off, s[0:3], 0 offset:116
	;; [unrolled: 1-line block ×46, first 2 shown]
	ds_read2_b64 v[73:76], v72 offset0:49 offset1:50
	ds_read2_b64 v[77:80], v72 offset0:51 offset1:52
	;; [unrolled: 1-line block ×11, first 2 shown]
	s_mov_b32 s4, exec_lo
	s_waitcnt vmcnt(45) lgkmcnt(10)
	v_mul_f32_e32 v72, v73, v117
	v_mul_f32_e32 v117, v74, v117
	s_waitcnt vmcnt(44)
	v_mul_f32_e32 v163, v75, v118
	v_mul_f32_e32 v118, v76, v118
	s_waitcnt vmcnt(43) lgkmcnt(9)
	v_mul_f32_e32 v164, v77, v119
	s_waitcnt vmcnt(42)
	v_mul_f32_e32 v165, v79, v120
	s_waitcnt vmcnt(41) lgkmcnt(8)
	v_mul_f32_e32 v166, v81, v121
	s_waitcnt vmcnt(40)
	;; [unrolled: 4-line block ×9, first 2 shown]
	v_mul_f32_e32 v181, v111, v136
	s_waitcnt vmcnt(23)
	v_fma_f32 v73, v73, v139, -v117
	v_fmac_f32_e32 v72, v74, v139
	v_mul_f32_e32 v74, v78, v119
	s_waitcnt vmcnt(22)
	v_fma_f32 v75, v75, v140, -v118
	v_fmac_f32_e32 v163, v76, v140
	v_add_f32_e32 v73, 0, v73
	v_add_f32_e32 v72, 0, v72
	v_mul_f32_e32 v76, v80, v120
	s_waitcnt vmcnt(21)
	v_fma_f32 v74, v77, v141, -v74
	v_fmac_f32_e32 v164, v78, v141
	v_add_f32_e32 v73, v73, v75
	v_add_f32_e32 v72, v72, v163
	;; [unrolled: 6-line block ×18, first 2 shown]
	s_waitcnt lgkmcnt(0)
	v_mul_f32_e32 v74, v114, v137
	s_waitcnt vmcnt(4)
	v_fma_f32 v75, v111, v158, -v75
	v_mul_f32_e32 v182, v113, v137
	v_add_f32_e32 v73, v73, v76
	v_fmac_f32_e32 v181, v112, v158
	v_add_f32_e32 v72, v72, v180
	v_mul_f32_e32 v76, v116, v138
	s_waitcnt vmcnt(3)
	v_fma_f32 v74, v113, v159, -v74
	v_add_f32_e32 v73, v73, v75
	v_mul_f32_e32 v183, v115, v138
	v_fmac_f32_e32 v182, v114, v159
	v_add_f32_e32 v72, v72, v181
	s_waitcnt vmcnt(2)
	v_fma_f32 v75, v115, v160, -v76
	v_add_f32_e32 v73, v73, v74
	v_fmac_f32_e32 v183, v116, v160
	v_add_f32_e32 v72, v72, v182
	v_add_f32_e32 v73, v73, v75
	v_add_f32_e32 v72, v72, v183
	s_waitcnt vmcnt(1)
	v_sub_f32_e32 v73, v161, v73
	s_waitcnt vmcnt(0)
	v_sub_f32_e32 v72, v162, v72
	buffer_store_dword v73, off, s[0:3], 0 offset:96
	buffer_store_dword v72, off, s[0:3], 0 offset:100
	v_cmpx_lt_u32_e32 11, v0
	s_cbranch_execz .LBB34_201
; %bb.200:
	s_clause 0x1
	buffer_load_dword v72, off, s[0:3], 0 offset:88
	buffer_load_dword v73, off, s[0:3], 0 offset:92
	v_mov_b32_e32 v74, 0
	buffer_store_dword v74, off, s[0:3], 0 offset:88
	buffer_store_dword v74, off, s[0:3], 0 offset:92
	s_waitcnt vmcnt(0)
	ds_write_b64 v71, v[72:73]
.LBB34_201:
	s_or_b32 exec_lo, exec_lo, s4
	s_waitcnt lgkmcnt(0)
	s_waitcnt_vscnt null, 0x0
	s_barrier
	buffer_gl0_inv
	s_clause 0x2f
	buffer_load_dword v119, off, s[0:3], 0 offset:100
	buffer_load_dword v120, off, s[0:3], 0 offset:108
	;; [unrolled: 1-line block ×48, first 2 shown]
	v_mov_b32_e32 v72, 0
	ds_read_b128 v[73:76], v72 offset:384
	ds_read_b128 v[77:80], v72 offset:400
	;; [unrolled: 1-line block ×11, first 2 shown]
	ds_read_b64 v[117:118], v72 offset:560
	s_mov_b32 s4, exec_lo
	s_waitcnt vmcnt(47) lgkmcnt(11)
	v_mul_f32_e32 v167, v73, v119
	v_mul_f32_e32 v119, v74, v119
	s_waitcnt vmcnt(46)
	v_mul_f32_e32 v168, v75, v120
	v_mul_f32_e32 v120, v76, v120
	s_waitcnt vmcnt(45) lgkmcnt(10)
	v_mul_f32_e32 v169, v77, v121
	s_waitcnt vmcnt(44)
	v_mul_f32_e32 v170, v79, v122
	s_waitcnt vmcnt(43) lgkmcnt(9)
	v_mul_f32_e32 v171, v81, v123
	s_waitcnt vmcnt(42)
	;; [unrolled: 4-line block ×10, first 2 shown]
	v_fma_f32 v73, v73, v142, -v119
	v_fmac_f32_e32 v167, v74, v142
	v_mul_f32_e32 v74, v78, v121
	s_waitcnt vmcnt(23)
	v_fma_f32 v75, v75, v143, -v120
	v_fmac_f32_e32 v168, v76, v143
	v_add_f32_e32 v73, 0, v73
	v_add_f32_e32 v76, 0, v167
	v_mul_f32_e32 v119, v80, v122
	s_waitcnt vmcnt(22)
	v_fma_f32 v74, v77, v144, -v74
	v_fmac_f32_e32 v169, v78, v144
	v_add_f32_e32 v73, v73, v75
	v_add_f32_e32 v75, v76, v168
	;; [unrolled: 6-line block ×19, first 2 shown]
	v_mul_f32_e32 v77, v116, v140
	s_waitcnt vmcnt(4)
	v_fma_f32 v75, v113, v162, -v75
	v_mul_f32_e32 v188, v115, v140
	v_add_f32_e32 v73, v73, v76
	v_fmac_f32_e32 v187, v114, v162
	v_add_f32_e32 v74, v74, v186
	s_waitcnt lgkmcnt(0)
	v_mul_f32_e32 v76, v118, v141
	s_waitcnt vmcnt(3)
	v_fma_f32 v77, v115, v163, -v77
	v_add_f32_e32 v73, v73, v75
	v_mul_f32_e32 v189, v117, v141
	v_fmac_f32_e32 v188, v116, v163
	v_add_f32_e32 v74, v74, v187
	s_waitcnt vmcnt(2)
	v_fma_f32 v75, v117, v164, -v76
	v_add_f32_e32 v73, v73, v77
	v_fmac_f32_e32 v189, v118, v164
	v_add_f32_e32 v74, v74, v188
	v_add_f32_e32 v73, v73, v75
	;; [unrolled: 1-line block ×3, first 2 shown]
	s_waitcnt vmcnt(1)
	v_sub_f32_e32 v73, v165, v73
	s_waitcnt vmcnt(0)
	v_sub_f32_e32 v74, v166, v74
	buffer_store_dword v73, off, s[0:3], 0 offset:88
	buffer_store_dword v74, off, s[0:3], 0 offset:92
	v_cmpx_lt_u32_e32 10, v0
	s_cbranch_execz .LBB34_203
; %bb.202:
	s_clause 0x1
	buffer_load_dword v73, off, s[0:3], 0 offset:80
	buffer_load_dword v74, off, s[0:3], 0 offset:84
	buffer_store_dword v72, off, s[0:3], 0 offset:80
	buffer_store_dword v72, off, s[0:3], 0 offset:84
	s_waitcnt vmcnt(0)
	ds_write_b64 v71, v[73:74]
.LBB34_203:
	s_or_b32 exec_lo, exec_lo, s4
	s_waitcnt lgkmcnt(0)
	s_waitcnt_vscnt null, 0x0
	s_barrier
	buffer_gl0_inv
	s_clause 0x31
	buffer_load_dword v121, off, s[0:3], 0 offset:92
	buffer_load_dword v122, off, s[0:3], 0 offset:100
	;; [unrolled: 1-line block ×50, first 2 shown]
	ds_read2_b64 v[73:76], v72 offset0:47 offset1:48
	ds_read2_b64 v[77:80], v72 offset0:49 offset1:50
	;; [unrolled: 1-line block ×12, first 2 shown]
	s_mov_b32 s4, exec_lo
	s_waitcnt vmcnt(49) lgkmcnt(11)
	v_mul_f32_e32 v72, v73, v121
	v_mul_f32_e32 v121, v74, v121
	s_waitcnt vmcnt(48)
	v_mul_f32_e32 v171, v75, v122
	v_mul_f32_e32 v122, v76, v122
	s_waitcnt vmcnt(47) lgkmcnt(10)
	v_mul_f32_e32 v172, v77, v123
	s_waitcnt vmcnt(46)
	v_mul_f32_e32 v173, v79, v124
	s_waitcnt vmcnt(45) lgkmcnt(9)
	v_mul_f32_e32 v174, v81, v125
	s_waitcnt vmcnt(44)
	;; [unrolled: 4-line block ×10, first 2 shown]
	v_mul_f32_e32 v191, v115, v142
	s_waitcnt vmcnt(25)
	v_fma_f32 v73, v73, v145, -v121
	v_fmac_f32_e32 v72, v74, v145
	v_mul_f32_e32 v74, v78, v123
	s_waitcnt vmcnt(24)
	v_fma_f32 v75, v75, v146, -v122
	v_fmac_f32_e32 v171, v76, v146
	v_add_f32_e32 v73, 0, v73
	v_add_f32_e32 v72, 0, v72
	v_mul_f32_e32 v76, v80, v124
	s_waitcnt vmcnt(23)
	v_fma_f32 v74, v77, v147, -v74
	v_fmac_f32_e32 v172, v78, v147
	v_add_f32_e32 v73, v73, v75
	v_add_f32_e32 v72, v72, v171
	;; [unrolled: 6-line block ×20, first 2 shown]
	s_waitcnt lgkmcnt(0)
	v_mul_f32_e32 v75, v118, v143
	s_waitcnt vmcnt(4)
	v_fma_f32 v76, v115, v166, -v76
	v_mul_f32_e32 v192, v117, v143
	v_add_f32_e32 v73, v73, v74
	v_fmac_f32_e32 v191, v116, v166
	v_add_f32_e32 v72, v72, v190
	v_mul_f32_e32 v74, v120, v144
	s_waitcnt vmcnt(3)
	v_fma_f32 v75, v117, v167, -v75
	v_add_f32_e32 v73, v73, v76
	v_mul_f32_e32 v193, v119, v144
	v_fmac_f32_e32 v192, v118, v167
	v_add_f32_e32 v72, v72, v191
	s_waitcnt vmcnt(2)
	v_fma_f32 v74, v119, v168, -v74
	v_add_f32_e32 v73, v73, v75
	v_fmac_f32_e32 v193, v120, v168
	v_add_f32_e32 v72, v72, v192
	v_add_f32_e32 v73, v73, v74
	;; [unrolled: 1-line block ×3, first 2 shown]
	s_waitcnt vmcnt(1)
	v_sub_f32_e32 v73, v169, v73
	s_waitcnt vmcnt(0)
	v_sub_f32_e32 v72, v170, v72
	buffer_store_dword v73, off, s[0:3], 0 offset:80
	buffer_store_dword v72, off, s[0:3], 0 offset:84
	v_cmpx_lt_u32_e32 9, v0
	s_cbranch_execz .LBB34_205
; %bb.204:
	s_clause 0x1
	buffer_load_dword v72, off, s[0:3], 0 offset:72
	buffer_load_dword v73, off, s[0:3], 0 offset:76
	v_mov_b32_e32 v74, 0
	buffer_store_dword v74, off, s[0:3], 0 offset:72
	buffer_store_dword v74, off, s[0:3], 0 offset:76
	s_waitcnt vmcnt(0)
	ds_write_b64 v71, v[72:73]
.LBB34_205:
	s_or_b32 exec_lo, exec_lo, s4
	s_waitcnt lgkmcnt(0)
	s_waitcnt_vscnt null, 0x0
	s_barrier
	buffer_gl0_inv
	s_clause 0x33
	buffer_load_dword v123, off, s[0:3], 0 offset:84
	buffer_load_dword v124, off, s[0:3], 0 offset:92
	;; [unrolled: 1-line block ×52, first 2 shown]
	v_mov_b32_e32 v72, 0
	ds_read_b128 v[73:76], v72 offset:368
	ds_read_b128 v[77:80], v72 offset:384
	ds_read_b128 v[81:84], v72 offset:400
	ds_read_b128 v[85:88], v72 offset:416
	ds_read_b128 v[89:92], v72 offset:432
	ds_read_b128 v[93:96], v72 offset:448
	ds_read_b128 v[97:100], v72 offset:464
	ds_read_b128 v[101:104], v72 offset:480
	ds_read_b128 v[105:108], v72 offset:496
	ds_read_b128 v[109:112], v72 offset:512
	ds_read_b128 v[113:116], v72 offset:528
	ds_read_b128 v[117:120], v72 offset:544
	ds_read_b64 v[121:122], v72 offset:560
	s_mov_b32 s4, exec_lo
	s_waitcnt vmcnt(51) lgkmcnt(12)
	v_mul_f32_e32 v175, v73, v123
	v_mul_f32_e32 v123, v74, v123
	s_waitcnt vmcnt(50)
	v_mul_f32_e32 v176, v75, v124
	v_mul_f32_e32 v124, v76, v124
	s_waitcnt vmcnt(49) lgkmcnt(11)
	v_mul_f32_e32 v177, v77, v125
	s_waitcnt vmcnt(48)
	v_mul_f32_e32 v178, v79, v126
	s_waitcnt vmcnt(47) lgkmcnt(10)
	v_mul_f32_e32 v179, v81, v127
	s_waitcnt vmcnt(46)
	;; [unrolled: 4-line block ×11, first 2 shown]
	v_fma_f32 v73, v73, v148, -v123
	v_fmac_f32_e32 v175, v74, v148
	v_mul_f32_e32 v74, v78, v125
	s_waitcnt vmcnt(25)
	v_fma_f32 v75, v75, v149, -v124
	v_fmac_f32_e32 v176, v76, v149
	v_add_f32_e32 v73, 0, v73
	v_add_f32_e32 v76, 0, v175
	v_mul_f32_e32 v123, v80, v126
	s_waitcnt vmcnt(24)
	v_fma_f32 v74, v77, v150, -v74
	v_fmac_f32_e32 v177, v78, v150
	v_add_f32_e32 v73, v73, v75
	v_add_f32_e32 v75, v76, v176
	;; [unrolled: 6-line block ×21, first 2 shown]
	v_mul_f32_e32 v75, v120, v146
	s_waitcnt vmcnt(4)
	v_fma_f32 v76, v117, v170, -v76
	v_mul_f32_e32 v198, v119, v146
	v_add_f32_e32 v73, v73, v77
	v_fmac_f32_e32 v197, v118, v170
	v_add_f32_e32 v74, v74, v196
	s_waitcnt lgkmcnt(0)
	v_mul_f32_e32 v77, v122, v147
	s_waitcnt vmcnt(3)
	v_fma_f32 v75, v119, v171, -v75
	v_add_f32_e32 v73, v73, v76
	v_mul_f32_e32 v199, v121, v147
	v_fmac_f32_e32 v198, v120, v171
	v_add_f32_e32 v74, v74, v197
	s_waitcnt vmcnt(2)
	v_fma_f32 v76, v121, v172, -v77
	v_add_f32_e32 v73, v73, v75
	v_fmac_f32_e32 v199, v122, v172
	v_add_f32_e32 v74, v74, v198
	v_add_f32_e32 v73, v73, v76
	v_add_f32_e32 v74, v74, v199
	s_waitcnt vmcnt(1)
	v_sub_f32_e32 v73, v173, v73
	s_waitcnt vmcnt(0)
	v_sub_f32_e32 v74, v174, v74
	buffer_store_dword v73, off, s[0:3], 0 offset:72
	buffer_store_dword v74, off, s[0:3], 0 offset:76
	v_cmpx_lt_u32_e32 8, v0
	s_cbranch_execz .LBB34_207
; %bb.206:
	s_clause 0x1
	buffer_load_dword v73, off, s[0:3], 0 offset:64
	buffer_load_dword v74, off, s[0:3], 0 offset:68
	buffer_store_dword v72, off, s[0:3], 0 offset:64
	buffer_store_dword v72, off, s[0:3], 0 offset:68
	s_waitcnt vmcnt(0)
	ds_write_b64 v71, v[73:74]
.LBB34_207:
	s_or_b32 exec_lo, exec_lo, s4
	s_waitcnt lgkmcnt(0)
	s_waitcnt_vscnt null, 0x0
	s_barrier
	buffer_gl0_inv
	s_clause 0x35
	buffer_load_dword v125, off, s[0:3], 0 offset:76
	buffer_load_dword v126, off, s[0:3], 0 offset:84
	;; [unrolled: 1-line block ×54, first 2 shown]
	ds_read2_b64 v[73:76], v72 offset0:45 offset1:46
	ds_read2_b64 v[77:80], v72 offset0:47 offset1:48
	ds_read2_b64 v[81:84], v72 offset0:49 offset1:50
	ds_read2_b64 v[85:88], v72 offset0:51 offset1:52
	ds_read2_b64 v[89:92], v72 offset0:53 offset1:54
	ds_read2_b64 v[93:96], v72 offset0:55 offset1:56
	ds_read2_b64 v[97:100], v72 offset0:57 offset1:58
	ds_read2_b64 v[101:104], v72 offset0:59 offset1:60
	ds_read2_b64 v[105:108], v72 offset0:61 offset1:62
	ds_read2_b64 v[109:112], v72 offset0:63 offset1:64
	ds_read2_b64 v[113:116], v72 offset0:65 offset1:66
	ds_read2_b64 v[117:120], v72 offset0:67 offset1:68
	ds_read2_b64 v[121:124], v72 offset0:69 offset1:70
	s_mov_b32 s4, exec_lo
	s_waitcnt vmcnt(53) lgkmcnt(12)
	v_mul_f32_e32 v72, v73, v125
	v_mul_f32_e32 v125, v74, v125
	s_waitcnt vmcnt(52)
	v_mul_f32_e32 v179, v75, v126
	v_mul_f32_e32 v126, v76, v126
	s_waitcnt vmcnt(51) lgkmcnt(11)
	v_mul_f32_e32 v180, v77, v127
	s_waitcnt vmcnt(50)
	v_mul_f32_e32 v181, v79, v128
	s_waitcnt vmcnt(49) lgkmcnt(10)
	v_mul_f32_e32 v182, v81, v129
	s_waitcnt vmcnt(48)
	;; [unrolled: 4-line block ×11, first 2 shown]
	v_mul_f32_e32 v201, v119, v148
	s_waitcnt vmcnt(27)
	v_fma_f32 v73, v73, v151, -v125
	v_fmac_f32_e32 v72, v74, v151
	v_mul_f32_e32 v74, v78, v127
	s_waitcnt vmcnt(26)
	v_fma_f32 v75, v75, v152, -v126
	v_fmac_f32_e32 v179, v76, v152
	v_add_f32_e32 v73, 0, v73
	v_add_f32_e32 v72, 0, v72
	v_mul_f32_e32 v76, v80, v128
	s_waitcnt vmcnt(25)
	v_fma_f32 v74, v77, v153, -v74
	v_fmac_f32_e32 v180, v78, v153
	v_add_f32_e32 v73, v73, v75
	v_add_f32_e32 v72, v72, v179
	;; [unrolled: 6-line block ×22, first 2 shown]
	s_waitcnt lgkmcnt(0)
	v_mul_f32_e32 v76, v122, v149
	s_waitcnt vmcnt(4)
	v_fma_f32 v74, v119, v174, -v74
	v_mul_f32_e32 v202, v121, v149
	v_add_f32_e32 v73, v73, v75
	v_fmac_f32_e32 v201, v120, v174
	v_add_f32_e32 v72, v72, v200
	v_mul_f32_e32 v75, v124, v150
	s_waitcnt vmcnt(3)
	v_fma_f32 v76, v121, v175, -v76
	v_add_f32_e32 v73, v73, v74
	v_mul_f32_e32 v203, v123, v150
	v_fmac_f32_e32 v202, v122, v175
	v_add_f32_e32 v72, v72, v201
	s_waitcnt vmcnt(2)
	v_fma_f32 v74, v123, v176, -v75
	v_add_f32_e32 v73, v73, v76
	v_fmac_f32_e32 v203, v124, v176
	v_add_f32_e32 v72, v72, v202
	v_add_f32_e32 v73, v73, v74
	;; [unrolled: 1-line block ×3, first 2 shown]
	s_waitcnt vmcnt(1)
	v_sub_f32_e32 v73, v177, v73
	s_waitcnt vmcnt(0)
	v_sub_f32_e32 v72, v178, v72
	buffer_store_dword v73, off, s[0:3], 0 offset:64
	buffer_store_dword v72, off, s[0:3], 0 offset:68
	v_cmpx_lt_u32_e32 7, v0
	s_cbranch_execz .LBB34_209
; %bb.208:
	s_clause 0x1
	buffer_load_dword v72, off, s[0:3], 0 offset:56
	buffer_load_dword v73, off, s[0:3], 0 offset:60
	v_mov_b32_e32 v74, 0
	buffer_store_dword v74, off, s[0:3], 0 offset:56
	buffer_store_dword v74, off, s[0:3], 0 offset:60
	s_waitcnt vmcnt(0)
	ds_write_b64 v71, v[72:73]
.LBB34_209:
	s_or_b32 exec_lo, exec_lo, s4
	s_waitcnt lgkmcnt(0)
	s_waitcnt_vscnt null, 0x0
	s_barrier
	buffer_gl0_inv
	s_clause 0x37
	buffer_load_dword v127, off, s[0:3], 0 offset:68
	buffer_load_dword v128, off, s[0:3], 0 offset:76
	buffer_load_dword v129, off, s[0:3], 0 offset:84
	buffer_load_dword v130, off, s[0:3], 0 offset:92
	buffer_load_dword v131, off, s[0:3], 0 offset:100
	buffer_load_dword v132, off, s[0:3], 0 offset:108
	buffer_load_dword v133, off, s[0:3], 0 offset:116
	buffer_load_dword v134, off, s[0:3], 0 offset:124
	buffer_load_dword v135, off, s[0:3], 0 offset:132
	buffer_load_dword v136, off, s[0:3], 0 offset:140
	buffer_load_dword v137, off, s[0:3], 0 offset:148
	buffer_load_dword v138, off, s[0:3], 0 offset:156
	buffer_load_dword v139, off, s[0:3], 0 offset:164
	buffer_load_dword v140, off, s[0:3], 0 offset:172
	buffer_load_dword v141, off, s[0:3], 0 offset:180
	buffer_load_dword v142, off, s[0:3], 0 offset:188
	buffer_load_dword v143, off, s[0:3], 0 offset:196
	buffer_load_dword v144, off, s[0:3], 0 offset:204
	buffer_load_dword v145, off, s[0:3], 0 offset:212
	buffer_load_dword v146, off, s[0:3], 0 offset:220
	buffer_load_dword v147, off, s[0:3], 0 offset:228
	buffer_load_dword v148, off, s[0:3], 0 offset:236
	buffer_load_dword v149, off, s[0:3], 0 offset:244
	buffer_load_dword v150, off, s[0:3], 0 offset:252
	buffer_load_dword v151, off, s[0:3], 0 offset:260
	buffer_load_dword v152, off, s[0:3], 0 offset:268
	buffer_load_dword v153, off, s[0:3], 0 offset:276
	buffer_load_dword v154, off, s[0:3], 0 offset:64
	buffer_load_dword v155, off, s[0:3], 0 offset:72
	buffer_load_dword v156, off, s[0:3], 0 offset:80
	buffer_load_dword v157, off, s[0:3], 0 offset:88
	buffer_load_dword v158, off, s[0:3], 0 offset:96
	buffer_load_dword v159, off, s[0:3], 0 offset:104
	buffer_load_dword v160, off, s[0:3], 0 offset:112
	buffer_load_dword v161, off, s[0:3], 0 offset:120
	buffer_load_dword v162, off, s[0:3], 0 offset:128
	buffer_load_dword v163, off, s[0:3], 0 offset:136
	buffer_load_dword v164, off, s[0:3], 0 offset:144
	buffer_load_dword v165, off, s[0:3], 0 offset:152
	buffer_load_dword v166, off, s[0:3], 0 offset:160
	buffer_load_dword v167, off, s[0:3], 0 offset:168
	buffer_load_dword v168, off, s[0:3], 0 offset:176
	buffer_load_dword v169, off, s[0:3], 0 offset:184
	buffer_load_dword v170, off, s[0:3], 0 offset:192
	buffer_load_dword v171, off, s[0:3], 0 offset:200
	buffer_load_dword v172, off, s[0:3], 0 offset:208
	buffer_load_dword v173, off, s[0:3], 0 offset:216
	buffer_load_dword v174, off, s[0:3], 0 offset:224
	buffer_load_dword v175, off, s[0:3], 0 offset:232
	buffer_load_dword v176, off, s[0:3], 0 offset:240
	buffer_load_dword v177, off, s[0:3], 0 offset:248
	buffer_load_dword v178, off, s[0:3], 0 offset:256
	buffer_load_dword v179, off, s[0:3], 0 offset:264
	buffer_load_dword v180, off, s[0:3], 0 offset:272
	buffer_load_dword v181, off, s[0:3], 0 offset:56
	buffer_load_dword v182, off, s[0:3], 0 offset:60
	v_mov_b32_e32 v72, 0
	ds_read_b128 v[73:76], v72 offset:352
	ds_read_b128 v[77:80], v72 offset:368
	;; [unrolled: 1-line block ×13, first 2 shown]
	ds_read_b64 v[125:126], v72 offset:560
	s_mov_b32 s4, exec_lo
	s_waitcnt vmcnt(55) lgkmcnt(13)
	v_mul_f32_e32 v183, v73, v127
	v_mul_f32_e32 v127, v74, v127
	s_waitcnt vmcnt(54)
	v_mul_f32_e32 v184, v75, v128
	v_mul_f32_e32 v128, v76, v128
	s_waitcnt vmcnt(53) lgkmcnt(12)
	v_mul_f32_e32 v185, v77, v129
	s_waitcnt vmcnt(52)
	v_mul_f32_e32 v186, v79, v130
	s_waitcnt vmcnt(51) lgkmcnt(11)
	v_mul_f32_e32 v187, v81, v131
	s_waitcnt vmcnt(50)
	;; [unrolled: 4-line block ×12, first 2 shown]
	v_fma_f32 v73, v73, v154, -v127
	v_fmac_f32_e32 v183, v74, v154
	v_mul_f32_e32 v74, v78, v129
	s_waitcnt vmcnt(27)
	v_fma_f32 v75, v75, v155, -v128
	v_fmac_f32_e32 v184, v76, v155
	v_add_f32_e32 v73, 0, v73
	v_add_f32_e32 v76, 0, v183
	v_mul_f32_e32 v127, v80, v130
	s_waitcnt vmcnt(26)
	v_fma_f32 v74, v77, v156, -v74
	v_fmac_f32_e32 v185, v78, v156
	v_add_f32_e32 v73, v73, v75
	v_add_f32_e32 v75, v76, v184
	;; [unrolled: 6-line block ×23, first 2 shown]
	v_mul_f32_e32 v76, v124, v152
	s_waitcnt vmcnt(4)
	v_fma_f32 v77, v121, v178, -v77
	v_mul_f32_e32 v208, v123, v152
	v_add_f32_e32 v73, v73, v75
	v_fmac_f32_e32 v207, v122, v178
	v_add_f32_e32 v74, v74, v206
	s_waitcnt lgkmcnt(0)
	v_mul_f32_e32 v75, v126, v153
	s_waitcnt vmcnt(3)
	v_fma_f32 v76, v123, v179, -v76
	v_add_f32_e32 v73, v73, v77
	v_mul_f32_e32 v209, v125, v153
	v_fmac_f32_e32 v208, v124, v179
	v_add_f32_e32 v74, v74, v207
	s_waitcnt vmcnt(2)
	v_fma_f32 v75, v125, v180, -v75
	v_add_f32_e32 v73, v73, v76
	v_fmac_f32_e32 v209, v126, v180
	v_add_f32_e32 v74, v74, v208
	v_add_f32_e32 v73, v73, v75
	;; [unrolled: 1-line block ×3, first 2 shown]
	s_waitcnt vmcnt(1)
	v_sub_f32_e32 v73, v181, v73
	s_waitcnt vmcnt(0)
	v_sub_f32_e32 v74, v182, v74
	buffer_store_dword v73, off, s[0:3], 0 offset:56
	buffer_store_dword v74, off, s[0:3], 0 offset:60
	v_cmpx_lt_u32_e32 6, v0
	s_cbranch_execz .LBB34_211
; %bb.210:
	s_clause 0x1
	buffer_load_dword v73, off, s[0:3], 0 offset:48
	buffer_load_dword v74, off, s[0:3], 0 offset:52
	buffer_store_dword v72, off, s[0:3], 0 offset:48
	buffer_store_dword v72, off, s[0:3], 0 offset:52
	s_waitcnt vmcnt(0)
	ds_write_b64 v71, v[73:74]
.LBB34_211:
	s_or_b32 exec_lo, exec_lo, s4
	s_waitcnt lgkmcnt(0)
	s_waitcnt_vscnt null, 0x0
	s_barrier
	buffer_gl0_inv
	s_clause 0x39
	buffer_load_dword v129, off, s[0:3], 0 offset:60
	buffer_load_dword v130, off, s[0:3], 0 offset:68
	;; [unrolled: 1-line block ×58, first 2 shown]
	ds_read2_b64 v[73:76], v72 offset0:43 offset1:44
	ds_read2_b64 v[77:80], v72 offset0:45 offset1:46
	;; [unrolled: 1-line block ×14, first 2 shown]
	s_mov_b32 s4, exec_lo
	s_waitcnt vmcnt(57) lgkmcnt(13)
	v_mul_f32_e32 v72, v73, v129
	v_mul_f32_e32 v129, v74, v129
	s_waitcnt vmcnt(56)
	v_mul_f32_e32 v187, v75, v130
	v_mul_f32_e32 v130, v76, v130
	s_waitcnt vmcnt(55) lgkmcnt(12)
	v_mul_f32_e32 v188, v77, v131
	s_waitcnt vmcnt(54)
	v_mul_f32_e32 v189, v79, v132
	s_waitcnt vmcnt(53) lgkmcnt(11)
	v_mul_f32_e32 v190, v81, v133
	s_waitcnt vmcnt(52)
	;; [unrolled: 4-line block ×12, first 2 shown]
	v_mul_f32_e32 v211, v123, v154
	s_waitcnt vmcnt(29)
	v_fma_f32 v73, v73, v157, -v129
	v_fmac_f32_e32 v72, v74, v157
	v_mul_f32_e32 v74, v78, v131
	s_waitcnt vmcnt(28)
	v_fma_f32 v75, v75, v158, -v130
	v_fmac_f32_e32 v187, v76, v158
	v_add_f32_e32 v73, 0, v73
	v_add_f32_e32 v72, 0, v72
	v_mul_f32_e32 v76, v80, v132
	s_waitcnt vmcnt(27)
	v_fma_f32 v74, v77, v159, -v74
	v_fmac_f32_e32 v188, v78, v159
	v_add_f32_e32 v73, v73, v75
	v_add_f32_e32 v72, v72, v187
	;; [unrolled: 6-line block ×24, first 2 shown]
	s_waitcnt lgkmcnt(0)
	v_mul_f32_e32 v74, v126, v155
	s_waitcnt vmcnt(4)
	v_fma_f32 v75, v123, v182, -v75
	v_mul_f32_e32 v212, v125, v155
	v_add_f32_e32 v73, v73, v76
	v_fmac_f32_e32 v211, v124, v182
	v_add_f32_e32 v72, v72, v210
	v_mul_f32_e32 v76, v128, v156
	s_waitcnt vmcnt(3)
	v_fma_f32 v74, v125, v183, -v74
	v_add_f32_e32 v73, v73, v75
	v_mul_f32_e32 v213, v127, v156
	v_fmac_f32_e32 v212, v126, v183
	v_add_f32_e32 v72, v72, v211
	s_waitcnt vmcnt(2)
	v_fma_f32 v75, v127, v184, -v76
	v_add_f32_e32 v73, v73, v74
	v_fmac_f32_e32 v213, v128, v184
	v_add_f32_e32 v72, v72, v212
	v_add_f32_e32 v73, v73, v75
	;; [unrolled: 1-line block ×3, first 2 shown]
	s_waitcnt vmcnt(1)
	v_sub_f32_e32 v73, v185, v73
	s_waitcnt vmcnt(0)
	v_sub_f32_e32 v72, v186, v72
	buffer_store_dword v73, off, s[0:3], 0 offset:48
	buffer_store_dword v72, off, s[0:3], 0 offset:52
	v_cmpx_lt_u32_e32 5, v0
	s_cbranch_execz .LBB34_213
; %bb.212:
	s_clause 0x1
	buffer_load_dword v72, off, s[0:3], 0 offset:40
	buffer_load_dword v73, off, s[0:3], 0 offset:44
	v_mov_b32_e32 v74, 0
	buffer_store_dword v74, off, s[0:3], 0 offset:40
	buffer_store_dword v74, off, s[0:3], 0 offset:44
	s_waitcnt vmcnt(0)
	ds_write_b64 v71, v[72:73]
.LBB34_213:
	s_or_b32 exec_lo, exec_lo, s4
	s_waitcnt lgkmcnt(0)
	s_waitcnt_vscnt null, 0x0
	s_barrier
	buffer_gl0_inv
	s_clause 0x3b
	buffer_load_dword v131, off, s[0:3], 0 offset:52
	buffer_load_dword v132, off, s[0:3], 0 offset:60
	;; [unrolled: 1-line block ×60, first 2 shown]
	v_mov_b32_e32 v72, 0
	ds_read_b128 v[73:76], v72 offset:336
	ds_read_b128 v[77:80], v72 offset:352
	;; [unrolled: 1-line block ×14, first 2 shown]
	ds_read_b64 v[129:130], v72 offset:560
	s_mov_b32 s4, exec_lo
	s_waitcnt vmcnt(59) lgkmcnt(14)
	v_mul_f32_e32 v191, v73, v131
	v_mul_f32_e32 v131, v74, v131
	s_waitcnt vmcnt(58)
	v_mul_f32_e32 v192, v75, v132
	v_mul_f32_e32 v132, v76, v132
	s_waitcnt vmcnt(57) lgkmcnt(13)
	v_mul_f32_e32 v193, v77, v133
	s_waitcnt vmcnt(56)
	v_mul_f32_e32 v194, v79, v134
	s_waitcnt vmcnt(55) lgkmcnt(12)
	v_mul_f32_e32 v195, v81, v135
	s_waitcnt vmcnt(54)
	;; [unrolled: 4-line block ×13, first 2 shown]
	v_fma_f32 v73, v73, v160, -v131
	v_fmac_f32_e32 v191, v74, v160
	v_mul_f32_e32 v74, v78, v133
	s_waitcnt vmcnt(29)
	v_fma_f32 v75, v75, v161, -v132
	v_fmac_f32_e32 v192, v76, v161
	v_add_f32_e32 v73, 0, v73
	v_add_f32_e32 v76, 0, v191
	v_mul_f32_e32 v131, v80, v134
	s_waitcnt vmcnt(28)
	v_fma_f32 v74, v77, v162, -v74
	v_fmac_f32_e32 v193, v78, v162
	v_add_f32_e32 v73, v73, v75
	v_add_f32_e32 v75, v76, v192
	;; [unrolled: 6-line block ×25, first 2 shown]
	v_mul_f32_e32 v77, v128, v158
	s_waitcnt vmcnt(4)
	v_fma_f32 v75, v125, v186, -v75
	v_mul_f32_e32 v218, v127, v158
	v_add_f32_e32 v73, v73, v76
	v_fmac_f32_e32 v217, v126, v186
	v_add_f32_e32 v74, v74, v216
	s_waitcnt lgkmcnt(0)
	v_mul_f32_e32 v76, v130, v159
	s_waitcnt vmcnt(3)
	v_fma_f32 v77, v127, v187, -v77
	v_add_f32_e32 v73, v73, v75
	v_mul_f32_e32 v219, v129, v159
	v_fmac_f32_e32 v218, v128, v187
	v_add_f32_e32 v74, v74, v217
	s_waitcnt vmcnt(2)
	v_fma_f32 v75, v129, v188, -v76
	v_add_f32_e32 v73, v73, v77
	v_fmac_f32_e32 v219, v130, v188
	v_add_f32_e32 v74, v74, v218
	v_add_f32_e32 v73, v73, v75
	;; [unrolled: 1-line block ×3, first 2 shown]
	s_waitcnt vmcnt(1)
	v_sub_f32_e32 v73, v189, v73
	s_waitcnt vmcnt(0)
	v_sub_f32_e32 v74, v190, v74
	buffer_store_dword v73, off, s[0:3], 0 offset:40
	buffer_store_dword v74, off, s[0:3], 0 offset:44
	v_cmpx_lt_u32_e32 4, v0
	s_cbranch_execz .LBB34_215
; %bb.214:
	s_clause 0x1
	buffer_load_dword v73, off, s[0:3], 0 offset:32
	buffer_load_dword v74, off, s[0:3], 0 offset:36
	buffer_store_dword v72, off, s[0:3], 0 offset:32
	buffer_store_dword v72, off, s[0:3], 0 offset:36
	s_waitcnt vmcnt(0)
	ds_write_b64 v71, v[73:74]
.LBB34_215:
	s_or_b32 exec_lo, exec_lo, s4
	s_waitcnt lgkmcnt(0)
	s_waitcnt_vscnt null, 0x0
	s_barrier
	buffer_gl0_inv
	s_clause 0x3d
	buffer_load_dword v133, off, s[0:3], 0 offset:44
	buffer_load_dword v134, off, s[0:3], 0 offset:52
	;; [unrolled: 1-line block ×62, first 2 shown]
	ds_read2_b64 v[73:76], v72 offset0:41 offset1:42
	ds_read2_b64 v[77:80], v72 offset0:43 offset1:44
	;; [unrolled: 1-line block ×15, first 2 shown]
	s_mov_b32 s4, exec_lo
	s_waitcnt vmcnt(61) lgkmcnt(14)
	v_mul_f32_e32 v72, v73, v133
	v_mul_f32_e32 v133, v74, v133
	s_waitcnt vmcnt(60)
	v_mul_f32_e32 v195, v75, v134
	v_mul_f32_e32 v134, v76, v134
	s_waitcnt vmcnt(59) lgkmcnt(13)
	v_mul_f32_e32 v196, v77, v135
	s_waitcnt vmcnt(58)
	v_mul_f32_e32 v197, v79, v136
	s_waitcnt vmcnt(57) lgkmcnt(12)
	v_mul_f32_e32 v198, v81, v137
	s_waitcnt vmcnt(56)
	;; [unrolled: 4-line block ×13, first 2 shown]
	v_mul_f32_e32 v221, v127, v160
	s_waitcnt vmcnt(31)
	v_fma_f32 v73, v73, v163, -v133
	v_fmac_f32_e32 v72, v74, v163
	v_mul_f32_e32 v74, v78, v135
	s_waitcnt vmcnt(30)
	v_fma_f32 v75, v75, v164, -v134
	v_fmac_f32_e32 v195, v76, v164
	v_add_f32_e32 v73, 0, v73
	v_add_f32_e32 v72, 0, v72
	v_mul_f32_e32 v76, v80, v136
	s_waitcnt vmcnt(29)
	v_fma_f32 v74, v77, v165, -v74
	v_fmac_f32_e32 v196, v78, v165
	v_add_f32_e32 v73, v73, v75
	v_add_f32_e32 v72, v72, v195
	;; [unrolled: 6-line block ×26, first 2 shown]
	s_waitcnt lgkmcnt(0)
	v_mul_f32_e32 v75, v130, v161
	s_waitcnt vmcnt(4)
	v_fma_f32 v76, v127, v190, -v76
	v_mul_f32_e32 v222, v129, v161
	v_add_f32_e32 v73, v73, v74
	v_fmac_f32_e32 v221, v128, v190
	v_add_f32_e32 v72, v72, v220
	v_mul_f32_e32 v74, v132, v162
	s_waitcnt vmcnt(3)
	v_fma_f32 v75, v129, v191, -v75
	v_add_f32_e32 v73, v73, v76
	v_mul_f32_e32 v223, v131, v162
	v_fmac_f32_e32 v222, v130, v191
	v_add_f32_e32 v72, v72, v221
	s_waitcnt vmcnt(2)
	v_fma_f32 v74, v131, v192, -v74
	v_add_f32_e32 v73, v73, v75
	v_fmac_f32_e32 v223, v132, v192
	v_add_f32_e32 v72, v72, v222
	v_add_f32_e32 v73, v73, v74
	;; [unrolled: 1-line block ×3, first 2 shown]
	s_waitcnt vmcnt(1)
	v_sub_f32_e32 v73, v193, v73
	s_waitcnt vmcnt(0)
	v_sub_f32_e32 v72, v194, v72
	buffer_store_dword v73, off, s[0:3], 0 offset:32
	buffer_store_dword v72, off, s[0:3], 0 offset:36
	v_cmpx_lt_u32_e32 3, v0
	s_cbranch_execz .LBB34_217
; %bb.216:
	s_clause 0x1
	buffer_load_dword v72, off, s[0:3], 0 offset:24
	buffer_load_dword v73, off, s[0:3], 0 offset:28
	v_mov_b32_e32 v74, 0
	buffer_store_dword v74, off, s[0:3], 0 offset:24
	buffer_store_dword v74, off, s[0:3], 0 offset:28
	s_waitcnt vmcnt(0)
	ds_write_b64 v71, v[72:73]
.LBB34_217:
	s_or_b32 exec_lo, exec_lo, s4
	s_waitcnt lgkmcnt(0)
	s_waitcnt_vscnt null, 0x0
	s_barrier
	buffer_gl0_inv
	s_clause 0x3e
	buffer_load_dword v135, off, s[0:3], 0 offset:36
	buffer_load_dword v136, off, s[0:3], 0 offset:44
	;; [unrolled: 1-line block ×64, first 2 shown]
	v_mov_b32_e32 v72, 0
	ds_read_b128 v[73:76], v72 offset:320
	ds_read_b128 v[77:80], v72 offset:336
	;; [unrolled: 1-line block ×15, first 2 shown]
	ds_read_b64 v[133:134], v72 offset:560
	s_mov_b32 s4, exec_lo
	s_waitcnt vmcnt(62) lgkmcnt(15)
	v_mul_f32_e32 v199, v73, v135
	v_mul_f32_e32 v135, v74, v135
	;; [unrolled: 1-line block ×4, first 2 shown]
	s_waitcnt vmcnt(61) lgkmcnt(14)
	v_mul_f32_e32 v201, v77, v137
	s_waitcnt vmcnt(60)
	v_mul_f32_e32 v202, v79, v138
	s_waitcnt vmcnt(59) lgkmcnt(13)
	v_mul_f32_e32 v203, v81, v139
	s_waitcnt vmcnt(58)
	v_mul_f32_e32 v204, v83, v140
	;; [unrolled: 4-line block ×13, first 2 shown]
	s_waitcnt vmcnt(35) lgkmcnt(1)
	v_mul_f32_e32 v227, v129, v163
	s_waitcnt vmcnt(32)
	v_fma_f32 v73, v73, v166, -v135
	v_fmac_f32_e32 v199, v74, v166
	v_mul_f32_e32 v74, v78, v137
	s_waitcnt vmcnt(31)
	v_fma_f32 v75, v75, v167, -v136
	v_fmac_f32_e32 v200, v76, v167
	v_add_f32_e32 v73, 0, v73
	v_add_f32_e32 v76, 0, v199
	v_mul_f32_e32 v135, v80, v138
	s_waitcnt vmcnt(30)
	v_fma_f32 v74, v77, v168, -v74
	v_fmac_f32_e32 v201, v78, v168
	v_add_f32_e32 v73, v73, v75
	v_add_f32_e32 v75, v76, v200
	;; [unrolled: 6-line block ×27, first 2 shown]
	v_mul_f32_e32 v75, v132, v164
	s_waitcnt vmcnt(4)
	v_fma_f32 v76, v129, v194, -v76
	v_mul_f32_e32 v228, v131, v164
	v_add_f32_e32 v73, v73, v77
	v_fmac_f32_e32 v227, v130, v194
	v_add_f32_e32 v74, v74, v226
	s_waitcnt lgkmcnt(0)
	v_mul_f32_e32 v77, v134, v165
	s_waitcnt vmcnt(3)
	v_fma_f32 v75, v131, v195, -v75
	v_add_f32_e32 v73, v73, v76
	v_mul_f32_e32 v229, v133, v165
	v_fmac_f32_e32 v228, v132, v195
	v_add_f32_e32 v74, v74, v227
	s_waitcnt vmcnt(2)
	v_fma_f32 v76, v133, v196, -v77
	v_add_f32_e32 v73, v73, v75
	v_fmac_f32_e32 v229, v134, v196
	v_add_f32_e32 v74, v74, v228
	v_add_f32_e32 v73, v73, v76
	;; [unrolled: 1-line block ×3, first 2 shown]
	s_waitcnt vmcnt(1)
	v_sub_f32_e32 v73, v197, v73
	s_waitcnt vmcnt(0)
	v_sub_f32_e32 v74, v198, v74
	buffer_store_dword v73, off, s[0:3], 0 offset:24
	buffer_store_dword v74, off, s[0:3], 0 offset:28
	v_cmpx_lt_u32_e32 2, v0
	s_cbranch_execz .LBB34_219
; %bb.218:
	s_clause 0x1
	buffer_load_dword v73, off, s[0:3], 0 offset:16
	buffer_load_dword v74, off, s[0:3], 0 offset:20
	buffer_store_dword v72, off, s[0:3], 0 offset:16
	buffer_store_dword v72, off, s[0:3], 0 offset:20
	s_waitcnt vmcnt(0)
	ds_write_b64 v71, v[73:74]
.LBB34_219:
	s_or_b32 exec_lo, exec_lo, s4
	s_waitcnt lgkmcnt(0)
	s_waitcnt_vscnt null, 0x0
	s_barrier
	buffer_gl0_inv
	s_clause 0x3e
	buffer_load_dword v137, off, s[0:3], 0 offset:28
	buffer_load_dword v138, off, s[0:3], 0 offset:36
	;; [unrolled: 1-line block ×63, first 2 shown]
	s_clause 0x2
	buffer_load_dword v200, off, s[0:3], 0 offset:272
	buffer_load_dword v201, off, s[0:3], 0 offset:16
	;; [unrolled: 1-line block ×3, first 2 shown]
	ds_read2_b64 v[73:76], v72 offset0:39 offset1:40
	ds_read2_b64 v[77:80], v72 offset0:41 offset1:42
	;; [unrolled: 1-line block ×16, first 2 shown]
	s_mov_b32 s4, exec_lo
	s_waitcnt vmcnt(62) lgkmcnt(15)
	v_mul_f32_e32 v72, v73, v137
	v_mul_f32_e32 v137, v74, v137
	;; [unrolled: 1-line block ×4, first 2 shown]
	s_waitcnt lgkmcnt(14)
	v_mul_f32_e32 v204, v77, v139
	v_mul_f32_e32 v205, v79, v140
	s_waitcnt vmcnt(61) lgkmcnt(13)
	v_mul_f32_e32 v206, v81, v141
	s_waitcnt vmcnt(60)
	v_mul_f32_e32 v207, v83, v142
	s_waitcnt vmcnt(59) lgkmcnt(12)
	v_mul_f32_e32 v208, v85, v143
	s_waitcnt vmcnt(58)
	;; [unrolled: 4-line block ×13, first 2 shown]
	v_mul_f32_e32 v231, v131, v166
	s_waitcnt vmcnt(33)
	v_fma_f32 v73, v73, v169, -v137
	v_fmac_f32_e32 v72, v74, v169
	v_mul_f32_e32 v74, v78, v139
	s_waitcnt vmcnt(32)
	v_fma_f32 v75, v75, v170, -v138
	v_fmac_f32_e32 v203, v76, v170
	v_add_f32_e32 v73, 0, v73
	v_add_f32_e32 v72, 0, v72
	v_mul_f32_e32 v76, v80, v140
	s_waitcnt vmcnt(31)
	v_fma_f32 v74, v77, v171, -v74
	v_fmac_f32_e32 v204, v78, v171
	v_add_f32_e32 v73, v73, v75
	v_add_f32_e32 v72, v72, v203
	;; [unrolled: 6-line block ×28, first 2 shown]
	s_waitcnt lgkmcnt(0)
	v_mul_f32_e32 v76, v134, v167
	s_waitcnt vmcnt(4)
	v_fma_f32 v74, v131, v198, -v74
	v_mul_f32_e32 v232, v133, v167
	v_add_f32_e32 v73, v73, v75
	v_fmac_f32_e32 v231, v132, v198
	v_add_f32_e32 v72, v72, v230
	v_mul_f32_e32 v75, v136, v168
	s_waitcnt vmcnt(3)
	v_fma_f32 v76, v133, v199, -v76
	v_add_f32_e32 v73, v73, v74
	v_mul_f32_e32 v233, v135, v168
	v_fmac_f32_e32 v232, v134, v199
	v_add_f32_e32 v72, v72, v231
	s_waitcnt vmcnt(2)
	v_fma_f32 v74, v135, v200, -v75
	v_add_f32_e32 v73, v73, v76
	v_fmac_f32_e32 v233, v136, v200
	v_add_f32_e32 v72, v72, v232
	v_add_f32_e32 v73, v73, v74
	;; [unrolled: 1-line block ×3, first 2 shown]
	s_waitcnt vmcnt(1)
	v_sub_f32_e32 v73, v201, v73
	s_waitcnt vmcnt(0)
	v_sub_f32_e32 v72, v202, v72
	buffer_store_dword v73, off, s[0:3], 0 offset:16
	buffer_store_dword v72, off, s[0:3], 0 offset:20
	v_cmpx_lt_u32_e32 1, v0
	s_cbranch_execz .LBB34_221
; %bb.220:
	s_clause 0x1
	buffer_load_dword v72, off, s[0:3], 0 offset:8
	buffer_load_dword v73, off, s[0:3], 0 offset:12
	v_mov_b32_e32 v74, 0
	buffer_store_dword v74, off, s[0:3], 0 offset:8
	buffer_store_dword v74, off, s[0:3], 0 offset:12
	s_waitcnt vmcnt(0)
	ds_write_b64 v71, v[72:73]
.LBB34_221:
	s_or_b32 exec_lo, exec_lo, s4
	s_waitcnt lgkmcnt(0)
	s_waitcnt_vscnt null, 0x0
	s_barrier
	buffer_gl0_inv
	s_clause 0x3e
	buffer_load_dword v139, off, s[0:3], 0 offset:20
	buffer_load_dword v140, off, s[0:3], 0 offset:28
	;; [unrolled: 1-line block ×63, first 2 shown]
	s_clause 0x4
	buffer_load_dword v202, off, s[0:3], 0 offset:256
	buffer_load_dword v203, off, s[0:3], 0 offset:264
	;; [unrolled: 1-line block ×5, first 2 shown]
	v_mov_b32_e32 v72, 0
	ds_read_b128 v[73:76], v72 offset:304
	ds_read_b128 v[77:80], v72 offset:320
	;; [unrolled: 1-line block ×16, first 2 shown]
	ds_read_b64 v[137:138], v72 offset:560
	s_mov_b32 s4, exec_lo
	s_waitcnt vmcnt(62) lgkmcnt(16)
	v_mul_f32_e32 v207, v73, v139
	v_mul_f32_e32 v139, v74, v139
	;; [unrolled: 1-line block ×4, first 2 shown]
	s_waitcnt lgkmcnt(15)
	v_mul_f32_e32 v209, v77, v141
	v_mul_f32_e32 v210, v79, v142
	s_waitcnt lgkmcnt(14)
	v_mul_f32_e32 v211, v81, v143
	v_mul_f32_e32 v212, v83, v144
	s_waitcnt vmcnt(61) lgkmcnt(13)
	v_mul_f32_e32 v213, v85, v145
	s_waitcnt vmcnt(60)
	v_mul_f32_e32 v214, v87, v146
	s_waitcnt vmcnt(59) lgkmcnt(12)
	v_mul_f32_e32 v215, v89, v147
	s_waitcnt vmcnt(58)
	;; [unrolled: 4-line block ×13, first 2 shown]
	v_fma_f32 v73, v73, v172, -v139
	v_fmac_f32_e32 v207, v74, v172
	v_mul_f32_e32 v74, v78, v141
	s_waitcnt vmcnt(33)
	v_fma_f32 v75, v75, v173, -v140
	v_fmac_f32_e32 v208, v76, v173
	v_add_f32_e32 v73, 0, v73
	v_add_f32_e32 v76, 0, v207
	v_mul_f32_e32 v139, v80, v142
	s_waitcnt vmcnt(32)
	v_fma_f32 v74, v77, v174, -v74
	v_fmac_f32_e32 v209, v78, v174
	v_add_f32_e32 v73, v73, v75
	v_add_f32_e32 v75, v76, v208
	;; [unrolled: 6-line block ×29, first 2 shown]
	v_mul_f32_e32 v76, v136, v170
	s_waitcnt vmcnt(4)
	v_fma_f32 v77, v133, v202, -v77
	v_mul_f32_e32 v238, v135, v170
	v_add_f32_e32 v73, v73, v75
	v_fmac_f32_e32 v237, v134, v202
	v_add_f32_e32 v74, v74, v236
	s_waitcnt lgkmcnt(0)
	v_mul_f32_e32 v75, v138, v171
	s_waitcnt vmcnt(3)
	v_fma_f32 v76, v135, v203, -v76
	v_add_f32_e32 v73, v73, v77
	v_mul_f32_e32 v239, v137, v171
	v_fmac_f32_e32 v238, v136, v203
	v_add_f32_e32 v74, v74, v237
	s_waitcnt vmcnt(2)
	v_fma_f32 v75, v137, v204, -v75
	v_add_f32_e32 v73, v73, v76
	v_fmac_f32_e32 v239, v138, v204
	v_add_f32_e32 v74, v74, v238
	v_add_f32_e32 v73, v73, v75
	;; [unrolled: 1-line block ×3, first 2 shown]
	s_waitcnt vmcnt(1)
	v_sub_f32_e32 v73, v205, v73
	s_waitcnt vmcnt(0)
	v_sub_f32_e32 v74, v206, v74
	buffer_store_dword v73, off, s[0:3], 0 offset:8
	buffer_store_dword v74, off, s[0:3], 0 offset:12
	v_cmpx_ne_u32_e32 0, v0
	s_cbranch_execz .LBB34_223
; %bb.222:
	s_clause 0x1
	buffer_load_dword v73, off, s[0:3], 0
	buffer_load_dword v74, off, s[0:3], 0 offset:4
	buffer_store_dword v72, off, s[0:3], 0
	buffer_store_dword v72, off, s[0:3], 0 offset:4
	s_waitcnt vmcnt(0)
	ds_write_b64 v71, v[73:74]
.LBB34_223:
	s_or_b32 exec_lo, exec_lo, s4
	s_waitcnt lgkmcnt(0)
	s_waitcnt_vscnt null, 0x0
	s_barrier
	buffer_gl0_inv
	s_clause 0x3e
	buffer_load_dword v0, off, s[0:3], 0 offset:12
	buffer_load_dword v71, off, s[0:3], 0 offset:20
	;; [unrolled: 1-line block ×63, first 2 shown]
	s_clause 0x6
	buffer_load_dword v202, off, s[0:3], 0 offset:240
	buffer_load_dword v203, off, s[0:3], 0 offset:248
	;; [unrolled: 1-line block ×5, first 2 shown]
	buffer_load_dword v207, off, s[0:3], 0
	buffer_load_dword v208, off, s[0:3], 0 offset:4
	ds_read2_b64 v[73:76], v72 offset0:37 offset1:38
	ds_read2_b64 v[77:80], v72 offset0:39 offset1:40
	;; [unrolled: 1-line block ×17, first 2 shown]
	s_and_b32 vcc_lo, exec_lo, s22
	s_waitcnt vmcnt(62) lgkmcnt(16)
	v_mul_f32_e32 v72, v73, v0
	v_mul_f32_e32 v0, v74, v0
	;; [unrolled: 1-line block ×4, first 2 shown]
	s_waitcnt lgkmcnt(15)
	v_mul_f32_e32 v210, v77, v141
	v_mul_f32_e32 v211, v79, v142
	s_waitcnt lgkmcnt(14)
	v_mul_f32_e32 v212, v81, v143
	v_mul_f32_e32 v213, v83, v144
	;; [unrolled: 3-line block ×3, first 2 shown]
	s_waitcnt vmcnt(61) lgkmcnt(12)
	v_mul_f32_e32 v216, v89, v147
	s_waitcnt vmcnt(60)
	v_mul_f32_e32 v217, v91, v148
	s_waitcnt vmcnt(59) lgkmcnt(11)
	v_mul_f32_e32 v218, v93, v149
	s_waitcnt vmcnt(58)
	v_mul_f32_e32 v219, v95, v150
	;; [unrolled: 4-line block ×12, first 2 shown]
	s_waitcnt vmcnt(35)
	v_fma_f32 v0, v73, v173, -v0
	v_fmac_f32_e32 v72, v74, v173
	v_mul_f32_e32 v73, v78, v141
	s_waitcnt vmcnt(34)
	v_fma_f32 v71, v75, v174, -v71
	v_fmac_f32_e32 v209, v76, v174
	v_add_f32_e32 v0, 0, v0
	v_add_f32_e32 v72, 0, v72
	v_mul_f32_e32 v74, v80, v142
	s_waitcnt vmcnt(33)
	v_fma_f32 v73, v77, v175, -v73
	v_fmac_f32_e32 v210, v78, v175
	v_add_f32_e32 v0, v0, v71
	v_add_f32_e32 v71, v72, v209
	v_mul_f32_e32 v72, v82, v143
	s_waitcnt vmcnt(32)
	v_fma_f32 v74, v79, v176, -v74
	v_fmac_f32_e32 v211, v80, v176
	v_add_f32_e32 v0, v0, v73
	v_add_f32_e32 v71, v71, v210
	v_mul_f32_e32 v73, v84, v144
	s_waitcnt vmcnt(31)
	v_fma_f32 v72, v81, v177, -v72
	v_fmac_f32_e32 v212, v82, v177
	v_add_f32_e32 v0, v0, v74
	v_add_f32_e32 v71, v71, v211
	v_mul_f32_e32 v74, v86, v145
	s_waitcnt vmcnt(30)
	v_fma_f32 v73, v83, v178, -v73
	v_fmac_f32_e32 v213, v84, v178
	v_add_f32_e32 v0, v0, v72
	v_add_f32_e32 v71, v71, v212
	v_mul_f32_e32 v72, v88, v146
	s_waitcnt vmcnt(29)
	v_fma_f32 v74, v85, v179, -v74
	v_fmac_f32_e32 v214, v86, v179
	v_add_f32_e32 v0, v0, v73
	v_add_f32_e32 v71, v71, v213
	v_mul_f32_e32 v73, v90, v147
	s_waitcnt vmcnt(28)
	v_fma_f32 v72, v87, v180, -v72
	v_fmac_f32_e32 v215, v88, v180
	v_add_f32_e32 v0, v0, v74
	v_add_f32_e32 v71, v71, v214
	v_mul_f32_e32 v74, v92, v148
	s_waitcnt vmcnt(27)
	v_fma_f32 v73, v89, v181, -v73
	v_fmac_f32_e32 v216, v90, v181
	v_add_f32_e32 v0, v0, v72
	v_add_f32_e32 v71, v71, v215
	v_mul_f32_e32 v72, v94, v149
	s_waitcnt vmcnt(26)
	v_fma_f32 v74, v91, v182, -v74
	v_fmac_f32_e32 v217, v92, v182
	v_add_f32_e32 v0, v0, v73
	v_add_f32_e32 v71, v71, v216
	v_mul_f32_e32 v73, v96, v150
	s_waitcnt vmcnt(25)
	v_fma_f32 v72, v93, v183, -v72
	v_fmac_f32_e32 v218, v94, v183
	v_add_f32_e32 v0, v0, v74
	v_add_f32_e32 v71, v71, v217
	v_mul_f32_e32 v74, v98, v151
	s_waitcnt vmcnt(24)
	v_fma_f32 v73, v95, v184, -v73
	v_fmac_f32_e32 v219, v96, v184
	v_add_f32_e32 v0, v0, v72
	v_add_f32_e32 v71, v71, v218
	v_mul_f32_e32 v72, v100, v152
	s_waitcnt vmcnt(23)
	v_fma_f32 v74, v97, v185, -v74
	v_fmac_f32_e32 v220, v98, v185
	v_add_f32_e32 v0, v0, v73
	v_add_f32_e32 v71, v71, v219
	v_mul_f32_e32 v73, v102, v153
	s_waitcnt vmcnt(22)
	v_fma_f32 v72, v99, v186, -v72
	v_fmac_f32_e32 v221, v100, v186
	v_add_f32_e32 v0, v0, v74
	v_add_f32_e32 v71, v71, v220
	v_mul_f32_e32 v74, v104, v154
	s_waitcnt vmcnt(21)
	v_fma_f32 v73, v101, v187, -v73
	v_fmac_f32_e32 v222, v102, v187
	v_add_f32_e32 v0, v0, v72
	v_add_f32_e32 v71, v71, v221
	v_mul_f32_e32 v72, v106, v155
	s_waitcnt vmcnt(20)
	v_fma_f32 v74, v103, v188, -v74
	v_fmac_f32_e32 v223, v104, v188
	v_add_f32_e32 v0, v0, v73
	v_add_f32_e32 v71, v71, v222
	v_mul_f32_e32 v73, v108, v156
	s_waitcnt vmcnt(19)
	v_fma_f32 v72, v105, v189, -v72
	v_fmac_f32_e32 v224, v106, v189
	v_add_f32_e32 v0, v0, v74
	v_add_f32_e32 v71, v71, v223
	v_mul_f32_e32 v74, v110, v157
	s_waitcnt vmcnt(18)
	v_fma_f32 v73, v107, v190, -v73
	v_fmac_f32_e32 v225, v108, v190
	v_add_f32_e32 v0, v0, v72
	v_add_f32_e32 v71, v71, v224
	v_mul_f32_e32 v72, v112, v158
	s_waitcnt vmcnt(17)
	v_fma_f32 v74, v109, v191, -v74
	v_fmac_f32_e32 v226, v110, v191
	v_add_f32_e32 v0, v0, v73
	v_add_f32_e32 v71, v71, v225
	v_mul_f32_e32 v73, v114, v159
	s_waitcnt vmcnt(16)
	v_fma_f32 v72, v111, v192, -v72
	v_fmac_f32_e32 v227, v112, v192
	v_add_f32_e32 v0, v0, v74
	v_add_f32_e32 v71, v71, v226
	v_mul_f32_e32 v74, v116, v160
	s_waitcnt vmcnt(15)
	v_fma_f32 v73, v113, v193, -v73
	v_fmac_f32_e32 v228, v114, v193
	v_add_f32_e32 v0, v0, v72
	v_add_f32_e32 v71, v71, v227
	v_mul_f32_e32 v72, v118, v161
	s_waitcnt vmcnt(14)
	v_fma_f32 v74, v115, v194, -v74
	v_fmac_f32_e32 v229, v116, v194
	v_add_f32_e32 v0, v0, v73
	v_add_f32_e32 v71, v71, v228
	v_mul_f32_e32 v73, v120, v162
	s_waitcnt vmcnt(13)
	v_fma_f32 v72, v117, v195, -v72
	v_fmac_f32_e32 v230, v118, v195
	v_add_f32_e32 v0, v0, v74
	v_add_f32_e32 v71, v71, v229
	v_mul_f32_e32 v74, v122, v163
	s_waitcnt vmcnt(12)
	v_fma_f32 v73, v119, v196, -v73
	v_fmac_f32_e32 v231, v120, v196
	v_add_f32_e32 v0, v0, v72
	v_add_f32_e32 v71, v71, v230
	v_mul_f32_e32 v72, v124, v164
	s_waitcnt vmcnt(11)
	v_fma_f32 v74, v121, v197, -v74
	v_fmac_f32_e32 v232, v122, v197
	v_add_f32_e32 v0, v0, v73
	v_add_f32_e32 v71, v71, v231
	v_mul_f32_e32 v73, v126, v165
	s_waitcnt vmcnt(10)
	v_fma_f32 v72, v123, v198, -v72
	v_fmac_f32_e32 v233, v124, v198
	v_add_f32_e32 v0, v0, v74
	v_add_f32_e32 v71, v71, v232
	v_mul_f32_e32 v74, v128, v166
	s_waitcnt vmcnt(9)
	v_fma_f32 v73, v125, v199, -v73
	v_fmac_f32_e32 v234, v126, v199
	v_add_f32_e32 v0, v0, v72
	v_add_f32_e32 v71, v71, v233
	v_mul_f32_e32 v72, v130, v167
	s_waitcnt vmcnt(8)
	v_fma_f32 v74, v127, v200, -v74
	v_fmac_f32_e32 v235, v128, v200
	v_add_f32_e32 v0, v0, v73
	v_add_f32_e32 v71, v71, v234
	v_mul_f32_e32 v73, v132, v168
	s_waitcnt vmcnt(7)
	v_fma_f32 v72, v129, v201, -v72
	v_fmac_f32_e32 v236, v130, v201
	v_add_f32_e32 v0, v0, v74
	v_add_f32_e32 v71, v71, v235
	v_mul_f32_e32 v74, v134, v169
	s_waitcnt vmcnt(6)
	v_fma_f32 v73, v131, v202, -v73
	v_fmac_f32_e32 v237, v132, v202
	v_add_f32_e32 v0, v0, v72
	v_add_f32_e32 v71, v71, v236
	v_mul_f32_e32 v72, v136, v170
	s_waitcnt vmcnt(5)
	v_fma_f32 v74, v133, v203, -v74
	v_fmac_f32_e32 v238, v134, v203
	v_add_f32_e32 v0, v0, v73
	v_add_f32_e32 v71, v71, v237
	s_waitcnt lgkmcnt(0)
	v_mul_f32_e32 v73, v138, v171
	s_waitcnt vmcnt(4)
	v_fma_f32 v72, v135, v204, -v72
	v_mul_f32_e32 v240, v137, v171
	v_add_f32_e32 v0, v0, v74
	v_fmac_f32_e32 v239, v136, v204
	v_add_f32_e32 v71, v71, v238
	v_mul_f32_e32 v74, v140, v172
	s_waitcnt vmcnt(3)
	v_fma_f32 v73, v137, v205, -v73
	v_add_f32_e32 v0, v0, v72
	v_mul_f32_e32 v241, v139, v172
	v_fmac_f32_e32 v240, v138, v205
	v_add_f32_e32 v71, v71, v239
	s_waitcnt vmcnt(2)
	v_fma_f32 v72, v139, v206, -v74
	v_add_f32_e32 v0, v0, v73
	v_fmac_f32_e32 v241, v140, v206
	v_add_f32_e32 v71, v71, v240
	v_add_f32_e32 v0, v0, v72
	;; [unrolled: 1-line block ×3, first 2 shown]
	s_waitcnt vmcnt(1)
	v_sub_f32_e32 v0, v207, v0
	s_waitcnt vmcnt(0)
	v_sub_f32_e32 v71, v208, v71
	buffer_store_dword v0, off, s[0:3], 0
	buffer_store_dword v71, off, s[0:3], 0 offset:4
	s_cbranch_vccz .LBB34_292
; %bb.224:
	v_mov_b32_e32 v0, 0
	global_load_dword v71, v0, s[20:21] offset:132
	s_waitcnt vmcnt(0)
	v_add_nc_u32_e32 v71, -1, v71
	v_cmp_ne_u32_e32 vcc_lo, 33, v71
	s_cbranch_vccz .LBB34_226
; %bb.225:
	v_lshlrev_b32_e32 v71, 3, v71
	s_clause 0x3
	buffer_load_dword v72, v71, s[0:3], 0 offen
	buffer_load_dword v73, v71, s[0:3], 0 offen offset:4
	buffer_load_dword v74, off, s[0:3], 0 offset:264
	buffer_load_dword v75, off, s[0:3], 0 offset:268
	s_waitcnt vmcnt(3)
	buffer_store_dword v72, off, s[0:3], 0 offset:264
	s_waitcnt vmcnt(2)
	buffer_store_dword v73, off, s[0:3], 0 offset:268
	s_waitcnt vmcnt(1)
	buffer_store_dword v74, v71, s[0:3], 0 offen
	s_waitcnt vmcnt(0)
	buffer_store_dword v75, v71, s[0:3], 0 offen offset:4
.LBB34_226:
	global_load_dword v0, v0, s[20:21] offset:128
	s_waitcnt vmcnt(0)
	v_add_nc_u32_e32 v0, -1, v0
	v_cmp_eq_u32_e32 vcc_lo, 32, v0
	s_cbranch_vccnz .LBB34_228
; %bb.227:
	v_lshlrev_b32_e32 v0, 3, v0
	s_clause 0x3
	buffer_load_dword v71, v0, s[0:3], 0 offen
	buffer_load_dword v72, v0, s[0:3], 0 offen offset:4
	buffer_load_dword v73, off, s[0:3], 0 offset:260
	buffer_load_dword v74, off, s[0:3], 0 offset:256
	s_waitcnt vmcnt(3)
	buffer_store_dword v71, off, s[0:3], 0 offset:256
	s_waitcnt vmcnt(2)
	buffer_store_dword v72, off, s[0:3], 0 offset:260
	s_waitcnt vmcnt(1)
	buffer_store_dword v73, v0, s[0:3], 0 offen offset:4
	s_waitcnt vmcnt(0)
	buffer_store_dword v74, v0, s[0:3], 0 offen
.LBB34_228:
	v_mov_b32_e32 v0, 0
	global_load_dword v71, v0, s[20:21] offset:124
	s_waitcnt vmcnt(0)
	v_add_nc_u32_e32 v71, -1, v71
	v_cmp_eq_u32_e32 vcc_lo, 31, v71
	s_cbranch_vccnz .LBB34_230
; %bb.229:
	v_lshlrev_b32_e32 v71, 3, v71
	s_clause 0x3
	buffer_load_dword v72, v71, s[0:3], 0 offen
	buffer_load_dword v73, v71, s[0:3], 0 offen offset:4
	buffer_load_dword v74, off, s[0:3], 0 offset:248
	buffer_load_dword v75, off, s[0:3], 0 offset:252
	s_waitcnt vmcnt(3)
	buffer_store_dword v72, off, s[0:3], 0 offset:248
	s_waitcnt vmcnt(2)
	buffer_store_dword v73, off, s[0:3], 0 offset:252
	s_waitcnt vmcnt(1)
	buffer_store_dword v74, v71, s[0:3], 0 offen
	s_waitcnt vmcnt(0)
	buffer_store_dword v75, v71, s[0:3], 0 offen offset:4
.LBB34_230:
	global_load_dword v0, v0, s[20:21] offset:120
	s_waitcnt vmcnt(0)
	v_add_nc_u32_e32 v0, -1, v0
	v_cmp_eq_u32_e32 vcc_lo, 30, v0
	s_cbranch_vccnz .LBB34_232
; %bb.231:
	v_lshlrev_b32_e32 v0, 3, v0
	s_clause 0x3
	buffer_load_dword v71, v0, s[0:3], 0 offen
	buffer_load_dword v72, v0, s[0:3], 0 offen offset:4
	buffer_load_dword v73, off, s[0:3], 0 offset:244
	buffer_load_dword v74, off, s[0:3], 0 offset:240
	s_waitcnt vmcnt(3)
	buffer_store_dword v71, off, s[0:3], 0 offset:240
	s_waitcnt vmcnt(2)
	buffer_store_dword v72, off, s[0:3], 0 offset:244
	s_waitcnt vmcnt(1)
	buffer_store_dword v73, v0, s[0:3], 0 offen offset:4
	s_waitcnt vmcnt(0)
	buffer_store_dword v74, v0, s[0:3], 0 offen
.LBB34_232:
	v_mov_b32_e32 v0, 0
	global_load_dword v71, v0, s[20:21] offset:116
	s_waitcnt vmcnt(0)
	v_add_nc_u32_e32 v71, -1, v71
	v_cmp_eq_u32_e32 vcc_lo, 29, v71
	s_cbranch_vccnz .LBB34_234
; %bb.233:
	v_lshlrev_b32_e32 v71, 3, v71
	s_clause 0x3
	buffer_load_dword v72, v71, s[0:3], 0 offen
	buffer_load_dword v73, v71, s[0:3], 0 offen offset:4
	buffer_load_dword v74, off, s[0:3], 0 offset:232
	buffer_load_dword v75, off, s[0:3], 0 offset:236
	s_waitcnt vmcnt(3)
	buffer_store_dword v72, off, s[0:3], 0 offset:232
	s_waitcnt vmcnt(2)
	buffer_store_dword v73, off, s[0:3], 0 offset:236
	s_waitcnt vmcnt(1)
	buffer_store_dword v74, v71, s[0:3], 0 offen
	s_waitcnt vmcnt(0)
	buffer_store_dword v75, v71, s[0:3], 0 offen offset:4
.LBB34_234:
	;; [unrolled: 43-line block ×16, first 2 shown]
	global_load_dword v0, v0, s[20:21]
	s_waitcnt vmcnt(0)
	v_add_nc_u32_e32 v0, -1, v0
	v_cmp_eq_u32_e32 vcc_lo, 0, v0
	s_cbranch_vccnz .LBB34_292
; %bb.291:
	v_lshlrev_b32_e32 v0, 3, v0
	s_clause 0x3
	buffer_load_dword v71, v0, s[0:3], 0 offen
	buffer_load_dword v72, v0, s[0:3], 0 offen offset:4
	buffer_load_dword v73, off, s[0:3], 0 offset:4
	buffer_load_dword v74, off, s[0:3], 0
	s_waitcnt vmcnt(3)
	buffer_store_dword v71, off, s[0:3], 0
	s_waitcnt vmcnt(2)
	buffer_store_dword v72, off, s[0:3], 0 offset:4
	s_waitcnt vmcnt(1)
	buffer_store_dword v73, v0, s[0:3], 0 offen offset:4
	s_waitcnt vmcnt(0)
	buffer_store_dword v74, v0, s[0:3], 0 offen
.LBB34_292:
	s_clause 0x3e
	buffer_load_dword v71, off, s[0:3], 0
	buffer_load_dword v72, off, s[0:3], 0 offset:4
	buffer_load_dword v73, off, s[0:3], 0 offset:8
	;; [unrolled: 1-line block ×62, first 2 shown]
	s_clause 0x6
	buffer_load_dword v134, off, s[0:3], 0 offset:252
	buffer_load_dword v135, off, s[0:3], 0 offset:256
	;; [unrolled: 1-line block ×7, first 2 shown]
	s_waitcnt vmcnt(62)
	global_store_dwordx2 v[59:60], v[71:72], off
	global_store_dwordx2 v[61:62], v[73:74], off
	;; [unrolled: 1-line block ×4, first 2 shown]
	s_waitcnt vmcnt(60)
	global_store_dwordx2 v[5:6], v[79:80], off
	s_waitcnt vmcnt(58)
	global_store_dwordx2 v[7:8], v[81:82], off
	;; [unrolled: 2-line block ×5, first 2 shown]
	global_store_dwordx2 v[15:16], v[89:90], off
	global_store_dwordx2 v[17:18], v[91:92], off
	;; [unrolled: 1-line block ×3, first 2 shown]
	s_waitcnt vmcnt(44)
	global_store_dwordx2 v[21:22], v[95:96], off
	s_waitcnt vmcnt(42)
	global_store_dwordx2 v[23:24], v[97:98], off
	;; [unrolled: 2-line block ×23, first 2 shown]
	s_endpgm
	.section	.rodata,"a",@progbits
	.p2align	6, 0x0
	.amdhsa_kernel _ZN9rocsolver6v33100L18getri_kernel_smallILi35E19rocblas_complex_numIfEPS3_EEvT1_iilPiilS6_bb
		.amdhsa_group_segment_fixed_size 568
		.amdhsa_private_segment_fixed_size 288
		.amdhsa_kernarg_size 60
		.amdhsa_user_sgpr_count 6
		.amdhsa_user_sgpr_private_segment_buffer 1
		.amdhsa_user_sgpr_dispatch_ptr 0
		.amdhsa_user_sgpr_queue_ptr 0
		.amdhsa_user_sgpr_kernarg_segment_ptr 1
		.amdhsa_user_sgpr_dispatch_id 0
		.amdhsa_user_sgpr_flat_scratch_init 0
		.amdhsa_user_sgpr_private_segment_size 0
		.amdhsa_wavefront_size32 1
		.amdhsa_uses_dynamic_stack 0
		.amdhsa_system_sgpr_private_segment_wavefront_offset 1
		.amdhsa_system_sgpr_workgroup_id_x 1
		.amdhsa_system_sgpr_workgroup_id_y 0
		.amdhsa_system_sgpr_workgroup_id_z 0
		.amdhsa_system_sgpr_workgroup_info 0
		.amdhsa_system_vgpr_workitem_id 0
		.amdhsa_next_free_vgpr 242
		.amdhsa_next_free_sgpr 23
		.amdhsa_reserve_vcc 1
		.amdhsa_reserve_flat_scratch 0
		.amdhsa_float_round_mode_32 0
		.amdhsa_float_round_mode_16_64 0
		.amdhsa_float_denorm_mode_32 3
		.amdhsa_float_denorm_mode_16_64 3
		.amdhsa_dx10_clamp 1
		.amdhsa_ieee_mode 1
		.amdhsa_fp16_overflow 0
		.amdhsa_workgroup_processor_mode 1
		.amdhsa_memory_ordered 1
		.amdhsa_forward_progress 1
		.amdhsa_shared_vgpr_count 0
		.amdhsa_exception_fp_ieee_invalid_op 0
		.amdhsa_exception_fp_denorm_src 0
		.amdhsa_exception_fp_ieee_div_zero 0
		.amdhsa_exception_fp_ieee_overflow 0
		.amdhsa_exception_fp_ieee_underflow 0
		.amdhsa_exception_fp_ieee_inexact 0
		.amdhsa_exception_int_div_zero 0
	.end_amdhsa_kernel
	.section	.text._ZN9rocsolver6v33100L18getri_kernel_smallILi35E19rocblas_complex_numIfEPS3_EEvT1_iilPiilS6_bb,"axG",@progbits,_ZN9rocsolver6v33100L18getri_kernel_smallILi35E19rocblas_complex_numIfEPS3_EEvT1_iilPiilS6_bb,comdat
.Lfunc_end34:
	.size	_ZN9rocsolver6v33100L18getri_kernel_smallILi35E19rocblas_complex_numIfEPS3_EEvT1_iilPiilS6_bb, .Lfunc_end34-_ZN9rocsolver6v33100L18getri_kernel_smallILi35E19rocblas_complex_numIfEPS3_EEvT1_iilPiilS6_bb
                                        ; -- End function
	.set _ZN9rocsolver6v33100L18getri_kernel_smallILi35E19rocblas_complex_numIfEPS3_EEvT1_iilPiilS6_bb.num_vgpr, 242
	.set _ZN9rocsolver6v33100L18getri_kernel_smallILi35E19rocblas_complex_numIfEPS3_EEvT1_iilPiilS6_bb.num_agpr, 0
	.set _ZN9rocsolver6v33100L18getri_kernel_smallILi35E19rocblas_complex_numIfEPS3_EEvT1_iilPiilS6_bb.numbered_sgpr, 23
	.set _ZN9rocsolver6v33100L18getri_kernel_smallILi35E19rocblas_complex_numIfEPS3_EEvT1_iilPiilS6_bb.num_named_barrier, 0
	.set _ZN9rocsolver6v33100L18getri_kernel_smallILi35E19rocblas_complex_numIfEPS3_EEvT1_iilPiilS6_bb.private_seg_size, 288
	.set _ZN9rocsolver6v33100L18getri_kernel_smallILi35E19rocblas_complex_numIfEPS3_EEvT1_iilPiilS6_bb.uses_vcc, 1
	.set _ZN9rocsolver6v33100L18getri_kernel_smallILi35E19rocblas_complex_numIfEPS3_EEvT1_iilPiilS6_bb.uses_flat_scratch, 0
	.set _ZN9rocsolver6v33100L18getri_kernel_smallILi35E19rocblas_complex_numIfEPS3_EEvT1_iilPiilS6_bb.has_dyn_sized_stack, 0
	.set _ZN9rocsolver6v33100L18getri_kernel_smallILi35E19rocblas_complex_numIfEPS3_EEvT1_iilPiilS6_bb.has_recursion, 0
	.set _ZN9rocsolver6v33100L18getri_kernel_smallILi35E19rocblas_complex_numIfEPS3_EEvT1_iilPiilS6_bb.has_indirect_call, 0
	.section	.AMDGPU.csdata,"",@progbits
; Kernel info:
; codeLenInByte = 54664
; TotalNumSgprs: 25
; NumVgprs: 242
; ScratchSize: 288
; MemoryBound: 0
; FloatMode: 240
; IeeeMode: 1
; LDSByteSize: 568 bytes/workgroup (compile time only)
; SGPRBlocks: 0
; VGPRBlocks: 30
; NumSGPRsForWavesPerEU: 25
; NumVGPRsForWavesPerEU: 242
; Occupancy: 4
; WaveLimiterHint : 1
; COMPUTE_PGM_RSRC2:SCRATCH_EN: 1
; COMPUTE_PGM_RSRC2:USER_SGPR: 6
; COMPUTE_PGM_RSRC2:TRAP_HANDLER: 0
; COMPUTE_PGM_RSRC2:TGID_X_EN: 1
; COMPUTE_PGM_RSRC2:TGID_Y_EN: 0
; COMPUTE_PGM_RSRC2:TGID_Z_EN: 0
; COMPUTE_PGM_RSRC2:TIDIG_COMP_CNT: 0
	.section	.text._ZN9rocsolver6v33100L18getri_kernel_smallILi36E19rocblas_complex_numIfEPS3_EEvT1_iilPiilS6_bb,"axG",@progbits,_ZN9rocsolver6v33100L18getri_kernel_smallILi36E19rocblas_complex_numIfEPS3_EEvT1_iilPiilS6_bb,comdat
	.globl	_ZN9rocsolver6v33100L18getri_kernel_smallILi36E19rocblas_complex_numIfEPS3_EEvT1_iilPiilS6_bb ; -- Begin function _ZN9rocsolver6v33100L18getri_kernel_smallILi36E19rocblas_complex_numIfEPS3_EEvT1_iilPiilS6_bb
	.p2align	8
	.type	_ZN9rocsolver6v33100L18getri_kernel_smallILi36E19rocblas_complex_numIfEPS3_EEvT1_iilPiilS6_bb,@function
_ZN9rocsolver6v33100L18getri_kernel_smallILi36E19rocblas_complex_numIfEPS3_EEvT1_iilPiilS6_bb: ; @_ZN9rocsolver6v33100L18getri_kernel_smallILi36E19rocblas_complex_numIfEPS3_EEvT1_iilPiilS6_bb
; %bb.0:
	s_add_u32 s0, s0, s7
	s_addc_u32 s1, s1, 0
	s_mov_b32 s7, exec_lo
	v_cmpx_gt_u32_e32 36, v0
	s_cbranch_execz .LBB35_158
; %bb.1:
	s_clause 0x2
	s_load_dword s7, s[4:5], 0x38
	s_load_dwordx4 s[16:19], s[4:5], 0x10
	s_load_dwordx4 s[8:11], s[4:5], 0x28
                                        ; implicit-def: $sgpr20_sgpr21
	s_waitcnt lgkmcnt(0)
	s_bitcmp1_b32 s7, 8
	s_cselect_b32 s22, -1, 0
	s_bfe_u32 s12, s7, 0x10008
	s_ashr_i32 s7, s6, 31
	s_cmp_eq_u32 s12, 0
	s_cbranch_scc1 .LBB35_3
; %bb.2:
	s_load_dword s12, s[4:5], 0x20
	s_mul_i32 s13, s8, s7
	s_mul_hi_u32 s14, s8, s6
	s_mul_i32 s9, s9, s6
	s_add_i32 s13, s14, s13
	s_mul_i32 s8, s8, s6
	s_add_i32 s9, s13, s9
	s_lshl_b64 s[8:9], s[8:9], 2
	s_waitcnt lgkmcnt(0)
	s_ashr_i32 s13, s12, 31
	s_add_u32 s14, s18, s8
	s_addc_u32 s15, s19, s9
	s_lshl_b64 s[8:9], s[12:13], 2
	s_add_u32 s20, s14, s8
	s_addc_u32 s21, s15, s9
.LBB35_3:
	s_clause 0x1
	s_load_dwordx4 s[12:15], s[4:5], 0x0
	s_load_dword s8, s[4:5], 0x38
	s_mul_i32 s4, s16, s7
	s_mul_hi_u32 s5, s16, s6
	s_mul_i32 s9, s17, s6
	s_add_i32 s5, s5, s4
	s_mul_i32 s4, s16, s6
	s_add_i32 s5, s5, s9
	v_lshlrev_b32_e32 v75, 3, v0
	s_lshl_b64 s[4:5], s[4:5], 3
	s_waitcnt lgkmcnt(0)
	v_add3_u32 v1, s15, s15, v0
	s_ashr_i32 s17, s14, 31
	s_mov_b32 s16, s14
	s_add_u32 s9, s12, s4
	s_addc_u32 s12, s13, s5
	v_add_nc_u32_e32 v3, s15, v1
	v_ashrrev_i32_e32 v2, 31, v1
	s_lshl_b64 s[4:5], s[16:17], 3
	s_add_u32 s4, s9, s4
	v_add_nc_u32_e32 v5, s15, v3
	v_ashrrev_i32_e32 v4, 31, v3
	v_lshlrev_b64 v[1:2], 3, v[1:2]
	s_addc_u32 s5, s12, s5
	v_add_co_u32 v61, s9, s4, v75
	v_add_nc_u32_e32 v7, s15, v5
	v_ashrrev_i32_e32 v6, 31, v5
	v_lshlrev_b64 v[3:4], 3, v[3:4]
	v_add_co_u32 v1, vcc_lo, s4, v1
	v_add_nc_u32_e32 v9, s15, v7
	v_ashrrev_i32_e32 v8, 31, v7
	v_lshlrev_b64 v[5:6], 3, v[5:6]
	v_add_co_ci_u32_e64 v2, null, s5, v2, vcc_lo
	v_add_nc_u32_e32 v11, s15, v9
	v_ashrrev_i32_e32 v10, 31, v9
	v_lshlrev_b64 v[7:8], 3, v[7:8]
	v_add_co_u32 v3, vcc_lo, s4, v3
	v_add_nc_u32_e32 v13, s15, v11
	v_ashrrev_i32_e32 v12, 31, v11
	v_lshlrev_b64 v[9:10], 3, v[9:10]
	v_add_co_ci_u32_e64 v4, null, s5, v4, vcc_lo
	v_add_nc_u32_e32 v15, s15, v13
	v_ashrrev_i32_e32 v14, 31, v13
	v_add_co_u32 v5, vcc_lo, s4, v5
	v_lshlrev_b64 v[11:12], 3, v[11:12]
	v_add_nc_u32_e32 v17, s15, v15
	v_ashrrev_i32_e32 v16, 31, v15
	v_add_co_ci_u32_e64 v6, null, s5, v6, vcc_lo
	v_add_co_u32 v7, vcc_lo, s4, v7
	v_add_nc_u32_e32 v19, s15, v17
	v_ashrrev_i32_e32 v18, 31, v17
	v_lshlrev_b64 v[13:14], 3, v[13:14]
	v_add_co_ci_u32_e64 v8, null, s5, v8, vcc_lo
	v_add_nc_u32_e32 v21, s15, v19
	v_ashrrev_i32_e32 v20, 31, v19
	v_add_co_u32 v9, vcc_lo, s4, v9
	v_lshlrev_b64 v[15:16], 3, v[15:16]
	v_add_nc_u32_e32 v23, s15, v21
	v_ashrrev_i32_e32 v22, 31, v21
	v_add_co_ci_u32_e64 v10, null, s5, v10, vcc_lo
	v_add_co_u32 v11, vcc_lo, s4, v11
	v_add_nc_u32_e32 v25, s15, v23
	v_lshlrev_b64 v[17:18], 3, v[17:18]
	v_ashrrev_i32_e32 v24, 31, v23
	v_add_co_ci_u32_e64 v12, null, s5, v12, vcc_lo
	v_add_nc_u32_e32 v27, s15, v25
	v_add_co_u32 v13, vcc_lo, s4, v13
	v_lshlrev_b64 v[19:20], 3, v[19:20]
	v_ashrrev_i32_e32 v26, 31, v25
	v_add_nc_u32_e32 v29, s15, v27
	v_add_co_ci_u32_e64 v14, null, s5, v14, vcc_lo
	v_add_co_u32 v15, vcc_lo, s4, v15
	v_add_nc_u32_e32 v31, s15, v29
	v_lshlrev_b64 v[21:22], 3, v[21:22]
	v_ashrrev_i32_e32 v28, 31, v27
	v_add_co_ci_u32_e64 v16, null, s5, v16, vcc_lo
	v_add_nc_u32_e32 v33, s15, v31
	v_add_co_u32 v17, vcc_lo, s4, v17
	v_lshlrev_b64 v[23:24], 3, v[23:24]
	v_ashrrev_i32_e32 v30, 31, v29
	v_add_nc_u32_e32 v35, s15, v33
	;; [unrolled: 11-line block ×5, first 2 shown]
	v_add_co_ci_u32_e64 v30, null, s5, v30, vcc_lo
	v_add_co_u32 v31, vcc_lo, s4, v31
	v_add_nc_u32_e32 v55, s15, v53
	v_lshlrev_b64 v[37:38], 3, v[37:38]
	v_ashrrev_i32_e32 v44, 31, v43
	v_add_co_ci_u32_e64 v32, null, s5, v32, vcc_lo
	v_add_nc_u32_e32 v58, s15, v55
	v_add_co_u32 v33, vcc_lo, s4, v33
	v_lshlrev_b64 v[39:40], 3, v[39:40]
	v_ashrrev_i32_e32 v46, 31, v45
	v_add_co_ci_u32_e64 v34, null, s5, v34, vcc_lo
	v_add_co_u32 v35, vcc_lo, s4, v35
	v_lshlrev_b64 v[41:42], 3, v[41:42]
	v_ashrrev_i32_e32 v48, 31, v47
	v_add_co_ci_u32_e64 v36, null, s5, v36, vcc_lo
	v_add_co_u32 v37, vcc_lo, s4, v37
	v_lshlrev_b64 v[43:44], 3, v[43:44]
	v_add_nc_u32_e32 v65, s15, v58
	v_ashrrev_i32_e32 v50, 31, v49
	v_add_co_ci_u32_e64 v38, null, s5, v38, vcc_lo
	v_add_co_u32 v39, vcc_lo, s4, v39
	v_lshlrev_b64 v[45:46], 3, v[45:46]
	v_ashrrev_i32_e32 v52, 31, v51
	v_add_co_ci_u32_e64 v40, null, s5, v40, vcc_lo
	v_add_co_u32 v41, vcc_lo, s4, v41
	v_lshlrev_b64 v[47:48], 3, v[47:48]
	v_ashrrev_i32_e32 v54, 31, v53
	v_add_nc_u32_e32 v67, s15, v65
	v_add_co_ci_u32_e64 v42, null, s5, v42, vcc_lo
	v_add_co_u32 v43, vcc_lo, s4, v43
	v_lshlrev_b64 v[49:50], 3, v[49:50]
	v_ashrrev_i32_e32 v56, 31, v55
	v_add_co_ci_u32_e64 v44, null, s5, v44, vcc_lo
	v_add_co_u32 v45, vcc_lo, s4, v45
	v_lshlrev_b64 v[51:52], 3, v[51:52]
	v_add_co_ci_u32_e64 v46, null, s5, v46, vcc_lo
	v_add_co_u32 v47, vcc_lo, s4, v47
	v_lshlrev_b64 v[53:54], 3, v[53:54]
	v_add_nc_u32_e32 v69, s15, v67
	v_add_co_ci_u32_e64 v48, null, s5, v48, vcc_lo
	v_add_co_u32 v49, vcc_lo, s4, v49
	v_lshlrev_b64 v[56:57], 3, v[55:56]
	v_add_co_ci_u32_e64 v50, null, s5, v50, vcc_lo
	v_add_co_u32 v51, vcc_lo, s4, v51
	v_ashrrev_i32_e32 v59, 31, v58
	v_add_nc_u32_e32 v71, s15, v69
	v_add_co_ci_u32_e64 v52, null, s5, v52, vcc_lo
	v_add_co_u32 v53, vcc_lo, s4, v53
	v_ashrrev_i32_e32 v66, 31, v65
	v_add_co_ci_u32_e64 v54, null, s5, v54, vcc_lo
	v_add_co_u32 v55, vcc_lo, s4, v56
	v_ashrrev_i32_e32 v68, 31, v67
	v_add_co_ci_u32_e64 v56, null, s5, v57, vcc_lo
	v_lshlrev_b64 v[57:58], 3, v[58:59]
	s_mov_b32 s12, s15
	s_ashr_i32 s13, s15, 31
	v_add_nc_u32_e32 v110, s15, v71
	v_add_co_ci_u32_e64 v62, null, s5, 0, s9
	v_ashrrev_i32_e32 v70, 31, v69
	s_lshl_b64 s[12:13], s[12:13], 3
	v_lshlrev_b64 v[59:60], 3, v[65:66]
	v_ashrrev_i32_e32 v72, 31, v71
	v_add_co_u32 v63, vcc_lo, v61, s12
	v_lshlrev_b64 v[65:66], 3, v[67:68]
	v_ashrrev_i32_e32 v111, 31, v110
	v_add_co_ci_u32_e64 v64, null, s13, v62, vcc_lo
	v_add_co_u32 v57, vcc_lo, s4, v57
	v_lshlrev_b64 v[67:68], 3, v[69:70]
	v_add_co_ci_u32_e64 v58, null, s5, v58, vcc_lo
	v_add_co_u32 v59, vcc_lo, s4, v59
	v_lshlrev_b64 v[69:70], 3, v[71:72]
	v_add_co_ci_u32_e64 v60, null, s5, v60, vcc_lo
	v_add_co_u32 v65, vcc_lo, s4, v65
	v_lshlrev_b64 v[71:72], 3, v[110:111]
	v_add_co_ci_u32_e64 v66, null, s5, v66, vcc_lo
	v_add_co_u32 v67, vcc_lo, s4, v67
	v_add_co_ci_u32_e64 v68, null, s5, v68, vcc_lo
	v_add_co_u32 v69, vcc_lo, s4, v69
	;; [unrolled: 2-line block ×3, first 2 shown]
	v_add_co_ci_u32_e64 v72, null, s5, v72, vcc_lo
	s_clause 0x23
	global_load_dwordx2 v[73:74], v75, s[4:5]
	global_load_dwordx2 v[76:77], v[63:64], off
	global_load_dwordx2 v[78:79], v[1:2], off
	;; [unrolled: 1-line block ×35, first 2 shown]
	s_mov_b32 s5, -1
	s_bitcmp0_b32 s8, 0
	s_waitcnt vmcnt(35)
	buffer_store_dword v74, off, s[0:3], 0 offset:4
	buffer_store_dword v73, off, s[0:3], 0
	s_waitcnt vmcnt(34)
	buffer_store_dword v77, off, s[0:3], 0 offset:12
	buffer_store_dword v76, off, s[0:3], 0 offset:8
	s_waitcnt vmcnt(33)
	buffer_store_dword v79, off, s[0:3], 0 offset:20
	buffer_store_dword v78, off, s[0:3], 0 offset:16
	;; [unrolled: 3-line block ×35, first 2 shown]
	s_cbranch_scc1 .LBB35_156
; %bb.4:
	v_cmp_eq_u32_e64 s4, 0, v0
	s_and_saveexec_b32 s5, s4
; %bb.5:
	v_mov_b32_e32 v73, 0
	ds_write_b32 v73, v73 offset:576
; %bb.6:
	s_or_b32 exec_lo, exec_lo, s5
	v_lshl_add_u32 v77, v0, 3, 0
	s_waitcnt lgkmcnt(0)
	s_waitcnt_vscnt null, 0x0
	s_barrier
	buffer_gl0_inv
	s_clause 0x1
	buffer_load_dword v73, v77, s[0:3], 0 offen
	buffer_load_dword v74, v77, s[0:3], 0 offen offset:4
	s_waitcnt vmcnt(1)
	v_cmp_eq_f32_e32 vcc_lo, 0, v73
	s_waitcnt vmcnt(0)
	v_cmp_eq_f32_e64 s5, 0, v74
	s_and_b32 s5, vcc_lo, s5
	s_and_saveexec_b32 s8, s5
	s_cbranch_execz .LBB35_10
; %bb.7:
	v_mov_b32_e32 v73, 0
	s_mov_b32 s9, 0
	ds_read_b32 v74, v73 offset:576
	s_waitcnt lgkmcnt(0)
	v_readfirstlane_b32 s5, v74
	v_add_nc_u32_e32 v74, 1, v0
	s_cmp_eq_u32 s5, 0
	v_cmp_gt_i32_e32 vcc_lo, s5, v74
	s_cselect_b32 s12, -1, 0
	s_or_b32 s12, s12, vcc_lo
	s_and_b32 exec_lo, exec_lo, s12
	s_cbranch_execz .LBB35_10
; %bb.8:
	v_mov_b32_e32 v76, s5
.LBB35_9:                               ; =>This Inner Loop Header: Depth=1
	ds_cmpst_rtn_b32 v76, v73, v76, v74 offset:576
	s_waitcnt lgkmcnt(0)
	v_cmp_ne_u32_e32 vcc_lo, 0, v76
	v_cmp_le_i32_e64 s5, v76, v74
	s_and_b32 s5, vcc_lo, s5
	s_and_b32 s5, exec_lo, s5
	s_or_b32 s9, s5, s9
	s_andn2_b32 exec_lo, exec_lo, s9
	s_cbranch_execnz .LBB35_9
.LBB35_10:
	s_or_b32 exec_lo, exec_lo, s8
	v_mov_b32_e32 v73, 0
	s_barrier
	buffer_gl0_inv
	ds_read_b32 v74, v73 offset:576
	s_and_saveexec_b32 s5, s4
	s_cbranch_execz .LBB35_12
; %bb.11:
	s_lshl_b64 s[8:9], s[6:7], 2
	s_add_u32 s8, s10, s8
	s_addc_u32 s9, s11, s9
	s_waitcnt lgkmcnt(0)
	global_store_dword v73, v74, s[8:9]
.LBB35_12:
	s_or_b32 exec_lo, exec_lo, s5
	s_waitcnt lgkmcnt(0)
	v_cmp_ne_u32_e32 vcc_lo, 0, v74
	s_mov_b32 s5, 0
	s_cbranch_vccnz .LBB35_156
; %bb.13:
	s_clause 0x1
	buffer_load_dword v74, v77, s[0:3], 0 offen
	buffer_load_dword v76, v77, s[0:3], 0 offen offset:4
                                        ; implicit-def: $vgpr79
                                        ; implicit-def: $vgpr78
                                        ; implicit-def: $vgpr73
	s_waitcnt vmcnt(0)
	v_cmp_ngt_f32_e64 s5, |v74|, |v76|
	s_and_saveexec_b32 s8, s5
	s_xor_b32 s5, exec_lo, s8
	s_cbranch_execz .LBB35_15
; %bb.14:
	v_div_scale_f32 v73, null, v76, v76, v74
	v_div_scale_f32 v80, vcc_lo, v74, v76, v74
	v_rcp_f32_e32 v78, v73
	v_fma_f32 v79, -v73, v78, 1.0
	v_fmac_f32_e32 v78, v79, v78
	v_mul_f32_e32 v79, v80, v78
	v_fma_f32 v81, -v73, v79, v80
	v_fmac_f32_e32 v79, v81, v78
	v_fma_f32 v73, -v73, v79, v80
	v_div_fmas_f32 v73, v73, v78, v79
	v_div_fixup_f32 v73, v73, v76, v74
	v_fmac_f32_e32 v76, v74, v73
	v_div_scale_f32 v74, null, v76, v76, 1.0
	v_rcp_f32_e32 v78, v74
	v_fma_f32 v79, -v74, v78, 1.0
	v_fmac_f32_e32 v78, v79, v78
	v_div_scale_f32 v79, vcc_lo, 1.0, v76, 1.0
	v_mul_f32_e32 v80, v79, v78
	v_fma_f32 v81, -v74, v80, v79
	v_fmac_f32_e32 v80, v81, v78
	v_fma_f32 v74, -v74, v80, v79
	v_div_fmas_f32 v74, v74, v78, v80
	v_div_fixup_f32 v74, v74, v76, 1.0
                                        ; implicit-def: $vgpr76
	v_mul_f32_e32 v79, v73, v74
	v_xor_b32_e32 v78, 0x80000000, v74
                                        ; implicit-def: $vgpr74
	v_xor_b32_e32 v73, 0x80000000, v79
.LBB35_15:
	s_andn2_saveexec_b32 s5, s5
	s_cbranch_execz .LBB35_17
; %bb.16:
	v_div_scale_f32 v73, null, v74, v74, v76
	v_div_scale_f32 v80, vcc_lo, v76, v74, v76
	v_rcp_f32_e32 v78, v73
	v_fma_f32 v79, -v73, v78, 1.0
	v_fmac_f32_e32 v78, v79, v78
	v_mul_f32_e32 v79, v80, v78
	v_fma_f32 v81, -v73, v79, v80
	v_fmac_f32_e32 v79, v81, v78
	v_fma_f32 v73, -v73, v79, v80
	v_div_fmas_f32 v73, v73, v78, v79
	v_div_fixup_f32 v78, v73, v74, v76
	v_fmac_f32_e32 v74, v76, v78
	v_div_scale_f32 v73, null, v74, v74, 1.0
	v_div_scale_f32 v80, vcc_lo, 1.0, v74, 1.0
	v_rcp_f32_e32 v76, v73
	v_fma_f32 v79, -v73, v76, 1.0
	v_fmac_f32_e32 v76, v79, v76
	v_mul_f32_e32 v79, v80, v76
	v_fma_f32 v81, -v73, v79, v80
	v_fmac_f32_e32 v79, v81, v76
	v_fma_f32 v73, -v73, v79, v80
	v_div_fmas_f32 v73, v73, v76, v79
	v_div_fixup_f32 v79, v73, v74, 1.0
	v_xor_b32_e32 v73, 0x80000000, v79
	v_mul_f32_e64 v78, v78, -v79
.LBB35_17:
	s_or_b32 exec_lo, exec_lo, s5
	buffer_store_dword v79, v77, s[0:3], 0 offen
	buffer_store_dword v78, v77, s[0:3], 0 offen offset:4
	s_clause 0x1
	buffer_load_dword v80, off, s[0:3], 0 offset:12
	buffer_load_dword v79, off, s[0:3], 0 offset:8
	v_xor_b32_e32 v74, 0x80000000, v78
	v_add_nc_u32_e32 v76, 0x120, v75
	s_waitcnt vmcnt(0)
	ds_write2_b64 v75, v[73:74], v[79:80] offset1:36
	s_waitcnt lgkmcnt(0)
	s_waitcnt_vscnt null, 0x0
	s_barrier
	buffer_gl0_inv
	s_and_saveexec_b32 s5, s4
	s_cbranch_execz .LBB35_19
; %bb.18:
	s_clause 0x1
	buffer_load_dword v80, v77, s[0:3], 0 offen offset:4
	buffer_load_dword v81, v77, s[0:3], 0 offen
	ds_read_b64 v[73:74], v76
	v_mov_b32_e32 v78, 0
	ds_read_b64 v[78:79], v78 offset:8
	s_waitcnt vmcnt(1) lgkmcnt(1)
	v_mul_f32_e32 v82, v73, v80
	v_mul_f32_e32 v80, v74, v80
	s_waitcnt vmcnt(0)
	v_fmac_f32_e32 v82, v74, v81
	v_fma_f32 v73, v73, v81, -v80
	v_add_f32_e32 v74, 0, v82
	v_add_f32_e32 v73, 0, v73
	s_waitcnt lgkmcnt(0)
	v_mul_f32_e32 v80, v74, v79
	v_mul_f32_e32 v79, v73, v79
	v_fma_f32 v73, v73, v78, -v80
	v_fmac_f32_e32 v79, v74, v78
	buffer_store_dword v73, off, s[0:3], 0 offset:8
	buffer_store_dword v79, off, s[0:3], 0 offset:12
.LBB35_19:
	s_or_b32 exec_lo, exec_lo, s5
	s_waitcnt_vscnt null, 0x0
	s_barrier
	buffer_gl0_inv
	s_clause 0x1
	buffer_load_dword v73, off, s[0:3], 0 offset:16
	buffer_load_dword v74, off, s[0:3], 0 offset:20
	s_mov_b32 s5, exec_lo
	s_waitcnt vmcnt(0)
	ds_write_b64 v76, v[73:74]
	s_waitcnt lgkmcnt(0)
	s_barrier
	buffer_gl0_inv
	v_cmpx_gt_u32_e32 2, v0
	s_cbranch_execz .LBB35_23
; %bb.20:
	s_clause 0x1
	buffer_load_dword v78, v77, s[0:3], 0 offen offset:4
	buffer_load_dword v77, v77, s[0:3], 0 offen
	ds_read_b64 v[73:74], v76
	s_waitcnt vmcnt(1) lgkmcnt(0)
	v_mul_f32_e32 v79, v74, v78
	v_mul_f32_e32 v78, v73, v78
	s_waitcnt vmcnt(0)
	v_fma_f32 v73, v73, v77, -v79
	v_fmac_f32_e32 v78, v74, v77
	v_add_f32_e32 v74, 0, v73
	v_add_f32_e32 v73, 0, v78
	s_and_saveexec_b32 s8, s4
	s_cbranch_execz .LBB35_22
; %bb.21:
	s_clause 0x1
	buffer_load_dword v79, off, s[0:3], 0 offset:12
	buffer_load_dword v80, off, s[0:3], 0 offset:8
	v_mov_b32_e32 v77, 0
	ds_read_b64 v[77:78], v77 offset:296
	s_waitcnt vmcnt(1) lgkmcnt(0)
	v_mul_f32_e32 v81, v77, v79
	v_mul_f32_e32 v79, v78, v79
	s_waitcnt vmcnt(0)
	v_fmac_f32_e32 v81, v78, v80
	v_fma_f32 v77, v77, v80, -v79
	v_add_f32_e32 v73, v73, v81
	v_add_f32_e32 v74, v74, v77
.LBB35_22:
	s_or_b32 exec_lo, exec_lo, s8
	v_mov_b32_e32 v77, 0
	ds_read_b64 v[77:78], v77 offset:16
	s_waitcnt lgkmcnt(0)
	v_mul_f32_e32 v79, v73, v78
	v_mul_f32_e32 v78, v74, v78
	v_fma_f32 v74, v74, v77, -v79
	v_fmac_f32_e32 v78, v73, v77
	buffer_store_dword v74, off, s[0:3], 0 offset:16
	buffer_store_dword v78, off, s[0:3], 0 offset:20
.LBB35_23:
	s_or_b32 exec_lo, exec_lo, s5
	s_waitcnt_vscnt null, 0x0
	s_barrier
	buffer_gl0_inv
	s_clause 0x1
	buffer_load_dword v77, off, s[0:3], 0 offset:24
	buffer_load_dword v78, off, s[0:3], 0 offset:28
	v_add_nc_u32_e32 v73, -1, v0
	s_mov_b32 s4, exec_lo
	s_waitcnt vmcnt(0)
	ds_write_b64 v76, v[77:78]
	s_waitcnt lgkmcnt(0)
	s_barrier
	buffer_gl0_inv
	v_cmpx_gt_u32_e32 3, v0
	s_cbranch_execz .LBB35_27
; %bb.24:
	v_add_nc_u32_e32 v77, -1, v0
	v_add_nc_u32_e32 v78, 0x120, v75
	v_mov_b32_e32 v79, v75
	v_mov_b32_e32 v74, 0
	;; [unrolled: 1-line block ×3, first 2 shown]
	s_mov_b32 s5, 0
	.p2align	6
.LBB35_25:                              ; =>This Inner Loop Header: Depth=1
	s_clause 0x1
	buffer_load_dword v83, v79, s[0:3], 0 offen offset:4
	buffer_load_dword v84, v79, s[0:3], 0 offen
	ds_read_b64 v[81:82], v78
	v_add_nc_u32_e32 v77, 1, v77
	v_add_nc_u32_e32 v78, 8, v78
	;; [unrolled: 1-line block ×3, first 2 shown]
	v_cmp_lt_u32_e32 vcc_lo, 1, v77
	s_or_b32 s5, vcc_lo, s5
	s_waitcnt vmcnt(1) lgkmcnt(0)
	v_mul_f32_e32 v85, v82, v83
	v_mul_f32_e32 v83, v81, v83
	s_waitcnt vmcnt(0)
	v_fma_f32 v81, v81, v84, -v85
	v_fmac_f32_e32 v83, v82, v84
	v_add_f32_e32 v80, v80, v81
	v_add_f32_e32 v74, v74, v83
	s_andn2_b32 exec_lo, exec_lo, s5
	s_cbranch_execnz .LBB35_25
; %bb.26:
	s_or_b32 exec_lo, exec_lo, s5
	v_mov_b32_e32 v77, 0
	ds_read_b64 v[77:78], v77 offset:24
	s_waitcnt lgkmcnt(0)
	v_mul_f32_e32 v79, v74, v78
	v_mul_f32_e32 v78, v80, v78
	v_fma_f32 v79, v80, v77, -v79
	v_fmac_f32_e32 v78, v74, v77
	buffer_store_dword v79, off, s[0:3], 0 offset:24
	buffer_store_dword v78, off, s[0:3], 0 offset:28
.LBB35_27:
	s_or_b32 exec_lo, exec_lo, s4
	s_waitcnt_vscnt null, 0x0
	s_barrier
	buffer_gl0_inv
	s_clause 0x1
	buffer_load_dword v77, off, s[0:3], 0 offset:32
	buffer_load_dword v78, off, s[0:3], 0 offset:36
	s_mov_b32 s4, exec_lo
	s_waitcnt vmcnt(0)
	ds_write_b64 v76, v[77:78]
	s_waitcnt lgkmcnt(0)
	s_barrier
	buffer_gl0_inv
	v_cmpx_gt_u32_e32 4, v0
	s_cbranch_execz .LBB35_31
; %bb.28:
	v_add_nc_u32_e32 v77, -1, v0
	v_add_nc_u32_e32 v78, 0x120, v75
	v_mov_b32_e32 v79, v75
	v_mov_b32_e32 v74, 0
	;; [unrolled: 1-line block ×3, first 2 shown]
	s_mov_b32 s5, 0
	.p2align	6
.LBB35_29:                              ; =>This Inner Loop Header: Depth=1
	s_clause 0x1
	buffer_load_dword v83, v79, s[0:3], 0 offen offset:4
	buffer_load_dword v84, v79, s[0:3], 0 offen
	ds_read_b64 v[81:82], v78
	v_add_nc_u32_e32 v77, 1, v77
	v_add_nc_u32_e32 v78, 8, v78
	;; [unrolled: 1-line block ×3, first 2 shown]
	v_cmp_lt_u32_e32 vcc_lo, 2, v77
	s_or_b32 s5, vcc_lo, s5
	s_waitcnt vmcnt(1) lgkmcnt(0)
	v_mul_f32_e32 v85, v82, v83
	v_mul_f32_e32 v83, v81, v83
	s_waitcnt vmcnt(0)
	v_fma_f32 v81, v81, v84, -v85
	v_fmac_f32_e32 v83, v82, v84
	v_add_f32_e32 v80, v80, v81
	v_add_f32_e32 v74, v74, v83
	s_andn2_b32 exec_lo, exec_lo, s5
	s_cbranch_execnz .LBB35_29
; %bb.30:
	s_or_b32 exec_lo, exec_lo, s5
	v_mov_b32_e32 v77, 0
	ds_read_b64 v[77:78], v77 offset:32
	s_waitcnt lgkmcnt(0)
	v_mul_f32_e32 v79, v74, v78
	v_mul_f32_e32 v78, v80, v78
	v_fma_f32 v79, v80, v77, -v79
	v_fmac_f32_e32 v78, v74, v77
	buffer_store_dword v79, off, s[0:3], 0 offset:32
	buffer_store_dword v78, off, s[0:3], 0 offset:36
.LBB35_31:
	s_or_b32 exec_lo, exec_lo, s4
	s_waitcnt_vscnt null, 0x0
	s_barrier
	buffer_gl0_inv
	s_clause 0x1
	buffer_load_dword v77, off, s[0:3], 0 offset:40
	buffer_load_dword v78, off, s[0:3], 0 offset:44
	s_mov_b32 s4, exec_lo
	s_waitcnt vmcnt(0)
	ds_write_b64 v76, v[77:78]
	s_waitcnt lgkmcnt(0)
	s_barrier
	buffer_gl0_inv
	v_cmpx_gt_u32_e32 5, v0
	s_cbranch_execz .LBB35_35
; %bb.32:
	v_add_nc_u32_e32 v77, -1, v0
	v_add_nc_u32_e32 v78, 0x120, v75
	v_mov_b32_e32 v79, v75
	v_mov_b32_e32 v74, 0
	;; [unrolled: 1-line block ×3, first 2 shown]
	s_mov_b32 s5, 0
	.p2align	6
.LBB35_33:                              ; =>This Inner Loop Header: Depth=1
	s_clause 0x1
	buffer_load_dword v83, v79, s[0:3], 0 offen offset:4
	buffer_load_dword v84, v79, s[0:3], 0 offen
	ds_read_b64 v[81:82], v78
	v_add_nc_u32_e32 v77, 1, v77
	v_add_nc_u32_e32 v78, 8, v78
	;; [unrolled: 1-line block ×3, first 2 shown]
	v_cmp_lt_u32_e32 vcc_lo, 3, v77
	s_or_b32 s5, vcc_lo, s5
	s_waitcnt vmcnt(1) lgkmcnt(0)
	v_mul_f32_e32 v85, v82, v83
	v_mul_f32_e32 v83, v81, v83
	s_waitcnt vmcnt(0)
	v_fma_f32 v81, v81, v84, -v85
	v_fmac_f32_e32 v83, v82, v84
	v_add_f32_e32 v80, v80, v81
	v_add_f32_e32 v74, v74, v83
	s_andn2_b32 exec_lo, exec_lo, s5
	s_cbranch_execnz .LBB35_33
; %bb.34:
	s_or_b32 exec_lo, exec_lo, s5
	v_mov_b32_e32 v77, 0
	ds_read_b64 v[77:78], v77 offset:40
	s_waitcnt lgkmcnt(0)
	v_mul_f32_e32 v79, v74, v78
	v_mul_f32_e32 v78, v80, v78
	v_fma_f32 v79, v80, v77, -v79
	v_fmac_f32_e32 v78, v74, v77
	buffer_store_dword v79, off, s[0:3], 0 offset:40
	buffer_store_dword v78, off, s[0:3], 0 offset:44
.LBB35_35:
	s_or_b32 exec_lo, exec_lo, s4
	s_waitcnt_vscnt null, 0x0
	s_barrier
	buffer_gl0_inv
	s_clause 0x1
	buffer_load_dword v77, off, s[0:3], 0 offset:48
	buffer_load_dword v78, off, s[0:3], 0 offset:52
	s_mov_b32 s4, exec_lo
	s_waitcnt vmcnt(0)
	ds_write_b64 v76, v[77:78]
	s_waitcnt lgkmcnt(0)
	s_barrier
	buffer_gl0_inv
	v_cmpx_gt_u32_e32 6, v0
	s_cbranch_execz .LBB35_39
; %bb.36:
	v_add_nc_u32_e32 v77, -1, v0
	v_add_nc_u32_e32 v78, 0x120, v75
	v_mov_b32_e32 v79, v75
	v_mov_b32_e32 v74, 0
	;; [unrolled: 1-line block ×3, first 2 shown]
	s_mov_b32 s5, 0
	.p2align	6
.LBB35_37:                              ; =>This Inner Loop Header: Depth=1
	s_clause 0x1
	buffer_load_dword v83, v79, s[0:3], 0 offen offset:4
	buffer_load_dword v84, v79, s[0:3], 0 offen
	ds_read_b64 v[81:82], v78
	v_add_nc_u32_e32 v77, 1, v77
	v_add_nc_u32_e32 v78, 8, v78
	;; [unrolled: 1-line block ×3, first 2 shown]
	v_cmp_lt_u32_e32 vcc_lo, 4, v77
	s_or_b32 s5, vcc_lo, s5
	s_waitcnt vmcnt(1) lgkmcnt(0)
	v_mul_f32_e32 v85, v82, v83
	v_mul_f32_e32 v83, v81, v83
	s_waitcnt vmcnt(0)
	v_fma_f32 v81, v81, v84, -v85
	v_fmac_f32_e32 v83, v82, v84
	v_add_f32_e32 v80, v80, v81
	v_add_f32_e32 v74, v74, v83
	s_andn2_b32 exec_lo, exec_lo, s5
	s_cbranch_execnz .LBB35_37
; %bb.38:
	s_or_b32 exec_lo, exec_lo, s5
	v_mov_b32_e32 v77, 0
	ds_read_b64 v[77:78], v77 offset:48
	s_waitcnt lgkmcnt(0)
	v_mul_f32_e32 v79, v74, v78
	v_mul_f32_e32 v78, v80, v78
	v_fma_f32 v79, v80, v77, -v79
	v_fmac_f32_e32 v78, v74, v77
	buffer_store_dword v79, off, s[0:3], 0 offset:48
	buffer_store_dword v78, off, s[0:3], 0 offset:52
.LBB35_39:
	s_or_b32 exec_lo, exec_lo, s4
	s_waitcnt_vscnt null, 0x0
	s_barrier
	buffer_gl0_inv
	s_clause 0x1
	buffer_load_dword v77, off, s[0:3], 0 offset:56
	buffer_load_dword v78, off, s[0:3], 0 offset:60
	s_mov_b32 s4, exec_lo
	s_waitcnt vmcnt(0)
	ds_write_b64 v76, v[77:78]
	s_waitcnt lgkmcnt(0)
	s_barrier
	buffer_gl0_inv
	v_cmpx_gt_u32_e32 7, v0
	s_cbranch_execz .LBB35_43
; %bb.40:
	v_add_nc_u32_e32 v77, -1, v0
	v_add_nc_u32_e32 v78, 0x120, v75
	v_mov_b32_e32 v79, v75
	v_mov_b32_e32 v74, 0
	;; [unrolled: 1-line block ×3, first 2 shown]
	s_mov_b32 s5, 0
	.p2align	6
.LBB35_41:                              ; =>This Inner Loop Header: Depth=1
	s_clause 0x1
	buffer_load_dword v83, v79, s[0:3], 0 offen offset:4
	buffer_load_dword v84, v79, s[0:3], 0 offen
	ds_read_b64 v[81:82], v78
	v_add_nc_u32_e32 v77, 1, v77
	v_add_nc_u32_e32 v78, 8, v78
	;; [unrolled: 1-line block ×3, first 2 shown]
	v_cmp_lt_u32_e32 vcc_lo, 5, v77
	s_or_b32 s5, vcc_lo, s5
	s_waitcnt vmcnt(1) lgkmcnt(0)
	v_mul_f32_e32 v85, v82, v83
	v_mul_f32_e32 v83, v81, v83
	s_waitcnt vmcnt(0)
	v_fma_f32 v81, v81, v84, -v85
	v_fmac_f32_e32 v83, v82, v84
	v_add_f32_e32 v80, v80, v81
	v_add_f32_e32 v74, v74, v83
	s_andn2_b32 exec_lo, exec_lo, s5
	s_cbranch_execnz .LBB35_41
; %bb.42:
	s_or_b32 exec_lo, exec_lo, s5
	v_mov_b32_e32 v77, 0
	ds_read_b64 v[77:78], v77 offset:56
	s_waitcnt lgkmcnt(0)
	v_mul_f32_e32 v79, v74, v78
	v_mul_f32_e32 v78, v80, v78
	v_fma_f32 v79, v80, v77, -v79
	v_fmac_f32_e32 v78, v74, v77
	buffer_store_dword v79, off, s[0:3], 0 offset:56
	buffer_store_dword v78, off, s[0:3], 0 offset:60
.LBB35_43:
	s_or_b32 exec_lo, exec_lo, s4
	s_waitcnt_vscnt null, 0x0
	s_barrier
	buffer_gl0_inv
	s_clause 0x1
	buffer_load_dword v77, off, s[0:3], 0 offset:64
	buffer_load_dword v78, off, s[0:3], 0 offset:68
	s_mov_b32 s4, exec_lo
	s_waitcnt vmcnt(0)
	ds_write_b64 v76, v[77:78]
	s_waitcnt lgkmcnt(0)
	s_barrier
	buffer_gl0_inv
	v_cmpx_gt_u32_e32 8, v0
	s_cbranch_execz .LBB35_47
; %bb.44:
	v_add_nc_u32_e32 v77, -1, v0
	v_add_nc_u32_e32 v78, 0x120, v75
	v_mov_b32_e32 v79, v75
	v_mov_b32_e32 v74, 0
	;; [unrolled: 1-line block ×3, first 2 shown]
	s_mov_b32 s5, 0
	.p2align	6
.LBB35_45:                              ; =>This Inner Loop Header: Depth=1
	s_clause 0x1
	buffer_load_dword v83, v79, s[0:3], 0 offen offset:4
	buffer_load_dword v84, v79, s[0:3], 0 offen
	ds_read_b64 v[81:82], v78
	v_add_nc_u32_e32 v77, 1, v77
	v_add_nc_u32_e32 v78, 8, v78
	;; [unrolled: 1-line block ×3, first 2 shown]
	v_cmp_lt_u32_e32 vcc_lo, 6, v77
	s_or_b32 s5, vcc_lo, s5
	s_waitcnt vmcnt(1) lgkmcnt(0)
	v_mul_f32_e32 v85, v82, v83
	v_mul_f32_e32 v83, v81, v83
	s_waitcnt vmcnt(0)
	v_fma_f32 v81, v81, v84, -v85
	v_fmac_f32_e32 v83, v82, v84
	v_add_f32_e32 v80, v80, v81
	v_add_f32_e32 v74, v74, v83
	s_andn2_b32 exec_lo, exec_lo, s5
	s_cbranch_execnz .LBB35_45
; %bb.46:
	s_or_b32 exec_lo, exec_lo, s5
	v_mov_b32_e32 v77, 0
	ds_read_b64 v[77:78], v77 offset:64
	s_waitcnt lgkmcnt(0)
	v_mul_f32_e32 v79, v74, v78
	v_mul_f32_e32 v78, v80, v78
	v_fma_f32 v79, v80, v77, -v79
	v_fmac_f32_e32 v78, v74, v77
	buffer_store_dword v79, off, s[0:3], 0 offset:64
	buffer_store_dword v78, off, s[0:3], 0 offset:68
.LBB35_47:
	s_or_b32 exec_lo, exec_lo, s4
	s_waitcnt_vscnt null, 0x0
	s_barrier
	buffer_gl0_inv
	s_clause 0x1
	buffer_load_dword v77, off, s[0:3], 0 offset:72
	buffer_load_dword v78, off, s[0:3], 0 offset:76
	s_mov_b32 s4, exec_lo
	s_waitcnt vmcnt(0)
	ds_write_b64 v76, v[77:78]
	s_waitcnt lgkmcnt(0)
	s_barrier
	buffer_gl0_inv
	v_cmpx_gt_u32_e32 9, v0
	s_cbranch_execz .LBB35_51
; %bb.48:
	v_add_nc_u32_e32 v77, -1, v0
	v_add_nc_u32_e32 v78, 0x120, v75
	v_mov_b32_e32 v79, v75
	v_mov_b32_e32 v74, 0
	v_mov_b32_e32 v80, 0
	s_mov_b32 s5, 0
	.p2align	6
.LBB35_49:                              ; =>This Inner Loop Header: Depth=1
	s_clause 0x1
	buffer_load_dword v83, v79, s[0:3], 0 offen offset:4
	buffer_load_dword v84, v79, s[0:3], 0 offen
	ds_read_b64 v[81:82], v78
	v_add_nc_u32_e32 v77, 1, v77
	v_add_nc_u32_e32 v78, 8, v78
	;; [unrolled: 1-line block ×3, first 2 shown]
	v_cmp_lt_u32_e32 vcc_lo, 7, v77
	s_or_b32 s5, vcc_lo, s5
	s_waitcnt vmcnt(1) lgkmcnt(0)
	v_mul_f32_e32 v85, v82, v83
	v_mul_f32_e32 v83, v81, v83
	s_waitcnt vmcnt(0)
	v_fma_f32 v81, v81, v84, -v85
	v_fmac_f32_e32 v83, v82, v84
	v_add_f32_e32 v80, v80, v81
	v_add_f32_e32 v74, v74, v83
	s_andn2_b32 exec_lo, exec_lo, s5
	s_cbranch_execnz .LBB35_49
; %bb.50:
	s_or_b32 exec_lo, exec_lo, s5
	v_mov_b32_e32 v77, 0
	ds_read_b64 v[77:78], v77 offset:72
	s_waitcnt lgkmcnt(0)
	v_mul_f32_e32 v79, v74, v78
	v_mul_f32_e32 v78, v80, v78
	v_fma_f32 v79, v80, v77, -v79
	v_fmac_f32_e32 v78, v74, v77
	buffer_store_dword v79, off, s[0:3], 0 offset:72
	buffer_store_dword v78, off, s[0:3], 0 offset:76
.LBB35_51:
	s_or_b32 exec_lo, exec_lo, s4
	s_waitcnt_vscnt null, 0x0
	s_barrier
	buffer_gl0_inv
	s_clause 0x1
	buffer_load_dword v77, off, s[0:3], 0 offset:80
	buffer_load_dword v78, off, s[0:3], 0 offset:84
	s_mov_b32 s4, exec_lo
	s_waitcnt vmcnt(0)
	ds_write_b64 v76, v[77:78]
	s_waitcnt lgkmcnt(0)
	s_barrier
	buffer_gl0_inv
	v_cmpx_gt_u32_e32 10, v0
	s_cbranch_execz .LBB35_55
; %bb.52:
	v_add_nc_u32_e32 v77, -1, v0
	v_add_nc_u32_e32 v78, 0x120, v75
	v_mov_b32_e32 v79, v75
	v_mov_b32_e32 v74, 0
	;; [unrolled: 1-line block ×3, first 2 shown]
	s_mov_b32 s5, 0
	.p2align	6
.LBB35_53:                              ; =>This Inner Loop Header: Depth=1
	s_clause 0x1
	buffer_load_dword v83, v79, s[0:3], 0 offen offset:4
	buffer_load_dword v84, v79, s[0:3], 0 offen
	ds_read_b64 v[81:82], v78
	v_add_nc_u32_e32 v77, 1, v77
	v_add_nc_u32_e32 v78, 8, v78
	;; [unrolled: 1-line block ×3, first 2 shown]
	v_cmp_lt_u32_e32 vcc_lo, 8, v77
	s_or_b32 s5, vcc_lo, s5
	s_waitcnt vmcnt(1) lgkmcnt(0)
	v_mul_f32_e32 v85, v82, v83
	v_mul_f32_e32 v83, v81, v83
	s_waitcnt vmcnt(0)
	v_fma_f32 v81, v81, v84, -v85
	v_fmac_f32_e32 v83, v82, v84
	v_add_f32_e32 v80, v80, v81
	v_add_f32_e32 v74, v74, v83
	s_andn2_b32 exec_lo, exec_lo, s5
	s_cbranch_execnz .LBB35_53
; %bb.54:
	s_or_b32 exec_lo, exec_lo, s5
	v_mov_b32_e32 v77, 0
	ds_read_b64 v[77:78], v77 offset:80
	s_waitcnt lgkmcnt(0)
	v_mul_f32_e32 v79, v74, v78
	v_mul_f32_e32 v78, v80, v78
	v_fma_f32 v79, v80, v77, -v79
	v_fmac_f32_e32 v78, v74, v77
	buffer_store_dword v79, off, s[0:3], 0 offset:80
	buffer_store_dword v78, off, s[0:3], 0 offset:84
.LBB35_55:
	s_or_b32 exec_lo, exec_lo, s4
	s_waitcnt_vscnt null, 0x0
	s_barrier
	buffer_gl0_inv
	s_clause 0x1
	buffer_load_dword v77, off, s[0:3], 0 offset:88
	buffer_load_dword v78, off, s[0:3], 0 offset:92
	s_mov_b32 s4, exec_lo
	s_waitcnt vmcnt(0)
	ds_write_b64 v76, v[77:78]
	s_waitcnt lgkmcnt(0)
	s_barrier
	buffer_gl0_inv
	v_cmpx_gt_u32_e32 11, v0
	s_cbranch_execz .LBB35_59
; %bb.56:
	v_add_nc_u32_e32 v77, -1, v0
	v_add_nc_u32_e32 v78, 0x120, v75
	v_mov_b32_e32 v79, v75
	v_mov_b32_e32 v74, 0
	;; [unrolled: 1-line block ×3, first 2 shown]
	s_mov_b32 s5, 0
	.p2align	6
.LBB35_57:                              ; =>This Inner Loop Header: Depth=1
	s_clause 0x1
	buffer_load_dword v83, v79, s[0:3], 0 offen offset:4
	buffer_load_dword v84, v79, s[0:3], 0 offen
	ds_read_b64 v[81:82], v78
	v_add_nc_u32_e32 v77, 1, v77
	v_add_nc_u32_e32 v78, 8, v78
	;; [unrolled: 1-line block ×3, first 2 shown]
	v_cmp_lt_u32_e32 vcc_lo, 9, v77
	s_or_b32 s5, vcc_lo, s5
	s_waitcnt vmcnt(1) lgkmcnt(0)
	v_mul_f32_e32 v85, v82, v83
	v_mul_f32_e32 v83, v81, v83
	s_waitcnt vmcnt(0)
	v_fma_f32 v81, v81, v84, -v85
	v_fmac_f32_e32 v83, v82, v84
	v_add_f32_e32 v80, v80, v81
	v_add_f32_e32 v74, v74, v83
	s_andn2_b32 exec_lo, exec_lo, s5
	s_cbranch_execnz .LBB35_57
; %bb.58:
	s_or_b32 exec_lo, exec_lo, s5
	v_mov_b32_e32 v77, 0
	ds_read_b64 v[77:78], v77 offset:88
	s_waitcnt lgkmcnt(0)
	v_mul_f32_e32 v79, v74, v78
	v_mul_f32_e32 v78, v80, v78
	v_fma_f32 v79, v80, v77, -v79
	v_fmac_f32_e32 v78, v74, v77
	buffer_store_dword v79, off, s[0:3], 0 offset:88
	buffer_store_dword v78, off, s[0:3], 0 offset:92
.LBB35_59:
	s_or_b32 exec_lo, exec_lo, s4
	s_waitcnt_vscnt null, 0x0
	s_barrier
	buffer_gl0_inv
	s_clause 0x1
	buffer_load_dword v77, off, s[0:3], 0 offset:96
	buffer_load_dword v78, off, s[0:3], 0 offset:100
	s_mov_b32 s4, exec_lo
	s_waitcnt vmcnt(0)
	ds_write_b64 v76, v[77:78]
	s_waitcnt lgkmcnt(0)
	s_barrier
	buffer_gl0_inv
	v_cmpx_gt_u32_e32 12, v0
	s_cbranch_execz .LBB35_63
; %bb.60:
	v_add_nc_u32_e32 v77, -1, v0
	v_add_nc_u32_e32 v78, 0x120, v75
	v_mov_b32_e32 v79, v75
	v_mov_b32_e32 v74, 0
	;; [unrolled: 1-line block ×3, first 2 shown]
	s_mov_b32 s5, 0
	.p2align	6
.LBB35_61:                              ; =>This Inner Loop Header: Depth=1
	s_clause 0x1
	buffer_load_dword v83, v79, s[0:3], 0 offen offset:4
	buffer_load_dword v84, v79, s[0:3], 0 offen
	ds_read_b64 v[81:82], v78
	v_add_nc_u32_e32 v77, 1, v77
	v_add_nc_u32_e32 v78, 8, v78
	;; [unrolled: 1-line block ×3, first 2 shown]
	v_cmp_lt_u32_e32 vcc_lo, 10, v77
	s_or_b32 s5, vcc_lo, s5
	s_waitcnt vmcnt(1) lgkmcnt(0)
	v_mul_f32_e32 v85, v82, v83
	v_mul_f32_e32 v83, v81, v83
	s_waitcnt vmcnt(0)
	v_fma_f32 v81, v81, v84, -v85
	v_fmac_f32_e32 v83, v82, v84
	v_add_f32_e32 v80, v80, v81
	v_add_f32_e32 v74, v74, v83
	s_andn2_b32 exec_lo, exec_lo, s5
	s_cbranch_execnz .LBB35_61
; %bb.62:
	s_or_b32 exec_lo, exec_lo, s5
	v_mov_b32_e32 v77, 0
	ds_read_b64 v[77:78], v77 offset:96
	s_waitcnt lgkmcnt(0)
	v_mul_f32_e32 v79, v74, v78
	v_mul_f32_e32 v78, v80, v78
	v_fma_f32 v79, v80, v77, -v79
	v_fmac_f32_e32 v78, v74, v77
	buffer_store_dword v79, off, s[0:3], 0 offset:96
	buffer_store_dword v78, off, s[0:3], 0 offset:100
.LBB35_63:
	s_or_b32 exec_lo, exec_lo, s4
	s_waitcnt_vscnt null, 0x0
	s_barrier
	buffer_gl0_inv
	s_clause 0x1
	buffer_load_dword v77, off, s[0:3], 0 offset:104
	buffer_load_dword v78, off, s[0:3], 0 offset:108
	s_mov_b32 s4, exec_lo
	s_waitcnt vmcnt(0)
	ds_write_b64 v76, v[77:78]
	s_waitcnt lgkmcnt(0)
	s_barrier
	buffer_gl0_inv
	v_cmpx_gt_u32_e32 13, v0
	s_cbranch_execz .LBB35_67
; %bb.64:
	v_add_nc_u32_e32 v77, -1, v0
	v_add_nc_u32_e32 v78, 0x120, v75
	v_mov_b32_e32 v79, v75
	v_mov_b32_e32 v74, 0
	;; [unrolled: 1-line block ×3, first 2 shown]
	s_mov_b32 s5, 0
	.p2align	6
.LBB35_65:                              ; =>This Inner Loop Header: Depth=1
	s_clause 0x1
	buffer_load_dword v83, v79, s[0:3], 0 offen offset:4
	buffer_load_dword v84, v79, s[0:3], 0 offen
	ds_read_b64 v[81:82], v78
	v_add_nc_u32_e32 v77, 1, v77
	v_add_nc_u32_e32 v78, 8, v78
	;; [unrolled: 1-line block ×3, first 2 shown]
	v_cmp_lt_u32_e32 vcc_lo, 11, v77
	s_or_b32 s5, vcc_lo, s5
	s_waitcnt vmcnt(1) lgkmcnt(0)
	v_mul_f32_e32 v85, v82, v83
	v_mul_f32_e32 v83, v81, v83
	s_waitcnt vmcnt(0)
	v_fma_f32 v81, v81, v84, -v85
	v_fmac_f32_e32 v83, v82, v84
	v_add_f32_e32 v80, v80, v81
	v_add_f32_e32 v74, v74, v83
	s_andn2_b32 exec_lo, exec_lo, s5
	s_cbranch_execnz .LBB35_65
; %bb.66:
	s_or_b32 exec_lo, exec_lo, s5
	v_mov_b32_e32 v77, 0
	ds_read_b64 v[77:78], v77 offset:104
	s_waitcnt lgkmcnt(0)
	v_mul_f32_e32 v79, v74, v78
	v_mul_f32_e32 v78, v80, v78
	v_fma_f32 v79, v80, v77, -v79
	v_fmac_f32_e32 v78, v74, v77
	buffer_store_dword v79, off, s[0:3], 0 offset:104
	buffer_store_dword v78, off, s[0:3], 0 offset:108
.LBB35_67:
	s_or_b32 exec_lo, exec_lo, s4
	s_waitcnt_vscnt null, 0x0
	s_barrier
	buffer_gl0_inv
	s_clause 0x1
	buffer_load_dword v77, off, s[0:3], 0 offset:112
	buffer_load_dword v78, off, s[0:3], 0 offset:116
	s_mov_b32 s4, exec_lo
	s_waitcnt vmcnt(0)
	ds_write_b64 v76, v[77:78]
	s_waitcnt lgkmcnt(0)
	s_barrier
	buffer_gl0_inv
	v_cmpx_gt_u32_e32 14, v0
	s_cbranch_execz .LBB35_71
; %bb.68:
	v_add_nc_u32_e32 v77, -1, v0
	v_add_nc_u32_e32 v78, 0x120, v75
	v_mov_b32_e32 v79, v75
	v_mov_b32_e32 v74, 0
	;; [unrolled: 1-line block ×3, first 2 shown]
	s_mov_b32 s5, 0
	.p2align	6
.LBB35_69:                              ; =>This Inner Loop Header: Depth=1
	s_clause 0x1
	buffer_load_dword v83, v79, s[0:3], 0 offen offset:4
	buffer_load_dword v84, v79, s[0:3], 0 offen
	ds_read_b64 v[81:82], v78
	v_add_nc_u32_e32 v77, 1, v77
	v_add_nc_u32_e32 v78, 8, v78
	v_add_nc_u32_e32 v79, 8, v79
	v_cmp_lt_u32_e32 vcc_lo, 12, v77
	s_or_b32 s5, vcc_lo, s5
	s_waitcnt vmcnt(1) lgkmcnt(0)
	v_mul_f32_e32 v85, v82, v83
	v_mul_f32_e32 v83, v81, v83
	s_waitcnt vmcnt(0)
	v_fma_f32 v81, v81, v84, -v85
	v_fmac_f32_e32 v83, v82, v84
	v_add_f32_e32 v80, v80, v81
	v_add_f32_e32 v74, v74, v83
	s_andn2_b32 exec_lo, exec_lo, s5
	s_cbranch_execnz .LBB35_69
; %bb.70:
	s_or_b32 exec_lo, exec_lo, s5
	v_mov_b32_e32 v77, 0
	ds_read_b64 v[77:78], v77 offset:112
	s_waitcnt lgkmcnt(0)
	v_mul_f32_e32 v79, v74, v78
	v_mul_f32_e32 v78, v80, v78
	v_fma_f32 v79, v80, v77, -v79
	v_fmac_f32_e32 v78, v74, v77
	buffer_store_dword v79, off, s[0:3], 0 offset:112
	buffer_store_dword v78, off, s[0:3], 0 offset:116
.LBB35_71:
	s_or_b32 exec_lo, exec_lo, s4
	s_waitcnt_vscnt null, 0x0
	s_barrier
	buffer_gl0_inv
	s_clause 0x1
	buffer_load_dword v77, off, s[0:3], 0 offset:120
	buffer_load_dword v78, off, s[0:3], 0 offset:124
	s_mov_b32 s4, exec_lo
	s_waitcnt vmcnt(0)
	ds_write_b64 v76, v[77:78]
	s_waitcnt lgkmcnt(0)
	s_barrier
	buffer_gl0_inv
	v_cmpx_gt_u32_e32 15, v0
	s_cbranch_execz .LBB35_75
; %bb.72:
	v_add_nc_u32_e32 v77, -1, v0
	v_add_nc_u32_e32 v78, 0x120, v75
	v_mov_b32_e32 v79, v75
	v_mov_b32_e32 v74, 0
	;; [unrolled: 1-line block ×3, first 2 shown]
	s_mov_b32 s5, 0
	.p2align	6
.LBB35_73:                              ; =>This Inner Loop Header: Depth=1
	s_clause 0x1
	buffer_load_dword v83, v79, s[0:3], 0 offen offset:4
	buffer_load_dword v84, v79, s[0:3], 0 offen
	ds_read_b64 v[81:82], v78
	v_add_nc_u32_e32 v77, 1, v77
	v_add_nc_u32_e32 v78, 8, v78
	;; [unrolled: 1-line block ×3, first 2 shown]
	v_cmp_lt_u32_e32 vcc_lo, 13, v77
	s_or_b32 s5, vcc_lo, s5
	s_waitcnt vmcnt(1) lgkmcnt(0)
	v_mul_f32_e32 v85, v82, v83
	v_mul_f32_e32 v83, v81, v83
	s_waitcnt vmcnt(0)
	v_fma_f32 v81, v81, v84, -v85
	v_fmac_f32_e32 v83, v82, v84
	v_add_f32_e32 v80, v80, v81
	v_add_f32_e32 v74, v74, v83
	s_andn2_b32 exec_lo, exec_lo, s5
	s_cbranch_execnz .LBB35_73
; %bb.74:
	s_or_b32 exec_lo, exec_lo, s5
	v_mov_b32_e32 v77, 0
	ds_read_b64 v[77:78], v77 offset:120
	s_waitcnt lgkmcnt(0)
	v_mul_f32_e32 v79, v74, v78
	v_mul_f32_e32 v78, v80, v78
	v_fma_f32 v79, v80, v77, -v79
	v_fmac_f32_e32 v78, v74, v77
	buffer_store_dword v79, off, s[0:3], 0 offset:120
	buffer_store_dword v78, off, s[0:3], 0 offset:124
.LBB35_75:
	s_or_b32 exec_lo, exec_lo, s4
	s_waitcnt_vscnt null, 0x0
	s_barrier
	buffer_gl0_inv
	s_clause 0x1
	buffer_load_dword v77, off, s[0:3], 0 offset:128
	buffer_load_dword v78, off, s[0:3], 0 offset:132
	s_mov_b32 s4, exec_lo
	s_waitcnt vmcnt(0)
	ds_write_b64 v76, v[77:78]
	s_waitcnt lgkmcnt(0)
	s_barrier
	buffer_gl0_inv
	v_cmpx_gt_u32_e32 16, v0
	s_cbranch_execz .LBB35_79
; %bb.76:
	v_add_nc_u32_e32 v77, -1, v0
	v_add_nc_u32_e32 v78, 0x120, v75
	v_mov_b32_e32 v79, v75
	v_mov_b32_e32 v74, 0
	;; [unrolled: 1-line block ×3, first 2 shown]
	s_mov_b32 s5, 0
	.p2align	6
.LBB35_77:                              ; =>This Inner Loop Header: Depth=1
	s_clause 0x1
	buffer_load_dword v83, v79, s[0:3], 0 offen offset:4
	buffer_load_dword v84, v79, s[0:3], 0 offen
	ds_read_b64 v[81:82], v78
	v_add_nc_u32_e32 v77, 1, v77
	v_add_nc_u32_e32 v78, 8, v78
	;; [unrolled: 1-line block ×3, first 2 shown]
	v_cmp_lt_u32_e32 vcc_lo, 14, v77
	s_or_b32 s5, vcc_lo, s5
	s_waitcnt vmcnt(1) lgkmcnt(0)
	v_mul_f32_e32 v85, v82, v83
	v_mul_f32_e32 v83, v81, v83
	s_waitcnt vmcnt(0)
	v_fma_f32 v81, v81, v84, -v85
	v_fmac_f32_e32 v83, v82, v84
	v_add_f32_e32 v80, v80, v81
	v_add_f32_e32 v74, v74, v83
	s_andn2_b32 exec_lo, exec_lo, s5
	s_cbranch_execnz .LBB35_77
; %bb.78:
	s_or_b32 exec_lo, exec_lo, s5
	v_mov_b32_e32 v77, 0
	ds_read_b64 v[77:78], v77 offset:128
	s_waitcnt lgkmcnt(0)
	v_mul_f32_e32 v79, v74, v78
	v_mul_f32_e32 v78, v80, v78
	v_fma_f32 v79, v80, v77, -v79
	v_fmac_f32_e32 v78, v74, v77
	buffer_store_dword v79, off, s[0:3], 0 offset:128
	buffer_store_dword v78, off, s[0:3], 0 offset:132
.LBB35_79:
	s_or_b32 exec_lo, exec_lo, s4
	s_waitcnt_vscnt null, 0x0
	s_barrier
	buffer_gl0_inv
	s_clause 0x1
	buffer_load_dword v77, off, s[0:3], 0 offset:136
	buffer_load_dword v78, off, s[0:3], 0 offset:140
	s_mov_b32 s4, exec_lo
	s_waitcnt vmcnt(0)
	ds_write_b64 v76, v[77:78]
	s_waitcnt lgkmcnt(0)
	s_barrier
	buffer_gl0_inv
	v_cmpx_gt_u32_e32 17, v0
	s_cbranch_execz .LBB35_83
; %bb.80:
	v_add_nc_u32_e32 v77, -1, v0
	v_add_nc_u32_e32 v78, 0x120, v75
	v_mov_b32_e32 v79, v75
	v_mov_b32_e32 v74, 0
	v_mov_b32_e32 v80, 0
	s_mov_b32 s5, 0
	.p2align	6
.LBB35_81:                              ; =>This Inner Loop Header: Depth=1
	s_clause 0x1
	buffer_load_dword v83, v79, s[0:3], 0 offen offset:4
	buffer_load_dword v84, v79, s[0:3], 0 offen
	ds_read_b64 v[81:82], v78
	v_add_nc_u32_e32 v77, 1, v77
	v_add_nc_u32_e32 v78, 8, v78
	;; [unrolled: 1-line block ×3, first 2 shown]
	v_cmp_lt_u32_e32 vcc_lo, 15, v77
	s_or_b32 s5, vcc_lo, s5
	s_waitcnt vmcnt(1) lgkmcnt(0)
	v_mul_f32_e32 v85, v82, v83
	v_mul_f32_e32 v83, v81, v83
	s_waitcnt vmcnt(0)
	v_fma_f32 v81, v81, v84, -v85
	v_fmac_f32_e32 v83, v82, v84
	v_add_f32_e32 v80, v80, v81
	v_add_f32_e32 v74, v74, v83
	s_andn2_b32 exec_lo, exec_lo, s5
	s_cbranch_execnz .LBB35_81
; %bb.82:
	s_or_b32 exec_lo, exec_lo, s5
	v_mov_b32_e32 v77, 0
	ds_read_b64 v[77:78], v77 offset:136
	s_waitcnt lgkmcnt(0)
	v_mul_f32_e32 v79, v74, v78
	v_mul_f32_e32 v78, v80, v78
	v_fma_f32 v79, v80, v77, -v79
	v_fmac_f32_e32 v78, v74, v77
	buffer_store_dword v79, off, s[0:3], 0 offset:136
	buffer_store_dword v78, off, s[0:3], 0 offset:140
.LBB35_83:
	s_or_b32 exec_lo, exec_lo, s4
	s_waitcnt_vscnt null, 0x0
	s_barrier
	buffer_gl0_inv
	s_clause 0x1
	buffer_load_dword v77, off, s[0:3], 0 offset:144
	buffer_load_dword v78, off, s[0:3], 0 offset:148
	s_mov_b32 s4, exec_lo
	s_waitcnt vmcnt(0)
	ds_write_b64 v76, v[77:78]
	s_waitcnt lgkmcnt(0)
	s_barrier
	buffer_gl0_inv
	v_cmpx_gt_u32_e32 18, v0
	s_cbranch_execz .LBB35_87
; %bb.84:
	v_add_nc_u32_e32 v77, -1, v0
	v_add_nc_u32_e32 v78, 0x120, v75
	v_mov_b32_e32 v79, v75
	v_mov_b32_e32 v74, 0
	;; [unrolled: 1-line block ×3, first 2 shown]
	s_mov_b32 s5, 0
	.p2align	6
.LBB35_85:                              ; =>This Inner Loop Header: Depth=1
	s_clause 0x1
	buffer_load_dword v83, v79, s[0:3], 0 offen offset:4
	buffer_load_dword v84, v79, s[0:3], 0 offen
	ds_read_b64 v[81:82], v78
	v_add_nc_u32_e32 v77, 1, v77
	v_add_nc_u32_e32 v78, 8, v78
	;; [unrolled: 1-line block ×3, first 2 shown]
	v_cmp_lt_u32_e32 vcc_lo, 16, v77
	s_or_b32 s5, vcc_lo, s5
	s_waitcnt vmcnt(1) lgkmcnt(0)
	v_mul_f32_e32 v85, v82, v83
	v_mul_f32_e32 v83, v81, v83
	s_waitcnt vmcnt(0)
	v_fma_f32 v81, v81, v84, -v85
	v_fmac_f32_e32 v83, v82, v84
	v_add_f32_e32 v80, v80, v81
	v_add_f32_e32 v74, v74, v83
	s_andn2_b32 exec_lo, exec_lo, s5
	s_cbranch_execnz .LBB35_85
; %bb.86:
	s_or_b32 exec_lo, exec_lo, s5
	v_mov_b32_e32 v77, 0
	ds_read_b64 v[77:78], v77 offset:144
	s_waitcnt lgkmcnt(0)
	v_mul_f32_e32 v79, v74, v78
	v_mul_f32_e32 v78, v80, v78
	v_fma_f32 v79, v80, v77, -v79
	v_fmac_f32_e32 v78, v74, v77
	buffer_store_dword v79, off, s[0:3], 0 offset:144
	buffer_store_dword v78, off, s[0:3], 0 offset:148
.LBB35_87:
	s_or_b32 exec_lo, exec_lo, s4
	s_waitcnt_vscnt null, 0x0
	s_barrier
	buffer_gl0_inv
	s_clause 0x1
	buffer_load_dword v77, off, s[0:3], 0 offset:152
	buffer_load_dword v78, off, s[0:3], 0 offset:156
	s_mov_b32 s4, exec_lo
	s_waitcnt vmcnt(0)
	ds_write_b64 v76, v[77:78]
	s_waitcnt lgkmcnt(0)
	s_barrier
	buffer_gl0_inv
	v_cmpx_gt_u32_e32 19, v0
	s_cbranch_execz .LBB35_91
; %bb.88:
	v_add_nc_u32_e32 v77, -1, v0
	v_add_nc_u32_e32 v78, 0x120, v75
	v_mov_b32_e32 v79, v75
	v_mov_b32_e32 v74, 0
	;; [unrolled: 1-line block ×3, first 2 shown]
	s_mov_b32 s5, 0
	.p2align	6
.LBB35_89:                              ; =>This Inner Loop Header: Depth=1
	s_clause 0x1
	buffer_load_dword v83, v79, s[0:3], 0 offen offset:4
	buffer_load_dword v84, v79, s[0:3], 0 offen
	ds_read_b64 v[81:82], v78
	v_add_nc_u32_e32 v77, 1, v77
	v_add_nc_u32_e32 v78, 8, v78
	;; [unrolled: 1-line block ×3, first 2 shown]
	v_cmp_lt_u32_e32 vcc_lo, 17, v77
	s_or_b32 s5, vcc_lo, s5
	s_waitcnt vmcnt(1) lgkmcnt(0)
	v_mul_f32_e32 v85, v82, v83
	v_mul_f32_e32 v83, v81, v83
	s_waitcnt vmcnt(0)
	v_fma_f32 v81, v81, v84, -v85
	v_fmac_f32_e32 v83, v82, v84
	v_add_f32_e32 v80, v80, v81
	v_add_f32_e32 v74, v74, v83
	s_andn2_b32 exec_lo, exec_lo, s5
	s_cbranch_execnz .LBB35_89
; %bb.90:
	s_or_b32 exec_lo, exec_lo, s5
	v_mov_b32_e32 v77, 0
	ds_read_b64 v[77:78], v77 offset:152
	s_waitcnt lgkmcnt(0)
	v_mul_f32_e32 v79, v74, v78
	v_mul_f32_e32 v78, v80, v78
	v_fma_f32 v79, v80, v77, -v79
	v_fmac_f32_e32 v78, v74, v77
	buffer_store_dword v79, off, s[0:3], 0 offset:152
	buffer_store_dword v78, off, s[0:3], 0 offset:156
.LBB35_91:
	s_or_b32 exec_lo, exec_lo, s4
	s_waitcnt_vscnt null, 0x0
	s_barrier
	buffer_gl0_inv
	s_clause 0x1
	buffer_load_dword v77, off, s[0:3], 0 offset:160
	buffer_load_dword v78, off, s[0:3], 0 offset:164
	s_mov_b32 s4, exec_lo
	s_waitcnt vmcnt(0)
	ds_write_b64 v76, v[77:78]
	s_waitcnt lgkmcnt(0)
	s_barrier
	buffer_gl0_inv
	v_cmpx_gt_u32_e32 20, v0
	s_cbranch_execz .LBB35_95
; %bb.92:
	v_add_nc_u32_e32 v77, -1, v0
	v_add_nc_u32_e32 v78, 0x120, v75
	v_mov_b32_e32 v79, v75
	v_mov_b32_e32 v74, 0
	;; [unrolled: 1-line block ×3, first 2 shown]
	s_mov_b32 s5, 0
	.p2align	6
.LBB35_93:                              ; =>This Inner Loop Header: Depth=1
	s_clause 0x1
	buffer_load_dword v83, v79, s[0:3], 0 offen offset:4
	buffer_load_dword v84, v79, s[0:3], 0 offen
	ds_read_b64 v[81:82], v78
	v_add_nc_u32_e32 v77, 1, v77
	v_add_nc_u32_e32 v78, 8, v78
	;; [unrolled: 1-line block ×3, first 2 shown]
	v_cmp_lt_u32_e32 vcc_lo, 18, v77
	s_or_b32 s5, vcc_lo, s5
	s_waitcnt vmcnt(1) lgkmcnt(0)
	v_mul_f32_e32 v85, v82, v83
	v_mul_f32_e32 v83, v81, v83
	s_waitcnt vmcnt(0)
	v_fma_f32 v81, v81, v84, -v85
	v_fmac_f32_e32 v83, v82, v84
	v_add_f32_e32 v80, v80, v81
	v_add_f32_e32 v74, v74, v83
	s_andn2_b32 exec_lo, exec_lo, s5
	s_cbranch_execnz .LBB35_93
; %bb.94:
	s_or_b32 exec_lo, exec_lo, s5
	v_mov_b32_e32 v77, 0
	ds_read_b64 v[77:78], v77 offset:160
	s_waitcnt lgkmcnt(0)
	v_mul_f32_e32 v79, v74, v78
	v_mul_f32_e32 v78, v80, v78
	v_fma_f32 v79, v80, v77, -v79
	v_fmac_f32_e32 v78, v74, v77
	buffer_store_dword v79, off, s[0:3], 0 offset:160
	buffer_store_dword v78, off, s[0:3], 0 offset:164
.LBB35_95:
	s_or_b32 exec_lo, exec_lo, s4
	s_waitcnt_vscnt null, 0x0
	s_barrier
	buffer_gl0_inv
	s_clause 0x1
	buffer_load_dword v77, off, s[0:3], 0 offset:168
	buffer_load_dword v78, off, s[0:3], 0 offset:172
	s_mov_b32 s4, exec_lo
	s_waitcnt vmcnt(0)
	ds_write_b64 v76, v[77:78]
	s_waitcnt lgkmcnt(0)
	s_barrier
	buffer_gl0_inv
	v_cmpx_gt_u32_e32 21, v0
	s_cbranch_execz .LBB35_99
; %bb.96:
	v_add_nc_u32_e32 v77, -1, v0
	v_add_nc_u32_e32 v78, 0x120, v75
	v_mov_b32_e32 v79, v75
	v_mov_b32_e32 v74, 0
	;; [unrolled: 1-line block ×3, first 2 shown]
	s_mov_b32 s5, 0
	.p2align	6
.LBB35_97:                              ; =>This Inner Loop Header: Depth=1
	s_clause 0x1
	buffer_load_dword v83, v79, s[0:3], 0 offen offset:4
	buffer_load_dword v84, v79, s[0:3], 0 offen
	ds_read_b64 v[81:82], v78
	v_add_nc_u32_e32 v77, 1, v77
	v_add_nc_u32_e32 v78, 8, v78
	;; [unrolled: 1-line block ×3, first 2 shown]
	v_cmp_lt_u32_e32 vcc_lo, 19, v77
	s_or_b32 s5, vcc_lo, s5
	s_waitcnt vmcnt(1) lgkmcnt(0)
	v_mul_f32_e32 v85, v82, v83
	v_mul_f32_e32 v83, v81, v83
	s_waitcnt vmcnt(0)
	v_fma_f32 v81, v81, v84, -v85
	v_fmac_f32_e32 v83, v82, v84
	v_add_f32_e32 v80, v80, v81
	v_add_f32_e32 v74, v74, v83
	s_andn2_b32 exec_lo, exec_lo, s5
	s_cbranch_execnz .LBB35_97
; %bb.98:
	s_or_b32 exec_lo, exec_lo, s5
	v_mov_b32_e32 v77, 0
	ds_read_b64 v[77:78], v77 offset:168
	s_waitcnt lgkmcnt(0)
	v_mul_f32_e32 v79, v74, v78
	v_mul_f32_e32 v78, v80, v78
	v_fma_f32 v79, v80, v77, -v79
	v_fmac_f32_e32 v78, v74, v77
	buffer_store_dword v79, off, s[0:3], 0 offset:168
	buffer_store_dword v78, off, s[0:3], 0 offset:172
.LBB35_99:
	s_or_b32 exec_lo, exec_lo, s4
	s_waitcnt_vscnt null, 0x0
	s_barrier
	buffer_gl0_inv
	s_clause 0x1
	buffer_load_dword v77, off, s[0:3], 0 offset:176
	buffer_load_dword v78, off, s[0:3], 0 offset:180
	s_mov_b32 s4, exec_lo
	s_waitcnt vmcnt(0)
	ds_write_b64 v76, v[77:78]
	s_waitcnt lgkmcnt(0)
	s_barrier
	buffer_gl0_inv
	v_cmpx_gt_u32_e32 22, v0
	s_cbranch_execz .LBB35_103
; %bb.100:
	v_add_nc_u32_e32 v77, -1, v0
	v_add_nc_u32_e32 v78, 0x120, v75
	v_mov_b32_e32 v79, v75
	v_mov_b32_e32 v74, 0
	;; [unrolled: 1-line block ×3, first 2 shown]
	s_mov_b32 s5, 0
	.p2align	6
.LBB35_101:                             ; =>This Inner Loop Header: Depth=1
	s_clause 0x1
	buffer_load_dword v83, v79, s[0:3], 0 offen offset:4
	buffer_load_dword v84, v79, s[0:3], 0 offen
	ds_read_b64 v[81:82], v78
	v_add_nc_u32_e32 v77, 1, v77
	v_add_nc_u32_e32 v78, 8, v78
	;; [unrolled: 1-line block ×3, first 2 shown]
	v_cmp_lt_u32_e32 vcc_lo, 20, v77
	s_or_b32 s5, vcc_lo, s5
	s_waitcnt vmcnt(1) lgkmcnt(0)
	v_mul_f32_e32 v85, v82, v83
	v_mul_f32_e32 v83, v81, v83
	s_waitcnt vmcnt(0)
	v_fma_f32 v81, v81, v84, -v85
	v_fmac_f32_e32 v83, v82, v84
	v_add_f32_e32 v80, v80, v81
	v_add_f32_e32 v74, v74, v83
	s_andn2_b32 exec_lo, exec_lo, s5
	s_cbranch_execnz .LBB35_101
; %bb.102:
	s_or_b32 exec_lo, exec_lo, s5
	v_mov_b32_e32 v77, 0
	ds_read_b64 v[77:78], v77 offset:176
	s_waitcnt lgkmcnt(0)
	v_mul_f32_e32 v79, v74, v78
	v_mul_f32_e32 v78, v80, v78
	v_fma_f32 v79, v80, v77, -v79
	v_fmac_f32_e32 v78, v74, v77
	buffer_store_dword v79, off, s[0:3], 0 offset:176
	buffer_store_dword v78, off, s[0:3], 0 offset:180
.LBB35_103:
	s_or_b32 exec_lo, exec_lo, s4
	s_waitcnt_vscnt null, 0x0
	s_barrier
	buffer_gl0_inv
	s_clause 0x1
	buffer_load_dword v77, off, s[0:3], 0 offset:184
	buffer_load_dword v78, off, s[0:3], 0 offset:188
	s_mov_b32 s4, exec_lo
	s_waitcnt vmcnt(0)
	ds_write_b64 v76, v[77:78]
	s_waitcnt lgkmcnt(0)
	s_barrier
	buffer_gl0_inv
	v_cmpx_gt_u32_e32 23, v0
	s_cbranch_execz .LBB35_107
; %bb.104:
	v_add_nc_u32_e32 v77, -1, v0
	v_add_nc_u32_e32 v78, 0x120, v75
	v_mov_b32_e32 v79, v75
	v_mov_b32_e32 v74, 0
	v_mov_b32_e32 v80, 0
	s_mov_b32 s5, 0
	.p2align	6
.LBB35_105:                             ; =>This Inner Loop Header: Depth=1
	s_clause 0x1
	buffer_load_dword v83, v79, s[0:3], 0 offen offset:4
	buffer_load_dword v84, v79, s[0:3], 0 offen
	ds_read_b64 v[81:82], v78
	v_add_nc_u32_e32 v77, 1, v77
	v_add_nc_u32_e32 v78, 8, v78
	;; [unrolled: 1-line block ×3, first 2 shown]
	v_cmp_lt_u32_e32 vcc_lo, 21, v77
	s_or_b32 s5, vcc_lo, s5
	s_waitcnt vmcnt(1) lgkmcnt(0)
	v_mul_f32_e32 v85, v82, v83
	v_mul_f32_e32 v83, v81, v83
	s_waitcnt vmcnt(0)
	v_fma_f32 v81, v81, v84, -v85
	v_fmac_f32_e32 v83, v82, v84
	v_add_f32_e32 v80, v80, v81
	v_add_f32_e32 v74, v74, v83
	s_andn2_b32 exec_lo, exec_lo, s5
	s_cbranch_execnz .LBB35_105
; %bb.106:
	s_or_b32 exec_lo, exec_lo, s5
	v_mov_b32_e32 v77, 0
	ds_read_b64 v[77:78], v77 offset:184
	s_waitcnt lgkmcnt(0)
	v_mul_f32_e32 v79, v74, v78
	v_mul_f32_e32 v78, v80, v78
	v_fma_f32 v79, v80, v77, -v79
	v_fmac_f32_e32 v78, v74, v77
	buffer_store_dword v79, off, s[0:3], 0 offset:184
	buffer_store_dword v78, off, s[0:3], 0 offset:188
.LBB35_107:
	s_or_b32 exec_lo, exec_lo, s4
	s_waitcnt_vscnt null, 0x0
	s_barrier
	buffer_gl0_inv
	s_clause 0x1
	buffer_load_dword v77, off, s[0:3], 0 offset:192
	buffer_load_dword v78, off, s[0:3], 0 offset:196
	s_mov_b32 s4, exec_lo
	s_waitcnt vmcnt(0)
	ds_write_b64 v76, v[77:78]
	s_waitcnt lgkmcnt(0)
	s_barrier
	buffer_gl0_inv
	v_cmpx_gt_u32_e32 24, v0
	s_cbranch_execz .LBB35_111
; %bb.108:
	v_add_nc_u32_e32 v77, -1, v0
	v_add_nc_u32_e32 v78, 0x120, v75
	v_mov_b32_e32 v79, v75
	v_mov_b32_e32 v74, 0
	;; [unrolled: 1-line block ×3, first 2 shown]
	s_mov_b32 s5, 0
	.p2align	6
.LBB35_109:                             ; =>This Inner Loop Header: Depth=1
	s_clause 0x1
	buffer_load_dword v83, v79, s[0:3], 0 offen offset:4
	buffer_load_dword v84, v79, s[0:3], 0 offen
	ds_read_b64 v[81:82], v78
	v_add_nc_u32_e32 v77, 1, v77
	v_add_nc_u32_e32 v78, 8, v78
	;; [unrolled: 1-line block ×3, first 2 shown]
	v_cmp_lt_u32_e32 vcc_lo, 22, v77
	s_or_b32 s5, vcc_lo, s5
	s_waitcnt vmcnt(1) lgkmcnt(0)
	v_mul_f32_e32 v85, v82, v83
	v_mul_f32_e32 v83, v81, v83
	s_waitcnt vmcnt(0)
	v_fma_f32 v81, v81, v84, -v85
	v_fmac_f32_e32 v83, v82, v84
	v_add_f32_e32 v80, v80, v81
	v_add_f32_e32 v74, v74, v83
	s_andn2_b32 exec_lo, exec_lo, s5
	s_cbranch_execnz .LBB35_109
; %bb.110:
	s_or_b32 exec_lo, exec_lo, s5
	v_mov_b32_e32 v77, 0
	ds_read_b64 v[77:78], v77 offset:192
	s_waitcnt lgkmcnt(0)
	v_mul_f32_e32 v79, v74, v78
	v_mul_f32_e32 v78, v80, v78
	v_fma_f32 v79, v80, v77, -v79
	v_fmac_f32_e32 v78, v74, v77
	buffer_store_dword v79, off, s[0:3], 0 offset:192
	buffer_store_dword v78, off, s[0:3], 0 offset:196
.LBB35_111:
	s_or_b32 exec_lo, exec_lo, s4
	s_waitcnt_vscnt null, 0x0
	s_barrier
	buffer_gl0_inv
	s_clause 0x1
	buffer_load_dword v77, off, s[0:3], 0 offset:200
	buffer_load_dword v78, off, s[0:3], 0 offset:204
	s_mov_b32 s4, exec_lo
	s_waitcnt vmcnt(0)
	ds_write_b64 v76, v[77:78]
	s_waitcnt lgkmcnt(0)
	s_barrier
	buffer_gl0_inv
	v_cmpx_gt_u32_e32 25, v0
	s_cbranch_execz .LBB35_115
; %bb.112:
	v_add_nc_u32_e32 v77, -1, v0
	v_add_nc_u32_e32 v78, 0x120, v75
	v_mov_b32_e32 v79, v75
	v_mov_b32_e32 v74, 0
	;; [unrolled: 1-line block ×3, first 2 shown]
	s_mov_b32 s5, 0
	.p2align	6
.LBB35_113:                             ; =>This Inner Loop Header: Depth=1
	s_clause 0x1
	buffer_load_dword v83, v79, s[0:3], 0 offen offset:4
	buffer_load_dword v84, v79, s[0:3], 0 offen
	ds_read_b64 v[81:82], v78
	v_add_nc_u32_e32 v77, 1, v77
	v_add_nc_u32_e32 v78, 8, v78
	;; [unrolled: 1-line block ×3, first 2 shown]
	v_cmp_lt_u32_e32 vcc_lo, 23, v77
	s_or_b32 s5, vcc_lo, s5
	s_waitcnt vmcnt(1) lgkmcnt(0)
	v_mul_f32_e32 v85, v82, v83
	v_mul_f32_e32 v83, v81, v83
	s_waitcnt vmcnt(0)
	v_fma_f32 v81, v81, v84, -v85
	v_fmac_f32_e32 v83, v82, v84
	v_add_f32_e32 v80, v80, v81
	v_add_f32_e32 v74, v74, v83
	s_andn2_b32 exec_lo, exec_lo, s5
	s_cbranch_execnz .LBB35_113
; %bb.114:
	s_or_b32 exec_lo, exec_lo, s5
	v_mov_b32_e32 v77, 0
	ds_read_b64 v[77:78], v77 offset:200
	s_waitcnt lgkmcnt(0)
	v_mul_f32_e32 v79, v74, v78
	v_mul_f32_e32 v78, v80, v78
	v_fma_f32 v79, v80, v77, -v79
	v_fmac_f32_e32 v78, v74, v77
	buffer_store_dword v79, off, s[0:3], 0 offset:200
	buffer_store_dword v78, off, s[0:3], 0 offset:204
.LBB35_115:
	s_or_b32 exec_lo, exec_lo, s4
	s_waitcnt_vscnt null, 0x0
	s_barrier
	buffer_gl0_inv
	s_clause 0x1
	buffer_load_dword v77, off, s[0:3], 0 offset:208
	buffer_load_dword v78, off, s[0:3], 0 offset:212
	s_mov_b32 s4, exec_lo
	s_waitcnt vmcnt(0)
	ds_write_b64 v76, v[77:78]
	s_waitcnt lgkmcnt(0)
	s_barrier
	buffer_gl0_inv
	v_cmpx_gt_u32_e32 26, v0
	s_cbranch_execz .LBB35_119
; %bb.116:
	v_add_nc_u32_e32 v77, -1, v0
	v_add_nc_u32_e32 v78, 0x120, v75
	v_mov_b32_e32 v79, v75
	v_mov_b32_e32 v74, 0
	;; [unrolled: 1-line block ×3, first 2 shown]
	s_mov_b32 s5, 0
	.p2align	6
.LBB35_117:                             ; =>This Inner Loop Header: Depth=1
	s_clause 0x1
	buffer_load_dword v83, v79, s[0:3], 0 offen offset:4
	buffer_load_dword v84, v79, s[0:3], 0 offen
	ds_read_b64 v[81:82], v78
	v_add_nc_u32_e32 v77, 1, v77
	v_add_nc_u32_e32 v78, 8, v78
	;; [unrolled: 1-line block ×3, first 2 shown]
	v_cmp_lt_u32_e32 vcc_lo, 24, v77
	s_or_b32 s5, vcc_lo, s5
	s_waitcnt vmcnt(1) lgkmcnt(0)
	v_mul_f32_e32 v85, v82, v83
	v_mul_f32_e32 v83, v81, v83
	s_waitcnt vmcnt(0)
	v_fma_f32 v81, v81, v84, -v85
	v_fmac_f32_e32 v83, v82, v84
	v_add_f32_e32 v80, v80, v81
	v_add_f32_e32 v74, v74, v83
	s_andn2_b32 exec_lo, exec_lo, s5
	s_cbranch_execnz .LBB35_117
; %bb.118:
	s_or_b32 exec_lo, exec_lo, s5
	v_mov_b32_e32 v77, 0
	ds_read_b64 v[77:78], v77 offset:208
	s_waitcnt lgkmcnt(0)
	v_mul_f32_e32 v79, v74, v78
	v_mul_f32_e32 v78, v80, v78
	v_fma_f32 v79, v80, v77, -v79
	v_fmac_f32_e32 v78, v74, v77
	buffer_store_dword v79, off, s[0:3], 0 offset:208
	buffer_store_dword v78, off, s[0:3], 0 offset:212
.LBB35_119:
	s_or_b32 exec_lo, exec_lo, s4
	s_waitcnt_vscnt null, 0x0
	s_barrier
	buffer_gl0_inv
	s_clause 0x1
	buffer_load_dword v77, off, s[0:3], 0 offset:216
	buffer_load_dword v78, off, s[0:3], 0 offset:220
	s_mov_b32 s4, exec_lo
	s_waitcnt vmcnt(0)
	ds_write_b64 v76, v[77:78]
	s_waitcnt lgkmcnt(0)
	s_barrier
	buffer_gl0_inv
	v_cmpx_gt_u32_e32 27, v0
	s_cbranch_execz .LBB35_123
; %bb.120:
	v_add_nc_u32_e32 v77, -1, v0
	v_add_nc_u32_e32 v78, 0x120, v75
	v_mov_b32_e32 v79, v75
	v_mov_b32_e32 v74, 0
	;; [unrolled: 1-line block ×3, first 2 shown]
	s_mov_b32 s5, 0
	.p2align	6
.LBB35_121:                             ; =>This Inner Loop Header: Depth=1
	s_clause 0x1
	buffer_load_dword v83, v79, s[0:3], 0 offen offset:4
	buffer_load_dword v84, v79, s[0:3], 0 offen
	ds_read_b64 v[81:82], v78
	v_add_nc_u32_e32 v77, 1, v77
	v_add_nc_u32_e32 v78, 8, v78
	;; [unrolled: 1-line block ×3, first 2 shown]
	v_cmp_lt_u32_e32 vcc_lo, 25, v77
	s_or_b32 s5, vcc_lo, s5
	s_waitcnt vmcnt(1) lgkmcnt(0)
	v_mul_f32_e32 v85, v82, v83
	v_mul_f32_e32 v83, v81, v83
	s_waitcnt vmcnt(0)
	v_fma_f32 v81, v81, v84, -v85
	v_fmac_f32_e32 v83, v82, v84
	v_add_f32_e32 v80, v80, v81
	v_add_f32_e32 v74, v74, v83
	s_andn2_b32 exec_lo, exec_lo, s5
	s_cbranch_execnz .LBB35_121
; %bb.122:
	s_or_b32 exec_lo, exec_lo, s5
	v_mov_b32_e32 v77, 0
	ds_read_b64 v[77:78], v77 offset:216
	s_waitcnt lgkmcnt(0)
	v_mul_f32_e32 v79, v74, v78
	v_mul_f32_e32 v78, v80, v78
	v_fma_f32 v79, v80, v77, -v79
	v_fmac_f32_e32 v78, v74, v77
	buffer_store_dword v79, off, s[0:3], 0 offset:216
	buffer_store_dword v78, off, s[0:3], 0 offset:220
.LBB35_123:
	s_or_b32 exec_lo, exec_lo, s4
	s_waitcnt_vscnt null, 0x0
	s_barrier
	buffer_gl0_inv
	s_clause 0x1
	buffer_load_dword v77, off, s[0:3], 0 offset:224
	buffer_load_dword v78, off, s[0:3], 0 offset:228
	s_mov_b32 s4, exec_lo
	s_waitcnt vmcnt(0)
	ds_write_b64 v76, v[77:78]
	s_waitcnt lgkmcnt(0)
	s_barrier
	buffer_gl0_inv
	v_cmpx_gt_u32_e32 28, v0
	s_cbranch_execz .LBB35_127
; %bb.124:
	v_add_nc_u32_e32 v77, -1, v0
	v_add_nc_u32_e32 v78, 0x120, v75
	v_mov_b32_e32 v79, v75
	v_mov_b32_e32 v74, 0
	;; [unrolled: 1-line block ×3, first 2 shown]
	s_mov_b32 s5, 0
	.p2align	6
.LBB35_125:                             ; =>This Inner Loop Header: Depth=1
	s_clause 0x1
	buffer_load_dword v83, v79, s[0:3], 0 offen offset:4
	buffer_load_dword v84, v79, s[0:3], 0 offen
	ds_read_b64 v[81:82], v78
	v_add_nc_u32_e32 v77, 1, v77
	v_add_nc_u32_e32 v78, 8, v78
	;; [unrolled: 1-line block ×3, first 2 shown]
	v_cmp_lt_u32_e32 vcc_lo, 26, v77
	s_or_b32 s5, vcc_lo, s5
	s_waitcnt vmcnt(1) lgkmcnt(0)
	v_mul_f32_e32 v85, v82, v83
	v_mul_f32_e32 v83, v81, v83
	s_waitcnt vmcnt(0)
	v_fma_f32 v81, v81, v84, -v85
	v_fmac_f32_e32 v83, v82, v84
	v_add_f32_e32 v80, v80, v81
	v_add_f32_e32 v74, v74, v83
	s_andn2_b32 exec_lo, exec_lo, s5
	s_cbranch_execnz .LBB35_125
; %bb.126:
	s_or_b32 exec_lo, exec_lo, s5
	v_mov_b32_e32 v77, 0
	ds_read_b64 v[77:78], v77 offset:224
	s_waitcnt lgkmcnt(0)
	v_mul_f32_e32 v79, v74, v78
	v_mul_f32_e32 v78, v80, v78
	v_fma_f32 v79, v80, v77, -v79
	v_fmac_f32_e32 v78, v74, v77
	buffer_store_dword v79, off, s[0:3], 0 offset:224
	buffer_store_dword v78, off, s[0:3], 0 offset:228
.LBB35_127:
	s_or_b32 exec_lo, exec_lo, s4
	s_waitcnt_vscnt null, 0x0
	s_barrier
	buffer_gl0_inv
	s_clause 0x1
	buffer_load_dword v77, off, s[0:3], 0 offset:232
	buffer_load_dword v78, off, s[0:3], 0 offset:236
	s_mov_b32 s4, exec_lo
	s_waitcnt vmcnt(0)
	ds_write_b64 v76, v[77:78]
	s_waitcnt lgkmcnt(0)
	s_barrier
	buffer_gl0_inv
	v_cmpx_gt_u32_e32 29, v0
	s_cbranch_execz .LBB35_131
; %bb.128:
	v_add_nc_u32_e32 v77, -1, v0
	v_add_nc_u32_e32 v78, 0x120, v75
	v_mov_b32_e32 v79, v75
	v_mov_b32_e32 v74, 0
	;; [unrolled: 1-line block ×3, first 2 shown]
	s_mov_b32 s5, 0
	.p2align	6
.LBB35_129:                             ; =>This Inner Loop Header: Depth=1
	s_clause 0x1
	buffer_load_dword v83, v79, s[0:3], 0 offen offset:4
	buffer_load_dword v84, v79, s[0:3], 0 offen
	ds_read_b64 v[81:82], v78
	v_add_nc_u32_e32 v77, 1, v77
	v_add_nc_u32_e32 v78, 8, v78
	;; [unrolled: 1-line block ×3, first 2 shown]
	v_cmp_lt_u32_e32 vcc_lo, 27, v77
	s_or_b32 s5, vcc_lo, s5
	s_waitcnt vmcnt(1) lgkmcnt(0)
	v_mul_f32_e32 v85, v82, v83
	v_mul_f32_e32 v83, v81, v83
	s_waitcnt vmcnt(0)
	v_fma_f32 v81, v81, v84, -v85
	v_fmac_f32_e32 v83, v82, v84
	v_add_f32_e32 v80, v80, v81
	v_add_f32_e32 v74, v74, v83
	s_andn2_b32 exec_lo, exec_lo, s5
	s_cbranch_execnz .LBB35_129
; %bb.130:
	s_or_b32 exec_lo, exec_lo, s5
	v_mov_b32_e32 v77, 0
	ds_read_b64 v[77:78], v77 offset:232
	s_waitcnt lgkmcnt(0)
	v_mul_f32_e32 v79, v74, v78
	v_mul_f32_e32 v78, v80, v78
	v_fma_f32 v79, v80, v77, -v79
	v_fmac_f32_e32 v78, v74, v77
	buffer_store_dword v79, off, s[0:3], 0 offset:232
	buffer_store_dword v78, off, s[0:3], 0 offset:236
.LBB35_131:
	s_or_b32 exec_lo, exec_lo, s4
	s_waitcnt_vscnt null, 0x0
	s_barrier
	buffer_gl0_inv
	s_clause 0x1
	buffer_load_dword v77, off, s[0:3], 0 offset:240
	buffer_load_dword v78, off, s[0:3], 0 offset:244
	s_mov_b32 s4, exec_lo
	s_waitcnt vmcnt(0)
	ds_write_b64 v76, v[77:78]
	s_waitcnt lgkmcnt(0)
	s_barrier
	buffer_gl0_inv
	v_cmpx_gt_u32_e32 30, v0
	s_cbranch_execz .LBB35_135
; %bb.132:
	v_add_nc_u32_e32 v77, -1, v0
	v_add_nc_u32_e32 v78, 0x120, v75
	v_mov_b32_e32 v79, v75
	v_mov_b32_e32 v74, 0
	;; [unrolled: 1-line block ×3, first 2 shown]
	s_mov_b32 s5, 0
	.p2align	6
.LBB35_133:                             ; =>This Inner Loop Header: Depth=1
	s_clause 0x1
	buffer_load_dword v83, v79, s[0:3], 0 offen offset:4
	buffer_load_dword v84, v79, s[0:3], 0 offen
	ds_read_b64 v[81:82], v78
	v_add_nc_u32_e32 v77, 1, v77
	v_add_nc_u32_e32 v78, 8, v78
	;; [unrolled: 1-line block ×3, first 2 shown]
	v_cmp_lt_u32_e32 vcc_lo, 28, v77
	s_or_b32 s5, vcc_lo, s5
	s_waitcnt vmcnt(1) lgkmcnt(0)
	v_mul_f32_e32 v85, v82, v83
	v_mul_f32_e32 v83, v81, v83
	s_waitcnt vmcnt(0)
	v_fma_f32 v81, v81, v84, -v85
	v_fmac_f32_e32 v83, v82, v84
	v_add_f32_e32 v80, v80, v81
	v_add_f32_e32 v74, v74, v83
	s_andn2_b32 exec_lo, exec_lo, s5
	s_cbranch_execnz .LBB35_133
; %bb.134:
	s_or_b32 exec_lo, exec_lo, s5
	v_mov_b32_e32 v77, 0
	ds_read_b64 v[77:78], v77 offset:240
	s_waitcnt lgkmcnt(0)
	v_mul_f32_e32 v79, v74, v78
	v_mul_f32_e32 v78, v80, v78
	v_fma_f32 v79, v80, v77, -v79
	v_fmac_f32_e32 v78, v74, v77
	buffer_store_dword v79, off, s[0:3], 0 offset:240
	buffer_store_dword v78, off, s[0:3], 0 offset:244
.LBB35_135:
	s_or_b32 exec_lo, exec_lo, s4
	s_waitcnt_vscnt null, 0x0
	s_barrier
	buffer_gl0_inv
	s_clause 0x1
	buffer_load_dword v77, off, s[0:3], 0 offset:248
	buffer_load_dword v78, off, s[0:3], 0 offset:252
	s_mov_b32 s4, exec_lo
	s_waitcnt vmcnt(0)
	ds_write_b64 v76, v[77:78]
	s_waitcnt lgkmcnt(0)
	s_barrier
	buffer_gl0_inv
	v_cmpx_gt_u32_e32 31, v0
	s_cbranch_execz .LBB35_139
; %bb.136:
	v_add_nc_u32_e32 v77, -1, v0
	v_add_nc_u32_e32 v78, 0x120, v75
	v_mov_b32_e32 v79, v75
	v_mov_b32_e32 v74, 0
	;; [unrolled: 1-line block ×3, first 2 shown]
	s_mov_b32 s5, 0
	.p2align	6
.LBB35_137:                             ; =>This Inner Loop Header: Depth=1
	s_clause 0x1
	buffer_load_dword v83, v79, s[0:3], 0 offen offset:4
	buffer_load_dword v84, v79, s[0:3], 0 offen
	ds_read_b64 v[81:82], v78
	v_add_nc_u32_e32 v77, 1, v77
	v_add_nc_u32_e32 v78, 8, v78
	;; [unrolled: 1-line block ×3, first 2 shown]
	v_cmp_lt_u32_e32 vcc_lo, 29, v77
	s_or_b32 s5, vcc_lo, s5
	s_waitcnt vmcnt(1) lgkmcnt(0)
	v_mul_f32_e32 v85, v82, v83
	v_mul_f32_e32 v83, v81, v83
	s_waitcnt vmcnt(0)
	v_fma_f32 v81, v81, v84, -v85
	v_fmac_f32_e32 v83, v82, v84
	v_add_f32_e32 v80, v80, v81
	v_add_f32_e32 v74, v74, v83
	s_andn2_b32 exec_lo, exec_lo, s5
	s_cbranch_execnz .LBB35_137
; %bb.138:
	s_or_b32 exec_lo, exec_lo, s5
	v_mov_b32_e32 v77, 0
	ds_read_b64 v[77:78], v77 offset:248
	s_waitcnt lgkmcnt(0)
	v_mul_f32_e32 v79, v74, v78
	v_mul_f32_e32 v78, v80, v78
	v_fma_f32 v79, v80, v77, -v79
	v_fmac_f32_e32 v78, v74, v77
	buffer_store_dword v79, off, s[0:3], 0 offset:248
	buffer_store_dword v78, off, s[0:3], 0 offset:252
.LBB35_139:
	s_or_b32 exec_lo, exec_lo, s4
	s_waitcnt_vscnt null, 0x0
	s_barrier
	buffer_gl0_inv
	s_clause 0x1
	buffer_load_dword v77, off, s[0:3], 0 offset:256
	buffer_load_dword v78, off, s[0:3], 0 offset:260
	s_mov_b32 s4, exec_lo
	s_waitcnt vmcnt(0)
	ds_write_b64 v76, v[77:78]
	s_waitcnt lgkmcnt(0)
	s_barrier
	buffer_gl0_inv
	v_cmpx_gt_u32_e32 32, v0
	s_cbranch_execz .LBB35_143
; %bb.140:
	v_add_nc_u32_e32 v77, -1, v0
	v_add_nc_u32_e32 v78, 0x120, v75
	v_mov_b32_e32 v79, v75
	v_mov_b32_e32 v74, 0
	;; [unrolled: 1-line block ×3, first 2 shown]
	s_mov_b32 s5, 0
	.p2align	6
.LBB35_141:                             ; =>This Inner Loop Header: Depth=1
	s_clause 0x1
	buffer_load_dword v83, v79, s[0:3], 0 offen offset:4
	buffer_load_dword v84, v79, s[0:3], 0 offen
	ds_read_b64 v[81:82], v78
	v_add_nc_u32_e32 v77, 1, v77
	v_add_nc_u32_e32 v78, 8, v78
	;; [unrolled: 1-line block ×3, first 2 shown]
	v_cmp_lt_u32_e32 vcc_lo, 30, v77
	s_or_b32 s5, vcc_lo, s5
	s_waitcnt vmcnt(1) lgkmcnt(0)
	v_mul_f32_e32 v85, v82, v83
	v_mul_f32_e32 v83, v81, v83
	s_waitcnt vmcnt(0)
	v_fma_f32 v81, v81, v84, -v85
	v_fmac_f32_e32 v83, v82, v84
	v_add_f32_e32 v80, v80, v81
	v_add_f32_e32 v74, v74, v83
	s_andn2_b32 exec_lo, exec_lo, s5
	s_cbranch_execnz .LBB35_141
; %bb.142:
	s_or_b32 exec_lo, exec_lo, s5
	v_mov_b32_e32 v77, 0
	ds_read_b64 v[77:78], v77 offset:256
	s_waitcnt lgkmcnt(0)
	v_mul_f32_e32 v79, v74, v78
	v_mul_f32_e32 v78, v80, v78
	v_fma_f32 v79, v80, v77, -v79
	v_fmac_f32_e32 v78, v74, v77
	buffer_store_dword v79, off, s[0:3], 0 offset:256
	buffer_store_dword v78, off, s[0:3], 0 offset:260
.LBB35_143:
	s_or_b32 exec_lo, exec_lo, s4
	s_waitcnt_vscnt null, 0x0
	s_barrier
	buffer_gl0_inv
	s_clause 0x1
	buffer_load_dword v77, off, s[0:3], 0 offset:264
	buffer_load_dword v78, off, s[0:3], 0 offset:268
	s_mov_b32 s4, exec_lo
	s_waitcnt vmcnt(0)
	ds_write_b64 v76, v[77:78]
	s_waitcnt lgkmcnt(0)
	s_barrier
	buffer_gl0_inv
	v_cmpx_gt_u32_e32 33, v0
	s_cbranch_execz .LBB35_147
; %bb.144:
	v_add_nc_u32_e32 v77, -1, v0
	v_add_nc_u32_e32 v78, 0x120, v75
	v_mov_b32_e32 v79, v75
	v_mov_b32_e32 v74, 0
	;; [unrolled: 1-line block ×3, first 2 shown]
	s_mov_b32 s5, 0
	.p2align	6
.LBB35_145:                             ; =>This Inner Loop Header: Depth=1
	s_clause 0x1
	buffer_load_dword v83, v79, s[0:3], 0 offen offset:4
	buffer_load_dword v84, v79, s[0:3], 0 offen
	ds_read_b64 v[81:82], v78
	v_add_nc_u32_e32 v77, 1, v77
	v_add_nc_u32_e32 v78, 8, v78
	;; [unrolled: 1-line block ×3, first 2 shown]
	v_cmp_lt_u32_e32 vcc_lo, 31, v77
	s_or_b32 s5, vcc_lo, s5
	s_waitcnt vmcnt(1) lgkmcnt(0)
	v_mul_f32_e32 v85, v82, v83
	v_mul_f32_e32 v83, v81, v83
	s_waitcnt vmcnt(0)
	v_fma_f32 v81, v81, v84, -v85
	v_fmac_f32_e32 v83, v82, v84
	v_add_f32_e32 v80, v80, v81
	v_add_f32_e32 v74, v74, v83
	s_andn2_b32 exec_lo, exec_lo, s5
	s_cbranch_execnz .LBB35_145
; %bb.146:
	s_or_b32 exec_lo, exec_lo, s5
	v_mov_b32_e32 v77, 0
	ds_read_b64 v[77:78], v77 offset:264
	s_waitcnt lgkmcnt(0)
	v_mul_f32_e32 v79, v74, v78
	v_mul_f32_e32 v78, v80, v78
	v_fma_f32 v79, v80, v77, -v79
	v_fmac_f32_e32 v78, v74, v77
	buffer_store_dword v79, off, s[0:3], 0 offset:264
	buffer_store_dword v78, off, s[0:3], 0 offset:268
.LBB35_147:
	s_or_b32 exec_lo, exec_lo, s4
	s_waitcnt_vscnt null, 0x0
	s_barrier
	buffer_gl0_inv
	s_clause 0x1
	buffer_load_dword v77, off, s[0:3], 0 offset:272
	buffer_load_dword v78, off, s[0:3], 0 offset:276
	s_mov_b32 s4, exec_lo
	s_waitcnt vmcnt(0)
	ds_write_b64 v76, v[77:78]
	s_waitcnt lgkmcnt(0)
	s_barrier
	buffer_gl0_inv
	v_cmpx_gt_u32_e32 34, v0
	s_cbranch_execz .LBB35_151
; %bb.148:
	v_add_nc_u32_e32 v77, -1, v0
	v_add_nc_u32_e32 v78, 0x120, v75
	v_mov_b32_e32 v79, v75
	v_mov_b32_e32 v74, 0
	;; [unrolled: 1-line block ×3, first 2 shown]
	s_mov_b32 s5, 0
	.p2align	6
.LBB35_149:                             ; =>This Inner Loop Header: Depth=1
	s_clause 0x1
	buffer_load_dword v83, v79, s[0:3], 0 offen offset:4
	buffer_load_dword v84, v79, s[0:3], 0 offen
	ds_read_b64 v[81:82], v78
	v_add_nc_u32_e32 v77, 1, v77
	v_add_nc_u32_e32 v78, 8, v78
	;; [unrolled: 1-line block ×3, first 2 shown]
	v_cmp_lt_u32_e32 vcc_lo, 32, v77
	s_or_b32 s5, vcc_lo, s5
	s_waitcnt vmcnt(1) lgkmcnt(0)
	v_mul_f32_e32 v85, v82, v83
	v_mul_f32_e32 v83, v81, v83
	s_waitcnt vmcnt(0)
	v_fma_f32 v81, v81, v84, -v85
	v_fmac_f32_e32 v83, v82, v84
	v_add_f32_e32 v80, v80, v81
	v_add_f32_e32 v74, v74, v83
	s_andn2_b32 exec_lo, exec_lo, s5
	s_cbranch_execnz .LBB35_149
; %bb.150:
	s_or_b32 exec_lo, exec_lo, s5
	v_mov_b32_e32 v77, 0
	ds_read_b64 v[77:78], v77 offset:272
	s_waitcnt lgkmcnt(0)
	v_mul_f32_e32 v79, v74, v78
	v_mul_f32_e32 v78, v80, v78
	v_fma_f32 v79, v80, v77, -v79
	v_fmac_f32_e32 v78, v74, v77
	buffer_store_dword v79, off, s[0:3], 0 offset:272
	buffer_store_dword v78, off, s[0:3], 0 offset:276
.LBB35_151:
	s_or_b32 exec_lo, exec_lo, s4
	s_waitcnt_vscnt null, 0x0
	s_barrier
	buffer_gl0_inv
	s_clause 0x1
	buffer_load_dword v77, off, s[0:3], 0 offset:280
	buffer_load_dword v78, off, s[0:3], 0 offset:284
	s_mov_b32 s4, exec_lo
	s_waitcnt vmcnt(0)
	ds_write_b64 v76, v[77:78]
	s_waitcnt lgkmcnt(0)
	s_barrier
	buffer_gl0_inv
	v_cmpx_ne_u32_e32 35, v0
	s_cbranch_execz .LBB35_155
; %bb.152:
	v_mov_b32_e32 v74, 0
	v_mov_b32_e32 v77, 0
	s_mov_b32 s5, 0
	.p2align	6
.LBB35_153:                             ; =>This Inner Loop Header: Depth=1
	s_clause 0x1
	buffer_load_dword v80, v75, s[0:3], 0 offen offset:4
	buffer_load_dword v81, v75, s[0:3], 0 offen
	ds_read_b64 v[78:79], v76
	v_add_nc_u32_e32 v73, 1, v73
	v_add_nc_u32_e32 v76, 8, v76
	;; [unrolled: 1-line block ×3, first 2 shown]
	v_cmp_lt_u32_e32 vcc_lo, 33, v73
	s_or_b32 s5, vcc_lo, s5
	s_waitcnt vmcnt(1) lgkmcnt(0)
	v_mul_f32_e32 v82, v79, v80
	v_mul_f32_e32 v80, v78, v80
	s_waitcnt vmcnt(0)
	v_fma_f32 v78, v78, v81, -v82
	v_fmac_f32_e32 v80, v79, v81
	v_add_f32_e32 v77, v77, v78
	v_add_f32_e32 v74, v74, v80
	s_andn2_b32 exec_lo, exec_lo, s5
	s_cbranch_execnz .LBB35_153
; %bb.154:
	s_or_b32 exec_lo, exec_lo, s5
	v_mov_b32_e32 v73, 0
	ds_read_b64 v[75:76], v73 offset:280
	s_waitcnt lgkmcnt(0)
	v_mul_f32_e32 v73, v74, v76
	v_mul_f32_e32 v76, v77, v76
	v_fma_f32 v73, v77, v75, -v73
	v_fmac_f32_e32 v76, v74, v75
	buffer_store_dword v73, off, s[0:3], 0 offset:280
	buffer_store_dword v76, off, s[0:3], 0 offset:284
.LBB35_155:
	s_or_b32 exec_lo, exec_lo, s4
	s_mov_b32 s5, -1
	s_waitcnt_vscnt null, 0x0
	s_barrier
	buffer_gl0_inv
.LBB35_156:
	s_and_b32 vcc_lo, exec_lo, s5
	s_cbranch_vccz .LBB35_158
; %bb.157:
	s_lshl_b64 s[4:5], s[6:7], 2
	v_mov_b32_e32 v73, 0
	s_add_u32 s4, s10, s4
	s_addc_u32 s5, s11, s5
	global_load_dword v73, v73, s[4:5]
	s_waitcnt vmcnt(0)
	v_cmp_ne_u32_e32 vcc_lo, 0, v73
	s_cbranch_vccz .LBB35_159
.LBB35_158:
	s_endpgm
.LBB35_159:
	v_lshl_add_u32 v73, v0, 3, 0x120
	s_mov_b32 s4, exec_lo
	v_cmpx_eq_u32_e32 35, v0
	s_cbranch_execz .LBB35_161
; %bb.160:
	s_clause 0x1
	buffer_load_dword v74, off, s[0:3], 0 offset:272
	buffer_load_dword v75, off, s[0:3], 0 offset:276
	v_mov_b32_e32 v76, 0
	buffer_store_dword v76, off, s[0:3], 0 offset:272
	buffer_store_dword v76, off, s[0:3], 0 offset:276
	s_waitcnt vmcnt(0)
	ds_write_b64 v73, v[74:75]
.LBB35_161:
	s_or_b32 exec_lo, exec_lo, s4
	s_waitcnt lgkmcnt(0)
	s_waitcnt_vscnt null, 0x0
	s_barrier
	buffer_gl0_inv
	s_clause 0x3
	buffer_load_dword v77, off, s[0:3], 0 offset:284
	buffer_load_dword v78, off, s[0:3], 0 offset:280
	buffer_load_dword v79, off, s[0:3], 0 offset:272
	buffer_load_dword v80, off, s[0:3], 0 offset:276
	v_mov_b32_e32 v74, 0
	s_mov_b32 s4, exec_lo
	ds_read_b64 v[75:76], v74 offset:568
	s_waitcnt vmcnt(3) lgkmcnt(0)
	v_mul_f32_e32 v81, v76, v77
	v_mul_f32_e32 v77, v75, v77
	s_waitcnt vmcnt(2)
	v_fma_f32 v75, v75, v78, -v81
	v_fmac_f32_e32 v77, v76, v78
	v_add_f32_e32 v75, 0, v75
	v_add_f32_e32 v76, 0, v77
	s_waitcnt vmcnt(1)
	v_sub_f32_e32 v75, v79, v75
	s_waitcnt vmcnt(0)
	v_sub_f32_e32 v76, v80, v76
	buffer_store_dword v75, off, s[0:3], 0 offset:272
	buffer_store_dword v76, off, s[0:3], 0 offset:276
	v_cmpx_lt_u32_e32 33, v0
	s_cbranch_execz .LBB35_163
; %bb.162:
	s_clause 0x1
	buffer_load_dword v75, off, s[0:3], 0 offset:264
	buffer_load_dword v76, off, s[0:3], 0 offset:268
	buffer_store_dword v74, off, s[0:3], 0 offset:264
	buffer_store_dword v74, off, s[0:3], 0 offset:268
	s_waitcnt vmcnt(0)
	ds_write_b64 v73, v[75:76]
.LBB35_163:
	s_or_b32 exec_lo, exec_lo, s4
	s_waitcnt lgkmcnt(0)
	s_waitcnt_vscnt null, 0x0
	s_barrier
	buffer_gl0_inv
	s_clause 0x5
	buffer_load_dword v78, off, s[0:3], 0 offset:276
	buffer_load_dword v79, off, s[0:3], 0 offset:284
	;; [unrolled: 1-line block ×6, first 2 shown]
	ds_read_b128 v[74:77], v74 offset:560
	s_mov_b32 s4, exec_lo
	s_waitcnt vmcnt(5) lgkmcnt(0)
	v_mul_f32_e32 v84, v75, v78
	v_mul_f32_e32 v78, v74, v78
	s_waitcnt vmcnt(4)
	v_mul_f32_e32 v85, v76, v79
	v_mul_f32_e32 v79, v77, v79
	s_waitcnt vmcnt(3)
	v_fma_f32 v74, v74, v80, -v84
	v_fmac_f32_e32 v78, v75, v80
	s_waitcnt vmcnt(2)
	v_fmac_f32_e32 v85, v77, v81
	v_fma_f32 v75, v76, v81, -v79
	v_add_f32_e32 v74, 0, v74
	v_add_f32_e32 v76, 0, v78
	;; [unrolled: 1-line block ×4, first 2 shown]
	s_waitcnt vmcnt(1)
	v_sub_f32_e32 v74, v82, v74
	s_waitcnt vmcnt(0)
	v_sub_f32_e32 v75, v83, v75
	buffer_store_dword v74, off, s[0:3], 0 offset:264
	buffer_store_dword v75, off, s[0:3], 0 offset:268
	v_cmpx_lt_u32_e32 32, v0
	s_cbranch_execz .LBB35_165
; %bb.164:
	s_clause 0x1
	buffer_load_dword v74, off, s[0:3], 0 offset:256
	buffer_load_dword v75, off, s[0:3], 0 offset:260
	v_mov_b32_e32 v76, 0
	buffer_store_dword v76, off, s[0:3], 0 offset:256
	buffer_store_dword v76, off, s[0:3], 0 offset:260
	s_waitcnt vmcnt(0)
	ds_write_b64 v73, v[74:75]
.LBB35_165:
	s_or_b32 exec_lo, exec_lo, s4
	s_waitcnt lgkmcnt(0)
	s_waitcnt_vscnt null, 0x0
	s_barrier
	buffer_gl0_inv
	s_clause 0x7
	buffer_load_dword v81, off, s[0:3], 0 offset:268
	buffer_load_dword v82, off, s[0:3], 0 offset:276
	;; [unrolled: 1-line block ×8, first 2 shown]
	v_mov_b32_e32 v74, 0
	ds_read2_b64 v[75:78], v74 offset0:69 offset1:70
	ds_read_b64 v[79:80], v74 offset:568
	s_mov_b32 s4, exec_lo
	s_waitcnt vmcnt(7) lgkmcnt(1)
	v_mul_f32_e32 v89, v76, v81
	v_mul_f32_e32 v81, v75, v81
	s_waitcnt vmcnt(6)
	v_mul_f32_e32 v90, v77, v82
	v_mul_f32_e32 v82, v78, v82
	s_waitcnt vmcnt(5) lgkmcnt(0)
	v_mul_f32_e32 v91, v79, v83
	s_waitcnt vmcnt(4)
	v_fma_f32 v75, v75, v84, -v89
	v_fmac_f32_e32 v81, v76, v84
	v_mul_f32_e32 v76, v80, v83
	s_waitcnt vmcnt(3)
	v_fma_f32 v77, v77, v85, -v82
	v_fmac_f32_e32 v90, v78, v85
	v_add_f32_e32 v75, 0, v75
	v_add_f32_e32 v78, 0, v81
	s_waitcnt vmcnt(2)
	v_fma_f32 v76, v79, v86, -v76
	v_fmac_f32_e32 v91, v80, v86
	v_add_f32_e32 v75, v75, v77
	v_add_f32_e32 v77, v78, v90
	v_add_f32_e32 v75, v75, v76
	v_add_f32_e32 v76, v77, v91
	s_waitcnt vmcnt(1)
	v_sub_f32_e32 v75, v87, v75
	s_waitcnt vmcnt(0)
	v_sub_f32_e32 v76, v88, v76
	buffer_store_dword v75, off, s[0:3], 0 offset:256
	buffer_store_dword v76, off, s[0:3], 0 offset:260
	v_cmpx_lt_u32_e32 31, v0
	s_cbranch_execz .LBB35_167
; %bb.166:
	s_clause 0x1
	buffer_load_dword v75, off, s[0:3], 0 offset:248
	buffer_load_dword v76, off, s[0:3], 0 offset:252
	buffer_store_dword v74, off, s[0:3], 0 offset:248
	buffer_store_dword v74, off, s[0:3], 0 offset:252
	s_waitcnt vmcnt(0)
	ds_write_b64 v73, v[75:76]
.LBB35_167:
	s_or_b32 exec_lo, exec_lo, s4
	s_waitcnt lgkmcnt(0)
	s_waitcnt_vscnt null, 0x0
	s_barrier
	buffer_gl0_inv
	s_clause 0x9
	buffer_load_dword v83, off, s[0:3], 0 offset:260
	buffer_load_dword v84, off, s[0:3], 0 offset:268
	;; [unrolled: 1-line block ×10, first 2 shown]
	ds_read_b128 v[75:78], v74 offset:544
	ds_read_b128 v[79:82], v74 offset:560
	s_mov_b32 s4, exec_lo
	s_waitcnt vmcnt(9) lgkmcnt(1)
	v_mul_f32_e32 v74, v75, v83
	v_mul_f32_e32 v83, v76, v83
	s_waitcnt vmcnt(8)
	v_mul_f32_e32 v93, v77, v84
	v_mul_f32_e32 v84, v78, v84
	s_waitcnt vmcnt(7) lgkmcnt(0)
	v_mul_f32_e32 v94, v79, v85
	s_waitcnt vmcnt(5)
	v_fmac_f32_e32 v74, v76, v87
	v_fma_f32 v75, v75, v87, -v83
	v_mul_f32_e32 v76, v80, v85
	s_waitcnt vmcnt(4)
	v_fma_f32 v77, v77, v88, -v84
	v_fmac_f32_e32 v93, v78, v88
	v_add_f32_e32 v74, 0, v74
	v_add_f32_e32 v75, 0, v75
	v_mul_f32_e32 v78, v82, v86
	s_waitcnt vmcnt(3)
	v_fma_f32 v76, v79, v89, -v76
	v_mul_f32_e32 v95, v81, v86
	v_fmac_f32_e32 v94, v80, v89
	v_add_f32_e32 v75, v75, v77
	v_add_f32_e32 v74, v74, v93
	s_waitcnt vmcnt(2)
	v_fma_f32 v77, v81, v90, -v78
	v_fmac_f32_e32 v95, v82, v90
	v_add_f32_e32 v75, v75, v76
	v_add_f32_e32 v74, v74, v94
	;; [unrolled: 1-line block ×4, first 2 shown]
	s_waitcnt vmcnt(1)
	v_sub_f32_e32 v75, v91, v75
	s_waitcnt vmcnt(0)
	v_sub_f32_e32 v74, v92, v74
	buffer_store_dword v75, off, s[0:3], 0 offset:248
	buffer_store_dword v74, off, s[0:3], 0 offset:252
	v_cmpx_lt_u32_e32 30, v0
	s_cbranch_execz .LBB35_169
; %bb.168:
	s_clause 0x1
	buffer_load_dword v74, off, s[0:3], 0 offset:240
	buffer_load_dword v75, off, s[0:3], 0 offset:244
	v_mov_b32_e32 v76, 0
	buffer_store_dword v76, off, s[0:3], 0 offset:240
	buffer_store_dword v76, off, s[0:3], 0 offset:244
	s_waitcnt vmcnt(0)
	ds_write_b64 v73, v[74:75]
.LBB35_169:
	s_or_b32 exec_lo, exec_lo, s4
	s_waitcnt lgkmcnt(0)
	s_waitcnt_vscnt null, 0x0
	s_barrier
	buffer_gl0_inv
	s_clause 0xb
	buffer_load_dword v85, off, s[0:3], 0 offset:252
	buffer_load_dword v86, off, s[0:3], 0 offset:260
	;; [unrolled: 1-line block ×12, first 2 shown]
	v_mov_b32_e32 v74, 0
	ds_read2_b64 v[75:78], v74 offset0:67 offset1:68
	ds_read2_b64 v[79:82], v74 offset0:69 offset1:70
	ds_read_b64 v[83:84], v74 offset:568
	s_mov_b32 s4, exec_lo
	s_waitcnt vmcnt(11) lgkmcnt(2)
	v_mul_f32_e32 v97, v75, v85
	v_mul_f32_e32 v85, v76, v85
	s_waitcnt vmcnt(10)
	v_mul_f32_e32 v98, v77, v86
	v_mul_f32_e32 v86, v78, v86
	s_waitcnt vmcnt(9) lgkmcnt(1)
	v_mul_f32_e32 v99, v79, v87
	s_waitcnt vmcnt(6)
	v_fmac_f32_e32 v97, v76, v90
	v_fma_f32 v75, v75, v90, -v85
	v_mul_f32_e32 v76, v80, v87
	s_waitcnt vmcnt(5)
	v_fma_f32 v77, v77, v91, -v86
	v_fmac_f32_e32 v98, v78, v91
	v_add_f32_e32 v78, 0, v97
	v_add_f32_e32 v75, 0, v75
	v_mul_f32_e32 v85, v82, v88
	s_waitcnt vmcnt(4)
	v_fma_f32 v76, v79, v92, -v76
	v_mul_f32_e32 v100, v81, v88
	v_fmac_f32_e32 v99, v80, v92
	v_add_f32_e32 v75, v75, v77
	v_add_f32_e32 v77, v78, v98
	s_waitcnt lgkmcnt(0)
	v_mul_f32_e32 v78, v84, v89
	s_waitcnt vmcnt(3)
	v_fma_f32 v79, v81, v93, -v85
	v_mul_f32_e32 v101, v83, v89
	v_add_f32_e32 v75, v75, v76
	v_fmac_f32_e32 v100, v82, v93
	v_add_f32_e32 v76, v77, v99
	s_waitcnt vmcnt(2)
	v_fma_f32 v77, v83, v94, -v78
	v_fmac_f32_e32 v101, v84, v94
	v_add_f32_e32 v75, v75, v79
	v_add_f32_e32 v76, v76, v100
	;; [unrolled: 1-line block ×4, first 2 shown]
	s_waitcnt vmcnt(1)
	v_sub_f32_e32 v75, v95, v75
	s_waitcnt vmcnt(0)
	v_sub_f32_e32 v76, v96, v76
	buffer_store_dword v75, off, s[0:3], 0 offset:240
	buffer_store_dword v76, off, s[0:3], 0 offset:244
	v_cmpx_lt_u32_e32 29, v0
	s_cbranch_execz .LBB35_171
; %bb.170:
	s_clause 0x1
	buffer_load_dword v75, off, s[0:3], 0 offset:232
	buffer_load_dword v76, off, s[0:3], 0 offset:236
	buffer_store_dword v74, off, s[0:3], 0 offset:232
	buffer_store_dword v74, off, s[0:3], 0 offset:236
	s_waitcnt vmcnt(0)
	ds_write_b64 v73, v[75:76]
.LBB35_171:
	s_or_b32 exec_lo, exec_lo, s4
	s_waitcnt lgkmcnt(0)
	s_waitcnt_vscnt null, 0x0
	s_barrier
	buffer_gl0_inv
	s_clause 0xd
	buffer_load_dword v87, off, s[0:3], 0 offset:244
	buffer_load_dword v88, off, s[0:3], 0 offset:252
	;; [unrolled: 1-line block ×14, first 2 shown]
	ds_read_b128 v[75:78], v74 offset:528
	ds_read_b128 v[79:82], v74 offset:544
	;; [unrolled: 1-line block ×3, first 2 shown]
	s_mov_b32 s4, exec_lo
	s_waitcnt vmcnt(13) lgkmcnt(2)
	v_mul_f32_e32 v74, v75, v87
	v_mul_f32_e32 v87, v76, v87
	s_waitcnt vmcnt(12)
	v_mul_f32_e32 v101, v77, v88
	v_mul_f32_e32 v88, v78, v88
	s_waitcnt vmcnt(11) lgkmcnt(1)
	v_mul_f32_e32 v102, v79, v89
	s_waitcnt vmcnt(10)
	v_mul_f32_e32 v103, v81, v90
	s_waitcnt vmcnt(7)
	v_fma_f32 v75, v75, v93, -v87
	v_fmac_f32_e32 v74, v76, v93
	v_mul_f32_e32 v76, v80, v89
	s_waitcnt vmcnt(6)
	v_fma_f32 v77, v77, v94, -v88
	v_fmac_f32_e32 v101, v78, v94
	v_add_f32_e32 v75, 0, v75
	v_add_f32_e32 v74, 0, v74
	v_mul_f32_e32 v78, v82, v90
	s_waitcnt vmcnt(5)
	v_fma_f32 v76, v79, v95, -v76
	v_fmac_f32_e32 v102, v80, v95
	v_add_f32_e32 v75, v75, v77
	v_add_f32_e32 v74, v74, v101
	s_waitcnt lgkmcnt(0)
	v_mul_f32_e32 v77, v84, v91
	s_waitcnt vmcnt(4)
	v_fma_f32 v78, v81, v96, -v78
	v_mul_f32_e32 v104, v83, v91
	v_add_f32_e32 v75, v75, v76
	v_fmac_f32_e32 v103, v82, v96
	v_add_f32_e32 v74, v74, v102
	v_mul_f32_e32 v76, v86, v92
	s_waitcnt vmcnt(3)
	v_fma_f32 v77, v83, v97, -v77
	v_add_f32_e32 v75, v75, v78
	v_mul_f32_e32 v105, v85, v92
	v_fmac_f32_e32 v104, v84, v97
	v_add_f32_e32 v74, v74, v103
	s_waitcnt vmcnt(2)
	v_fma_f32 v76, v85, v98, -v76
	v_add_f32_e32 v75, v75, v77
	v_fmac_f32_e32 v105, v86, v98
	v_add_f32_e32 v74, v74, v104
	v_add_f32_e32 v75, v75, v76
	;; [unrolled: 1-line block ×3, first 2 shown]
	s_waitcnt vmcnt(1)
	v_sub_f32_e32 v75, v99, v75
	s_waitcnt vmcnt(0)
	v_sub_f32_e32 v74, v100, v74
	buffer_store_dword v75, off, s[0:3], 0 offset:232
	buffer_store_dword v74, off, s[0:3], 0 offset:236
	v_cmpx_lt_u32_e32 28, v0
	s_cbranch_execz .LBB35_173
; %bb.172:
	s_clause 0x1
	buffer_load_dword v74, off, s[0:3], 0 offset:224
	buffer_load_dword v75, off, s[0:3], 0 offset:228
	v_mov_b32_e32 v76, 0
	buffer_store_dword v76, off, s[0:3], 0 offset:224
	buffer_store_dword v76, off, s[0:3], 0 offset:228
	s_waitcnt vmcnt(0)
	ds_write_b64 v73, v[74:75]
.LBB35_173:
	s_or_b32 exec_lo, exec_lo, s4
	s_waitcnt lgkmcnt(0)
	s_waitcnt_vscnt null, 0x0
	s_barrier
	buffer_gl0_inv
	s_clause 0xf
	buffer_load_dword v89, off, s[0:3], 0 offset:236
	buffer_load_dword v90, off, s[0:3], 0 offset:244
	buffer_load_dword v91, off, s[0:3], 0 offset:252
	buffer_load_dword v92, off, s[0:3], 0 offset:260
	buffer_load_dword v93, off, s[0:3], 0 offset:268
	buffer_load_dword v94, off, s[0:3], 0 offset:276
	buffer_load_dword v95, off, s[0:3], 0 offset:284
	buffer_load_dword v96, off, s[0:3], 0 offset:232
	buffer_load_dword v97, off, s[0:3], 0 offset:240
	buffer_load_dword v98, off, s[0:3], 0 offset:248
	buffer_load_dword v99, off, s[0:3], 0 offset:256
	buffer_load_dword v100, off, s[0:3], 0 offset:264
	buffer_load_dword v101, off, s[0:3], 0 offset:272
	buffer_load_dword v102, off, s[0:3], 0 offset:280
	buffer_load_dword v103, off, s[0:3], 0 offset:224
	buffer_load_dword v104, off, s[0:3], 0 offset:228
	v_mov_b32_e32 v74, 0
	ds_read2_b64 v[75:78], v74 offset0:65 offset1:66
	ds_read2_b64 v[79:82], v74 offset0:67 offset1:68
	;; [unrolled: 1-line block ×3, first 2 shown]
	ds_read_b64 v[87:88], v74 offset:568
	s_mov_b32 s4, exec_lo
	s_waitcnt vmcnt(15) lgkmcnt(3)
	v_mul_f32_e32 v105, v75, v89
	v_mul_f32_e32 v89, v76, v89
	s_waitcnt vmcnt(14)
	v_mul_f32_e32 v106, v77, v90
	v_mul_f32_e32 v90, v78, v90
	s_waitcnt vmcnt(13) lgkmcnt(2)
	v_mul_f32_e32 v107, v79, v91
	s_waitcnt vmcnt(12)
	v_mul_f32_e32 v108, v81, v92
	s_waitcnt vmcnt(11) lgkmcnt(1)
	v_mul_f32_e32 v109, v83, v93
	s_waitcnt vmcnt(8)
	v_fma_f32 v75, v75, v96, -v89
	v_fmac_f32_e32 v105, v76, v96
	v_mul_f32_e32 v76, v80, v91
	s_waitcnt vmcnt(7)
	v_fma_f32 v77, v77, v97, -v90
	v_fmac_f32_e32 v106, v78, v97
	v_add_f32_e32 v75, 0, v75
	v_add_f32_e32 v78, 0, v105
	v_mul_f32_e32 v89, v82, v92
	s_waitcnt vmcnt(6)
	v_fma_f32 v76, v79, v98, -v76
	v_fmac_f32_e32 v107, v80, v98
	v_add_f32_e32 v75, v75, v77
	v_add_f32_e32 v77, v78, v106
	;; [unrolled: 6-line block ×3, first 2 shown]
	v_mul_f32_e32 v77, v86, v94
	s_waitcnt vmcnt(4)
	v_fma_f32 v78, v83, v100, -v78
	v_mul_f32_e32 v110, v85, v94
	v_add_f32_e32 v75, v75, v79
	v_fmac_f32_e32 v109, v84, v100
	v_add_f32_e32 v76, v76, v108
	s_waitcnt lgkmcnt(0)
	v_mul_f32_e32 v79, v88, v95
	s_waitcnt vmcnt(3)
	v_fma_f32 v77, v85, v101, -v77
	v_add_f32_e32 v75, v75, v78
	v_mul_f32_e32 v111, v87, v95
	v_fmac_f32_e32 v110, v86, v101
	v_add_f32_e32 v76, v76, v109
	s_waitcnt vmcnt(2)
	v_fma_f32 v78, v87, v102, -v79
	v_add_f32_e32 v75, v75, v77
	v_fmac_f32_e32 v111, v88, v102
	v_add_f32_e32 v76, v76, v110
	v_add_f32_e32 v75, v75, v78
	;; [unrolled: 1-line block ×3, first 2 shown]
	s_waitcnt vmcnt(1)
	v_sub_f32_e32 v75, v103, v75
	s_waitcnt vmcnt(0)
	v_sub_f32_e32 v76, v104, v76
	buffer_store_dword v75, off, s[0:3], 0 offset:224
	buffer_store_dword v76, off, s[0:3], 0 offset:228
	v_cmpx_lt_u32_e32 27, v0
	s_cbranch_execz .LBB35_175
; %bb.174:
	s_clause 0x1
	buffer_load_dword v75, off, s[0:3], 0 offset:216
	buffer_load_dword v76, off, s[0:3], 0 offset:220
	buffer_store_dword v74, off, s[0:3], 0 offset:216
	buffer_store_dword v74, off, s[0:3], 0 offset:220
	s_waitcnt vmcnt(0)
	ds_write_b64 v73, v[75:76]
.LBB35_175:
	s_or_b32 exec_lo, exec_lo, s4
	s_waitcnt lgkmcnt(0)
	s_waitcnt_vscnt null, 0x0
	s_barrier
	buffer_gl0_inv
	s_clause 0x11
	buffer_load_dword v91, off, s[0:3], 0 offset:228
	buffer_load_dword v92, off, s[0:3], 0 offset:236
	;; [unrolled: 1-line block ×18, first 2 shown]
	ds_read_b128 v[75:78], v74 offset:512
	ds_read_b128 v[79:82], v74 offset:528
	ds_read_b128 v[83:86], v74 offset:544
	ds_read_b128 v[87:90], v74 offset:560
	s_mov_b32 s4, exec_lo
	s_waitcnt vmcnt(17) lgkmcnt(3)
	v_mul_f32_e32 v74, v75, v91
	v_mul_f32_e32 v91, v76, v91
	s_waitcnt vmcnt(16)
	v_mul_f32_e32 v109, v77, v92
	v_mul_f32_e32 v92, v78, v92
	s_waitcnt vmcnt(15) lgkmcnt(2)
	v_mul_f32_e32 v110, v79, v93
	s_waitcnt vmcnt(14)
	v_mul_f32_e32 v111, v81, v94
	s_waitcnt vmcnt(13) lgkmcnt(1)
	v_mul_f32_e32 v112, v83, v95
	s_waitcnt vmcnt(12)
	v_mul_f32_e32 v113, v85, v96
	s_waitcnt vmcnt(9)
	v_fma_f32 v75, v75, v99, -v91
	v_fmac_f32_e32 v74, v76, v99
	v_mul_f32_e32 v76, v80, v93
	s_waitcnt vmcnt(8)
	v_fma_f32 v77, v77, v100, -v92
	v_fmac_f32_e32 v109, v78, v100
	v_add_f32_e32 v75, 0, v75
	v_add_f32_e32 v74, 0, v74
	v_mul_f32_e32 v78, v82, v94
	s_waitcnt vmcnt(7)
	v_fma_f32 v76, v79, v101, -v76
	v_fmac_f32_e32 v110, v80, v101
	v_add_f32_e32 v75, v75, v77
	v_add_f32_e32 v74, v74, v109
	;; [unrolled: 6-line block ×4, first 2 shown]
	s_waitcnt lgkmcnt(0)
	v_mul_f32_e32 v78, v88, v97
	s_waitcnt vmcnt(4)
	v_fma_f32 v76, v85, v104, -v76
	v_mul_f32_e32 v114, v87, v97
	v_add_f32_e32 v75, v75, v77
	v_fmac_f32_e32 v113, v86, v104
	v_add_f32_e32 v74, v74, v112
	v_mul_f32_e32 v77, v90, v98
	s_waitcnt vmcnt(3)
	v_fma_f32 v78, v87, v105, -v78
	v_add_f32_e32 v75, v75, v76
	v_mul_f32_e32 v115, v89, v98
	v_fmac_f32_e32 v114, v88, v105
	v_add_f32_e32 v74, v74, v113
	s_waitcnt vmcnt(2)
	v_fma_f32 v76, v89, v106, -v77
	v_add_f32_e32 v75, v75, v78
	v_fmac_f32_e32 v115, v90, v106
	v_add_f32_e32 v74, v74, v114
	v_add_f32_e32 v75, v75, v76
	;; [unrolled: 1-line block ×3, first 2 shown]
	s_waitcnt vmcnt(1)
	v_sub_f32_e32 v75, v107, v75
	s_waitcnt vmcnt(0)
	v_sub_f32_e32 v74, v108, v74
	buffer_store_dword v75, off, s[0:3], 0 offset:216
	buffer_store_dword v74, off, s[0:3], 0 offset:220
	v_cmpx_lt_u32_e32 26, v0
	s_cbranch_execz .LBB35_177
; %bb.176:
	s_clause 0x1
	buffer_load_dword v74, off, s[0:3], 0 offset:208
	buffer_load_dword v75, off, s[0:3], 0 offset:212
	v_mov_b32_e32 v76, 0
	buffer_store_dword v76, off, s[0:3], 0 offset:208
	buffer_store_dword v76, off, s[0:3], 0 offset:212
	s_waitcnt vmcnt(0)
	ds_write_b64 v73, v[74:75]
.LBB35_177:
	s_or_b32 exec_lo, exec_lo, s4
	s_waitcnt lgkmcnt(0)
	s_waitcnt_vscnt null, 0x0
	s_barrier
	buffer_gl0_inv
	s_clause 0x13
	buffer_load_dword v93, off, s[0:3], 0 offset:220
	buffer_load_dword v94, off, s[0:3], 0 offset:228
	;; [unrolled: 1-line block ×20, first 2 shown]
	v_mov_b32_e32 v74, 0
	ds_read2_b64 v[75:78], v74 offset0:63 offset1:64
	ds_read2_b64 v[79:82], v74 offset0:65 offset1:66
	;; [unrolled: 1-line block ×4, first 2 shown]
	ds_read_b64 v[91:92], v74 offset:568
	s_mov_b32 s4, exec_lo
	s_waitcnt vmcnt(19) lgkmcnt(4)
	v_mul_f32_e32 v113, v75, v93
	v_mul_f32_e32 v93, v76, v93
	s_waitcnt vmcnt(18)
	v_mul_f32_e32 v114, v77, v94
	v_mul_f32_e32 v94, v78, v94
	s_waitcnt vmcnt(17) lgkmcnt(3)
	v_mul_f32_e32 v115, v79, v95
	s_waitcnt vmcnt(16)
	v_mul_f32_e32 v116, v81, v96
	s_waitcnt vmcnt(15) lgkmcnt(2)
	v_mul_f32_e32 v117, v83, v97
	s_waitcnt vmcnt(14)
	;; [unrolled: 4-line block ×3, first 2 shown]
	v_fma_f32 v75, v75, v102, -v93
	v_fmac_f32_e32 v113, v76, v102
	v_mul_f32_e32 v76, v80, v95
	s_waitcnt vmcnt(9)
	v_fma_f32 v77, v77, v103, -v94
	v_fmac_f32_e32 v114, v78, v103
	v_add_f32_e32 v75, 0, v75
	v_add_f32_e32 v78, 0, v113
	v_mul_f32_e32 v93, v82, v96
	s_waitcnt vmcnt(8)
	v_fma_f32 v76, v79, v104, -v76
	v_fmac_f32_e32 v115, v80, v104
	v_add_f32_e32 v75, v75, v77
	v_add_f32_e32 v77, v78, v114
	;; [unrolled: 6-line block ×5, first 2 shown]
	v_mul_f32_e32 v78, v90, v100
	s_waitcnt vmcnt(4)
	v_fma_f32 v79, v87, v108, -v79
	v_mul_f32_e32 v120, v89, v100
	v_add_f32_e32 v75, v75, v77
	v_fmac_f32_e32 v119, v88, v108
	v_add_f32_e32 v76, v76, v118
	s_waitcnt lgkmcnt(0)
	v_mul_f32_e32 v77, v92, v101
	s_waitcnt vmcnt(3)
	v_fma_f32 v78, v89, v109, -v78
	v_add_f32_e32 v75, v75, v79
	v_mul_f32_e32 v121, v91, v101
	v_fmac_f32_e32 v120, v90, v109
	v_add_f32_e32 v76, v76, v119
	s_waitcnt vmcnt(2)
	v_fma_f32 v77, v91, v110, -v77
	v_add_f32_e32 v75, v75, v78
	v_fmac_f32_e32 v121, v92, v110
	v_add_f32_e32 v76, v76, v120
	v_add_f32_e32 v75, v75, v77
	;; [unrolled: 1-line block ×3, first 2 shown]
	s_waitcnt vmcnt(1)
	v_sub_f32_e32 v75, v111, v75
	s_waitcnt vmcnt(0)
	v_sub_f32_e32 v76, v112, v76
	buffer_store_dword v75, off, s[0:3], 0 offset:208
	buffer_store_dword v76, off, s[0:3], 0 offset:212
	v_cmpx_lt_u32_e32 25, v0
	s_cbranch_execz .LBB35_179
; %bb.178:
	s_clause 0x1
	buffer_load_dword v75, off, s[0:3], 0 offset:200
	buffer_load_dword v76, off, s[0:3], 0 offset:204
	buffer_store_dword v74, off, s[0:3], 0 offset:200
	buffer_store_dword v74, off, s[0:3], 0 offset:204
	s_waitcnt vmcnt(0)
	ds_write_b64 v73, v[75:76]
.LBB35_179:
	s_or_b32 exec_lo, exec_lo, s4
	s_waitcnt lgkmcnt(0)
	s_waitcnt_vscnt null, 0x0
	s_barrier
	buffer_gl0_inv
	s_clause 0x15
	buffer_load_dword v95, off, s[0:3], 0 offset:212
	buffer_load_dword v96, off, s[0:3], 0 offset:220
	;; [unrolled: 1-line block ×22, first 2 shown]
	ds_read_b128 v[75:78], v74 offset:496
	ds_read_b128 v[79:82], v74 offset:512
	;; [unrolled: 1-line block ×5, first 2 shown]
	s_mov_b32 s4, exec_lo
	s_waitcnt vmcnt(21) lgkmcnt(4)
	v_mul_f32_e32 v74, v75, v95
	v_mul_f32_e32 v95, v76, v95
	s_waitcnt vmcnt(20)
	v_mul_f32_e32 v117, v77, v96
	v_mul_f32_e32 v96, v78, v96
	s_waitcnt vmcnt(19) lgkmcnt(3)
	v_mul_f32_e32 v118, v79, v97
	s_waitcnt vmcnt(18)
	v_mul_f32_e32 v119, v81, v98
	s_waitcnt vmcnt(17) lgkmcnt(2)
	v_mul_f32_e32 v120, v83, v99
	s_waitcnt vmcnt(16)
	;; [unrolled: 4-line block ×3, first 2 shown]
	v_mul_f32_e32 v123, v89, v102
	s_waitcnt vmcnt(11)
	v_fma_f32 v75, v75, v105, -v95
	v_fmac_f32_e32 v74, v76, v105
	v_mul_f32_e32 v76, v80, v97
	s_waitcnt vmcnt(10)
	v_fma_f32 v77, v77, v106, -v96
	v_fmac_f32_e32 v117, v78, v106
	v_add_f32_e32 v75, 0, v75
	v_add_f32_e32 v74, 0, v74
	v_mul_f32_e32 v78, v82, v98
	s_waitcnt vmcnt(9)
	v_fma_f32 v76, v79, v107, -v76
	v_fmac_f32_e32 v118, v80, v107
	v_add_f32_e32 v75, v75, v77
	v_add_f32_e32 v74, v74, v117
	;; [unrolled: 6-line block ×6, first 2 shown]
	s_waitcnt lgkmcnt(0)
	v_mul_f32_e32 v76, v92, v103
	s_waitcnt vmcnt(4)
	v_fma_f32 v77, v89, v112, -v77
	v_mul_f32_e32 v124, v91, v103
	v_add_f32_e32 v75, v75, v78
	v_fmac_f32_e32 v123, v90, v112
	v_add_f32_e32 v74, v74, v122
	v_mul_f32_e32 v78, v94, v104
	s_waitcnt vmcnt(3)
	v_fma_f32 v76, v91, v113, -v76
	v_add_f32_e32 v75, v75, v77
	v_mul_f32_e32 v125, v93, v104
	v_fmac_f32_e32 v124, v92, v113
	v_add_f32_e32 v74, v74, v123
	s_waitcnt vmcnt(2)
	v_fma_f32 v77, v93, v114, -v78
	v_add_f32_e32 v75, v75, v76
	v_fmac_f32_e32 v125, v94, v114
	v_add_f32_e32 v74, v74, v124
	v_add_f32_e32 v75, v75, v77
	;; [unrolled: 1-line block ×3, first 2 shown]
	s_waitcnt vmcnt(1)
	v_sub_f32_e32 v75, v115, v75
	s_waitcnt vmcnt(0)
	v_sub_f32_e32 v74, v116, v74
	buffer_store_dword v75, off, s[0:3], 0 offset:200
	buffer_store_dword v74, off, s[0:3], 0 offset:204
	v_cmpx_lt_u32_e32 24, v0
	s_cbranch_execz .LBB35_181
; %bb.180:
	s_clause 0x1
	buffer_load_dword v74, off, s[0:3], 0 offset:192
	buffer_load_dword v75, off, s[0:3], 0 offset:196
	v_mov_b32_e32 v76, 0
	buffer_store_dword v76, off, s[0:3], 0 offset:192
	buffer_store_dword v76, off, s[0:3], 0 offset:196
	s_waitcnt vmcnt(0)
	ds_write_b64 v73, v[74:75]
.LBB35_181:
	s_or_b32 exec_lo, exec_lo, s4
	s_waitcnt lgkmcnt(0)
	s_waitcnt_vscnt null, 0x0
	s_barrier
	buffer_gl0_inv
	s_clause 0x17
	buffer_load_dword v97, off, s[0:3], 0 offset:204
	buffer_load_dword v98, off, s[0:3], 0 offset:212
	;; [unrolled: 1-line block ×24, first 2 shown]
	v_mov_b32_e32 v74, 0
	ds_read2_b64 v[75:78], v74 offset0:61 offset1:62
	ds_read2_b64 v[79:82], v74 offset0:63 offset1:64
	;; [unrolled: 1-line block ×5, first 2 shown]
	ds_read_b64 v[95:96], v74 offset:568
	s_mov_b32 s4, exec_lo
	s_waitcnt vmcnt(23) lgkmcnt(5)
	v_mul_f32_e32 v121, v75, v97
	v_mul_f32_e32 v97, v76, v97
	s_waitcnt vmcnt(22)
	v_mul_f32_e32 v122, v77, v98
	v_mul_f32_e32 v98, v78, v98
	s_waitcnt vmcnt(21) lgkmcnt(4)
	v_mul_f32_e32 v123, v79, v99
	s_waitcnt vmcnt(20)
	v_mul_f32_e32 v124, v81, v100
	s_waitcnt vmcnt(19) lgkmcnt(3)
	v_mul_f32_e32 v125, v83, v101
	s_waitcnt vmcnt(18)
	;; [unrolled: 4-line block ×4, first 2 shown]
	v_fma_f32 v75, v75, v108, -v97
	v_fmac_f32_e32 v121, v76, v108
	v_mul_f32_e32 v76, v80, v99
	s_waitcnt vmcnt(11)
	v_fma_f32 v77, v77, v109, -v98
	v_fmac_f32_e32 v122, v78, v109
	v_add_f32_e32 v75, 0, v75
	v_add_f32_e32 v78, 0, v121
	v_mul_f32_e32 v97, v82, v100
	s_waitcnt vmcnt(10)
	v_fma_f32 v76, v79, v110, -v76
	v_fmac_f32_e32 v123, v80, v110
	v_add_f32_e32 v75, v75, v77
	v_add_f32_e32 v77, v78, v122
	;; [unrolled: 6-line block ×7, first 2 shown]
	v_mul_f32_e32 v79, v94, v106
	s_waitcnt vmcnt(4)
	v_fma_f32 v77, v91, v116, -v77
	v_mul_f32_e32 v130, v93, v106
	v_add_f32_e32 v75, v75, v78
	v_fmac_f32_e32 v129, v92, v116
	v_add_f32_e32 v76, v76, v128
	s_waitcnt lgkmcnt(0)
	v_mul_f32_e32 v78, v96, v107
	s_waitcnt vmcnt(3)
	v_fma_f32 v79, v93, v117, -v79
	v_add_f32_e32 v75, v75, v77
	v_mul_f32_e32 v131, v95, v107
	v_fmac_f32_e32 v130, v94, v117
	v_add_f32_e32 v76, v76, v129
	s_waitcnt vmcnt(2)
	v_fma_f32 v77, v95, v118, -v78
	v_add_f32_e32 v75, v75, v79
	v_fmac_f32_e32 v131, v96, v118
	v_add_f32_e32 v76, v76, v130
	v_add_f32_e32 v75, v75, v77
	;; [unrolled: 1-line block ×3, first 2 shown]
	s_waitcnt vmcnt(1)
	v_sub_f32_e32 v75, v119, v75
	s_waitcnt vmcnt(0)
	v_sub_f32_e32 v76, v120, v76
	buffer_store_dword v75, off, s[0:3], 0 offset:192
	buffer_store_dword v76, off, s[0:3], 0 offset:196
	v_cmpx_lt_u32_e32 23, v0
	s_cbranch_execz .LBB35_183
; %bb.182:
	s_clause 0x1
	buffer_load_dword v75, off, s[0:3], 0 offset:184
	buffer_load_dword v76, off, s[0:3], 0 offset:188
	buffer_store_dword v74, off, s[0:3], 0 offset:184
	buffer_store_dword v74, off, s[0:3], 0 offset:188
	s_waitcnt vmcnt(0)
	ds_write_b64 v73, v[75:76]
.LBB35_183:
	s_or_b32 exec_lo, exec_lo, s4
	s_waitcnt lgkmcnt(0)
	s_waitcnt_vscnt null, 0x0
	s_barrier
	buffer_gl0_inv
	s_clause 0x19
	buffer_load_dword v99, off, s[0:3], 0 offset:196
	buffer_load_dword v100, off, s[0:3], 0 offset:204
	;; [unrolled: 1-line block ×26, first 2 shown]
	ds_read_b128 v[75:78], v74 offset:480
	ds_read_b128 v[79:82], v74 offset:496
	;; [unrolled: 1-line block ×6, first 2 shown]
	s_mov_b32 s4, exec_lo
	s_waitcnt vmcnt(25) lgkmcnt(5)
	v_mul_f32_e32 v74, v75, v99
	v_mul_f32_e32 v99, v76, v99
	s_waitcnt vmcnt(24)
	v_mul_f32_e32 v125, v77, v100
	v_mul_f32_e32 v100, v78, v100
	s_waitcnt vmcnt(23) lgkmcnt(4)
	v_mul_f32_e32 v126, v79, v101
	s_waitcnt vmcnt(22)
	v_mul_f32_e32 v127, v81, v102
	s_waitcnt vmcnt(21) lgkmcnt(3)
	v_mul_f32_e32 v128, v83, v103
	s_waitcnt vmcnt(20)
	;; [unrolled: 4-line block ×4, first 2 shown]
	v_mul_f32_e32 v133, v93, v108
	s_waitcnt vmcnt(13)
	v_fma_f32 v75, v75, v111, -v99
	v_fmac_f32_e32 v74, v76, v111
	v_mul_f32_e32 v76, v80, v101
	s_waitcnt vmcnt(12)
	v_fma_f32 v77, v77, v112, -v100
	v_fmac_f32_e32 v125, v78, v112
	v_add_f32_e32 v75, 0, v75
	v_add_f32_e32 v74, 0, v74
	v_mul_f32_e32 v78, v82, v102
	s_waitcnt vmcnt(11)
	v_fma_f32 v76, v79, v113, -v76
	v_fmac_f32_e32 v126, v80, v113
	v_add_f32_e32 v75, v75, v77
	v_add_f32_e32 v74, v74, v125
	;; [unrolled: 6-line block ×8, first 2 shown]
	s_waitcnt lgkmcnt(0)
	v_mul_f32_e32 v77, v96, v109
	s_waitcnt vmcnt(4)
	v_fma_f32 v78, v93, v120, -v78
	v_mul_f32_e32 v134, v95, v109
	v_add_f32_e32 v75, v75, v76
	v_fmac_f32_e32 v133, v94, v120
	v_add_f32_e32 v74, v74, v132
	v_mul_f32_e32 v76, v98, v110
	s_waitcnt vmcnt(3)
	v_fma_f32 v77, v95, v121, -v77
	v_add_f32_e32 v75, v75, v78
	v_mul_f32_e32 v135, v97, v110
	v_fmac_f32_e32 v134, v96, v121
	v_add_f32_e32 v74, v74, v133
	s_waitcnt vmcnt(2)
	v_fma_f32 v76, v97, v122, -v76
	v_add_f32_e32 v75, v75, v77
	v_fmac_f32_e32 v135, v98, v122
	v_add_f32_e32 v74, v74, v134
	v_add_f32_e32 v75, v75, v76
	v_add_f32_e32 v74, v74, v135
	s_waitcnt vmcnt(1)
	v_sub_f32_e32 v75, v123, v75
	s_waitcnt vmcnt(0)
	v_sub_f32_e32 v74, v124, v74
	buffer_store_dword v75, off, s[0:3], 0 offset:184
	buffer_store_dword v74, off, s[0:3], 0 offset:188
	v_cmpx_lt_u32_e32 22, v0
	s_cbranch_execz .LBB35_185
; %bb.184:
	s_clause 0x1
	buffer_load_dword v74, off, s[0:3], 0 offset:176
	buffer_load_dword v75, off, s[0:3], 0 offset:180
	v_mov_b32_e32 v76, 0
	buffer_store_dword v76, off, s[0:3], 0 offset:176
	buffer_store_dword v76, off, s[0:3], 0 offset:180
	s_waitcnt vmcnt(0)
	ds_write_b64 v73, v[74:75]
.LBB35_185:
	s_or_b32 exec_lo, exec_lo, s4
	s_waitcnt lgkmcnt(0)
	s_waitcnt_vscnt null, 0x0
	s_barrier
	buffer_gl0_inv
	s_clause 0x1b
	buffer_load_dword v101, off, s[0:3], 0 offset:188
	buffer_load_dword v102, off, s[0:3], 0 offset:196
	buffer_load_dword v103, off, s[0:3], 0 offset:204
	buffer_load_dword v104, off, s[0:3], 0 offset:212
	buffer_load_dword v105, off, s[0:3], 0 offset:220
	buffer_load_dword v106, off, s[0:3], 0 offset:228
	buffer_load_dword v107, off, s[0:3], 0 offset:236
	buffer_load_dword v108, off, s[0:3], 0 offset:244
	buffer_load_dword v109, off, s[0:3], 0 offset:252
	buffer_load_dword v110, off, s[0:3], 0 offset:260
	buffer_load_dword v111, off, s[0:3], 0 offset:268
	buffer_load_dword v112, off, s[0:3], 0 offset:276
	buffer_load_dword v113, off, s[0:3], 0 offset:284
	buffer_load_dword v114, off, s[0:3], 0 offset:184
	buffer_load_dword v115, off, s[0:3], 0 offset:192
	buffer_load_dword v116, off, s[0:3], 0 offset:200
	buffer_load_dword v117, off, s[0:3], 0 offset:208
	buffer_load_dword v118, off, s[0:3], 0 offset:216
	buffer_load_dword v119, off, s[0:3], 0 offset:224
	buffer_load_dword v120, off, s[0:3], 0 offset:232
	buffer_load_dword v121, off, s[0:3], 0 offset:240
	buffer_load_dword v122, off, s[0:3], 0 offset:248
	buffer_load_dword v123, off, s[0:3], 0 offset:256
	buffer_load_dword v124, off, s[0:3], 0 offset:264
	buffer_load_dword v125, off, s[0:3], 0 offset:272
	buffer_load_dword v126, off, s[0:3], 0 offset:280
	buffer_load_dword v127, off, s[0:3], 0 offset:176
	buffer_load_dword v128, off, s[0:3], 0 offset:180
	v_mov_b32_e32 v74, 0
	ds_read2_b64 v[75:78], v74 offset0:59 offset1:60
	ds_read2_b64 v[79:82], v74 offset0:61 offset1:62
	;; [unrolled: 1-line block ×6, first 2 shown]
	ds_read_b64 v[99:100], v74 offset:568
	s_mov_b32 s4, exec_lo
	s_waitcnt vmcnt(27) lgkmcnt(6)
	v_mul_f32_e32 v129, v75, v101
	v_mul_f32_e32 v101, v76, v101
	s_waitcnt vmcnt(26)
	v_mul_f32_e32 v130, v77, v102
	v_mul_f32_e32 v102, v78, v102
	s_waitcnt vmcnt(25) lgkmcnt(5)
	v_mul_f32_e32 v131, v79, v103
	s_waitcnt vmcnt(24)
	v_mul_f32_e32 v132, v81, v104
	s_waitcnt vmcnt(23) lgkmcnt(4)
	v_mul_f32_e32 v133, v83, v105
	s_waitcnt vmcnt(22)
	;; [unrolled: 4-line block ×5, first 2 shown]
	v_fma_f32 v75, v75, v114, -v101
	v_fmac_f32_e32 v129, v76, v114
	v_mul_f32_e32 v76, v80, v103
	s_waitcnt vmcnt(13)
	v_fma_f32 v77, v77, v115, -v102
	v_fmac_f32_e32 v130, v78, v115
	v_add_f32_e32 v75, 0, v75
	v_add_f32_e32 v78, 0, v129
	v_mul_f32_e32 v101, v82, v104
	s_waitcnt vmcnt(12)
	v_fma_f32 v76, v79, v116, -v76
	v_fmac_f32_e32 v131, v80, v116
	v_add_f32_e32 v75, v75, v77
	v_add_f32_e32 v77, v78, v130
	;; [unrolled: 6-line block ×9, first 2 shown]
	v_mul_f32_e32 v77, v98, v112
	s_waitcnt vmcnt(4)
	v_fma_f32 v78, v95, v124, -v78
	v_mul_f32_e32 v140, v97, v112
	v_add_f32_e32 v75, v75, v79
	v_fmac_f32_e32 v139, v96, v124
	v_add_f32_e32 v76, v76, v138
	s_waitcnt lgkmcnt(0)
	v_mul_f32_e32 v79, v100, v113
	s_waitcnt vmcnt(3)
	v_fma_f32 v77, v97, v125, -v77
	v_add_f32_e32 v75, v75, v78
	v_mul_f32_e32 v141, v99, v113
	v_fmac_f32_e32 v140, v98, v125
	v_add_f32_e32 v76, v76, v139
	s_waitcnt vmcnt(2)
	v_fma_f32 v78, v99, v126, -v79
	v_add_f32_e32 v75, v75, v77
	v_fmac_f32_e32 v141, v100, v126
	v_add_f32_e32 v76, v76, v140
	v_add_f32_e32 v75, v75, v78
	;; [unrolled: 1-line block ×3, first 2 shown]
	s_waitcnt vmcnt(1)
	v_sub_f32_e32 v75, v127, v75
	s_waitcnt vmcnt(0)
	v_sub_f32_e32 v76, v128, v76
	buffer_store_dword v75, off, s[0:3], 0 offset:176
	buffer_store_dword v76, off, s[0:3], 0 offset:180
	v_cmpx_lt_u32_e32 21, v0
	s_cbranch_execz .LBB35_187
; %bb.186:
	s_clause 0x1
	buffer_load_dword v75, off, s[0:3], 0 offset:168
	buffer_load_dword v76, off, s[0:3], 0 offset:172
	buffer_store_dword v74, off, s[0:3], 0 offset:168
	buffer_store_dword v74, off, s[0:3], 0 offset:172
	s_waitcnt vmcnt(0)
	ds_write_b64 v73, v[75:76]
.LBB35_187:
	s_or_b32 exec_lo, exec_lo, s4
	s_waitcnt lgkmcnt(0)
	s_waitcnt_vscnt null, 0x0
	s_barrier
	buffer_gl0_inv
	s_clause 0x1d
	buffer_load_dword v103, off, s[0:3], 0 offset:180
	buffer_load_dword v104, off, s[0:3], 0 offset:188
	;; [unrolled: 1-line block ×30, first 2 shown]
	ds_read_b128 v[75:78], v74 offset:464
	ds_read_b128 v[79:82], v74 offset:480
	;; [unrolled: 1-line block ×7, first 2 shown]
	s_mov_b32 s4, exec_lo
	s_waitcnt vmcnt(29) lgkmcnt(6)
	v_mul_f32_e32 v74, v75, v103
	v_mul_f32_e32 v103, v76, v103
	s_waitcnt vmcnt(28)
	v_mul_f32_e32 v133, v77, v104
	v_mul_f32_e32 v104, v78, v104
	s_waitcnt vmcnt(27) lgkmcnt(5)
	v_mul_f32_e32 v134, v79, v105
	s_waitcnt vmcnt(26)
	v_mul_f32_e32 v135, v81, v106
	s_waitcnt vmcnt(25) lgkmcnt(4)
	v_mul_f32_e32 v136, v83, v107
	s_waitcnt vmcnt(24)
	;; [unrolled: 4-line block ×5, first 2 shown]
	v_mul_f32_e32 v143, v97, v114
	s_waitcnt vmcnt(15)
	v_fma_f32 v75, v75, v117, -v103
	v_fmac_f32_e32 v74, v76, v117
	v_mul_f32_e32 v76, v80, v105
	s_waitcnt vmcnt(14)
	v_fma_f32 v77, v77, v118, -v104
	v_fmac_f32_e32 v133, v78, v118
	v_add_f32_e32 v75, 0, v75
	v_add_f32_e32 v74, 0, v74
	v_mul_f32_e32 v78, v82, v106
	s_waitcnt vmcnt(13)
	v_fma_f32 v76, v79, v119, -v76
	v_fmac_f32_e32 v134, v80, v119
	v_add_f32_e32 v75, v75, v77
	v_add_f32_e32 v74, v74, v133
	;; [unrolled: 6-line block ×10, first 2 shown]
	s_waitcnt lgkmcnt(0)
	v_mul_f32_e32 v78, v100, v115
	s_waitcnt vmcnt(4)
	v_fma_f32 v76, v97, v128, -v76
	v_mul_f32_e32 v144, v99, v115
	v_add_f32_e32 v75, v75, v77
	v_fmac_f32_e32 v143, v98, v128
	v_add_f32_e32 v74, v74, v142
	v_mul_f32_e32 v77, v102, v116
	s_waitcnt vmcnt(3)
	v_fma_f32 v78, v99, v129, -v78
	v_add_f32_e32 v75, v75, v76
	v_mul_f32_e32 v145, v101, v116
	v_fmac_f32_e32 v144, v100, v129
	v_add_f32_e32 v74, v74, v143
	s_waitcnt vmcnt(2)
	v_fma_f32 v76, v101, v130, -v77
	v_add_f32_e32 v75, v75, v78
	v_fmac_f32_e32 v145, v102, v130
	v_add_f32_e32 v74, v74, v144
	v_add_f32_e32 v75, v75, v76
	;; [unrolled: 1-line block ×3, first 2 shown]
	s_waitcnt vmcnt(1)
	v_sub_f32_e32 v75, v131, v75
	s_waitcnt vmcnt(0)
	v_sub_f32_e32 v74, v132, v74
	buffer_store_dword v75, off, s[0:3], 0 offset:168
	buffer_store_dword v74, off, s[0:3], 0 offset:172
	v_cmpx_lt_u32_e32 20, v0
	s_cbranch_execz .LBB35_189
; %bb.188:
	s_clause 0x1
	buffer_load_dword v74, off, s[0:3], 0 offset:160
	buffer_load_dword v75, off, s[0:3], 0 offset:164
	v_mov_b32_e32 v76, 0
	buffer_store_dword v76, off, s[0:3], 0 offset:160
	buffer_store_dword v76, off, s[0:3], 0 offset:164
	s_waitcnt vmcnt(0)
	ds_write_b64 v73, v[74:75]
.LBB35_189:
	s_or_b32 exec_lo, exec_lo, s4
	s_waitcnt lgkmcnt(0)
	s_waitcnt_vscnt null, 0x0
	s_barrier
	buffer_gl0_inv
	s_clause 0x1f
	buffer_load_dword v105, off, s[0:3], 0 offset:172
	buffer_load_dword v106, off, s[0:3], 0 offset:180
	;; [unrolled: 1-line block ×32, first 2 shown]
	v_mov_b32_e32 v74, 0
	ds_read2_b64 v[75:78], v74 offset0:57 offset1:58
	ds_read2_b64 v[79:82], v74 offset0:59 offset1:60
	;; [unrolled: 1-line block ×7, first 2 shown]
	ds_read_b64 v[103:104], v74 offset:568
	s_mov_b32 s4, exec_lo
	s_waitcnt vmcnt(31) lgkmcnt(7)
	v_mul_f32_e32 v137, v75, v105
	v_mul_f32_e32 v105, v76, v105
	s_waitcnt vmcnt(30)
	v_mul_f32_e32 v138, v77, v106
	v_mul_f32_e32 v106, v78, v106
	s_waitcnt vmcnt(29) lgkmcnt(6)
	v_mul_f32_e32 v139, v79, v107
	s_waitcnt vmcnt(28)
	v_mul_f32_e32 v140, v81, v108
	s_waitcnt vmcnt(27) lgkmcnt(5)
	v_mul_f32_e32 v141, v83, v109
	s_waitcnt vmcnt(26)
	;; [unrolled: 4-line block ×6, first 2 shown]
	v_fma_f32 v75, v75, v120, -v105
	v_fmac_f32_e32 v137, v76, v120
	v_mul_f32_e32 v76, v80, v107
	s_waitcnt vmcnt(15)
	v_fma_f32 v77, v77, v121, -v106
	v_fmac_f32_e32 v138, v78, v121
	v_add_f32_e32 v75, 0, v75
	v_add_f32_e32 v78, 0, v137
	v_mul_f32_e32 v105, v82, v108
	s_waitcnt vmcnt(14)
	v_fma_f32 v76, v79, v122, -v76
	v_fmac_f32_e32 v139, v80, v122
	v_add_f32_e32 v75, v75, v77
	v_add_f32_e32 v77, v78, v138
	v_mul_f32_e32 v78, v84, v109
	s_waitcnt vmcnt(13)
	v_fma_f32 v79, v81, v123, -v105
	v_fmac_f32_e32 v140, v82, v123
	v_add_f32_e32 v75, v75, v76
	v_add_f32_e32 v76, v77, v139
	v_mul_f32_e32 v77, v86, v110
	s_waitcnt vmcnt(12)
	v_fma_f32 v78, v83, v124, -v78
	v_fmac_f32_e32 v141, v84, v124
	v_add_f32_e32 v75, v75, v79
	v_add_f32_e32 v76, v76, v140
	v_mul_f32_e32 v79, v88, v111
	s_waitcnt vmcnt(11)
	v_fma_f32 v77, v85, v125, -v77
	v_fmac_f32_e32 v142, v86, v125
	v_add_f32_e32 v75, v75, v78
	v_add_f32_e32 v76, v76, v141
	v_mul_f32_e32 v78, v90, v112
	s_waitcnt vmcnt(10)
	v_fma_f32 v79, v87, v126, -v79
	v_fmac_f32_e32 v143, v88, v126
	v_add_f32_e32 v75, v75, v77
	v_add_f32_e32 v76, v76, v142
	v_mul_f32_e32 v77, v92, v113
	s_waitcnt vmcnt(9)
	v_fma_f32 v78, v89, v127, -v78
	v_fmac_f32_e32 v144, v90, v127
	v_add_f32_e32 v75, v75, v79
	v_add_f32_e32 v76, v76, v143
	v_mul_f32_e32 v79, v94, v114
	s_waitcnt vmcnt(8)
	v_fma_f32 v77, v91, v128, -v77
	v_fmac_f32_e32 v145, v92, v128
	v_add_f32_e32 v75, v75, v78
	v_add_f32_e32 v76, v76, v144
	v_mul_f32_e32 v78, v96, v115
	s_waitcnt vmcnt(7)
	v_fma_f32 v79, v93, v129, -v79
	v_fmac_f32_e32 v146, v94, v129
	v_add_f32_e32 v75, v75, v77
	v_add_f32_e32 v76, v76, v145
	v_mul_f32_e32 v77, v98, v116
	s_waitcnt vmcnt(6)
	v_fma_f32 v78, v95, v130, -v78
	v_fmac_f32_e32 v147, v96, v130
	v_add_f32_e32 v75, v75, v79
	v_add_f32_e32 v76, v76, v146
	v_mul_f32_e32 v79, v100, v117
	s_waitcnt vmcnt(5)
	v_fma_f32 v77, v97, v131, -v77
	v_fmac_f32_e32 v148, v98, v131
	v_add_f32_e32 v75, v75, v78
	v_add_f32_e32 v76, v76, v147
	v_mul_f32_e32 v78, v102, v118
	s_waitcnt vmcnt(4)
	v_fma_f32 v79, v99, v132, -v79
	v_mul_f32_e32 v150, v101, v118
	v_add_f32_e32 v75, v75, v77
	v_fmac_f32_e32 v149, v100, v132
	v_add_f32_e32 v76, v76, v148
	s_waitcnt lgkmcnt(0)
	v_mul_f32_e32 v77, v104, v119
	s_waitcnt vmcnt(3)
	v_fma_f32 v78, v101, v133, -v78
	v_add_f32_e32 v75, v75, v79
	v_mul_f32_e32 v151, v103, v119
	v_fmac_f32_e32 v150, v102, v133
	v_add_f32_e32 v76, v76, v149
	s_waitcnt vmcnt(2)
	v_fma_f32 v77, v103, v134, -v77
	v_add_f32_e32 v75, v75, v78
	v_fmac_f32_e32 v151, v104, v134
	v_add_f32_e32 v76, v76, v150
	v_add_f32_e32 v75, v75, v77
	;; [unrolled: 1-line block ×3, first 2 shown]
	s_waitcnt vmcnt(1)
	v_sub_f32_e32 v75, v135, v75
	s_waitcnt vmcnt(0)
	v_sub_f32_e32 v76, v136, v76
	buffer_store_dword v75, off, s[0:3], 0 offset:160
	buffer_store_dword v76, off, s[0:3], 0 offset:164
	v_cmpx_lt_u32_e32 19, v0
	s_cbranch_execz .LBB35_191
; %bb.190:
	s_clause 0x1
	buffer_load_dword v75, off, s[0:3], 0 offset:152
	buffer_load_dword v76, off, s[0:3], 0 offset:156
	buffer_store_dword v74, off, s[0:3], 0 offset:152
	buffer_store_dword v74, off, s[0:3], 0 offset:156
	s_waitcnt vmcnt(0)
	ds_write_b64 v73, v[75:76]
.LBB35_191:
	s_or_b32 exec_lo, exec_lo, s4
	s_waitcnt lgkmcnt(0)
	s_waitcnt_vscnt null, 0x0
	s_barrier
	buffer_gl0_inv
	s_clause 0x21
	buffer_load_dword v107, off, s[0:3], 0 offset:164
	buffer_load_dword v108, off, s[0:3], 0 offset:172
	;; [unrolled: 1-line block ×34, first 2 shown]
	ds_read_b128 v[75:78], v74 offset:448
	ds_read_b128 v[79:82], v74 offset:464
	;; [unrolled: 1-line block ×8, first 2 shown]
	s_mov_b32 s4, exec_lo
	s_waitcnt vmcnt(33) lgkmcnt(7)
	v_mul_f32_e32 v74, v75, v107
	v_mul_f32_e32 v107, v76, v107
	s_waitcnt vmcnt(32)
	v_mul_f32_e32 v141, v77, v108
	v_mul_f32_e32 v108, v78, v108
	s_waitcnt vmcnt(31) lgkmcnt(6)
	v_mul_f32_e32 v142, v79, v109
	s_waitcnt vmcnt(30)
	v_mul_f32_e32 v143, v81, v110
	s_waitcnt vmcnt(29) lgkmcnt(5)
	v_mul_f32_e32 v144, v83, v111
	s_waitcnt vmcnt(28)
	;; [unrolled: 4-line block ×6, first 2 shown]
	v_mul_f32_e32 v153, v101, v120
	s_waitcnt vmcnt(17)
	v_fma_f32 v75, v75, v123, -v107
	v_fmac_f32_e32 v74, v76, v123
	v_mul_f32_e32 v76, v80, v109
	s_waitcnt vmcnt(16)
	v_fma_f32 v77, v77, v124, -v108
	v_fmac_f32_e32 v141, v78, v124
	v_add_f32_e32 v75, 0, v75
	v_add_f32_e32 v74, 0, v74
	v_mul_f32_e32 v78, v82, v110
	s_waitcnt vmcnt(15)
	v_fma_f32 v76, v79, v125, -v76
	v_fmac_f32_e32 v142, v80, v125
	v_add_f32_e32 v75, v75, v77
	v_add_f32_e32 v74, v74, v141
	;; [unrolled: 6-line block ×12, first 2 shown]
	s_waitcnt lgkmcnt(0)
	v_mul_f32_e32 v76, v104, v121
	s_waitcnt vmcnt(4)
	v_fma_f32 v77, v101, v136, -v77
	v_mul_f32_e32 v154, v103, v121
	v_add_f32_e32 v75, v75, v78
	v_fmac_f32_e32 v153, v102, v136
	v_add_f32_e32 v74, v74, v152
	v_mul_f32_e32 v78, v106, v122
	s_waitcnt vmcnt(3)
	v_fma_f32 v76, v103, v137, -v76
	v_add_f32_e32 v75, v75, v77
	v_mul_f32_e32 v155, v105, v122
	v_fmac_f32_e32 v154, v104, v137
	v_add_f32_e32 v74, v74, v153
	s_waitcnt vmcnt(2)
	v_fma_f32 v77, v105, v138, -v78
	v_add_f32_e32 v75, v75, v76
	v_fmac_f32_e32 v155, v106, v138
	v_add_f32_e32 v74, v74, v154
	v_add_f32_e32 v75, v75, v77
	;; [unrolled: 1-line block ×3, first 2 shown]
	s_waitcnt vmcnt(1)
	v_sub_f32_e32 v75, v139, v75
	s_waitcnt vmcnt(0)
	v_sub_f32_e32 v74, v140, v74
	buffer_store_dword v75, off, s[0:3], 0 offset:152
	buffer_store_dword v74, off, s[0:3], 0 offset:156
	v_cmpx_lt_u32_e32 18, v0
	s_cbranch_execz .LBB35_193
; %bb.192:
	s_clause 0x1
	buffer_load_dword v74, off, s[0:3], 0 offset:144
	buffer_load_dword v75, off, s[0:3], 0 offset:148
	v_mov_b32_e32 v76, 0
	buffer_store_dword v76, off, s[0:3], 0 offset:144
	buffer_store_dword v76, off, s[0:3], 0 offset:148
	s_waitcnt vmcnt(0)
	ds_write_b64 v73, v[74:75]
.LBB35_193:
	s_or_b32 exec_lo, exec_lo, s4
	s_waitcnt lgkmcnt(0)
	s_waitcnt_vscnt null, 0x0
	s_barrier
	buffer_gl0_inv
	s_clause 0x23
	buffer_load_dword v109, off, s[0:3], 0 offset:156
	buffer_load_dword v110, off, s[0:3], 0 offset:164
	buffer_load_dword v111, off, s[0:3], 0 offset:172
	buffer_load_dword v112, off, s[0:3], 0 offset:180
	buffer_load_dword v113, off, s[0:3], 0 offset:188
	buffer_load_dword v114, off, s[0:3], 0 offset:196
	buffer_load_dword v115, off, s[0:3], 0 offset:204
	buffer_load_dword v116, off, s[0:3], 0 offset:212
	buffer_load_dword v117, off, s[0:3], 0 offset:220
	buffer_load_dword v118, off, s[0:3], 0 offset:228
	buffer_load_dword v119, off, s[0:3], 0 offset:236
	buffer_load_dword v120, off, s[0:3], 0 offset:244
	buffer_load_dword v121, off, s[0:3], 0 offset:252
	buffer_load_dword v122, off, s[0:3], 0 offset:260
	buffer_load_dword v123, off, s[0:3], 0 offset:268
	buffer_load_dword v124, off, s[0:3], 0 offset:276
	buffer_load_dword v125, off, s[0:3], 0 offset:284
	buffer_load_dword v126, off, s[0:3], 0 offset:152
	buffer_load_dword v127, off, s[0:3], 0 offset:160
	buffer_load_dword v128, off, s[0:3], 0 offset:168
	buffer_load_dword v129, off, s[0:3], 0 offset:176
	buffer_load_dword v130, off, s[0:3], 0 offset:184
	buffer_load_dword v131, off, s[0:3], 0 offset:192
	buffer_load_dword v132, off, s[0:3], 0 offset:200
	buffer_load_dword v133, off, s[0:3], 0 offset:208
	buffer_load_dword v134, off, s[0:3], 0 offset:216
	buffer_load_dword v135, off, s[0:3], 0 offset:224
	buffer_load_dword v136, off, s[0:3], 0 offset:232
	buffer_load_dword v137, off, s[0:3], 0 offset:240
	buffer_load_dword v138, off, s[0:3], 0 offset:248
	buffer_load_dword v139, off, s[0:3], 0 offset:256
	buffer_load_dword v140, off, s[0:3], 0 offset:264
	buffer_load_dword v141, off, s[0:3], 0 offset:272
	buffer_load_dword v142, off, s[0:3], 0 offset:280
	buffer_load_dword v143, off, s[0:3], 0 offset:144
	buffer_load_dword v144, off, s[0:3], 0 offset:148
	v_mov_b32_e32 v74, 0
	ds_read2_b64 v[75:78], v74 offset0:55 offset1:56
	ds_read2_b64 v[79:82], v74 offset0:57 offset1:58
	;; [unrolled: 1-line block ×8, first 2 shown]
	ds_read_b64 v[107:108], v74 offset:568
	s_mov_b32 s4, exec_lo
	s_waitcnt vmcnt(35) lgkmcnt(8)
	v_mul_f32_e32 v145, v75, v109
	v_mul_f32_e32 v109, v76, v109
	s_waitcnt vmcnt(34)
	v_mul_f32_e32 v146, v77, v110
	v_mul_f32_e32 v110, v78, v110
	s_waitcnt vmcnt(33) lgkmcnt(7)
	v_mul_f32_e32 v147, v79, v111
	s_waitcnt vmcnt(32)
	v_mul_f32_e32 v148, v81, v112
	s_waitcnt vmcnt(31) lgkmcnt(6)
	v_mul_f32_e32 v149, v83, v113
	s_waitcnt vmcnt(30)
	;; [unrolled: 4-line block ×7, first 2 shown]
	v_fma_f32 v75, v75, v126, -v109
	v_fmac_f32_e32 v145, v76, v126
	v_mul_f32_e32 v76, v80, v111
	s_waitcnt vmcnt(17)
	v_fma_f32 v77, v77, v127, -v110
	v_fmac_f32_e32 v146, v78, v127
	v_add_f32_e32 v75, 0, v75
	v_add_f32_e32 v78, 0, v145
	v_mul_f32_e32 v109, v82, v112
	s_waitcnt vmcnt(16)
	v_fma_f32 v76, v79, v128, -v76
	v_fmac_f32_e32 v147, v80, v128
	v_add_f32_e32 v75, v75, v77
	v_add_f32_e32 v77, v78, v146
	;; [unrolled: 6-line block ×13, first 2 shown]
	v_mul_f32_e32 v79, v106, v124
	s_waitcnt vmcnt(4)
	v_fma_f32 v77, v103, v140, -v77
	v_mul_f32_e32 v160, v105, v124
	v_add_f32_e32 v75, v75, v78
	v_fmac_f32_e32 v159, v104, v140
	v_add_f32_e32 v76, v76, v158
	s_waitcnt lgkmcnt(0)
	v_mul_f32_e32 v78, v108, v125
	s_waitcnt vmcnt(3)
	v_fma_f32 v79, v105, v141, -v79
	v_add_f32_e32 v75, v75, v77
	v_mul_f32_e32 v161, v107, v125
	v_fmac_f32_e32 v160, v106, v141
	v_add_f32_e32 v76, v76, v159
	s_waitcnt vmcnt(2)
	v_fma_f32 v77, v107, v142, -v78
	v_add_f32_e32 v75, v75, v79
	v_fmac_f32_e32 v161, v108, v142
	v_add_f32_e32 v76, v76, v160
	v_add_f32_e32 v75, v75, v77
	;; [unrolled: 1-line block ×3, first 2 shown]
	s_waitcnt vmcnt(1)
	v_sub_f32_e32 v75, v143, v75
	s_waitcnt vmcnt(0)
	v_sub_f32_e32 v76, v144, v76
	buffer_store_dword v75, off, s[0:3], 0 offset:144
	buffer_store_dword v76, off, s[0:3], 0 offset:148
	v_cmpx_lt_u32_e32 17, v0
	s_cbranch_execz .LBB35_195
; %bb.194:
	s_clause 0x1
	buffer_load_dword v75, off, s[0:3], 0 offset:136
	buffer_load_dword v76, off, s[0:3], 0 offset:140
	buffer_store_dword v74, off, s[0:3], 0 offset:136
	buffer_store_dword v74, off, s[0:3], 0 offset:140
	s_waitcnt vmcnt(0)
	ds_write_b64 v73, v[75:76]
.LBB35_195:
	s_or_b32 exec_lo, exec_lo, s4
	s_waitcnt lgkmcnt(0)
	s_waitcnt_vscnt null, 0x0
	s_barrier
	buffer_gl0_inv
	s_clause 0x25
	buffer_load_dword v111, off, s[0:3], 0 offset:148
	buffer_load_dword v112, off, s[0:3], 0 offset:156
	;; [unrolled: 1-line block ×38, first 2 shown]
	ds_read_b128 v[75:78], v74 offset:432
	ds_read_b128 v[79:82], v74 offset:448
	;; [unrolled: 1-line block ×9, first 2 shown]
	s_mov_b32 s4, exec_lo
	s_waitcnt vmcnt(37) lgkmcnt(8)
	v_mul_f32_e32 v74, v75, v111
	v_mul_f32_e32 v111, v76, v111
	s_waitcnt vmcnt(36)
	v_mul_f32_e32 v149, v77, v112
	v_mul_f32_e32 v112, v78, v112
	s_waitcnt vmcnt(35) lgkmcnt(7)
	v_mul_f32_e32 v150, v79, v113
	s_waitcnt vmcnt(34)
	v_mul_f32_e32 v151, v81, v114
	s_waitcnt vmcnt(33) lgkmcnt(6)
	v_mul_f32_e32 v152, v83, v115
	s_waitcnt vmcnt(32)
	;; [unrolled: 4-line block ×7, first 2 shown]
	v_mul_f32_e32 v163, v105, v126
	s_waitcnt vmcnt(19)
	v_fma_f32 v75, v75, v129, -v111
	v_fmac_f32_e32 v74, v76, v129
	v_mul_f32_e32 v76, v80, v113
	s_waitcnt vmcnt(18)
	v_fma_f32 v77, v77, v130, -v112
	v_fmac_f32_e32 v149, v78, v130
	v_add_f32_e32 v75, 0, v75
	v_add_f32_e32 v74, 0, v74
	v_mul_f32_e32 v78, v82, v114
	s_waitcnt vmcnt(17)
	v_fma_f32 v76, v79, v131, -v76
	v_fmac_f32_e32 v150, v80, v131
	v_add_f32_e32 v75, v75, v77
	v_add_f32_e32 v74, v74, v149
	v_mul_f32_e32 v77, v84, v115
	s_waitcnt vmcnt(16)
	v_fma_f32 v78, v81, v132, -v78
	v_fmac_f32_e32 v151, v82, v132
	v_add_f32_e32 v75, v75, v76
	v_add_f32_e32 v74, v74, v150
	v_mul_f32_e32 v76, v86, v116
	s_waitcnt vmcnt(15)
	v_fma_f32 v77, v83, v133, -v77
	v_fmac_f32_e32 v152, v84, v133
	v_add_f32_e32 v75, v75, v78
	v_add_f32_e32 v74, v74, v151
	v_mul_f32_e32 v78, v88, v117
	s_waitcnt vmcnt(14)
	v_fma_f32 v76, v85, v134, -v76
	v_fmac_f32_e32 v153, v86, v134
	v_add_f32_e32 v75, v75, v77
	v_add_f32_e32 v74, v74, v152
	v_mul_f32_e32 v77, v90, v118
	s_waitcnt vmcnt(13)
	v_fma_f32 v78, v87, v135, -v78
	v_fmac_f32_e32 v154, v88, v135
	v_add_f32_e32 v75, v75, v76
	v_add_f32_e32 v74, v74, v153
	v_mul_f32_e32 v76, v92, v119
	s_waitcnt vmcnt(12)
	v_fma_f32 v77, v89, v136, -v77
	v_fmac_f32_e32 v155, v90, v136
	v_add_f32_e32 v75, v75, v78
	v_add_f32_e32 v74, v74, v154
	v_mul_f32_e32 v78, v94, v120
	s_waitcnt vmcnt(11)
	v_fma_f32 v76, v91, v137, -v76
	v_fmac_f32_e32 v156, v92, v137
	v_add_f32_e32 v75, v75, v77
	v_add_f32_e32 v74, v74, v155
	v_mul_f32_e32 v77, v96, v121
	s_waitcnt vmcnt(10)
	v_fma_f32 v78, v93, v138, -v78
	v_fmac_f32_e32 v157, v94, v138
	v_add_f32_e32 v75, v75, v76
	v_add_f32_e32 v74, v74, v156
	v_mul_f32_e32 v76, v98, v122
	s_waitcnt vmcnt(9)
	v_fma_f32 v77, v95, v139, -v77
	v_fmac_f32_e32 v158, v96, v139
	v_add_f32_e32 v75, v75, v78
	v_add_f32_e32 v74, v74, v157
	v_mul_f32_e32 v78, v100, v123
	s_waitcnt vmcnt(8)
	v_fma_f32 v76, v97, v140, -v76
	v_fmac_f32_e32 v159, v98, v140
	v_add_f32_e32 v75, v75, v77
	v_add_f32_e32 v74, v74, v158
	v_mul_f32_e32 v77, v102, v124
	s_waitcnt vmcnt(7)
	v_fma_f32 v78, v99, v141, -v78
	v_fmac_f32_e32 v160, v100, v141
	v_add_f32_e32 v75, v75, v76
	v_add_f32_e32 v74, v74, v159
	v_mul_f32_e32 v76, v104, v125
	s_waitcnt vmcnt(6)
	v_fma_f32 v77, v101, v142, -v77
	v_fmac_f32_e32 v161, v102, v142
	v_add_f32_e32 v75, v75, v78
	v_add_f32_e32 v74, v74, v160
	v_mul_f32_e32 v78, v106, v126
	s_waitcnt vmcnt(5)
	v_fma_f32 v76, v103, v143, -v76
	v_fmac_f32_e32 v162, v104, v143
	v_add_f32_e32 v75, v75, v77
	v_add_f32_e32 v74, v74, v161
	s_waitcnt lgkmcnt(0)
	v_mul_f32_e32 v77, v108, v127
	s_waitcnt vmcnt(4)
	v_fma_f32 v78, v105, v144, -v78
	v_mul_f32_e32 v164, v107, v127
	v_add_f32_e32 v75, v75, v76
	v_fmac_f32_e32 v163, v106, v144
	v_add_f32_e32 v74, v74, v162
	v_mul_f32_e32 v76, v110, v128
	s_waitcnt vmcnt(3)
	v_fma_f32 v77, v107, v145, -v77
	v_add_f32_e32 v75, v75, v78
	v_mul_f32_e32 v165, v109, v128
	v_fmac_f32_e32 v164, v108, v145
	v_add_f32_e32 v74, v74, v163
	s_waitcnt vmcnt(2)
	v_fma_f32 v76, v109, v146, -v76
	v_add_f32_e32 v75, v75, v77
	v_fmac_f32_e32 v165, v110, v146
	v_add_f32_e32 v74, v74, v164
	v_add_f32_e32 v75, v75, v76
	;; [unrolled: 1-line block ×3, first 2 shown]
	s_waitcnt vmcnt(1)
	v_sub_f32_e32 v75, v147, v75
	s_waitcnt vmcnt(0)
	v_sub_f32_e32 v74, v148, v74
	buffer_store_dword v75, off, s[0:3], 0 offset:136
	buffer_store_dword v74, off, s[0:3], 0 offset:140
	v_cmpx_lt_u32_e32 16, v0
	s_cbranch_execz .LBB35_197
; %bb.196:
	s_clause 0x1
	buffer_load_dword v74, off, s[0:3], 0 offset:128
	buffer_load_dword v75, off, s[0:3], 0 offset:132
	v_mov_b32_e32 v76, 0
	buffer_store_dword v76, off, s[0:3], 0 offset:128
	buffer_store_dword v76, off, s[0:3], 0 offset:132
	s_waitcnt vmcnt(0)
	ds_write_b64 v73, v[74:75]
.LBB35_197:
	s_or_b32 exec_lo, exec_lo, s4
	s_waitcnt lgkmcnt(0)
	s_waitcnt_vscnt null, 0x0
	s_barrier
	buffer_gl0_inv
	s_clause 0x27
	buffer_load_dword v113, off, s[0:3], 0 offset:140
	buffer_load_dword v114, off, s[0:3], 0 offset:148
	;; [unrolled: 1-line block ×40, first 2 shown]
	v_mov_b32_e32 v74, 0
	ds_read2_b64 v[75:78], v74 offset0:53 offset1:54
	ds_read2_b64 v[79:82], v74 offset0:55 offset1:56
	;; [unrolled: 1-line block ×9, first 2 shown]
	ds_read_b64 v[111:112], v74 offset:568
	s_mov_b32 s4, exec_lo
	s_waitcnt vmcnt(39) lgkmcnt(9)
	v_mul_f32_e32 v153, v75, v113
	v_mul_f32_e32 v113, v76, v113
	s_waitcnt vmcnt(38)
	v_mul_f32_e32 v154, v77, v114
	v_mul_f32_e32 v114, v78, v114
	s_waitcnt vmcnt(37) lgkmcnt(8)
	v_mul_f32_e32 v155, v79, v115
	s_waitcnt vmcnt(36)
	v_mul_f32_e32 v156, v81, v116
	s_waitcnt vmcnt(35) lgkmcnt(7)
	v_mul_f32_e32 v157, v83, v117
	s_waitcnt vmcnt(34)
	;; [unrolled: 4-line block ×8, first 2 shown]
	v_fma_f32 v75, v75, v132, -v113
	v_fmac_f32_e32 v153, v76, v132
	v_mul_f32_e32 v76, v80, v115
	s_waitcnt vmcnt(19)
	v_fma_f32 v77, v77, v133, -v114
	v_fmac_f32_e32 v154, v78, v133
	v_add_f32_e32 v75, 0, v75
	v_add_f32_e32 v78, 0, v153
	v_mul_f32_e32 v113, v82, v116
	s_waitcnt vmcnt(18)
	v_fma_f32 v76, v79, v134, -v76
	v_fmac_f32_e32 v155, v80, v134
	v_add_f32_e32 v75, v75, v77
	v_add_f32_e32 v77, v78, v154
	;; [unrolled: 6-line block ×15, first 2 shown]
	v_mul_f32_e32 v77, v110, v130
	s_waitcnt vmcnt(4)
	v_fma_f32 v78, v107, v148, -v78
	v_mul_f32_e32 v170, v109, v130
	v_add_f32_e32 v75, v75, v79
	v_fmac_f32_e32 v169, v108, v148
	v_add_f32_e32 v76, v76, v168
	s_waitcnt lgkmcnt(0)
	v_mul_f32_e32 v79, v112, v131
	s_waitcnt vmcnt(3)
	v_fma_f32 v77, v109, v149, -v77
	v_add_f32_e32 v75, v75, v78
	v_mul_f32_e32 v171, v111, v131
	v_fmac_f32_e32 v170, v110, v149
	v_add_f32_e32 v76, v76, v169
	s_waitcnt vmcnt(2)
	v_fma_f32 v78, v111, v150, -v79
	v_add_f32_e32 v75, v75, v77
	v_fmac_f32_e32 v171, v112, v150
	v_add_f32_e32 v76, v76, v170
	v_add_f32_e32 v75, v75, v78
	;; [unrolled: 1-line block ×3, first 2 shown]
	s_waitcnt vmcnt(1)
	v_sub_f32_e32 v75, v151, v75
	s_waitcnt vmcnt(0)
	v_sub_f32_e32 v76, v152, v76
	buffer_store_dword v75, off, s[0:3], 0 offset:128
	buffer_store_dword v76, off, s[0:3], 0 offset:132
	v_cmpx_lt_u32_e32 15, v0
	s_cbranch_execz .LBB35_199
; %bb.198:
	s_clause 0x1
	buffer_load_dword v75, off, s[0:3], 0 offset:120
	buffer_load_dword v76, off, s[0:3], 0 offset:124
	buffer_store_dword v74, off, s[0:3], 0 offset:120
	buffer_store_dword v74, off, s[0:3], 0 offset:124
	s_waitcnt vmcnt(0)
	ds_write_b64 v73, v[75:76]
.LBB35_199:
	s_or_b32 exec_lo, exec_lo, s4
	s_waitcnt lgkmcnt(0)
	s_waitcnt_vscnt null, 0x0
	s_barrier
	buffer_gl0_inv
	s_clause 0x29
	buffer_load_dword v115, off, s[0:3], 0 offset:132
	buffer_load_dword v116, off, s[0:3], 0 offset:140
	;; [unrolled: 1-line block ×42, first 2 shown]
	ds_read_b128 v[75:78], v74 offset:416
	ds_read_b128 v[79:82], v74 offset:432
	;; [unrolled: 1-line block ×10, first 2 shown]
	s_mov_b32 s4, exec_lo
	s_waitcnt vmcnt(41) lgkmcnt(9)
	v_mul_f32_e32 v74, v75, v115
	v_mul_f32_e32 v115, v76, v115
	s_waitcnt vmcnt(40)
	v_mul_f32_e32 v157, v77, v116
	v_mul_f32_e32 v116, v78, v116
	s_waitcnt vmcnt(39) lgkmcnt(8)
	v_mul_f32_e32 v158, v79, v117
	s_waitcnt vmcnt(38)
	v_mul_f32_e32 v159, v81, v118
	s_waitcnt vmcnt(37) lgkmcnt(7)
	v_mul_f32_e32 v160, v83, v119
	s_waitcnt vmcnt(36)
	;; [unrolled: 4-line block ×8, first 2 shown]
	v_mul_f32_e32 v173, v109, v132
	s_waitcnt vmcnt(21)
	v_fma_f32 v75, v75, v135, -v115
	v_fmac_f32_e32 v74, v76, v135
	v_mul_f32_e32 v76, v80, v117
	s_waitcnt vmcnt(20)
	v_fma_f32 v77, v77, v136, -v116
	v_fmac_f32_e32 v157, v78, v136
	v_add_f32_e32 v75, 0, v75
	v_add_f32_e32 v74, 0, v74
	v_mul_f32_e32 v78, v82, v118
	s_waitcnt vmcnt(19)
	v_fma_f32 v76, v79, v137, -v76
	v_fmac_f32_e32 v158, v80, v137
	v_add_f32_e32 v75, v75, v77
	v_add_f32_e32 v74, v74, v157
	;; [unrolled: 6-line block ×16, first 2 shown]
	s_waitcnt lgkmcnt(0)
	v_mul_f32_e32 v78, v112, v133
	s_waitcnt vmcnt(4)
	v_fma_f32 v76, v109, v152, -v76
	v_mul_f32_e32 v174, v111, v133
	v_add_f32_e32 v75, v75, v77
	v_fmac_f32_e32 v173, v110, v152
	v_add_f32_e32 v74, v74, v172
	v_mul_f32_e32 v77, v114, v134
	s_waitcnt vmcnt(3)
	v_fma_f32 v78, v111, v153, -v78
	v_add_f32_e32 v75, v75, v76
	v_mul_f32_e32 v175, v113, v134
	v_fmac_f32_e32 v174, v112, v153
	v_add_f32_e32 v74, v74, v173
	s_waitcnt vmcnt(2)
	v_fma_f32 v76, v113, v154, -v77
	v_add_f32_e32 v75, v75, v78
	v_fmac_f32_e32 v175, v114, v154
	v_add_f32_e32 v74, v74, v174
	v_add_f32_e32 v75, v75, v76
	;; [unrolled: 1-line block ×3, first 2 shown]
	s_waitcnt vmcnt(1)
	v_sub_f32_e32 v75, v155, v75
	s_waitcnt vmcnt(0)
	v_sub_f32_e32 v74, v156, v74
	buffer_store_dword v75, off, s[0:3], 0 offset:120
	buffer_store_dword v74, off, s[0:3], 0 offset:124
	v_cmpx_lt_u32_e32 14, v0
	s_cbranch_execz .LBB35_201
; %bb.200:
	s_clause 0x1
	buffer_load_dword v74, off, s[0:3], 0 offset:112
	buffer_load_dword v75, off, s[0:3], 0 offset:116
	v_mov_b32_e32 v76, 0
	buffer_store_dword v76, off, s[0:3], 0 offset:112
	buffer_store_dword v76, off, s[0:3], 0 offset:116
	s_waitcnt vmcnt(0)
	ds_write_b64 v73, v[74:75]
.LBB35_201:
	s_or_b32 exec_lo, exec_lo, s4
	s_waitcnt lgkmcnt(0)
	s_waitcnt_vscnt null, 0x0
	s_barrier
	buffer_gl0_inv
	s_clause 0x2b
	buffer_load_dword v117, off, s[0:3], 0 offset:124
	buffer_load_dword v118, off, s[0:3], 0 offset:132
	;; [unrolled: 1-line block ×44, first 2 shown]
	v_mov_b32_e32 v74, 0
	ds_read2_b64 v[75:78], v74 offset0:51 offset1:52
	ds_read2_b64 v[79:82], v74 offset0:53 offset1:54
	;; [unrolled: 1-line block ×10, first 2 shown]
	ds_read_b64 v[115:116], v74 offset:568
	s_mov_b32 s4, exec_lo
	s_waitcnt vmcnt(43) lgkmcnt(10)
	v_mul_f32_e32 v161, v75, v117
	v_mul_f32_e32 v117, v76, v117
	s_waitcnt vmcnt(42)
	v_mul_f32_e32 v162, v77, v118
	v_mul_f32_e32 v118, v78, v118
	s_waitcnt vmcnt(41) lgkmcnt(9)
	v_mul_f32_e32 v163, v79, v119
	s_waitcnt vmcnt(40)
	v_mul_f32_e32 v164, v81, v120
	s_waitcnt vmcnt(39) lgkmcnt(8)
	v_mul_f32_e32 v165, v83, v121
	s_waitcnt vmcnt(38)
	;; [unrolled: 4-line block ×9, first 2 shown]
	v_fma_f32 v75, v75, v138, -v117
	v_fmac_f32_e32 v161, v76, v138
	v_mul_f32_e32 v76, v80, v119
	s_waitcnt vmcnt(21)
	v_fma_f32 v77, v77, v139, -v118
	v_fmac_f32_e32 v162, v78, v139
	v_add_f32_e32 v75, 0, v75
	v_add_f32_e32 v78, 0, v161
	v_mul_f32_e32 v117, v82, v120
	s_waitcnt vmcnt(20)
	v_fma_f32 v76, v79, v140, -v76
	v_fmac_f32_e32 v163, v80, v140
	v_add_f32_e32 v75, v75, v77
	v_add_f32_e32 v77, v78, v162
	;; [unrolled: 6-line block ×17, first 2 shown]
	v_mul_f32_e32 v78, v114, v136
	s_waitcnt vmcnt(4)
	v_fma_f32 v79, v111, v156, -v79
	v_mul_f32_e32 v180, v113, v136
	v_add_f32_e32 v75, v75, v77
	v_fmac_f32_e32 v179, v112, v156
	v_add_f32_e32 v76, v76, v178
	s_waitcnt lgkmcnt(0)
	v_mul_f32_e32 v77, v116, v137
	s_waitcnt vmcnt(3)
	v_fma_f32 v78, v113, v157, -v78
	v_add_f32_e32 v75, v75, v79
	v_mul_f32_e32 v181, v115, v137
	v_fmac_f32_e32 v180, v114, v157
	v_add_f32_e32 v76, v76, v179
	s_waitcnt vmcnt(2)
	v_fma_f32 v77, v115, v158, -v77
	v_add_f32_e32 v75, v75, v78
	v_fmac_f32_e32 v181, v116, v158
	v_add_f32_e32 v76, v76, v180
	v_add_f32_e32 v75, v75, v77
	v_add_f32_e32 v76, v76, v181
	s_waitcnt vmcnt(1)
	v_sub_f32_e32 v75, v159, v75
	s_waitcnt vmcnt(0)
	v_sub_f32_e32 v76, v160, v76
	buffer_store_dword v75, off, s[0:3], 0 offset:112
	buffer_store_dword v76, off, s[0:3], 0 offset:116
	v_cmpx_lt_u32_e32 13, v0
	s_cbranch_execz .LBB35_203
; %bb.202:
	s_clause 0x1
	buffer_load_dword v75, off, s[0:3], 0 offset:104
	buffer_load_dword v76, off, s[0:3], 0 offset:108
	buffer_store_dword v74, off, s[0:3], 0 offset:104
	buffer_store_dword v74, off, s[0:3], 0 offset:108
	s_waitcnt vmcnt(0)
	ds_write_b64 v73, v[75:76]
.LBB35_203:
	s_or_b32 exec_lo, exec_lo, s4
	s_waitcnt lgkmcnt(0)
	s_waitcnt_vscnt null, 0x0
	s_barrier
	buffer_gl0_inv
	s_clause 0x2d
	buffer_load_dword v119, off, s[0:3], 0 offset:116
	buffer_load_dword v120, off, s[0:3], 0 offset:124
	;; [unrolled: 1-line block ×46, first 2 shown]
	ds_read_b128 v[75:78], v74 offset:400
	ds_read_b128 v[79:82], v74 offset:416
	;; [unrolled: 1-line block ×11, first 2 shown]
	s_mov_b32 s4, exec_lo
	s_waitcnt vmcnt(45) lgkmcnt(10)
	v_mul_f32_e32 v74, v75, v119
	v_mul_f32_e32 v119, v76, v119
	s_waitcnt vmcnt(44)
	v_mul_f32_e32 v165, v77, v120
	v_mul_f32_e32 v120, v78, v120
	s_waitcnt vmcnt(43) lgkmcnt(9)
	v_mul_f32_e32 v166, v79, v121
	s_waitcnt vmcnt(42)
	v_mul_f32_e32 v167, v81, v122
	s_waitcnt vmcnt(41) lgkmcnt(8)
	v_mul_f32_e32 v168, v83, v123
	s_waitcnt vmcnt(40)
	;; [unrolled: 4-line block ×9, first 2 shown]
	v_mul_f32_e32 v183, v113, v138
	s_waitcnt vmcnt(23)
	v_fma_f32 v75, v75, v141, -v119
	v_fmac_f32_e32 v74, v76, v141
	v_mul_f32_e32 v76, v80, v121
	s_waitcnt vmcnt(22)
	v_fma_f32 v77, v77, v142, -v120
	v_fmac_f32_e32 v165, v78, v142
	v_add_f32_e32 v75, 0, v75
	v_add_f32_e32 v74, 0, v74
	v_mul_f32_e32 v78, v82, v122
	s_waitcnt vmcnt(21)
	v_fma_f32 v76, v79, v143, -v76
	v_fmac_f32_e32 v166, v80, v143
	v_add_f32_e32 v75, v75, v77
	v_add_f32_e32 v74, v74, v165
	v_mul_f32_e32 v77, v84, v123
	s_waitcnt vmcnt(20)
	v_fma_f32 v78, v81, v144, -v78
	v_fmac_f32_e32 v167, v82, v144
	v_add_f32_e32 v75, v75, v76
	v_add_f32_e32 v74, v74, v166
	v_mul_f32_e32 v76, v86, v124
	s_waitcnt vmcnt(19)
	v_fma_f32 v77, v83, v145, -v77
	v_fmac_f32_e32 v168, v84, v145
	v_add_f32_e32 v75, v75, v78
	v_add_f32_e32 v74, v74, v167
	v_mul_f32_e32 v78, v88, v125
	s_waitcnt vmcnt(18)
	v_fma_f32 v76, v85, v146, -v76
	v_fmac_f32_e32 v169, v86, v146
	v_add_f32_e32 v75, v75, v77
	v_add_f32_e32 v74, v74, v168
	v_mul_f32_e32 v77, v90, v126
	s_waitcnt vmcnt(17)
	v_fma_f32 v78, v87, v147, -v78
	v_fmac_f32_e32 v170, v88, v147
	v_add_f32_e32 v75, v75, v76
	v_add_f32_e32 v74, v74, v169
	v_mul_f32_e32 v76, v92, v127
	s_waitcnt vmcnt(16)
	v_fma_f32 v77, v89, v148, -v77
	v_fmac_f32_e32 v171, v90, v148
	v_add_f32_e32 v75, v75, v78
	v_add_f32_e32 v74, v74, v170
	v_mul_f32_e32 v78, v94, v128
	s_waitcnt vmcnt(15)
	v_fma_f32 v76, v91, v149, -v76
	v_fmac_f32_e32 v172, v92, v149
	v_add_f32_e32 v75, v75, v77
	v_add_f32_e32 v74, v74, v171
	v_mul_f32_e32 v77, v96, v129
	s_waitcnt vmcnt(14)
	v_fma_f32 v78, v93, v150, -v78
	v_fmac_f32_e32 v173, v94, v150
	v_add_f32_e32 v75, v75, v76
	v_add_f32_e32 v74, v74, v172
	v_mul_f32_e32 v76, v98, v130
	s_waitcnt vmcnt(13)
	v_fma_f32 v77, v95, v151, -v77
	v_fmac_f32_e32 v174, v96, v151
	v_add_f32_e32 v75, v75, v78
	v_add_f32_e32 v74, v74, v173
	v_mul_f32_e32 v78, v100, v131
	s_waitcnt vmcnt(12)
	v_fma_f32 v76, v97, v152, -v76
	v_fmac_f32_e32 v175, v98, v152
	v_add_f32_e32 v75, v75, v77
	v_add_f32_e32 v74, v74, v174
	v_mul_f32_e32 v77, v102, v132
	s_waitcnt vmcnt(11)
	v_fma_f32 v78, v99, v153, -v78
	v_fmac_f32_e32 v176, v100, v153
	v_add_f32_e32 v75, v75, v76
	v_add_f32_e32 v74, v74, v175
	v_mul_f32_e32 v76, v104, v133
	s_waitcnt vmcnt(10)
	v_fma_f32 v77, v101, v154, -v77
	v_fmac_f32_e32 v177, v102, v154
	v_add_f32_e32 v75, v75, v78
	v_add_f32_e32 v74, v74, v176
	v_mul_f32_e32 v78, v106, v134
	s_waitcnt vmcnt(9)
	v_fma_f32 v76, v103, v155, -v76
	v_fmac_f32_e32 v178, v104, v155
	v_add_f32_e32 v75, v75, v77
	v_add_f32_e32 v74, v74, v177
	v_mul_f32_e32 v77, v108, v135
	s_waitcnt vmcnt(8)
	v_fma_f32 v78, v105, v156, -v78
	v_fmac_f32_e32 v179, v106, v156
	v_add_f32_e32 v75, v75, v76
	v_add_f32_e32 v74, v74, v178
	v_mul_f32_e32 v76, v110, v136
	s_waitcnt vmcnt(7)
	v_fma_f32 v77, v107, v157, -v77
	v_fmac_f32_e32 v180, v108, v157
	v_add_f32_e32 v75, v75, v78
	v_add_f32_e32 v74, v74, v179
	v_mul_f32_e32 v78, v112, v137
	s_waitcnt vmcnt(6)
	v_fma_f32 v76, v109, v158, -v76
	v_fmac_f32_e32 v181, v110, v158
	v_add_f32_e32 v75, v75, v77
	v_add_f32_e32 v74, v74, v180
	v_mul_f32_e32 v77, v114, v138
	s_waitcnt vmcnt(5)
	v_fma_f32 v78, v111, v159, -v78
	v_fmac_f32_e32 v182, v112, v159
	v_add_f32_e32 v75, v75, v76
	v_add_f32_e32 v74, v74, v181
	s_waitcnt lgkmcnt(0)
	v_mul_f32_e32 v76, v116, v139
	s_waitcnt vmcnt(4)
	v_fma_f32 v77, v113, v160, -v77
	v_mul_f32_e32 v184, v115, v139
	v_add_f32_e32 v75, v75, v78
	v_fmac_f32_e32 v183, v114, v160
	v_add_f32_e32 v74, v74, v182
	v_mul_f32_e32 v78, v118, v140
	s_waitcnt vmcnt(3)
	v_fma_f32 v76, v115, v161, -v76
	v_add_f32_e32 v75, v75, v77
	v_mul_f32_e32 v185, v117, v140
	v_fmac_f32_e32 v184, v116, v161
	v_add_f32_e32 v74, v74, v183
	s_waitcnt vmcnt(2)
	v_fma_f32 v77, v117, v162, -v78
	v_add_f32_e32 v75, v75, v76
	v_fmac_f32_e32 v185, v118, v162
	v_add_f32_e32 v74, v74, v184
	v_add_f32_e32 v75, v75, v77
	;; [unrolled: 1-line block ×3, first 2 shown]
	s_waitcnt vmcnt(1)
	v_sub_f32_e32 v75, v163, v75
	s_waitcnt vmcnt(0)
	v_sub_f32_e32 v74, v164, v74
	buffer_store_dword v75, off, s[0:3], 0 offset:104
	buffer_store_dword v74, off, s[0:3], 0 offset:108
	v_cmpx_lt_u32_e32 12, v0
	s_cbranch_execz .LBB35_205
; %bb.204:
	s_clause 0x1
	buffer_load_dword v74, off, s[0:3], 0 offset:96
	buffer_load_dword v75, off, s[0:3], 0 offset:100
	v_mov_b32_e32 v76, 0
	buffer_store_dword v76, off, s[0:3], 0 offset:96
	buffer_store_dword v76, off, s[0:3], 0 offset:100
	s_waitcnt vmcnt(0)
	ds_write_b64 v73, v[74:75]
.LBB35_205:
	s_or_b32 exec_lo, exec_lo, s4
	s_waitcnt lgkmcnt(0)
	s_waitcnt_vscnt null, 0x0
	s_barrier
	buffer_gl0_inv
	s_clause 0x2f
	buffer_load_dword v121, off, s[0:3], 0 offset:108
	buffer_load_dword v122, off, s[0:3], 0 offset:116
	;; [unrolled: 1-line block ×48, first 2 shown]
	v_mov_b32_e32 v74, 0
	ds_read2_b64 v[75:78], v74 offset0:49 offset1:50
	ds_read2_b64 v[79:82], v74 offset0:51 offset1:52
	;; [unrolled: 1-line block ×11, first 2 shown]
	ds_read_b64 v[119:120], v74 offset:568
	s_mov_b32 s4, exec_lo
	s_waitcnt vmcnt(47) lgkmcnt(11)
	v_mul_f32_e32 v169, v75, v121
	v_mul_f32_e32 v121, v76, v121
	s_waitcnt vmcnt(46)
	v_mul_f32_e32 v170, v77, v122
	v_mul_f32_e32 v122, v78, v122
	s_waitcnt vmcnt(45) lgkmcnt(10)
	v_mul_f32_e32 v171, v79, v123
	s_waitcnt vmcnt(44)
	v_mul_f32_e32 v172, v81, v124
	s_waitcnt vmcnt(43) lgkmcnt(9)
	v_mul_f32_e32 v173, v83, v125
	s_waitcnt vmcnt(42)
	;; [unrolled: 4-line block ×10, first 2 shown]
	v_fma_f32 v75, v75, v144, -v121
	v_fmac_f32_e32 v169, v76, v144
	v_mul_f32_e32 v76, v80, v123
	s_waitcnt vmcnt(23)
	v_fma_f32 v77, v77, v145, -v122
	v_fmac_f32_e32 v170, v78, v145
	v_add_f32_e32 v75, 0, v75
	v_add_f32_e32 v78, 0, v169
	v_mul_f32_e32 v121, v82, v124
	s_waitcnt vmcnt(22)
	v_fma_f32 v76, v79, v146, -v76
	v_fmac_f32_e32 v171, v80, v146
	v_add_f32_e32 v75, v75, v77
	v_add_f32_e32 v77, v78, v170
	;; [unrolled: 6-line block ×19, first 2 shown]
	v_mul_f32_e32 v79, v118, v142
	s_waitcnt vmcnt(4)
	v_fma_f32 v77, v115, v164, -v77
	v_mul_f32_e32 v190, v117, v142
	v_add_f32_e32 v75, v75, v78
	v_fmac_f32_e32 v189, v116, v164
	v_add_f32_e32 v76, v76, v188
	s_waitcnt lgkmcnt(0)
	v_mul_f32_e32 v78, v120, v143
	s_waitcnt vmcnt(3)
	v_fma_f32 v79, v117, v165, -v79
	v_add_f32_e32 v75, v75, v77
	v_mul_f32_e32 v191, v119, v143
	v_fmac_f32_e32 v190, v118, v165
	v_add_f32_e32 v76, v76, v189
	s_waitcnt vmcnt(2)
	v_fma_f32 v77, v119, v166, -v78
	v_add_f32_e32 v75, v75, v79
	v_fmac_f32_e32 v191, v120, v166
	v_add_f32_e32 v76, v76, v190
	v_add_f32_e32 v75, v75, v77
	;; [unrolled: 1-line block ×3, first 2 shown]
	s_waitcnt vmcnt(1)
	v_sub_f32_e32 v75, v167, v75
	s_waitcnt vmcnt(0)
	v_sub_f32_e32 v76, v168, v76
	buffer_store_dword v75, off, s[0:3], 0 offset:96
	buffer_store_dword v76, off, s[0:3], 0 offset:100
	v_cmpx_lt_u32_e32 11, v0
	s_cbranch_execz .LBB35_207
; %bb.206:
	s_clause 0x1
	buffer_load_dword v75, off, s[0:3], 0 offset:88
	buffer_load_dword v76, off, s[0:3], 0 offset:92
	buffer_store_dword v74, off, s[0:3], 0 offset:88
	buffer_store_dword v74, off, s[0:3], 0 offset:92
	s_waitcnt vmcnt(0)
	ds_write_b64 v73, v[75:76]
.LBB35_207:
	s_or_b32 exec_lo, exec_lo, s4
	s_waitcnt lgkmcnt(0)
	s_waitcnt_vscnt null, 0x0
	s_barrier
	buffer_gl0_inv
	s_clause 0x31
	buffer_load_dword v123, off, s[0:3], 0 offset:100
	buffer_load_dword v124, off, s[0:3], 0 offset:108
	buffer_load_dword v125, off, s[0:3], 0 offset:116
	buffer_load_dword v126, off, s[0:3], 0 offset:124
	buffer_load_dword v127, off, s[0:3], 0 offset:132
	buffer_load_dword v128, off, s[0:3], 0 offset:140
	buffer_load_dword v129, off, s[0:3], 0 offset:148
	buffer_load_dword v130, off, s[0:3], 0 offset:156
	buffer_load_dword v131, off, s[0:3], 0 offset:164
	buffer_load_dword v132, off, s[0:3], 0 offset:172
	buffer_load_dword v133, off, s[0:3], 0 offset:180
	buffer_load_dword v134, off, s[0:3], 0 offset:188
	buffer_load_dword v135, off, s[0:3], 0 offset:196
	buffer_load_dword v136, off, s[0:3], 0 offset:204
	buffer_load_dword v137, off, s[0:3], 0 offset:212
	buffer_load_dword v138, off, s[0:3], 0 offset:220
	buffer_load_dword v139, off, s[0:3], 0 offset:228
	buffer_load_dword v140, off, s[0:3], 0 offset:236
	buffer_load_dword v141, off, s[0:3], 0 offset:244
	buffer_load_dword v142, off, s[0:3], 0 offset:252
	buffer_load_dword v143, off, s[0:3], 0 offset:260
	buffer_load_dword v144, off, s[0:3], 0 offset:268
	buffer_load_dword v145, off, s[0:3], 0 offset:276
	buffer_load_dword v146, off, s[0:3], 0 offset:284
	buffer_load_dword v147, off, s[0:3], 0 offset:96
	buffer_load_dword v148, off, s[0:3], 0 offset:104
	buffer_load_dword v149, off, s[0:3], 0 offset:112
	buffer_load_dword v150, off, s[0:3], 0 offset:120
	buffer_load_dword v151, off, s[0:3], 0 offset:128
	buffer_load_dword v152, off, s[0:3], 0 offset:136
	buffer_load_dword v153, off, s[0:3], 0 offset:144
	buffer_load_dword v154, off, s[0:3], 0 offset:152
	buffer_load_dword v155, off, s[0:3], 0 offset:160
	buffer_load_dword v156, off, s[0:3], 0 offset:168
	buffer_load_dword v157, off, s[0:3], 0 offset:176
	buffer_load_dword v158, off, s[0:3], 0 offset:184
	buffer_load_dword v159, off, s[0:3], 0 offset:192
	buffer_load_dword v160, off, s[0:3], 0 offset:200
	buffer_load_dword v161, off, s[0:3], 0 offset:208
	buffer_load_dword v162, off, s[0:3], 0 offset:216
	buffer_load_dword v163, off, s[0:3], 0 offset:224
	buffer_load_dword v164, off, s[0:3], 0 offset:232
	buffer_load_dword v165, off, s[0:3], 0 offset:240
	buffer_load_dword v166, off, s[0:3], 0 offset:248
	buffer_load_dword v167, off, s[0:3], 0 offset:256
	buffer_load_dword v168, off, s[0:3], 0 offset:264
	buffer_load_dword v169, off, s[0:3], 0 offset:272
	buffer_load_dword v170, off, s[0:3], 0 offset:280
	buffer_load_dword v171, off, s[0:3], 0 offset:88
	buffer_load_dword v172, off, s[0:3], 0 offset:92
	ds_read_b128 v[75:78], v74 offset:384
	ds_read_b128 v[79:82], v74 offset:400
	;; [unrolled: 1-line block ×12, first 2 shown]
	s_mov_b32 s4, exec_lo
	s_waitcnt vmcnt(49) lgkmcnt(11)
	v_mul_f32_e32 v74, v75, v123
	v_mul_f32_e32 v123, v76, v123
	s_waitcnt vmcnt(48)
	v_mul_f32_e32 v173, v77, v124
	v_mul_f32_e32 v124, v78, v124
	s_waitcnt vmcnt(47) lgkmcnt(10)
	v_mul_f32_e32 v174, v79, v125
	s_waitcnt vmcnt(46)
	v_mul_f32_e32 v175, v81, v126
	s_waitcnt vmcnt(45) lgkmcnt(9)
	v_mul_f32_e32 v176, v83, v127
	s_waitcnt vmcnt(44)
	v_mul_f32_e32 v177, v85, v128
	s_waitcnt vmcnt(43) lgkmcnt(8)
	v_mul_f32_e32 v178, v87, v129
	s_waitcnt vmcnt(42)
	v_mul_f32_e32 v179, v89, v130
	s_waitcnt vmcnt(41) lgkmcnt(7)
	v_mul_f32_e32 v180, v91, v131
	s_waitcnt vmcnt(40)
	v_mul_f32_e32 v181, v93, v132
	s_waitcnt vmcnt(39) lgkmcnt(6)
	v_mul_f32_e32 v182, v95, v133
	s_waitcnt vmcnt(38)
	v_mul_f32_e32 v183, v97, v134
	s_waitcnt vmcnt(37) lgkmcnt(5)
	v_mul_f32_e32 v184, v99, v135
	s_waitcnt vmcnt(36)
	v_mul_f32_e32 v185, v101, v136
	s_waitcnt vmcnt(35) lgkmcnt(4)
	v_mul_f32_e32 v186, v103, v137
	s_waitcnt vmcnt(34)
	v_mul_f32_e32 v187, v105, v138
	s_waitcnt vmcnt(33) lgkmcnt(3)
	v_mul_f32_e32 v188, v107, v139
	s_waitcnt vmcnt(32)
	v_mul_f32_e32 v189, v109, v140
	s_waitcnt vmcnt(31) lgkmcnt(2)
	v_mul_f32_e32 v190, v111, v141
	s_waitcnt vmcnt(30)
	v_mul_f32_e32 v191, v113, v142
	s_waitcnt vmcnt(29) lgkmcnt(1)
	v_mul_f32_e32 v192, v115, v143
	s_waitcnt vmcnt(28)
	v_mul_f32_e32 v193, v117, v144
	s_waitcnt vmcnt(25)
	v_fma_f32 v75, v75, v147, -v123
	v_fmac_f32_e32 v74, v76, v147
	v_mul_f32_e32 v76, v80, v125
	s_waitcnt vmcnt(24)
	v_fma_f32 v77, v77, v148, -v124
	v_fmac_f32_e32 v173, v78, v148
	v_add_f32_e32 v75, 0, v75
	v_add_f32_e32 v74, 0, v74
	v_mul_f32_e32 v78, v82, v126
	s_waitcnt vmcnt(23)
	v_fma_f32 v76, v79, v149, -v76
	v_fmac_f32_e32 v174, v80, v149
	v_add_f32_e32 v75, v75, v77
	v_add_f32_e32 v74, v74, v173
	;; [unrolled: 6-line block ×20, first 2 shown]
	s_waitcnt lgkmcnt(0)
	v_mul_f32_e32 v77, v120, v145
	s_waitcnt vmcnt(4)
	v_fma_f32 v78, v117, v168, -v78
	v_mul_f32_e32 v194, v119, v145
	v_add_f32_e32 v75, v75, v76
	v_fmac_f32_e32 v193, v118, v168
	v_add_f32_e32 v74, v74, v192
	v_mul_f32_e32 v76, v122, v146
	s_waitcnt vmcnt(3)
	v_fma_f32 v77, v119, v169, -v77
	v_add_f32_e32 v75, v75, v78
	v_mul_f32_e32 v195, v121, v146
	v_fmac_f32_e32 v194, v120, v169
	v_add_f32_e32 v74, v74, v193
	s_waitcnt vmcnt(2)
	v_fma_f32 v76, v121, v170, -v76
	v_add_f32_e32 v75, v75, v77
	v_fmac_f32_e32 v195, v122, v170
	v_add_f32_e32 v74, v74, v194
	v_add_f32_e32 v75, v75, v76
	;; [unrolled: 1-line block ×3, first 2 shown]
	s_waitcnt vmcnt(1)
	v_sub_f32_e32 v75, v171, v75
	s_waitcnt vmcnt(0)
	v_sub_f32_e32 v74, v172, v74
	buffer_store_dword v75, off, s[0:3], 0 offset:88
	buffer_store_dword v74, off, s[0:3], 0 offset:92
	v_cmpx_lt_u32_e32 10, v0
	s_cbranch_execz .LBB35_209
; %bb.208:
	s_clause 0x1
	buffer_load_dword v74, off, s[0:3], 0 offset:80
	buffer_load_dword v75, off, s[0:3], 0 offset:84
	v_mov_b32_e32 v76, 0
	buffer_store_dword v76, off, s[0:3], 0 offset:80
	buffer_store_dword v76, off, s[0:3], 0 offset:84
	s_waitcnt vmcnt(0)
	ds_write_b64 v73, v[74:75]
.LBB35_209:
	s_or_b32 exec_lo, exec_lo, s4
	s_waitcnt lgkmcnt(0)
	s_waitcnt_vscnt null, 0x0
	s_barrier
	buffer_gl0_inv
	s_clause 0x33
	buffer_load_dword v125, off, s[0:3], 0 offset:92
	buffer_load_dword v126, off, s[0:3], 0 offset:100
	;; [unrolled: 1-line block ×52, first 2 shown]
	v_mov_b32_e32 v74, 0
	ds_read2_b64 v[75:78], v74 offset0:47 offset1:48
	ds_read2_b64 v[79:82], v74 offset0:49 offset1:50
	;; [unrolled: 1-line block ×12, first 2 shown]
	ds_read_b64 v[123:124], v74 offset:568
	s_mov_b32 s4, exec_lo
	s_waitcnt vmcnt(51) lgkmcnt(12)
	v_mul_f32_e32 v177, v75, v125
	v_mul_f32_e32 v125, v76, v125
	s_waitcnt vmcnt(50)
	v_mul_f32_e32 v178, v77, v126
	v_mul_f32_e32 v126, v78, v126
	s_waitcnt vmcnt(49) lgkmcnt(11)
	v_mul_f32_e32 v179, v79, v127
	s_waitcnt vmcnt(48)
	v_mul_f32_e32 v180, v81, v128
	s_waitcnt vmcnt(47) lgkmcnt(10)
	v_mul_f32_e32 v181, v83, v129
	s_waitcnt vmcnt(46)
	;; [unrolled: 4-line block ×11, first 2 shown]
	v_fma_f32 v75, v75, v150, -v125
	v_fmac_f32_e32 v177, v76, v150
	v_mul_f32_e32 v76, v80, v127
	s_waitcnt vmcnt(25)
	v_fma_f32 v77, v77, v151, -v126
	v_fmac_f32_e32 v178, v78, v151
	v_add_f32_e32 v75, 0, v75
	v_add_f32_e32 v78, 0, v177
	v_mul_f32_e32 v125, v82, v128
	s_waitcnt vmcnt(24)
	v_fma_f32 v76, v79, v152, -v76
	v_fmac_f32_e32 v179, v80, v152
	v_add_f32_e32 v75, v75, v77
	v_add_f32_e32 v77, v78, v178
	;; [unrolled: 6-line block ×21, first 2 shown]
	v_mul_f32_e32 v77, v122, v148
	s_waitcnt vmcnt(4)
	v_fma_f32 v78, v119, v172, -v78
	v_mul_f32_e32 v200, v121, v148
	v_add_f32_e32 v75, v75, v79
	v_fmac_f32_e32 v199, v120, v172
	v_add_f32_e32 v76, v76, v198
	s_waitcnt lgkmcnt(0)
	v_mul_f32_e32 v79, v124, v149
	s_waitcnt vmcnt(3)
	v_fma_f32 v77, v121, v173, -v77
	v_add_f32_e32 v75, v75, v78
	v_mul_f32_e32 v201, v123, v149
	v_fmac_f32_e32 v200, v122, v173
	v_add_f32_e32 v76, v76, v199
	s_waitcnt vmcnt(2)
	v_fma_f32 v78, v123, v174, -v79
	v_add_f32_e32 v75, v75, v77
	v_fmac_f32_e32 v201, v124, v174
	v_add_f32_e32 v76, v76, v200
	v_add_f32_e32 v75, v75, v78
	;; [unrolled: 1-line block ×3, first 2 shown]
	s_waitcnt vmcnt(1)
	v_sub_f32_e32 v75, v175, v75
	s_waitcnt vmcnt(0)
	v_sub_f32_e32 v76, v176, v76
	buffer_store_dword v75, off, s[0:3], 0 offset:80
	buffer_store_dword v76, off, s[0:3], 0 offset:84
	v_cmpx_lt_u32_e32 9, v0
	s_cbranch_execz .LBB35_211
; %bb.210:
	s_clause 0x1
	buffer_load_dword v75, off, s[0:3], 0 offset:72
	buffer_load_dword v76, off, s[0:3], 0 offset:76
	buffer_store_dword v74, off, s[0:3], 0 offset:72
	buffer_store_dword v74, off, s[0:3], 0 offset:76
	s_waitcnt vmcnt(0)
	ds_write_b64 v73, v[75:76]
.LBB35_211:
	s_or_b32 exec_lo, exec_lo, s4
	s_waitcnt lgkmcnt(0)
	s_waitcnt_vscnt null, 0x0
	s_barrier
	buffer_gl0_inv
	s_clause 0x35
	buffer_load_dword v127, off, s[0:3], 0 offset:84
	buffer_load_dword v128, off, s[0:3], 0 offset:92
	;; [unrolled: 1-line block ×54, first 2 shown]
	ds_read_b128 v[75:78], v74 offset:368
	ds_read_b128 v[79:82], v74 offset:384
	;; [unrolled: 1-line block ×13, first 2 shown]
	s_mov_b32 s4, exec_lo
	s_waitcnt vmcnt(53) lgkmcnt(12)
	v_mul_f32_e32 v74, v75, v127
	v_mul_f32_e32 v127, v76, v127
	s_waitcnt vmcnt(52)
	v_mul_f32_e32 v181, v77, v128
	v_mul_f32_e32 v128, v78, v128
	s_waitcnt vmcnt(51) lgkmcnt(11)
	v_mul_f32_e32 v182, v79, v129
	s_waitcnt vmcnt(50)
	v_mul_f32_e32 v183, v81, v130
	s_waitcnt vmcnt(49) lgkmcnt(10)
	v_mul_f32_e32 v184, v83, v131
	s_waitcnt vmcnt(48)
	;; [unrolled: 4-line block ×11, first 2 shown]
	v_mul_f32_e32 v203, v121, v150
	s_waitcnt vmcnt(27)
	v_fma_f32 v75, v75, v153, -v127
	v_fmac_f32_e32 v74, v76, v153
	v_mul_f32_e32 v76, v80, v129
	s_waitcnt vmcnt(26)
	v_fma_f32 v77, v77, v154, -v128
	v_fmac_f32_e32 v181, v78, v154
	v_add_f32_e32 v75, 0, v75
	v_add_f32_e32 v74, 0, v74
	v_mul_f32_e32 v78, v82, v130
	s_waitcnt vmcnt(25)
	v_fma_f32 v76, v79, v155, -v76
	v_fmac_f32_e32 v182, v80, v155
	v_add_f32_e32 v75, v75, v77
	v_add_f32_e32 v74, v74, v181
	;; [unrolled: 6-line block ×22, first 2 shown]
	s_waitcnt lgkmcnt(0)
	v_mul_f32_e32 v78, v124, v151
	s_waitcnt vmcnt(4)
	v_fma_f32 v76, v121, v176, -v76
	v_mul_f32_e32 v204, v123, v151
	v_add_f32_e32 v75, v75, v77
	v_fmac_f32_e32 v203, v122, v176
	v_add_f32_e32 v74, v74, v202
	v_mul_f32_e32 v77, v126, v152
	s_waitcnt vmcnt(3)
	v_fma_f32 v78, v123, v177, -v78
	v_add_f32_e32 v75, v75, v76
	v_mul_f32_e32 v205, v125, v152
	v_fmac_f32_e32 v204, v124, v177
	v_add_f32_e32 v74, v74, v203
	s_waitcnt vmcnt(2)
	v_fma_f32 v76, v125, v178, -v77
	v_add_f32_e32 v75, v75, v78
	v_fmac_f32_e32 v205, v126, v178
	v_add_f32_e32 v74, v74, v204
	v_add_f32_e32 v75, v75, v76
	;; [unrolled: 1-line block ×3, first 2 shown]
	s_waitcnt vmcnt(1)
	v_sub_f32_e32 v75, v179, v75
	s_waitcnt vmcnt(0)
	v_sub_f32_e32 v74, v180, v74
	buffer_store_dword v75, off, s[0:3], 0 offset:72
	buffer_store_dword v74, off, s[0:3], 0 offset:76
	v_cmpx_lt_u32_e32 8, v0
	s_cbranch_execz .LBB35_213
; %bb.212:
	s_clause 0x1
	buffer_load_dword v74, off, s[0:3], 0 offset:64
	buffer_load_dword v75, off, s[0:3], 0 offset:68
	v_mov_b32_e32 v76, 0
	buffer_store_dword v76, off, s[0:3], 0 offset:64
	buffer_store_dword v76, off, s[0:3], 0 offset:68
	s_waitcnt vmcnt(0)
	ds_write_b64 v73, v[74:75]
.LBB35_213:
	s_or_b32 exec_lo, exec_lo, s4
	s_waitcnt lgkmcnt(0)
	s_waitcnt_vscnt null, 0x0
	s_barrier
	buffer_gl0_inv
	s_clause 0x37
	buffer_load_dword v129, off, s[0:3], 0 offset:76
	buffer_load_dword v130, off, s[0:3], 0 offset:84
	;; [unrolled: 1-line block ×56, first 2 shown]
	v_mov_b32_e32 v74, 0
	ds_read2_b64 v[75:78], v74 offset0:45 offset1:46
	ds_read2_b64 v[79:82], v74 offset0:47 offset1:48
	;; [unrolled: 1-line block ×13, first 2 shown]
	ds_read_b64 v[127:128], v74 offset:568
	s_mov_b32 s4, exec_lo
	s_waitcnt vmcnt(55) lgkmcnt(13)
	v_mul_f32_e32 v185, v75, v129
	v_mul_f32_e32 v129, v76, v129
	s_waitcnt vmcnt(54)
	v_mul_f32_e32 v186, v77, v130
	v_mul_f32_e32 v130, v78, v130
	s_waitcnt vmcnt(53) lgkmcnt(12)
	v_mul_f32_e32 v187, v79, v131
	s_waitcnt vmcnt(52)
	v_mul_f32_e32 v188, v81, v132
	s_waitcnt vmcnt(51) lgkmcnt(11)
	v_mul_f32_e32 v189, v83, v133
	s_waitcnt vmcnt(50)
	;; [unrolled: 4-line block ×12, first 2 shown]
	v_fma_f32 v75, v75, v156, -v129
	v_fmac_f32_e32 v185, v76, v156
	v_mul_f32_e32 v76, v80, v131
	s_waitcnt vmcnt(27)
	v_fma_f32 v77, v77, v157, -v130
	v_fmac_f32_e32 v186, v78, v157
	v_add_f32_e32 v75, 0, v75
	v_add_f32_e32 v78, 0, v185
	v_mul_f32_e32 v129, v82, v132
	s_waitcnt vmcnt(26)
	v_fma_f32 v76, v79, v158, -v76
	v_fmac_f32_e32 v187, v80, v158
	v_add_f32_e32 v75, v75, v77
	v_add_f32_e32 v77, v78, v186
	v_mul_f32_e32 v78, v84, v133
	s_waitcnt vmcnt(25)
	v_fma_f32 v79, v81, v159, -v129
	v_fmac_f32_e32 v188, v82, v159
	v_add_f32_e32 v75, v75, v76
	v_add_f32_e32 v76, v77, v187
	v_mul_f32_e32 v77, v86, v134
	s_waitcnt vmcnt(24)
	v_fma_f32 v78, v83, v160, -v78
	v_fmac_f32_e32 v189, v84, v160
	v_add_f32_e32 v75, v75, v79
	v_add_f32_e32 v76, v76, v188
	v_mul_f32_e32 v79, v88, v135
	s_waitcnt vmcnt(23)
	v_fma_f32 v77, v85, v161, -v77
	v_fmac_f32_e32 v190, v86, v161
	v_add_f32_e32 v75, v75, v78
	v_add_f32_e32 v76, v76, v189
	v_mul_f32_e32 v78, v90, v136
	s_waitcnt vmcnt(22)
	v_fma_f32 v79, v87, v162, -v79
	v_fmac_f32_e32 v191, v88, v162
	v_add_f32_e32 v75, v75, v77
	v_add_f32_e32 v76, v76, v190
	v_mul_f32_e32 v77, v92, v137
	s_waitcnt vmcnt(21)
	v_fma_f32 v78, v89, v163, -v78
	v_fmac_f32_e32 v192, v90, v163
	v_add_f32_e32 v75, v75, v79
	v_add_f32_e32 v76, v76, v191
	v_mul_f32_e32 v79, v94, v138
	s_waitcnt vmcnt(20)
	v_fma_f32 v77, v91, v164, -v77
	v_fmac_f32_e32 v193, v92, v164
	v_add_f32_e32 v75, v75, v78
	v_add_f32_e32 v76, v76, v192
	v_mul_f32_e32 v78, v96, v139
	s_waitcnt vmcnt(19)
	v_fma_f32 v79, v93, v165, -v79
	v_fmac_f32_e32 v194, v94, v165
	v_add_f32_e32 v75, v75, v77
	v_add_f32_e32 v76, v76, v193
	v_mul_f32_e32 v77, v98, v140
	s_waitcnt vmcnt(18)
	v_fma_f32 v78, v95, v166, -v78
	v_fmac_f32_e32 v195, v96, v166
	v_add_f32_e32 v75, v75, v79
	v_add_f32_e32 v76, v76, v194
	v_mul_f32_e32 v79, v100, v141
	s_waitcnt vmcnt(17)
	v_fma_f32 v77, v97, v167, -v77
	v_fmac_f32_e32 v196, v98, v167
	v_add_f32_e32 v75, v75, v78
	v_add_f32_e32 v76, v76, v195
	v_mul_f32_e32 v78, v102, v142
	s_waitcnt vmcnt(16)
	v_fma_f32 v79, v99, v168, -v79
	v_fmac_f32_e32 v197, v100, v168
	v_add_f32_e32 v75, v75, v77
	v_add_f32_e32 v76, v76, v196
	v_mul_f32_e32 v77, v104, v143
	s_waitcnt vmcnt(15)
	v_fma_f32 v78, v101, v169, -v78
	v_fmac_f32_e32 v198, v102, v169
	v_add_f32_e32 v75, v75, v79
	v_add_f32_e32 v76, v76, v197
	v_mul_f32_e32 v79, v106, v144
	s_waitcnt vmcnt(14)
	v_fma_f32 v77, v103, v170, -v77
	v_fmac_f32_e32 v199, v104, v170
	v_add_f32_e32 v75, v75, v78
	v_add_f32_e32 v76, v76, v198
	v_mul_f32_e32 v78, v108, v145
	s_waitcnt vmcnt(13)
	v_fma_f32 v79, v105, v171, -v79
	v_fmac_f32_e32 v200, v106, v171
	v_add_f32_e32 v75, v75, v77
	v_add_f32_e32 v76, v76, v199
	v_mul_f32_e32 v77, v110, v146
	s_waitcnt vmcnt(12)
	v_fma_f32 v78, v107, v172, -v78
	v_fmac_f32_e32 v201, v108, v172
	v_add_f32_e32 v75, v75, v79
	v_add_f32_e32 v76, v76, v200
	v_mul_f32_e32 v79, v112, v147
	s_waitcnt vmcnt(11)
	v_fma_f32 v77, v109, v173, -v77
	v_fmac_f32_e32 v202, v110, v173
	v_add_f32_e32 v75, v75, v78
	v_add_f32_e32 v76, v76, v201
	v_mul_f32_e32 v78, v114, v148
	s_waitcnt vmcnt(10)
	v_fma_f32 v79, v111, v174, -v79
	v_fmac_f32_e32 v203, v112, v174
	v_add_f32_e32 v75, v75, v77
	v_add_f32_e32 v76, v76, v202
	v_mul_f32_e32 v77, v116, v149
	s_waitcnt vmcnt(9)
	v_fma_f32 v78, v113, v175, -v78
	v_fmac_f32_e32 v204, v114, v175
	v_add_f32_e32 v75, v75, v79
	v_add_f32_e32 v76, v76, v203
	v_mul_f32_e32 v79, v118, v150
	s_waitcnt vmcnt(8)
	v_fma_f32 v77, v115, v176, -v77
	v_fmac_f32_e32 v205, v116, v176
	v_add_f32_e32 v75, v75, v78
	v_add_f32_e32 v76, v76, v204
	v_mul_f32_e32 v78, v120, v151
	s_waitcnt vmcnt(7)
	v_fma_f32 v79, v117, v177, -v79
	v_fmac_f32_e32 v206, v118, v177
	v_add_f32_e32 v75, v75, v77
	v_add_f32_e32 v76, v76, v205
	v_mul_f32_e32 v77, v122, v152
	s_waitcnt vmcnt(6)
	v_fma_f32 v78, v119, v178, -v78
	v_fmac_f32_e32 v207, v120, v178
	v_add_f32_e32 v75, v75, v79
	v_add_f32_e32 v76, v76, v206
	v_mul_f32_e32 v79, v124, v153
	s_waitcnt vmcnt(5)
	v_fma_f32 v77, v121, v179, -v77
	v_fmac_f32_e32 v208, v122, v179
	v_add_f32_e32 v75, v75, v78
	v_add_f32_e32 v76, v76, v207
	v_mul_f32_e32 v78, v126, v154
	s_waitcnt vmcnt(4)
	v_fma_f32 v79, v123, v180, -v79
	v_mul_f32_e32 v210, v125, v154
	v_add_f32_e32 v75, v75, v77
	v_fmac_f32_e32 v209, v124, v180
	v_add_f32_e32 v76, v76, v208
	s_waitcnt lgkmcnt(0)
	v_mul_f32_e32 v77, v128, v155
	s_waitcnt vmcnt(3)
	v_fma_f32 v78, v125, v181, -v78
	v_add_f32_e32 v75, v75, v79
	v_mul_f32_e32 v211, v127, v155
	v_fmac_f32_e32 v210, v126, v181
	v_add_f32_e32 v76, v76, v209
	s_waitcnt vmcnt(2)
	v_fma_f32 v77, v127, v182, -v77
	v_add_f32_e32 v75, v75, v78
	v_fmac_f32_e32 v211, v128, v182
	v_add_f32_e32 v76, v76, v210
	v_add_f32_e32 v75, v75, v77
	;; [unrolled: 1-line block ×3, first 2 shown]
	s_waitcnt vmcnt(1)
	v_sub_f32_e32 v75, v183, v75
	s_waitcnt vmcnt(0)
	v_sub_f32_e32 v76, v184, v76
	buffer_store_dword v75, off, s[0:3], 0 offset:64
	buffer_store_dword v76, off, s[0:3], 0 offset:68
	v_cmpx_lt_u32_e32 7, v0
	s_cbranch_execz .LBB35_215
; %bb.214:
	s_clause 0x1
	buffer_load_dword v75, off, s[0:3], 0 offset:56
	buffer_load_dword v76, off, s[0:3], 0 offset:60
	buffer_store_dword v74, off, s[0:3], 0 offset:56
	buffer_store_dword v74, off, s[0:3], 0 offset:60
	s_waitcnt vmcnt(0)
	ds_write_b64 v73, v[75:76]
.LBB35_215:
	s_or_b32 exec_lo, exec_lo, s4
	s_waitcnt lgkmcnt(0)
	s_waitcnt_vscnt null, 0x0
	s_barrier
	buffer_gl0_inv
	s_clause 0x39
	buffer_load_dword v131, off, s[0:3], 0 offset:68
	buffer_load_dword v132, off, s[0:3], 0 offset:76
	;; [unrolled: 1-line block ×58, first 2 shown]
	ds_read_b128 v[75:78], v74 offset:352
	ds_read_b128 v[79:82], v74 offset:368
	ds_read_b128 v[83:86], v74 offset:384
	ds_read_b128 v[87:90], v74 offset:400
	ds_read_b128 v[91:94], v74 offset:416
	ds_read_b128 v[95:98], v74 offset:432
	ds_read_b128 v[99:102], v74 offset:448
	ds_read_b128 v[103:106], v74 offset:464
	ds_read_b128 v[107:110], v74 offset:480
	ds_read_b128 v[111:114], v74 offset:496
	ds_read_b128 v[115:118], v74 offset:512
	ds_read_b128 v[119:122], v74 offset:528
	ds_read_b128 v[123:126], v74 offset:544
	ds_read_b128 v[127:130], v74 offset:560
	s_mov_b32 s4, exec_lo
	s_waitcnt vmcnt(57) lgkmcnt(13)
	v_mul_f32_e32 v74, v75, v131
	v_mul_f32_e32 v131, v76, v131
	s_waitcnt vmcnt(56)
	v_mul_f32_e32 v189, v77, v132
	v_mul_f32_e32 v132, v78, v132
	s_waitcnt vmcnt(55) lgkmcnt(12)
	v_mul_f32_e32 v190, v79, v133
	s_waitcnt vmcnt(54)
	v_mul_f32_e32 v191, v81, v134
	s_waitcnt vmcnt(53) lgkmcnt(11)
	v_mul_f32_e32 v192, v83, v135
	s_waitcnt vmcnt(52)
	;; [unrolled: 4-line block ×12, first 2 shown]
	v_mul_f32_e32 v213, v125, v156
	s_waitcnt vmcnt(29)
	v_fma_f32 v75, v75, v159, -v131
	v_fmac_f32_e32 v74, v76, v159
	v_mul_f32_e32 v76, v80, v133
	s_waitcnt vmcnt(28)
	v_fma_f32 v77, v77, v160, -v132
	v_fmac_f32_e32 v189, v78, v160
	v_add_f32_e32 v75, 0, v75
	v_add_f32_e32 v74, 0, v74
	v_mul_f32_e32 v78, v82, v134
	s_waitcnt vmcnt(27)
	v_fma_f32 v76, v79, v161, -v76
	v_fmac_f32_e32 v190, v80, v161
	v_add_f32_e32 v75, v75, v77
	v_add_f32_e32 v74, v74, v189
	;; [unrolled: 6-line block ×24, first 2 shown]
	s_waitcnt lgkmcnt(0)
	v_mul_f32_e32 v76, v128, v157
	s_waitcnt vmcnt(4)
	v_fma_f32 v77, v125, v184, -v77
	v_mul_f32_e32 v214, v127, v157
	v_add_f32_e32 v75, v75, v78
	v_fmac_f32_e32 v213, v126, v184
	v_add_f32_e32 v74, v74, v212
	v_mul_f32_e32 v78, v130, v158
	s_waitcnt vmcnt(3)
	v_fma_f32 v76, v127, v185, -v76
	v_add_f32_e32 v75, v75, v77
	v_mul_f32_e32 v215, v129, v158
	v_fmac_f32_e32 v214, v128, v185
	v_add_f32_e32 v74, v74, v213
	s_waitcnt vmcnt(2)
	v_fma_f32 v77, v129, v186, -v78
	v_add_f32_e32 v75, v75, v76
	v_fmac_f32_e32 v215, v130, v186
	v_add_f32_e32 v74, v74, v214
	v_add_f32_e32 v75, v75, v77
	;; [unrolled: 1-line block ×3, first 2 shown]
	s_waitcnt vmcnt(1)
	v_sub_f32_e32 v75, v187, v75
	s_waitcnt vmcnt(0)
	v_sub_f32_e32 v74, v188, v74
	buffer_store_dword v75, off, s[0:3], 0 offset:56
	buffer_store_dword v74, off, s[0:3], 0 offset:60
	v_cmpx_lt_u32_e32 6, v0
	s_cbranch_execz .LBB35_217
; %bb.216:
	s_clause 0x1
	buffer_load_dword v74, off, s[0:3], 0 offset:48
	buffer_load_dword v75, off, s[0:3], 0 offset:52
	v_mov_b32_e32 v76, 0
	buffer_store_dword v76, off, s[0:3], 0 offset:48
	buffer_store_dword v76, off, s[0:3], 0 offset:52
	s_waitcnt vmcnt(0)
	ds_write_b64 v73, v[74:75]
.LBB35_217:
	s_or_b32 exec_lo, exec_lo, s4
	s_waitcnt lgkmcnt(0)
	s_waitcnt_vscnt null, 0x0
	s_barrier
	buffer_gl0_inv
	s_clause 0x3b
	buffer_load_dword v133, off, s[0:3], 0 offset:60
	buffer_load_dword v134, off, s[0:3], 0 offset:68
	;; [unrolled: 1-line block ×60, first 2 shown]
	v_mov_b32_e32 v74, 0
	ds_read2_b64 v[75:78], v74 offset0:43 offset1:44
	ds_read2_b64 v[79:82], v74 offset0:45 offset1:46
	ds_read2_b64 v[83:86], v74 offset0:47 offset1:48
	ds_read2_b64 v[87:90], v74 offset0:49 offset1:50
	ds_read2_b64 v[91:94], v74 offset0:51 offset1:52
	ds_read2_b64 v[95:98], v74 offset0:53 offset1:54
	ds_read2_b64 v[99:102], v74 offset0:55 offset1:56
	ds_read2_b64 v[103:106], v74 offset0:57 offset1:58
	ds_read2_b64 v[107:110], v74 offset0:59 offset1:60
	ds_read2_b64 v[111:114], v74 offset0:61 offset1:62
	ds_read2_b64 v[115:118], v74 offset0:63 offset1:64
	ds_read2_b64 v[119:122], v74 offset0:65 offset1:66
	ds_read2_b64 v[123:126], v74 offset0:67 offset1:68
	ds_read2_b64 v[127:130], v74 offset0:69 offset1:70
	ds_read_b64 v[131:132], v74 offset:568
	s_mov_b32 s4, exec_lo
	s_waitcnt vmcnt(59) lgkmcnt(14)
	v_mul_f32_e32 v193, v75, v133
	v_mul_f32_e32 v133, v76, v133
	s_waitcnt vmcnt(58)
	v_mul_f32_e32 v194, v77, v134
	v_mul_f32_e32 v134, v78, v134
	s_waitcnt vmcnt(57) lgkmcnt(13)
	v_mul_f32_e32 v195, v79, v135
	s_waitcnt vmcnt(56)
	v_mul_f32_e32 v196, v81, v136
	s_waitcnt vmcnt(55) lgkmcnt(12)
	v_mul_f32_e32 v197, v83, v137
	s_waitcnt vmcnt(54)
	;; [unrolled: 4-line block ×13, first 2 shown]
	v_fma_f32 v75, v75, v162, -v133
	v_fmac_f32_e32 v193, v76, v162
	v_mul_f32_e32 v76, v80, v135
	s_waitcnt vmcnt(29)
	v_fma_f32 v77, v77, v163, -v134
	v_fmac_f32_e32 v194, v78, v163
	v_add_f32_e32 v75, 0, v75
	v_add_f32_e32 v78, 0, v193
	v_mul_f32_e32 v133, v82, v136
	s_waitcnt vmcnt(28)
	v_fma_f32 v76, v79, v164, -v76
	v_fmac_f32_e32 v195, v80, v164
	v_add_f32_e32 v75, v75, v77
	v_add_f32_e32 v77, v78, v194
	;; [unrolled: 6-line block ×25, first 2 shown]
	v_mul_f32_e32 v79, v130, v160
	s_waitcnt vmcnt(4)
	v_fma_f32 v77, v127, v188, -v77
	v_mul_f32_e32 v220, v129, v160
	v_add_f32_e32 v75, v75, v78
	v_fmac_f32_e32 v219, v128, v188
	v_add_f32_e32 v76, v76, v218
	s_waitcnt lgkmcnt(0)
	v_mul_f32_e32 v78, v132, v161
	s_waitcnt vmcnt(3)
	v_fma_f32 v79, v129, v189, -v79
	v_add_f32_e32 v75, v75, v77
	v_mul_f32_e32 v221, v131, v161
	v_fmac_f32_e32 v220, v130, v189
	v_add_f32_e32 v76, v76, v219
	s_waitcnt vmcnt(2)
	v_fma_f32 v77, v131, v190, -v78
	v_add_f32_e32 v75, v75, v79
	v_fmac_f32_e32 v221, v132, v190
	v_add_f32_e32 v76, v76, v220
	v_add_f32_e32 v75, v75, v77
	;; [unrolled: 1-line block ×3, first 2 shown]
	s_waitcnt vmcnt(1)
	v_sub_f32_e32 v75, v191, v75
	s_waitcnt vmcnt(0)
	v_sub_f32_e32 v76, v192, v76
	buffer_store_dword v75, off, s[0:3], 0 offset:48
	buffer_store_dword v76, off, s[0:3], 0 offset:52
	v_cmpx_lt_u32_e32 5, v0
	s_cbranch_execz .LBB35_219
; %bb.218:
	s_clause 0x1
	buffer_load_dword v75, off, s[0:3], 0 offset:40
	buffer_load_dword v76, off, s[0:3], 0 offset:44
	buffer_store_dword v74, off, s[0:3], 0 offset:40
	buffer_store_dword v74, off, s[0:3], 0 offset:44
	s_waitcnt vmcnt(0)
	ds_write_b64 v73, v[75:76]
.LBB35_219:
	s_or_b32 exec_lo, exec_lo, s4
	s_waitcnt lgkmcnt(0)
	s_waitcnt_vscnt null, 0x0
	s_barrier
	buffer_gl0_inv
	s_clause 0x3d
	buffer_load_dword v135, off, s[0:3], 0 offset:52
	buffer_load_dword v136, off, s[0:3], 0 offset:60
	;; [unrolled: 1-line block ×62, first 2 shown]
	ds_read_b128 v[75:78], v74 offset:336
	ds_read_b128 v[79:82], v74 offset:352
	;; [unrolled: 1-line block ×15, first 2 shown]
	s_mov_b32 s4, exec_lo
	s_waitcnt vmcnt(61) lgkmcnt(14)
	v_mul_f32_e32 v74, v75, v135
	v_mul_f32_e32 v135, v76, v135
	s_waitcnt vmcnt(60)
	v_mul_f32_e32 v197, v77, v136
	v_mul_f32_e32 v136, v78, v136
	s_waitcnt vmcnt(59) lgkmcnt(13)
	v_mul_f32_e32 v198, v79, v137
	s_waitcnt vmcnt(58)
	v_mul_f32_e32 v199, v81, v138
	s_waitcnt vmcnt(57) lgkmcnt(12)
	v_mul_f32_e32 v200, v83, v139
	s_waitcnt vmcnt(56)
	;; [unrolled: 4-line block ×13, first 2 shown]
	v_mul_f32_e32 v223, v129, v162
	s_waitcnt vmcnt(31)
	v_fma_f32 v75, v75, v165, -v135
	v_fmac_f32_e32 v74, v76, v165
	v_mul_f32_e32 v76, v80, v137
	s_waitcnt vmcnt(30)
	v_fma_f32 v77, v77, v166, -v136
	v_fmac_f32_e32 v197, v78, v166
	v_add_f32_e32 v75, 0, v75
	v_add_f32_e32 v74, 0, v74
	v_mul_f32_e32 v78, v82, v138
	s_waitcnt vmcnt(29)
	v_fma_f32 v76, v79, v167, -v76
	v_fmac_f32_e32 v198, v80, v167
	v_add_f32_e32 v75, v75, v77
	v_add_f32_e32 v74, v74, v197
	;; [unrolled: 6-line block ×26, first 2 shown]
	s_waitcnt lgkmcnt(0)
	v_mul_f32_e32 v77, v132, v163
	s_waitcnt vmcnt(4)
	v_fma_f32 v78, v129, v192, -v78
	v_mul_f32_e32 v224, v131, v163
	v_add_f32_e32 v75, v75, v76
	v_fmac_f32_e32 v223, v130, v192
	v_add_f32_e32 v74, v74, v222
	v_mul_f32_e32 v76, v134, v164
	s_waitcnt vmcnt(3)
	v_fma_f32 v77, v131, v193, -v77
	v_add_f32_e32 v75, v75, v78
	v_mul_f32_e32 v225, v133, v164
	v_fmac_f32_e32 v224, v132, v193
	v_add_f32_e32 v74, v74, v223
	s_waitcnt vmcnt(2)
	v_fma_f32 v76, v133, v194, -v76
	v_add_f32_e32 v75, v75, v77
	v_fmac_f32_e32 v225, v134, v194
	v_add_f32_e32 v74, v74, v224
	v_add_f32_e32 v75, v75, v76
	v_add_f32_e32 v74, v74, v225
	s_waitcnt vmcnt(1)
	v_sub_f32_e32 v75, v195, v75
	s_waitcnt vmcnt(0)
	v_sub_f32_e32 v74, v196, v74
	buffer_store_dword v75, off, s[0:3], 0 offset:40
	buffer_store_dword v74, off, s[0:3], 0 offset:44
	v_cmpx_lt_u32_e32 4, v0
	s_cbranch_execz .LBB35_221
; %bb.220:
	s_clause 0x1
	buffer_load_dword v74, off, s[0:3], 0 offset:32
	buffer_load_dword v75, off, s[0:3], 0 offset:36
	v_mov_b32_e32 v76, 0
	buffer_store_dword v76, off, s[0:3], 0 offset:32
	buffer_store_dword v76, off, s[0:3], 0 offset:36
	s_waitcnt vmcnt(0)
	ds_write_b64 v73, v[74:75]
.LBB35_221:
	s_or_b32 exec_lo, exec_lo, s4
	s_waitcnt lgkmcnt(0)
	s_waitcnt_vscnt null, 0x0
	s_barrier
	buffer_gl0_inv
	s_clause 0x3e
	buffer_load_dword v137, off, s[0:3], 0 offset:44
	buffer_load_dword v138, off, s[0:3], 0 offset:52
	buffer_load_dword v139, off, s[0:3], 0 offset:60
	buffer_load_dword v140, off, s[0:3], 0 offset:68
	buffer_load_dword v141, off, s[0:3], 0 offset:76
	buffer_load_dword v142, off, s[0:3], 0 offset:84
	buffer_load_dword v143, off, s[0:3], 0 offset:92
	buffer_load_dword v144, off, s[0:3], 0 offset:100
	buffer_load_dword v145, off, s[0:3], 0 offset:108
	buffer_load_dword v146, off, s[0:3], 0 offset:116
	buffer_load_dword v147, off, s[0:3], 0 offset:124
	buffer_load_dword v148, off, s[0:3], 0 offset:132
	buffer_load_dword v149, off, s[0:3], 0 offset:140
	buffer_load_dword v150, off, s[0:3], 0 offset:148
	buffer_load_dword v151, off, s[0:3], 0 offset:156
	buffer_load_dword v152, off, s[0:3], 0 offset:164
	buffer_load_dword v153, off, s[0:3], 0 offset:172
	buffer_load_dword v154, off, s[0:3], 0 offset:180
	buffer_load_dword v155, off, s[0:3], 0 offset:188
	buffer_load_dword v156, off, s[0:3], 0 offset:196
	buffer_load_dword v157, off, s[0:3], 0 offset:204
	buffer_load_dword v158, off, s[0:3], 0 offset:212
	buffer_load_dword v159, off, s[0:3], 0 offset:220
	buffer_load_dword v160, off, s[0:3], 0 offset:228
	buffer_load_dword v161, off, s[0:3], 0 offset:236
	buffer_load_dword v162, off, s[0:3], 0 offset:244
	buffer_load_dword v163, off, s[0:3], 0 offset:252
	buffer_load_dword v164, off, s[0:3], 0 offset:260
	buffer_load_dword v165, off, s[0:3], 0 offset:268
	buffer_load_dword v166, off, s[0:3], 0 offset:276
	buffer_load_dword v167, off, s[0:3], 0 offset:284
	buffer_load_dword v168, off, s[0:3], 0 offset:40
	buffer_load_dword v169, off, s[0:3], 0 offset:48
	buffer_load_dword v170, off, s[0:3], 0 offset:56
	buffer_load_dword v171, off, s[0:3], 0 offset:64
	buffer_load_dword v172, off, s[0:3], 0 offset:72
	buffer_load_dword v173, off, s[0:3], 0 offset:80
	buffer_load_dword v174, off, s[0:3], 0 offset:88
	buffer_load_dword v175, off, s[0:3], 0 offset:96
	buffer_load_dword v176, off, s[0:3], 0 offset:104
	buffer_load_dword v177, off, s[0:3], 0 offset:112
	buffer_load_dword v178, off, s[0:3], 0 offset:120
	buffer_load_dword v179, off, s[0:3], 0 offset:128
	buffer_load_dword v180, off, s[0:3], 0 offset:136
	buffer_load_dword v181, off, s[0:3], 0 offset:144
	buffer_load_dword v182, off, s[0:3], 0 offset:152
	buffer_load_dword v183, off, s[0:3], 0 offset:160
	buffer_load_dword v184, off, s[0:3], 0 offset:168
	buffer_load_dword v185, off, s[0:3], 0 offset:176
	buffer_load_dword v186, off, s[0:3], 0 offset:184
	buffer_load_dword v187, off, s[0:3], 0 offset:192
	buffer_load_dword v188, off, s[0:3], 0 offset:200
	buffer_load_dword v189, off, s[0:3], 0 offset:208
	buffer_load_dword v190, off, s[0:3], 0 offset:216
	buffer_load_dword v191, off, s[0:3], 0 offset:224
	buffer_load_dword v192, off, s[0:3], 0 offset:232
	buffer_load_dword v193, off, s[0:3], 0 offset:240
	buffer_load_dword v194, off, s[0:3], 0 offset:248
	buffer_load_dword v195, off, s[0:3], 0 offset:256
	buffer_load_dword v196, off, s[0:3], 0 offset:264
	buffer_load_dword v197, off, s[0:3], 0 offset:272
	buffer_load_dword v198, off, s[0:3], 0 offset:280
	buffer_load_dword v199, off, s[0:3], 0 offset:32
	buffer_load_dword v200, off, s[0:3], 0 offset:36
	v_mov_b32_e32 v74, 0
	ds_read2_b64 v[75:78], v74 offset0:41 offset1:42
	ds_read2_b64 v[79:82], v74 offset0:43 offset1:44
	;; [unrolled: 1-line block ×15, first 2 shown]
	ds_read_b64 v[135:136], v74 offset:568
	s_mov_b32 s4, exec_lo
	s_waitcnt vmcnt(62) lgkmcnt(15)
	v_mul_f32_e32 v201, v75, v137
	v_mul_f32_e32 v137, v76, v137
	;; [unrolled: 1-line block ×4, first 2 shown]
	s_waitcnt vmcnt(61) lgkmcnt(14)
	v_mul_f32_e32 v203, v79, v139
	s_waitcnt vmcnt(60)
	v_mul_f32_e32 v204, v81, v140
	s_waitcnt vmcnt(59) lgkmcnt(13)
	v_mul_f32_e32 v205, v83, v141
	s_waitcnt vmcnt(58)
	v_mul_f32_e32 v206, v85, v142
	;; [unrolled: 4-line block ×13, first 2 shown]
	s_waitcnt vmcnt(35) lgkmcnt(1)
	v_mul_f32_e32 v229, v131, v165
	s_waitcnt vmcnt(32)
	v_fma_f32 v75, v75, v168, -v137
	v_fmac_f32_e32 v201, v76, v168
	v_mul_f32_e32 v76, v80, v139
	s_waitcnt vmcnt(31)
	v_fma_f32 v77, v77, v169, -v138
	v_fmac_f32_e32 v202, v78, v169
	v_add_f32_e32 v75, 0, v75
	v_add_f32_e32 v78, 0, v201
	v_mul_f32_e32 v137, v82, v140
	s_waitcnt vmcnt(30)
	v_fma_f32 v76, v79, v170, -v76
	v_fmac_f32_e32 v203, v80, v170
	v_add_f32_e32 v75, v75, v77
	v_add_f32_e32 v77, v78, v202
	;; [unrolled: 6-line block ×27, first 2 shown]
	v_mul_f32_e32 v77, v134, v166
	s_waitcnt vmcnt(4)
	v_fma_f32 v78, v131, v196, -v78
	v_mul_f32_e32 v230, v133, v166
	v_add_f32_e32 v75, v75, v79
	v_fmac_f32_e32 v229, v132, v196
	v_add_f32_e32 v76, v76, v228
	s_waitcnt lgkmcnt(0)
	v_mul_f32_e32 v79, v136, v167
	s_waitcnt vmcnt(3)
	v_fma_f32 v77, v133, v197, -v77
	v_add_f32_e32 v75, v75, v78
	v_mul_f32_e32 v231, v135, v167
	v_fmac_f32_e32 v230, v134, v197
	v_add_f32_e32 v76, v76, v229
	s_waitcnt vmcnt(2)
	v_fma_f32 v78, v135, v198, -v79
	v_add_f32_e32 v75, v75, v77
	v_fmac_f32_e32 v231, v136, v198
	v_add_f32_e32 v76, v76, v230
	v_add_f32_e32 v75, v75, v78
	;; [unrolled: 1-line block ×3, first 2 shown]
	s_waitcnt vmcnt(1)
	v_sub_f32_e32 v75, v199, v75
	s_waitcnt vmcnt(0)
	v_sub_f32_e32 v76, v200, v76
	buffer_store_dword v75, off, s[0:3], 0 offset:32
	buffer_store_dword v76, off, s[0:3], 0 offset:36
	v_cmpx_lt_u32_e32 3, v0
	s_cbranch_execz .LBB35_223
; %bb.222:
	s_clause 0x1
	buffer_load_dword v75, off, s[0:3], 0 offset:24
	buffer_load_dword v76, off, s[0:3], 0 offset:28
	buffer_store_dword v74, off, s[0:3], 0 offset:24
	buffer_store_dword v74, off, s[0:3], 0 offset:28
	s_waitcnt vmcnt(0)
	ds_write_b64 v73, v[75:76]
.LBB35_223:
	s_or_b32 exec_lo, exec_lo, s4
	s_waitcnt lgkmcnt(0)
	s_waitcnt_vscnt null, 0x0
	s_barrier
	buffer_gl0_inv
	s_clause 0x3e
	buffer_load_dword v139, off, s[0:3], 0 offset:36
	buffer_load_dword v140, off, s[0:3], 0 offset:44
	;; [unrolled: 1-line block ×63, first 2 shown]
	s_clause 0x2
	buffer_load_dword v202, off, s[0:3], 0 offset:280
	buffer_load_dword v203, off, s[0:3], 0 offset:24
	;; [unrolled: 1-line block ×3, first 2 shown]
	ds_read_b128 v[75:78], v74 offset:320
	ds_read_b128 v[79:82], v74 offset:336
	;; [unrolled: 1-line block ×16, first 2 shown]
	s_mov_b32 s4, exec_lo
	s_waitcnt vmcnt(62) lgkmcnt(15)
	v_mul_f32_e32 v74, v75, v139
	v_mul_f32_e32 v139, v76, v139
	;; [unrolled: 1-line block ×4, first 2 shown]
	s_waitcnt lgkmcnt(14)
	v_mul_f32_e32 v206, v79, v141
	v_mul_f32_e32 v207, v81, v142
	s_waitcnt vmcnt(61) lgkmcnt(13)
	v_mul_f32_e32 v208, v83, v143
	s_waitcnt vmcnt(60)
	v_mul_f32_e32 v209, v85, v144
	s_waitcnt vmcnt(59) lgkmcnt(12)
	v_mul_f32_e32 v210, v87, v145
	s_waitcnt vmcnt(58)
	v_mul_f32_e32 v211, v89, v146
	s_waitcnt vmcnt(57) lgkmcnt(11)
	v_mul_f32_e32 v212, v91, v147
	s_waitcnt vmcnt(56)
	v_mul_f32_e32 v213, v93, v148
	s_waitcnt vmcnt(55) lgkmcnt(10)
	v_mul_f32_e32 v214, v95, v149
	s_waitcnt vmcnt(54)
	v_mul_f32_e32 v215, v97, v150
	s_waitcnt vmcnt(53) lgkmcnt(9)
	v_mul_f32_e32 v216, v99, v151
	s_waitcnt vmcnt(52)
	v_mul_f32_e32 v217, v101, v152
	s_waitcnt vmcnt(51) lgkmcnt(8)
	v_mul_f32_e32 v218, v103, v153
	s_waitcnt vmcnt(50)
	v_mul_f32_e32 v219, v105, v154
	s_waitcnt vmcnt(49) lgkmcnt(7)
	v_mul_f32_e32 v220, v107, v155
	s_waitcnt vmcnt(48)
	v_mul_f32_e32 v221, v109, v156
	s_waitcnt vmcnt(47) lgkmcnt(6)
	v_mul_f32_e32 v222, v111, v157
	s_waitcnt vmcnt(46)
	v_mul_f32_e32 v223, v113, v158
	s_waitcnt vmcnt(45) lgkmcnt(5)
	v_mul_f32_e32 v224, v115, v159
	s_waitcnt vmcnt(44)
	v_mul_f32_e32 v225, v117, v160
	s_waitcnt vmcnt(43) lgkmcnt(4)
	v_mul_f32_e32 v226, v119, v161
	s_waitcnt vmcnt(42)
	v_mul_f32_e32 v227, v121, v162
	s_waitcnt vmcnt(41) lgkmcnt(3)
	v_mul_f32_e32 v228, v123, v163
	s_waitcnt vmcnt(40)
	v_mul_f32_e32 v229, v125, v164
	s_waitcnt vmcnt(39) lgkmcnt(2)
	v_mul_f32_e32 v230, v127, v165
	s_waitcnt vmcnt(38)
	v_mul_f32_e32 v231, v129, v166
	s_waitcnt vmcnt(37) lgkmcnt(1)
	v_mul_f32_e32 v232, v131, v167
	s_waitcnt vmcnt(36)
	v_mul_f32_e32 v233, v133, v168
	s_waitcnt vmcnt(33)
	v_fma_f32 v75, v75, v171, -v139
	v_fmac_f32_e32 v74, v76, v171
	v_mul_f32_e32 v76, v80, v141
	s_waitcnt vmcnt(32)
	v_fma_f32 v77, v77, v172, -v140
	v_fmac_f32_e32 v205, v78, v172
	v_add_f32_e32 v75, 0, v75
	v_add_f32_e32 v74, 0, v74
	v_mul_f32_e32 v78, v82, v142
	s_waitcnt vmcnt(31)
	v_fma_f32 v76, v79, v173, -v76
	v_fmac_f32_e32 v206, v80, v173
	v_add_f32_e32 v75, v75, v77
	v_add_f32_e32 v74, v74, v205
	;; [unrolled: 6-line block ×28, first 2 shown]
	s_waitcnt lgkmcnt(0)
	v_mul_f32_e32 v78, v136, v169
	s_waitcnt vmcnt(4)
	v_fma_f32 v76, v133, v200, -v76
	v_mul_f32_e32 v234, v135, v169
	v_add_f32_e32 v75, v75, v77
	v_fmac_f32_e32 v233, v134, v200
	v_add_f32_e32 v74, v74, v232
	v_mul_f32_e32 v77, v138, v170
	s_waitcnt vmcnt(3)
	v_fma_f32 v78, v135, v201, -v78
	v_add_f32_e32 v75, v75, v76
	v_mul_f32_e32 v235, v137, v170
	v_fmac_f32_e32 v234, v136, v201
	v_add_f32_e32 v74, v74, v233
	s_waitcnt vmcnt(2)
	v_fma_f32 v76, v137, v202, -v77
	v_add_f32_e32 v75, v75, v78
	v_fmac_f32_e32 v235, v138, v202
	v_add_f32_e32 v74, v74, v234
	v_add_f32_e32 v75, v75, v76
	;; [unrolled: 1-line block ×3, first 2 shown]
	s_waitcnt vmcnt(1)
	v_sub_f32_e32 v75, v203, v75
	s_waitcnt vmcnt(0)
	v_sub_f32_e32 v74, v204, v74
	buffer_store_dword v75, off, s[0:3], 0 offset:24
	buffer_store_dword v74, off, s[0:3], 0 offset:28
	v_cmpx_lt_u32_e32 2, v0
	s_cbranch_execz .LBB35_225
; %bb.224:
	s_clause 0x1
	buffer_load_dword v74, off, s[0:3], 0 offset:16
	buffer_load_dword v75, off, s[0:3], 0 offset:20
	v_mov_b32_e32 v76, 0
	buffer_store_dword v76, off, s[0:3], 0 offset:16
	buffer_store_dword v76, off, s[0:3], 0 offset:20
	s_waitcnt vmcnt(0)
	ds_write_b64 v73, v[74:75]
.LBB35_225:
	s_or_b32 exec_lo, exec_lo, s4
	s_waitcnt lgkmcnt(0)
	s_waitcnt_vscnt null, 0x0
	s_barrier
	buffer_gl0_inv
	s_clause 0x3e
	buffer_load_dword v141, off, s[0:3], 0 offset:28
	buffer_load_dword v142, off, s[0:3], 0 offset:36
	;; [unrolled: 1-line block ×63, first 2 shown]
	s_clause 0x4
	buffer_load_dword v204, off, s[0:3], 0 offset:264
	buffer_load_dword v205, off, s[0:3], 0 offset:272
	;; [unrolled: 1-line block ×5, first 2 shown]
	v_mov_b32_e32 v74, 0
	ds_read2_b64 v[75:78], v74 offset0:39 offset1:40
	ds_read2_b64 v[79:82], v74 offset0:41 offset1:42
	;; [unrolled: 1-line block ×16, first 2 shown]
	ds_read_b64 v[139:140], v74 offset:568
	s_mov_b32 s4, exec_lo
	s_waitcnt vmcnt(62) lgkmcnt(16)
	v_mul_f32_e32 v209, v75, v141
	v_mul_f32_e32 v141, v76, v141
	;; [unrolled: 1-line block ×4, first 2 shown]
	s_waitcnt lgkmcnt(15)
	v_mul_f32_e32 v211, v79, v143
	v_mul_f32_e32 v212, v81, v144
	s_waitcnt lgkmcnt(14)
	v_mul_f32_e32 v213, v83, v145
	v_mul_f32_e32 v214, v85, v146
	s_waitcnt vmcnt(61) lgkmcnt(13)
	v_mul_f32_e32 v215, v87, v147
	s_waitcnt vmcnt(60)
	v_mul_f32_e32 v216, v89, v148
	s_waitcnt vmcnt(59) lgkmcnt(12)
	v_mul_f32_e32 v217, v91, v149
	s_waitcnt vmcnt(58)
	;; [unrolled: 4-line block ×13, first 2 shown]
	v_fma_f32 v75, v75, v174, -v141
	v_fmac_f32_e32 v209, v76, v174
	v_mul_f32_e32 v76, v80, v143
	s_waitcnt vmcnt(33)
	v_fma_f32 v77, v77, v175, -v142
	v_fmac_f32_e32 v210, v78, v175
	v_add_f32_e32 v75, 0, v75
	v_add_f32_e32 v78, 0, v209
	v_mul_f32_e32 v141, v82, v144
	s_waitcnt vmcnt(32)
	v_fma_f32 v76, v79, v176, -v76
	v_fmac_f32_e32 v211, v80, v176
	v_add_f32_e32 v75, v75, v77
	v_add_f32_e32 v77, v78, v210
	;; [unrolled: 6-line block ×29, first 2 shown]
	v_mul_f32_e32 v78, v138, v172
	s_waitcnt vmcnt(4)
	v_fma_f32 v79, v135, v204, -v79
	v_mul_f32_e32 v240, v137, v172
	v_add_f32_e32 v75, v75, v77
	v_fmac_f32_e32 v239, v136, v204
	v_add_f32_e32 v76, v76, v238
	s_waitcnt lgkmcnt(0)
	v_mul_f32_e32 v77, v140, v173
	s_waitcnt vmcnt(3)
	v_fma_f32 v78, v137, v205, -v78
	v_add_f32_e32 v75, v75, v79
	v_mul_f32_e32 v241, v139, v173
	v_fmac_f32_e32 v240, v138, v205
	v_add_f32_e32 v76, v76, v239
	s_waitcnt vmcnt(2)
	v_fma_f32 v77, v139, v206, -v77
	v_add_f32_e32 v75, v75, v78
	v_fmac_f32_e32 v241, v140, v206
	v_add_f32_e32 v76, v76, v240
	v_add_f32_e32 v75, v75, v77
	;; [unrolled: 1-line block ×3, first 2 shown]
	s_waitcnt vmcnt(1)
	v_sub_f32_e32 v75, v207, v75
	s_waitcnt vmcnt(0)
	v_sub_f32_e32 v76, v208, v76
	buffer_store_dword v75, off, s[0:3], 0 offset:16
	buffer_store_dword v76, off, s[0:3], 0 offset:20
	v_cmpx_lt_u32_e32 1, v0
	s_cbranch_execz .LBB35_227
; %bb.226:
	s_clause 0x1
	buffer_load_dword v75, off, s[0:3], 0 offset:8
	buffer_load_dword v76, off, s[0:3], 0 offset:12
	buffer_store_dword v74, off, s[0:3], 0 offset:8
	buffer_store_dword v74, off, s[0:3], 0 offset:12
	s_waitcnt vmcnt(0)
	ds_write_b64 v73, v[75:76]
.LBB35_227:
	s_or_b32 exec_lo, exec_lo, s4
	s_waitcnt lgkmcnt(0)
	s_waitcnt_vscnt null, 0x0
	s_barrier
	buffer_gl0_inv
	s_clause 0x3e
	buffer_load_dword v143, off, s[0:3], 0 offset:20
	buffer_load_dword v144, off, s[0:3], 0 offset:28
	buffer_load_dword v145, off, s[0:3], 0 offset:36
	buffer_load_dword v146, off, s[0:3], 0 offset:44
	buffer_load_dword v147, off, s[0:3], 0 offset:52
	buffer_load_dword v148, off, s[0:3], 0 offset:60
	buffer_load_dword v149, off, s[0:3], 0 offset:68
	buffer_load_dword v150, off, s[0:3], 0 offset:76
	buffer_load_dword v151, off, s[0:3], 0 offset:84
	buffer_load_dword v152, off, s[0:3], 0 offset:92
	buffer_load_dword v153, off, s[0:3], 0 offset:100
	buffer_load_dword v154, off, s[0:3], 0 offset:108
	buffer_load_dword v155, off, s[0:3], 0 offset:116
	buffer_load_dword v156, off, s[0:3], 0 offset:124
	buffer_load_dword v157, off, s[0:3], 0 offset:132
	buffer_load_dword v158, off, s[0:3], 0 offset:140
	buffer_load_dword v159, off, s[0:3], 0 offset:148
	buffer_load_dword v160, off, s[0:3], 0 offset:156
	buffer_load_dword v161, off, s[0:3], 0 offset:164
	buffer_load_dword v162, off, s[0:3], 0 offset:172
	buffer_load_dword v163, off, s[0:3], 0 offset:180
	buffer_load_dword v164, off, s[0:3], 0 offset:188
	buffer_load_dword v165, off, s[0:3], 0 offset:196
	buffer_load_dword v166, off, s[0:3], 0 offset:204
	buffer_load_dword v167, off, s[0:3], 0 offset:212
	buffer_load_dword v168, off, s[0:3], 0 offset:220
	buffer_load_dword v169, off, s[0:3], 0 offset:228
	buffer_load_dword v170, off, s[0:3], 0 offset:236
	buffer_load_dword v171, off, s[0:3], 0 offset:244
	buffer_load_dword v172, off, s[0:3], 0 offset:252
	buffer_load_dword v173, off, s[0:3], 0 offset:260
	buffer_load_dword v174, off, s[0:3], 0 offset:268
	buffer_load_dword v175, off, s[0:3], 0 offset:276
	buffer_load_dword v176, off, s[0:3], 0 offset:284
	buffer_load_dword v177, off, s[0:3], 0 offset:16
	buffer_load_dword v178, off, s[0:3], 0 offset:24
	buffer_load_dword v179, off, s[0:3], 0 offset:32
	buffer_load_dword v180, off, s[0:3], 0 offset:40
	buffer_load_dword v181, off, s[0:3], 0 offset:48
	buffer_load_dword v182, off, s[0:3], 0 offset:56
	buffer_load_dword v183, off, s[0:3], 0 offset:64
	buffer_load_dword v184, off, s[0:3], 0 offset:72
	buffer_load_dword v185, off, s[0:3], 0 offset:80
	buffer_load_dword v186, off, s[0:3], 0 offset:88
	buffer_load_dword v187, off, s[0:3], 0 offset:96
	buffer_load_dword v188, off, s[0:3], 0 offset:104
	buffer_load_dword v189, off, s[0:3], 0 offset:112
	buffer_load_dword v190, off, s[0:3], 0 offset:120
	buffer_load_dword v191, off, s[0:3], 0 offset:128
	buffer_load_dword v192, off, s[0:3], 0 offset:136
	buffer_load_dword v193, off, s[0:3], 0 offset:144
	buffer_load_dword v194, off, s[0:3], 0 offset:152
	buffer_load_dword v195, off, s[0:3], 0 offset:160
	buffer_load_dword v196, off, s[0:3], 0 offset:168
	buffer_load_dword v197, off, s[0:3], 0 offset:176
	buffer_load_dword v198, off, s[0:3], 0 offset:184
	buffer_load_dword v199, off, s[0:3], 0 offset:192
	buffer_load_dword v200, off, s[0:3], 0 offset:200
	buffer_load_dword v201, off, s[0:3], 0 offset:208
	buffer_load_dword v202, off, s[0:3], 0 offset:216
	buffer_load_dword v203, off, s[0:3], 0 offset:224
	buffer_load_dword v204, off, s[0:3], 0 offset:232
	buffer_load_dword v205, off, s[0:3], 0 offset:240
	s_clause 0x6
	buffer_load_dword v206, off, s[0:3], 0 offset:248
	buffer_load_dword v207, off, s[0:3], 0 offset:256
	;; [unrolled: 1-line block ×7, first 2 shown]
	ds_read_b128 v[75:78], v74 offset:304
	ds_read_b128 v[79:82], v74 offset:320
	;; [unrolled: 1-line block ×17, first 2 shown]
	s_mov_b32 s4, exec_lo
	s_waitcnt vmcnt(62) lgkmcnt(16)
	v_mul_f32_e32 v74, v75, v143
	v_mul_f32_e32 v143, v76, v143
	;; [unrolled: 1-line block ×4, first 2 shown]
	s_waitcnt lgkmcnt(15)
	v_mul_f32_e32 v214, v79, v145
	v_mul_f32_e32 v215, v81, v146
	s_waitcnt lgkmcnt(14)
	v_mul_f32_e32 v216, v83, v147
	v_mul_f32_e32 v217, v85, v148
	;; [unrolled: 3-line block ×3, first 2 shown]
	s_waitcnt vmcnt(61) lgkmcnt(12)
	v_mul_f32_e32 v220, v91, v151
	s_waitcnt vmcnt(60)
	v_mul_f32_e32 v221, v93, v152
	s_waitcnt vmcnt(59) lgkmcnt(11)
	v_mul_f32_e32 v222, v95, v153
	s_waitcnt vmcnt(58)
	v_mul_f32_e32 v223, v97, v154
	;; [unrolled: 4-line block ×12, first 2 shown]
	s_waitcnt vmcnt(35)
	v_fma_f32 v75, v75, v177, -v143
	v_fmac_f32_e32 v74, v76, v177
	v_mul_f32_e32 v76, v80, v145
	s_waitcnt vmcnt(34)
	v_fma_f32 v77, v77, v178, -v144
	v_fmac_f32_e32 v213, v78, v178
	v_add_f32_e32 v75, 0, v75
	v_add_f32_e32 v74, 0, v74
	v_mul_f32_e32 v78, v82, v146
	s_waitcnt vmcnt(33)
	v_fma_f32 v76, v79, v179, -v76
	v_fmac_f32_e32 v214, v80, v179
	v_add_f32_e32 v75, v75, v77
	v_add_f32_e32 v74, v74, v213
	;; [unrolled: 6-line block ×30, first 2 shown]
	s_waitcnt lgkmcnt(0)
	v_mul_f32_e32 v76, v140, v175
	s_waitcnt vmcnt(4)
	v_fma_f32 v77, v137, v208, -v77
	v_mul_f32_e32 v244, v139, v175
	v_add_f32_e32 v75, v75, v78
	v_fmac_f32_e32 v243, v138, v208
	v_add_f32_e32 v74, v74, v242
	v_mul_f32_e32 v78, v142, v176
	s_waitcnt vmcnt(3)
	v_fma_f32 v76, v139, v209, -v76
	v_add_f32_e32 v75, v75, v77
	v_mul_f32_e32 v245, v141, v176
	v_fmac_f32_e32 v244, v140, v209
	v_add_f32_e32 v74, v74, v243
	s_waitcnt vmcnt(2)
	v_fma_f32 v77, v141, v210, -v78
	v_add_f32_e32 v75, v75, v76
	v_fmac_f32_e32 v245, v142, v210
	v_add_f32_e32 v74, v74, v244
	v_add_f32_e32 v75, v75, v77
	;; [unrolled: 1-line block ×3, first 2 shown]
	s_waitcnt vmcnt(1)
	v_sub_f32_e32 v75, v211, v75
	s_waitcnt vmcnt(0)
	v_sub_f32_e32 v74, v212, v74
	buffer_store_dword v75, off, s[0:3], 0 offset:8
	buffer_store_dword v74, off, s[0:3], 0 offset:12
	v_cmpx_ne_u32_e32 0, v0
	s_cbranch_execz .LBB35_229
; %bb.228:
	s_clause 0x1
	buffer_load_dword v74, off, s[0:3], 0
	buffer_load_dword v75, off, s[0:3], 0 offset:4
	v_mov_b32_e32 v0, 0
	buffer_store_dword v0, off, s[0:3], 0
	buffer_store_dword v0, off, s[0:3], 0 offset:4
	s_waitcnt vmcnt(0)
	ds_write_b64 v73, v[74:75]
.LBB35_229:
	s_or_b32 exec_lo, exec_lo, s4
	s_waitcnt lgkmcnt(0)
	s_waitcnt_vscnt null, 0x0
	s_barrier
	buffer_gl0_inv
	s_clause 0x3e
	buffer_load_dword v143, off, s[0:3], 0 offset:12
	buffer_load_dword v144, off, s[0:3], 0 offset:20
	;; [unrolled: 1-line block ×63, first 2 shown]
	s_clause 0x8
	buffer_load_dword v206, off, s[0:3], 0 offset:232
	buffer_load_dword v207, off, s[0:3], 0 offset:240
	;; [unrolled: 1-line block ×7, first 2 shown]
	buffer_load_dword v213, off, s[0:3], 0
	buffer_load_dword v214, off, s[0:3], 0 offset:4
	v_mov_b32_e32 v0, 0
	ds_read2_b64 v[73:76], v0 offset0:37 offset1:38
	ds_read2_b64 v[77:80], v0 offset0:39 offset1:40
	;; [unrolled: 1-line block ×17, first 2 shown]
	ds_read_b64 v[141:142], v0 offset:568
	s_and_b32 vcc_lo, exec_lo, s22
	s_waitcnt vmcnt(62) lgkmcnt(17)
	v_mul_f32_e32 v215, v73, v143
	v_mul_f32_e32 v143, v74, v143
	;; [unrolled: 1-line block ×4, first 2 shown]
	s_waitcnt lgkmcnt(16)
	v_mul_f32_e32 v217, v77, v145
	v_mul_f32_e32 v218, v79, v146
	s_waitcnt lgkmcnt(15)
	v_mul_f32_e32 v219, v81, v147
	v_mul_f32_e32 v220, v83, v148
	;; [unrolled: 3-line block ×4, first 2 shown]
	s_waitcnt vmcnt(61) lgkmcnt(12)
	v_mul_f32_e32 v225, v93, v153
	s_waitcnt vmcnt(60)
	v_mul_f32_e32 v226, v95, v154
	s_waitcnt vmcnt(59) lgkmcnt(11)
	v_mul_f32_e32 v227, v97, v155
	s_waitcnt vmcnt(58)
	v_mul_f32_e32 v228, v99, v156
	;; [unrolled: 4-line block ×11, first 2 shown]
	s_waitcnt vmcnt(39) lgkmcnt(1)
	v_mul_f32_e32 v247, v137, v175
	s_waitcnt vmcnt(36)
	v_fma_f32 v73, v73, v178, -v143
	v_fmac_f32_e32 v215, v74, v178
	v_mul_f32_e32 v74, v78, v145
	s_waitcnt vmcnt(35)
	v_fma_f32 v75, v75, v179, -v144
	v_fmac_f32_e32 v216, v76, v179
	v_add_f32_e32 v73, 0, v73
	v_add_f32_e32 v76, 0, v215
	v_mul_f32_e32 v143, v80, v146
	s_waitcnt vmcnt(34)
	v_fma_f32 v74, v77, v180, -v74
	v_fmac_f32_e32 v217, v78, v180
	v_add_f32_e32 v73, v73, v75
	v_add_f32_e32 v75, v76, v216
	;; [unrolled: 6-line block ×31, first 2 shown]
	v_mul_f32_e32 v77, v140, v176
	s_waitcnt vmcnt(4)
	v_fma_f32 v75, v137, v210, -v75
	v_mul_f32_e32 v248, v139, v176
	v_add_f32_e32 v73, v73, v76
	v_fmac_f32_e32 v247, v138, v210
	v_add_f32_e32 v74, v74, v246
	s_waitcnt lgkmcnt(0)
	v_mul_f32_e32 v76, v142, v177
	s_waitcnt vmcnt(3)
	v_fma_f32 v77, v139, v211, -v77
	v_add_f32_e32 v73, v73, v75
	v_mul_f32_e32 v249, v141, v177
	v_fmac_f32_e32 v248, v140, v211
	v_add_f32_e32 v74, v74, v247
	s_waitcnt vmcnt(2)
	v_fma_f32 v75, v141, v212, -v76
	v_add_f32_e32 v73, v73, v77
	v_fmac_f32_e32 v249, v142, v212
	v_add_f32_e32 v74, v74, v248
	v_add_f32_e32 v73, v73, v75
	;; [unrolled: 1-line block ×3, first 2 shown]
	s_waitcnt vmcnt(1)
	v_sub_f32_e32 v73, v213, v73
	s_waitcnt vmcnt(0)
	v_sub_f32_e32 v74, v214, v74
	buffer_store_dword v73, off, s[0:3], 0
	buffer_store_dword v74, off, s[0:3], 0 offset:4
	s_cbranch_vccz .LBB35_300
; %bb.230:
	global_load_dword v0, v0, s[20:21] offset:136
	s_waitcnt vmcnt(0)
	v_add_nc_u32_e32 v0, -1, v0
	v_cmp_ne_u32_e32 vcc_lo, 34, v0
	s_cbranch_vccz .LBB35_232
; %bb.231:
	v_lshlrev_b32_e32 v0, 3, v0
	s_clause 0x3
	buffer_load_dword v73, v0, s[0:3], 0 offen
	buffer_load_dword v74, v0, s[0:3], 0 offen offset:4
	buffer_load_dword v75, off, s[0:3], 0 offset:276
	buffer_load_dword v76, off, s[0:3], 0 offset:272
	s_waitcnt vmcnt(3)
	buffer_store_dword v73, off, s[0:3], 0 offset:272
	s_waitcnt vmcnt(2)
	buffer_store_dword v74, off, s[0:3], 0 offset:276
	s_waitcnt vmcnt(1)
	buffer_store_dword v75, v0, s[0:3], 0 offen offset:4
	s_waitcnt vmcnt(0)
	buffer_store_dword v76, v0, s[0:3], 0 offen
.LBB35_232:
	v_mov_b32_e32 v0, 0
	global_load_dword v73, v0, s[20:21] offset:132
	s_waitcnt vmcnt(0)
	v_add_nc_u32_e32 v73, -1, v73
	v_cmp_eq_u32_e32 vcc_lo, 33, v73
	s_cbranch_vccnz .LBB35_234
; %bb.233:
	v_lshlrev_b32_e32 v73, 3, v73
	s_clause 0x3
	buffer_load_dword v74, v73, s[0:3], 0 offen
	buffer_load_dword v75, v73, s[0:3], 0 offen offset:4
	buffer_load_dword v76, off, s[0:3], 0 offset:264
	buffer_load_dword v77, off, s[0:3], 0 offset:268
	s_waitcnt vmcnt(3)
	buffer_store_dword v74, off, s[0:3], 0 offset:264
	s_waitcnt vmcnt(2)
	buffer_store_dword v75, off, s[0:3], 0 offset:268
	s_waitcnt vmcnt(1)
	buffer_store_dword v76, v73, s[0:3], 0 offen
	s_waitcnt vmcnt(0)
	buffer_store_dword v77, v73, s[0:3], 0 offen offset:4
.LBB35_234:
	global_load_dword v0, v0, s[20:21] offset:128
	s_waitcnt vmcnt(0)
	v_add_nc_u32_e32 v0, -1, v0
	v_cmp_eq_u32_e32 vcc_lo, 32, v0
	s_cbranch_vccnz .LBB35_236
; %bb.235:
	v_lshlrev_b32_e32 v0, 3, v0
	s_clause 0x3
	buffer_load_dword v73, v0, s[0:3], 0 offen
	buffer_load_dword v74, v0, s[0:3], 0 offen offset:4
	buffer_load_dword v75, off, s[0:3], 0 offset:260
	buffer_load_dword v76, off, s[0:3], 0 offset:256
	s_waitcnt vmcnt(3)
	buffer_store_dword v73, off, s[0:3], 0 offset:256
	s_waitcnt vmcnt(2)
	buffer_store_dword v74, off, s[0:3], 0 offset:260
	s_waitcnt vmcnt(1)
	buffer_store_dword v75, v0, s[0:3], 0 offen offset:4
	s_waitcnt vmcnt(0)
	buffer_store_dword v76, v0, s[0:3], 0 offen
.LBB35_236:
	v_mov_b32_e32 v0, 0
	global_load_dword v73, v0, s[20:21] offset:124
	s_waitcnt vmcnt(0)
	v_add_nc_u32_e32 v73, -1, v73
	v_cmp_eq_u32_e32 vcc_lo, 31, v73
	s_cbranch_vccnz .LBB35_238
; %bb.237:
	v_lshlrev_b32_e32 v73, 3, v73
	s_clause 0x3
	buffer_load_dword v74, v73, s[0:3], 0 offen
	buffer_load_dword v75, v73, s[0:3], 0 offen offset:4
	buffer_load_dword v76, off, s[0:3], 0 offset:248
	buffer_load_dword v77, off, s[0:3], 0 offset:252
	s_waitcnt vmcnt(3)
	buffer_store_dword v74, off, s[0:3], 0 offset:248
	s_waitcnt vmcnt(2)
	buffer_store_dword v75, off, s[0:3], 0 offset:252
	s_waitcnt vmcnt(1)
	buffer_store_dword v76, v73, s[0:3], 0 offen
	s_waitcnt vmcnt(0)
	buffer_store_dword v77, v73, s[0:3], 0 offen offset:4
.LBB35_238:
	global_load_dword v0, v0, s[20:21] offset:120
	s_waitcnt vmcnt(0)
	v_add_nc_u32_e32 v0, -1, v0
	v_cmp_eq_u32_e32 vcc_lo, 30, v0
	s_cbranch_vccnz .LBB35_240
; %bb.239:
	v_lshlrev_b32_e32 v0, 3, v0
	s_clause 0x3
	buffer_load_dword v73, v0, s[0:3], 0 offen
	buffer_load_dword v74, v0, s[0:3], 0 offen offset:4
	buffer_load_dword v75, off, s[0:3], 0 offset:244
	buffer_load_dword v76, off, s[0:3], 0 offset:240
	s_waitcnt vmcnt(3)
	buffer_store_dword v73, off, s[0:3], 0 offset:240
	s_waitcnt vmcnt(2)
	buffer_store_dword v74, off, s[0:3], 0 offset:244
	s_waitcnt vmcnt(1)
	buffer_store_dword v75, v0, s[0:3], 0 offen offset:4
	s_waitcnt vmcnt(0)
	buffer_store_dword v76, v0, s[0:3], 0 offen
.LBB35_240:
	;; [unrolled: 43-line block ×16, first 2 shown]
	v_mov_b32_e32 v0, 0
	global_load_dword v73, v0, s[20:21] offset:4
	s_waitcnt vmcnt(0)
	v_add_nc_u32_e32 v73, -1, v73
	v_cmp_eq_u32_e32 vcc_lo, 1, v73
	s_cbranch_vccnz .LBB35_298
; %bb.297:
	v_lshlrev_b32_e32 v73, 3, v73
	s_clause 0x3
	buffer_load_dword v74, v73, s[0:3], 0 offen
	buffer_load_dword v75, v73, s[0:3], 0 offen offset:4
	buffer_load_dword v76, off, s[0:3], 0 offset:8
	buffer_load_dword v77, off, s[0:3], 0 offset:12
	s_waitcnt vmcnt(3)
	buffer_store_dword v74, off, s[0:3], 0 offset:8
	s_waitcnt vmcnt(2)
	buffer_store_dword v75, off, s[0:3], 0 offset:12
	s_waitcnt vmcnt(1)
	buffer_store_dword v76, v73, s[0:3], 0 offen
	s_waitcnt vmcnt(0)
	buffer_store_dword v77, v73, s[0:3], 0 offen offset:4
.LBB35_298:
	global_load_dword v0, v0, s[20:21]
	s_waitcnt vmcnt(0)
	v_add_nc_u32_e32 v0, -1, v0
	v_cmp_eq_u32_e32 vcc_lo, 0, v0
	s_cbranch_vccnz .LBB35_300
; %bb.299:
	v_lshlrev_b32_e32 v0, 3, v0
	s_clause 0x3
	buffer_load_dword v73, v0, s[0:3], 0 offen
	buffer_load_dword v74, v0, s[0:3], 0 offen offset:4
	buffer_load_dword v75, off, s[0:3], 0 offset:4
	buffer_load_dword v76, off, s[0:3], 0
	s_waitcnt vmcnt(3)
	buffer_store_dword v73, off, s[0:3], 0
	s_waitcnt vmcnt(2)
	buffer_store_dword v74, off, s[0:3], 0 offset:4
	s_waitcnt vmcnt(1)
	buffer_store_dword v75, v0, s[0:3], 0 offen offset:4
	s_waitcnt vmcnt(0)
	buffer_store_dword v76, v0, s[0:3], 0 offen
.LBB35_300:
	s_clause 0x3e
	buffer_load_dword v73, off, s[0:3], 0
	buffer_load_dword v74, off, s[0:3], 0 offset:4
	buffer_load_dword v75, off, s[0:3], 0 offset:8
	;; [unrolled: 1-line block ×62, first 2 shown]
	s_clause 0x8
	buffer_load_dword v136, off, s[0:3], 0 offset:252
	buffer_load_dword v137, off, s[0:3], 0 offset:256
	;; [unrolled: 1-line block ×9, first 2 shown]
	s_waitcnt vmcnt(62)
	global_store_dwordx2 v[61:62], v[73:74], off
	global_store_dwordx2 v[63:64], v[75:76], off
	;; [unrolled: 1-line block ×5, first 2 shown]
	s_waitcnt vmcnt(60)
	global_store_dwordx2 v[7:8], v[83:84], off
	s_waitcnt vmcnt(58)
	global_store_dwordx2 v[9:10], v[85:86], off
	;; [unrolled: 2-line block ×4, first 2 shown]
	global_store_dwordx2 v[15:16], v[91:92], off
	global_store_dwordx2 v[17:18], v[93:94], off
	global_store_dwordx2 v[19:20], v[95:96], off
	s_waitcnt vmcnt(46)
	global_store_dwordx2 v[21:22], v[97:98], off
	s_waitcnt vmcnt(44)
	global_store_dwordx2 v[23:24], v[99:100], off
	;; [unrolled: 2-line block ×24, first 2 shown]
	s_endpgm
	.section	.rodata,"a",@progbits
	.p2align	6, 0x0
	.amdhsa_kernel _ZN9rocsolver6v33100L18getri_kernel_smallILi36E19rocblas_complex_numIfEPS3_EEvT1_iilPiilS6_bb
		.amdhsa_group_segment_fixed_size 580
		.amdhsa_private_segment_fixed_size 304
		.amdhsa_kernarg_size 60
		.amdhsa_user_sgpr_count 6
		.amdhsa_user_sgpr_private_segment_buffer 1
		.amdhsa_user_sgpr_dispatch_ptr 0
		.amdhsa_user_sgpr_queue_ptr 0
		.amdhsa_user_sgpr_kernarg_segment_ptr 1
		.amdhsa_user_sgpr_dispatch_id 0
		.amdhsa_user_sgpr_flat_scratch_init 0
		.amdhsa_user_sgpr_private_segment_size 0
		.amdhsa_wavefront_size32 1
		.amdhsa_uses_dynamic_stack 0
		.amdhsa_system_sgpr_private_segment_wavefront_offset 1
		.amdhsa_system_sgpr_workgroup_id_x 1
		.amdhsa_system_sgpr_workgroup_id_y 0
		.amdhsa_system_sgpr_workgroup_id_z 0
		.amdhsa_system_sgpr_workgroup_info 0
		.amdhsa_system_vgpr_workitem_id 0
		.amdhsa_next_free_vgpr 250
		.amdhsa_next_free_sgpr 23
		.amdhsa_reserve_vcc 1
		.amdhsa_reserve_flat_scratch 0
		.amdhsa_float_round_mode_32 0
		.amdhsa_float_round_mode_16_64 0
		.amdhsa_float_denorm_mode_32 3
		.amdhsa_float_denorm_mode_16_64 3
		.amdhsa_dx10_clamp 1
		.amdhsa_ieee_mode 1
		.amdhsa_fp16_overflow 0
		.amdhsa_workgroup_processor_mode 1
		.amdhsa_memory_ordered 1
		.amdhsa_forward_progress 1
		.amdhsa_shared_vgpr_count 0
		.amdhsa_exception_fp_ieee_invalid_op 0
		.amdhsa_exception_fp_denorm_src 0
		.amdhsa_exception_fp_ieee_div_zero 0
		.amdhsa_exception_fp_ieee_overflow 0
		.amdhsa_exception_fp_ieee_underflow 0
		.amdhsa_exception_fp_ieee_inexact 0
		.amdhsa_exception_int_div_zero 0
	.end_amdhsa_kernel
	.section	.text._ZN9rocsolver6v33100L18getri_kernel_smallILi36E19rocblas_complex_numIfEPS3_EEvT1_iilPiilS6_bb,"axG",@progbits,_ZN9rocsolver6v33100L18getri_kernel_smallILi36E19rocblas_complex_numIfEPS3_EEvT1_iilPiilS6_bb,comdat
.Lfunc_end35:
	.size	_ZN9rocsolver6v33100L18getri_kernel_smallILi36E19rocblas_complex_numIfEPS3_EEvT1_iilPiilS6_bb, .Lfunc_end35-_ZN9rocsolver6v33100L18getri_kernel_smallILi36E19rocblas_complex_numIfEPS3_EEvT1_iilPiilS6_bb
                                        ; -- End function
	.set _ZN9rocsolver6v33100L18getri_kernel_smallILi36E19rocblas_complex_numIfEPS3_EEvT1_iilPiilS6_bb.num_vgpr, 250
	.set _ZN9rocsolver6v33100L18getri_kernel_smallILi36E19rocblas_complex_numIfEPS3_EEvT1_iilPiilS6_bb.num_agpr, 0
	.set _ZN9rocsolver6v33100L18getri_kernel_smallILi36E19rocblas_complex_numIfEPS3_EEvT1_iilPiilS6_bb.numbered_sgpr, 23
	.set _ZN9rocsolver6v33100L18getri_kernel_smallILi36E19rocblas_complex_numIfEPS3_EEvT1_iilPiilS6_bb.num_named_barrier, 0
	.set _ZN9rocsolver6v33100L18getri_kernel_smallILi36E19rocblas_complex_numIfEPS3_EEvT1_iilPiilS6_bb.private_seg_size, 304
	.set _ZN9rocsolver6v33100L18getri_kernel_smallILi36E19rocblas_complex_numIfEPS3_EEvT1_iilPiilS6_bb.uses_vcc, 1
	.set _ZN9rocsolver6v33100L18getri_kernel_smallILi36E19rocblas_complex_numIfEPS3_EEvT1_iilPiilS6_bb.uses_flat_scratch, 0
	.set _ZN9rocsolver6v33100L18getri_kernel_smallILi36E19rocblas_complex_numIfEPS3_EEvT1_iilPiilS6_bb.has_dyn_sized_stack, 0
	.set _ZN9rocsolver6v33100L18getri_kernel_smallILi36E19rocblas_complex_numIfEPS3_EEvT1_iilPiilS6_bb.has_recursion, 0
	.set _ZN9rocsolver6v33100L18getri_kernel_smallILi36E19rocblas_complex_numIfEPS3_EEvT1_iilPiilS6_bb.has_indirect_call, 0
	.section	.AMDGPU.csdata,"",@progbits
; Kernel info:
; codeLenInByte = 57208
; TotalNumSgprs: 25
; NumVgprs: 250
; ScratchSize: 304
; MemoryBound: 0
; FloatMode: 240
; IeeeMode: 1
; LDSByteSize: 580 bytes/workgroup (compile time only)
; SGPRBlocks: 0
; VGPRBlocks: 31
; NumSGPRsForWavesPerEU: 25
; NumVGPRsForWavesPerEU: 250
; Occupancy: 4
; WaveLimiterHint : 1
; COMPUTE_PGM_RSRC2:SCRATCH_EN: 1
; COMPUTE_PGM_RSRC2:USER_SGPR: 6
; COMPUTE_PGM_RSRC2:TRAP_HANDLER: 0
; COMPUTE_PGM_RSRC2:TGID_X_EN: 1
; COMPUTE_PGM_RSRC2:TGID_Y_EN: 0
; COMPUTE_PGM_RSRC2:TGID_Z_EN: 0
; COMPUTE_PGM_RSRC2:TIDIG_COMP_CNT: 0
	.section	.text._ZN9rocsolver6v33100L18getri_kernel_smallILi37E19rocblas_complex_numIfEPS3_EEvT1_iilPiilS6_bb,"axG",@progbits,_ZN9rocsolver6v33100L18getri_kernel_smallILi37E19rocblas_complex_numIfEPS3_EEvT1_iilPiilS6_bb,comdat
	.globl	_ZN9rocsolver6v33100L18getri_kernel_smallILi37E19rocblas_complex_numIfEPS3_EEvT1_iilPiilS6_bb ; -- Begin function _ZN9rocsolver6v33100L18getri_kernel_smallILi37E19rocblas_complex_numIfEPS3_EEvT1_iilPiilS6_bb
	.p2align	8
	.type	_ZN9rocsolver6v33100L18getri_kernel_smallILi37E19rocblas_complex_numIfEPS3_EEvT1_iilPiilS6_bb,@function
_ZN9rocsolver6v33100L18getri_kernel_smallILi37E19rocblas_complex_numIfEPS3_EEvT1_iilPiilS6_bb: ; @_ZN9rocsolver6v33100L18getri_kernel_smallILi37E19rocblas_complex_numIfEPS3_EEvT1_iilPiilS6_bb
; %bb.0:
	s_add_u32 s0, s0, s7
	s_addc_u32 s1, s1, 0
	s_mov_b32 s7, exec_lo
	v_cmpx_gt_u32_e32 37, v0
	s_cbranch_execz .LBB36_162
; %bb.1:
	s_clause 0x2
	s_load_dword s7, s[4:5], 0x38
	s_load_dwordx4 s[16:19], s[4:5], 0x10
	s_load_dwordx4 s[8:11], s[4:5], 0x28
                                        ; implicit-def: $sgpr20_sgpr21
	s_waitcnt lgkmcnt(0)
	s_bitcmp1_b32 s7, 8
	s_cselect_b32 s22, -1, 0
	s_bfe_u32 s12, s7, 0x10008
	s_ashr_i32 s7, s6, 31
	s_cmp_eq_u32 s12, 0
	s_cbranch_scc1 .LBB36_3
; %bb.2:
	s_load_dword s12, s[4:5], 0x20
	s_mul_i32 s13, s8, s7
	s_mul_hi_u32 s14, s8, s6
	s_mul_i32 s9, s9, s6
	s_add_i32 s13, s14, s13
	s_mul_i32 s8, s8, s6
	s_add_i32 s9, s13, s9
	s_lshl_b64 s[8:9], s[8:9], 2
	s_waitcnt lgkmcnt(0)
	s_ashr_i32 s13, s12, 31
	s_add_u32 s14, s18, s8
	s_addc_u32 s15, s19, s9
	s_lshl_b64 s[8:9], s[12:13], 2
	s_add_u32 s20, s14, s8
	s_addc_u32 s21, s15, s9
.LBB36_3:
	s_clause 0x1
	s_load_dwordx4 s[12:15], s[4:5], 0x0
	s_load_dword s8, s[4:5], 0x38
	s_mul_i32 s4, s16, s7
	s_mul_hi_u32 s5, s16, s6
	s_mul_i32 s9, s17, s6
	s_add_i32 s5, s5, s4
	s_mul_i32 s4, s16, s6
	s_add_i32 s5, s5, s9
	s_lshl_b64 s[4:5], s[4:5], 3
	s_waitcnt lgkmcnt(0)
	v_add3_u32 v1, s15, s15, v0
	s_ashr_i32 s17, s14, 31
	s_mov_b32 s16, s14
	s_add_u32 s9, s12, s4
	s_addc_u32 s12, s13, s5
	v_add_nc_u32_e32 v3, s15, v1
	v_ashrrev_i32_e32 v2, 31, v1
	s_lshl_b64 s[4:5], s[16:17], 3
	s_add_u32 s4, s9, s4
	v_add_nc_u32_e32 v6, s15, v3
	v_lshlrev_b64 v[1:2], 3, v[1:2]
	v_ashrrev_i32_e32 v4, 31, v3
	s_addc_u32 s5, s12, s5
	s_mov_b32 s12, s15
	v_add_nc_u32_e32 v10, s15, v6
	v_ashrrev_i32_e32 v7, 31, v6
	v_lshlrev_b64 v[8:9], 3, v[3:4]
	v_add_co_u32 v4, vcc_lo, s4, v1
	v_add_nc_u32_e32 v12, s15, v10
	v_add_co_ci_u32_e64 v5, null, s5, v2, vcc_lo
	v_lshlrev_b64 v[1:2], 3, v[6:7]
	v_ashrrev_i32_e32 v11, 31, v10
	v_add_nc_u32_e32 v14, s15, v12
	v_ashrrev_i32_e32 v13, 31, v12
	v_add_co_u32 v6, vcc_lo, s4, v8
	v_add_co_ci_u32_e64 v7, null, s5, v9, vcc_lo
	v_add_nc_u32_e32 v16, s15, v14
	v_lshlrev_b64 v[10:11], 3, v[10:11]
	v_add_co_u32 v8, vcc_lo, s4, v1
	v_add_co_ci_u32_e64 v9, null, s5, v2, vcc_lo
	v_add_nc_u32_e32 v18, s15, v16
	v_lshlrev_b64 v[1:2], 3, v[12:13]
	v_ashrrev_i32_e32 v15, 31, v14
	v_ashrrev_i32_e32 v17, 31, v16
	v_add_co_u32 v10, vcc_lo, s4, v10
	v_add_nc_u32_e32 v20, s15, v18
	v_add_co_ci_u32_e64 v11, null, s5, v11, vcc_lo
	v_lshlrev_b64 v[14:15], 3, v[14:15]
	v_add_co_u32 v12, vcc_lo, s4, v1
	v_add_nc_u32_e32 v22, s15, v20
	v_add_co_ci_u32_e64 v13, null, s5, v2, vcc_lo
	v_lshlrev_b64 v[1:2], 3, v[16:17]
	v_ashrrev_i32_e32 v19, 31, v18
	v_add_nc_u32_e32 v24, s15, v22
	v_ashrrev_i32_e32 v21, 31, v20
	v_add_co_u32 v14, vcc_lo, s4, v14
	v_add_co_ci_u32_e64 v15, null, s5, v15, vcc_lo
	v_add_nc_u32_e32 v26, s15, v24
	v_lshlrev_b64 v[18:19], 3, v[18:19]
	v_add_co_u32 v16, vcc_lo, s4, v1
	v_add_co_ci_u32_e64 v17, null, s5, v2, vcc_lo
	v_add_nc_u32_e32 v28, s15, v26
	v_lshlrev_b64 v[1:2], 3, v[20:21]
	v_ashrrev_i32_e32 v23, 31, v22
	v_ashrrev_i32_e32 v25, 31, v24
	v_add_co_u32 v18, vcc_lo, s4, v18
	v_add_nc_u32_e32 v30, s15, v28
	v_add_co_ci_u32_e64 v19, null, s5, v19, vcc_lo
	;; [unrolled: 21-line block ×3, first 2 shown]
	v_lshlrev_b64 v[30:31], 3, v[30:31]
	v_add_co_u32 v28, vcc_lo, s4, v1
	v_add_co_ci_u32_e64 v29, null, s5, v2, vcc_lo
	v_lshlrev_b64 v[1:2], 3, v[32:33]
	v_ashrrev_i32_e32 v35, 31, v34
	v_add_nc_u32_e32 v42, s15, v40
	v_ashrrev_i32_e32 v37, 31, v36
	v_add_co_u32 v30, vcc_lo, s4, v30
	v_add_co_ci_u32_e64 v31, null, s5, v31, vcc_lo
	v_lshlrev_b64 v[34:35], 3, v[34:35]
	v_add_co_u32 v32, vcc_lo, s4, v1
	v_add_nc_u32_e32 v44, s15, v42
	v_add_co_ci_u32_e64 v33, null, s5, v2, vcc_lo
	v_lshlrev_b64 v[1:2], 3, v[36:37]
	v_ashrrev_i32_e32 v39, 31, v38
	v_ashrrev_i32_e32 v41, 31, v40
	v_add_nc_u32_e32 v46, s15, v44
	v_add_co_u32 v34, vcc_lo, s4, v34
	v_add_co_ci_u32_e64 v35, null, s5, v35, vcc_lo
	v_lshlrev_b64 v[38:39], 3, v[38:39]
	v_add_co_u32 v36, vcc_lo, s4, v1
	v_add_co_ci_u32_e64 v37, null, s5, v2, vcc_lo
	v_lshlrev_b64 v[1:2], 3, v[40:41]
	v_add_nc_u32_e32 v48, s15, v46
	v_ashrrev_i32_e32 v43, 31, v42
	v_ashrrev_i32_e32 v45, 31, v44
	v_add_co_u32 v38, vcc_lo, s4, v38
	v_add_nc_u32_e32 v50, s15, v48
	v_add_co_ci_u32_e64 v39, null, s5, v39, vcc_lo
	v_lshlrev_b64 v[42:43], 3, v[42:43]
	v_add_co_u32 v40, vcc_lo, s4, v1
	v_add_co_ci_u32_e64 v41, null, s5, v2, vcc_lo
	v_lshlrev_b64 v[1:2], 3, v[44:45]
	v_ashrrev_i32_e32 v47, 31, v46
	v_add_nc_u32_e32 v52, s15, v50
	v_ashrrev_i32_e32 v49, 31, v48
	v_add_co_u32 v42, vcc_lo, s4, v42
	v_add_co_ci_u32_e64 v43, null, s5, v43, vcc_lo
	v_lshlrev_b64 v[46:47], 3, v[46:47]
	v_add_co_u32 v44, vcc_lo, s4, v1
	v_add_nc_u32_e32 v54, s15, v52
	v_add_co_ci_u32_e64 v45, null, s5, v2, vcc_lo
	v_lshlrev_b64 v[1:2], 3, v[48:49]
	v_ashrrev_i32_e32 v51, 31, v50
	v_ashrrev_i32_e32 v53, 31, v52
	v_add_co_u32 v46, vcc_lo, s4, v46
	v_add_nc_u32_e32 v56, s15, v54
	v_add_co_ci_u32_e64 v47, null, s5, v47, vcc_lo
	v_lshlrev_b64 v[50:51], 3, v[50:51]
	v_add_co_u32 v48, vcc_lo, s4, v1
	v_add_co_ci_u32_e64 v49, null, s5, v2, vcc_lo
	v_lshlrev_b64 v[1:2], 3, v[52:53]
	v_ashrrev_i32_e32 v55, 31, v54
	v_add_nc_u32_e32 v58, s15, v56
	v_ashrrev_i32_e32 v57, 31, v56
	v_add_co_u32 v50, vcc_lo, s4, v50
	v_add_co_ci_u32_e64 v51, null, s5, v51, vcc_lo
	v_lshlrev_b64 v[54:55], 3, v[54:55]
	v_add_co_u32 v52, vcc_lo, s4, v1
	v_add_nc_u32_e32 v60, s15, v58
	v_add_co_ci_u32_e64 v53, null, s5, v2, vcc_lo
	v_lshlrev_b64 v[1:2], 3, v[56:57]
	v_ashrrev_i32_e32 v59, 31, v58
	v_ashrrev_i32_e32 v61, 31, v60
	v_add_co_u32 v54, vcc_lo, s4, v54
	v_add_co_ci_u32_e64 v55, null, s5, v55, vcc_lo
	v_lshlrev_b64 v[58:59], 3, v[58:59]
	v_add_co_u32 v56, vcc_lo, s4, v1
	v_add_co_ci_u32_e64 v57, null, s5, v2, vcc_lo
	v_lshlrev_b64 v[1:2], 3, v[60:61]
	v_add_nc_u32_e32 v62, s15, v60
	v_add_co_u32 v58, vcc_lo, s4, v58
	v_add_co_ci_u32_e64 v59, null, s5, v59, vcc_lo
	v_add_co_u32 v60, vcc_lo, s4, v1
	v_add_nc_u32_e32 v1, s15, v62
	v_lshlrev_b32_e32 v3, 3, v0
	v_ashrrev_i32_e32 v63, 31, v62
	v_add_co_ci_u32_e64 v61, null, s5, v2, vcc_lo
	v_add_nc_u32_e32 v70, s15, v1
	v_ashrrev_i32_e32 v2, 31, v1
	v_add_co_u32 v66, s9, s4, v3
	s_ashr_i32 s13, s15, 31
	v_add_nc_u32_e32 v72, s15, v70
	v_ashrrev_i32_e32 v71, 31, v70
	v_lshlrev_b64 v[62:63], 3, v[62:63]
	v_add_co_ci_u32_e64 v67, null, s5, 0, s9
	v_add_nc_u32_e32 v74, s15, v72
	v_ashrrev_i32_e32 v73, 31, v72
	s_lshl_b64 s[12:13], s[12:13], 3
	v_lshlrev_b64 v[1:2], 3, v[1:2]
	v_add_co_u32 v68, vcc_lo, v66, s12
	v_add_nc_u32_e32 v76, s15, v74
	v_ashrrev_i32_e32 v75, 31, v74
	v_lshlrev_b64 v[70:71], 3, v[70:71]
	v_add_co_ci_u32_e64 v69, null, s13, v67, vcc_lo
	v_ashrrev_i32_e32 v77, 31, v76
	v_add_co_u32 v62, vcc_lo, s4, v62
	v_lshlrev_b64 v[72:73], 3, v[72:73]
	v_add_co_ci_u32_e64 v63, null, s5, v63, vcc_lo
	v_add_co_u32 v64, vcc_lo, s4, v1
	v_lshlrev_b64 v[74:75], 3, v[74:75]
	v_add_co_ci_u32_e64 v65, null, s5, v2, vcc_lo
	;; [unrolled: 3-line block ×3, first 2 shown]
	v_add_co_u32 v72, vcc_lo, s4, v72
	v_add_co_ci_u32_e64 v73, null, s5, v73, vcc_lo
	v_add_co_u32 v74, vcc_lo, s4, v74
	v_add_co_ci_u32_e64 v75, null, s5, v75, vcc_lo
	;; [unrolled: 2-line block ×3, first 2 shown]
	s_clause 0x24
	global_load_dwordx2 v[78:79], v3, s[4:5]
	global_load_dwordx2 v[80:81], v[68:69], off
	global_load_dwordx2 v[82:83], v[4:5], off
	;; [unrolled: 1-line block ×36, first 2 shown]
	s_mov_b32 s5, -1
	s_bitcmp0_b32 s8, 0
	s_waitcnt vmcnt(36)
	buffer_store_dword v79, off, s[0:3], 0 offset:4
	buffer_store_dword v78, off, s[0:3], 0
	s_waitcnt vmcnt(35)
	buffer_store_dword v81, off, s[0:3], 0 offset:12
	buffer_store_dword v80, off, s[0:3], 0 offset:8
	s_waitcnt vmcnt(34)
	buffer_store_dword v83, off, s[0:3], 0 offset:20
	buffer_store_dword v82, off, s[0:3], 0 offset:16
	;; [unrolled: 3-line block ×36, first 2 shown]
	s_cbranch_scc1 .LBB36_160
; %bb.4:
	v_cmp_eq_u32_e64 s4, 0, v0
	s_and_saveexec_b32 s5, s4
; %bb.5:
	v_mov_b32_e32 v1, 0
	ds_write_b32 v1, v1 offset:296
; %bb.6:
	s_or_b32 exec_lo, exec_lo, s5
	v_lshl_add_u32 v79, v0, 3, 0
	s_waitcnt lgkmcnt(0)
	s_waitcnt_vscnt null, 0x0
	s_barrier
	buffer_gl0_inv
	s_clause 0x1
	buffer_load_dword v1, v79, s[0:3], 0 offen
	buffer_load_dword v2, v79, s[0:3], 0 offen offset:4
	s_waitcnt vmcnt(1)
	v_cmp_eq_f32_e32 vcc_lo, 0, v1
	s_waitcnt vmcnt(0)
	v_cmp_eq_f32_e64 s5, 0, v2
	s_and_b32 s5, vcc_lo, s5
	s_and_saveexec_b32 s8, s5
	s_cbranch_execz .LBB36_10
; %bb.7:
	v_mov_b32_e32 v1, 0
	s_mov_b32 s9, 0
	ds_read_b32 v2, v1 offset:296
	s_waitcnt lgkmcnt(0)
	v_readfirstlane_b32 s5, v2
	v_add_nc_u32_e32 v2, 1, v0
	s_cmp_eq_u32 s5, 0
	v_cmp_gt_i32_e32 vcc_lo, s5, v2
	s_cselect_b32 s12, -1, 0
	s_or_b32 s12, s12, vcc_lo
	s_and_b32 exec_lo, exec_lo, s12
	s_cbranch_execz .LBB36_10
; %bb.8:
	v_mov_b32_e32 v78, s5
.LBB36_9:                               ; =>This Inner Loop Header: Depth=1
	ds_cmpst_rtn_b32 v78, v1, v78, v2 offset:296
	s_waitcnt lgkmcnt(0)
	v_cmp_ne_u32_e32 vcc_lo, 0, v78
	v_cmp_le_i32_e64 s5, v78, v2
	s_and_b32 s5, vcc_lo, s5
	s_and_b32 s5, exec_lo, s5
	s_or_b32 s9, s5, s9
	s_andn2_b32 exec_lo, exec_lo, s9
	s_cbranch_execnz .LBB36_9
.LBB36_10:
	s_or_b32 exec_lo, exec_lo, s8
	v_mov_b32_e32 v1, 0
	s_barrier
	buffer_gl0_inv
	ds_read_b32 v2, v1 offset:296
	s_and_saveexec_b32 s5, s4
	s_cbranch_execz .LBB36_12
; %bb.11:
	s_lshl_b64 s[8:9], s[6:7], 2
	s_add_u32 s8, s10, s8
	s_addc_u32 s9, s11, s9
	s_waitcnt lgkmcnt(0)
	global_store_dword v1, v2, s[8:9]
.LBB36_12:
	s_or_b32 exec_lo, exec_lo, s5
	s_waitcnt lgkmcnt(0)
	v_cmp_ne_u32_e32 vcc_lo, 0, v2
	s_mov_b32 s5, 0
	s_cbranch_vccnz .LBB36_160
; %bb.13:
	s_clause 0x1
	buffer_load_dword v2, v79, s[0:3], 0 offen
	buffer_load_dword v78, v79, s[0:3], 0 offen offset:4
                                        ; implicit-def: $vgpr81
                                        ; implicit-def: $vgpr80
                                        ; implicit-def: $vgpr1
	s_waitcnt vmcnt(0)
	v_cmp_ngt_f32_e64 s5, |v2|, |v78|
	s_and_saveexec_b32 s8, s5
	s_xor_b32 s5, exec_lo, s8
	s_cbranch_execz .LBB36_15
; %bb.14:
	v_div_scale_f32 v1, null, v78, v78, v2
	v_div_scale_f32 v82, vcc_lo, v2, v78, v2
	v_rcp_f32_e32 v80, v1
	v_fma_f32 v81, -v1, v80, 1.0
	v_fmac_f32_e32 v80, v81, v80
	v_mul_f32_e32 v81, v82, v80
	v_fma_f32 v83, -v1, v81, v82
	v_fmac_f32_e32 v81, v83, v80
	v_fma_f32 v1, -v1, v81, v82
	v_div_fmas_f32 v1, v1, v80, v81
	v_div_fixup_f32 v1, v1, v78, v2
	v_fmac_f32_e32 v78, v2, v1
	v_div_scale_f32 v2, null, v78, v78, 1.0
	v_rcp_f32_e32 v80, v2
	v_fma_f32 v81, -v2, v80, 1.0
	v_fmac_f32_e32 v80, v81, v80
	v_div_scale_f32 v81, vcc_lo, 1.0, v78, 1.0
	v_mul_f32_e32 v82, v81, v80
	v_fma_f32 v83, -v2, v82, v81
	v_fmac_f32_e32 v82, v83, v80
	v_fma_f32 v2, -v2, v82, v81
	v_div_fmas_f32 v2, v2, v80, v82
	v_div_fixup_f32 v2, v2, v78, 1.0
                                        ; implicit-def: $vgpr78
	v_mul_f32_e32 v81, v1, v2
	v_xor_b32_e32 v80, 0x80000000, v2
                                        ; implicit-def: $vgpr2
	v_xor_b32_e32 v1, 0x80000000, v81
.LBB36_15:
	s_andn2_saveexec_b32 s5, s5
	s_cbranch_execz .LBB36_17
; %bb.16:
	v_div_scale_f32 v1, null, v2, v2, v78
	v_div_scale_f32 v82, vcc_lo, v78, v2, v78
	v_rcp_f32_e32 v80, v1
	v_fma_f32 v81, -v1, v80, 1.0
	v_fmac_f32_e32 v80, v81, v80
	v_mul_f32_e32 v81, v82, v80
	v_fma_f32 v83, -v1, v81, v82
	v_fmac_f32_e32 v81, v83, v80
	v_fma_f32 v1, -v1, v81, v82
	v_div_fmas_f32 v1, v1, v80, v81
	v_div_fixup_f32 v80, v1, v2, v78
	v_fmac_f32_e32 v2, v78, v80
	v_div_scale_f32 v1, null, v2, v2, 1.0
	v_div_scale_f32 v82, vcc_lo, 1.0, v2, 1.0
	v_rcp_f32_e32 v78, v1
	v_fma_f32 v81, -v1, v78, 1.0
	v_fmac_f32_e32 v78, v81, v78
	v_mul_f32_e32 v81, v82, v78
	v_fma_f32 v83, -v1, v81, v82
	v_fmac_f32_e32 v81, v83, v78
	v_fma_f32 v1, -v1, v81, v82
	v_div_fmas_f32 v1, v1, v78, v81
	v_div_fixup_f32 v81, v1, v2, 1.0
	v_xor_b32_e32 v1, 0x80000000, v81
	v_mul_f32_e64 v80, v80, -v81
.LBB36_17:
	s_or_b32 exec_lo, exec_lo, s5
	buffer_store_dword v81, v79, s[0:3], 0 offen
	buffer_store_dword v80, v79, s[0:3], 0 offen offset:4
	s_clause 0x1
	buffer_load_dword v82, off, s[0:3], 0 offset:12
	buffer_load_dword v81, off, s[0:3], 0 offset:8
	v_xor_b32_e32 v2, 0x80000000, v80
	v_add_nc_u32_e32 v78, 0x130, v3
	s_waitcnt vmcnt(0)
	ds_write2_b64 v3, v[1:2], v[81:82] offset1:38
	s_waitcnt lgkmcnt(0)
	s_waitcnt_vscnt null, 0x0
	s_barrier
	buffer_gl0_inv
	s_and_saveexec_b32 s5, s4
	s_cbranch_execz .LBB36_19
; %bb.18:
	s_clause 0x1
	buffer_load_dword v82, v79, s[0:3], 0 offen offset:4
	buffer_load_dword v83, v79, s[0:3], 0 offen
	ds_read_b64 v[1:2], v78
	v_mov_b32_e32 v80, 0
	ds_read_b64 v[80:81], v80 offset:8
	s_waitcnt vmcnt(1) lgkmcnt(1)
	v_mul_f32_e32 v84, v1, v82
	v_mul_f32_e32 v82, v2, v82
	s_waitcnt vmcnt(0)
	v_fmac_f32_e32 v84, v2, v83
	v_fma_f32 v1, v1, v83, -v82
	v_add_f32_e32 v2, 0, v84
	v_add_f32_e32 v1, 0, v1
	s_waitcnt lgkmcnt(0)
	v_mul_f32_e32 v82, v2, v81
	v_mul_f32_e32 v81, v1, v81
	v_fma_f32 v1, v1, v80, -v82
	v_fmac_f32_e32 v81, v2, v80
	buffer_store_dword v1, off, s[0:3], 0 offset:8
	buffer_store_dword v81, off, s[0:3], 0 offset:12
.LBB36_19:
	s_or_b32 exec_lo, exec_lo, s5
	s_waitcnt_vscnt null, 0x0
	s_barrier
	buffer_gl0_inv
	s_clause 0x1
	buffer_load_dword v1, off, s[0:3], 0 offset:16
	buffer_load_dword v2, off, s[0:3], 0 offset:20
	s_mov_b32 s5, exec_lo
	s_waitcnt vmcnt(0)
	ds_write_b64 v78, v[1:2]
	s_waitcnt lgkmcnt(0)
	s_barrier
	buffer_gl0_inv
	v_cmpx_gt_u32_e32 2, v0
	s_cbranch_execz .LBB36_23
; %bb.20:
	s_clause 0x1
	buffer_load_dword v80, v79, s[0:3], 0 offen offset:4
	buffer_load_dword v79, v79, s[0:3], 0 offen
	ds_read_b64 v[1:2], v78
	s_waitcnt vmcnt(1) lgkmcnt(0)
	v_mul_f32_e32 v81, v2, v80
	v_mul_f32_e32 v80, v1, v80
	s_waitcnt vmcnt(0)
	v_fma_f32 v1, v1, v79, -v81
	v_fmac_f32_e32 v80, v2, v79
	v_add_f32_e32 v2, 0, v1
	v_add_f32_e32 v1, 0, v80
	s_and_saveexec_b32 s8, s4
	s_cbranch_execz .LBB36_22
; %bb.21:
	s_clause 0x1
	buffer_load_dword v81, off, s[0:3], 0 offset:12
	buffer_load_dword v82, off, s[0:3], 0 offset:8
	v_mov_b32_e32 v79, 0
	ds_read_b64 v[79:80], v79 offset:312
	s_waitcnt vmcnt(1) lgkmcnt(0)
	v_mul_f32_e32 v83, v79, v81
	v_mul_f32_e32 v81, v80, v81
	s_waitcnt vmcnt(0)
	v_fmac_f32_e32 v83, v80, v82
	v_fma_f32 v79, v79, v82, -v81
	v_add_f32_e32 v1, v1, v83
	v_add_f32_e32 v2, v2, v79
.LBB36_22:
	s_or_b32 exec_lo, exec_lo, s8
	v_mov_b32_e32 v79, 0
	ds_read_b64 v[79:80], v79 offset:16
	s_waitcnt lgkmcnt(0)
	v_mul_f32_e32 v81, v1, v80
	v_mul_f32_e32 v80, v2, v80
	v_fma_f32 v2, v2, v79, -v81
	v_fmac_f32_e32 v80, v1, v79
	buffer_store_dword v2, off, s[0:3], 0 offset:16
	buffer_store_dword v80, off, s[0:3], 0 offset:20
.LBB36_23:
	s_or_b32 exec_lo, exec_lo, s5
	s_waitcnt_vscnt null, 0x0
	s_barrier
	buffer_gl0_inv
	s_clause 0x1
	buffer_load_dword v79, off, s[0:3], 0 offset:24
	buffer_load_dword v80, off, s[0:3], 0 offset:28
	v_add_nc_u32_e32 v1, -1, v0
	s_mov_b32 s4, exec_lo
	s_waitcnt vmcnt(0)
	ds_write_b64 v78, v[79:80]
	s_waitcnt lgkmcnt(0)
	s_barrier
	buffer_gl0_inv
	v_cmpx_gt_u32_e32 3, v0
	s_cbranch_execz .LBB36_27
; %bb.24:
	v_add_nc_u32_e32 v79, -1, v0
	v_add_nc_u32_e32 v80, 0x130, v3
	v_mov_b32_e32 v81, v3
	v_mov_b32_e32 v2, 0
	;; [unrolled: 1-line block ×3, first 2 shown]
	s_mov_b32 s5, 0
	.p2align	6
.LBB36_25:                              ; =>This Inner Loop Header: Depth=1
	s_clause 0x1
	buffer_load_dword v85, v81, s[0:3], 0 offen offset:4
	buffer_load_dword v86, v81, s[0:3], 0 offen
	ds_read_b64 v[83:84], v80
	v_add_nc_u32_e32 v79, 1, v79
	v_add_nc_u32_e32 v80, 8, v80
	;; [unrolled: 1-line block ×3, first 2 shown]
	v_cmp_lt_u32_e32 vcc_lo, 1, v79
	s_or_b32 s5, vcc_lo, s5
	s_waitcnt vmcnt(1) lgkmcnt(0)
	v_mul_f32_e32 v87, v84, v85
	v_mul_f32_e32 v85, v83, v85
	s_waitcnt vmcnt(0)
	v_fma_f32 v83, v83, v86, -v87
	v_fmac_f32_e32 v85, v84, v86
	v_add_f32_e32 v82, v82, v83
	v_add_f32_e32 v2, v2, v85
	s_andn2_b32 exec_lo, exec_lo, s5
	s_cbranch_execnz .LBB36_25
; %bb.26:
	s_or_b32 exec_lo, exec_lo, s5
	v_mov_b32_e32 v79, 0
	ds_read_b64 v[79:80], v79 offset:24
	s_waitcnt lgkmcnt(0)
	v_mul_f32_e32 v81, v2, v80
	v_mul_f32_e32 v80, v82, v80
	v_fma_f32 v81, v82, v79, -v81
	v_fmac_f32_e32 v80, v2, v79
	buffer_store_dword v81, off, s[0:3], 0 offset:24
	buffer_store_dword v80, off, s[0:3], 0 offset:28
.LBB36_27:
	s_or_b32 exec_lo, exec_lo, s4
	s_waitcnt_vscnt null, 0x0
	s_barrier
	buffer_gl0_inv
	s_clause 0x1
	buffer_load_dword v79, off, s[0:3], 0 offset:32
	buffer_load_dword v80, off, s[0:3], 0 offset:36
	s_mov_b32 s4, exec_lo
	s_waitcnt vmcnt(0)
	ds_write_b64 v78, v[79:80]
	s_waitcnt lgkmcnt(0)
	s_barrier
	buffer_gl0_inv
	v_cmpx_gt_u32_e32 4, v0
	s_cbranch_execz .LBB36_31
; %bb.28:
	v_add_nc_u32_e32 v79, -1, v0
	v_add_nc_u32_e32 v80, 0x130, v3
	v_mov_b32_e32 v81, v3
	v_mov_b32_e32 v2, 0
	;; [unrolled: 1-line block ×3, first 2 shown]
	s_mov_b32 s5, 0
	.p2align	6
.LBB36_29:                              ; =>This Inner Loop Header: Depth=1
	s_clause 0x1
	buffer_load_dword v85, v81, s[0:3], 0 offen offset:4
	buffer_load_dword v86, v81, s[0:3], 0 offen
	ds_read_b64 v[83:84], v80
	v_add_nc_u32_e32 v79, 1, v79
	v_add_nc_u32_e32 v80, 8, v80
	;; [unrolled: 1-line block ×3, first 2 shown]
	v_cmp_lt_u32_e32 vcc_lo, 2, v79
	s_or_b32 s5, vcc_lo, s5
	s_waitcnt vmcnt(1) lgkmcnt(0)
	v_mul_f32_e32 v87, v84, v85
	v_mul_f32_e32 v85, v83, v85
	s_waitcnt vmcnt(0)
	v_fma_f32 v83, v83, v86, -v87
	v_fmac_f32_e32 v85, v84, v86
	v_add_f32_e32 v82, v82, v83
	v_add_f32_e32 v2, v2, v85
	s_andn2_b32 exec_lo, exec_lo, s5
	s_cbranch_execnz .LBB36_29
; %bb.30:
	s_or_b32 exec_lo, exec_lo, s5
	v_mov_b32_e32 v79, 0
	ds_read_b64 v[79:80], v79 offset:32
	s_waitcnt lgkmcnt(0)
	v_mul_f32_e32 v81, v2, v80
	v_mul_f32_e32 v80, v82, v80
	v_fma_f32 v81, v82, v79, -v81
	v_fmac_f32_e32 v80, v2, v79
	buffer_store_dword v81, off, s[0:3], 0 offset:32
	buffer_store_dword v80, off, s[0:3], 0 offset:36
.LBB36_31:
	s_or_b32 exec_lo, exec_lo, s4
	s_waitcnt_vscnt null, 0x0
	s_barrier
	buffer_gl0_inv
	s_clause 0x1
	buffer_load_dword v79, off, s[0:3], 0 offset:40
	buffer_load_dword v80, off, s[0:3], 0 offset:44
	s_mov_b32 s4, exec_lo
	s_waitcnt vmcnt(0)
	ds_write_b64 v78, v[79:80]
	s_waitcnt lgkmcnt(0)
	s_barrier
	buffer_gl0_inv
	v_cmpx_gt_u32_e32 5, v0
	s_cbranch_execz .LBB36_35
; %bb.32:
	v_add_nc_u32_e32 v79, -1, v0
	v_add_nc_u32_e32 v80, 0x130, v3
	v_mov_b32_e32 v81, v3
	v_mov_b32_e32 v2, 0
	;; [unrolled: 1-line block ×3, first 2 shown]
	s_mov_b32 s5, 0
	.p2align	6
.LBB36_33:                              ; =>This Inner Loop Header: Depth=1
	s_clause 0x1
	buffer_load_dword v85, v81, s[0:3], 0 offen offset:4
	buffer_load_dword v86, v81, s[0:3], 0 offen
	ds_read_b64 v[83:84], v80
	v_add_nc_u32_e32 v79, 1, v79
	v_add_nc_u32_e32 v80, 8, v80
	;; [unrolled: 1-line block ×3, first 2 shown]
	v_cmp_lt_u32_e32 vcc_lo, 3, v79
	s_or_b32 s5, vcc_lo, s5
	s_waitcnt vmcnt(1) lgkmcnt(0)
	v_mul_f32_e32 v87, v84, v85
	v_mul_f32_e32 v85, v83, v85
	s_waitcnt vmcnt(0)
	v_fma_f32 v83, v83, v86, -v87
	v_fmac_f32_e32 v85, v84, v86
	v_add_f32_e32 v82, v82, v83
	v_add_f32_e32 v2, v2, v85
	s_andn2_b32 exec_lo, exec_lo, s5
	s_cbranch_execnz .LBB36_33
; %bb.34:
	s_or_b32 exec_lo, exec_lo, s5
	v_mov_b32_e32 v79, 0
	ds_read_b64 v[79:80], v79 offset:40
	s_waitcnt lgkmcnt(0)
	v_mul_f32_e32 v81, v2, v80
	v_mul_f32_e32 v80, v82, v80
	v_fma_f32 v81, v82, v79, -v81
	v_fmac_f32_e32 v80, v2, v79
	buffer_store_dword v81, off, s[0:3], 0 offset:40
	buffer_store_dword v80, off, s[0:3], 0 offset:44
.LBB36_35:
	s_or_b32 exec_lo, exec_lo, s4
	s_waitcnt_vscnt null, 0x0
	s_barrier
	buffer_gl0_inv
	s_clause 0x1
	buffer_load_dword v79, off, s[0:3], 0 offset:48
	buffer_load_dword v80, off, s[0:3], 0 offset:52
	s_mov_b32 s4, exec_lo
	s_waitcnt vmcnt(0)
	ds_write_b64 v78, v[79:80]
	s_waitcnt lgkmcnt(0)
	s_barrier
	buffer_gl0_inv
	v_cmpx_gt_u32_e32 6, v0
	s_cbranch_execz .LBB36_39
; %bb.36:
	v_add_nc_u32_e32 v79, -1, v0
	v_add_nc_u32_e32 v80, 0x130, v3
	v_mov_b32_e32 v81, v3
	v_mov_b32_e32 v2, 0
	;; [unrolled: 1-line block ×3, first 2 shown]
	s_mov_b32 s5, 0
	.p2align	6
.LBB36_37:                              ; =>This Inner Loop Header: Depth=1
	s_clause 0x1
	buffer_load_dword v85, v81, s[0:3], 0 offen offset:4
	buffer_load_dword v86, v81, s[0:3], 0 offen
	ds_read_b64 v[83:84], v80
	v_add_nc_u32_e32 v79, 1, v79
	v_add_nc_u32_e32 v80, 8, v80
	v_add_nc_u32_e32 v81, 8, v81
	v_cmp_lt_u32_e32 vcc_lo, 4, v79
	s_or_b32 s5, vcc_lo, s5
	s_waitcnt vmcnt(1) lgkmcnt(0)
	v_mul_f32_e32 v87, v84, v85
	v_mul_f32_e32 v85, v83, v85
	s_waitcnt vmcnt(0)
	v_fma_f32 v83, v83, v86, -v87
	v_fmac_f32_e32 v85, v84, v86
	v_add_f32_e32 v82, v82, v83
	v_add_f32_e32 v2, v2, v85
	s_andn2_b32 exec_lo, exec_lo, s5
	s_cbranch_execnz .LBB36_37
; %bb.38:
	s_or_b32 exec_lo, exec_lo, s5
	v_mov_b32_e32 v79, 0
	ds_read_b64 v[79:80], v79 offset:48
	s_waitcnt lgkmcnt(0)
	v_mul_f32_e32 v81, v2, v80
	v_mul_f32_e32 v80, v82, v80
	v_fma_f32 v81, v82, v79, -v81
	v_fmac_f32_e32 v80, v2, v79
	buffer_store_dword v81, off, s[0:3], 0 offset:48
	buffer_store_dword v80, off, s[0:3], 0 offset:52
.LBB36_39:
	s_or_b32 exec_lo, exec_lo, s4
	s_waitcnt_vscnt null, 0x0
	s_barrier
	buffer_gl0_inv
	s_clause 0x1
	buffer_load_dword v79, off, s[0:3], 0 offset:56
	buffer_load_dword v80, off, s[0:3], 0 offset:60
	s_mov_b32 s4, exec_lo
	s_waitcnt vmcnt(0)
	ds_write_b64 v78, v[79:80]
	s_waitcnt lgkmcnt(0)
	s_barrier
	buffer_gl0_inv
	v_cmpx_gt_u32_e32 7, v0
	s_cbranch_execz .LBB36_43
; %bb.40:
	v_add_nc_u32_e32 v79, -1, v0
	v_add_nc_u32_e32 v80, 0x130, v3
	v_mov_b32_e32 v81, v3
	v_mov_b32_e32 v2, 0
	;; [unrolled: 1-line block ×3, first 2 shown]
	s_mov_b32 s5, 0
	.p2align	6
.LBB36_41:                              ; =>This Inner Loop Header: Depth=1
	s_clause 0x1
	buffer_load_dword v85, v81, s[0:3], 0 offen offset:4
	buffer_load_dword v86, v81, s[0:3], 0 offen
	ds_read_b64 v[83:84], v80
	v_add_nc_u32_e32 v79, 1, v79
	v_add_nc_u32_e32 v80, 8, v80
	;; [unrolled: 1-line block ×3, first 2 shown]
	v_cmp_lt_u32_e32 vcc_lo, 5, v79
	s_or_b32 s5, vcc_lo, s5
	s_waitcnt vmcnt(1) lgkmcnt(0)
	v_mul_f32_e32 v87, v84, v85
	v_mul_f32_e32 v85, v83, v85
	s_waitcnt vmcnt(0)
	v_fma_f32 v83, v83, v86, -v87
	v_fmac_f32_e32 v85, v84, v86
	v_add_f32_e32 v82, v82, v83
	v_add_f32_e32 v2, v2, v85
	s_andn2_b32 exec_lo, exec_lo, s5
	s_cbranch_execnz .LBB36_41
; %bb.42:
	s_or_b32 exec_lo, exec_lo, s5
	v_mov_b32_e32 v79, 0
	ds_read_b64 v[79:80], v79 offset:56
	s_waitcnt lgkmcnt(0)
	v_mul_f32_e32 v81, v2, v80
	v_mul_f32_e32 v80, v82, v80
	v_fma_f32 v81, v82, v79, -v81
	v_fmac_f32_e32 v80, v2, v79
	buffer_store_dword v81, off, s[0:3], 0 offset:56
	buffer_store_dword v80, off, s[0:3], 0 offset:60
.LBB36_43:
	s_or_b32 exec_lo, exec_lo, s4
	s_waitcnt_vscnt null, 0x0
	s_barrier
	buffer_gl0_inv
	s_clause 0x1
	buffer_load_dword v79, off, s[0:3], 0 offset:64
	buffer_load_dword v80, off, s[0:3], 0 offset:68
	s_mov_b32 s4, exec_lo
	s_waitcnt vmcnt(0)
	ds_write_b64 v78, v[79:80]
	s_waitcnt lgkmcnt(0)
	s_barrier
	buffer_gl0_inv
	v_cmpx_gt_u32_e32 8, v0
	s_cbranch_execz .LBB36_47
; %bb.44:
	v_add_nc_u32_e32 v79, -1, v0
	v_add_nc_u32_e32 v80, 0x130, v3
	v_mov_b32_e32 v81, v3
	v_mov_b32_e32 v2, 0
	;; [unrolled: 1-line block ×3, first 2 shown]
	s_mov_b32 s5, 0
	.p2align	6
.LBB36_45:                              ; =>This Inner Loop Header: Depth=1
	s_clause 0x1
	buffer_load_dword v85, v81, s[0:3], 0 offen offset:4
	buffer_load_dword v86, v81, s[0:3], 0 offen
	ds_read_b64 v[83:84], v80
	v_add_nc_u32_e32 v79, 1, v79
	v_add_nc_u32_e32 v80, 8, v80
	;; [unrolled: 1-line block ×3, first 2 shown]
	v_cmp_lt_u32_e32 vcc_lo, 6, v79
	s_or_b32 s5, vcc_lo, s5
	s_waitcnt vmcnt(1) lgkmcnt(0)
	v_mul_f32_e32 v87, v84, v85
	v_mul_f32_e32 v85, v83, v85
	s_waitcnt vmcnt(0)
	v_fma_f32 v83, v83, v86, -v87
	v_fmac_f32_e32 v85, v84, v86
	v_add_f32_e32 v82, v82, v83
	v_add_f32_e32 v2, v2, v85
	s_andn2_b32 exec_lo, exec_lo, s5
	s_cbranch_execnz .LBB36_45
; %bb.46:
	s_or_b32 exec_lo, exec_lo, s5
	v_mov_b32_e32 v79, 0
	ds_read_b64 v[79:80], v79 offset:64
	s_waitcnt lgkmcnt(0)
	v_mul_f32_e32 v81, v2, v80
	v_mul_f32_e32 v80, v82, v80
	v_fma_f32 v81, v82, v79, -v81
	v_fmac_f32_e32 v80, v2, v79
	buffer_store_dword v81, off, s[0:3], 0 offset:64
	buffer_store_dword v80, off, s[0:3], 0 offset:68
.LBB36_47:
	s_or_b32 exec_lo, exec_lo, s4
	s_waitcnt_vscnt null, 0x0
	s_barrier
	buffer_gl0_inv
	s_clause 0x1
	buffer_load_dword v79, off, s[0:3], 0 offset:72
	buffer_load_dword v80, off, s[0:3], 0 offset:76
	s_mov_b32 s4, exec_lo
	s_waitcnt vmcnt(0)
	ds_write_b64 v78, v[79:80]
	s_waitcnt lgkmcnt(0)
	s_barrier
	buffer_gl0_inv
	v_cmpx_gt_u32_e32 9, v0
	s_cbranch_execz .LBB36_51
; %bb.48:
	v_add_nc_u32_e32 v79, -1, v0
	v_add_nc_u32_e32 v80, 0x130, v3
	v_mov_b32_e32 v81, v3
	v_mov_b32_e32 v2, 0
	v_mov_b32_e32 v82, 0
	s_mov_b32 s5, 0
	.p2align	6
.LBB36_49:                              ; =>This Inner Loop Header: Depth=1
	s_clause 0x1
	buffer_load_dword v85, v81, s[0:3], 0 offen offset:4
	buffer_load_dword v86, v81, s[0:3], 0 offen
	ds_read_b64 v[83:84], v80
	v_add_nc_u32_e32 v79, 1, v79
	v_add_nc_u32_e32 v80, 8, v80
	;; [unrolled: 1-line block ×3, first 2 shown]
	v_cmp_lt_u32_e32 vcc_lo, 7, v79
	s_or_b32 s5, vcc_lo, s5
	s_waitcnt vmcnt(1) lgkmcnt(0)
	v_mul_f32_e32 v87, v84, v85
	v_mul_f32_e32 v85, v83, v85
	s_waitcnt vmcnt(0)
	v_fma_f32 v83, v83, v86, -v87
	v_fmac_f32_e32 v85, v84, v86
	v_add_f32_e32 v82, v82, v83
	v_add_f32_e32 v2, v2, v85
	s_andn2_b32 exec_lo, exec_lo, s5
	s_cbranch_execnz .LBB36_49
; %bb.50:
	s_or_b32 exec_lo, exec_lo, s5
	v_mov_b32_e32 v79, 0
	ds_read_b64 v[79:80], v79 offset:72
	s_waitcnt lgkmcnt(0)
	v_mul_f32_e32 v81, v2, v80
	v_mul_f32_e32 v80, v82, v80
	v_fma_f32 v81, v82, v79, -v81
	v_fmac_f32_e32 v80, v2, v79
	buffer_store_dword v81, off, s[0:3], 0 offset:72
	buffer_store_dword v80, off, s[0:3], 0 offset:76
.LBB36_51:
	s_or_b32 exec_lo, exec_lo, s4
	s_waitcnt_vscnt null, 0x0
	s_barrier
	buffer_gl0_inv
	s_clause 0x1
	buffer_load_dword v79, off, s[0:3], 0 offset:80
	buffer_load_dword v80, off, s[0:3], 0 offset:84
	s_mov_b32 s4, exec_lo
	s_waitcnt vmcnt(0)
	ds_write_b64 v78, v[79:80]
	s_waitcnt lgkmcnt(0)
	s_barrier
	buffer_gl0_inv
	v_cmpx_gt_u32_e32 10, v0
	s_cbranch_execz .LBB36_55
; %bb.52:
	v_add_nc_u32_e32 v79, -1, v0
	v_add_nc_u32_e32 v80, 0x130, v3
	v_mov_b32_e32 v81, v3
	v_mov_b32_e32 v2, 0
	;; [unrolled: 1-line block ×3, first 2 shown]
	s_mov_b32 s5, 0
	.p2align	6
.LBB36_53:                              ; =>This Inner Loop Header: Depth=1
	s_clause 0x1
	buffer_load_dword v85, v81, s[0:3], 0 offen offset:4
	buffer_load_dword v86, v81, s[0:3], 0 offen
	ds_read_b64 v[83:84], v80
	v_add_nc_u32_e32 v79, 1, v79
	v_add_nc_u32_e32 v80, 8, v80
	;; [unrolled: 1-line block ×3, first 2 shown]
	v_cmp_lt_u32_e32 vcc_lo, 8, v79
	s_or_b32 s5, vcc_lo, s5
	s_waitcnt vmcnt(1) lgkmcnt(0)
	v_mul_f32_e32 v87, v84, v85
	v_mul_f32_e32 v85, v83, v85
	s_waitcnt vmcnt(0)
	v_fma_f32 v83, v83, v86, -v87
	v_fmac_f32_e32 v85, v84, v86
	v_add_f32_e32 v82, v82, v83
	v_add_f32_e32 v2, v2, v85
	s_andn2_b32 exec_lo, exec_lo, s5
	s_cbranch_execnz .LBB36_53
; %bb.54:
	s_or_b32 exec_lo, exec_lo, s5
	v_mov_b32_e32 v79, 0
	ds_read_b64 v[79:80], v79 offset:80
	s_waitcnt lgkmcnt(0)
	v_mul_f32_e32 v81, v2, v80
	v_mul_f32_e32 v80, v82, v80
	v_fma_f32 v81, v82, v79, -v81
	v_fmac_f32_e32 v80, v2, v79
	buffer_store_dword v81, off, s[0:3], 0 offset:80
	buffer_store_dword v80, off, s[0:3], 0 offset:84
.LBB36_55:
	s_or_b32 exec_lo, exec_lo, s4
	s_waitcnt_vscnt null, 0x0
	s_barrier
	buffer_gl0_inv
	s_clause 0x1
	buffer_load_dword v79, off, s[0:3], 0 offset:88
	buffer_load_dword v80, off, s[0:3], 0 offset:92
	s_mov_b32 s4, exec_lo
	s_waitcnt vmcnt(0)
	ds_write_b64 v78, v[79:80]
	s_waitcnt lgkmcnt(0)
	s_barrier
	buffer_gl0_inv
	v_cmpx_gt_u32_e32 11, v0
	s_cbranch_execz .LBB36_59
; %bb.56:
	v_add_nc_u32_e32 v79, -1, v0
	v_add_nc_u32_e32 v80, 0x130, v3
	v_mov_b32_e32 v81, v3
	v_mov_b32_e32 v2, 0
	;; [unrolled: 1-line block ×3, first 2 shown]
	s_mov_b32 s5, 0
	.p2align	6
.LBB36_57:                              ; =>This Inner Loop Header: Depth=1
	s_clause 0x1
	buffer_load_dword v85, v81, s[0:3], 0 offen offset:4
	buffer_load_dword v86, v81, s[0:3], 0 offen
	ds_read_b64 v[83:84], v80
	v_add_nc_u32_e32 v79, 1, v79
	v_add_nc_u32_e32 v80, 8, v80
	v_add_nc_u32_e32 v81, 8, v81
	v_cmp_lt_u32_e32 vcc_lo, 9, v79
	s_or_b32 s5, vcc_lo, s5
	s_waitcnt vmcnt(1) lgkmcnt(0)
	v_mul_f32_e32 v87, v84, v85
	v_mul_f32_e32 v85, v83, v85
	s_waitcnt vmcnt(0)
	v_fma_f32 v83, v83, v86, -v87
	v_fmac_f32_e32 v85, v84, v86
	v_add_f32_e32 v82, v82, v83
	v_add_f32_e32 v2, v2, v85
	s_andn2_b32 exec_lo, exec_lo, s5
	s_cbranch_execnz .LBB36_57
; %bb.58:
	s_or_b32 exec_lo, exec_lo, s5
	v_mov_b32_e32 v79, 0
	ds_read_b64 v[79:80], v79 offset:88
	s_waitcnt lgkmcnt(0)
	v_mul_f32_e32 v81, v2, v80
	v_mul_f32_e32 v80, v82, v80
	v_fma_f32 v81, v82, v79, -v81
	v_fmac_f32_e32 v80, v2, v79
	buffer_store_dword v81, off, s[0:3], 0 offset:88
	buffer_store_dword v80, off, s[0:3], 0 offset:92
.LBB36_59:
	s_or_b32 exec_lo, exec_lo, s4
	s_waitcnt_vscnt null, 0x0
	s_barrier
	buffer_gl0_inv
	s_clause 0x1
	buffer_load_dword v79, off, s[0:3], 0 offset:96
	buffer_load_dword v80, off, s[0:3], 0 offset:100
	s_mov_b32 s4, exec_lo
	s_waitcnt vmcnt(0)
	ds_write_b64 v78, v[79:80]
	s_waitcnt lgkmcnt(0)
	s_barrier
	buffer_gl0_inv
	v_cmpx_gt_u32_e32 12, v0
	s_cbranch_execz .LBB36_63
; %bb.60:
	v_add_nc_u32_e32 v79, -1, v0
	v_add_nc_u32_e32 v80, 0x130, v3
	v_mov_b32_e32 v81, v3
	v_mov_b32_e32 v2, 0
	;; [unrolled: 1-line block ×3, first 2 shown]
	s_mov_b32 s5, 0
	.p2align	6
.LBB36_61:                              ; =>This Inner Loop Header: Depth=1
	s_clause 0x1
	buffer_load_dword v85, v81, s[0:3], 0 offen offset:4
	buffer_load_dword v86, v81, s[0:3], 0 offen
	ds_read_b64 v[83:84], v80
	v_add_nc_u32_e32 v79, 1, v79
	v_add_nc_u32_e32 v80, 8, v80
	;; [unrolled: 1-line block ×3, first 2 shown]
	v_cmp_lt_u32_e32 vcc_lo, 10, v79
	s_or_b32 s5, vcc_lo, s5
	s_waitcnt vmcnt(1) lgkmcnt(0)
	v_mul_f32_e32 v87, v84, v85
	v_mul_f32_e32 v85, v83, v85
	s_waitcnt vmcnt(0)
	v_fma_f32 v83, v83, v86, -v87
	v_fmac_f32_e32 v85, v84, v86
	v_add_f32_e32 v82, v82, v83
	v_add_f32_e32 v2, v2, v85
	s_andn2_b32 exec_lo, exec_lo, s5
	s_cbranch_execnz .LBB36_61
; %bb.62:
	s_or_b32 exec_lo, exec_lo, s5
	v_mov_b32_e32 v79, 0
	ds_read_b64 v[79:80], v79 offset:96
	s_waitcnt lgkmcnt(0)
	v_mul_f32_e32 v81, v2, v80
	v_mul_f32_e32 v80, v82, v80
	v_fma_f32 v81, v82, v79, -v81
	v_fmac_f32_e32 v80, v2, v79
	buffer_store_dword v81, off, s[0:3], 0 offset:96
	buffer_store_dword v80, off, s[0:3], 0 offset:100
.LBB36_63:
	s_or_b32 exec_lo, exec_lo, s4
	s_waitcnt_vscnt null, 0x0
	s_barrier
	buffer_gl0_inv
	s_clause 0x1
	buffer_load_dword v79, off, s[0:3], 0 offset:104
	buffer_load_dword v80, off, s[0:3], 0 offset:108
	s_mov_b32 s4, exec_lo
	s_waitcnt vmcnt(0)
	ds_write_b64 v78, v[79:80]
	s_waitcnt lgkmcnt(0)
	s_barrier
	buffer_gl0_inv
	v_cmpx_gt_u32_e32 13, v0
	s_cbranch_execz .LBB36_67
; %bb.64:
	v_add_nc_u32_e32 v79, -1, v0
	v_add_nc_u32_e32 v80, 0x130, v3
	v_mov_b32_e32 v81, v3
	v_mov_b32_e32 v2, 0
	;; [unrolled: 1-line block ×3, first 2 shown]
	s_mov_b32 s5, 0
	.p2align	6
.LBB36_65:                              ; =>This Inner Loop Header: Depth=1
	s_clause 0x1
	buffer_load_dword v85, v81, s[0:3], 0 offen offset:4
	buffer_load_dword v86, v81, s[0:3], 0 offen
	ds_read_b64 v[83:84], v80
	v_add_nc_u32_e32 v79, 1, v79
	v_add_nc_u32_e32 v80, 8, v80
	;; [unrolled: 1-line block ×3, first 2 shown]
	v_cmp_lt_u32_e32 vcc_lo, 11, v79
	s_or_b32 s5, vcc_lo, s5
	s_waitcnt vmcnt(1) lgkmcnt(0)
	v_mul_f32_e32 v87, v84, v85
	v_mul_f32_e32 v85, v83, v85
	s_waitcnt vmcnt(0)
	v_fma_f32 v83, v83, v86, -v87
	v_fmac_f32_e32 v85, v84, v86
	v_add_f32_e32 v82, v82, v83
	v_add_f32_e32 v2, v2, v85
	s_andn2_b32 exec_lo, exec_lo, s5
	s_cbranch_execnz .LBB36_65
; %bb.66:
	s_or_b32 exec_lo, exec_lo, s5
	v_mov_b32_e32 v79, 0
	ds_read_b64 v[79:80], v79 offset:104
	s_waitcnt lgkmcnt(0)
	v_mul_f32_e32 v81, v2, v80
	v_mul_f32_e32 v80, v82, v80
	v_fma_f32 v81, v82, v79, -v81
	v_fmac_f32_e32 v80, v2, v79
	buffer_store_dword v81, off, s[0:3], 0 offset:104
	buffer_store_dword v80, off, s[0:3], 0 offset:108
.LBB36_67:
	s_or_b32 exec_lo, exec_lo, s4
	s_waitcnt_vscnt null, 0x0
	s_barrier
	buffer_gl0_inv
	s_clause 0x1
	buffer_load_dword v79, off, s[0:3], 0 offset:112
	buffer_load_dword v80, off, s[0:3], 0 offset:116
	s_mov_b32 s4, exec_lo
	s_waitcnt vmcnt(0)
	ds_write_b64 v78, v[79:80]
	s_waitcnt lgkmcnt(0)
	s_barrier
	buffer_gl0_inv
	v_cmpx_gt_u32_e32 14, v0
	s_cbranch_execz .LBB36_71
; %bb.68:
	v_add_nc_u32_e32 v79, -1, v0
	v_add_nc_u32_e32 v80, 0x130, v3
	v_mov_b32_e32 v81, v3
	v_mov_b32_e32 v2, 0
	;; [unrolled: 1-line block ×3, first 2 shown]
	s_mov_b32 s5, 0
	.p2align	6
.LBB36_69:                              ; =>This Inner Loop Header: Depth=1
	s_clause 0x1
	buffer_load_dword v85, v81, s[0:3], 0 offen offset:4
	buffer_load_dword v86, v81, s[0:3], 0 offen
	ds_read_b64 v[83:84], v80
	v_add_nc_u32_e32 v79, 1, v79
	v_add_nc_u32_e32 v80, 8, v80
	;; [unrolled: 1-line block ×3, first 2 shown]
	v_cmp_lt_u32_e32 vcc_lo, 12, v79
	s_or_b32 s5, vcc_lo, s5
	s_waitcnt vmcnt(1) lgkmcnt(0)
	v_mul_f32_e32 v87, v84, v85
	v_mul_f32_e32 v85, v83, v85
	s_waitcnt vmcnt(0)
	v_fma_f32 v83, v83, v86, -v87
	v_fmac_f32_e32 v85, v84, v86
	v_add_f32_e32 v82, v82, v83
	v_add_f32_e32 v2, v2, v85
	s_andn2_b32 exec_lo, exec_lo, s5
	s_cbranch_execnz .LBB36_69
; %bb.70:
	s_or_b32 exec_lo, exec_lo, s5
	v_mov_b32_e32 v79, 0
	ds_read_b64 v[79:80], v79 offset:112
	s_waitcnt lgkmcnt(0)
	v_mul_f32_e32 v81, v2, v80
	v_mul_f32_e32 v80, v82, v80
	v_fma_f32 v81, v82, v79, -v81
	v_fmac_f32_e32 v80, v2, v79
	buffer_store_dword v81, off, s[0:3], 0 offset:112
	buffer_store_dword v80, off, s[0:3], 0 offset:116
.LBB36_71:
	s_or_b32 exec_lo, exec_lo, s4
	s_waitcnt_vscnt null, 0x0
	s_barrier
	buffer_gl0_inv
	s_clause 0x1
	buffer_load_dword v79, off, s[0:3], 0 offset:120
	buffer_load_dword v80, off, s[0:3], 0 offset:124
	s_mov_b32 s4, exec_lo
	s_waitcnt vmcnt(0)
	ds_write_b64 v78, v[79:80]
	s_waitcnt lgkmcnt(0)
	s_barrier
	buffer_gl0_inv
	v_cmpx_gt_u32_e32 15, v0
	s_cbranch_execz .LBB36_75
; %bb.72:
	v_add_nc_u32_e32 v79, -1, v0
	v_add_nc_u32_e32 v80, 0x130, v3
	v_mov_b32_e32 v81, v3
	v_mov_b32_e32 v2, 0
	;; [unrolled: 1-line block ×3, first 2 shown]
	s_mov_b32 s5, 0
	.p2align	6
.LBB36_73:                              ; =>This Inner Loop Header: Depth=1
	s_clause 0x1
	buffer_load_dword v85, v81, s[0:3], 0 offen offset:4
	buffer_load_dword v86, v81, s[0:3], 0 offen
	ds_read_b64 v[83:84], v80
	v_add_nc_u32_e32 v79, 1, v79
	v_add_nc_u32_e32 v80, 8, v80
	;; [unrolled: 1-line block ×3, first 2 shown]
	v_cmp_lt_u32_e32 vcc_lo, 13, v79
	s_or_b32 s5, vcc_lo, s5
	s_waitcnt vmcnt(1) lgkmcnt(0)
	v_mul_f32_e32 v87, v84, v85
	v_mul_f32_e32 v85, v83, v85
	s_waitcnt vmcnt(0)
	v_fma_f32 v83, v83, v86, -v87
	v_fmac_f32_e32 v85, v84, v86
	v_add_f32_e32 v82, v82, v83
	v_add_f32_e32 v2, v2, v85
	s_andn2_b32 exec_lo, exec_lo, s5
	s_cbranch_execnz .LBB36_73
; %bb.74:
	s_or_b32 exec_lo, exec_lo, s5
	v_mov_b32_e32 v79, 0
	ds_read_b64 v[79:80], v79 offset:120
	s_waitcnt lgkmcnt(0)
	v_mul_f32_e32 v81, v2, v80
	v_mul_f32_e32 v80, v82, v80
	v_fma_f32 v81, v82, v79, -v81
	v_fmac_f32_e32 v80, v2, v79
	buffer_store_dword v81, off, s[0:3], 0 offset:120
	buffer_store_dword v80, off, s[0:3], 0 offset:124
.LBB36_75:
	s_or_b32 exec_lo, exec_lo, s4
	s_waitcnt_vscnt null, 0x0
	s_barrier
	buffer_gl0_inv
	s_clause 0x1
	buffer_load_dword v79, off, s[0:3], 0 offset:128
	buffer_load_dword v80, off, s[0:3], 0 offset:132
	s_mov_b32 s4, exec_lo
	s_waitcnt vmcnt(0)
	ds_write_b64 v78, v[79:80]
	s_waitcnt lgkmcnt(0)
	s_barrier
	buffer_gl0_inv
	v_cmpx_gt_u32_e32 16, v0
	s_cbranch_execz .LBB36_79
; %bb.76:
	v_add_nc_u32_e32 v79, -1, v0
	v_add_nc_u32_e32 v80, 0x130, v3
	v_mov_b32_e32 v81, v3
	v_mov_b32_e32 v2, 0
	;; [unrolled: 1-line block ×3, first 2 shown]
	s_mov_b32 s5, 0
	.p2align	6
.LBB36_77:                              ; =>This Inner Loop Header: Depth=1
	s_clause 0x1
	buffer_load_dword v85, v81, s[0:3], 0 offen offset:4
	buffer_load_dword v86, v81, s[0:3], 0 offen
	ds_read_b64 v[83:84], v80
	v_add_nc_u32_e32 v79, 1, v79
	v_add_nc_u32_e32 v80, 8, v80
	;; [unrolled: 1-line block ×3, first 2 shown]
	v_cmp_lt_u32_e32 vcc_lo, 14, v79
	s_or_b32 s5, vcc_lo, s5
	s_waitcnt vmcnt(1) lgkmcnt(0)
	v_mul_f32_e32 v87, v84, v85
	v_mul_f32_e32 v85, v83, v85
	s_waitcnt vmcnt(0)
	v_fma_f32 v83, v83, v86, -v87
	v_fmac_f32_e32 v85, v84, v86
	v_add_f32_e32 v82, v82, v83
	v_add_f32_e32 v2, v2, v85
	s_andn2_b32 exec_lo, exec_lo, s5
	s_cbranch_execnz .LBB36_77
; %bb.78:
	s_or_b32 exec_lo, exec_lo, s5
	v_mov_b32_e32 v79, 0
	ds_read_b64 v[79:80], v79 offset:128
	s_waitcnt lgkmcnt(0)
	v_mul_f32_e32 v81, v2, v80
	v_mul_f32_e32 v80, v82, v80
	v_fma_f32 v81, v82, v79, -v81
	v_fmac_f32_e32 v80, v2, v79
	buffer_store_dword v81, off, s[0:3], 0 offset:128
	buffer_store_dword v80, off, s[0:3], 0 offset:132
.LBB36_79:
	s_or_b32 exec_lo, exec_lo, s4
	s_waitcnt_vscnt null, 0x0
	s_barrier
	buffer_gl0_inv
	s_clause 0x1
	buffer_load_dword v79, off, s[0:3], 0 offset:136
	buffer_load_dword v80, off, s[0:3], 0 offset:140
	s_mov_b32 s4, exec_lo
	s_waitcnt vmcnt(0)
	ds_write_b64 v78, v[79:80]
	s_waitcnt lgkmcnt(0)
	s_barrier
	buffer_gl0_inv
	v_cmpx_gt_u32_e32 17, v0
	s_cbranch_execz .LBB36_83
; %bb.80:
	v_add_nc_u32_e32 v79, -1, v0
	v_add_nc_u32_e32 v80, 0x130, v3
	v_mov_b32_e32 v81, v3
	v_mov_b32_e32 v2, 0
	;; [unrolled: 1-line block ×3, first 2 shown]
	s_mov_b32 s5, 0
	.p2align	6
.LBB36_81:                              ; =>This Inner Loop Header: Depth=1
	s_clause 0x1
	buffer_load_dword v85, v81, s[0:3], 0 offen offset:4
	buffer_load_dword v86, v81, s[0:3], 0 offen
	ds_read_b64 v[83:84], v80
	v_add_nc_u32_e32 v79, 1, v79
	v_add_nc_u32_e32 v80, 8, v80
	;; [unrolled: 1-line block ×3, first 2 shown]
	v_cmp_lt_u32_e32 vcc_lo, 15, v79
	s_or_b32 s5, vcc_lo, s5
	s_waitcnt vmcnt(1) lgkmcnt(0)
	v_mul_f32_e32 v87, v84, v85
	v_mul_f32_e32 v85, v83, v85
	s_waitcnt vmcnt(0)
	v_fma_f32 v83, v83, v86, -v87
	v_fmac_f32_e32 v85, v84, v86
	v_add_f32_e32 v82, v82, v83
	v_add_f32_e32 v2, v2, v85
	s_andn2_b32 exec_lo, exec_lo, s5
	s_cbranch_execnz .LBB36_81
; %bb.82:
	s_or_b32 exec_lo, exec_lo, s5
	v_mov_b32_e32 v79, 0
	ds_read_b64 v[79:80], v79 offset:136
	s_waitcnt lgkmcnt(0)
	v_mul_f32_e32 v81, v2, v80
	v_mul_f32_e32 v80, v82, v80
	v_fma_f32 v81, v82, v79, -v81
	v_fmac_f32_e32 v80, v2, v79
	buffer_store_dword v81, off, s[0:3], 0 offset:136
	buffer_store_dword v80, off, s[0:3], 0 offset:140
.LBB36_83:
	s_or_b32 exec_lo, exec_lo, s4
	s_waitcnt_vscnt null, 0x0
	s_barrier
	buffer_gl0_inv
	s_clause 0x1
	buffer_load_dword v79, off, s[0:3], 0 offset:144
	buffer_load_dword v80, off, s[0:3], 0 offset:148
	s_mov_b32 s4, exec_lo
	s_waitcnt vmcnt(0)
	ds_write_b64 v78, v[79:80]
	s_waitcnt lgkmcnt(0)
	s_barrier
	buffer_gl0_inv
	v_cmpx_gt_u32_e32 18, v0
	s_cbranch_execz .LBB36_87
; %bb.84:
	v_add_nc_u32_e32 v79, -1, v0
	v_add_nc_u32_e32 v80, 0x130, v3
	v_mov_b32_e32 v81, v3
	v_mov_b32_e32 v2, 0
	;; [unrolled: 1-line block ×3, first 2 shown]
	s_mov_b32 s5, 0
	.p2align	6
.LBB36_85:                              ; =>This Inner Loop Header: Depth=1
	s_clause 0x1
	buffer_load_dword v85, v81, s[0:3], 0 offen offset:4
	buffer_load_dword v86, v81, s[0:3], 0 offen
	ds_read_b64 v[83:84], v80
	v_add_nc_u32_e32 v79, 1, v79
	v_add_nc_u32_e32 v80, 8, v80
	;; [unrolled: 1-line block ×3, first 2 shown]
	v_cmp_lt_u32_e32 vcc_lo, 16, v79
	s_or_b32 s5, vcc_lo, s5
	s_waitcnt vmcnt(1) lgkmcnt(0)
	v_mul_f32_e32 v87, v84, v85
	v_mul_f32_e32 v85, v83, v85
	s_waitcnt vmcnt(0)
	v_fma_f32 v83, v83, v86, -v87
	v_fmac_f32_e32 v85, v84, v86
	v_add_f32_e32 v82, v82, v83
	v_add_f32_e32 v2, v2, v85
	s_andn2_b32 exec_lo, exec_lo, s5
	s_cbranch_execnz .LBB36_85
; %bb.86:
	s_or_b32 exec_lo, exec_lo, s5
	v_mov_b32_e32 v79, 0
	ds_read_b64 v[79:80], v79 offset:144
	s_waitcnt lgkmcnt(0)
	v_mul_f32_e32 v81, v2, v80
	v_mul_f32_e32 v80, v82, v80
	v_fma_f32 v81, v82, v79, -v81
	v_fmac_f32_e32 v80, v2, v79
	buffer_store_dword v81, off, s[0:3], 0 offset:144
	buffer_store_dword v80, off, s[0:3], 0 offset:148
.LBB36_87:
	s_or_b32 exec_lo, exec_lo, s4
	s_waitcnt_vscnt null, 0x0
	s_barrier
	buffer_gl0_inv
	s_clause 0x1
	buffer_load_dword v79, off, s[0:3], 0 offset:152
	buffer_load_dword v80, off, s[0:3], 0 offset:156
	s_mov_b32 s4, exec_lo
	s_waitcnt vmcnt(0)
	ds_write_b64 v78, v[79:80]
	s_waitcnt lgkmcnt(0)
	s_barrier
	buffer_gl0_inv
	v_cmpx_gt_u32_e32 19, v0
	s_cbranch_execz .LBB36_91
; %bb.88:
	v_add_nc_u32_e32 v79, -1, v0
	v_add_nc_u32_e32 v80, 0x130, v3
	v_mov_b32_e32 v81, v3
	v_mov_b32_e32 v2, 0
	;; [unrolled: 1-line block ×3, first 2 shown]
	s_mov_b32 s5, 0
	.p2align	6
.LBB36_89:                              ; =>This Inner Loop Header: Depth=1
	s_clause 0x1
	buffer_load_dword v85, v81, s[0:3], 0 offen offset:4
	buffer_load_dword v86, v81, s[0:3], 0 offen
	ds_read_b64 v[83:84], v80
	v_add_nc_u32_e32 v79, 1, v79
	v_add_nc_u32_e32 v80, 8, v80
	;; [unrolled: 1-line block ×3, first 2 shown]
	v_cmp_lt_u32_e32 vcc_lo, 17, v79
	s_or_b32 s5, vcc_lo, s5
	s_waitcnt vmcnt(1) lgkmcnt(0)
	v_mul_f32_e32 v87, v84, v85
	v_mul_f32_e32 v85, v83, v85
	s_waitcnt vmcnt(0)
	v_fma_f32 v83, v83, v86, -v87
	v_fmac_f32_e32 v85, v84, v86
	v_add_f32_e32 v82, v82, v83
	v_add_f32_e32 v2, v2, v85
	s_andn2_b32 exec_lo, exec_lo, s5
	s_cbranch_execnz .LBB36_89
; %bb.90:
	s_or_b32 exec_lo, exec_lo, s5
	v_mov_b32_e32 v79, 0
	ds_read_b64 v[79:80], v79 offset:152
	s_waitcnt lgkmcnt(0)
	v_mul_f32_e32 v81, v2, v80
	v_mul_f32_e32 v80, v82, v80
	v_fma_f32 v81, v82, v79, -v81
	v_fmac_f32_e32 v80, v2, v79
	buffer_store_dword v81, off, s[0:3], 0 offset:152
	buffer_store_dword v80, off, s[0:3], 0 offset:156
.LBB36_91:
	s_or_b32 exec_lo, exec_lo, s4
	s_waitcnt_vscnt null, 0x0
	s_barrier
	buffer_gl0_inv
	s_clause 0x1
	buffer_load_dword v79, off, s[0:3], 0 offset:160
	buffer_load_dword v80, off, s[0:3], 0 offset:164
	s_mov_b32 s4, exec_lo
	s_waitcnt vmcnt(0)
	ds_write_b64 v78, v[79:80]
	s_waitcnt lgkmcnt(0)
	s_barrier
	buffer_gl0_inv
	v_cmpx_gt_u32_e32 20, v0
	s_cbranch_execz .LBB36_95
; %bb.92:
	v_add_nc_u32_e32 v79, -1, v0
	v_add_nc_u32_e32 v80, 0x130, v3
	v_mov_b32_e32 v81, v3
	v_mov_b32_e32 v2, 0
	;; [unrolled: 1-line block ×3, first 2 shown]
	s_mov_b32 s5, 0
	.p2align	6
.LBB36_93:                              ; =>This Inner Loop Header: Depth=1
	s_clause 0x1
	buffer_load_dword v85, v81, s[0:3], 0 offen offset:4
	buffer_load_dword v86, v81, s[0:3], 0 offen
	ds_read_b64 v[83:84], v80
	v_add_nc_u32_e32 v79, 1, v79
	v_add_nc_u32_e32 v80, 8, v80
	;; [unrolled: 1-line block ×3, first 2 shown]
	v_cmp_lt_u32_e32 vcc_lo, 18, v79
	s_or_b32 s5, vcc_lo, s5
	s_waitcnt vmcnt(1) lgkmcnt(0)
	v_mul_f32_e32 v87, v84, v85
	v_mul_f32_e32 v85, v83, v85
	s_waitcnt vmcnt(0)
	v_fma_f32 v83, v83, v86, -v87
	v_fmac_f32_e32 v85, v84, v86
	v_add_f32_e32 v82, v82, v83
	v_add_f32_e32 v2, v2, v85
	s_andn2_b32 exec_lo, exec_lo, s5
	s_cbranch_execnz .LBB36_93
; %bb.94:
	s_or_b32 exec_lo, exec_lo, s5
	v_mov_b32_e32 v79, 0
	ds_read_b64 v[79:80], v79 offset:160
	s_waitcnt lgkmcnt(0)
	v_mul_f32_e32 v81, v2, v80
	v_mul_f32_e32 v80, v82, v80
	v_fma_f32 v81, v82, v79, -v81
	v_fmac_f32_e32 v80, v2, v79
	buffer_store_dword v81, off, s[0:3], 0 offset:160
	buffer_store_dword v80, off, s[0:3], 0 offset:164
.LBB36_95:
	s_or_b32 exec_lo, exec_lo, s4
	s_waitcnt_vscnt null, 0x0
	s_barrier
	buffer_gl0_inv
	s_clause 0x1
	buffer_load_dword v79, off, s[0:3], 0 offset:168
	buffer_load_dword v80, off, s[0:3], 0 offset:172
	s_mov_b32 s4, exec_lo
	s_waitcnt vmcnt(0)
	ds_write_b64 v78, v[79:80]
	s_waitcnt lgkmcnt(0)
	s_barrier
	buffer_gl0_inv
	v_cmpx_gt_u32_e32 21, v0
	s_cbranch_execz .LBB36_99
; %bb.96:
	v_add_nc_u32_e32 v79, -1, v0
	v_add_nc_u32_e32 v80, 0x130, v3
	v_mov_b32_e32 v81, v3
	v_mov_b32_e32 v2, 0
	;; [unrolled: 1-line block ×3, first 2 shown]
	s_mov_b32 s5, 0
	.p2align	6
.LBB36_97:                              ; =>This Inner Loop Header: Depth=1
	s_clause 0x1
	buffer_load_dword v85, v81, s[0:3], 0 offen offset:4
	buffer_load_dword v86, v81, s[0:3], 0 offen
	ds_read_b64 v[83:84], v80
	v_add_nc_u32_e32 v79, 1, v79
	v_add_nc_u32_e32 v80, 8, v80
	;; [unrolled: 1-line block ×3, first 2 shown]
	v_cmp_lt_u32_e32 vcc_lo, 19, v79
	s_or_b32 s5, vcc_lo, s5
	s_waitcnt vmcnt(1) lgkmcnt(0)
	v_mul_f32_e32 v87, v84, v85
	v_mul_f32_e32 v85, v83, v85
	s_waitcnt vmcnt(0)
	v_fma_f32 v83, v83, v86, -v87
	v_fmac_f32_e32 v85, v84, v86
	v_add_f32_e32 v82, v82, v83
	v_add_f32_e32 v2, v2, v85
	s_andn2_b32 exec_lo, exec_lo, s5
	s_cbranch_execnz .LBB36_97
; %bb.98:
	s_or_b32 exec_lo, exec_lo, s5
	v_mov_b32_e32 v79, 0
	ds_read_b64 v[79:80], v79 offset:168
	s_waitcnt lgkmcnt(0)
	v_mul_f32_e32 v81, v2, v80
	v_mul_f32_e32 v80, v82, v80
	v_fma_f32 v81, v82, v79, -v81
	v_fmac_f32_e32 v80, v2, v79
	buffer_store_dword v81, off, s[0:3], 0 offset:168
	buffer_store_dword v80, off, s[0:3], 0 offset:172
.LBB36_99:
	s_or_b32 exec_lo, exec_lo, s4
	s_waitcnt_vscnt null, 0x0
	s_barrier
	buffer_gl0_inv
	s_clause 0x1
	buffer_load_dword v79, off, s[0:3], 0 offset:176
	buffer_load_dword v80, off, s[0:3], 0 offset:180
	s_mov_b32 s4, exec_lo
	s_waitcnt vmcnt(0)
	ds_write_b64 v78, v[79:80]
	s_waitcnt lgkmcnt(0)
	s_barrier
	buffer_gl0_inv
	v_cmpx_gt_u32_e32 22, v0
	s_cbranch_execz .LBB36_103
; %bb.100:
	v_add_nc_u32_e32 v79, -1, v0
	v_add_nc_u32_e32 v80, 0x130, v3
	v_mov_b32_e32 v81, v3
	v_mov_b32_e32 v2, 0
	;; [unrolled: 1-line block ×3, first 2 shown]
	s_mov_b32 s5, 0
	.p2align	6
.LBB36_101:                             ; =>This Inner Loop Header: Depth=1
	s_clause 0x1
	buffer_load_dword v85, v81, s[0:3], 0 offen offset:4
	buffer_load_dword v86, v81, s[0:3], 0 offen
	ds_read_b64 v[83:84], v80
	v_add_nc_u32_e32 v79, 1, v79
	v_add_nc_u32_e32 v80, 8, v80
	;; [unrolled: 1-line block ×3, first 2 shown]
	v_cmp_lt_u32_e32 vcc_lo, 20, v79
	s_or_b32 s5, vcc_lo, s5
	s_waitcnt vmcnt(1) lgkmcnt(0)
	v_mul_f32_e32 v87, v84, v85
	v_mul_f32_e32 v85, v83, v85
	s_waitcnt vmcnt(0)
	v_fma_f32 v83, v83, v86, -v87
	v_fmac_f32_e32 v85, v84, v86
	v_add_f32_e32 v82, v82, v83
	v_add_f32_e32 v2, v2, v85
	s_andn2_b32 exec_lo, exec_lo, s5
	s_cbranch_execnz .LBB36_101
; %bb.102:
	s_or_b32 exec_lo, exec_lo, s5
	v_mov_b32_e32 v79, 0
	ds_read_b64 v[79:80], v79 offset:176
	s_waitcnt lgkmcnt(0)
	v_mul_f32_e32 v81, v2, v80
	v_mul_f32_e32 v80, v82, v80
	v_fma_f32 v81, v82, v79, -v81
	v_fmac_f32_e32 v80, v2, v79
	buffer_store_dword v81, off, s[0:3], 0 offset:176
	buffer_store_dword v80, off, s[0:3], 0 offset:180
.LBB36_103:
	s_or_b32 exec_lo, exec_lo, s4
	s_waitcnt_vscnt null, 0x0
	s_barrier
	buffer_gl0_inv
	s_clause 0x1
	buffer_load_dword v79, off, s[0:3], 0 offset:184
	buffer_load_dword v80, off, s[0:3], 0 offset:188
	s_mov_b32 s4, exec_lo
	s_waitcnt vmcnt(0)
	ds_write_b64 v78, v[79:80]
	s_waitcnt lgkmcnt(0)
	s_barrier
	buffer_gl0_inv
	v_cmpx_gt_u32_e32 23, v0
	s_cbranch_execz .LBB36_107
; %bb.104:
	v_add_nc_u32_e32 v79, -1, v0
	v_add_nc_u32_e32 v80, 0x130, v3
	v_mov_b32_e32 v81, v3
	v_mov_b32_e32 v2, 0
	;; [unrolled: 1-line block ×3, first 2 shown]
	s_mov_b32 s5, 0
	.p2align	6
.LBB36_105:                             ; =>This Inner Loop Header: Depth=1
	s_clause 0x1
	buffer_load_dword v85, v81, s[0:3], 0 offen offset:4
	buffer_load_dword v86, v81, s[0:3], 0 offen
	ds_read_b64 v[83:84], v80
	v_add_nc_u32_e32 v79, 1, v79
	v_add_nc_u32_e32 v80, 8, v80
	;; [unrolled: 1-line block ×3, first 2 shown]
	v_cmp_lt_u32_e32 vcc_lo, 21, v79
	s_or_b32 s5, vcc_lo, s5
	s_waitcnt vmcnt(1) lgkmcnt(0)
	v_mul_f32_e32 v87, v84, v85
	v_mul_f32_e32 v85, v83, v85
	s_waitcnt vmcnt(0)
	v_fma_f32 v83, v83, v86, -v87
	v_fmac_f32_e32 v85, v84, v86
	v_add_f32_e32 v82, v82, v83
	v_add_f32_e32 v2, v2, v85
	s_andn2_b32 exec_lo, exec_lo, s5
	s_cbranch_execnz .LBB36_105
; %bb.106:
	s_or_b32 exec_lo, exec_lo, s5
	v_mov_b32_e32 v79, 0
	ds_read_b64 v[79:80], v79 offset:184
	s_waitcnt lgkmcnt(0)
	v_mul_f32_e32 v81, v2, v80
	v_mul_f32_e32 v80, v82, v80
	v_fma_f32 v81, v82, v79, -v81
	v_fmac_f32_e32 v80, v2, v79
	buffer_store_dword v81, off, s[0:3], 0 offset:184
	buffer_store_dword v80, off, s[0:3], 0 offset:188
.LBB36_107:
	s_or_b32 exec_lo, exec_lo, s4
	s_waitcnt_vscnt null, 0x0
	s_barrier
	buffer_gl0_inv
	s_clause 0x1
	buffer_load_dword v79, off, s[0:3], 0 offset:192
	buffer_load_dword v80, off, s[0:3], 0 offset:196
	s_mov_b32 s4, exec_lo
	s_waitcnt vmcnt(0)
	ds_write_b64 v78, v[79:80]
	s_waitcnt lgkmcnt(0)
	s_barrier
	buffer_gl0_inv
	v_cmpx_gt_u32_e32 24, v0
	s_cbranch_execz .LBB36_111
; %bb.108:
	v_add_nc_u32_e32 v79, -1, v0
	v_add_nc_u32_e32 v80, 0x130, v3
	v_mov_b32_e32 v81, v3
	v_mov_b32_e32 v2, 0
	;; [unrolled: 1-line block ×3, first 2 shown]
	s_mov_b32 s5, 0
	.p2align	6
.LBB36_109:                             ; =>This Inner Loop Header: Depth=1
	s_clause 0x1
	buffer_load_dword v85, v81, s[0:3], 0 offen offset:4
	buffer_load_dword v86, v81, s[0:3], 0 offen
	ds_read_b64 v[83:84], v80
	v_add_nc_u32_e32 v79, 1, v79
	v_add_nc_u32_e32 v80, 8, v80
	;; [unrolled: 1-line block ×3, first 2 shown]
	v_cmp_lt_u32_e32 vcc_lo, 22, v79
	s_or_b32 s5, vcc_lo, s5
	s_waitcnt vmcnt(1) lgkmcnt(0)
	v_mul_f32_e32 v87, v84, v85
	v_mul_f32_e32 v85, v83, v85
	s_waitcnt vmcnt(0)
	v_fma_f32 v83, v83, v86, -v87
	v_fmac_f32_e32 v85, v84, v86
	v_add_f32_e32 v82, v82, v83
	v_add_f32_e32 v2, v2, v85
	s_andn2_b32 exec_lo, exec_lo, s5
	s_cbranch_execnz .LBB36_109
; %bb.110:
	s_or_b32 exec_lo, exec_lo, s5
	v_mov_b32_e32 v79, 0
	ds_read_b64 v[79:80], v79 offset:192
	s_waitcnt lgkmcnt(0)
	v_mul_f32_e32 v81, v2, v80
	v_mul_f32_e32 v80, v82, v80
	v_fma_f32 v81, v82, v79, -v81
	v_fmac_f32_e32 v80, v2, v79
	buffer_store_dword v81, off, s[0:3], 0 offset:192
	buffer_store_dword v80, off, s[0:3], 0 offset:196
.LBB36_111:
	s_or_b32 exec_lo, exec_lo, s4
	s_waitcnt_vscnt null, 0x0
	s_barrier
	buffer_gl0_inv
	s_clause 0x1
	buffer_load_dword v79, off, s[0:3], 0 offset:200
	buffer_load_dword v80, off, s[0:3], 0 offset:204
	s_mov_b32 s4, exec_lo
	s_waitcnt vmcnt(0)
	ds_write_b64 v78, v[79:80]
	s_waitcnt lgkmcnt(0)
	s_barrier
	buffer_gl0_inv
	v_cmpx_gt_u32_e32 25, v0
	s_cbranch_execz .LBB36_115
; %bb.112:
	v_add_nc_u32_e32 v79, -1, v0
	v_add_nc_u32_e32 v80, 0x130, v3
	v_mov_b32_e32 v81, v3
	v_mov_b32_e32 v2, 0
	v_mov_b32_e32 v82, 0
	s_mov_b32 s5, 0
	.p2align	6
.LBB36_113:                             ; =>This Inner Loop Header: Depth=1
	s_clause 0x1
	buffer_load_dword v85, v81, s[0:3], 0 offen offset:4
	buffer_load_dword v86, v81, s[0:3], 0 offen
	ds_read_b64 v[83:84], v80
	v_add_nc_u32_e32 v79, 1, v79
	v_add_nc_u32_e32 v80, 8, v80
	;; [unrolled: 1-line block ×3, first 2 shown]
	v_cmp_lt_u32_e32 vcc_lo, 23, v79
	s_or_b32 s5, vcc_lo, s5
	s_waitcnt vmcnt(1) lgkmcnt(0)
	v_mul_f32_e32 v87, v84, v85
	v_mul_f32_e32 v85, v83, v85
	s_waitcnt vmcnt(0)
	v_fma_f32 v83, v83, v86, -v87
	v_fmac_f32_e32 v85, v84, v86
	v_add_f32_e32 v82, v82, v83
	v_add_f32_e32 v2, v2, v85
	s_andn2_b32 exec_lo, exec_lo, s5
	s_cbranch_execnz .LBB36_113
; %bb.114:
	s_or_b32 exec_lo, exec_lo, s5
	v_mov_b32_e32 v79, 0
	ds_read_b64 v[79:80], v79 offset:200
	s_waitcnt lgkmcnt(0)
	v_mul_f32_e32 v81, v2, v80
	v_mul_f32_e32 v80, v82, v80
	v_fma_f32 v81, v82, v79, -v81
	v_fmac_f32_e32 v80, v2, v79
	buffer_store_dword v81, off, s[0:3], 0 offset:200
	buffer_store_dword v80, off, s[0:3], 0 offset:204
.LBB36_115:
	s_or_b32 exec_lo, exec_lo, s4
	s_waitcnt_vscnt null, 0x0
	s_barrier
	buffer_gl0_inv
	s_clause 0x1
	buffer_load_dword v79, off, s[0:3], 0 offset:208
	buffer_load_dword v80, off, s[0:3], 0 offset:212
	s_mov_b32 s4, exec_lo
	s_waitcnt vmcnt(0)
	ds_write_b64 v78, v[79:80]
	s_waitcnt lgkmcnt(0)
	s_barrier
	buffer_gl0_inv
	v_cmpx_gt_u32_e32 26, v0
	s_cbranch_execz .LBB36_119
; %bb.116:
	v_add_nc_u32_e32 v79, -1, v0
	v_add_nc_u32_e32 v80, 0x130, v3
	v_mov_b32_e32 v81, v3
	v_mov_b32_e32 v2, 0
	;; [unrolled: 1-line block ×3, first 2 shown]
	s_mov_b32 s5, 0
	.p2align	6
.LBB36_117:                             ; =>This Inner Loop Header: Depth=1
	s_clause 0x1
	buffer_load_dword v85, v81, s[0:3], 0 offen offset:4
	buffer_load_dword v86, v81, s[0:3], 0 offen
	ds_read_b64 v[83:84], v80
	v_add_nc_u32_e32 v79, 1, v79
	v_add_nc_u32_e32 v80, 8, v80
	v_add_nc_u32_e32 v81, 8, v81
	v_cmp_lt_u32_e32 vcc_lo, 24, v79
	s_or_b32 s5, vcc_lo, s5
	s_waitcnt vmcnt(1) lgkmcnt(0)
	v_mul_f32_e32 v87, v84, v85
	v_mul_f32_e32 v85, v83, v85
	s_waitcnt vmcnt(0)
	v_fma_f32 v83, v83, v86, -v87
	v_fmac_f32_e32 v85, v84, v86
	v_add_f32_e32 v82, v82, v83
	v_add_f32_e32 v2, v2, v85
	s_andn2_b32 exec_lo, exec_lo, s5
	s_cbranch_execnz .LBB36_117
; %bb.118:
	s_or_b32 exec_lo, exec_lo, s5
	v_mov_b32_e32 v79, 0
	ds_read_b64 v[79:80], v79 offset:208
	s_waitcnt lgkmcnt(0)
	v_mul_f32_e32 v81, v2, v80
	v_mul_f32_e32 v80, v82, v80
	v_fma_f32 v81, v82, v79, -v81
	v_fmac_f32_e32 v80, v2, v79
	buffer_store_dword v81, off, s[0:3], 0 offset:208
	buffer_store_dword v80, off, s[0:3], 0 offset:212
.LBB36_119:
	s_or_b32 exec_lo, exec_lo, s4
	s_waitcnt_vscnt null, 0x0
	s_barrier
	buffer_gl0_inv
	s_clause 0x1
	buffer_load_dword v79, off, s[0:3], 0 offset:216
	buffer_load_dword v80, off, s[0:3], 0 offset:220
	s_mov_b32 s4, exec_lo
	s_waitcnt vmcnt(0)
	ds_write_b64 v78, v[79:80]
	s_waitcnt lgkmcnt(0)
	s_barrier
	buffer_gl0_inv
	v_cmpx_gt_u32_e32 27, v0
	s_cbranch_execz .LBB36_123
; %bb.120:
	v_add_nc_u32_e32 v79, -1, v0
	v_add_nc_u32_e32 v80, 0x130, v3
	v_mov_b32_e32 v81, v3
	v_mov_b32_e32 v2, 0
	;; [unrolled: 1-line block ×3, first 2 shown]
	s_mov_b32 s5, 0
	.p2align	6
.LBB36_121:                             ; =>This Inner Loop Header: Depth=1
	s_clause 0x1
	buffer_load_dword v85, v81, s[0:3], 0 offen offset:4
	buffer_load_dword v86, v81, s[0:3], 0 offen
	ds_read_b64 v[83:84], v80
	v_add_nc_u32_e32 v79, 1, v79
	v_add_nc_u32_e32 v80, 8, v80
	;; [unrolled: 1-line block ×3, first 2 shown]
	v_cmp_lt_u32_e32 vcc_lo, 25, v79
	s_or_b32 s5, vcc_lo, s5
	s_waitcnt vmcnt(1) lgkmcnt(0)
	v_mul_f32_e32 v87, v84, v85
	v_mul_f32_e32 v85, v83, v85
	s_waitcnt vmcnt(0)
	v_fma_f32 v83, v83, v86, -v87
	v_fmac_f32_e32 v85, v84, v86
	v_add_f32_e32 v82, v82, v83
	v_add_f32_e32 v2, v2, v85
	s_andn2_b32 exec_lo, exec_lo, s5
	s_cbranch_execnz .LBB36_121
; %bb.122:
	s_or_b32 exec_lo, exec_lo, s5
	v_mov_b32_e32 v79, 0
	ds_read_b64 v[79:80], v79 offset:216
	s_waitcnt lgkmcnt(0)
	v_mul_f32_e32 v81, v2, v80
	v_mul_f32_e32 v80, v82, v80
	v_fma_f32 v81, v82, v79, -v81
	v_fmac_f32_e32 v80, v2, v79
	buffer_store_dword v81, off, s[0:3], 0 offset:216
	buffer_store_dword v80, off, s[0:3], 0 offset:220
.LBB36_123:
	s_or_b32 exec_lo, exec_lo, s4
	s_waitcnt_vscnt null, 0x0
	s_barrier
	buffer_gl0_inv
	s_clause 0x1
	buffer_load_dword v79, off, s[0:3], 0 offset:224
	buffer_load_dword v80, off, s[0:3], 0 offset:228
	s_mov_b32 s4, exec_lo
	s_waitcnt vmcnt(0)
	ds_write_b64 v78, v[79:80]
	s_waitcnt lgkmcnt(0)
	s_barrier
	buffer_gl0_inv
	v_cmpx_gt_u32_e32 28, v0
	s_cbranch_execz .LBB36_127
; %bb.124:
	v_add_nc_u32_e32 v79, -1, v0
	v_add_nc_u32_e32 v80, 0x130, v3
	v_mov_b32_e32 v81, v3
	v_mov_b32_e32 v2, 0
	;; [unrolled: 1-line block ×3, first 2 shown]
	s_mov_b32 s5, 0
	.p2align	6
.LBB36_125:                             ; =>This Inner Loop Header: Depth=1
	s_clause 0x1
	buffer_load_dword v85, v81, s[0:3], 0 offen offset:4
	buffer_load_dword v86, v81, s[0:3], 0 offen
	ds_read_b64 v[83:84], v80
	v_add_nc_u32_e32 v79, 1, v79
	v_add_nc_u32_e32 v80, 8, v80
	v_add_nc_u32_e32 v81, 8, v81
	v_cmp_lt_u32_e32 vcc_lo, 26, v79
	s_or_b32 s5, vcc_lo, s5
	s_waitcnt vmcnt(1) lgkmcnt(0)
	v_mul_f32_e32 v87, v84, v85
	v_mul_f32_e32 v85, v83, v85
	s_waitcnt vmcnt(0)
	v_fma_f32 v83, v83, v86, -v87
	v_fmac_f32_e32 v85, v84, v86
	v_add_f32_e32 v82, v82, v83
	v_add_f32_e32 v2, v2, v85
	s_andn2_b32 exec_lo, exec_lo, s5
	s_cbranch_execnz .LBB36_125
; %bb.126:
	s_or_b32 exec_lo, exec_lo, s5
	v_mov_b32_e32 v79, 0
	ds_read_b64 v[79:80], v79 offset:224
	s_waitcnt lgkmcnt(0)
	v_mul_f32_e32 v81, v2, v80
	v_mul_f32_e32 v80, v82, v80
	v_fma_f32 v81, v82, v79, -v81
	v_fmac_f32_e32 v80, v2, v79
	buffer_store_dword v81, off, s[0:3], 0 offset:224
	buffer_store_dword v80, off, s[0:3], 0 offset:228
.LBB36_127:
	s_or_b32 exec_lo, exec_lo, s4
	s_waitcnt_vscnt null, 0x0
	s_barrier
	buffer_gl0_inv
	s_clause 0x1
	buffer_load_dword v79, off, s[0:3], 0 offset:232
	buffer_load_dword v80, off, s[0:3], 0 offset:236
	s_mov_b32 s4, exec_lo
	s_waitcnt vmcnt(0)
	ds_write_b64 v78, v[79:80]
	s_waitcnt lgkmcnt(0)
	s_barrier
	buffer_gl0_inv
	v_cmpx_gt_u32_e32 29, v0
	s_cbranch_execz .LBB36_131
; %bb.128:
	v_add_nc_u32_e32 v79, -1, v0
	v_add_nc_u32_e32 v80, 0x130, v3
	v_mov_b32_e32 v81, v3
	v_mov_b32_e32 v2, 0
	;; [unrolled: 1-line block ×3, first 2 shown]
	s_mov_b32 s5, 0
	.p2align	6
.LBB36_129:                             ; =>This Inner Loop Header: Depth=1
	s_clause 0x1
	buffer_load_dword v85, v81, s[0:3], 0 offen offset:4
	buffer_load_dword v86, v81, s[0:3], 0 offen
	ds_read_b64 v[83:84], v80
	v_add_nc_u32_e32 v79, 1, v79
	v_add_nc_u32_e32 v80, 8, v80
	v_add_nc_u32_e32 v81, 8, v81
	v_cmp_lt_u32_e32 vcc_lo, 27, v79
	s_or_b32 s5, vcc_lo, s5
	s_waitcnt vmcnt(1) lgkmcnt(0)
	v_mul_f32_e32 v87, v84, v85
	v_mul_f32_e32 v85, v83, v85
	s_waitcnt vmcnt(0)
	v_fma_f32 v83, v83, v86, -v87
	v_fmac_f32_e32 v85, v84, v86
	v_add_f32_e32 v82, v82, v83
	v_add_f32_e32 v2, v2, v85
	s_andn2_b32 exec_lo, exec_lo, s5
	s_cbranch_execnz .LBB36_129
; %bb.130:
	s_or_b32 exec_lo, exec_lo, s5
	v_mov_b32_e32 v79, 0
	ds_read_b64 v[79:80], v79 offset:232
	s_waitcnt lgkmcnt(0)
	v_mul_f32_e32 v81, v2, v80
	v_mul_f32_e32 v80, v82, v80
	v_fma_f32 v81, v82, v79, -v81
	v_fmac_f32_e32 v80, v2, v79
	buffer_store_dword v81, off, s[0:3], 0 offset:232
	buffer_store_dword v80, off, s[0:3], 0 offset:236
.LBB36_131:
	s_or_b32 exec_lo, exec_lo, s4
	s_waitcnt_vscnt null, 0x0
	s_barrier
	buffer_gl0_inv
	s_clause 0x1
	buffer_load_dword v79, off, s[0:3], 0 offset:240
	buffer_load_dword v80, off, s[0:3], 0 offset:244
	s_mov_b32 s4, exec_lo
	s_waitcnt vmcnt(0)
	ds_write_b64 v78, v[79:80]
	s_waitcnt lgkmcnt(0)
	s_barrier
	buffer_gl0_inv
	v_cmpx_gt_u32_e32 30, v0
	s_cbranch_execz .LBB36_135
; %bb.132:
	v_add_nc_u32_e32 v79, -1, v0
	v_add_nc_u32_e32 v80, 0x130, v3
	v_mov_b32_e32 v81, v3
	v_mov_b32_e32 v2, 0
	;; [unrolled: 1-line block ×3, first 2 shown]
	s_mov_b32 s5, 0
	.p2align	6
.LBB36_133:                             ; =>This Inner Loop Header: Depth=1
	s_clause 0x1
	buffer_load_dword v85, v81, s[0:3], 0 offen offset:4
	buffer_load_dword v86, v81, s[0:3], 0 offen
	ds_read_b64 v[83:84], v80
	v_add_nc_u32_e32 v79, 1, v79
	v_add_nc_u32_e32 v80, 8, v80
	;; [unrolled: 1-line block ×3, first 2 shown]
	v_cmp_lt_u32_e32 vcc_lo, 28, v79
	s_or_b32 s5, vcc_lo, s5
	s_waitcnt vmcnt(1) lgkmcnt(0)
	v_mul_f32_e32 v87, v84, v85
	v_mul_f32_e32 v85, v83, v85
	s_waitcnt vmcnt(0)
	v_fma_f32 v83, v83, v86, -v87
	v_fmac_f32_e32 v85, v84, v86
	v_add_f32_e32 v82, v82, v83
	v_add_f32_e32 v2, v2, v85
	s_andn2_b32 exec_lo, exec_lo, s5
	s_cbranch_execnz .LBB36_133
; %bb.134:
	s_or_b32 exec_lo, exec_lo, s5
	v_mov_b32_e32 v79, 0
	ds_read_b64 v[79:80], v79 offset:240
	s_waitcnt lgkmcnt(0)
	v_mul_f32_e32 v81, v2, v80
	v_mul_f32_e32 v80, v82, v80
	v_fma_f32 v81, v82, v79, -v81
	v_fmac_f32_e32 v80, v2, v79
	buffer_store_dword v81, off, s[0:3], 0 offset:240
	buffer_store_dword v80, off, s[0:3], 0 offset:244
.LBB36_135:
	s_or_b32 exec_lo, exec_lo, s4
	s_waitcnt_vscnt null, 0x0
	s_barrier
	buffer_gl0_inv
	s_clause 0x1
	buffer_load_dword v79, off, s[0:3], 0 offset:248
	buffer_load_dword v80, off, s[0:3], 0 offset:252
	s_mov_b32 s4, exec_lo
	s_waitcnt vmcnt(0)
	ds_write_b64 v78, v[79:80]
	s_waitcnt lgkmcnt(0)
	s_barrier
	buffer_gl0_inv
	v_cmpx_gt_u32_e32 31, v0
	s_cbranch_execz .LBB36_139
; %bb.136:
	v_add_nc_u32_e32 v79, -1, v0
	v_add_nc_u32_e32 v80, 0x130, v3
	v_mov_b32_e32 v81, v3
	v_mov_b32_e32 v2, 0
	;; [unrolled: 1-line block ×3, first 2 shown]
	s_mov_b32 s5, 0
	.p2align	6
.LBB36_137:                             ; =>This Inner Loop Header: Depth=1
	s_clause 0x1
	buffer_load_dword v85, v81, s[0:3], 0 offen offset:4
	buffer_load_dword v86, v81, s[0:3], 0 offen
	ds_read_b64 v[83:84], v80
	v_add_nc_u32_e32 v79, 1, v79
	v_add_nc_u32_e32 v80, 8, v80
	;; [unrolled: 1-line block ×3, first 2 shown]
	v_cmp_lt_u32_e32 vcc_lo, 29, v79
	s_or_b32 s5, vcc_lo, s5
	s_waitcnt vmcnt(1) lgkmcnt(0)
	v_mul_f32_e32 v87, v84, v85
	v_mul_f32_e32 v85, v83, v85
	s_waitcnt vmcnt(0)
	v_fma_f32 v83, v83, v86, -v87
	v_fmac_f32_e32 v85, v84, v86
	v_add_f32_e32 v82, v82, v83
	v_add_f32_e32 v2, v2, v85
	s_andn2_b32 exec_lo, exec_lo, s5
	s_cbranch_execnz .LBB36_137
; %bb.138:
	s_or_b32 exec_lo, exec_lo, s5
	v_mov_b32_e32 v79, 0
	ds_read_b64 v[79:80], v79 offset:248
	s_waitcnt lgkmcnt(0)
	v_mul_f32_e32 v81, v2, v80
	v_mul_f32_e32 v80, v82, v80
	v_fma_f32 v81, v82, v79, -v81
	v_fmac_f32_e32 v80, v2, v79
	buffer_store_dword v81, off, s[0:3], 0 offset:248
	buffer_store_dword v80, off, s[0:3], 0 offset:252
.LBB36_139:
	s_or_b32 exec_lo, exec_lo, s4
	s_waitcnt_vscnt null, 0x0
	s_barrier
	buffer_gl0_inv
	s_clause 0x1
	buffer_load_dword v79, off, s[0:3], 0 offset:256
	buffer_load_dword v80, off, s[0:3], 0 offset:260
	s_mov_b32 s4, exec_lo
	s_waitcnt vmcnt(0)
	ds_write_b64 v78, v[79:80]
	s_waitcnt lgkmcnt(0)
	s_barrier
	buffer_gl0_inv
	v_cmpx_gt_u32_e32 32, v0
	s_cbranch_execz .LBB36_143
; %bb.140:
	v_add_nc_u32_e32 v79, -1, v0
	v_add_nc_u32_e32 v80, 0x130, v3
	v_mov_b32_e32 v81, v3
	v_mov_b32_e32 v2, 0
	;; [unrolled: 1-line block ×3, first 2 shown]
	s_mov_b32 s5, 0
	.p2align	6
.LBB36_141:                             ; =>This Inner Loop Header: Depth=1
	s_clause 0x1
	buffer_load_dword v85, v81, s[0:3], 0 offen offset:4
	buffer_load_dword v86, v81, s[0:3], 0 offen
	ds_read_b64 v[83:84], v80
	v_add_nc_u32_e32 v79, 1, v79
	v_add_nc_u32_e32 v80, 8, v80
	;; [unrolled: 1-line block ×3, first 2 shown]
	v_cmp_lt_u32_e32 vcc_lo, 30, v79
	s_or_b32 s5, vcc_lo, s5
	s_waitcnt vmcnt(1) lgkmcnt(0)
	v_mul_f32_e32 v87, v84, v85
	v_mul_f32_e32 v85, v83, v85
	s_waitcnt vmcnt(0)
	v_fma_f32 v83, v83, v86, -v87
	v_fmac_f32_e32 v85, v84, v86
	v_add_f32_e32 v82, v82, v83
	v_add_f32_e32 v2, v2, v85
	s_andn2_b32 exec_lo, exec_lo, s5
	s_cbranch_execnz .LBB36_141
; %bb.142:
	s_or_b32 exec_lo, exec_lo, s5
	v_mov_b32_e32 v79, 0
	ds_read_b64 v[79:80], v79 offset:256
	s_waitcnt lgkmcnt(0)
	v_mul_f32_e32 v81, v2, v80
	v_mul_f32_e32 v80, v82, v80
	v_fma_f32 v81, v82, v79, -v81
	v_fmac_f32_e32 v80, v2, v79
	buffer_store_dword v81, off, s[0:3], 0 offset:256
	buffer_store_dword v80, off, s[0:3], 0 offset:260
.LBB36_143:
	s_or_b32 exec_lo, exec_lo, s4
	s_waitcnt_vscnt null, 0x0
	s_barrier
	buffer_gl0_inv
	s_clause 0x1
	buffer_load_dword v79, off, s[0:3], 0 offset:264
	buffer_load_dword v80, off, s[0:3], 0 offset:268
	s_mov_b32 s4, exec_lo
	s_waitcnt vmcnt(0)
	ds_write_b64 v78, v[79:80]
	s_waitcnt lgkmcnt(0)
	s_barrier
	buffer_gl0_inv
	v_cmpx_gt_u32_e32 33, v0
	s_cbranch_execz .LBB36_147
; %bb.144:
	v_add_nc_u32_e32 v79, -1, v0
	v_add_nc_u32_e32 v80, 0x130, v3
	v_mov_b32_e32 v81, v3
	v_mov_b32_e32 v2, 0
	;; [unrolled: 1-line block ×3, first 2 shown]
	s_mov_b32 s5, 0
	.p2align	6
.LBB36_145:                             ; =>This Inner Loop Header: Depth=1
	s_clause 0x1
	buffer_load_dword v85, v81, s[0:3], 0 offen offset:4
	buffer_load_dword v86, v81, s[0:3], 0 offen
	ds_read_b64 v[83:84], v80
	v_add_nc_u32_e32 v79, 1, v79
	v_add_nc_u32_e32 v80, 8, v80
	v_add_nc_u32_e32 v81, 8, v81
	v_cmp_lt_u32_e32 vcc_lo, 31, v79
	s_or_b32 s5, vcc_lo, s5
	s_waitcnt vmcnt(1) lgkmcnt(0)
	v_mul_f32_e32 v87, v84, v85
	v_mul_f32_e32 v85, v83, v85
	s_waitcnt vmcnt(0)
	v_fma_f32 v83, v83, v86, -v87
	v_fmac_f32_e32 v85, v84, v86
	v_add_f32_e32 v82, v82, v83
	v_add_f32_e32 v2, v2, v85
	s_andn2_b32 exec_lo, exec_lo, s5
	s_cbranch_execnz .LBB36_145
; %bb.146:
	s_or_b32 exec_lo, exec_lo, s5
	v_mov_b32_e32 v79, 0
	ds_read_b64 v[79:80], v79 offset:264
	s_waitcnt lgkmcnt(0)
	v_mul_f32_e32 v81, v2, v80
	v_mul_f32_e32 v80, v82, v80
	v_fma_f32 v81, v82, v79, -v81
	v_fmac_f32_e32 v80, v2, v79
	buffer_store_dword v81, off, s[0:3], 0 offset:264
	buffer_store_dword v80, off, s[0:3], 0 offset:268
.LBB36_147:
	s_or_b32 exec_lo, exec_lo, s4
	s_waitcnt_vscnt null, 0x0
	s_barrier
	buffer_gl0_inv
	s_clause 0x1
	buffer_load_dword v79, off, s[0:3], 0 offset:272
	buffer_load_dword v80, off, s[0:3], 0 offset:276
	s_mov_b32 s4, exec_lo
	s_waitcnt vmcnt(0)
	ds_write_b64 v78, v[79:80]
	s_waitcnt lgkmcnt(0)
	s_barrier
	buffer_gl0_inv
	v_cmpx_gt_u32_e32 34, v0
	s_cbranch_execz .LBB36_151
; %bb.148:
	v_add_nc_u32_e32 v79, -1, v0
	v_add_nc_u32_e32 v80, 0x130, v3
	v_mov_b32_e32 v81, v3
	v_mov_b32_e32 v2, 0
	v_mov_b32_e32 v82, 0
	s_mov_b32 s5, 0
	.p2align	6
.LBB36_149:                             ; =>This Inner Loop Header: Depth=1
	s_clause 0x1
	buffer_load_dword v85, v81, s[0:3], 0 offen offset:4
	buffer_load_dword v86, v81, s[0:3], 0 offen
	ds_read_b64 v[83:84], v80
	v_add_nc_u32_e32 v79, 1, v79
	v_add_nc_u32_e32 v80, 8, v80
	;; [unrolled: 1-line block ×3, first 2 shown]
	v_cmp_lt_u32_e32 vcc_lo, 32, v79
	s_or_b32 s5, vcc_lo, s5
	s_waitcnt vmcnt(1) lgkmcnt(0)
	v_mul_f32_e32 v87, v84, v85
	v_mul_f32_e32 v85, v83, v85
	s_waitcnt vmcnt(0)
	v_fma_f32 v83, v83, v86, -v87
	v_fmac_f32_e32 v85, v84, v86
	v_add_f32_e32 v82, v82, v83
	v_add_f32_e32 v2, v2, v85
	s_andn2_b32 exec_lo, exec_lo, s5
	s_cbranch_execnz .LBB36_149
; %bb.150:
	s_or_b32 exec_lo, exec_lo, s5
	v_mov_b32_e32 v79, 0
	ds_read_b64 v[79:80], v79 offset:272
	s_waitcnt lgkmcnt(0)
	v_mul_f32_e32 v81, v2, v80
	v_mul_f32_e32 v80, v82, v80
	v_fma_f32 v81, v82, v79, -v81
	v_fmac_f32_e32 v80, v2, v79
	buffer_store_dword v81, off, s[0:3], 0 offset:272
	buffer_store_dword v80, off, s[0:3], 0 offset:276
.LBB36_151:
	s_or_b32 exec_lo, exec_lo, s4
	s_waitcnt_vscnt null, 0x0
	s_barrier
	buffer_gl0_inv
	s_clause 0x1
	buffer_load_dword v79, off, s[0:3], 0 offset:280
	buffer_load_dword v80, off, s[0:3], 0 offset:284
	s_mov_b32 s4, exec_lo
	s_waitcnt vmcnt(0)
	ds_write_b64 v78, v[79:80]
	s_waitcnt lgkmcnt(0)
	s_barrier
	buffer_gl0_inv
	v_cmpx_gt_u32_e32 35, v0
	s_cbranch_execz .LBB36_155
; %bb.152:
	v_add_nc_u32_e32 v79, -1, v0
	v_add_nc_u32_e32 v80, 0x130, v3
	v_mov_b32_e32 v81, v3
	v_mov_b32_e32 v2, 0
	;; [unrolled: 1-line block ×3, first 2 shown]
	s_mov_b32 s5, 0
	.p2align	6
.LBB36_153:                             ; =>This Inner Loop Header: Depth=1
	s_clause 0x1
	buffer_load_dword v85, v81, s[0:3], 0 offen offset:4
	buffer_load_dword v86, v81, s[0:3], 0 offen
	ds_read_b64 v[83:84], v80
	v_add_nc_u32_e32 v79, 1, v79
	v_add_nc_u32_e32 v80, 8, v80
	;; [unrolled: 1-line block ×3, first 2 shown]
	v_cmp_lt_u32_e32 vcc_lo, 33, v79
	s_or_b32 s5, vcc_lo, s5
	s_waitcnt vmcnt(1) lgkmcnt(0)
	v_mul_f32_e32 v87, v84, v85
	v_mul_f32_e32 v85, v83, v85
	s_waitcnt vmcnt(0)
	v_fma_f32 v83, v83, v86, -v87
	v_fmac_f32_e32 v85, v84, v86
	v_add_f32_e32 v82, v82, v83
	v_add_f32_e32 v2, v2, v85
	s_andn2_b32 exec_lo, exec_lo, s5
	s_cbranch_execnz .LBB36_153
; %bb.154:
	s_or_b32 exec_lo, exec_lo, s5
	v_mov_b32_e32 v79, 0
	ds_read_b64 v[79:80], v79 offset:280
	s_waitcnt lgkmcnt(0)
	v_mul_f32_e32 v81, v2, v80
	v_mul_f32_e32 v80, v82, v80
	v_fma_f32 v81, v82, v79, -v81
	v_fmac_f32_e32 v80, v2, v79
	buffer_store_dword v81, off, s[0:3], 0 offset:280
	buffer_store_dword v80, off, s[0:3], 0 offset:284
.LBB36_155:
	s_or_b32 exec_lo, exec_lo, s4
	s_waitcnt_vscnt null, 0x0
	s_barrier
	buffer_gl0_inv
	s_clause 0x1
	buffer_load_dword v79, off, s[0:3], 0 offset:288
	buffer_load_dword v80, off, s[0:3], 0 offset:292
	s_mov_b32 s4, exec_lo
	s_waitcnt vmcnt(0)
	ds_write_b64 v78, v[79:80]
	s_waitcnt lgkmcnt(0)
	s_barrier
	buffer_gl0_inv
	v_cmpx_ne_u32_e32 36, v0
	s_cbranch_execz .LBB36_159
; %bb.156:
	v_mov_b32_e32 v2, 0
	v_mov_b32_e32 v79, 0
	s_mov_b32 s5, 0
	.p2align	6
.LBB36_157:                             ; =>This Inner Loop Header: Depth=1
	s_clause 0x1
	buffer_load_dword v82, v3, s[0:3], 0 offen offset:4
	buffer_load_dword v83, v3, s[0:3], 0 offen
	ds_read_b64 v[80:81], v78
	v_add_nc_u32_e32 v1, 1, v1
	v_add_nc_u32_e32 v78, 8, v78
	;; [unrolled: 1-line block ×3, first 2 shown]
	v_cmp_lt_u32_e32 vcc_lo, 34, v1
	s_or_b32 s5, vcc_lo, s5
	s_waitcnt vmcnt(1) lgkmcnt(0)
	v_mul_f32_e32 v84, v81, v82
	v_mul_f32_e32 v82, v80, v82
	s_waitcnt vmcnt(0)
	v_fma_f32 v80, v80, v83, -v84
	v_fmac_f32_e32 v82, v81, v83
	v_add_f32_e32 v79, v79, v80
	v_add_f32_e32 v2, v2, v82
	s_andn2_b32 exec_lo, exec_lo, s5
	s_cbranch_execnz .LBB36_157
; %bb.158:
	s_or_b32 exec_lo, exec_lo, s5
	v_mov_b32_e32 v1, 0
	ds_read_b64 v[80:81], v1 offset:288
	s_waitcnt lgkmcnt(0)
	v_mul_f32_e32 v1, v2, v81
	v_mul_f32_e32 v3, v79, v81
	v_fma_f32 v1, v79, v80, -v1
	v_fmac_f32_e32 v3, v2, v80
	buffer_store_dword v1, off, s[0:3], 0 offset:288
	buffer_store_dword v3, off, s[0:3], 0 offset:292
.LBB36_159:
	s_or_b32 exec_lo, exec_lo, s4
	s_mov_b32 s5, -1
	s_waitcnt_vscnt null, 0x0
	s_barrier
	buffer_gl0_inv
.LBB36_160:
	s_and_b32 vcc_lo, exec_lo, s5
	s_cbranch_vccz .LBB36_162
; %bb.161:
	s_lshl_b64 s[4:5], s[6:7], 2
	v_mov_b32_e32 v1, 0
	s_add_u32 s4, s10, s4
	s_addc_u32 s5, s11, s5
	global_load_dword v1, v1, s[4:5]
	s_waitcnt vmcnt(0)
	v_cmp_ne_u32_e32 vcc_lo, 0, v1
	s_cbranch_vccz .LBB36_163
.LBB36_162:
	s_endpgm
.LBB36_163:
	v_lshl_add_u32 v1, v0, 3, 0x130
	s_mov_b32 s4, exec_lo
	v_cmpx_eq_u32_e32 36, v0
	s_cbranch_execz .LBB36_165
; %bb.164:
	s_clause 0x1
	buffer_load_dword v2, off, s[0:3], 0 offset:280
	buffer_load_dword v3, off, s[0:3], 0 offset:284
	v_mov_b32_e32 v78, 0
	buffer_store_dword v78, off, s[0:3], 0 offset:280
	buffer_store_dword v78, off, s[0:3], 0 offset:284
	s_waitcnt vmcnt(0)
	ds_write_b64 v1, v[2:3]
.LBB36_165:
	s_or_b32 exec_lo, exec_lo, s4
	s_waitcnt lgkmcnt(0)
	s_waitcnt_vscnt null, 0x0
	s_barrier
	buffer_gl0_inv
	s_clause 0x3
	buffer_load_dword v3, off, s[0:3], 0 offset:292
	buffer_load_dword v80, off, s[0:3], 0 offset:288
	;; [unrolled: 1-line block ×4, first 2 shown]
	v_mov_b32_e32 v2, 0
	s_mov_b32 s4, exec_lo
	ds_read_b64 v[78:79], v2 offset:592
	s_waitcnt vmcnt(3) lgkmcnt(0)
	v_mul_f32_e32 v83, v79, v3
	v_mul_f32_e32 v3, v78, v3
	s_waitcnt vmcnt(2)
	v_fma_f32 v78, v78, v80, -v83
	v_fmac_f32_e32 v3, v79, v80
	v_add_f32_e32 v78, 0, v78
	v_add_f32_e32 v3, 0, v3
	s_waitcnt vmcnt(1)
	v_sub_f32_e32 v78, v81, v78
	s_waitcnt vmcnt(0)
	v_sub_f32_e32 v3, v82, v3
	buffer_store_dword v78, off, s[0:3], 0 offset:280
	buffer_store_dword v3, off, s[0:3], 0 offset:284
	v_cmpx_lt_u32_e32 34, v0
	s_cbranch_execz .LBB36_167
; %bb.166:
	s_clause 0x1
	buffer_load_dword v78, off, s[0:3], 0 offset:272
	buffer_load_dword v79, off, s[0:3], 0 offset:276
	buffer_store_dword v2, off, s[0:3], 0 offset:272
	buffer_store_dword v2, off, s[0:3], 0 offset:276
	s_waitcnt vmcnt(0)
	ds_write_b64 v1, v[78:79]
.LBB36_167:
	s_or_b32 exec_lo, exec_lo, s4
	s_waitcnt lgkmcnt(0)
	s_waitcnt_vscnt null, 0x0
	s_barrier
	buffer_gl0_inv
	s_clause 0x5
	buffer_load_dword v3, off, s[0:3], 0 offset:284
	buffer_load_dword v82, off, s[0:3], 0 offset:292
	;; [unrolled: 1-line block ×6, first 2 shown]
	ds_read2_b64 v[78:81], v2 offset0:73 offset1:74
	s_mov_b32 s4, exec_lo
	s_waitcnt vmcnt(5) lgkmcnt(0)
	v_mul_f32_e32 v2, v79, v3
	v_mul_f32_e32 v3, v78, v3
	s_waitcnt vmcnt(4)
	v_mul_f32_e32 v87, v80, v82
	v_mul_f32_e32 v82, v81, v82
	s_waitcnt vmcnt(3)
	v_fma_f32 v2, v78, v83, -v2
	v_fmac_f32_e32 v3, v79, v83
	s_waitcnt vmcnt(2)
	v_fmac_f32_e32 v87, v81, v84
	v_fma_f32 v78, v80, v84, -v82
	v_add_f32_e32 v2, 0, v2
	v_add_f32_e32 v3, 0, v3
	;; [unrolled: 1-line block ×4, first 2 shown]
	s_waitcnt vmcnt(1)
	v_sub_f32_e32 v2, v85, v2
	s_waitcnt vmcnt(0)
	v_sub_f32_e32 v3, v86, v3
	buffer_store_dword v2, off, s[0:3], 0 offset:272
	buffer_store_dword v3, off, s[0:3], 0 offset:276
	v_cmpx_lt_u32_e32 33, v0
	s_cbranch_execz .LBB36_169
; %bb.168:
	s_clause 0x1
	buffer_load_dword v2, off, s[0:3], 0 offset:264
	buffer_load_dword v3, off, s[0:3], 0 offset:268
	v_mov_b32_e32 v78, 0
	buffer_store_dword v78, off, s[0:3], 0 offset:264
	buffer_store_dword v78, off, s[0:3], 0 offset:268
	s_waitcnt vmcnt(0)
	ds_write_b64 v1, v[2:3]
.LBB36_169:
	s_or_b32 exec_lo, exec_lo, s4
	s_waitcnt lgkmcnt(0)
	s_waitcnt_vscnt null, 0x0
	s_barrier
	buffer_gl0_inv
	s_clause 0x7
	buffer_load_dword v3, off, s[0:3], 0 offset:276
	buffer_load_dword v84, off, s[0:3], 0 offset:284
	;; [unrolled: 1-line block ×8, first 2 shown]
	v_mov_b32_e32 v2, 0
	ds_read_b128 v[78:81], v2 offset:576
	ds_read_b64 v[82:83], v2 offset:592
	s_mov_b32 s4, exec_lo
	s_waitcnt vmcnt(7) lgkmcnt(1)
	v_mul_f32_e32 v91, v79, v3
	v_mul_f32_e32 v3, v78, v3
	s_waitcnt vmcnt(6)
	v_mul_f32_e32 v92, v80, v84
	v_mul_f32_e32 v84, v81, v84
	s_waitcnt vmcnt(5) lgkmcnt(0)
	v_mul_f32_e32 v93, v82, v85
	s_waitcnt vmcnt(4)
	v_fma_f32 v78, v78, v86, -v91
	v_fmac_f32_e32 v3, v79, v86
	v_mul_f32_e32 v79, v83, v85
	s_waitcnt vmcnt(3)
	v_fma_f32 v80, v80, v87, -v84
	v_fmac_f32_e32 v92, v81, v87
	v_add_f32_e32 v78, 0, v78
	v_add_f32_e32 v3, 0, v3
	s_waitcnt vmcnt(2)
	v_fma_f32 v79, v82, v88, -v79
	v_fmac_f32_e32 v93, v83, v88
	v_add_f32_e32 v78, v78, v80
	v_add_f32_e32 v3, v3, v92
	;; [unrolled: 1-line block ×4, first 2 shown]
	s_waitcnt vmcnt(1)
	v_sub_f32_e32 v78, v89, v78
	s_waitcnt vmcnt(0)
	v_sub_f32_e32 v3, v90, v3
	buffer_store_dword v78, off, s[0:3], 0 offset:264
	buffer_store_dword v3, off, s[0:3], 0 offset:268
	v_cmpx_lt_u32_e32 32, v0
	s_cbranch_execz .LBB36_171
; %bb.170:
	s_clause 0x1
	buffer_load_dword v78, off, s[0:3], 0 offset:256
	buffer_load_dword v79, off, s[0:3], 0 offset:260
	buffer_store_dword v2, off, s[0:3], 0 offset:256
	buffer_store_dword v2, off, s[0:3], 0 offset:260
	s_waitcnt vmcnt(0)
	ds_write_b64 v1, v[78:79]
.LBB36_171:
	s_or_b32 exec_lo, exec_lo, s4
	s_waitcnt lgkmcnt(0)
	s_waitcnt_vscnt null, 0x0
	s_barrier
	buffer_gl0_inv
	s_clause 0x9
	buffer_load_dword v3, off, s[0:3], 0 offset:268
	buffer_load_dword v86, off, s[0:3], 0 offset:276
	;; [unrolled: 1-line block ×10, first 2 shown]
	ds_read2_b64 v[78:81], v2 offset0:71 offset1:72
	ds_read2_b64 v[82:85], v2 offset0:73 offset1:74
	s_mov_b32 s4, exec_lo
	s_waitcnt vmcnt(9) lgkmcnt(1)
	v_mul_f32_e32 v2, v78, v3
	v_mul_f32_e32 v3, v79, v3
	s_waitcnt vmcnt(8)
	v_mul_f32_e32 v95, v80, v86
	v_mul_f32_e32 v86, v81, v86
	s_waitcnt vmcnt(7) lgkmcnt(0)
	v_mul_f32_e32 v96, v82, v87
	s_waitcnt vmcnt(5)
	v_fmac_f32_e32 v2, v79, v89
	v_fma_f32 v3, v78, v89, -v3
	v_mul_f32_e32 v78, v83, v87
	s_waitcnt vmcnt(4)
	v_fma_f32 v79, v80, v90, -v86
	v_fmac_f32_e32 v95, v81, v90
	v_add_f32_e32 v2, 0, v2
	v_add_f32_e32 v3, 0, v3
	v_mul_f32_e32 v80, v85, v88
	s_waitcnt vmcnt(3)
	v_fma_f32 v78, v82, v91, -v78
	v_mul_f32_e32 v97, v84, v88
	v_fmac_f32_e32 v96, v83, v91
	v_add_f32_e32 v3, v3, v79
	v_add_f32_e32 v2, v2, v95
	s_waitcnt vmcnt(2)
	v_fma_f32 v79, v84, v92, -v80
	v_fmac_f32_e32 v97, v85, v92
	v_add_f32_e32 v3, v3, v78
	v_add_f32_e32 v2, v2, v96
	;; [unrolled: 1-line block ×4, first 2 shown]
	s_waitcnt vmcnt(1)
	v_sub_f32_e32 v3, v93, v3
	s_waitcnt vmcnt(0)
	v_sub_f32_e32 v2, v94, v2
	buffer_store_dword v3, off, s[0:3], 0 offset:256
	buffer_store_dword v2, off, s[0:3], 0 offset:260
	v_cmpx_lt_u32_e32 31, v0
	s_cbranch_execz .LBB36_173
; %bb.172:
	s_clause 0x1
	buffer_load_dword v2, off, s[0:3], 0 offset:248
	buffer_load_dword v3, off, s[0:3], 0 offset:252
	v_mov_b32_e32 v78, 0
	buffer_store_dword v78, off, s[0:3], 0 offset:248
	buffer_store_dword v78, off, s[0:3], 0 offset:252
	s_waitcnt vmcnt(0)
	ds_write_b64 v1, v[2:3]
.LBB36_173:
	s_or_b32 exec_lo, exec_lo, s4
	s_waitcnt lgkmcnt(0)
	s_waitcnt_vscnt null, 0x0
	s_barrier
	buffer_gl0_inv
	s_clause 0xb
	buffer_load_dword v3, off, s[0:3], 0 offset:260
	buffer_load_dword v88, off, s[0:3], 0 offset:268
	;; [unrolled: 1-line block ×12, first 2 shown]
	v_mov_b32_e32 v2, 0
	ds_read_b128 v[78:81], v2 offset:560
	ds_read_b128 v[82:85], v2 offset:576
	ds_read_b64 v[86:87], v2 offset:592
	s_mov_b32 s4, exec_lo
	s_waitcnt vmcnt(11) lgkmcnt(2)
	v_mul_f32_e32 v99, v78, v3
	v_mul_f32_e32 v3, v79, v3
	s_waitcnt vmcnt(10)
	v_mul_f32_e32 v100, v80, v88
	v_mul_f32_e32 v88, v81, v88
	s_waitcnt vmcnt(9) lgkmcnt(1)
	v_mul_f32_e32 v101, v82, v89
	s_waitcnt vmcnt(6)
	v_fmac_f32_e32 v99, v79, v92
	v_fma_f32 v3, v78, v92, -v3
	v_mul_f32_e32 v78, v83, v89
	s_waitcnt vmcnt(5)
	v_fma_f32 v79, v80, v93, -v88
	v_fmac_f32_e32 v100, v81, v93
	v_add_f32_e32 v80, 0, v99
	v_add_f32_e32 v3, 0, v3
	v_mul_f32_e32 v81, v85, v90
	s_waitcnt vmcnt(4)
	v_fma_f32 v78, v82, v94, -v78
	v_mul_f32_e32 v102, v84, v90
	v_fmac_f32_e32 v101, v83, v94
	v_add_f32_e32 v3, v3, v79
	v_add_f32_e32 v79, v80, v100
	s_waitcnt lgkmcnt(0)
	v_mul_f32_e32 v80, v87, v91
	s_waitcnt vmcnt(3)
	v_fma_f32 v81, v84, v95, -v81
	v_mul_f32_e32 v103, v86, v91
	v_add_f32_e32 v3, v3, v78
	v_fmac_f32_e32 v102, v85, v95
	v_add_f32_e32 v78, v79, v101
	s_waitcnt vmcnt(2)
	v_fma_f32 v79, v86, v96, -v80
	v_fmac_f32_e32 v103, v87, v96
	v_add_f32_e32 v3, v3, v81
	v_add_f32_e32 v78, v78, v102
	;; [unrolled: 1-line block ×4, first 2 shown]
	s_waitcnt vmcnt(1)
	v_sub_f32_e32 v3, v97, v3
	s_waitcnt vmcnt(0)
	v_sub_f32_e32 v78, v98, v78
	buffer_store_dword v3, off, s[0:3], 0 offset:248
	buffer_store_dword v78, off, s[0:3], 0 offset:252
	v_cmpx_lt_u32_e32 30, v0
	s_cbranch_execz .LBB36_175
; %bb.174:
	s_clause 0x1
	buffer_load_dword v78, off, s[0:3], 0 offset:240
	buffer_load_dword v79, off, s[0:3], 0 offset:244
	buffer_store_dword v2, off, s[0:3], 0 offset:240
	buffer_store_dword v2, off, s[0:3], 0 offset:244
	s_waitcnt vmcnt(0)
	ds_write_b64 v1, v[78:79]
.LBB36_175:
	s_or_b32 exec_lo, exec_lo, s4
	s_waitcnt lgkmcnt(0)
	s_waitcnt_vscnt null, 0x0
	s_barrier
	buffer_gl0_inv
	s_clause 0xd
	buffer_load_dword v3, off, s[0:3], 0 offset:252
	buffer_load_dword v90, off, s[0:3], 0 offset:260
	;; [unrolled: 1-line block ×14, first 2 shown]
	ds_read2_b64 v[78:81], v2 offset0:69 offset1:70
	ds_read2_b64 v[82:85], v2 offset0:71 offset1:72
	ds_read2_b64 v[86:89], v2 offset0:73 offset1:74
	s_mov_b32 s4, exec_lo
	s_waitcnt vmcnt(13) lgkmcnt(2)
	v_mul_f32_e32 v2, v78, v3
	v_mul_f32_e32 v3, v79, v3
	s_waitcnt vmcnt(12)
	v_mul_f32_e32 v103, v80, v90
	v_mul_f32_e32 v90, v81, v90
	s_waitcnt vmcnt(11) lgkmcnt(1)
	v_mul_f32_e32 v104, v82, v91
	s_waitcnt vmcnt(10)
	v_mul_f32_e32 v105, v84, v92
	s_waitcnt vmcnt(7)
	v_fma_f32 v3, v78, v95, -v3
	v_fmac_f32_e32 v2, v79, v95
	v_mul_f32_e32 v78, v83, v91
	s_waitcnt vmcnt(6)
	v_fma_f32 v79, v80, v96, -v90
	v_fmac_f32_e32 v103, v81, v96
	v_add_f32_e32 v3, 0, v3
	v_add_f32_e32 v2, 0, v2
	v_mul_f32_e32 v80, v85, v92
	s_waitcnt vmcnt(5)
	v_fma_f32 v78, v82, v97, -v78
	v_fmac_f32_e32 v104, v83, v97
	v_add_f32_e32 v3, v3, v79
	v_add_f32_e32 v2, v2, v103
	s_waitcnt lgkmcnt(0)
	v_mul_f32_e32 v79, v87, v93
	s_waitcnt vmcnt(4)
	v_fma_f32 v80, v84, v98, -v80
	v_mul_f32_e32 v106, v86, v93
	v_add_f32_e32 v3, v3, v78
	v_fmac_f32_e32 v105, v85, v98
	v_add_f32_e32 v2, v2, v104
	v_mul_f32_e32 v78, v89, v94
	s_waitcnt vmcnt(3)
	v_fma_f32 v79, v86, v99, -v79
	v_add_f32_e32 v3, v3, v80
	v_mul_f32_e32 v107, v88, v94
	v_fmac_f32_e32 v106, v87, v99
	v_add_f32_e32 v2, v2, v105
	s_waitcnt vmcnt(2)
	v_fma_f32 v78, v88, v100, -v78
	v_add_f32_e32 v3, v3, v79
	v_fmac_f32_e32 v107, v89, v100
	v_add_f32_e32 v2, v2, v106
	v_add_f32_e32 v3, v3, v78
	;; [unrolled: 1-line block ×3, first 2 shown]
	s_waitcnt vmcnt(1)
	v_sub_f32_e32 v3, v101, v3
	s_waitcnt vmcnt(0)
	v_sub_f32_e32 v2, v102, v2
	buffer_store_dword v3, off, s[0:3], 0 offset:240
	buffer_store_dword v2, off, s[0:3], 0 offset:244
	v_cmpx_lt_u32_e32 29, v0
	s_cbranch_execz .LBB36_177
; %bb.176:
	s_clause 0x1
	buffer_load_dword v2, off, s[0:3], 0 offset:232
	buffer_load_dword v3, off, s[0:3], 0 offset:236
	v_mov_b32_e32 v78, 0
	buffer_store_dword v78, off, s[0:3], 0 offset:232
	buffer_store_dword v78, off, s[0:3], 0 offset:236
	s_waitcnt vmcnt(0)
	ds_write_b64 v1, v[2:3]
.LBB36_177:
	s_or_b32 exec_lo, exec_lo, s4
	s_waitcnt lgkmcnt(0)
	s_waitcnt_vscnt null, 0x0
	s_barrier
	buffer_gl0_inv
	s_clause 0xf
	buffer_load_dword v3, off, s[0:3], 0 offset:244
	buffer_load_dword v92, off, s[0:3], 0 offset:252
	;; [unrolled: 1-line block ×16, first 2 shown]
	v_mov_b32_e32 v2, 0
	ds_read_b128 v[78:81], v2 offset:544
	ds_read_b128 v[82:85], v2 offset:560
	;; [unrolled: 1-line block ×3, first 2 shown]
	ds_read_b64 v[90:91], v2 offset:592
	s_mov_b32 s4, exec_lo
	s_waitcnt vmcnt(15) lgkmcnt(3)
	v_mul_f32_e32 v107, v78, v3
	v_mul_f32_e32 v3, v79, v3
	s_waitcnt vmcnt(14)
	v_mul_f32_e32 v108, v80, v92
	v_mul_f32_e32 v92, v81, v92
	s_waitcnt vmcnt(13) lgkmcnt(2)
	v_mul_f32_e32 v109, v82, v93
	s_waitcnt vmcnt(12)
	v_mul_f32_e32 v110, v84, v94
	s_waitcnt vmcnt(11) lgkmcnt(1)
	v_mul_f32_e32 v111, v86, v95
	s_waitcnt vmcnt(8)
	v_fma_f32 v3, v78, v98, -v3
	v_fmac_f32_e32 v107, v79, v98
	v_mul_f32_e32 v78, v83, v93
	s_waitcnt vmcnt(7)
	v_fma_f32 v79, v80, v99, -v92
	v_fmac_f32_e32 v108, v81, v99
	v_add_f32_e32 v3, 0, v3
	v_add_f32_e32 v80, 0, v107
	v_mul_f32_e32 v81, v85, v94
	s_waitcnt vmcnt(6)
	v_fma_f32 v78, v82, v100, -v78
	v_fmac_f32_e32 v109, v83, v100
	v_add_f32_e32 v3, v3, v79
	v_add_f32_e32 v79, v80, v108
	;; [unrolled: 6-line block ×3, first 2 shown]
	v_mul_f32_e32 v79, v89, v96
	s_waitcnt vmcnt(4)
	v_fma_f32 v80, v86, v102, -v80
	v_mul_f32_e32 v112, v88, v96
	v_add_f32_e32 v3, v3, v81
	v_fmac_f32_e32 v111, v87, v102
	v_add_f32_e32 v78, v78, v110
	s_waitcnt lgkmcnt(0)
	v_mul_f32_e32 v81, v91, v97
	s_waitcnt vmcnt(3)
	v_fma_f32 v79, v88, v103, -v79
	v_add_f32_e32 v3, v3, v80
	v_mul_f32_e32 v113, v90, v97
	v_fmac_f32_e32 v112, v89, v103
	v_add_f32_e32 v78, v78, v111
	s_waitcnt vmcnt(2)
	v_fma_f32 v80, v90, v104, -v81
	v_add_f32_e32 v3, v3, v79
	v_fmac_f32_e32 v113, v91, v104
	v_add_f32_e32 v78, v78, v112
	v_add_f32_e32 v3, v3, v80
	;; [unrolled: 1-line block ×3, first 2 shown]
	s_waitcnt vmcnt(1)
	v_sub_f32_e32 v3, v105, v3
	s_waitcnt vmcnt(0)
	v_sub_f32_e32 v78, v106, v78
	buffer_store_dword v3, off, s[0:3], 0 offset:232
	buffer_store_dword v78, off, s[0:3], 0 offset:236
	v_cmpx_lt_u32_e32 28, v0
	s_cbranch_execz .LBB36_179
; %bb.178:
	s_clause 0x1
	buffer_load_dword v78, off, s[0:3], 0 offset:224
	buffer_load_dword v79, off, s[0:3], 0 offset:228
	buffer_store_dword v2, off, s[0:3], 0 offset:224
	buffer_store_dword v2, off, s[0:3], 0 offset:228
	s_waitcnt vmcnt(0)
	ds_write_b64 v1, v[78:79]
.LBB36_179:
	s_or_b32 exec_lo, exec_lo, s4
	s_waitcnt lgkmcnt(0)
	s_waitcnt_vscnt null, 0x0
	s_barrier
	buffer_gl0_inv
	s_clause 0x11
	buffer_load_dword v3, off, s[0:3], 0 offset:236
	buffer_load_dword v94, off, s[0:3], 0 offset:244
	;; [unrolled: 1-line block ×18, first 2 shown]
	ds_read2_b64 v[78:81], v2 offset0:67 offset1:68
	ds_read2_b64 v[82:85], v2 offset0:69 offset1:70
	;; [unrolled: 1-line block ×4, first 2 shown]
	s_mov_b32 s4, exec_lo
	s_waitcnt vmcnt(17) lgkmcnt(3)
	v_mul_f32_e32 v2, v78, v3
	v_mul_f32_e32 v3, v79, v3
	s_waitcnt vmcnt(16)
	v_mul_f32_e32 v111, v80, v94
	v_mul_f32_e32 v94, v81, v94
	s_waitcnt vmcnt(15) lgkmcnt(2)
	v_mul_f32_e32 v112, v82, v95
	s_waitcnt vmcnt(14)
	v_mul_f32_e32 v113, v84, v96
	s_waitcnt vmcnt(13) lgkmcnt(1)
	v_mul_f32_e32 v114, v86, v97
	s_waitcnt vmcnt(12)
	v_mul_f32_e32 v115, v88, v98
	s_waitcnt vmcnt(9)
	v_fma_f32 v3, v78, v101, -v3
	v_fmac_f32_e32 v2, v79, v101
	v_mul_f32_e32 v78, v83, v95
	s_waitcnt vmcnt(8)
	v_fma_f32 v79, v80, v102, -v94
	v_fmac_f32_e32 v111, v81, v102
	v_add_f32_e32 v3, 0, v3
	v_add_f32_e32 v2, 0, v2
	v_mul_f32_e32 v80, v85, v96
	s_waitcnt vmcnt(7)
	v_fma_f32 v78, v82, v103, -v78
	v_fmac_f32_e32 v112, v83, v103
	v_add_f32_e32 v3, v3, v79
	v_add_f32_e32 v2, v2, v111
	;; [unrolled: 6-line block ×4, first 2 shown]
	s_waitcnt lgkmcnt(0)
	v_mul_f32_e32 v80, v91, v99
	s_waitcnt vmcnt(4)
	v_fma_f32 v78, v88, v106, -v78
	v_mul_f32_e32 v116, v90, v99
	v_add_f32_e32 v3, v3, v79
	v_fmac_f32_e32 v115, v89, v106
	v_add_f32_e32 v2, v2, v114
	v_mul_f32_e32 v79, v93, v100
	s_waitcnt vmcnt(3)
	v_fma_f32 v80, v90, v107, -v80
	v_add_f32_e32 v3, v3, v78
	v_mul_f32_e32 v117, v92, v100
	v_fmac_f32_e32 v116, v91, v107
	v_add_f32_e32 v2, v2, v115
	s_waitcnt vmcnt(2)
	v_fma_f32 v78, v92, v108, -v79
	v_add_f32_e32 v3, v3, v80
	v_fmac_f32_e32 v117, v93, v108
	v_add_f32_e32 v2, v2, v116
	v_add_f32_e32 v3, v3, v78
	;; [unrolled: 1-line block ×3, first 2 shown]
	s_waitcnt vmcnt(1)
	v_sub_f32_e32 v3, v109, v3
	s_waitcnt vmcnt(0)
	v_sub_f32_e32 v2, v110, v2
	buffer_store_dword v3, off, s[0:3], 0 offset:224
	buffer_store_dword v2, off, s[0:3], 0 offset:228
	v_cmpx_lt_u32_e32 27, v0
	s_cbranch_execz .LBB36_181
; %bb.180:
	s_clause 0x1
	buffer_load_dword v2, off, s[0:3], 0 offset:216
	buffer_load_dword v3, off, s[0:3], 0 offset:220
	v_mov_b32_e32 v78, 0
	buffer_store_dword v78, off, s[0:3], 0 offset:216
	buffer_store_dword v78, off, s[0:3], 0 offset:220
	s_waitcnt vmcnt(0)
	ds_write_b64 v1, v[2:3]
.LBB36_181:
	s_or_b32 exec_lo, exec_lo, s4
	s_waitcnt lgkmcnt(0)
	s_waitcnt_vscnt null, 0x0
	s_barrier
	buffer_gl0_inv
	s_clause 0x13
	buffer_load_dword v3, off, s[0:3], 0 offset:228
	buffer_load_dword v96, off, s[0:3], 0 offset:236
	;; [unrolled: 1-line block ×20, first 2 shown]
	v_mov_b32_e32 v2, 0
	ds_read_b128 v[78:81], v2 offset:528
	ds_read_b128 v[82:85], v2 offset:544
	;; [unrolled: 1-line block ×4, first 2 shown]
	ds_read_b64 v[94:95], v2 offset:592
	s_mov_b32 s4, exec_lo
	s_waitcnt vmcnt(19) lgkmcnt(4)
	v_mul_f32_e32 v115, v78, v3
	v_mul_f32_e32 v3, v79, v3
	s_waitcnt vmcnt(18)
	v_mul_f32_e32 v116, v80, v96
	v_mul_f32_e32 v96, v81, v96
	s_waitcnt vmcnt(17) lgkmcnt(3)
	v_mul_f32_e32 v117, v82, v97
	s_waitcnt vmcnt(16)
	v_mul_f32_e32 v118, v84, v98
	s_waitcnt vmcnt(15) lgkmcnt(2)
	v_mul_f32_e32 v119, v86, v99
	s_waitcnt vmcnt(14)
	;; [unrolled: 4-line block ×3, first 2 shown]
	v_fma_f32 v3, v78, v104, -v3
	v_fmac_f32_e32 v115, v79, v104
	v_mul_f32_e32 v78, v83, v97
	s_waitcnt vmcnt(9)
	v_fma_f32 v79, v80, v105, -v96
	v_fmac_f32_e32 v116, v81, v105
	v_add_f32_e32 v3, 0, v3
	v_add_f32_e32 v80, 0, v115
	v_mul_f32_e32 v81, v85, v98
	s_waitcnt vmcnt(8)
	v_fma_f32 v78, v82, v106, -v78
	v_fmac_f32_e32 v117, v83, v106
	v_add_f32_e32 v3, v3, v79
	v_add_f32_e32 v79, v80, v116
	;; [unrolled: 6-line block ×5, first 2 shown]
	v_mul_f32_e32 v80, v93, v102
	s_waitcnt vmcnt(4)
	v_fma_f32 v81, v90, v110, -v81
	v_mul_f32_e32 v122, v92, v102
	v_add_f32_e32 v3, v3, v79
	v_fmac_f32_e32 v121, v91, v110
	v_add_f32_e32 v78, v78, v120
	s_waitcnt lgkmcnt(0)
	v_mul_f32_e32 v79, v95, v103
	s_waitcnt vmcnt(3)
	v_fma_f32 v80, v92, v111, -v80
	v_add_f32_e32 v3, v3, v81
	v_mul_f32_e32 v123, v94, v103
	v_fmac_f32_e32 v122, v93, v111
	v_add_f32_e32 v78, v78, v121
	s_waitcnt vmcnt(2)
	v_fma_f32 v79, v94, v112, -v79
	v_add_f32_e32 v3, v3, v80
	v_fmac_f32_e32 v123, v95, v112
	v_add_f32_e32 v78, v78, v122
	v_add_f32_e32 v3, v3, v79
	;; [unrolled: 1-line block ×3, first 2 shown]
	s_waitcnt vmcnt(1)
	v_sub_f32_e32 v3, v113, v3
	s_waitcnt vmcnt(0)
	v_sub_f32_e32 v78, v114, v78
	buffer_store_dword v3, off, s[0:3], 0 offset:216
	buffer_store_dword v78, off, s[0:3], 0 offset:220
	v_cmpx_lt_u32_e32 26, v0
	s_cbranch_execz .LBB36_183
; %bb.182:
	s_clause 0x1
	buffer_load_dword v78, off, s[0:3], 0 offset:208
	buffer_load_dword v79, off, s[0:3], 0 offset:212
	buffer_store_dword v2, off, s[0:3], 0 offset:208
	buffer_store_dword v2, off, s[0:3], 0 offset:212
	s_waitcnt vmcnt(0)
	ds_write_b64 v1, v[78:79]
.LBB36_183:
	s_or_b32 exec_lo, exec_lo, s4
	s_waitcnt lgkmcnt(0)
	s_waitcnt_vscnt null, 0x0
	s_barrier
	buffer_gl0_inv
	s_clause 0x15
	buffer_load_dword v3, off, s[0:3], 0 offset:220
	buffer_load_dword v98, off, s[0:3], 0 offset:228
	;; [unrolled: 1-line block ×22, first 2 shown]
	ds_read2_b64 v[78:81], v2 offset0:65 offset1:66
	ds_read2_b64 v[82:85], v2 offset0:67 offset1:68
	;; [unrolled: 1-line block ×5, first 2 shown]
	s_mov_b32 s4, exec_lo
	s_waitcnt vmcnt(21) lgkmcnt(4)
	v_mul_f32_e32 v2, v78, v3
	v_mul_f32_e32 v3, v79, v3
	s_waitcnt vmcnt(20)
	v_mul_f32_e32 v119, v80, v98
	v_mul_f32_e32 v98, v81, v98
	s_waitcnt vmcnt(19) lgkmcnt(3)
	v_mul_f32_e32 v120, v82, v99
	s_waitcnt vmcnt(18)
	v_mul_f32_e32 v121, v84, v100
	s_waitcnt vmcnt(17) lgkmcnt(2)
	v_mul_f32_e32 v122, v86, v101
	s_waitcnt vmcnt(16)
	;; [unrolled: 4-line block ×3, first 2 shown]
	v_mul_f32_e32 v125, v92, v104
	s_waitcnt vmcnt(11)
	v_fma_f32 v3, v78, v107, -v3
	v_fmac_f32_e32 v2, v79, v107
	v_mul_f32_e32 v78, v83, v99
	s_waitcnt vmcnt(10)
	v_fma_f32 v79, v80, v108, -v98
	v_fmac_f32_e32 v119, v81, v108
	v_add_f32_e32 v3, 0, v3
	v_add_f32_e32 v2, 0, v2
	v_mul_f32_e32 v80, v85, v100
	s_waitcnt vmcnt(9)
	v_fma_f32 v78, v82, v109, -v78
	v_fmac_f32_e32 v120, v83, v109
	v_add_f32_e32 v3, v3, v79
	v_add_f32_e32 v2, v2, v119
	;; [unrolled: 6-line block ×6, first 2 shown]
	s_waitcnt lgkmcnt(0)
	v_mul_f32_e32 v78, v95, v105
	s_waitcnt vmcnt(4)
	v_fma_f32 v79, v92, v114, -v79
	v_mul_f32_e32 v126, v94, v105
	v_add_f32_e32 v3, v3, v80
	v_fmac_f32_e32 v125, v93, v114
	v_add_f32_e32 v2, v2, v124
	v_mul_f32_e32 v80, v97, v106
	s_waitcnt vmcnt(3)
	v_fma_f32 v78, v94, v115, -v78
	v_add_f32_e32 v3, v3, v79
	v_mul_f32_e32 v127, v96, v106
	v_fmac_f32_e32 v126, v95, v115
	v_add_f32_e32 v2, v2, v125
	s_waitcnt vmcnt(2)
	v_fma_f32 v79, v96, v116, -v80
	v_add_f32_e32 v3, v3, v78
	v_fmac_f32_e32 v127, v97, v116
	v_add_f32_e32 v2, v2, v126
	v_add_f32_e32 v3, v3, v79
	;; [unrolled: 1-line block ×3, first 2 shown]
	s_waitcnt vmcnt(1)
	v_sub_f32_e32 v3, v117, v3
	s_waitcnt vmcnt(0)
	v_sub_f32_e32 v2, v118, v2
	buffer_store_dword v3, off, s[0:3], 0 offset:208
	buffer_store_dword v2, off, s[0:3], 0 offset:212
	v_cmpx_lt_u32_e32 25, v0
	s_cbranch_execz .LBB36_185
; %bb.184:
	s_clause 0x1
	buffer_load_dword v2, off, s[0:3], 0 offset:200
	buffer_load_dword v3, off, s[0:3], 0 offset:204
	v_mov_b32_e32 v78, 0
	buffer_store_dword v78, off, s[0:3], 0 offset:200
	buffer_store_dword v78, off, s[0:3], 0 offset:204
	s_waitcnt vmcnt(0)
	ds_write_b64 v1, v[2:3]
.LBB36_185:
	s_or_b32 exec_lo, exec_lo, s4
	s_waitcnt lgkmcnt(0)
	s_waitcnt_vscnt null, 0x0
	s_barrier
	buffer_gl0_inv
	s_clause 0x17
	buffer_load_dword v3, off, s[0:3], 0 offset:212
	buffer_load_dword v100, off, s[0:3], 0 offset:220
	;; [unrolled: 1-line block ×24, first 2 shown]
	v_mov_b32_e32 v2, 0
	ds_read_b128 v[78:81], v2 offset:512
	ds_read_b128 v[82:85], v2 offset:528
	;; [unrolled: 1-line block ×5, first 2 shown]
	ds_read_b64 v[98:99], v2 offset:592
	s_mov_b32 s4, exec_lo
	s_waitcnt vmcnt(23) lgkmcnt(5)
	v_mul_f32_e32 v123, v78, v3
	v_mul_f32_e32 v3, v79, v3
	s_waitcnt vmcnt(22)
	v_mul_f32_e32 v124, v80, v100
	v_mul_f32_e32 v100, v81, v100
	s_waitcnt vmcnt(21) lgkmcnt(4)
	v_mul_f32_e32 v125, v82, v101
	s_waitcnt vmcnt(20)
	v_mul_f32_e32 v126, v84, v102
	s_waitcnt vmcnt(19) lgkmcnt(3)
	v_mul_f32_e32 v127, v86, v103
	s_waitcnt vmcnt(18)
	;; [unrolled: 4-line block ×4, first 2 shown]
	v_fma_f32 v3, v78, v110, -v3
	v_fmac_f32_e32 v123, v79, v110
	v_mul_f32_e32 v78, v83, v101
	s_waitcnt vmcnt(11)
	v_fma_f32 v79, v80, v111, -v100
	v_fmac_f32_e32 v124, v81, v111
	v_add_f32_e32 v3, 0, v3
	v_add_f32_e32 v80, 0, v123
	v_mul_f32_e32 v81, v85, v102
	s_waitcnt vmcnt(10)
	v_fma_f32 v78, v82, v112, -v78
	v_fmac_f32_e32 v125, v83, v112
	v_add_f32_e32 v3, v3, v79
	v_add_f32_e32 v79, v80, v124
	v_mul_f32_e32 v80, v87, v103
	s_waitcnt vmcnt(9)
	v_fma_f32 v81, v84, v113, -v81
	v_fmac_f32_e32 v126, v85, v113
	v_add_f32_e32 v3, v3, v78
	v_add_f32_e32 v78, v79, v125
	v_mul_f32_e32 v79, v89, v104
	s_waitcnt vmcnt(8)
	v_fma_f32 v80, v86, v114, -v80
	v_fmac_f32_e32 v127, v87, v114
	v_add_f32_e32 v3, v3, v81
	v_add_f32_e32 v78, v78, v126
	v_mul_f32_e32 v81, v91, v105
	s_waitcnt vmcnt(7)
	v_fma_f32 v79, v88, v115, -v79
	v_fmac_f32_e32 v128, v89, v115
	v_add_f32_e32 v3, v3, v80
	v_add_f32_e32 v78, v78, v127
	v_mul_f32_e32 v80, v93, v106
	s_waitcnt vmcnt(6)
	v_fma_f32 v81, v90, v116, -v81
	v_fmac_f32_e32 v129, v91, v116
	v_add_f32_e32 v3, v3, v79
	v_add_f32_e32 v78, v78, v128
	v_mul_f32_e32 v79, v95, v107
	s_waitcnt vmcnt(5)
	v_fma_f32 v80, v92, v117, -v80
	v_fmac_f32_e32 v130, v93, v117
	v_add_f32_e32 v3, v3, v81
	v_add_f32_e32 v78, v78, v129
	v_mul_f32_e32 v81, v97, v108
	s_waitcnt vmcnt(4)
	v_fma_f32 v79, v94, v118, -v79
	v_mul_f32_e32 v132, v96, v108
	v_add_f32_e32 v3, v3, v80
	v_fmac_f32_e32 v131, v95, v118
	v_add_f32_e32 v78, v78, v130
	s_waitcnt lgkmcnt(0)
	v_mul_f32_e32 v80, v99, v109
	s_waitcnt vmcnt(3)
	v_fma_f32 v81, v96, v119, -v81
	v_add_f32_e32 v3, v3, v79
	v_mul_f32_e32 v133, v98, v109
	v_fmac_f32_e32 v132, v97, v119
	v_add_f32_e32 v78, v78, v131
	s_waitcnt vmcnt(2)
	v_fma_f32 v79, v98, v120, -v80
	v_add_f32_e32 v3, v3, v81
	v_fmac_f32_e32 v133, v99, v120
	v_add_f32_e32 v78, v78, v132
	v_add_f32_e32 v3, v3, v79
	;; [unrolled: 1-line block ×3, first 2 shown]
	s_waitcnt vmcnt(1)
	v_sub_f32_e32 v3, v121, v3
	s_waitcnt vmcnt(0)
	v_sub_f32_e32 v78, v122, v78
	buffer_store_dword v3, off, s[0:3], 0 offset:200
	buffer_store_dword v78, off, s[0:3], 0 offset:204
	v_cmpx_lt_u32_e32 24, v0
	s_cbranch_execz .LBB36_187
; %bb.186:
	s_clause 0x1
	buffer_load_dword v78, off, s[0:3], 0 offset:192
	buffer_load_dword v79, off, s[0:3], 0 offset:196
	buffer_store_dword v2, off, s[0:3], 0 offset:192
	buffer_store_dword v2, off, s[0:3], 0 offset:196
	s_waitcnt vmcnt(0)
	ds_write_b64 v1, v[78:79]
.LBB36_187:
	s_or_b32 exec_lo, exec_lo, s4
	s_waitcnt lgkmcnt(0)
	s_waitcnt_vscnt null, 0x0
	s_barrier
	buffer_gl0_inv
	s_clause 0x19
	buffer_load_dword v3, off, s[0:3], 0 offset:204
	buffer_load_dword v102, off, s[0:3], 0 offset:212
	;; [unrolled: 1-line block ×26, first 2 shown]
	ds_read2_b64 v[78:81], v2 offset0:63 offset1:64
	ds_read2_b64 v[82:85], v2 offset0:65 offset1:66
	;; [unrolled: 1-line block ×6, first 2 shown]
	s_mov_b32 s4, exec_lo
	s_waitcnt vmcnt(25) lgkmcnt(5)
	v_mul_f32_e32 v2, v78, v3
	v_mul_f32_e32 v3, v79, v3
	s_waitcnt vmcnt(24)
	v_mul_f32_e32 v127, v80, v102
	v_mul_f32_e32 v102, v81, v102
	s_waitcnt vmcnt(23) lgkmcnt(4)
	v_mul_f32_e32 v128, v82, v103
	s_waitcnt vmcnt(22)
	v_mul_f32_e32 v129, v84, v104
	s_waitcnt vmcnt(21) lgkmcnt(3)
	v_mul_f32_e32 v130, v86, v105
	s_waitcnt vmcnt(20)
	;; [unrolled: 4-line block ×4, first 2 shown]
	v_mul_f32_e32 v135, v96, v110
	s_waitcnt vmcnt(13)
	v_fma_f32 v3, v78, v113, -v3
	v_fmac_f32_e32 v2, v79, v113
	v_mul_f32_e32 v78, v83, v103
	s_waitcnt vmcnt(12)
	v_fma_f32 v79, v80, v114, -v102
	v_fmac_f32_e32 v127, v81, v114
	v_add_f32_e32 v3, 0, v3
	v_add_f32_e32 v2, 0, v2
	v_mul_f32_e32 v80, v85, v104
	s_waitcnt vmcnt(11)
	v_fma_f32 v78, v82, v115, -v78
	v_fmac_f32_e32 v128, v83, v115
	v_add_f32_e32 v3, v3, v79
	v_add_f32_e32 v2, v2, v127
	;; [unrolled: 6-line block ×8, first 2 shown]
	s_waitcnt lgkmcnt(0)
	v_mul_f32_e32 v79, v99, v111
	s_waitcnt vmcnt(4)
	v_fma_f32 v80, v96, v122, -v80
	v_mul_f32_e32 v136, v98, v111
	v_add_f32_e32 v3, v3, v78
	v_fmac_f32_e32 v135, v97, v122
	v_add_f32_e32 v2, v2, v134
	v_mul_f32_e32 v78, v101, v112
	s_waitcnt vmcnt(3)
	v_fma_f32 v79, v98, v123, -v79
	v_add_f32_e32 v3, v3, v80
	v_mul_f32_e32 v137, v100, v112
	v_fmac_f32_e32 v136, v99, v123
	v_add_f32_e32 v2, v2, v135
	s_waitcnt vmcnt(2)
	v_fma_f32 v78, v100, v124, -v78
	v_add_f32_e32 v3, v3, v79
	v_fmac_f32_e32 v137, v101, v124
	v_add_f32_e32 v2, v2, v136
	v_add_f32_e32 v3, v3, v78
	;; [unrolled: 1-line block ×3, first 2 shown]
	s_waitcnt vmcnt(1)
	v_sub_f32_e32 v3, v125, v3
	s_waitcnt vmcnt(0)
	v_sub_f32_e32 v2, v126, v2
	buffer_store_dword v3, off, s[0:3], 0 offset:192
	buffer_store_dword v2, off, s[0:3], 0 offset:196
	v_cmpx_lt_u32_e32 23, v0
	s_cbranch_execz .LBB36_189
; %bb.188:
	s_clause 0x1
	buffer_load_dword v2, off, s[0:3], 0 offset:184
	buffer_load_dword v3, off, s[0:3], 0 offset:188
	v_mov_b32_e32 v78, 0
	buffer_store_dword v78, off, s[0:3], 0 offset:184
	buffer_store_dword v78, off, s[0:3], 0 offset:188
	s_waitcnt vmcnt(0)
	ds_write_b64 v1, v[2:3]
.LBB36_189:
	s_or_b32 exec_lo, exec_lo, s4
	s_waitcnt lgkmcnt(0)
	s_waitcnt_vscnt null, 0x0
	s_barrier
	buffer_gl0_inv
	s_clause 0x1b
	buffer_load_dword v3, off, s[0:3], 0 offset:196
	buffer_load_dword v104, off, s[0:3], 0 offset:204
	;; [unrolled: 1-line block ×28, first 2 shown]
	v_mov_b32_e32 v2, 0
	ds_read_b128 v[78:81], v2 offset:496
	ds_read_b128 v[82:85], v2 offset:512
	;; [unrolled: 1-line block ×6, first 2 shown]
	ds_read_b64 v[102:103], v2 offset:592
	s_mov_b32 s4, exec_lo
	s_waitcnt vmcnt(27) lgkmcnt(6)
	v_mul_f32_e32 v131, v78, v3
	v_mul_f32_e32 v3, v79, v3
	s_waitcnt vmcnt(26)
	v_mul_f32_e32 v132, v80, v104
	v_mul_f32_e32 v104, v81, v104
	s_waitcnt vmcnt(25) lgkmcnt(5)
	v_mul_f32_e32 v133, v82, v105
	s_waitcnt vmcnt(24)
	v_mul_f32_e32 v134, v84, v106
	s_waitcnt vmcnt(23) lgkmcnt(4)
	v_mul_f32_e32 v135, v86, v107
	s_waitcnt vmcnt(22)
	;; [unrolled: 4-line block ×5, first 2 shown]
	v_fma_f32 v3, v78, v116, -v3
	v_fmac_f32_e32 v131, v79, v116
	v_mul_f32_e32 v78, v83, v105
	s_waitcnt vmcnt(13)
	v_fma_f32 v79, v80, v117, -v104
	v_fmac_f32_e32 v132, v81, v117
	v_add_f32_e32 v3, 0, v3
	v_add_f32_e32 v80, 0, v131
	v_mul_f32_e32 v81, v85, v106
	s_waitcnt vmcnt(12)
	v_fma_f32 v78, v82, v118, -v78
	v_fmac_f32_e32 v133, v83, v118
	v_add_f32_e32 v3, v3, v79
	v_add_f32_e32 v79, v80, v132
	;; [unrolled: 6-line block ×9, first 2 shown]
	v_mul_f32_e32 v79, v101, v114
	s_waitcnt vmcnt(4)
	v_fma_f32 v80, v98, v126, -v80
	v_mul_f32_e32 v142, v100, v114
	v_add_f32_e32 v3, v3, v81
	v_fmac_f32_e32 v141, v99, v126
	v_add_f32_e32 v78, v78, v140
	s_waitcnt lgkmcnt(0)
	v_mul_f32_e32 v81, v103, v115
	s_waitcnt vmcnt(3)
	v_fma_f32 v79, v100, v127, -v79
	v_add_f32_e32 v3, v3, v80
	v_mul_f32_e32 v143, v102, v115
	v_fmac_f32_e32 v142, v101, v127
	v_add_f32_e32 v78, v78, v141
	s_waitcnt vmcnt(2)
	v_fma_f32 v80, v102, v128, -v81
	v_add_f32_e32 v3, v3, v79
	v_fmac_f32_e32 v143, v103, v128
	v_add_f32_e32 v78, v78, v142
	v_add_f32_e32 v3, v3, v80
	;; [unrolled: 1-line block ×3, first 2 shown]
	s_waitcnt vmcnt(1)
	v_sub_f32_e32 v3, v129, v3
	s_waitcnt vmcnt(0)
	v_sub_f32_e32 v78, v130, v78
	buffer_store_dword v3, off, s[0:3], 0 offset:184
	buffer_store_dword v78, off, s[0:3], 0 offset:188
	v_cmpx_lt_u32_e32 22, v0
	s_cbranch_execz .LBB36_191
; %bb.190:
	s_clause 0x1
	buffer_load_dword v78, off, s[0:3], 0 offset:176
	buffer_load_dword v79, off, s[0:3], 0 offset:180
	buffer_store_dword v2, off, s[0:3], 0 offset:176
	buffer_store_dword v2, off, s[0:3], 0 offset:180
	s_waitcnt vmcnt(0)
	ds_write_b64 v1, v[78:79]
.LBB36_191:
	s_or_b32 exec_lo, exec_lo, s4
	s_waitcnt lgkmcnt(0)
	s_waitcnt_vscnt null, 0x0
	s_barrier
	buffer_gl0_inv
	s_clause 0x1d
	buffer_load_dword v3, off, s[0:3], 0 offset:188
	buffer_load_dword v106, off, s[0:3], 0 offset:196
	;; [unrolled: 1-line block ×30, first 2 shown]
	ds_read2_b64 v[78:81], v2 offset0:61 offset1:62
	ds_read2_b64 v[82:85], v2 offset0:63 offset1:64
	ds_read2_b64 v[86:89], v2 offset0:65 offset1:66
	ds_read2_b64 v[90:93], v2 offset0:67 offset1:68
	ds_read2_b64 v[94:97], v2 offset0:69 offset1:70
	ds_read2_b64 v[98:101], v2 offset0:71 offset1:72
	ds_read2_b64 v[102:105], v2 offset0:73 offset1:74
	s_mov_b32 s4, exec_lo
	s_waitcnt vmcnt(29) lgkmcnt(6)
	v_mul_f32_e32 v2, v78, v3
	v_mul_f32_e32 v3, v79, v3
	s_waitcnt vmcnt(28)
	v_mul_f32_e32 v135, v80, v106
	v_mul_f32_e32 v106, v81, v106
	s_waitcnt vmcnt(27) lgkmcnt(5)
	v_mul_f32_e32 v136, v82, v107
	s_waitcnt vmcnt(26)
	v_mul_f32_e32 v137, v84, v108
	s_waitcnt vmcnt(25) lgkmcnt(4)
	v_mul_f32_e32 v138, v86, v109
	s_waitcnt vmcnt(24)
	;; [unrolled: 4-line block ×5, first 2 shown]
	v_mul_f32_e32 v145, v100, v116
	s_waitcnt vmcnt(15)
	v_fma_f32 v3, v78, v119, -v3
	v_fmac_f32_e32 v2, v79, v119
	v_mul_f32_e32 v78, v83, v107
	s_waitcnt vmcnt(14)
	v_fma_f32 v79, v80, v120, -v106
	v_fmac_f32_e32 v135, v81, v120
	v_add_f32_e32 v3, 0, v3
	v_add_f32_e32 v2, 0, v2
	v_mul_f32_e32 v80, v85, v108
	s_waitcnt vmcnt(13)
	v_fma_f32 v78, v82, v121, -v78
	v_fmac_f32_e32 v136, v83, v121
	v_add_f32_e32 v3, v3, v79
	v_add_f32_e32 v2, v2, v135
	;; [unrolled: 6-line block ×10, first 2 shown]
	s_waitcnt lgkmcnt(0)
	v_mul_f32_e32 v80, v103, v117
	s_waitcnt vmcnt(4)
	v_fma_f32 v78, v100, v130, -v78
	v_mul_f32_e32 v146, v102, v117
	v_add_f32_e32 v3, v3, v79
	v_fmac_f32_e32 v145, v101, v130
	v_add_f32_e32 v2, v2, v144
	v_mul_f32_e32 v79, v105, v118
	s_waitcnt vmcnt(3)
	v_fma_f32 v80, v102, v131, -v80
	v_add_f32_e32 v3, v3, v78
	v_mul_f32_e32 v147, v104, v118
	v_fmac_f32_e32 v146, v103, v131
	v_add_f32_e32 v2, v2, v145
	s_waitcnt vmcnt(2)
	v_fma_f32 v78, v104, v132, -v79
	v_add_f32_e32 v3, v3, v80
	v_fmac_f32_e32 v147, v105, v132
	v_add_f32_e32 v2, v2, v146
	v_add_f32_e32 v3, v3, v78
	;; [unrolled: 1-line block ×3, first 2 shown]
	s_waitcnt vmcnt(1)
	v_sub_f32_e32 v3, v133, v3
	s_waitcnt vmcnt(0)
	v_sub_f32_e32 v2, v134, v2
	buffer_store_dword v3, off, s[0:3], 0 offset:176
	buffer_store_dword v2, off, s[0:3], 0 offset:180
	v_cmpx_lt_u32_e32 21, v0
	s_cbranch_execz .LBB36_193
; %bb.192:
	s_clause 0x1
	buffer_load_dword v2, off, s[0:3], 0 offset:168
	buffer_load_dword v3, off, s[0:3], 0 offset:172
	v_mov_b32_e32 v78, 0
	buffer_store_dword v78, off, s[0:3], 0 offset:168
	buffer_store_dword v78, off, s[0:3], 0 offset:172
	s_waitcnt vmcnt(0)
	ds_write_b64 v1, v[2:3]
.LBB36_193:
	s_or_b32 exec_lo, exec_lo, s4
	s_waitcnt lgkmcnt(0)
	s_waitcnt_vscnt null, 0x0
	s_barrier
	buffer_gl0_inv
	s_clause 0x1f
	buffer_load_dword v3, off, s[0:3], 0 offset:180
	buffer_load_dword v108, off, s[0:3], 0 offset:188
	;; [unrolled: 1-line block ×32, first 2 shown]
	v_mov_b32_e32 v2, 0
	ds_read_b128 v[78:81], v2 offset:480
	ds_read_b128 v[82:85], v2 offset:496
	;; [unrolled: 1-line block ×7, first 2 shown]
	ds_read_b64 v[106:107], v2 offset:592
	s_mov_b32 s4, exec_lo
	s_waitcnt vmcnt(31) lgkmcnt(7)
	v_mul_f32_e32 v139, v78, v3
	v_mul_f32_e32 v3, v79, v3
	s_waitcnt vmcnt(30)
	v_mul_f32_e32 v140, v80, v108
	v_mul_f32_e32 v108, v81, v108
	s_waitcnt vmcnt(29) lgkmcnt(6)
	v_mul_f32_e32 v141, v82, v109
	s_waitcnt vmcnt(28)
	v_mul_f32_e32 v142, v84, v110
	s_waitcnt vmcnt(27) lgkmcnt(5)
	v_mul_f32_e32 v143, v86, v111
	s_waitcnt vmcnt(26)
	;; [unrolled: 4-line block ×6, first 2 shown]
	v_fma_f32 v3, v78, v122, -v3
	v_fmac_f32_e32 v139, v79, v122
	v_mul_f32_e32 v78, v83, v109
	s_waitcnt vmcnt(15)
	v_fma_f32 v79, v80, v123, -v108
	v_fmac_f32_e32 v140, v81, v123
	v_add_f32_e32 v3, 0, v3
	v_add_f32_e32 v80, 0, v139
	v_mul_f32_e32 v81, v85, v110
	s_waitcnt vmcnt(14)
	v_fma_f32 v78, v82, v124, -v78
	v_fmac_f32_e32 v141, v83, v124
	v_add_f32_e32 v3, v3, v79
	v_add_f32_e32 v79, v80, v140
	;; [unrolled: 6-line block ×11, first 2 shown]
	v_mul_f32_e32 v80, v105, v120
	s_waitcnt vmcnt(4)
	v_fma_f32 v81, v102, v134, -v81
	v_mul_f32_e32 v152, v104, v120
	v_add_f32_e32 v3, v3, v79
	v_fmac_f32_e32 v151, v103, v134
	v_add_f32_e32 v78, v78, v150
	s_waitcnt lgkmcnt(0)
	v_mul_f32_e32 v79, v107, v121
	s_waitcnt vmcnt(3)
	v_fma_f32 v80, v104, v135, -v80
	v_add_f32_e32 v3, v3, v81
	v_mul_f32_e32 v153, v106, v121
	v_fmac_f32_e32 v152, v105, v135
	v_add_f32_e32 v78, v78, v151
	s_waitcnt vmcnt(2)
	v_fma_f32 v79, v106, v136, -v79
	v_add_f32_e32 v3, v3, v80
	v_fmac_f32_e32 v153, v107, v136
	v_add_f32_e32 v78, v78, v152
	v_add_f32_e32 v3, v3, v79
	;; [unrolled: 1-line block ×3, first 2 shown]
	s_waitcnt vmcnt(1)
	v_sub_f32_e32 v3, v137, v3
	s_waitcnt vmcnt(0)
	v_sub_f32_e32 v78, v138, v78
	buffer_store_dword v3, off, s[0:3], 0 offset:168
	buffer_store_dword v78, off, s[0:3], 0 offset:172
	v_cmpx_lt_u32_e32 20, v0
	s_cbranch_execz .LBB36_195
; %bb.194:
	s_clause 0x1
	buffer_load_dword v78, off, s[0:3], 0 offset:160
	buffer_load_dword v79, off, s[0:3], 0 offset:164
	buffer_store_dword v2, off, s[0:3], 0 offset:160
	buffer_store_dword v2, off, s[0:3], 0 offset:164
	s_waitcnt vmcnt(0)
	ds_write_b64 v1, v[78:79]
.LBB36_195:
	s_or_b32 exec_lo, exec_lo, s4
	s_waitcnt lgkmcnt(0)
	s_waitcnt_vscnt null, 0x0
	s_barrier
	buffer_gl0_inv
	s_clause 0x21
	buffer_load_dword v3, off, s[0:3], 0 offset:172
	buffer_load_dword v110, off, s[0:3], 0 offset:180
	;; [unrolled: 1-line block ×34, first 2 shown]
	ds_read2_b64 v[78:81], v2 offset0:59 offset1:60
	ds_read2_b64 v[82:85], v2 offset0:61 offset1:62
	;; [unrolled: 1-line block ×8, first 2 shown]
	s_mov_b32 s4, exec_lo
	s_waitcnt vmcnt(33) lgkmcnt(7)
	v_mul_f32_e32 v2, v78, v3
	v_mul_f32_e32 v3, v79, v3
	s_waitcnt vmcnt(32)
	v_mul_f32_e32 v143, v80, v110
	v_mul_f32_e32 v110, v81, v110
	s_waitcnt vmcnt(31) lgkmcnt(6)
	v_mul_f32_e32 v144, v82, v111
	s_waitcnt vmcnt(30)
	v_mul_f32_e32 v145, v84, v112
	s_waitcnt vmcnt(29) lgkmcnt(5)
	v_mul_f32_e32 v146, v86, v113
	s_waitcnt vmcnt(28)
	;; [unrolled: 4-line block ×6, first 2 shown]
	v_mul_f32_e32 v155, v104, v122
	s_waitcnt vmcnt(17)
	v_fma_f32 v3, v78, v125, -v3
	v_fmac_f32_e32 v2, v79, v125
	v_mul_f32_e32 v78, v83, v111
	s_waitcnt vmcnt(16)
	v_fma_f32 v79, v80, v126, -v110
	v_fmac_f32_e32 v143, v81, v126
	v_add_f32_e32 v3, 0, v3
	v_add_f32_e32 v2, 0, v2
	v_mul_f32_e32 v80, v85, v112
	s_waitcnt vmcnt(15)
	v_fma_f32 v78, v82, v127, -v78
	v_fmac_f32_e32 v144, v83, v127
	v_add_f32_e32 v3, v3, v79
	v_add_f32_e32 v2, v2, v143
	;; [unrolled: 6-line block ×12, first 2 shown]
	s_waitcnt lgkmcnt(0)
	v_mul_f32_e32 v78, v107, v123
	s_waitcnt vmcnt(4)
	v_fma_f32 v79, v104, v138, -v79
	v_mul_f32_e32 v156, v106, v123
	v_add_f32_e32 v3, v3, v80
	v_fmac_f32_e32 v155, v105, v138
	v_add_f32_e32 v2, v2, v154
	v_mul_f32_e32 v80, v109, v124
	s_waitcnt vmcnt(3)
	v_fma_f32 v78, v106, v139, -v78
	v_add_f32_e32 v3, v3, v79
	v_mul_f32_e32 v157, v108, v124
	v_fmac_f32_e32 v156, v107, v139
	v_add_f32_e32 v2, v2, v155
	s_waitcnt vmcnt(2)
	v_fma_f32 v79, v108, v140, -v80
	v_add_f32_e32 v3, v3, v78
	v_fmac_f32_e32 v157, v109, v140
	v_add_f32_e32 v2, v2, v156
	v_add_f32_e32 v3, v3, v79
	v_add_f32_e32 v2, v2, v157
	s_waitcnt vmcnt(1)
	v_sub_f32_e32 v3, v141, v3
	s_waitcnt vmcnt(0)
	v_sub_f32_e32 v2, v142, v2
	buffer_store_dword v3, off, s[0:3], 0 offset:160
	buffer_store_dword v2, off, s[0:3], 0 offset:164
	v_cmpx_lt_u32_e32 19, v0
	s_cbranch_execz .LBB36_197
; %bb.196:
	s_clause 0x1
	buffer_load_dword v2, off, s[0:3], 0 offset:152
	buffer_load_dword v3, off, s[0:3], 0 offset:156
	v_mov_b32_e32 v78, 0
	buffer_store_dword v78, off, s[0:3], 0 offset:152
	buffer_store_dword v78, off, s[0:3], 0 offset:156
	s_waitcnt vmcnt(0)
	ds_write_b64 v1, v[2:3]
.LBB36_197:
	s_or_b32 exec_lo, exec_lo, s4
	s_waitcnt lgkmcnt(0)
	s_waitcnt_vscnt null, 0x0
	s_barrier
	buffer_gl0_inv
	s_clause 0x23
	buffer_load_dword v3, off, s[0:3], 0 offset:164
	buffer_load_dword v112, off, s[0:3], 0 offset:172
	;; [unrolled: 1-line block ×36, first 2 shown]
	v_mov_b32_e32 v2, 0
	ds_read_b128 v[78:81], v2 offset:464
	ds_read_b128 v[82:85], v2 offset:480
	;; [unrolled: 1-line block ×8, first 2 shown]
	ds_read_b64 v[110:111], v2 offset:592
	s_mov_b32 s4, exec_lo
	s_waitcnt vmcnt(35) lgkmcnt(8)
	v_mul_f32_e32 v147, v78, v3
	v_mul_f32_e32 v3, v79, v3
	s_waitcnt vmcnt(34)
	v_mul_f32_e32 v148, v80, v112
	v_mul_f32_e32 v112, v81, v112
	s_waitcnt vmcnt(33) lgkmcnt(7)
	v_mul_f32_e32 v149, v82, v113
	s_waitcnt vmcnt(32)
	v_mul_f32_e32 v150, v84, v114
	s_waitcnt vmcnt(31) lgkmcnt(6)
	v_mul_f32_e32 v151, v86, v115
	s_waitcnt vmcnt(30)
	;; [unrolled: 4-line block ×7, first 2 shown]
	v_fma_f32 v3, v78, v128, -v3
	v_fmac_f32_e32 v147, v79, v128
	v_mul_f32_e32 v78, v83, v113
	s_waitcnt vmcnt(17)
	v_fma_f32 v79, v80, v129, -v112
	v_fmac_f32_e32 v148, v81, v129
	v_add_f32_e32 v3, 0, v3
	v_add_f32_e32 v80, 0, v147
	v_mul_f32_e32 v81, v85, v114
	s_waitcnt vmcnt(16)
	v_fma_f32 v78, v82, v130, -v78
	v_fmac_f32_e32 v149, v83, v130
	v_add_f32_e32 v3, v3, v79
	v_add_f32_e32 v79, v80, v148
	;; [unrolled: 6-line block ×13, first 2 shown]
	v_mul_f32_e32 v81, v109, v126
	s_waitcnt vmcnt(4)
	v_fma_f32 v79, v106, v142, -v79
	v_mul_f32_e32 v162, v108, v126
	v_add_f32_e32 v3, v3, v80
	v_fmac_f32_e32 v161, v107, v142
	v_add_f32_e32 v78, v78, v160
	s_waitcnt lgkmcnt(0)
	v_mul_f32_e32 v80, v111, v127
	s_waitcnt vmcnt(3)
	v_fma_f32 v81, v108, v143, -v81
	v_add_f32_e32 v3, v3, v79
	v_mul_f32_e32 v163, v110, v127
	v_fmac_f32_e32 v162, v109, v143
	v_add_f32_e32 v78, v78, v161
	s_waitcnt vmcnt(2)
	v_fma_f32 v79, v110, v144, -v80
	v_add_f32_e32 v3, v3, v81
	v_fmac_f32_e32 v163, v111, v144
	v_add_f32_e32 v78, v78, v162
	v_add_f32_e32 v3, v3, v79
	;; [unrolled: 1-line block ×3, first 2 shown]
	s_waitcnt vmcnt(1)
	v_sub_f32_e32 v3, v145, v3
	s_waitcnt vmcnt(0)
	v_sub_f32_e32 v78, v146, v78
	buffer_store_dword v3, off, s[0:3], 0 offset:152
	buffer_store_dword v78, off, s[0:3], 0 offset:156
	v_cmpx_lt_u32_e32 18, v0
	s_cbranch_execz .LBB36_199
; %bb.198:
	s_clause 0x1
	buffer_load_dword v78, off, s[0:3], 0 offset:144
	buffer_load_dword v79, off, s[0:3], 0 offset:148
	buffer_store_dword v2, off, s[0:3], 0 offset:144
	buffer_store_dword v2, off, s[0:3], 0 offset:148
	s_waitcnt vmcnt(0)
	ds_write_b64 v1, v[78:79]
.LBB36_199:
	s_or_b32 exec_lo, exec_lo, s4
	s_waitcnt lgkmcnt(0)
	s_waitcnt_vscnt null, 0x0
	s_barrier
	buffer_gl0_inv
	s_clause 0x25
	buffer_load_dword v3, off, s[0:3], 0 offset:156
	buffer_load_dword v114, off, s[0:3], 0 offset:164
	buffer_load_dword v115, off, s[0:3], 0 offset:172
	buffer_load_dword v116, off, s[0:3], 0 offset:180
	buffer_load_dword v117, off, s[0:3], 0 offset:188
	buffer_load_dword v118, off, s[0:3], 0 offset:196
	buffer_load_dword v119, off, s[0:3], 0 offset:204
	buffer_load_dword v120, off, s[0:3], 0 offset:212
	buffer_load_dword v121, off, s[0:3], 0 offset:220
	buffer_load_dword v122, off, s[0:3], 0 offset:228
	buffer_load_dword v123, off, s[0:3], 0 offset:236
	buffer_load_dword v124, off, s[0:3], 0 offset:244
	buffer_load_dword v125, off, s[0:3], 0 offset:252
	buffer_load_dword v126, off, s[0:3], 0 offset:260
	buffer_load_dword v127, off, s[0:3], 0 offset:268
	buffer_load_dword v128, off, s[0:3], 0 offset:276
	buffer_load_dword v129, off, s[0:3], 0 offset:284
	buffer_load_dword v130, off, s[0:3], 0 offset:292
	buffer_load_dword v131, off, s[0:3], 0 offset:152
	buffer_load_dword v132, off, s[0:3], 0 offset:160
	buffer_load_dword v133, off, s[0:3], 0 offset:168
	buffer_load_dword v134, off, s[0:3], 0 offset:176
	buffer_load_dword v135, off, s[0:3], 0 offset:184
	buffer_load_dword v136, off, s[0:3], 0 offset:192
	buffer_load_dword v137, off, s[0:3], 0 offset:200
	buffer_load_dword v138, off, s[0:3], 0 offset:208
	buffer_load_dword v139, off, s[0:3], 0 offset:216
	buffer_load_dword v140, off, s[0:3], 0 offset:224
	buffer_load_dword v141, off, s[0:3], 0 offset:232
	buffer_load_dword v142, off, s[0:3], 0 offset:240
	buffer_load_dword v143, off, s[0:3], 0 offset:248
	buffer_load_dword v144, off, s[0:3], 0 offset:256
	buffer_load_dword v145, off, s[0:3], 0 offset:264
	buffer_load_dword v146, off, s[0:3], 0 offset:272
	buffer_load_dword v147, off, s[0:3], 0 offset:280
	buffer_load_dword v148, off, s[0:3], 0 offset:288
	buffer_load_dword v149, off, s[0:3], 0 offset:144
	buffer_load_dword v150, off, s[0:3], 0 offset:148
	ds_read2_b64 v[78:81], v2 offset0:57 offset1:58
	ds_read2_b64 v[82:85], v2 offset0:59 offset1:60
	;; [unrolled: 1-line block ×9, first 2 shown]
	s_mov_b32 s4, exec_lo
	s_waitcnt vmcnt(37) lgkmcnt(8)
	v_mul_f32_e32 v2, v78, v3
	v_mul_f32_e32 v3, v79, v3
	s_waitcnt vmcnt(36)
	v_mul_f32_e32 v151, v80, v114
	v_mul_f32_e32 v114, v81, v114
	s_waitcnt vmcnt(35) lgkmcnt(7)
	v_mul_f32_e32 v152, v82, v115
	s_waitcnt vmcnt(34)
	v_mul_f32_e32 v153, v84, v116
	s_waitcnt vmcnt(33) lgkmcnt(6)
	v_mul_f32_e32 v154, v86, v117
	s_waitcnt vmcnt(32)
	;; [unrolled: 4-line block ×7, first 2 shown]
	v_mul_f32_e32 v165, v108, v128
	s_waitcnt vmcnt(19)
	v_fma_f32 v3, v78, v131, -v3
	v_fmac_f32_e32 v2, v79, v131
	v_mul_f32_e32 v78, v83, v115
	s_waitcnt vmcnt(18)
	v_fma_f32 v79, v80, v132, -v114
	v_fmac_f32_e32 v151, v81, v132
	v_add_f32_e32 v3, 0, v3
	v_add_f32_e32 v2, 0, v2
	v_mul_f32_e32 v80, v85, v116
	s_waitcnt vmcnt(17)
	v_fma_f32 v78, v82, v133, -v78
	v_fmac_f32_e32 v152, v83, v133
	v_add_f32_e32 v3, v3, v79
	v_add_f32_e32 v2, v2, v151
	;; [unrolled: 6-line block ×14, first 2 shown]
	s_waitcnt lgkmcnt(0)
	v_mul_f32_e32 v79, v111, v129
	s_waitcnt vmcnt(4)
	v_fma_f32 v80, v108, v146, -v80
	v_mul_f32_e32 v166, v110, v129
	v_add_f32_e32 v3, v3, v78
	v_fmac_f32_e32 v165, v109, v146
	v_add_f32_e32 v2, v2, v164
	v_mul_f32_e32 v78, v113, v130
	s_waitcnt vmcnt(3)
	v_fma_f32 v79, v110, v147, -v79
	v_add_f32_e32 v3, v3, v80
	v_mul_f32_e32 v167, v112, v130
	v_fmac_f32_e32 v166, v111, v147
	v_add_f32_e32 v2, v2, v165
	s_waitcnt vmcnt(2)
	v_fma_f32 v78, v112, v148, -v78
	v_add_f32_e32 v3, v3, v79
	v_fmac_f32_e32 v167, v113, v148
	v_add_f32_e32 v2, v2, v166
	v_add_f32_e32 v3, v3, v78
	;; [unrolled: 1-line block ×3, first 2 shown]
	s_waitcnt vmcnt(1)
	v_sub_f32_e32 v3, v149, v3
	s_waitcnt vmcnt(0)
	v_sub_f32_e32 v2, v150, v2
	buffer_store_dword v3, off, s[0:3], 0 offset:144
	buffer_store_dword v2, off, s[0:3], 0 offset:148
	v_cmpx_lt_u32_e32 17, v0
	s_cbranch_execz .LBB36_201
; %bb.200:
	s_clause 0x1
	buffer_load_dword v2, off, s[0:3], 0 offset:136
	buffer_load_dword v3, off, s[0:3], 0 offset:140
	v_mov_b32_e32 v78, 0
	buffer_store_dword v78, off, s[0:3], 0 offset:136
	buffer_store_dword v78, off, s[0:3], 0 offset:140
	s_waitcnt vmcnt(0)
	ds_write_b64 v1, v[2:3]
.LBB36_201:
	s_or_b32 exec_lo, exec_lo, s4
	s_waitcnt lgkmcnt(0)
	s_waitcnt_vscnt null, 0x0
	s_barrier
	buffer_gl0_inv
	s_clause 0x27
	buffer_load_dword v3, off, s[0:3], 0 offset:148
	buffer_load_dword v116, off, s[0:3], 0 offset:156
	;; [unrolled: 1-line block ×40, first 2 shown]
	v_mov_b32_e32 v2, 0
	ds_read_b128 v[78:81], v2 offset:448
	ds_read_b128 v[82:85], v2 offset:464
	;; [unrolled: 1-line block ×9, first 2 shown]
	ds_read_b64 v[114:115], v2 offset:592
	s_mov_b32 s4, exec_lo
	s_waitcnt vmcnt(39) lgkmcnt(9)
	v_mul_f32_e32 v155, v78, v3
	v_mul_f32_e32 v3, v79, v3
	s_waitcnt vmcnt(38)
	v_mul_f32_e32 v156, v80, v116
	v_mul_f32_e32 v116, v81, v116
	s_waitcnt vmcnt(37) lgkmcnt(8)
	v_mul_f32_e32 v157, v82, v117
	s_waitcnt vmcnt(36)
	v_mul_f32_e32 v158, v84, v118
	s_waitcnt vmcnt(35) lgkmcnt(7)
	v_mul_f32_e32 v159, v86, v119
	s_waitcnt vmcnt(34)
	;; [unrolled: 4-line block ×8, first 2 shown]
	v_fma_f32 v3, v78, v134, -v3
	v_fmac_f32_e32 v155, v79, v134
	v_mul_f32_e32 v78, v83, v117
	s_waitcnt vmcnt(19)
	v_fma_f32 v79, v80, v135, -v116
	v_fmac_f32_e32 v156, v81, v135
	v_add_f32_e32 v3, 0, v3
	v_add_f32_e32 v80, 0, v155
	v_mul_f32_e32 v81, v85, v118
	s_waitcnt vmcnt(18)
	v_fma_f32 v78, v82, v136, -v78
	v_fmac_f32_e32 v157, v83, v136
	v_add_f32_e32 v3, v3, v79
	v_add_f32_e32 v79, v80, v156
	;; [unrolled: 6-line block ×15, first 2 shown]
	v_mul_f32_e32 v79, v113, v132
	s_waitcnt vmcnt(4)
	v_fma_f32 v80, v110, v150, -v80
	v_mul_f32_e32 v172, v112, v132
	v_add_f32_e32 v3, v3, v81
	v_fmac_f32_e32 v171, v111, v150
	v_add_f32_e32 v78, v78, v170
	s_waitcnt lgkmcnt(0)
	v_mul_f32_e32 v81, v115, v133
	s_waitcnt vmcnt(3)
	v_fma_f32 v79, v112, v151, -v79
	v_add_f32_e32 v3, v3, v80
	v_mul_f32_e32 v173, v114, v133
	v_fmac_f32_e32 v172, v113, v151
	v_add_f32_e32 v78, v78, v171
	s_waitcnt vmcnt(2)
	v_fma_f32 v80, v114, v152, -v81
	v_add_f32_e32 v3, v3, v79
	v_fmac_f32_e32 v173, v115, v152
	v_add_f32_e32 v78, v78, v172
	v_add_f32_e32 v3, v3, v80
	;; [unrolled: 1-line block ×3, first 2 shown]
	s_waitcnt vmcnt(1)
	v_sub_f32_e32 v3, v153, v3
	s_waitcnt vmcnt(0)
	v_sub_f32_e32 v78, v154, v78
	buffer_store_dword v3, off, s[0:3], 0 offset:136
	buffer_store_dword v78, off, s[0:3], 0 offset:140
	v_cmpx_lt_u32_e32 16, v0
	s_cbranch_execz .LBB36_203
; %bb.202:
	s_clause 0x1
	buffer_load_dword v78, off, s[0:3], 0 offset:128
	buffer_load_dword v79, off, s[0:3], 0 offset:132
	buffer_store_dword v2, off, s[0:3], 0 offset:128
	buffer_store_dword v2, off, s[0:3], 0 offset:132
	s_waitcnt vmcnt(0)
	ds_write_b64 v1, v[78:79]
.LBB36_203:
	s_or_b32 exec_lo, exec_lo, s4
	s_waitcnt lgkmcnt(0)
	s_waitcnt_vscnt null, 0x0
	s_barrier
	buffer_gl0_inv
	s_clause 0x29
	buffer_load_dword v3, off, s[0:3], 0 offset:140
	buffer_load_dword v118, off, s[0:3], 0 offset:148
	;; [unrolled: 1-line block ×42, first 2 shown]
	ds_read2_b64 v[78:81], v2 offset0:55 offset1:56
	ds_read2_b64 v[82:85], v2 offset0:57 offset1:58
	;; [unrolled: 1-line block ×10, first 2 shown]
	s_mov_b32 s4, exec_lo
	s_waitcnt vmcnt(41) lgkmcnt(9)
	v_mul_f32_e32 v2, v78, v3
	v_mul_f32_e32 v3, v79, v3
	s_waitcnt vmcnt(40)
	v_mul_f32_e32 v159, v80, v118
	v_mul_f32_e32 v118, v81, v118
	s_waitcnt vmcnt(39) lgkmcnt(8)
	v_mul_f32_e32 v160, v82, v119
	s_waitcnt vmcnt(38)
	v_mul_f32_e32 v161, v84, v120
	s_waitcnt vmcnt(37) lgkmcnt(7)
	v_mul_f32_e32 v162, v86, v121
	s_waitcnt vmcnt(36)
	;; [unrolled: 4-line block ×8, first 2 shown]
	v_mul_f32_e32 v175, v112, v134
	s_waitcnt vmcnt(21)
	v_fma_f32 v3, v78, v137, -v3
	v_fmac_f32_e32 v2, v79, v137
	v_mul_f32_e32 v78, v83, v119
	s_waitcnt vmcnt(20)
	v_fma_f32 v79, v80, v138, -v118
	v_fmac_f32_e32 v159, v81, v138
	v_add_f32_e32 v3, 0, v3
	v_add_f32_e32 v2, 0, v2
	v_mul_f32_e32 v80, v85, v120
	s_waitcnt vmcnt(19)
	v_fma_f32 v78, v82, v139, -v78
	v_fmac_f32_e32 v160, v83, v139
	v_add_f32_e32 v3, v3, v79
	v_add_f32_e32 v2, v2, v159
	v_mul_f32_e32 v79, v87, v121
	s_waitcnt vmcnt(18)
	v_fma_f32 v80, v84, v140, -v80
	v_fmac_f32_e32 v161, v85, v140
	v_add_f32_e32 v3, v3, v78
	v_add_f32_e32 v2, v2, v160
	v_mul_f32_e32 v78, v89, v122
	s_waitcnt vmcnt(17)
	v_fma_f32 v79, v86, v141, -v79
	v_fmac_f32_e32 v162, v87, v141
	v_add_f32_e32 v3, v3, v80
	v_add_f32_e32 v2, v2, v161
	v_mul_f32_e32 v80, v91, v123
	s_waitcnt vmcnt(16)
	v_fma_f32 v78, v88, v142, -v78
	v_fmac_f32_e32 v163, v89, v142
	v_add_f32_e32 v3, v3, v79
	v_add_f32_e32 v2, v2, v162
	v_mul_f32_e32 v79, v93, v124
	s_waitcnt vmcnt(15)
	v_fma_f32 v80, v90, v143, -v80
	v_fmac_f32_e32 v164, v91, v143
	v_add_f32_e32 v3, v3, v78
	v_add_f32_e32 v2, v2, v163
	v_mul_f32_e32 v78, v95, v125
	s_waitcnt vmcnt(14)
	v_fma_f32 v79, v92, v144, -v79
	v_fmac_f32_e32 v165, v93, v144
	v_add_f32_e32 v3, v3, v80
	v_add_f32_e32 v2, v2, v164
	v_mul_f32_e32 v80, v97, v126
	s_waitcnt vmcnt(13)
	v_fma_f32 v78, v94, v145, -v78
	v_fmac_f32_e32 v166, v95, v145
	v_add_f32_e32 v3, v3, v79
	v_add_f32_e32 v2, v2, v165
	v_mul_f32_e32 v79, v99, v127
	s_waitcnt vmcnt(12)
	v_fma_f32 v80, v96, v146, -v80
	v_fmac_f32_e32 v167, v97, v146
	v_add_f32_e32 v3, v3, v78
	v_add_f32_e32 v2, v2, v166
	v_mul_f32_e32 v78, v101, v128
	s_waitcnt vmcnt(11)
	v_fma_f32 v79, v98, v147, -v79
	v_fmac_f32_e32 v168, v99, v147
	v_add_f32_e32 v3, v3, v80
	v_add_f32_e32 v2, v2, v167
	v_mul_f32_e32 v80, v103, v129
	s_waitcnt vmcnt(10)
	v_fma_f32 v78, v100, v148, -v78
	v_fmac_f32_e32 v169, v101, v148
	v_add_f32_e32 v3, v3, v79
	v_add_f32_e32 v2, v2, v168
	v_mul_f32_e32 v79, v105, v130
	s_waitcnt vmcnt(9)
	v_fma_f32 v80, v102, v149, -v80
	v_fmac_f32_e32 v170, v103, v149
	v_add_f32_e32 v3, v3, v78
	v_add_f32_e32 v2, v2, v169
	v_mul_f32_e32 v78, v107, v131
	s_waitcnt vmcnt(8)
	v_fma_f32 v79, v104, v150, -v79
	v_fmac_f32_e32 v171, v105, v150
	v_add_f32_e32 v3, v3, v80
	v_add_f32_e32 v2, v2, v170
	v_mul_f32_e32 v80, v109, v132
	s_waitcnt vmcnt(7)
	v_fma_f32 v78, v106, v151, -v78
	v_fmac_f32_e32 v172, v107, v151
	v_add_f32_e32 v3, v3, v79
	v_add_f32_e32 v2, v2, v171
	v_mul_f32_e32 v79, v111, v133
	s_waitcnt vmcnt(6)
	v_fma_f32 v80, v108, v152, -v80
	v_fmac_f32_e32 v173, v109, v152
	v_add_f32_e32 v3, v3, v78
	v_add_f32_e32 v2, v2, v172
	v_mul_f32_e32 v78, v113, v134
	s_waitcnt vmcnt(5)
	v_fma_f32 v79, v110, v153, -v79
	v_fmac_f32_e32 v174, v111, v153
	v_add_f32_e32 v3, v3, v80
	v_add_f32_e32 v2, v2, v173
	s_waitcnt lgkmcnt(0)
	v_mul_f32_e32 v80, v115, v135
	s_waitcnt vmcnt(4)
	v_fma_f32 v78, v112, v154, -v78
	v_mul_f32_e32 v176, v114, v135
	v_add_f32_e32 v3, v3, v79
	v_fmac_f32_e32 v175, v113, v154
	v_add_f32_e32 v2, v2, v174
	v_mul_f32_e32 v79, v117, v136
	s_waitcnt vmcnt(3)
	v_fma_f32 v80, v114, v155, -v80
	v_add_f32_e32 v3, v3, v78
	v_mul_f32_e32 v177, v116, v136
	v_fmac_f32_e32 v176, v115, v155
	v_add_f32_e32 v2, v2, v175
	s_waitcnt vmcnt(2)
	v_fma_f32 v78, v116, v156, -v79
	v_add_f32_e32 v3, v3, v80
	v_fmac_f32_e32 v177, v117, v156
	v_add_f32_e32 v2, v2, v176
	v_add_f32_e32 v3, v3, v78
	;; [unrolled: 1-line block ×3, first 2 shown]
	s_waitcnt vmcnt(1)
	v_sub_f32_e32 v3, v157, v3
	s_waitcnt vmcnt(0)
	v_sub_f32_e32 v2, v158, v2
	buffer_store_dword v3, off, s[0:3], 0 offset:128
	buffer_store_dword v2, off, s[0:3], 0 offset:132
	v_cmpx_lt_u32_e32 15, v0
	s_cbranch_execz .LBB36_205
; %bb.204:
	s_clause 0x1
	buffer_load_dword v2, off, s[0:3], 0 offset:120
	buffer_load_dword v3, off, s[0:3], 0 offset:124
	v_mov_b32_e32 v78, 0
	buffer_store_dword v78, off, s[0:3], 0 offset:120
	buffer_store_dword v78, off, s[0:3], 0 offset:124
	s_waitcnt vmcnt(0)
	ds_write_b64 v1, v[2:3]
.LBB36_205:
	s_or_b32 exec_lo, exec_lo, s4
	s_waitcnt lgkmcnt(0)
	s_waitcnt_vscnt null, 0x0
	s_barrier
	buffer_gl0_inv
	s_clause 0x2b
	buffer_load_dword v3, off, s[0:3], 0 offset:132
	buffer_load_dword v120, off, s[0:3], 0 offset:140
	;; [unrolled: 1-line block ×44, first 2 shown]
	v_mov_b32_e32 v2, 0
	ds_read_b128 v[78:81], v2 offset:432
	ds_read_b128 v[82:85], v2 offset:448
	;; [unrolled: 1-line block ×10, first 2 shown]
	ds_read_b64 v[118:119], v2 offset:592
	s_mov_b32 s4, exec_lo
	s_waitcnt vmcnt(43) lgkmcnt(10)
	v_mul_f32_e32 v163, v78, v3
	v_mul_f32_e32 v3, v79, v3
	s_waitcnt vmcnt(42)
	v_mul_f32_e32 v164, v80, v120
	v_mul_f32_e32 v120, v81, v120
	s_waitcnt vmcnt(41) lgkmcnt(9)
	v_mul_f32_e32 v165, v82, v121
	s_waitcnt vmcnt(40)
	v_mul_f32_e32 v166, v84, v122
	s_waitcnt vmcnt(39) lgkmcnt(8)
	v_mul_f32_e32 v167, v86, v123
	s_waitcnt vmcnt(38)
	;; [unrolled: 4-line block ×9, first 2 shown]
	v_fma_f32 v3, v78, v140, -v3
	v_fmac_f32_e32 v163, v79, v140
	v_mul_f32_e32 v78, v83, v121
	s_waitcnt vmcnt(21)
	v_fma_f32 v79, v80, v141, -v120
	v_fmac_f32_e32 v164, v81, v141
	v_add_f32_e32 v3, 0, v3
	v_add_f32_e32 v80, 0, v163
	v_mul_f32_e32 v81, v85, v122
	s_waitcnt vmcnt(20)
	v_fma_f32 v78, v82, v142, -v78
	v_fmac_f32_e32 v165, v83, v142
	v_add_f32_e32 v3, v3, v79
	v_add_f32_e32 v79, v80, v164
	;; [unrolled: 6-line block ×17, first 2 shown]
	v_mul_f32_e32 v80, v117, v138
	s_waitcnt vmcnt(4)
	v_fma_f32 v81, v114, v158, -v81
	v_mul_f32_e32 v182, v116, v138
	v_add_f32_e32 v3, v3, v79
	v_fmac_f32_e32 v181, v115, v158
	v_add_f32_e32 v78, v78, v180
	s_waitcnt lgkmcnt(0)
	v_mul_f32_e32 v79, v119, v139
	s_waitcnt vmcnt(3)
	v_fma_f32 v80, v116, v159, -v80
	v_add_f32_e32 v3, v3, v81
	v_mul_f32_e32 v183, v118, v139
	v_fmac_f32_e32 v182, v117, v159
	v_add_f32_e32 v78, v78, v181
	s_waitcnt vmcnt(2)
	v_fma_f32 v79, v118, v160, -v79
	v_add_f32_e32 v3, v3, v80
	v_fmac_f32_e32 v183, v119, v160
	v_add_f32_e32 v78, v78, v182
	v_add_f32_e32 v3, v3, v79
	;; [unrolled: 1-line block ×3, first 2 shown]
	s_waitcnt vmcnt(1)
	v_sub_f32_e32 v3, v161, v3
	s_waitcnt vmcnt(0)
	v_sub_f32_e32 v78, v162, v78
	buffer_store_dword v3, off, s[0:3], 0 offset:120
	buffer_store_dword v78, off, s[0:3], 0 offset:124
	v_cmpx_lt_u32_e32 14, v0
	s_cbranch_execz .LBB36_207
; %bb.206:
	s_clause 0x1
	buffer_load_dword v78, off, s[0:3], 0 offset:112
	buffer_load_dword v79, off, s[0:3], 0 offset:116
	buffer_store_dword v2, off, s[0:3], 0 offset:112
	buffer_store_dword v2, off, s[0:3], 0 offset:116
	s_waitcnt vmcnt(0)
	ds_write_b64 v1, v[78:79]
.LBB36_207:
	s_or_b32 exec_lo, exec_lo, s4
	s_waitcnt lgkmcnt(0)
	s_waitcnt_vscnt null, 0x0
	s_barrier
	buffer_gl0_inv
	s_clause 0x2d
	buffer_load_dword v3, off, s[0:3], 0 offset:124
	buffer_load_dword v122, off, s[0:3], 0 offset:132
	;; [unrolled: 1-line block ×46, first 2 shown]
	ds_read2_b64 v[78:81], v2 offset0:53 offset1:54
	ds_read2_b64 v[82:85], v2 offset0:55 offset1:56
	;; [unrolled: 1-line block ×11, first 2 shown]
	s_mov_b32 s4, exec_lo
	s_waitcnt vmcnt(45) lgkmcnt(10)
	v_mul_f32_e32 v2, v78, v3
	v_mul_f32_e32 v3, v79, v3
	s_waitcnt vmcnt(44)
	v_mul_f32_e32 v167, v80, v122
	v_mul_f32_e32 v122, v81, v122
	s_waitcnt vmcnt(43) lgkmcnt(9)
	v_mul_f32_e32 v168, v82, v123
	s_waitcnt vmcnt(42)
	v_mul_f32_e32 v169, v84, v124
	s_waitcnt vmcnt(41) lgkmcnt(8)
	v_mul_f32_e32 v170, v86, v125
	s_waitcnt vmcnt(40)
	v_mul_f32_e32 v171, v88, v126
	s_waitcnt vmcnt(39) lgkmcnt(7)
	v_mul_f32_e32 v172, v90, v127
	s_waitcnt vmcnt(38)
	v_mul_f32_e32 v173, v92, v128
	s_waitcnt vmcnt(37) lgkmcnt(6)
	v_mul_f32_e32 v174, v94, v129
	s_waitcnt vmcnt(36)
	v_mul_f32_e32 v175, v96, v130
	s_waitcnt vmcnt(35) lgkmcnt(5)
	v_mul_f32_e32 v176, v98, v131
	s_waitcnt vmcnt(34)
	v_mul_f32_e32 v177, v100, v132
	s_waitcnt vmcnt(33) lgkmcnt(4)
	v_mul_f32_e32 v178, v102, v133
	s_waitcnt vmcnt(32)
	v_mul_f32_e32 v179, v104, v134
	s_waitcnt vmcnt(31) lgkmcnt(3)
	v_mul_f32_e32 v180, v106, v135
	s_waitcnt vmcnt(30)
	v_mul_f32_e32 v181, v108, v136
	s_waitcnt vmcnt(29) lgkmcnt(2)
	v_mul_f32_e32 v182, v110, v137
	s_waitcnt vmcnt(28)
	v_mul_f32_e32 v183, v112, v138
	s_waitcnt vmcnt(27) lgkmcnt(1)
	v_mul_f32_e32 v184, v114, v139
	s_waitcnt vmcnt(26)
	v_mul_f32_e32 v185, v116, v140
	s_waitcnt vmcnt(23)
	v_fma_f32 v3, v78, v143, -v3
	v_fmac_f32_e32 v2, v79, v143
	v_mul_f32_e32 v78, v83, v123
	s_waitcnt vmcnt(22)
	v_fma_f32 v79, v80, v144, -v122
	v_fmac_f32_e32 v167, v81, v144
	v_add_f32_e32 v3, 0, v3
	v_add_f32_e32 v2, 0, v2
	v_mul_f32_e32 v80, v85, v124
	s_waitcnt vmcnt(21)
	v_fma_f32 v78, v82, v145, -v78
	v_fmac_f32_e32 v168, v83, v145
	v_add_f32_e32 v3, v3, v79
	v_add_f32_e32 v2, v2, v167
	;; [unrolled: 6-line block ×18, first 2 shown]
	s_waitcnt lgkmcnt(0)
	v_mul_f32_e32 v78, v119, v141
	s_waitcnt vmcnt(4)
	v_fma_f32 v79, v116, v162, -v79
	v_mul_f32_e32 v186, v118, v141
	v_add_f32_e32 v3, v3, v80
	v_fmac_f32_e32 v185, v117, v162
	v_add_f32_e32 v2, v2, v184
	v_mul_f32_e32 v80, v121, v142
	s_waitcnt vmcnt(3)
	v_fma_f32 v78, v118, v163, -v78
	v_add_f32_e32 v3, v3, v79
	v_mul_f32_e32 v187, v120, v142
	v_fmac_f32_e32 v186, v119, v163
	v_add_f32_e32 v2, v2, v185
	s_waitcnt vmcnt(2)
	v_fma_f32 v79, v120, v164, -v80
	v_add_f32_e32 v3, v3, v78
	v_fmac_f32_e32 v187, v121, v164
	v_add_f32_e32 v2, v2, v186
	v_add_f32_e32 v3, v3, v79
	;; [unrolled: 1-line block ×3, first 2 shown]
	s_waitcnt vmcnt(1)
	v_sub_f32_e32 v3, v165, v3
	s_waitcnt vmcnt(0)
	v_sub_f32_e32 v2, v166, v2
	buffer_store_dword v3, off, s[0:3], 0 offset:112
	buffer_store_dword v2, off, s[0:3], 0 offset:116
	v_cmpx_lt_u32_e32 13, v0
	s_cbranch_execz .LBB36_209
; %bb.208:
	s_clause 0x1
	buffer_load_dword v2, off, s[0:3], 0 offset:104
	buffer_load_dword v3, off, s[0:3], 0 offset:108
	v_mov_b32_e32 v78, 0
	buffer_store_dword v78, off, s[0:3], 0 offset:104
	buffer_store_dword v78, off, s[0:3], 0 offset:108
	s_waitcnt vmcnt(0)
	ds_write_b64 v1, v[2:3]
.LBB36_209:
	s_or_b32 exec_lo, exec_lo, s4
	s_waitcnt lgkmcnt(0)
	s_waitcnt_vscnt null, 0x0
	s_barrier
	buffer_gl0_inv
	s_clause 0x2f
	buffer_load_dword v3, off, s[0:3], 0 offset:116
	buffer_load_dword v124, off, s[0:3], 0 offset:124
	;; [unrolled: 1-line block ×48, first 2 shown]
	v_mov_b32_e32 v2, 0
	ds_read_b128 v[78:81], v2 offset:416
	ds_read_b128 v[82:85], v2 offset:432
	;; [unrolled: 1-line block ×11, first 2 shown]
	ds_read_b64 v[122:123], v2 offset:592
	s_mov_b32 s4, exec_lo
	s_waitcnt vmcnt(47) lgkmcnt(11)
	v_mul_f32_e32 v171, v78, v3
	v_mul_f32_e32 v3, v79, v3
	s_waitcnt vmcnt(46)
	v_mul_f32_e32 v172, v80, v124
	v_mul_f32_e32 v124, v81, v124
	s_waitcnt vmcnt(45) lgkmcnt(10)
	v_mul_f32_e32 v173, v82, v125
	s_waitcnt vmcnt(44)
	v_mul_f32_e32 v174, v84, v126
	s_waitcnt vmcnt(43) lgkmcnt(9)
	v_mul_f32_e32 v175, v86, v127
	s_waitcnt vmcnt(42)
	;; [unrolled: 4-line block ×10, first 2 shown]
	v_fma_f32 v3, v78, v146, -v3
	v_fmac_f32_e32 v171, v79, v146
	v_mul_f32_e32 v78, v83, v125
	s_waitcnt vmcnt(23)
	v_fma_f32 v79, v80, v147, -v124
	v_fmac_f32_e32 v172, v81, v147
	v_add_f32_e32 v3, 0, v3
	v_add_f32_e32 v80, 0, v171
	v_mul_f32_e32 v81, v85, v126
	s_waitcnt vmcnt(22)
	v_fma_f32 v78, v82, v148, -v78
	v_fmac_f32_e32 v173, v83, v148
	v_add_f32_e32 v3, v3, v79
	v_add_f32_e32 v79, v80, v172
	v_mul_f32_e32 v80, v87, v127
	s_waitcnt vmcnt(21)
	v_fma_f32 v81, v84, v149, -v81
	v_fmac_f32_e32 v174, v85, v149
	v_add_f32_e32 v3, v3, v78
	v_add_f32_e32 v78, v79, v173
	v_mul_f32_e32 v79, v89, v128
	s_waitcnt vmcnt(20)
	v_fma_f32 v80, v86, v150, -v80
	v_fmac_f32_e32 v175, v87, v150
	v_add_f32_e32 v3, v3, v81
	v_add_f32_e32 v78, v78, v174
	v_mul_f32_e32 v81, v91, v129
	s_waitcnt vmcnt(19)
	v_fma_f32 v79, v88, v151, -v79
	v_fmac_f32_e32 v176, v89, v151
	v_add_f32_e32 v3, v3, v80
	v_add_f32_e32 v78, v78, v175
	v_mul_f32_e32 v80, v93, v130
	s_waitcnt vmcnt(18)
	v_fma_f32 v81, v90, v152, -v81
	v_fmac_f32_e32 v177, v91, v152
	v_add_f32_e32 v3, v3, v79
	v_add_f32_e32 v78, v78, v176
	v_mul_f32_e32 v79, v95, v131
	s_waitcnt vmcnt(17)
	v_fma_f32 v80, v92, v153, -v80
	v_fmac_f32_e32 v178, v93, v153
	v_add_f32_e32 v3, v3, v81
	v_add_f32_e32 v78, v78, v177
	v_mul_f32_e32 v81, v97, v132
	s_waitcnt vmcnt(16)
	v_fma_f32 v79, v94, v154, -v79
	v_fmac_f32_e32 v179, v95, v154
	v_add_f32_e32 v3, v3, v80
	v_add_f32_e32 v78, v78, v178
	v_mul_f32_e32 v80, v99, v133
	s_waitcnt vmcnt(15)
	v_fma_f32 v81, v96, v155, -v81
	v_fmac_f32_e32 v180, v97, v155
	v_add_f32_e32 v3, v3, v79
	v_add_f32_e32 v78, v78, v179
	v_mul_f32_e32 v79, v101, v134
	s_waitcnt vmcnt(14)
	v_fma_f32 v80, v98, v156, -v80
	v_fmac_f32_e32 v181, v99, v156
	v_add_f32_e32 v3, v3, v81
	v_add_f32_e32 v78, v78, v180
	v_mul_f32_e32 v81, v103, v135
	s_waitcnt vmcnt(13)
	v_fma_f32 v79, v100, v157, -v79
	v_fmac_f32_e32 v182, v101, v157
	v_add_f32_e32 v3, v3, v80
	v_add_f32_e32 v78, v78, v181
	v_mul_f32_e32 v80, v105, v136
	s_waitcnt vmcnt(12)
	v_fma_f32 v81, v102, v158, -v81
	v_fmac_f32_e32 v183, v103, v158
	v_add_f32_e32 v3, v3, v79
	v_add_f32_e32 v78, v78, v182
	v_mul_f32_e32 v79, v107, v137
	s_waitcnt vmcnt(11)
	v_fma_f32 v80, v104, v159, -v80
	v_fmac_f32_e32 v184, v105, v159
	v_add_f32_e32 v3, v3, v81
	v_add_f32_e32 v78, v78, v183
	v_mul_f32_e32 v81, v109, v138
	s_waitcnt vmcnt(10)
	v_fma_f32 v79, v106, v160, -v79
	v_fmac_f32_e32 v185, v107, v160
	v_add_f32_e32 v3, v3, v80
	v_add_f32_e32 v78, v78, v184
	v_mul_f32_e32 v80, v111, v139
	s_waitcnt vmcnt(9)
	v_fma_f32 v81, v108, v161, -v81
	v_fmac_f32_e32 v186, v109, v161
	v_add_f32_e32 v3, v3, v79
	v_add_f32_e32 v78, v78, v185
	v_mul_f32_e32 v79, v113, v140
	s_waitcnt vmcnt(8)
	v_fma_f32 v80, v110, v162, -v80
	v_fmac_f32_e32 v187, v111, v162
	v_add_f32_e32 v3, v3, v81
	v_add_f32_e32 v78, v78, v186
	v_mul_f32_e32 v81, v115, v141
	s_waitcnt vmcnt(7)
	v_fma_f32 v79, v112, v163, -v79
	v_fmac_f32_e32 v188, v113, v163
	v_add_f32_e32 v3, v3, v80
	v_add_f32_e32 v78, v78, v187
	v_mul_f32_e32 v80, v117, v142
	s_waitcnt vmcnt(6)
	v_fma_f32 v81, v114, v164, -v81
	v_fmac_f32_e32 v189, v115, v164
	v_add_f32_e32 v3, v3, v79
	v_add_f32_e32 v78, v78, v188
	v_mul_f32_e32 v79, v119, v143
	s_waitcnt vmcnt(5)
	v_fma_f32 v80, v116, v165, -v80
	v_fmac_f32_e32 v190, v117, v165
	v_add_f32_e32 v3, v3, v81
	v_add_f32_e32 v78, v78, v189
	v_mul_f32_e32 v81, v121, v144
	s_waitcnt vmcnt(4)
	v_fma_f32 v79, v118, v166, -v79
	v_mul_f32_e32 v192, v120, v144
	v_add_f32_e32 v3, v3, v80
	v_fmac_f32_e32 v191, v119, v166
	v_add_f32_e32 v78, v78, v190
	s_waitcnt lgkmcnt(0)
	v_mul_f32_e32 v80, v123, v145
	s_waitcnt vmcnt(3)
	v_fma_f32 v81, v120, v167, -v81
	v_add_f32_e32 v3, v3, v79
	v_mul_f32_e32 v193, v122, v145
	v_fmac_f32_e32 v192, v121, v167
	v_add_f32_e32 v78, v78, v191
	s_waitcnt vmcnt(2)
	v_fma_f32 v79, v122, v168, -v80
	v_add_f32_e32 v3, v3, v81
	v_fmac_f32_e32 v193, v123, v168
	v_add_f32_e32 v78, v78, v192
	v_add_f32_e32 v3, v3, v79
	;; [unrolled: 1-line block ×3, first 2 shown]
	s_waitcnt vmcnt(1)
	v_sub_f32_e32 v3, v169, v3
	s_waitcnt vmcnt(0)
	v_sub_f32_e32 v78, v170, v78
	buffer_store_dword v3, off, s[0:3], 0 offset:104
	buffer_store_dword v78, off, s[0:3], 0 offset:108
	v_cmpx_lt_u32_e32 12, v0
	s_cbranch_execz .LBB36_211
; %bb.210:
	s_clause 0x1
	buffer_load_dword v78, off, s[0:3], 0 offset:96
	buffer_load_dword v79, off, s[0:3], 0 offset:100
	buffer_store_dword v2, off, s[0:3], 0 offset:96
	buffer_store_dword v2, off, s[0:3], 0 offset:100
	s_waitcnt vmcnt(0)
	ds_write_b64 v1, v[78:79]
.LBB36_211:
	s_or_b32 exec_lo, exec_lo, s4
	s_waitcnt lgkmcnt(0)
	s_waitcnt_vscnt null, 0x0
	s_barrier
	buffer_gl0_inv
	s_clause 0x31
	buffer_load_dword v3, off, s[0:3], 0 offset:108
	buffer_load_dword v126, off, s[0:3], 0 offset:116
	;; [unrolled: 1-line block ×50, first 2 shown]
	ds_read2_b64 v[78:81], v2 offset0:51 offset1:52
	ds_read2_b64 v[82:85], v2 offset0:53 offset1:54
	ds_read2_b64 v[86:89], v2 offset0:55 offset1:56
	ds_read2_b64 v[90:93], v2 offset0:57 offset1:58
	ds_read2_b64 v[94:97], v2 offset0:59 offset1:60
	ds_read2_b64 v[98:101], v2 offset0:61 offset1:62
	ds_read2_b64 v[102:105], v2 offset0:63 offset1:64
	ds_read2_b64 v[106:109], v2 offset0:65 offset1:66
	ds_read2_b64 v[110:113], v2 offset0:67 offset1:68
	ds_read2_b64 v[114:117], v2 offset0:69 offset1:70
	ds_read2_b64 v[118:121], v2 offset0:71 offset1:72
	ds_read2_b64 v[122:125], v2 offset0:73 offset1:74
	s_mov_b32 s4, exec_lo
	s_waitcnt vmcnt(49) lgkmcnt(11)
	v_mul_f32_e32 v2, v78, v3
	v_mul_f32_e32 v3, v79, v3
	s_waitcnt vmcnt(48)
	v_mul_f32_e32 v175, v80, v126
	v_mul_f32_e32 v126, v81, v126
	s_waitcnt vmcnt(47) lgkmcnt(10)
	v_mul_f32_e32 v176, v82, v127
	s_waitcnt vmcnt(46)
	v_mul_f32_e32 v177, v84, v128
	s_waitcnt vmcnt(45) lgkmcnt(9)
	v_mul_f32_e32 v178, v86, v129
	s_waitcnt vmcnt(44)
	;; [unrolled: 4-line block ×10, first 2 shown]
	v_mul_f32_e32 v195, v120, v146
	s_waitcnt vmcnt(25)
	v_fma_f32 v3, v78, v149, -v3
	v_fmac_f32_e32 v2, v79, v149
	v_mul_f32_e32 v78, v83, v127
	s_waitcnt vmcnt(24)
	v_fma_f32 v79, v80, v150, -v126
	v_fmac_f32_e32 v175, v81, v150
	v_add_f32_e32 v3, 0, v3
	v_add_f32_e32 v2, 0, v2
	v_mul_f32_e32 v80, v85, v128
	s_waitcnt vmcnt(23)
	v_fma_f32 v78, v82, v151, -v78
	v_fmac_f32_e32 v176, v83, v151
	v_add_f32_e32 v3, v3, v79
	v_add_f32_e32 v2, v2, v175
	;; [unrolled: 6-line block ×20, first 2 shown]
	s_waitcnt lgkmcnt(0)
	v_mul_f32_e32 v79, v123, v147
	s_waitcnt vmcnt(4)
	v_fma_f32 v80, v120, v170, -v80
	v_mul_f32_e32 v196, v122, v147
	v_add_f32_e32 v3, v3, v78
	v_fmac_f32_e32 v195, v121, v170
	v_add_f32_e32 v2, v2, v194
	v_mul_f32_e32 v78, v125, v148
	s_waitcnt vmcnt(3)
	v_fma_f32 v79, v122, v171, -v79
	v_add_f32_e32 v3, v3, v80
	v_mul_f32_e32 v197, v124, v148
	v_fmac_f32_e32 v196, v123, v171
	v_add_f32_e32 v2, v2, v195
	s_waitcnt vmcnt(2)
	v_fma_f32 v78, v124, v172, -v78
	v_add_f32_e32 v3, v3, v79
	v_fmac_f32_e32 v197, v125, v172
	v_add_f32_e32 v2, v2, v196
	v_add_f32_e32 v3, v3, v78
	;; [unrolled: 1-line block ×3, first 2 shown]
	s_waitcnt vmcnt(1)
	v_sub_f32_e32 v3, v173, v3
	s_waitcnt vmcnt(0)
	v_sub_f32_e32 v2, v174, v2
	buffer_store_dword v3, off, s[0:3], 0 offset:96
	buffer_store_dword v2, off, s[0:3], 0 offset:100
	v_cmpx_lt_u32_e32 11, v0
	s_cbranch_execz .LBB36_213
; %bb.212:
	s_clause 0x1
	buffer_load_dword v2, off, s[0:3], 0 offset:88
	buffer_load_dword v3, off, s[0:3], 0 offset:92
	v_mov_b32_e32 v78, 0
	buffer_store_dword v78, off, s[0:3], 0 offset:88
	buffer_store_dword v78, off, s[0:3], 0 offset:92
	s_waitcnt vmcnt(0)
	ds_write_b64 v1, v[2:3]
.LBB36_213:
	s_or_b32 exec_lo, exec_lo, s4
	s_waitcnt lgkmcnt(0)
	s_waitcnt_vscnt null, 0x0
	s_barrier
	buffer_gl0_inv
	s_clause 0x33
	buffer_load_dword v3, off, s[0:3], 0 offset:100
	buffer_load_dword v128, off, s[0:3], 0 offset:108
	;; [unrolled: 1-line block ×52, first 2 shown]
	v_mov_b32_e32 v2, 0
	ds_read_b128 v[78:81], v2 offset:400
	ds_read_b128 v[82:85], v2 offset:416
	;; [unrolled: 1-line block ×12, first 2 shown]
	ds_read_b64 v[126:127], v2 offset:592
	s_mov_b32 s4, exec_lo
	s_waitcnt vmcnt(51) lgkmcnt(12)
	v_mul_f32_e32 v179, v78, v3
	v_mul_f32_e32 v3, v79, v3
	s_waitcnt vmcnt(50)
	v_mul_f32_e32 v180, v80, v128
	v_mul_f32_e32 v128, v81, v128
	s_waitcnt vmcnt(49) lgkmcnt(11)
	v_mul_f32_e32 v181, v82, v129
	s_waitcnt vmcnt(48)
	v_mul_f32_e32 v182, v84, v130
	s_waitcnt vmcnt(47) lgkmcnt(10)
	v_mul_f32_e32 v183, v86, v131
	s_waitcnt vmcnt(46)
	;; [unrolled: 4-line block ×11, first 2 shown]
	v_fma_f32 v3, v78, v152, -v3
	v_fmac_f32_e32 v179, v79, v152
	v_mul_f32_e32 v78, v83, v129
	s_waitcnt vmcnt(25)
	v_fma_f32 v79, v80, v153, -v128
	v_fmac_f32_e32 v180, v81, v153
	v_add_f32_e32 v3, 0, v3
	v_add_f32_e32 v80, 0, v179
	v_mul_f32_e32 v81, v85, v130
	s_waitcnt vmcnt(24)
	v_fma_f32 v78, v82, v154, -v78
	v_fmac_f32_e32 v181, v83, v154
	v_add_f32_e32 v3, v3, v79
	v_add_f32_e32 v79, v80, v180
	v_mul_f32_e32 v80, v87, v131
	s_waitcnt vmcnt(23)
	v_fma_f32 v81, v84, v155, -v81
	v_fmac_f32_e32 v182, v85, v155
	v_add_f32_e32 v3, v3, v78
	v_add_f32_e32 v78, v79, v181
	v_mul_f32_e32 v79, v89, v132
	s_waitcnt vmcnt(22)
	v_fma_f32 v80, v86, v156, -v80
	v_fmac_f32_e32 v183, v87, v156
	v_add_f32_e32 v3, v3, v81
	v_add_f32_e32 v78, v78, v182
	v_mul_f32_e32 v81, v91, v133
	s_waitcnt vmcnt(21)
	v_fma_f32 v79, v88, v157, -v79
	v_fmac_f32_e32 v184, v89, v157
	v_add_f32_e32 v3, v3, v80
	v_add_f32_e32 v78, v78, v183
	v_mul_f32_e32 v80, v93, v134
	s_waitcnt vmcnt(20)
	v_fma_f32 v81, v90, v158, -v81
	v_fmac_f32_e32 v185, v91, v158
	v_add_f32_e32 v3, v3, v79
	v_add_f32_e32 v78, v78, v184
	v_mul_f32_e32 v79, v95, v135
	s_waitcnt vmcnt(19)
	v_fma_f32 v80, v92, v159, -v80
	v_fmac_f32_e32 v186, v93, v159
	v_add_f32_e32 v3, v3, v81
	v_add_f32_e32 v78, v78, v185
	v_mul_f32_e32 v81, v97, v136
	s_waitcnt vmcnt(18)
	v_fma_f32 v79, v94, v160, -v79
	v_fmac_f32_e32 v187, v95, v160
	v_add_f32_e32 v3, v3, v80
	v_add_f32_e32 v78, v78, v186
	v_mul_f32_e32 v80, v99, v137
	s_waitcnt vmcnt(17)
	v_fma_f32 v81, v96, v161, -v81
	v_fmac_f32_e32 v188, v97, v161
	v_add_f32_e32 v3, v3, v79
	v_add_f32_e32 v78, v78, v187
	v_mul_f32_e32 v79, v101, v138
	s_waitcnt vmcnt(16)
	v_fma_f32 v80, v98, v162, -v80
	v_fmac_f32_e32 v189, v99, v162
	v_add_f32_e32 v3, v3, v81
	v_add_f32_e32 v78, v78, v188
	v_mul_f32_e32 v81, v103, v139
	s_waitcnt vmcnt(15)
	v_fma_f32 v79, v100, v163, -v79
	v_fmac_f32_e32 v190, v101, v163
	v_add_f32_e32 v3, v3, v80
	v_add_f32_e32 v78, v78, v189
	v_mul_f32_e32 v80, v105, v140
	s_waitcnt vmcnt(14)
	v_fma_f32 v81, v102, v164, -v81
	v_fmac_f32_e32 v191, v103, v164
	v_add_f32_e32 v3, v3, v79
	v_add_f32_e32 v78, v78, v190
	v_mul_f32_e32 v79, v107, v141
	s_waitcnt vmcnt(13)
	v_fma_f32 v80, v104, v165, -v80
	v_fmac_f32_e32 v192, v105, v165
	v_add_f32_e32 v3, v3, v81
	v_add_f32_e32 v78, v78, v191
	v_mul_f32_e32 v81, v109, v142
	s_waitcnt vmcnt(12)
	v_fma_f32 v79, v106, v166, -v79
	v_fmac_f32_e32 v193, v107, v166
	v_add_f32_e32 v3, v3, v80
	v_add_f32_e32 v78, v78, v192
	v_mul_f32_e32 v80, v111, v143
	s_waitcnt vmcnt(11)
	v_fma_f32 v81, v108, v167, -v81
	v_fmac_f32_e32 v194, v109, v167
	v_add_f32_e32 v3, v3, v79
	v_add_f32_e32 v78, v78, v193
	v_mul_f32_e32 v79, v113, v144
	s_waitcnt vmcnt(10)
	v_fma_f32 v80, v110, v168, -v80
	v_fmac_f32_e32 v195, v111, v168
	v_add_f32_e32 v3, v3, v81
	v_add_f32_e32 v78, v78, v194
	v_mul_f32_e32 v81, v115, v145
	s_waitcnt vmcnt(9)
	v_fma_f32 v79, v112, v169, -v79
	v_fmac_f32_e32 v196, v113, v169
	v_add_f32_e32 v3, v3, v80
	v_add_f32_e32 v78, v78, v195
	v_mul_f32_e32 v80, v117, v146
	s_waitcnt vmcnt(8)
	v_fma_f32 v81, v114, v170, -v81
	v_fmac_f32_e32 v197, v115, v170
	v_add_f32_e32 v3, v3, v79
	v_add_f32_e32 v78, v78, v196
	v_mul_f32_e32 v79, v119, v147
	s_waitcnt vmcnt(7)
	v_fma_f32 v80, v116, v171, -v80
	v_fmac_f32_e32 v198, v117, v171
	v_add_f32_e32 v3, v3, v81
	v_add_f32_e32 v78, v78, v197
	v_mul_f32_e32 v81, v121, v148
	s_waitcnt vmcnt(6)
	v_fma_f32 v79, v118, v172, -v79
	v_fmac_f32_e32 v199, v119, v172
	v_add_f32_e32 v3, v3, v80
	v_add_f32_e32 v78, v78, v198
	v_mul_f32_e32 v80, v123, v149
	s_waitcnt vmcnt(5)
	v_fma_f32 v81, v120, v173, -v81
	v_fmac_f32_e32 v200, v121, v173
	v_add_f32_e32 v3, v3, v79
	v_add_f32_e32 v78, v78, v199
	v_mul_f32_e32 v79, v125, v150
	s_waitcnt vmcnt(4)
	v_fma_f32 v80, v122, v174, -v80
	v_mul_f32_e32 v202, v124, v150
	v_add_f32_e32 v3, v3, v81
	v_fmac_f32_e32 v201, v123, v174
	v_add_f32_e32 v78, v78, v200
	s_waitcnt lgkmcnt(0)
	v_mul_f32_e32 v81, v127, v151
	s_waitcnt vmcnt(3)
	v_fma_f32 v79, v124, v175, -v79
	v_add_f32_e32 v3, v3, v80
	v_mul_f32_e32 v203, v126, v151
	v_fmac_f32_e32 v202, v125, v175
	v_add_f32_e32 v78, v78, v201
	s_waitcnt vmcnt(2)
	v_fma_f32 v80, v126, v176, -v81
	v_add_f32_e32 v3, v3, v79
	v_fmac_f32_e32 v203, v127, v176
	v_add_f32_e32 v78, v78, v202
	v_add_f32_e32 v3, v3, v80
	;; [unrolled: 1-line block ×3, first 2 shown]
	s_waitcnt vmcnt(1)
	v_sub_f32_e32 v3, v177, v3
	s_waitcnt vmcnt(0)
	v_sub_f32_e32 v78, v178, v78
	buffer_store_dword v3, off, s[0:3], 0 offset:88
	buffer_store_dword v78, off, s[0:3], 0 offset:92
	v_cmpx_lt_u32_e32 10, v0
	s_cbranch_execz .LBB36_215
; %bb.214:
	s_clause 0x1
	buffer_load_dword v78, off, s[0:3], 0 offset:80
	buffer_load_dword v79, off, s[0:3], 0 offset:84
	buffer_store_dword v2, off, s[0:3], 0 offset:80
	buffer_store_dword v2, off, s[0:3], 0 offset:84
	s_waitcnt vmcnt(0)
	ds_write_b64 v1, v[78:79]
.LBB36_215:
	s_or_b32 exec_lo, exec_lo, s4
	s_waitcnt lgkmcnt(0)
	s_waitcnt_vscnt null, 0x0
	s_barrier
	buffer_gl0_inv
	s_clause 0x35
	buffer_load_dword v3, off, s[0:3], 0 offset:92
	buffer_load_dword v130, off, s[0:3], 0 offset:100
	;; [unrolled: 1-line block ×54, first 2 shown]
	ds_read2_b64 v[78:81], v2 offset0:49 offset1:50
	ds_read2_b64 v[82:85], v2 offset0:51 offset1:52
	;; [unrolled: 1-line block ×13, first 2 shown]
	s_mov_b32 s4, exec_lo
	s_waitcnt vmcnt(53) lgkmcnt(12)
	v_mul_f32_e32 v2, v78, v3
	v_mul_f32_e32 v3, v79, v3
	s_waitcnt vmcnt(52)
	v_mul_f32_e32 v183, v80, v130
	v_mul_f32_e32 v130, v81, v130
	s_waitcnt vmcnt(51) lgkmcnt(11)
	v_mul_f32_e32 v184, v82, v131
	s_waitcnt vmcnt(50)
	v_mul_f32_e32 v185, v84, v132
	s_waitcnt vmcnt(49) lgkmcnt(10)
	v_mul_f32_e32 v186, v86, v133
	s_waitcnt vmcnt(48)
	;; [unrolled: 4-line block ×11, first 2 shown]
	v_mul_f32_e32 v205, v124, v152
	s_waitcnt vmcnt(27)
	v_fma_f32 v3, v78, v155, -v3
	v_fmac_f32_e32 v2, v79, v155
	v_mul_f32_e32 v78, v83, v131
	s_waitcnt vmcnt(26)
	v_fma_f32 v79, v80, v156, -v130
	v_fmac_f32_e32 v183, v81, v156
	v_add_f32_e32 v3, 0, v3
	v_add_f32_e32 v2, 0, v2
	v_mul_f32_e32 v80, v85, v132
	s_waitcnt vmcnt(25)
	v_fma_f32 v78, v82, v157, -v78
	v_fmac_f32_e32 v184, v83, v157
	v_add_f32_e32 v3, v3, v79
	v_add_f32_e32 v2, v2, v183
	;; [unrolled: 6-line block ×22, first 2 shown]
	s_waitcnt lgkmcnt(0)
	v_mul_f32_e32 v80, v127, v153
	s_waitcnt vmcnt(4)
	v_fma_f32 v78, v124, v178, -v78
	v_mul_f32_e32 v206, v126, v153
	v_add_f32_e32 v3, v3, v79
	v_fmac_f32_e32 v205, v125, v178
	v_add_f32_e32 v2, v2, v204
	v_mul_f32_e32 v79, v129, v154
	s_waitcnt vmcnt(3)
	v_fma_f32 v80, v126, v179, -v80
	v_add_f32_e32 v3, v3, v78
	v_mul_f32_e32 v207, v128, v154
	v_fmac_f32_e32 v206, v127, v179
	v_add_f32_e32 v2, v2, v205
	s_waitcnt vmcnt(2)
	v_fma_f32 v78, v128, v180, -v79
	v_add_f32_e32 v3, v3, v80
	v_fmac_f32_e32 v207, v129, v180
	v_add_f32_e32 v2, v2, v206
	v_add_f32_e32 v3, v3, v78
	;; [unrolled: 1-line block ×3, first 2 shown]
	s_waitcnt vmcnt(1)
	v_sub_f32_e32 v3, v181, v3
	s_waitcnt vmcnt(0)
	v_sub_f32_e32 v2, v182, v2
	buffer_store_dword v3, off, s[0:3], 0 offset:80
	buffer_store_dword v2, off, s[0:3], 0 offset:84
	v_cmpx_lt_u32_e32 9, v0
	s_cbranch_execz .LBB36_217
; %bb.216:
	s_clause 0x1
	buffer_load_dword v2, off, s[0:3], 0 offset:72
	buffer_load_dword v3, off, s[0:3], 0 offset:76
	v_mov_b32_e32 v78, 0
	buffer_store_dword v78, off, s[0:3], 0 offset:72
	buffer_store_dword v78, off, s[0:3], 0 offset:76
	s_waitcnt vmcnt(0)
	ds_write_b64 v1, v[2:3]
.LBB36_217:
	s_or_b32 exec_lo, exec_lo, s4
	s_waitcnt lgkmcnt(0)
	s_waitcnt_vscnt null, 0x0
	s_barrier
	buffer_gl0_inv
	s_clause 0x37
	buffer_load_dword v3, off, s[0:3], 0 offset:84
	buffer_load_dword v132, off, s[0:3], 0 offset:92
	;; [unrolled: 1-line block ×56, first 2 shown]
	v_mov_b32_e32 v2, 0
	ds_read_b128 v[78:81], v2 offset:384
	ds_read_b128 v[82:85], v2 offset:400
	;; [unrolled: 1-line block ×13, first 2 shown]
	ds_read_b64 v[130:131], v2 offset:592
	s_mov_b32 s4, exec_lo
	s_waitcnt vmcnt(55) lgkmcnt(13)
	v_mul_f32_e32 v187, v78, v3
	v_mul_f32_e32 v3, v79, v3
	s_waitcnt vmcnt(54)
	v_mul_f32_e32 v188, v80, v132
	v_mul_f32_e32 v132, v81, v132
	s_waitcnt vmcnt(53) lgkmcnt(12)
	v_mul_f32_e32 v189, v82, v133
	s_waitcnt vmcnt(52)
	v_mul_f32_e32 v190, v84, v134
	s_waitcnt vmcnt(51) lgkmcnt(11)
	v_mul_f32_e32 v191, v86, v135
	s_waitcnt vmcnt(50)
	v_mul_f32_e32 v192, v88, v136
	s_waitcnt vmcnt(49) lgkmcnt(10)
	v_mul_f32_e32 v193, v90, v137
	s_waitcnt vmcnt(48)
	v_mul_f32_e32 v194, v92, v138
	s_waitcnt vmcnt(47) lgkmcnt(9)
	v_mul_f32_e32 v195, v94, v139
	s_waitcnt vmcnt(46)
	v_mul_f32_e32 v196, v96, v140
	s_waitcnt vmcnt(45) lgkmcnt(8)
	v_mul_f32_e32 v197, v98, v141
	s_waitcnt vmcnt(44)
	v_mul_f32_e32 v198, v100, v142
	s_waitcnt vmcnt(43) lgkmcnt(7)
	v_mul_f32_e32 v199, v102, v143
	s_waitcnt vmcnt(42)
	v_mul_f32_e32 v200, v104, v144
	s_waitcnt vmcnt(41) lgkmcnt(6)
	v_mul_f32_e32 v201, v106, v145
	s_waitcnt vmcnt(40)
	v_mul_f32_e32 v202, v108, v146
	s_waitcnt vmcnt(39) lgkmcnt(5)
	v_mul_f32_e32 v203, v110, v147
	s_waitcnt vmcnt(38)
	v_mul_f32_e32 v204, v112, v148
	s_waitcnt vmcnt(37) lgkmcnt(4)
	v_mul_f32_e32 v205, v114, v149
	s_waitcnt vmcnt(36)
	v_mul_f32_e32 v206, v116, v150
	s_waitcnt vmcnt(35) lgkmcnt(3)
	v_mul_f32_e32 v207, v118, v151
	s_waitcnt vmcnt(34)
	v_mul_f32_e32 v208, v120, v152
	s_waitcnt vmcnt(33) lgkmcnt(2)
	v_mul_f32_e32 v209, v122, v153
	s_waitcnt vmcnt(32)
	v_mul_f32_e32 v210, v124, v154
	s_waitcnt vmcnt(31) lgkmcnt(1)
	v_mul_f32_e32 v211, v126, v155
	s_waitcnt vmcnt(28)
	v_fma_f32 v3, v78, v158, -v3
	v_fmac_f32_e32 v187, v79, v158
	v_mul_f32_e32 v78, v83, v133
	s_waitcnt vmcnt(27)
	v_fma_f32 v79, v80, v159, -v132
	v_fmac_f32_e32 v188, v81, v159
	v_add_f32_e32 v3, 0, v3
	v_add_f32_e32 v80, 0, v187
	v_mul_f32_e32 v81, v85, v134
	s_waitcnt vmcnt(26)
	v_fma_f32 v78, v82, v160, -v78
	v_fmac_f32_e32 v189, v83, v160
	v_add_f32_e32 v3, v3, v79
	v_add_f32_e32 v79, v80, v188
	;; [unrolled: 6-line block ×23, first 2 shown]
	v_mul_f32_e32 v80, v129, v156
	s_waitcnt vmcnt(4)
	v_fma_f32 v81, v126, v182, -v81
	v_mul_f32_e32 v212, v128, v156
	v_add_f32_e32 v3, v3, v79
	v_fmac_f32_e32 v211, v127, v182
	v_add_f32_e32 v78, v78, v210
	s_waitcnt lgkmcnt(0)
	v_mul_f32_e32 v79, v131, v157
	s_waitcnt vmcnt(3)
	v_fma_f32 v80, v128, v183, -v80
	v_add_f32_e32 v3, v3, v81
	v_mul_f32_e32 v213, v130, v157
	v_fmac_f32_e32 v212, v129, v183
	v_add_f32_e32 v78, v78, v211
	s_waitcnt vmcnt(2)
	v_fma_f32 v79, v130, v184, -v79
	v_add_f32_e32 v3, v3, v80
	v_fmac_f32_e32 v213, v131, v184
	v_add_f32_e32 v78, v78, v212
	v_add_f32_e32 v3, v3, v79
	;; [unrolled: 1-line block ×3, first 2 shown]
	s_waitcnt vmcnt(1)
	v_sub_f32_e32 v3, v185, v3
	s_waitcnt vmcnt(0)
	v_sub_f32_e32 v78, v186, v78
	buffer_store_dword v3, off, s[0:3], 0 offset:72
	buffer_store_dword v78, off, s[0:3], 0 offset:76
	v_cmpx_lt_u32_e32 8, v0
	s_cbranch_execz .LBB36_219
; %bb.218:
	s_clause 0x1
	buffer_load_dword v78, off, s[0:3], 0 offset:64
	buffer_load_dword v79, off, s[0:3], 0 offset:68
	buffer_store_dword v2, off, s[0:3], 0 offset:64
	buffer_store_dword v2, off, s[0:3], 0 offset:68
	s_waitcnt vmcnt(0)
	ds_write_b64 v1, v[78:79]
.LBB36_219:
	s_or_b32 exec_lo, exec_lo, s4
	s_waitcnt lgkmcnt(0)
	s_waitcnt_vscnt null, 0x0
	s_barrier
	buffer_gl0_inv
	s_clause 0x39
	buffer_load_dword v3, off, s[0:3], 0 offset:76
	buffer_load_dword v134, off, s[0:3], 0 offset:84
	;; [unrolled: 1-line block ×58, first 2 shown]
	ds_read2_b64 v[78:81], v2 offset0:47 offset1:48
	ds_read2_b64 v[82:85], v2 offset0:49 offset1:50
	;; [unrolled: 1-line block ×14, first 2 shown]
	s_mov_b32 s4, exec_lo
	s_waitcnt vmcnt(57) lgkmcnt(13)
	v_mul_f32_e32 v2, v78, v3
	v_mul_f32_e32 v3, v79, v3
	s_waitcnt vmcnt(56)
	v_mul_f32_e32 v191, v80, v134
	v_mul_f32_e32 v134, v81, v134
	s_waitcnt vmcnt(55) lgkmcnt(12)
	v_mul_f32_e32 v192, v82, v135
	s_waitcnt vmcnt(54)
	v_mul_f32_e32 v193, v84, v136
	s_waitcnt vmcnt(53) lgkmcnt(11)
	v_mul_f32_e32 v194, v86, v137
	s_waitcnt vmcnt(52)
	;; [unrolled: 4-line block ×12, first 2 shown]
	v_mul_f32_e32 v215, v128, v158
	s_waitcnt vmcnt(29)
	v_fma_f32 v3, v78, v161, -v3
	v_fmac_f32_e32 v2, v79, v161
	v_mul_f32_e32 v78, v83, v135
	s_waitcnt vmcnt(28)
	v_fma_f32 v79, v80, v162, -v134
	v_fmac_f32_e32 v191, v81, v162
	v_add_f32_e32 v3, 0, v3
	v_add_f32_e32 v2, 0, v2
	v_mul_f32_e32 v80, v85, v136
	s_waitcnt vmcnt(27)
	v_fma_f32 v78, v82, v163, -v78
	v_fmac_f32_e32 v192, v83, v163
	v_add_f32_e32 v3, v3, v79
	v_add_f32_e32 v2, v2, v191
	;; [unrolled: 6-line block ×24, first 2 shown]
	s_waitcnt lgkmcnt(0)
	v_mul_f32_e32 v78, v131, v159
	s_waitcnt vmcnt(4)
	v_fma_f32 v79, v128, v186, -v79
	v_mul_f32_e32 v216, v130, v159
	v_add_f32_e32 v3, v3, v80
	v_fmac_f32_e32 v215, v129, v186
	v_add_f32_e32 v2, v2, v214
	v_mul_f32_e32 v80, v133, v160
	s_waitcnt vmcnt(3)
	v_fma_f32 v78, v130, v187, -v78
	v_add_f32_e32 v3, v3, v79
	v_mul_f32_e32 v217, v132, v160
	v_fmac_f32_e32 v216, v131, v187
	v_add_f32_e32 v2, v2, v215
	s_waitcnt vmcnt(2)
	v_fma_f32 v79, v132, v188, -v80
	v_add_f32_e32 v3, v3, v78
	v_fmac_f32_e32 v217, v133, v188
	v_add_f32_e32 v2, v2, v216
	v_add_f32_e32 v3, v3, v79
	;; [unrolled: 1-line block ×3, first 2 shown]
	s_waitcnt vmcnt(1)
	v_sub_f32_e32 v3, v189, v3
	s_waitcnt vmcnt(0)
	v_sub_f32_e32 v2, v190, v2
	buffer_store_dword v3, off, s[0:3], 0 offset:64
	buffer_store_dword v2, off, s[0:3], 0 offset:68
	v_cmpx_lt_u32_e32 7, v0
	s_cbranch_execz .LBB36_221
; %bb.220:
	s_clause 0x1
	buffer_load_dword v2, off, s[0:3], 0 offset:56
	buffer_load_dword v3, off, s[0:3], 0 offset:60
	v_mov_b32_e32 v78, 0
	buffer_store_dword v78, off, s[0:3], 0 offset:56
	buffer_store_dword v78, off, s[0:3], 0 offset:60
	s_waitcnt vmcnt(0)
	ds_write_b64 v1, v[2:3]
.LBB36_221:
	s_or_b32 exec_lo, exec_lo, s4
	s_waitcnt lgkmcnt(0)
	s_waitcnt_vscnt null, 0x0
	s_barrier
	buffer_gl0_inv
	s_clause 0x3b
	buffer_load_dword v3, off, s[0:3], 0 offset:68
	buffer_load_dword v136, off, s[0:3], 0 offset:76
	;; [unrolled: 1-line block ×60, first 2 shown]
	v_mov_b32_e32 v2, 0
	ds_read_b128 v[78:81], v2 offset:368
	ds_read_b128 v[82:85], v2 offset:384
	;; [unrolled: 1-line block ×14, first 2 shown]
	ds_read_b64 v[134:135], v2 offset:592
	s_mov_b32 s4, exec_lo
	s_waitcnt vmcnt(59) lgkmcnt(14)
	v_mul_f32_e32 v195, v78, v3
	v_mul_f32_e32 v3, v79, v3
	s_waitcnt vmcnt(58)
	v_mul_f32_e32 v196, v80, v136
	v_mul_f32_e32 v136, v81, v136
	s_waitcnt vmcnt(57) lgkmcnt(13)
	v_mul_f32_e32 v197, v82, v137
	s_waitcnt vmcnt(56)
	v_mul_f32_e32 v198, v84, v138
	s_waitcnt vmcnt(55) lgkmcnt(12)
	v_mul_f32_e32 v199, v86, v139
	s_waitcnt vmcnt(54)
	;; [unrolled: 4-line block ×13, first 2 shown]
	v_fma_f32 v3, v78, v164, -v3
	v_fmac_f32_e32 v195, v79, v164
	v_mul_f32_e32 v78, v83, v137
	s_waitcnt vmcnt(29)
	v_fma_f32 v79, v80, v165, -v136
	v_fmac_f32_e32 v196, v81, v165
	v_add_f32_e32 v3, 0, v3
	v_add_f32_e32 v80, 0, v195
	v_mul_f32_e32 v81, v85, v138
	s_waitcnt vmcnt(28)
	v_fma_f32 v78, v82, v166, -v78
	v_fmac_f32_e32 v197, v83, v166
	v_add_f32_e32 v3, v3, v79
	v_add_f32_e32 v79, v80, v196
	;; [unrolled: 6-line block ×25, first 2 shown]
	v_mul_f32_e32 v81, v133, v162
	s_waitcnt vmcnt(4)
	v_fma_f32 v79, v130, v190, -v79
	v_mul_f32_e32 v222, v132, v162
	v_add_f32_e32 v3, v3, v80
	v_fmac_f32_e32 v221, v131, v190
	v_add_f32_e32 v78, v78, v220
	s_waitcnt lgkmcnt(0)
	v_mul_f32_e32 v80, v135, v163
	s_waitcnt vmcnt(3)
	v_fma_f32 v81, v132, v191, -v81
	v_add_f32_e32 v3, v3, v79
	v_mul_f32_e32 v223, v134, v163
	v_fmac_f32_e32 v222, v133, v191
	v_add_f32_e32 v78, v78, v221
	s_waitcnt vmcnt(2)
	v_fma_f32 v79, v134, v192, -v80
	v_add_f32_e32 v3, v3, v81
	v_fmac_f32_e32 v223, v135, v192
	v_add_f32_e32 v78, v78, v222
	v_add_f32_e32 v3, v3, v79
	;; [unrolled: 1-line block ×3, first 2 shown]
	s_waitcnt vmcnt(1)
	v_sub_f32_e32 v3, v193, v3
	s_waitcnt vmcnt(0)
	v_sub_f32_e32 v78, v194, v78
	buffer_store_dword v3, off, s[0:3], 0 offset:56
	buffer_store_dword v78, off, s[0:3], 0 offset:60
	v_cmpx_lt_u32_e32 6, v0
	s_cbranch_execz .LBB36_223
; %bb.222:
	s_clause 0x1
	buffer_load_dword v78, off, s[0:3], 0 offset:48
	buffer_load_dword v79, off, s[0:3], 0 offset:52
	buffer_store_dword v2, off, s[0:3], 0 offset:48
	buffer_store_dword v2, off, s[0:3], 0 offset:52
	s_waitcnt vmcnt(0)
	ds_write_b64 v1, v[78:79]
.LBB36_223:
	s_or_b32 exec_lo, exec_lo, s4
	s_waitcnt lgkmcnt(0)
	s_waitcnt_vscnt null, 0x0
	s_barrier
	buffer_gl0_inv
	s_clause 0x3d
	buffer_load_dword v3, off, s[0:3], 0 offset:60
	buffer_load_dword v138, off, s[0:3], 0 offset:68
	;; [unrolled: 1-line block ×62, first 2 shown]
	ds_read2_b64 v[78:81], v2 offset0:45 offset1:46
	ds_read2_b64 v[82:85], v2 offset0:47 offset1:48
	;; [unrolled: 1-line block ×15, first 2 shown]
	s_mov_b32 s4, exec_lo
	s_waitcnt vmcnt(61) lgkmcnt(14)
	v_mul_f32_e32 v2, v78, v3
	v_mul_f32_e32 v3, v79, v3
	s_waitcnt vmcnt(60)
	v_mul_f32_e32 v199, v80, v138
	v_mul_f32_e32 v138, v81, v138
	s_waitcnt vmcnt(59) lgkmcnt(13)
	v_mul_f32_e32 v200, v82, v139
	s_waitcnt vmcnt(58)
	v_mul_f32_e32 v201, v84, v140
	s_waitcnt vmcnt(57) lgkmcnt(12)
	v_mul_f32_e32 v202, v86, v141
	s_waitcnt vmcnt(56)
	;; [unrolled: 4-line block ×13, first 2 shown]
	v_mul_f32_e32 v225, v132, v164
	s_waitcnt vmcnt(31)
	v_fma_f32 v3, v78, v167, -v3
	v_fmac_f32_e32 v2, v79, v167
	v_mul_f32_e32 v78, v83, v139
	s_waitcnt vmcnt(30)
	v_fma_f32 v79, v80, v168, -v138
	v_fmac_f32_e32 v199, v81, v168
	v_add_f32_e32 v3, 0, v3
	v_add_f32_e32 v2, 0, v2
	v_mul_f32_e32 v80, v85, v140
	s_waitcnt vmcnt(29)
	v_fma_f32 v78, v82, v169, -v78
	v_fmac_f32_e32 v200, v83, v169
	v_add_f32_e32 v3, v3, v79
	v_add_f32_e32 v2, v2, v199
	;; [unrolled: 6-line block ×26, first 2 shown]
	s_waitcnt lgkmcnt(0)
	v_mul_f32_e32 v79, v135, v165
	s_waitcnt vmcnt(4)
	v_fma_f32 v80, v132, v194, -v80
	v_mul_f32_e32 v226, v134, v165
	v_add_f32_e32 v3, v3, v78
	v_fmac_f32_e32 v225, v133, v194
	v_add_f32_e32 v2, v2, v224
	v_mul_f32_e32 v78, v137, v166
	s_waitcnt vmcnt(3)
	v_fma_f32 v79, v134, v195, -v79
	v_add_f32_e32 v3, v3, v80
	v_mul_f32_e32 v227, v136, v166
	v_fmac_f32_e32 v226, v135, v195
	v_add_f32_e32 v2, v2, v225
	s_waitcnt vmcnt(2)
	v_fma_f32 v78, v136, v196, -v78
	v_add_f32_e32 v3, v3, v79
	v_fmac_f32_e32 v227, v137, v196
	v_add_f32_e32 v2, v2, v226
	v_add_f32_e32 v3, v3, v78
	;; [unrolled: 1-line block ×3, first 2 shown]
	s_waitcnt vmcnt(1)
	v_sub_f32_e32 v3, v197, v3
	s_waitcnt vmcnt(0)
	v_sub_f32_e32 v2, v198, v2
	buffer_store_dword v3, off, s[0:3], 0 offset:48
	buffer_store_dword v2, off, s[0:3], 0 offset:52
	v_cmpx_lt_u32_e32 5, v0
	s_cbranch_execz .LBB36_225
; %bb.224:
	s_clause 0x1
	buffer_load_dword v2, off, s[0:3], 0 offset:40
	buffer_load_dword v3, off, s[0:3], 0 offset:44
	v_mov_b32_e32 v78, 0
	buffer_store_dword v78, off, s[0:3], 0 offset:40
	buffer_store_dword v78, off, s[0:3], 0 offset:44
	s_waitcnt vmcnt(0)
	ds_write_b64 v1, v[2:3]
.LBB36_225:
	s_or_b32 exec_lo, exec_lo, s4
	s_waitcnt lgkmcnt(0)
	s_waitcnt_vscnt null, 0x0
	s_barrier
	buffer_gl0_inv
	s_clause 0x3e
	buffer_load_dword v3, off, s[0:3], 0 offset:52
	buffer_load_dword v140, off, s[0:3], 0 offset:60
	;; [unrolled: 1-line block ×64, first 2 shown]
	v_mov_b32_e32 v2, 0
	ds_read_b128 v[78:81], v2 offset:352
	ds_read_b128 v[82:85], v2 offset:368
	;; [unrolled: 1-line block ×15, first 2 shown]
	ds_read_b64 v[138:139], v2 offset:592
	s_mov_b32 s4, exec_lo
	s_waitcnt vmcnt(62) lgkmcnt(15)
	v_mul_f32_e32 v203, v78, v3
	v_mul_f32_e32 v3, v79, v3
	;; [unrolled: 1-line block ×4, first 2 shown]
	s_waitcnt vmcnt(61) lgkmcnt(14)
	v_mul_f32_e32 v205, v82, v141
	s_waitcnt vmcnt(60)
	v_mul_f32_e32 v206, v84, v142
	s_waitcnt vmcnt(59) lgkmcnt(13)
	v_mul_f32_e32 v207, v86, v143
	s_waitcnt vmcnt(58)
	v_mul_f32_e32 v208, v88, v144
	;; [unrolled: 4-line block ×13, first 2 shown]
	s_waitcnt vmcnt(35) lgkmcnt(1)
	v_mul_f32_e32 v231, v134, v167
	s_waitcnt vmcnt(32)
	v_fma_f32 v3, v78, v170, -v3
	v_fmac_f32_e32 v203, v79, v170
	v_mul_f32_e32 v78, v83, v141
	s_waitcnt vmcnt(31)
	v_fma_f32 v79, v80, v171, -v140
	v_fmac_f32_e32 v204, v81, v171
	v_add_f32_e32 v3, 0, v3
	v_add_f32_e32 v80, 0, v203
	v_mul_f32_e32 v81, v85, v142
	s_waitcnt vmcnt(30)
	v_fma_f32 v78, v82, v172, -v78
	v_fmac_f32_e32 v205, v83, v172
	v_add_f32_e32 v3, v3, v79
	v_add_f32_e32 v79, v80, v204
	;; [unrolled: 6-line block ×27, first 2 shown]
	v_mul_f32_e32 v79, v137, v168
	s_waitcnt vmcnt(4)
	v_fma_f32 v80, v134, v198, -v80
	v_mul_f32_e32 v232, v136, v168
	v_add_f32_e32 v3, v3, v81
	v_fmac_f32_e32 v231, v135, v198
	v_add_f32_e32 v78, v78, v230
	s_waitcnt lgkmcnt(0)
	v_mul_f32_e32 v81, v139, v169
	s_waitcnt vmcnt(3)
	v_fma_f32 v79, v136, v199, -v79
	v_add_f32_e32 v3, v3, v80
	v_mul_f32_e32 v233, v138, v169
	v_fmac_f32_e32 v232, v137, v199
	v_add_f32_e32 v78, v78, v231
	s_waitcnt vmcnt(2)
	v_fma_f32 v80, v138, v200, -v81
	v_add_f32_e32 v3, v3, v79
	v_fmac_f32_e32 v233, v139, v200
	v_add_f32_e32 v78, v78, v232
	v_add_f32_e32 v3, v3, v80
	;; [unrolled: 1-line block ×3, first 2 shown]
	s_waitcnt vmcnt(1)
	v_sub_f32_e32 v3, v201, v3
	s_waitcnt vmcnt(0)
	v_sub_f32_e32 v78, v202, v78
	buffer_store_dword v3, off, s[0:3], 0 offset:40
	buffer_store_dword v78, off, s[0:3], 0 offset:44
	v_cmpx_lt_u32_e32 4, v0
	s_cbranch_execz .LBB36_227
; %bb.226:
	s_clause 0x1
	buffer_load_dword v78, off, s[0:3], 0 offset:32
	buffer_load_dword v79, off, s[0:3], 0 offset:36
	buffer_store_dword v2, off, s[0:3], 0 offset:32
	buffer_store_dword v2, off, s[0:3], 0 offset:36
	s_waitcnt vmcnt(0)
	ds_write_b64 v1, v[78:79]
.LBB36_227:
	s_or_b32 exec_lo, exec_lo, s4
	s_waitcnt lgkmcnt(0)
	s_waitcnt_vscnt null, 0x0
	s_barrier
	buffer_gl0_inv
	s_clause 0x3e
	buffer_load_dword v3, off, s[0:3], 0 offset:44
	buffer_load_dword v142, off, s[0:3], 0 offset:52
	;; [unrolled: 1-line block ×63, first 2 shown]
	s_clause 0x2
	buffer_load_dword v204, off, s[0:3], 0 offset:288
	buffer_load_dword v205, off, s[0:3], 0 offset:32
	;; [unrolled: 1-line block ×3, first 2 shown]
	ds_read2_b64 v[78:81], v2 offset0:43 offset1:44
	ds_read2_b64 v[82:85], v2 offset0:45 offset1:46
	;; [unrolled: 1-line block ×16, first 2 shown]
	s_mov_b32 s4, exec_lo
	s_waitcnt vmcnt(62) lgkmcnt(15)
	v_mul_f32_e32 v2, v78, v3
	v_mul_f32_e32 v3, v79, v3
	;; [unrolled: 1-line block ×4, first 2 shown]
	s_waitcnt lgkmcnt(14)
	v_mul_f32_e32 v208, v82, v143
	v_mul_f32_e32 v209, v84, v144
	s_waitcnt vmcnt(61) lgkmcnt(13)
	v_mul_f32_e32 v210, v86, v145
	s_waitcnt vmcnt(60)
	v_mul_f32_e32 v211, v88, v146
	s_waitcnt vmcnt(59) lgkmcnt(12)
	v_mul_f32_e32 v212, v90, v147
	s_waitcnt vmcnt(58)
	;; [unrolled: 4-line block ×13, first 2 shown]
	v_mul_f32_e32 v235, v136, v170
	s_waitcnt vmcnt(33)
	v_fma_f32 v3, v78, v173, -v3
	v_fmac_f32_e32 v2, v79, v173
	v_mul_f32_e32 v78, v83, v143
	s_waitcnt vmcnt(32)
	v_fma_f32 v79, v80, v174, -v142
	v_fmac_f32_e32 v207, v81, v174
	v_add_f32_e32 v3, 0, v3
	v_add_f32_e32 v2, 0, v2
	v_mul_f32_e32 v80, v85, v144
	s_waitcnt vmcnt(31)
	v_fma_f32 v78, v82, v175, -v78
	v_fmac_f32_e32 v208, v83, v175
	v_add_f32_e32 v3, v3, v79
	v_add_f32_e32 v2, v2, v207
	;; [unrolled: 6-line block ×28, first 2 shown]
	s_waitcnt lgkmcnt(0)
	v_mul_f32_e32 v80, v139, v171
	s_waitcnt vmcnt(4)
	v_fma_f32 v78, v136, v202, -v78
	v_mul_f32_e32 v236, v138, v171
	v_add_f32_e32 v3, v3, v79
	v_fmac_f32_e32 v235, v137, v202
	v_add_f32_e32 v2, v2, v234
	v_mul_f32_e32 v79, v141, v172
	s_waitcnt vmcnt(3)
	v_fma_f32 v80, v138, v203, -v80
	v_add_f32_e32 v3, v3, v78
	v_mul_f32_e32 v237, v140, v172
	v_fmac_f32_e32 v236, v139, v203
	v_add_f32_e32 v2, v2, v235
	s_waitcnt vmcnt(2)
	v_fma_f32 v78, v140, v204, -v79
	v_add_f32_e32 v3, v3, v80
	v_fmac_f32_e32 v237, v141, v204
	v_add_f32_e32 v2, v2, v236
	v_add_f32_e32 v3, v3, v78
	;; [unrolled: 1-line block ×3, first 2 shown]
	s_waitcnt vmcnt(1)
	v_sub_f32_e32 v3, v205, v3
	s_waitcnt vmcnt(0)
	v_sub_f32_e32 v2, v206, v2
	buffer_store_dword v3, off, s[0:3], 0 offset:32
	buffer_store_dword v2, off, s[0:3], 0 offset:36
	v_cmpx_lt_u32_e32 3, v0
	s_cbranch_execz .LBB36_229
; %bb.228:
	s_clause 0x1
	buffer_load_dword v2, off, s[0:3], 0 offset:24
	buffer_load_dword v3, off, s[0:3], 0 offset:28
	v_mov_b32_e32 v78, 0
	buffer_store_dword v78, off, s[0:3], 0 offset:24
	buffer_store_dword v78, off, s[0:3], 0 offset:28
	s_waitcnt vmcnt(0)
	ds_write_b64 v1, v[2:3]
.LBB36_229:
	s_or_b32 exec_lo, exec_lo, s4
	s_waitcnt lgkmcnt(0)
	s_waitcnt_vscnt null, 0x0
	s_barrier
	buffer_gl0_inv
	s_clause 0x3e
	buffer_load_dword v3, off, s[0:3], 0 offset:36
	buffer_load_dword v144, off, s[0:3], 0 offset:44
	;; [unrolled: 1-line block ×63, first 2 shown]
	s_clause 0x4
	buffer_load_dword v206, off, s[0:3], 0 offset:272
	buffer_load_dword v207, off, s[0:3], 0 offset:280
	;; [unrolled: 1-line block ×5, first 2 shown]
	v_mov_b32_e32 v2, 0
	ds_read_b128 v[78:81], v2 offset:336
	ds_read_b128 v[82:85], v2 offset:352
	;; [unrolled: 1-line block ×16, first 2 shown]
	ds_read_b64 v[142:143], v2 offset:592
	s_mov_b32 s4, exec_lo
	s_waitcnt vmcnt(62) lgkmcnt(16)
	v_mul_f32_e32 v211, v78, v3
	v_mul_f32_e32 v3, v79, v3
	;; [unrolled: 1-line block ×4, first 2 shown]
	s_waitcnt lgkmcnt(15)
	v_mul_f32_e32 v213, v82, v145
	v_mul_f32_e32 v214, v84, v146
	s_waitcnt lgkmcnt(14)
	v_mul_f32_e32 v215, v86, v147
	v_mul_f32_e32 v216, v88, v148
	s_waitcnt vmcnt(61) lgkmcnt(13)
	v_mul_f32_e32 v217, v90, v149
	s_waitcnt vmcnt(60)
	v_mul_f32_e32 v218, v92, v150
	s_waitcnt vmcnt(59) lgkmcnt(12)
	v_mul_f32_e32 v219, v94, v151
	s_waitcnt vmcnt(58)
	;; [unrolled: 4-line block ×13, first 2 shown]
	v_fma_f32 v3, v78, v176, -v3
	v_fmac_f32_e32 v211, v79, v176
	v_mul_f32_e32 v78, v83, v145
	s_waitcnt vmcnt(33)
	v_fma_f32 v79, v80, v177, -v144
	v_fmac_f32_e32 v212, v81, v177
	v_add_f32_e32 v3, 0, v3
	v_add_f32_e32 v80, 0, v211
	v_mul_f32_e32 v81, v85, v146
	s_waitcnt vmcnt(32)
	v_fma_f32 v78, v82, v178, -v78
	v_fmac_f32_e32 v213, v83, v178
	v_add_f32_e32 v3, v3, v79
	v_add_f32_e32 v79, v80, v212
	v_mul_f32_e32 v80, v87, v147
	s_waitcnt vmcnt(31)
	v_fma_f32 v81, v84, v179, -v81
	v_fmac_f32_e32 v214, v85, v179
	v_add_f32_e32 v3, v3, v78
	v_add_f32_e32 v78, v79, v213
	v_mul_f32_e32 v79, v89, v148
	s_waitcnt vmcnt(30)
	v_fma_f32 v80, v86, v180, -v80
	v_fmac_f32_e32 v215, v87, v180
	v_add_f32_e32 v3, v3, v81
	v_add_f32_e32 v78, v78, v214
	v_mul_f32_e32 v81, v91, v149
	s_waitcnt vmcnt(29)
	v_fma_f32 v79, v88, v181, -v79
	v_fmac_f32_e32 v216, v89, v181
	v_add_f32_e32 v3, v3, v80
	v_add_f32_e32 v78, v78, v215
	v_mul_f32_e32 v80, v93, v150
	s_waitcnt vmcnt(28)
	v_fma_f32 v81, v90, v182, -v81
	v_fmac_f32_e32 v217, v91, v182
	v_add_f32_e32 v3, v3, v79
	v_add_f32_e32 v78, v78, v216
	v_mul_f32_e32 v79, v95, v151
	s_waitcnt vmcnt(27)
	v_fma_f32 v80, v92, v183, -v80
	v_fmac_f32_e32 v218, v93, v183
	v_add_f32_e32 v3, v3, v81
	v_add_f32_e32 v78, v78, v217
	v_mul_f32_e32 v81, v97, v152
	s_waitcnt vmcnt(26)
	v_fma_f32 v79, v94, v184, -v79
	v_fmac_f32_e32 v219, v95, v184
	v_add_f32_e32 v3, v3, v80
	v_add_f32_e32 v78, v78, v218
	v_mul_f32_e32 v80, v99, v153
	s_waitcnt vmcnt(25)
	v_fma_f32 v81, v96, v185, -v81
	v_fmac_f32_e32 v220, v97, v185
	v_add_f32_e32 v3, v3, v79
	v_add_f32_e32 v78, v78, v219
	v_mul_f32_e32 v79, v101, v154
	s_waitcnt vmcnt(24)
	v_fma_f32 v80, v98, v186, -v80
	v_fmac_f32_e32 v221, v99, v186
	v_add_f32_e32 v3, v3, v81
	v_add_f32_e32 v78, v78, v220
	v_mul_f32_e32 v81, v103, v155
	s_waitcnt vmcnt(23)
	v_fma_f32 v79, v100, v187, -v79
	v_fmac_f32_e32 v222, v101, v187
	v_add_f32_e32 v3, v3, v80
	v_add_f32_e32 v78, v78, v221
	v_mul_f32_e32 v80, v105, v156
	s_waitcnt vmcnt(22)
	v_fma_f32 v81, v102, v188, -v81
	v_fmac_f32_e32 v223, v103, v188
	v_add_f32_e32 v3, v3, v79
	v_add_f32_e32 v78, v78, v222
	v_mul_f32_e32 v79, v107, v157
	s_waitcnt vmcnt(21)
	v_fma_f32 v80, v104, v189, -v80
	v_fmac_f32_e32 v224, v105, v189
	v_add_f32_e32 v3, v3, v81
	v_add_f32_e32 v78, v78, v223
	v_mul_f32_e32 v81, v109, v158
	s_waitcnt vmcnt(20)
	v_fma_f32 v79, v106, v190, -v79
	v_fmac_f32_e32 v225, v107, v190
	v_add_f32_e32 v3, v3, v80
	v_add_f32_e32 v78, v78, v224
	v_mul_f32_e32 v80, v111, v159
	s_waitcnt vmcnt(19)
	v_fma_f32 v81, v108, v191, -v81
	v_fmac_f32_e32 v226, v109, v191
	v_add_f32_e32 v3, v3, v79
	v_add_f32_e32 v78, v78, v225
	v_mul_f32_e32 v79, v113, v160
	s_waitcnt vmcnt(18)
	v_fma_f32 v80, v110, v192, -v80
	v_fmac_f32_e32 v227, v111, v192
	v_add_f32_e32 v3, v3, v81
	v_add_f32_e32 v78, v78, v226
	v_mul_f32_e32 v81, v115, v161
	s_waitcnt vmcnt(17)
	v_fma_f32 v79, v112, v193, -v79
	v_fmac_f32_e32 v228, v113, v193
	v_add_f32_e32 v3, v3, v80
	v_add_f32_e32 v78, v78, v227
	v_mul_f32_e32 v80, v117, v162
	s_waitcnt vmcnt(16)
	v_fma_f32 v81, v114, v194, -v81
	v_fmac_f32_e32 v229, v115, v194
	v_add_f32_e32 v3, v3, v79
	v_add_f32_e32 v78, v78, v228
	v_mul_f32_e32 v79, v119, v163
	s_waitcnt vmcnt(15)
	v_fma_f32 v80, v116, v195, -v80
	v_fmac_f32_e32 v230, v117, v195
	v_add_f32_e32 v3, v3, v81
	v_add_f32_e32 v78, v78, v229
	v_mul_f32_e32 v81, v121, v164
	s_waitcnt vmcnt(14)
	v_fma_f32 v79, v118, v196, -v79
	v_fmac_f32_e32 v231, v119, v196
	v_add_f32_e32 v3, v3, v80
	v_add_f32_e32 v78, v78, v230
	v_mul_f32_e32 v80, v123, v165
	s_waitcnt vmcnt(13)
	v_fma_f32 v81, v120, v197, -v81
	v_fmac_f32_e32 v232, v121, v197
	v_add_f32_e32 v3, v3, v79
	v_add_f32_e32 v78, v78, v231
	v_mul_f32_e32 v79, v125, v166
	s_waitcnt vmcnt(12)
	v_fma_f32 v80, v122, v198, -v80
	v_fmac_f32_e32 v233, v123, v198
	v_add_f32_e32 v3, v3, v81
	v_add_f32_e32 v78, v78, v232
	v_mul_f32_e32 v81, v127, v167
	s_waitcnt vmcnt(11)
	v_fma_f32 v79, v124, v199, -v79
	v_fmac_f32_e32 v234, v125, v199
	v_add_f32_e32 v3, v3, v80
	v_add_f32_e32 v78, v78, v233
	v_mul_f32_e32 v80, v129, v168
	s_waitcnt vmcnt(10)
	v_fma_f32 v81, v126, v200, -v81
	v_fmac_f32_e32 v235, v127, v200
	v_add_f32_e32 v3, v3, v79
	v_add_f32_e32 v78, v78, v234
	v_mul_f32_e32 v79, v131, v169
	s_waitcnt vmcnt(9)
	v_fma_f32 v80, v128, v201, -v80
	v_fmac_f32_e32 v236, v129, v201
	v_add_f32_e32 v3, v3, v81
	v_add_f32_e32 v78, v78, v235
	v_mul_f32_e32 v81, v133, v170
	s_waitcnt vmcnt(8)
	v_fma_f32 v79, v130, v202, -v79
	v_fmac_f32_e32 v237, v131, v202
	v_add_f32_e32 v3, v3, v80
	v_add_f32_e32 v78, v78, v236
	v_mul_f32_e32 v80, v135, v171
	s_waitcnt vmcnt(7)
	v_fma_f32 v81, v132, v203, -v81
	v_fmac_f32_e32 v238, v133, v203
	v_add_f32_e32 v3, v3, v79
	v_add_f32_e32 v78, v78, v237
	v_mul_f32_e32 v79, v137, v172
	s_waitcnt vmcnt(6)
	v_fma_f32 v80, v134, v204, -v80
	v_fmac_f32_e32 v239, v135, v204
	v_add_f32_e32 v3, v3, v81
	v_add_f32_e32 v78, v78, v238
	v_mul_f32_e32 v81, v139, v173
	s_waitcnt vmcnt(5)
	v_fma_f32 v79, v136, v205, -v79
	v_fmac_f32_e32 v240, v137, v205
	v_add_f32_e32 v3, v3, v80
	v_add_f32_e32 v78, v78, v239
	v_mul_f32_e32 v80, v141, v174
	s_waitcnt vmcnt(4)
	v_fma_f32 v81, v138, v206, -v81
	v_mul_f32_e32 v242, v140, v174
	v_add_f32_e32 v3, v3, v79
	v_fmac_f32_e32 v241, v139, v206
	v_add_f32_e32 v78, v78, v240
	s_waitcnt lgkmcnt(0)
	v_mul_f32_e32 v79, v143, v175
	s_waitcnt vmcnt(3)
	v_fma_f32 v80, v140, v207, -v80
	v_add_f32_e32 v3, v3, v81
	v_mul_f32_e32 v243, v142, v175
	v_fmac_f32_e32 v242, v141, v207
	v_add_f32_e32 v78, v78, v241
	s_waitcnt vmcnt(2)
	v_fma_f32 v79, v142, v208, -v79
	v_add_f32_e32 v3, v3, v80
	v_fmac_f32_e32 v243, v143, v208
	v_add_f32_e32 v78, v78, v242
	v_add_f32_e32 v3, v3, v79
	;; [unrolled: 1-line block ×3, first 2 shown]
	s_waitcnt vmcnt(1)
	v_sub_f32_e32 v3, v209, v3
	s_waitcnt vmcnt(0)
	v_sub_f32_e32 v78, v210, v78
	buffer_store_dword v3, off, s[0:3], 0 offset:24
	buffer_store_dword v78, off, s[0:3], 0 offset:28
	v_cmpx_lt_u32_e32 2, v0
	s_cbranch_execz .LBB36_231
; %bb.230:
	s_clause 0x1
	buffer_load_dword v78, off, s[0:3], 0 offset:16
	buffer_load_dword v79, off, s[0:3], 0 offset:20
	buffer_store_dword v2, off, s[0:3], 0 offset:16
	buffer_store_dword v2, off, s[0:3], 0 offset:20
	s_waitcnt vmcnt(0)
	ds_write_b64 v1, v[78:79]
.LBB36_231:
	s_or_b32 exec_lo, exec_lo, s4
	s_waitcnt lgkmcnt(0)
	s_waitcnt_vscnt null, 0x0
	s_barrier
	buffer_gl0_inv
	s_clause 0x3e
	buffer_load_dword v3, off, s[0:3], 0 offset:28
	buffer_load_dword v146, off, s[0:3], 0 offset:36
	;; [unrolled: 1-line block ×63, first 2 shown]
	s_clause 0x6
	buffer_load_dword v208, off, s[0:3], 0 offset:256
	buffer_load_dword v209, off, s[0:3], 0 offset:264
	;; [unrolled: 1-line block ×7, first 2 shown]
	ds_read2_b64 v[78:81], v2 offset0:41 offset1:42
	ds_read2_b64 v[82:85], v2 offset0:43 offset1:44
	;; [unrolled: 1-line block ×17, first 2 shown]
	s_mov_b32 s4, exec_lo
	s_waitcnt vmcnt(62) lgkmcnt(16)
	v_mul_f32_e32 v2, v78, v3
	v_mul_f32_e32 v3, v79, v3
	;; [unrolled: 1-line block ×4, first 2 shown]
	s_waitcnt lgkmcnt(15)
	v_mul_f32_e32 v216, v82, v147
	v_mul_f32_e32 v217, v84, v148
	s_waitcnt lgkmcnt(14)
	v_mul_f32_e32 v218, v86, v149
	v_mul_f32_e32 v219, v88, v150
	;; [unrolled: 3-line block ×3, first 2 shown]
	s_waitcnt vmcnt(61) lgkmcnt(12)
	v_mul_f32_e32 v222, v94, v153
	s_waitcnt vmcnt(60)
	v_mul_f32_e32 v223, v96, v154
	s_waitcnt vmcnt(59) lgkmcnt(11)
	v_mul_f32_e32 v224, v98, v155
	s_waitcnt vmcnt(58)
	v_mul_f32_e32 v225, v100, v156
	;; [unrolled: 4-line block ×12, first 2 shown]
	s_waitcnt vmcnt(35)
	v_fma_f32 v3, v78, v179, -v3
	v_fmac_f32_e32 v2, v79, v179
	v_mul_f32_e32 v78, v83, v147
	s_waitcnt vmcnt(34)
	v_fma_f32 v79, v80, v180, -v146
	v_fmac_f32_e32 v215, v81, v180
	v_add_f32_e32 v3, 0, v3
	v_add_f32_e32 v2, 0, v2
	v_mul_f32_e32 v80, v85, v148
	s_waitcnt vmcnt(33)
	v_fma_f32 v78, v82, v181, -v78
	v_fmac_f32_e32 v216, v83, v181
	v_add_f32_e32 v3, v3, v79
	v_add_f32_e32 v2, v2, v215
	;; [unrolled: 6-line block ×30, first 2 shown]
	s_waitcnt lgkmcnt(0)
	v_mul_f32_e32 v78, v143, v177
	s_waitcnt vmcnt(4)
	v_fma_f32 v79, v140, v210, -v79
	v_mul_f32_e32 v246, v142, v177
	v_add_f32_e32 v3, v3, v80
	v_fmac_f32_e32 v245, v141, v210
	v_add_f32_e32 v2, v2, v244
	v_mul_f32_e32 v80, v145, v178
	s_waitcnt vmcnt(3)
	v_fma_f32 v78, v142, v211, -v78
	v_add_f32_e32 v3, v3, v79
	v_mul_f32_e32 v247, v144, v178
	v_fmac_f32_e32 v246, v143, v211
	v_add_f32_e32 v2, v2, v245
	s_waitcnt vmcnt(2)
	v_fma_f32 v79, v144, v212, -v80
	v_add_f32_e32 v3, v3, v78
	v_fmac_f32_e32 v247, v145, v212
	v_add_f32_e32 v2, v2, v246
	v_add_f32_e32 v3, v3, v79
	;; [unrolled: 1-line block ×3, first 2 shown]
	s_waitcnt vmcnt(1)
	v_sub_f32_e32 v3, v213, v3
	s_waitcnt vmcnt(0)
	v_sub_f32_e32 v2, v214, v2
	buffer_store_dword v3, off, s[0:3], 0 offset:16
	buffer_store_dword v2, off, s[0:3], 0 offset:20
	v_cmpx_lt_u32_e32 1, v0
	s_cbranch_execz .LBB36_233
; %bb.232:
	s_clause 0x1
	buffer_load_dword v2, off, s[0:3], 0 offset:8
	buffer_load_dword v3, off, s[0:3], 0 offset:12
	v_mov_b32_e32 v78, 0
	buffer_store_dword v78, off, s[0:3], 0 offset:8
	buffer_store_dword v78, off, s[0:3], 0 offset:12
	s_waitcnt vmcnt(0)
	ds_write_b64 v1, v[2:3]
.LBB36_233:
	s_or_b32 exec_lo, exec_lo, s4
	s_waitcnt lgkmcnt(0)
	s_waitcnt_vscnt null, 0x0
	s_barrier
	buffer_gl0_inv
	s_clause 0x3e
	buffer_load_dword v147, off, s[0:3], 0 offset:20
	buffer_load_dword v148, off, s[0:3], 0 offset:28
	;; [unrolled: 1-line block ×63, first 2 shown]
	s_clause 0x8
	buffer_load_dword v210, off, s[0:3], 0 offset:240
	buffer_load_dword v211, off, s[0:3], 0 offset:248
	;; [unrolled: 1-line block ×9, first 2 shown]
	v_mov_b32_e32 v78, 0
	ds_read_b128 v[79:82], v78 offset:320
	ds_read_b128 v[83:86], v78 offset:336
	ds_read_b128 v[87:90], v78 offset:352
	ds_read_b128 v[91:94], v78 offset:368
	ds_read_b128 v[95:98], v78 offset:384
	ds_read_b128 v[99:102], v78 offset:400
	ds_read_b128 v[103:106], v78 offset:416
	ds_read_b128 v[107:110], v78 offset:432
	ds_read_b128 v[111:114], v78 offset:448
	ds_read_b128 v[115:118], v78 offset:464
	ds_read_b128 v[119:122], v78 offset:480
	ds_read_b128 v[123:126], v78 offset:496
	ds_read_b128 v[127:130], v78 offset:512
	ds_read_b128 v[131:134], v78 offset:528
	ds_read_b128 v[135:138], v78 offset:544
	ds_read_b128 v[139:142], v78 offset:560
	ds_read_b128 v[143:146], v78 offset:576
	ds_read_b64 v[2:3], v78 offset:592
	s_mov_b32 s4, exec_lo
	s_waitcnt vmcnt(62) lgkmcnt(17)
	v_mul_f32_e32 v219, v79, v147
	v_mul_f32_e32 v147, v80, v147
	;; [unrolled: 1-line block ×4, first 2 shown]
	s_waitcnt lgkmcnt(16)
	v_mul_f32_e32 v221, v83, v149
	v_mul_f32_e32 v222, v85, v150
	s_waitcnt lgkmcnt(15)
	v_mul_f32_e32 v223, v87, v151
	v_mul_f32_e32 v224, v89, v152
	;; [unrolled: 3-line block ×4, first 2 shown]
	s_waitcnt vmcnt(61) lgkmcnt(12)
	v_mul_f32_e32 v229, v99, v157
	s_waitcnt vmcnt(60)
	v_mul_f32_e32 v230, v101, v158
	s_waitcnt vmcnt(59) lgkmcnt(11)
	v_mul_f32_e32 v231, v103, v159
	s_waitcnt vmcnt(58)
	v_mul_f32_e32 v232, v105, v160
	;; [unrolled: 4-line block ×11, first 2 shown]
	s_waitcnt vmcnt(39) lgkmcnt(1)
	v_mul_f32_e32 v251, v143, v179
	s_waitcnt vmcnt(36)
	v_fma_f32 v79, v79, v182, -v147
	v_fmac_f32_e32 v219, v80, v182
	v_mul_f32_e32 v80, v84, v149
	s_waitcnt vmcnt(35)
	v_fma_f32 v81, v81, v183, -v148
	v_fmac_f32_e32 v220, v82, v183
	v_add_f32_e32 v79, 0, v79
	v_add_f32_e32 v82, 0, v219
	v_mul_f32_e32 v147, v86, v150
	s_waitcnt vmcnt(34)
	v_fma_f32 v80, v83, v184, -v80
	v_fmac_f32_e32 v221, v84, v184
	v_add_f32_e32 v79, v79, v81
	v_add_f32_e32 v81, v82, v220
	;; [unrolled: 6-line block ×31, first 2 shown]
	v_mul_f32_e32 v83, v146, v180
	s_waitcnt vmcnt(4)
	v_fma_f32 v81, v143, v214, -v81
	v_mul_f32_e32 v252, v145, v180
	v_add_f32_e32 v79, v79, v82
	v_fmac_f32_e32 v251, v144, v214
	v_add_f32_e32 v80, v80, v250
	s_waitcnt lgkmcnt(0)
	v_mul_f32_e32 v253, v2, v181
	v_mul_f32_e32 v82, v3, v181
	s_waitcnt vmcnt(3)
	v_fma_f32 v83, v145, v215, -v83
	v_add_f32_e32 v79, v79, v81
	v_fmac_f32_e32 v252, v146, v215
	v_add_f32_e32 v80, v80, v251
	s_waitcnt vmcnt(2)
	v_fmac_f32_e32 v253, v3, v216
	v_fma_f32 v2, v2, v216, -v82
	v_add_f32_e32 v3, v79, v83
	v_add_f32_e32 v79, v80, v252
	;; [unrolled: 1-line block ×4, first 2 shown]
	s_waitcnt vmcnt(1)
	v_sub_f32_e32 v2, v217, v2
	s_waitcnt vmcnt(0)
	v_sub_f32_e32 v3, v218, v3
	buffer_store_dword v2, off, s[0:3], 0 offset:8
	buffer_store_dword v3, off, s[0:3], 0 offset:12
	v_cmpx_ne_u32_e32 0, v0
	s_cbranch_execz .LBB36_235
; %bb.234:
	s_clause 0x1
	buffer_load_dword v2, off, s[0:3], 0
	buffer_load_dword v3, off, s[0:3], 0 offset:4
	buffer_store_dword v78, off, s[0:3], 0
	buffer_store_dword v78, off, s[0:3], 0 offset:4
	s_waitcnt vmcnt(0)
	ds_write_b64 v1, v[2:3]
.LBB36_235:
	s_or_b32 exec_lo, exec_lo, s4
	s_waitcnt lgkmcnt(0)
	s_waitcnt_vscnt null, 0x0
	s_barrier
	buffer_gl0_inv
	s_clause 0x24
	buffer_load_dword v114, off, s[0:3], 0 offset:12
	buffer_load_dword v115, off, s[0:3], 0 offset:20
	;; [unrolled: 1-line block ×37, first 2 shown]
	ds_read2_b64 v[0:3], v78 offset0:39 offset1:40
	ds_read2_b64 v[116:119], v78 offset0:41 offset1:42
	;; [unrolled: 1-line block ×4, first 2 shown]
	s_clause 0x1
	buffer_load_dword v128, off, s[0:3], 0 offset:156
	buffer_load_dword v131, off, s[0:3], 0 offset:4
	s_and_b32 vcc_lo, exec_lo, s22
	s_waitcnt vmcnt(38) lgkmcnt(3)
	v_mul_f32_e32 v129, v0, v114
	s_waitcnt vmcnt(37)
	v_mul_f32_e32 v130, v2, v115
	v_mul_f32_e32 v114, v1, v114
	;; [unrolled: 1-line block ×3, first 2 shown]
	s_waitcnt vmcnt(34)
	v_fmac_f32_e32 v129, v1, v85
	v_fmac_f32_e32 v130, v3, v83
	v_fma_f32 v132, v0, v85, -v114
	v_fma_f32 v133, v2, v83, -v115
	ds_read2_b64 v[0:3], v78 offset0:47 offset1:48
	s_waitcnt vmcnt(33) lgkmcnt(3)
	v_mul_f32_e32 v134, v116, v80
	s_waitcnt vmcnt(32)
	v_mul_f32_e32 v135, v118, v81
	v_mul_f32_e32 v80, v117, v80
	;; [unrolled: 1-line block ×3, first 2 shown]
	s_waitcnt vmcnt(31) lgkmcnt(2)
	v_mul_f32_e32 v136, v120, v82
	v_mul_f32_e32 v83, v121, v82
	v_fmac_f32_e32 v134, v117, v79
	s_waitcnt vmcnt(26)
	v_fmac_f32_e32 v135, v119, v91
	v_fma_f32 v119, v116, v79, -v80
	v_fma_f32 v91, v118, v91, -v81
	ds_read2_b64 v[79:82], v78 offset0:49 offset1:50
	ds_read2_b64 v[114:117], v78 offset0:51 offset1:52
	v_mul_f32_e32 v137, v122, v84
	v_mul_f32_e32 v84, v123, v84
	v_fmac_f32_e32 v136, v121, v90
	v_fma_f32 v90, v120, v90, -v83
	s_waitcnt vmcnt(25) lgkmcnt(3)
	v_mul_f32_e32 v118, v124, v87
	v_fmac_f32_e32 v137, v123, v89
	v_fma_f32 v89, v122, v89, -v84
	s_waitcnt vmcnt(24)
	v_mul_f32_e32 v120, v126, v88
	v_mul_f32_e32 v83, v125, v87
	v_mul_f32_e32 v84, v127, v88
	s_waitcnt vmcnt(23) lgkmcnt(2)
	v_mul_f32_e32 v87, v0, v92
	s_waitcnt vmcnt(22)
	v_mul_f32_e32 v88, v2, v93
	v_mul_f32_e32 v92, v1, v92
	;; [unrolled: 1-line block ×3, first 2 shown]
	v_fmac_f32_e32 v118, v125, v86
	s_waitcnt vmcnt(19)
	v_fmac_f32_e32 v87, v1, v98
	v_fmac_f32_e32 v88, v3, v97
	v_fma_f32 v92, v0, v98, -v92
	v_fma_f32 v93, v2, v97, -v93
	s_waitcnt vmcnt(17) lgkmcnt(1)
	v_mul_f32_e32 v97, v79, v95
	s_waitcnt vmcnt(16)
	v_mul_f32_e32 v98, v81, v96
	v_mul_f32_e32 v95, v80, v95
	;; [unrolled: 1-line block ×3, first 2 shown]
	v_fmac_f32_e32 v120, v127, v100
	v_fma_f32 v121, v124, v86, -v83
	v_fma_f32 v100, v126, v100, -v84
	ds_read2_b64 v[83:86], v78 offset0:53 offset1:54
	ds_read2_b64 v[0:3], v78 offset0:55 offset1:56
	v_fmac_f32_e32 v97, v80, v94
	s_waitcnt vmcnt(10)
	v_fmac_f32_e32 v98, v82, v108
	v_fma_f32 v94, v79, v94, -v95
	v_fma_f32 v95, v81, v108, -v96
	s_clause 0x5
	buffer_load_dword v96, off, s[0:3], 0 offset:164
	buffer_load_dword v108, off, s[0:3], 0 offset:172
	;; [unrolled: 1-line block ×6, first 2 shown]
	s_waitcnt lgkmcnt(2)
	v_mul_f32_e32 v122, v114, v101
	v_mul_f32_e32 v123, v116, v102
	;; [unrolled: 1-line block ×4, first 2 shown]
	v_fmac_f32_e32 v122, v115, v107
	v_fmac_f32_e32 v123, v117, v106
	v_fma_f32 v101, v114, v107, -v101
	v_fma_f32 v102, v116, v106, -v102
	s_clause 0x1
	buffer_load_dword v106, off, s[0:3], 0 offset:180
	buffer_load_dword v107, off, s[0:3], 0 offset:188
	s_waitcnt vmcnt(17) lgkmcnt(1)
	v_mul_f32_e32 v114, v83, v104
	v_mul_f32_e32 v79, v84, v104
	s_waitcnt vmcnt(16)
	v_mul_f32_e32 v115, v85, v105
	v_mul_f32_e32 v80, v86, v105
	buffer_load_dword v104, off, s[0:3], 0 offset:196
	v_fmac_f32_e32 v114, v84, v103
	v_fma_f32 v103, v83, v103, -v79
	v_add_f32_e32 v83, 0, v129
	s_waitcnt vmcnt(13)
	v_fmac_f32_e32 v115, v86, v113
	v_fma_f32 v105, v85, v113, -v80
	v_add_f32_e32 v84, 0, v132
	s_waitcnt vmcnt(12) lgkmcnt(0)
	v_mul_f32_e32 v113, v0, v112
	v_mul_f32_e32 v85, v1, v112
	v_add_f32_e32 v83, v83, v130
	ds_read2_b64 v[79:82], v78 offset0:57 offset1:58
	s_clause 0x3
	buffer_load_dword v112, off, s[0:3], 0 offset:216
	buffer_load_dword v116, off, s[0:3], 0 offset:208
	;; [unrolled: 1-line block ×4, first 2 shown]
	v_add_f32_e32 v84, v84, v133
	v_fmac_f32_e32 v113, v1, v111
	v_fma_f32 v111, v0, v111, -v85
	v_add_f32_e32 v0, v83, v134
	s_clause 0x1
	buffer_load_dword v130, off, s[0:3], 0 offset:204
	buffer_load_dword v132, off, s[0:3], 0 offset:212
	v_add_f32_e32 v1, v84, v119
	s_waitcnt vmcnt(17)
	v_mul_f32_e32 v119, v2, v110
	v_mul_f32_e32 v83, v3, v110
	v_add_f32_e32 v0, v0, v135
	buffer_load_dword v110, off, s[0:3], 0 offset:220
	v_add_f32_e32 v1, v1, v91
	s_clause 0x1
	buffer_load_dword v133, off, s[0:3], 0 offset:228
	buffer_load_dword v134, off, s[0:3], 0 offset:236
	v_fmac_f32_e32 v119, v3, v109
	v_add_f32_e32 v0, v0, v136
	s_clause 0x1
	buffer_load_dword v135, off, s[0:3], 0 offset:244
	buffer_load_dword v136, off, s[0:3], 0 offset:252
	v_add_f32_e32 v1, v1, v90
	v_fma_f32 v109, v2, v109, -v83
	v_add_f32_e32 v0, v0, v137
	s_clause 0x3
	buffer_load_dword v137, off, s[0:3], 0 offset:260
	buffer_load_dword v138, off, s[0:3], 0 offset:268
	;; [unrolled: 1-line block ×4, first 2 shown]
	v_add_f32_e32 v1, v1, v89
	s_waitcnt vmcnt(25) lgkmcnt(0)
	v_mul_f32_e32 v85, v80, v128
	v_mul_f32_e32 v91, v79, v128
	v_add_f32_e32 v0, v0, v118
	buffer_load_dword v118, off, s[0:3], 0 offset:292
	v_add_f32_e32 v1, v1, v121
	v_fmac_f32_e32 v91, v80, v99
	v_add_f32_e32 v0, v0, v120
	s_clause 0x3
	buffer_load_dword v120, off, s[0:3], 0 offset:248
	buffer_load_dword v121, off, s[0:3], 0 offset:240
	;; [unrolled: 1-line block ×4, first 2 shown]
	v_add_f32_e32 v1, v1, v100
	s_clause 0x5
	buffer_load_dword v100, off, s[0:3], 0 offset:280
	buffer_load_dword v143, off, s[0:3], 0 offset:272
	;; [unrolled: 1-line block ×5, first 2 shown]
	buffer_load_dword v147, off, s[0:3], 0
	v_add_f32_e32 v0, v0, v87
	v_add_f32_e32 v1, v1, v92
	v_fma_f32 v92, v79, v99, -v85
	v_add_f32_e32 v0, v0, v88
	v_add_f32_e32 v1, v1, v93
	v_add_f32_e32 v0, v0, v97
	v_add_f32_e32 v1, v1, v94
	v_add_f32_e32 v0, v0, v98
	v_add_f32_e32 v83, v1, v95
	v_add_f32_e32 v84, v0, v122
	ds_read2_b64 v[0:3], v78 offset0:59 offset1:60
	v_add_f32_e32 v83, v83, v101
	v_add_f32_e32 v84, v84, v123
	;; [unrolled: 1-line block ×4, first 2 shown]
	ds_read2_b64 v[83:86], v78 offset0:61 offset1:62
	v_add_f32_e32 v80, v87, v103
	v_add_f32_e32 v79, v79, v115
	s_waitcnt vmcnt(34)
	v_mul_f32_e32 v87, v82, v96
	s_waitcnt vmcnt(33) lgkmcnt(1)
	v_mul_f32_e32 v99, v0, v108
	v_mul_f32_e32 v88, v1, v108
	v_mul_f32_e32 v95, v81, v96
	s_waitcnt vmcnt(29)
	v_fma_f32 v96, v81, v127, -v87
	v_fmac_f32_e32 v99, v1, v126
	v_add_f32_e32 v1, v80, v105
	v_fma_f32 v101, v0, v126, -v88
	v_add_f32_e32 v0, v79, v113
	v_fmac_f32_e32 v95, v82, v127
	ds_read2_b64 v[79:82], v78 offset0:63 offset1:64
	ds_read2_b64 v[87:90], v78 offset0:65 offset1:66
	v_add_f32_e32 v1, v1, v111
	v_add_f32_e32 v0, v0, v119
	s_waitcnt vmcnt(27) lgkmcnt(2)
	v_mul_f32_e32 v103, v83, v107
	v_mul_f32_e32 v94, v84, v107
	v_add_f32_e32 v1, v1, v109
	v_mul_f32_e32 v102, v2, v106
	v_mul_f32_e32 v93, v3, v106
	v_fmac_f32_e32 v103, v84, v124
	v_fma_f32 v106, v83, v124, -v94
	v_add_f32_e32 v84, v1, v92
	v_add_f32_e32 v83, v0, v91
	s_waitcnt vmcnt(26)
	v_mul_f32_e32 v105, v85, v104
	v_mul_f32_e32 v97, v86, v104
	v_fma_f32 v104, v2, v125, -v93
	v_add_f32_e32 v109, v84, v96
	v_add_f32_e32 v107, v83, v95
	v_fmac_f32_e32 v102, v3, v125
	ds_read2_b64 v[0:3], v78 offset0:67 offset1:68
	ds_read2_b64 v[91:94], v78 offset0:69 offset1:70
	v_add_f32_e32 v101, v109, v101
	s_waitcnt vmcnt(22)
	v_fmac_f32_e32 v105, v86, v129
	v_fma_f32 v108, v85, v129, -v97
	ds_read2_b64 v[83:86], v78 offset0:71 offset1:72
	ds_read2_b64 v[95:98], v78 offset0:73 offset1:74
	v_add_f32_e32 v78, v107, v99
	v_add_f32_e32 v101, v101, v104
	s_waitcnt vmcnt(21) lgkmcnt(5)
	v_mul_f32_e32 v107, v80, v130
	v_mul_f32_e32 v99, v79, v130
	s_waitcnt vmcnt(20)
	v_mul_f32_e32 v111, v82, v132
	v_add_f32_e32 v78, v78, v102
	v_add_f32_e32 v101, v101, v106
	v_fma_f32 v79, v79, v117, -v107
	v_mul_f32_e32 v109, v81, v132
	v_fmac_f32_e32 v99, v80, v117
	v_add_f32_e32 v78, v78, v103
	v_add_f32_e32 v101, v101, v108
	s_waitcnt vmcnt(19) lgkmcnt(4)
	v_mul_f32_e32 v107, v88, v110
	v_fma_f32 v81, v81, v116, -v111
	v_mul_f32_e32 v102, v87, v110
	v_add_f32_e32 v78, v78, v105
	v_add_f32_e32 v79, v101, v79
	v_fmac_f32_e32 v109, v82, v116
	s_waitcnt vmcnt(18)
	v_mul_f32_e32 v111, v90, v133
	v_fma_f32 v87, v87, v112, -v107
	v_add_f32_e32 v78, v78, v99
	v_add_f32_e32 v79, v79, v81
	v_mul_f32_e32 v80, v89, v133
	v_fmac_f32_e32 v102, v88, v112
	s_waitcnt vmcnt(17) lgkmcnt(3)
	v_mul_f32_e32 v104, v0, v134
	v_add_f32_e32 v78, v78, v109
	v_mul_f32_e32 v81, v1, v134
	s_waitcnt vmcnt(6)
	v_fma_f32 v88, v89, v142, -v111
	v_add_f32_e32 v79, v79, v87
	v_fmac_f32_e32 v80, v90, v142
	v_add_f32_e32 v78, v78, v102
	v_mul_f32_e32 v87, v3, v135
	v_fmac_f32_e32 v104, v1, v141
	v_fma_f32 v0, v0, v141, -v81
	v_add_f32_e32 v1, v79, v88
	v_mul_f32_e32 v103, v2, v135
	v_add_f32_e32 v78, v78, v80
	s_waitcnt lgkmcnt(2)
	v_mul_f32_e32 v79, v92, v136
	v_fma_f32 v2, v2, v121, -v87
	v_add_f32_e32 v0, v1, v0
	v_mul_f32_e32 v106, v91, v136
	v_fmac_f32_e32 v103, v3, v121
	v_add_f32_e32 v1, v78, v104
	v_mul_f32_e32 v3, v94, v137
	v_fma_f32 v78, v91, v120, -v79
	v_add_f32_e32 v0, v0, v2
	v_mul_f32_e32 v82, v93, v137
	v_fmac_f32_e32 v106, v92, v120
	v_add_f32_e32 v1, v1, v103
	s_waitcnt lgkmcnt(1)
	v_mul_f32_e32 v2, v84, v138
	s_waitcnt vmcnt(2)
	v_fma_f32 v3, v93, v145, -v3
	v_add_f32_e32 v0, v0, v78
	v_mul_f32_e32 v110, v83, v138
	v_fmac_f32_e32 v82, v94, v145
	v_add_f32_e32 v1, v1, v106
	v_mul_f32_e32 v78, v86, v139
	v_fma_f32 v2, v83, v144, -v2
	v_add_f32_e32 v0, v0, v3
	v_mul_f32_e32 v105, v85, v139
	v_fmac_f32_e32 v110, v84, v144
	v_add_f32_e32 v1, v1, v82
	s_waitcnt lgkmcnt(0)
	v_mul_f32_e32 v3, v96, v140
	v_fma_f32 v78, v85, v143, -v78
	v_add_f32_e32 v0, v0, v2
	v_mul_f32_e32 v108, v95, v140
	v_fmac_f32_e32 v105, v86, v143
	v_add_f32_e32 v1, v1, v110
	v_mul_f32_e32 v2, v98, v118
	v_fma_f32 v3, v95, v100, -v3
	v_add_f32_e32 v0, v0, v78
	v_mul_f32_e32 v99, v97, v118
	v_fmac_f32_e32 v108, v96, v100
	v_add_f32_e32 v1, v1, v105
	s_waitcnt vmcnt(1)
	v_fma_f32 v2, v97, v146, -v2
	v_add_f32_e32 v0, v0, v3
	v_fmac_f32_e32 v99, v98, v146
	v_add_f32_e32 v1, v1, v108
	v_add_f32_e32 v0, v0, v2
	;; [unrolled: 1-line block ×3, first 2 shown]
	s_waitcnt vmcnt(0)
	v_sub_f32_e32 v0, v147, v0
	v_sub_f32_e32 v1, v131, v1
	buffer_store_dword v0, off, s[0:3], 0
	buffer_store_dword v1, off, s[0:3], 0 offset:4
	s_cbranch_vccz .LBB36_308
; %bb.236:
	v_mov_b32_e32 v0, 0
	global_load_dword v1, v0, s[20:21] offset:140
	s_waitcnt vmcnt(0)
	v_add_nc_u32_e32 v1, -1, v1
	v_cmp_ne_u32_e32 vcc_lo, 35, v1
	s_cbranch_vccz .LBB36_238
; %bb.237:
	v_lshlrev_b32_e32 v1, 3, v1
	s_clause 0x3
	buffer_load_dword v2, v1, s[0:3], 0 offen
	buffer_load_dword v3, v1, s[0:3], 0 offen offset:4
	buffer_load_dword v78, off, s[0:3], 0 offset:280
	buffer_load_dword v79, off, s[0:3], 0 offset:284
	s_waitcnt vmcnt(3)
	buffer_store_dword v2, off, s[0:3], 0 offset:280
	s_waitcnt vmcnt(2)
	buffer_store_dword v3, off, s[0:3], 0 offset:284
	s_waitcnt vmcnt(1)
	buffer_store_dword v78, v1, s[0:3], 0 offen
	s_waitcnt vmcnt(0)
	buffer_store_dword v79, v1, s[0:3], 0 offen offset:4
.LBB36_238:
	global_load_dword v0, v0, s[20:21] offset:136
	s_waitcnt vmcnt(0)
	v_add_nc_u32_e32 v0, -1, v0
	v_cmp_eq_u32_e32 vcc_lo, 34, v0
	s_cbranch_vccnz .LBB36_240
; %bb.239:
	v_lshlrev_b32_e32 v0, 3, v0
	s_clause 0x3
	buffer_load_dword v1, v0, s[0:3], 0 offen
	buffer_load_dword v2, v0, s[0:3], 0 offen offset:4
	buffer_load_dword v3, off, s[0:3], 0 offset:276
	buffer_load_dword v78, off, s[0:3], 0 offset:272
	s_waitcnt vmcnt(3)
	buffer_store_dword v1, off, s[0:3], 0 offset:272
	s_waitcnt vmcnt(2)
	buffer_store_dword v2, off, s[0:3], 0 offset:276
	s_waitcnt vmcnt(1)
	buffer_store_dword v3, v0, s[0:3], 0 offen offset:4
	s_waitcnt vmcnt(0)
	buffer_store_dword v78, v0, s[0:3], 0 offen
.LBB36_240:
	v_mov_b32_e32 v0, 0
	global_load_dword v1, v0, s[20:21] offset:132
	s_waitcnt vmcnt(0)
	v_add_nc_u32_e32 v1, -1, v1
	v_cmp_eq_u32_e32 vcc_lo, 33, v1
	s_cbranch_vccnz .LBB36_242
; %bb.241:
	v_lshlrev_b32_e32 v1, 3, v1
	s_clause 0x3
	buffer_load_dword v2, v1, s[0:3], 0 offen
	buffer_load_dword v3, v1, s[0:3], 0 offen offset:4
	buffer_load_dword v78, off, s[0:3], 0 offset:264
	buffer_load_dword v79, off, s[0:3], 0 offset:268
	s_waitcnt vmcnt(3)
	buffer_store_dword v2, off, s[0:3], 0 offset:264
	s_waitcnt vmcnt(2)
	buffer_store_dword v3, off, s[0:3], 0 offset:268
	s_waitcnt vmcnt(1)
	buffer_store_dword v78, v1, s[0:3], 0 offen
	s_waitcnt vmcnt(0)
	buffer_store_dword v79, v1, s[0:3], 0 offen offset:4
.LBB36_242:
	global_load_dword v0, v0, s[20:21] offset:128
	s_waitcnt vmcnt(0)
	v_add_nc_u32_e32 v0, -1, v0
	v_cmp_eq_u32_e32 vcc_lo, 32, v0
	s_cbranch_vccnz .LBB36_244
; %bb.243:
	v_lshlrev_b32_e32 v0, 3, v0
	s_clause 0x3
	buffer_load_dword v1, v0, s[0:3], 0 offen
	buffer_load_dword v2, v0, s[0:3], 0 offen offset:4
	buffer_load_dword v3, off, s[0:3], 0 offset:260
	buffer_load_dword v78, off, s[0:3], 0 offset:256
	s_waitcnt vmcnt(3)
	buffer_store_dword v1, off, s[0:3], 0 offset:256
	s_waitcnt vmcnt(2)
	buffer_store_dword v2, off, s[0:3], 0 offset:260
	s_waitcnt vmcnt(1)
	buffer_store_dword v3, v0, s[0:3], 0 offen offset:4
	s_waitcnt vmcnt(0)
	buffer_store_dword v78, v0, s[0:3], 0 offen
.LBB36_244:
	v_mov_b32_e32 v0, 0
	global_load_dword v1, v0, s[20:21] offset:124
	s_waitcnt vmcnt(0)
	v_add_nc_u32_e32 v1, -1, v1
	v_cmp_eq_u32_e32 vcc_lo, 31, v1
	s_cbranch_vccnz .LBB36_246
; %bb.245:
	v_lshlrev_b32_e32 v1, 3, v1
	s_clause 0x3
	buffer_load_dword v2, v1, s[0:3], 0 offen
	buffer_load_dword v3, v1, s[0:3], 0 offen offset:4
	buffer_load_dword v78, off, s[0:3], 0 offset:248
	buffer_load_dword v79, off, s[0:3], 0 offset:252
	s_waitcnt vmcnt(3)
	buffer_store_dword v2, off, s[0:3], 0 offset:248
	s_waitcnt vmcnt(2)
	buffer_store_dword v3, off, s[0:3], 0 offset:252
	s_waitcnt vmcnt(1)
	buffer_store_dword v78, v1, s[0:3], 0 offen
	s_waitcnt vmcnt(0)
	buffer_store_dword v79, v1, s[0:3], 0 offen offset:4
.LBB36_246:
	;; [unrolled: 43-line block ×17, first 2 shown]
	global_load_dword v0, v0, s[20:21]
	s_waitcnt vmcnt(0)
	v_add_nc_u32_e32 v0, -1, v0
	v_cmp_eq_u32_e32 vcc_lo, 0, v0
	s_cbranch_vccnz .LBB36_308
; %bb.307:
	v_lshlrev_b32_e32 v0, 3, v0
	s_clause 0x3
	buffer_load_dword v1, v0, s[0:3], 0 offen
	buffer_load_dword v2, v0, s[0:3], 0 offen offset:4
	buffer_load_dword v3, off, s[0:3], 0 offset:4
	buffer_load_dword v78, off, s[0:3], 0
	s_waitcnt vmcnt(3)
	buffer_store_dword v1, off, s[0:3], 0
	s_waitcnt vmcnt(2)
	buffer_store_dword v2, off, s[0:3], 0 offset:4
	s_waitcnt vmcnt(1)
	buffer_store_dword v3, v0, s[0:3], 0 offen offset:4
	s_waitcnt vmcnt(0)
	buffer_store_dword v78, v0, s[0:3], 0 offen
.LBB36_308:
	s_clause 0x3e
	buffer_load_dword v0, off, s[0:3], 0
	buffer_load_dword v1, off, s[0:3], 0 offset:4
	buffer_load_dword v2, off, s[0:3], 0 offset:8
	;; [unrolled: 1-line block ×62, first 2 shown]
	s_clause 0xa
	buffer_load_dword v137, off, s[0:3], 0 offset:252
	buffer_load_dword v138, off, s[0:3], 0 offset:256
	;; [unrolled: 1-line block ×11, first 2 shown]
	s_waitcnt vmcnt(62)
	global_store_dwordx2 v[66:67], v[0:1], off
	global_store_dwordx2 v[68:69], v[2:3], off
	;; [unrolled: 1-line block ×6, first 2 shown]
	s_waitcnt vmcnt(60)
	global_store_dwordx2 v[12:13], v[86:87], off
	s_waitcnt vmcnt(58)
	global_store_dwordx2 v[14:15], v[88:89], off
	;; [unrolled: 2-line block ×3, first 2 shown]
	global_store_dwordx2 v[18:19], v[92:93], off
	global_store_dwordx2 v[20:21], v[94:95], off
	;; [unrolled: 1-line block ×3, first 2 shown]
	s_waitcnt vmcnt(48)
	global_store_dwordx2 v[24:25], v[98:99], off
	s_waitcnt vmcnt(46)
	global_store_dwordx2 v[26:27], v[100:101], off
	;; [unrolled: 2-line block ×25, first 2 shown]
	s_endpgm
	.section	.rodata,"a",@progbits
	.p2align	6, 0x0
	.amdhsa_kernel _ZN9rocsolver6v33100L18getri_kernel_smallILi37E19rocblas_complex_numIfEPS3_EEvT1_iilPiilS6_bb
		.amdhsa_group_segment_fixed_size 600
		.amdhsa_private_segment_fixed_size 304
		.amdhsa_kernarg_size 60
		.amdhsa_user_sgpr_count 6
		.amdhsa_user_sgpr_private_segment_buffer 1
		.amdhsa_user_sgpr_dispatch_ptr 0
		.amdhsa_user_sgpr_queue_ptr 0
		.amdhsa_user_sgpr_kernarg_segment_ptr 1
		.amdhsa_user_sgpr_dispatch_id 0
		.amdhsa_user_sgpr_flat_scratch_init 0
		.amdhsa_user_sgpr_private_segment_size 0
		.amdhsa_wavefront_size32 1
		.amdhsa_uses_dynamic_stack 0
		.amdhsa_system_sgpr_private_segment_wavefront_offset 1
		.amdhsa_system_sgpr_workgroup_id_x 1
		.amdhsa_system_sgpr_workgroup_id_y 0
		.amdhsa_system_sgpr_workgroup_id_z 0
		.amdhsa_system_sgpr_workgroup_info 0
		.amdhsa_system_vgpr_workitem_id 0
		.amdhsa_next_free_vgpr 254
		.amdhsa_next_free_sgpr 23
		.amdhsa_reserve_vcc 1
		.amdhsa_reserve_flat_scratch 0
		.amdhsa_float_round_mode_32 0
		.amdhsa_float_round_mode_16_64 0
		.amdhsa_float_denorm_mode_32 3
		.amdhsa_float_denorm_mode_16_64 3
		.amdhsa_dx10_clamp 1
		.amdhsa_ieee_mode 1
		.amdhsa_fp16_overflow 0
		.amdhsa_workgroup_processor_mode 1
		.amdhsa_memory_ordered 1
		.amdhsa_forward_progress 1
		.amdhsa_shared_vgpr_count 0
		.amdhsa_exception_fp_ieee_invalid_op 0
		.amdhsa_exception_fp_denorm_src 0
		.amdhsa_exception_fp_ieee_div_zero 0
		.amdhsa_exception_fp_ieee_overflow 0
		.amdhsa_exception_fp_ieee_underflow 0
		.amdhsa_exception_fp_ieee_inexact 0
		.amdhsa_exception_int_div_zero 0
	.end_amdhsa_kernel
	.section	.text._ZN9rocsolver6v33100L18getri_kernel_smallILi37E19rocblas_complex_numIfEPS3_EEvT1_iilPiilS6_bb,"axG",@progbits,_ZN9rocsolver6v33100L18getri_kernel_smallILi37E19rocblas_complex_numIfEPS3_EEvT1_iilPiilS6_bb,comdat
.Lfunc_end36:
	.size	_ZN9rocsolver6v33100L18getri_kernel_smallILi37E19rocblas_complex_numIfEPS3_EEvT1_iilPiilS6_bb, .Lfunc_end36-_ZN9rocsolver6v33100L18getri_kernel_smallILi37E19rocblas_complex_numIfEPS3_EEvT1_iilPiilS6_bb
                                        ; -- End function
	.set _ZN9rocsolver6v33100L18getri_kernel_smallILi37E19rocblas_complex_numIfEPS3_EEvT1_iilPiilS6_bb.num_vgpr, 254
	.set _ZN9rocsolver6v33100L18getri_kernel_smallILi37E19rocblas_complex_numIfEPS3_EEvT1_iilPiilS6_bb.num_agpr, 0
	.set _ZN9rocsolver6v33100L18getri_kernel_smallILi37E19rocblas_complex_numIfEPS3_EEvT1_iilPiilS6_bb.numbered_sgpr, 23
	.set _ZN9rocsolver6v33100L18getri_kernel_smallILi37E19rocblas_complex_numIfEPS3_EEvT1_iilPiilS6_bb.num_named_barrier, 0
	.set _ZN9rocsolver6v33100L18getri_kernel_smallILi37E19rocblas_complex_numIfEPS3_EEvT1_iilPiilS6_bb.private_seg_size, 304
	.set _ZN9rocsolver6v33100L18getri_kernel_smallILi37E19rocblas_complex_numIfEPS3_EEvT1_iilPiilS6_bb.uses_vcc, 1
	.set _ZN9rocsolver6v33100L18getri_kernel_smallILi37E19rocblas_complex_numIfEPS3_EEvT1_iilPiilS6_bb.uses_flat_scratch, 0
	.set _ZN9rocsolver6v33100L18getri_kernel_smallILi37E19rocblas_complex_numIfEPS3_EEvT1_iilPiilS6_bb.has_dyn_sized_stack, 0
	.set _ZN9rocsolver6v33100L18getri_kernel_smallILi37E19rocblas_complex_numIfEPS3_EEvT1_iilPiilS6_bb.has_recursion, 0
	.set _ZN9rocsolver6v33100L18getri_kernel_smallILi37E19rocblas_complex_numIfEPS3_EEvT1_iilPiilS6_bb.has_indirect_call, 0
	.section	.AMDGPU.csdata,"",@progbits
; Kernel info:
; codeLenInByte = 59724
; TotalNumSgprs: 25
; NumVgprs: 254
; ScratchSize: 304
; MemoryBound: 0
; FloatMode: 240
; IeeeMode: 1
; LDSByteSize: 600 bytes/workgroup (compile time only)
; SGPRBlocks: 0
; VGPRBlocks: 31
; NumSGPRsForWavesPerEU: 25
; NumVGPRsForWavesPerEU: 254
; Occupancy: 4
; WaveLimiterHint : 1
; COMPUTE_PGM_RSRC2:SCRATCH_EN: 1
; COMPUTE_PGM_RSRC2:USER_SGPR: 6
; COMPUTE_PGM_RSRC2:TRAP_HANDLER: 0
; COMPUTE_PGM_RSRC2:TGID_X_EN: 1
; COMPUTE_PGM_RSRC2:TGID_Y_EN: 0
; COMPUTE_PGM_RSRC2:TGID_Z_EN: 0
; COMPUTE_PGM_RSRC2:TIDIG_COMP_CNT: 0
	.section	.text._ZN9rocsolver6v33100L18getri_kernel_smallILi38E19rocblas_complex_numIfEPS3_EEvT1_iilPiilS6_bb,"axG",@progbits,_ZN9rocsolver6v33100L18getri_kernel_smallILi38E19rocblas_complex_numIfEPS3_EEvT1_iilPiilS6_bb,comdat
	.globl	_ZN9rocsolver6v33100L18getri_kernel_smallILi38E19rocblas_complex_numIfEPS3_EEvT1_iilPiilS6_bb ; -- Begin function _ZN9rocsolver6v33100L18getri_kernel_smallILi38E19rocblas_complex_numIfEPS3_EEvT1_iilPiilS6_bb
	.p2align	8
	.type	_ZN9rocsolver6v33100L18getri_kernel_smallILi38E19rocblas_complex_numIfEPS3_EEvT1_iilPiilS6_bb,@function
_ZN9rocsolver6v33100L18getri_kernel_smallILi38E19rocblas_complex_numIfEPS3_EEvT1_iilPiilS6_bb: ; @_ZN9rocsolver6v33100L18getri_kernel_smallILi38E19rocblas_complex_numIfEPS3_EEvT1_iilPiilS6_bb
; %bb.0:
	s_add_u32 s0, s0, s7
	s_addc_u32 s1, s1, 0
	s_mov_b32 s7, exec_lo
	v_cmpx_gt_u32_e32 38, v0
	s_cbranch_execz .LBB37_166
; %bb.1:
	s_clause 0x2
	s_load_dword s7, s[4:5], 0x38
	s_load_dwordx4 s[16:19], s[4:5], 0x10
	s_load_dwordx4 s[8:11], s[4:5], 0x28
                                        ; implicit-def: $sgpr20_sgpr21
	s_waitcnt lgkmcnt(0)
	s_bitcmp1_b32 s7, 8
	s_cselect_b32 s22, -1, 0
	s_bfe_u32 s12, s7, 0x10008
	s_ashr_i32 s7, s6, 31
	s_cmp_eq_u32 s12, 0
	s_cbranch_scc1 .LBB37_3
; %bb.2:
	s_load_dword s12, s[4:5], 0x20
	s_mul_i32 s13, s8, s7
	s_mul_hi_u32 s14, s8, s6
	s_mul_i32 s9, s9, s6
	s_add_i32 s13, s14, s13
	s_mul_i32 s8, s8, s6
	s_add_i32 s9, s13, s9
	s_lshl_b64 s[8:9], s[8:9], 2
	s_waitcnt lgkmcnt(0)
	s_ashr_i32 s13, s12, 31
	s_add_u32 s14, s18, s8
	s_addc_u32 s15, s19, s9
	s_lshl_b64 s[8:9], s[12:13], 2
	s_add_u32 s20, s14, s8
	s_addc_u32 s21, s15, s9
.LBB37_3:
	s_clause 0x1
	s_load_dwordx4 s[12:15], s[4:5], 0x0
	s_load_dword s8, s[4:5], 0x38
	s_mul_i32 s4, s16, s7
	s_mul_hi_u32 s5, s16, s6
	s_mul_i32 s9, s17, s6
	s_add_i32 s5, s5, s4
	s_mul_i32 s4, s16, s6
	s_add_i32 s5, s5, s9
	v_lshlrev_b32_e32 v79, 3, v0
	s_lshl_b64 s[4:5], s[4:5], 3
	s_waitcnt lgkmcnt(0)
	v_add3_u32 v1, s15, s15, v0
	s_ashr_i32 s17, s14, 31
	s_mov_b32 s16, s14
	s_add_u32 s9, s12, s4
	s_addc_u32 s12, s13, s5
	v_add_nc_u32_e32 v3, s15, v1
	v_ashrrev_i32_e32 v2, 31, v1
	s_lshl_b64 s[4:5], s[16:17], 3
	s_add_u32 s4, s9, s4
	v_add_nc_u32_e32 v5, s15, v3
	v_ashrrev_i32_e32 v4, 31, v3
	v_lshlrev_b64 v[1:2], 3, v[1:2]
	s_addc_u32 s5, s12, s5
	v_add_co_u32 v63, s9, s4, v79
	v_add_nc_u32_e32 v7, s15, v5
	v_ashrrev_i32_e32 v6, 31, v5
	v_lshlrev_b64 v[3:4], 3, v[3:4]
	v_add_co_u32 v1, vcc_lo, s4, v1
	v_add_nc_u32_e32 v9, s15, v7
	v_ashrrev_i32_e32 v8, 31, v7
	v_lshlrev_b64 v[5:6], 3, v[5:6]
	v_add_co_ci_u32_e64 v2, null, s5, v2, vcc_lo
	v_add_nc_u32_e32 v11, s15, v9
	v_ashrrev_i32_e32 v10, 31, v9
	v_lshlrev_b64 v[7:8], 3, v[7:8]
	v_add_co_u32 v3, vcc_lo, s4, v3
	v_add_nc_u32_e32 v13, s15, v11
	v_ashrrev_i32_e32 v12, 31, v11
	v_lshlrev_b64 v[9:10], 3, v[9:10]
	v_add_co_ci_u32_e64 v4, null, s5, v4, vcc_lo
	v_add_nc_u32_e32 v15, s15, v13
	v_ashrrev_i32_e32 v14, 31, v13
	v_add_co_u32 v5, vcc_lo, s4, v5
	v_lshlrev_b64 v[11:12], 3, v[11:12]
	v_add_nc_u32_e32 v17, s15, v15
	v_ashrrev_i32_e32 v16, 31, v15
	v_add_co_ci_u32_e64 v6, null, s5, v6, vcc_lo
	v_add_co_u32 v7, vcc_lo, s4, v7
	v_add_nc_u32_e32 v19, s15, v17
	v_ashrrev_i32_e32 v18, 31, v17
	v_lshlrev_b64 v[13:14], 3, v[13:14]
	v_add_co_ci_u32_e64 v8, null, s5, v8, vcc_lo
	v_add_nc_u32_e32 v21, s15, v19
	v_ashrrev_i32_e32 v20, 31, v19
	v_add_co_u32 v9, vcc_lo, s4, v9
	v_lshlrev_b64 v[15:16], 3, v[15:16]
	v_add_nc_u32_e32 v23, s15, v21
	v_ashrrev_i32_e32 v22, 31, v21
	v_add_co_ci_u32_e64 v10, null, s5, v10, vcc_lo
	v_add_co_u32 v11, vcc_lo, s4, v11
	v_add_nc_u32_e32 v25, s15, v23
	v_lshlrev_b64 v[17:18], 3, v[17:18]
	v_ashrrev_i32_e32 v24, 31, v23
	v_add_co_ci_u32_e64 v12, null, s5, v12, vcc_lo
	v_add_nc_u32_e32 v27, s15, v25
	v_add_co_u32 v13, vcc_lo, s4, v13
	v_lshlrev_b64 v[19:20], 3, v[19:20]
	v_ashrrev_i32_e32 v26, 31, v25
	v_add_nc_u32_e32 v29, s15, v27
	v_add_co_ci_u32_e64 v14, null, s5, v14, vcc_lo
	v_add_co_u32 v15, vcc_lo, s4, v15
	v_add_nc_u32_e32 v31, s15, v29
	v_lshlrev_b64 v[21:22], 3, v[21:22]
	v_ashrrev_i32_e32 v28, 31, v27
	v_add_co_ci_u32_e64 v16, null, s5, v16, vcc_lo
	v_add_nc_u32_e32 v33, s15, v31
	v_add_co_u32 v17, vcc_lo, s4, v17
	v_lshlrev_b64 v[23:24], 3, v[23:24]
	v_ashrrev_i32_e32 v30, 31, v29
	v_add_nc_u32_e32 v35, s15, v33
	;; [unrolled: 11-line block ×6, first 2 shown]
	v_add_co_ci_u32_e64 v34, null, s5, v34, vcc_lo
	v_add_co_u32 v35, vcc_lo, s4, v35
	v_lshlrev_b64 v[41:42], 3, v[41:42]
	v_ashrrev_i32_e32 v48, 31, v47
	v_add_nc_u32_e32 v67, s15, v59
	v_add_co_ci_u32_e64 v36, null, s5, v36, vcc_lo
	v_add_co_u32 v37, vcc_lo, s4, v37
	v_lshlrev_b64 v[43:44], 3, v[43:44]
	v_ashrrev_i32_e32 v50, 31, v49
	v_add_co_ci_u32_e64 v38, null, s5, v38, vcc_lo
	v_add_co_u32 v39, vcc_lo, s4, v39
	v_lshlrev_b64 v[45:46], 3, v[45:46]
	v_ashrrev_i32_e32 v52, 31, v51
	v_add_co_ci_u32_e64 v40, null, s5, v40, vcc_lo
	v_add_co_u32 v41, vcc_lo, s4, v41
	v_lshlrev_b64 v[47:48], 3, v[47:48]
	v_add_nc_u32_e32 v69, s15, v67
	v_ashrrev_i32_e32 v54, 31, v53
	v_add_co_ci_u32_e64 v42, null, s5, v42, vcc_lo
	v_add_co_u32 v43, vcc_lo, s4, v43
	v_lshlrev_b64 v[49:50], 3, v[49:50]
	v_ashrrev_i32_e32 v56, 31, v55
	v_add_co_ci_u32_e64 v44, null, s5, v44, vcc_lo
	v_add_co_u32 v45, vcc_lo, s4, v45
	v_lshlrev_b64 v[51:52], 3, v[51:52]
	v_ashrrev_i32_e32 v58, 31, v57
	v_add_nc_u32_e32 v71, s15, v69
	v_add_co_ci_u32_e64 v46, null, s5, v46, vcc_lo
	v_add_co_u32 v47, vcc_lo, s4, v47
	v_lshlrev_b64 v[53:54], 3, v[53:54]
	v_ashrrev_i32_e32 v60, 31, v59
	v_add_co_ci_u32_e64 v48, null, s5, v48, vcc_lo
	v_add_co_u32 v49, vcc_lo, s4, v49
	v_lshlrev_b64 v[55:56], 3, v[55:56]
	v_add_co_ci_u32_e64 v50, null, s5, v50, vcc_lo
	v_add_co_u32 v51, vcc_lo, s4, v51
	v_lshlrev_b64 v[57:58], 3, v[57:58]
	v_add_nc_u32_e32 v73, s15, v71
	v_add_co_ci_u32_e64 v52, null, s5, v52, vcc_lo
	v_add_co_u32 v53, vcc_lo, s4, v53
	v_lshlrev_b64 v[60:61], 3, v[59:60]
	v_add_co_ci_u32_e64 v54, null, s5, v54, vcc_lo
	v_add_co_u32 v55, vcc_lo, s4, v55
	v_ashrrev_i32_e32 v68, 31, v67
	v_add_nc_u32_e32 v75, s15, v73
	v_add_co_ci_u32_e64 v56, null, s5, v56, vcc_lo
	v_add_co_u32 v57, vcc_lo, s4, v57
	v_ashrrev_i32_e32 v70, 31, v69
	v_add_co_ci_u32_e64 v58, null, s5, v58, vcc_lo
	v_add_co_u32 v59, vcc_lo, s4, v60
	v_ashrrev_i32_e32 v72, 31, v71
	v_add_co_ci_u32_e64 v60, null, s5, v61, vcc_lo
	s_mov_b32 s12, s15
	s_ashr_i32 s13, s15, 31
	v_lshlrev_b64 v[61:62], 3, v[67:68]
	v_add_nc_u32_e32 v118, s15, v75
	v_add_co_ci_u32_e64 v64, null, s5, 0, s9
	v_ashrrev_i32_e32 v74, 31, v73
	s_lshl_b64 s[12:13], s[12:13], 3
	v_lshlrev_b64 v[67:68], 3, v[69:70]
	v_ashrrev_i32_e32 v76, 31, v75
	v_add_co_u32 v65, vcc_lo, v63, s12
	v_lshlrev_b64 v[69:70], 3, v[71:72]
	v_ashrrev_i32_e32 v119, 31, v118
	v_add_co_ci_u32_e64 v66, null, s13, v64, vcc_lo
	v_add_co_u32 v61, vcc_lo, s4, v61
	v_lshlrev_b64 v[71:72], 3, v[73:74]
	v_add_co_ci_u32_e64 v62, null, s5, v62, vcc_lo
	v_add_co_u32 v67, vcc_lo, s4, v67
	v_lshlrev_b64 v[73:74], 3, v[75:76]
	;; [unrolled: 3-line block ×3, first 2 shown]
	v_add_co_ci_u32_e64 v70, null, s5, v70, vcc_lo
	v_add_co_u32 v71, vcc_lo, s4, v71
	v_add_co_ci_u32_e64 v72, null, s5, v72, vcc_lo
	v_add_co_u32 v73, vcc_lo, s4, v73
	;; [unrolled: 2-line block ×3, first 2 shown]
	v_add_co_ci_u32_e64 v76, null, s5, v76, vcc_lo
	s_clause 0x25
	global_load_dwordx2 v[77:78], v79, s[4:5]
	global_load_dwordx2 v[80:81], v[65:66], off
	global_load_dwordx2 v[82:83], v[1:2], off
	global_load_dwordx2 v[84:85], v[3:4], off
	global_load_dwordx2 v[86:87], v[5:6], off
	global_load_dwordx2 v[88:89], v[7:8], off
	global_load_dwordx2 v[90:91], v[9:10], off
	global_load_dwordx2 v[92:93], v[11:12], off
	global_load_dwordx2 v[94:95], v[13:14], off
	global_load_dwordx2 v[96:97], v[15:16], off
	global_load_dwordx2 v[98:99], v[17:18], off
	global_load_dwordx2 v[100:101], v[19:20], off
	global_load_dwordx2 v[102:103], v[21:22], off
	global_load_dwordx2 v[104:105], v[23:24], off
	global_load_dwordx2 v[106:107], v[25:26], off
	global_load_dwordx2 v[108:109], v[27:28], off
	global_load_dwordx2 v[110:111], v[29:30], off
	global_load_dwordx2 v[112:113], v[31:32], off
	global_load_dwordx2 v[114:115], v[33:34], off
	global_load_dwordx2 v[116:117], v[35:36], off
	global_load_dwordx2 v[120:121], v[37:38], off
	global_load_dwordx2 v[122:123], v[39:40], off
	global_load_dwordx2 v[124:125], v[41:42], off
	global_load_dwordx2 v[126:127], v[43:44], off
	global_load_dwordx2 v[128:129], v[45:46], off
	global_load_dwordx2 v[130:131], v[47:48], off
	global_load_dwordx2 v[132:133], v[49:50], off
	global_load_dwordx2 v[134:135], v[51:52], off
	global_load_dwordx2 v[136:137], v[53:54], off
	global_load_dwordx2 v[138:139], v[55:56], off
	global_load_dwordx2 v[140:141], v[57:58], off
	global_load_dwordx2 v[118:119], v[59:60], off
	global_load_dwordx2 v[142:143], v[61:62], off
	global_load_dwordx2 v[144:145], v[67:68], off
	global_load_dwordx2 v[146:147], v[69:70], off
	global_load_dwordx2 v[148:149], v[71:72], off
	global_load_dwordx2 v[150:151], v[73:74], off
	global_load_dwordx2 v[152:153], v[75:76], off
	s_mov_b32 s5, -1
	s_bitcmp0_b32 s8, 0
	s_waitcnt vmcnt(37)
	buffer_store_dword v78, off, s[0:3], 0 offset:4
	buffer_store_dword v77, off, s[0:3], 0
	s_waitcnt vmcnt(36)
	buffer_store_dword v81, off, s[0:3], 0 offset:12
	buffer_store_dword v80, off, s[0:3], 0 offset:8
	s_waitcnt vmcnt(35)
	buffer_store_dword v83, off, s[0:3], 0 offset:20
	buffer_store_dword v82, off, s[0:3], 0 offset:16
	;; [unrolled: 3-line block ×37, first 2 shown]
	s_cbranch_scc1 .LBB37_164
; %bb.4:
	v_cmp_eq_u32_e64 s4, 0, v0
	s_and_saveexec_b32 s5, s4
; %bb.5:
	v_mov_b32_e32 v77, 0
	ds_write_b32 v77, v77 offset:608
; %bb.6:
	s_or_b32 exec_lo, exec_lo, s5
	v_lshl_add_u32 v81, v0, 3, 0
	s_waitcnt lgkmcnt(0)
	s_waitcnt_vscnt null, 0x0
	s_barrier
	buffer_gl0_inv
	s_clause 0x1
	buffer_load_dword v77, v81, s[0:3], 0 offen
	buffer_load_dword v78, v81, s[0:3], 0 offen offset:4
	s_waitcnt vmcnt(1)
	v_cmp_eq_f32_e32 vcc_lo, 0, v77
	s_waitcnt vmcnt(0)
	v_cmp_eq_f32_e64 s5, 0, v78
	s_and_b32 s5, vcc_lo, s5
	s_and_saveexec_b32 s8, s5
	s_cbranch_execz .LBB37_10
; %bb.7:
	v_mov_b32_e32 v77, 0
	s_mov_b32 s9, 0
	ds_read_b32 v78, v77 offset:608
	s_waitcnt lgkmcnt(0)
	v_readfirstlane_b32 s5, v78
	v_add_nc_u32_e32 v78, 1, v0
	s_cmp_eq_u32 s5, 0
	v_cmp_gt_i32_e32 vcc_lo, s5, v78
	s_cselect_b32 s12, -1, 0
	s_or_b32 s12, s12, vcc_lo
	s_and_b32 exec_lo, exec_lo, s12
	s_cbranch_execz .LBB37_10
; %bb.8:
	v_mov_b32_e32 v80, s5
.LBB37_9:                               ; =>This Inner Loop Header: Depth=1
	ds_cmpst_rtn_b32 v80, v77, v80, v78 offset:608
	s_waitcnt lgkmcnt(0)
	v_cmp_ne_u32_e32 vcc_lo, 0, v80
	v_cmp_le_i32_e64 s5, v80, v78
	s_and_b32 s5, vcc_lo, s5
	s_and_b32 s5, exec_lo, s5
	s_or_b32 s9, s5, s9
	s_andn2_b32 exec_lo, exec_lo, s9
	s_cbranch_execnz .LBB37_9
.LBB37_10:
	s_or_b32 exec_lo, exec_lo, s8
	v_mov_b32_e32 v77, 0
	s_barrier
	buffer_gl0_inv
	ds_read_b32 v78, v77 offset:608
	s_and_saveexec_b32 s5, s4
	s_cbranch_execz .LBB37_12
; %bb.11:
	s_lshl_b64 s[8:9], s[6:7], 2
	s_add_u32 s8, s10, s8
	s_addc_u32 s9, s11, s9
	s_waitcnt lgkmcnt(0)
	global_store_dword v77, v78, s[8:9]
.LBB37_12:
	s_or_b32 exec_lo, exec_lo, s5
	s_waitcnt lgkmcnt(0)
	v_cmp_ne_u32_e32 vcc_lo, 0, v78
	s_mov_b32 s5, 0
	s_cbranch_vccnz .LBB37_164
; %bb.13:
	s_clause 0x1
	buffer_load_dword v78, v81, s[0:3], 0 offen
	buffer_load_dword v80, v81, s[0:3], 0 offen offset:4
                                        ; implicit-def: $vgpr83
                                        ; implicit-def: $vgpr82
                                        ; implicit-def: $vgpr77
	s_waitcnt vmcnt(0)
	v_cmp_ngt_f32_e64 s5, |v78|, |v80|
	s_and_saveexec_b32 s8, s5
	s_xor_b32 s5, exec_lo, s8
	s_cbranch_execz .LBB37_15
; %bb.14:
	v_div_scale_f32 v77, null, v80, v80, v78
	v_div_scale_f32 v84, vcc_lo, v78, v80, v78
	v_rcp_f32_e32 v82, v77
	v_fma_f32 v83, -v77, v82, 1.0
	v_fmac_f32_e32 v82, v83, v82
	v_mul_f32_e32 v83, v84, v82
	v_fma_f32 v85, -v77, v83, v84
	v_fmac_f32_e32 v83, v85, v82
	v_fma_f32 v77, -v77, v83, v84
	v_div_fmas_f32 v77, v77, v82, v83
	v_div_fixup_f32 v77, v77, v80, v78
	v_fmac_f32_e32 v80, v78, v77
	v_div_scale_f32 v78, null, v80, v80, 1.0
	v_rcp_f32_e32 v82, v78
	v_fma_f32 v83, -v78, v82, 1.0
	v_fmac_f32_e32 v82, v83, v82
	v_div_scale_f32 v83, vcc_lo, 1.0, v80, 1.0
	v_mul_f32_e32 v84, v83, v82
	v_fma_f32 v85, -v78, v84, v83
	v_fmac_f32_e32 v84, v85, v82
	v_fma_f32 v78, -v78, v84, v83
	v_div_fmas_f32 v78, v78, v82, v84
	v_div_fixup_f32 v78, v78, v80, 1.0
                                        ; implicit-def: $vgpr80
	v_mul_f32_e32 v83, v77, v78
	v_xor_b32_e32 v82, 0x80000000, v78
                                        ; implicit-def: $vgpr78
	v_xor_b32_e32 v77, 0x80000000, v83
.LBB37_15:
	s_andn2_saveexec_b32 s5, s5
	s_cbranch_execz .LBB37_17
; %bb.16:
	v_div_scale_f32 v77, null, v78, v78, v80
	v_div_scale_f32 v84, vcc_lo, v80, v78, v80
	v_rcp_f32_e32 v82, v77
	v_fma_f32 v83, -v77, v82, 1.0
	v_fmac_f32_e32 v82, v83, v82
	v_mul_f32_e32 v83, v84, v82
	v_fma_f32 v85, -v77, v83, v84
	v_fmac_f32_e32 v83, v85, v82
	v_fma_f32 v77, -v77, v83, v84
	v_div_fmas_f32 v77, v77, v82, v83
	v_div_fixup_f32 v82, v77, v78, v80
	v_fmac_f32_e32 v78, v80, v82
	v_div_scale_f32 v77, null, v78, v78, 1.0
	v_div_scale_f32 v84, vcc_lo, 1.0, v78, 1.0
	v_rcp_f32_e32 v80, v77
	v_fma_f32 v83, -v77, v80, 1.0
	v_fmac_f32_e32 v80, v83, v80
	v_mul_f32_e32 v83, v84, v80
	v_fma_f32 v85, -v77, v83, v84
	v_fmac_f32_e32 v83, v85, v80
	v_fma_f32 v77, -v77, v83, v84
	v_div_fmas_f32 v77, v77, v80, v83
	v_div_fixup_f32 v83, v77, v78, 1.0
	v_xor_b32_e32 v77, 0x80000000, v83
	v_mul_f32_e64 v82, v82, -v83
.LBB37_17:
	s_or_b32 exec_lo, exec_lo, s5
	buffer_store_dword v83, v81, s[0:3], 0 offen
	buffer_store_dword v82, v81, s[0:3], 0 offen offset:4
	s_clause 0x1
	buffer_load_dword v84, off, s[0:3], 0 offset:12
	buffer_load_dword v83, off, s[0:3], 0 offset:8
	v_xor_b32_e32 v78, 0x80000000, v82
	v_add_nc_u32_e32 v80, 0x130, v79
	s_waitcnt vmcnt(0)
	ds_write2_b64 v79, v[77:78], v[83:84] offset1:38
	s_waitcnt lgkmcnt(0)
	s_waitcnt_vscnt null, 0x0
	s_barrier
	buffer_gl0_inv
	s_and_saveexec_b32 s5, s4
	s_cbranch_execz .LBB37_19
; %bb.18:
	s_clause 0x1
	buffer_load_dword v84, v81, s[0:3], 0 offen offset:4
	buffer_load_dword v85, v81, s[0:3], 0 offen
	ds_read_b64 v[77:78], v80
	v_mov_b32_e32 v82, 0
	ds_read_b64 v[82:83], v82 offset:8
	s_waitcnt vmcnt(1) lgkmcnt(1)
	v_mul_f32_e32 v86, v77, v84
	v_mul_f32_e32 v84, v78, v84
	s_waitcnt vmcnt(0)
	v_fmac_f32_e32 v86, v78, v85
	v_fma_f32 v77, v77, v85, -v84
	v_add_f32_e32 v78, 0, v86
	v_add_f32_e32 v77, 0, v77
	s_waitcnt lgkmcnt(0)
	v_mul_f32_e32 v84, v78, v83
	v_mul_f32_e32 v83, v77, v83
	v_fma_f32 v77, v77, v82, -v84
	v_fmac_f32_e32 v83, v78, v82
	buffer_store_dword v77, off, s[0:3], 0 offset:8
	buffer_store_dword v83, off, s[0:3], 0 offset:12
.LBB37_19:
	s_or_b32 exec_lo, exec_lo, s5
	s_waitcnt_vscnt null, 0x0
	s_barrier
	buffer_gl0_inv
	s_clause 0x1
	buffer_load_dword v77, off, s[0:3], 0 offset:16
	buffer_load_dword v78, off, s[0:3], 0 offset:20
	s_mov_b32 s5, exec_lo
	s_waitcnt vmcnt(0)
	ds_write_b64 v80, v[77:78]
	s_waitcnt lgkmcnt(0)
	s_barrier
	buffer_gl0_inv
	v_cmpx_gt_u32_e32 2, v0
	s_cbranch_execz .LBB37_23
; %bb.20:
	s_clause 0x1
	buffer_load_dword v82, v81, s[0:3], 0 offen offset:4
	buffer_load_dword v81, v81, s[0:3], 0 offen
	ds_read_b64 v[77:78], v80
	s_waitcnt vmcnt(1) lgkmcnt(0)
	v_mul_f32_e32 v83, v78, v82
	v_mul_f32_e32 v82, v77, v82
	s_waitcnt vmcnt(0)
	v_fma_f32 v77, v77, v81, -v83
	v_fmac_f32_e32 v82, v78, v81
	v_add_f32_e32 v78, 0, v77
	v_add_f32_e32 v77, 0, v82
	s_and_saveexec_b32 s8, s4
	s_cbranch_execz .LBB37_22
; %bb.21:
	s_clause 0x1
	buffer_load_dword v83, off, s[0:3], 0 offset:12
	buffer_load_dword v84, off, s[0:3], 0 offset:8
	v_mov_b32_e32 v81, 0
	ds_read_b64 v[81:82], v81 offset:312
	s_waitcnt vmcnt(1) lgkmcnt(0)
	v_mul_f32_e32 v85, v81, v83
	v_mul_f32_e32 v83, v82, v83
	s_waitcnt vmcnt(0)
	v_fmac_f32_e32 v85, v82, v84
	v_fma_f32 v81, v81, v84, -v83
	v_add_f32_e32 v77, v77, v85
	v_add_f32_e32 v78, v78, v81
.LBB37_22:
	s_or_b32 exec_lo, exec_lo, s8
	v_mov_b32_e32 v81, 0
	ds_read_b64 v[81:82], v81 offset:16
	s_waitcnt lgkmcnt(0)
	v_mul_f32_e32 v83, v77, v82
	v_mul_f32_e32 v82, v78, v82
	v_fma_f32 v78, v78, v81, -v83
	v_fmac_f32_e32 v82, v77, v81
	buffer_store_dword v78, off, s[0:3], 0 offset:16
	buffer_store_dword v82, off, s[0:3], 0 offset:20
.LBB37_23:
	s_or_b32 exec_lo, exec_lo, s5
	s_waitcnt_vscnt null, 0x0
	s_barrier
	buffer_gl0_inv
	s_clause 0x1
	buffer_load_dword v81, off, s[0:3], 0 offset:24
	buffer_load_dword v82, off, s[0:3], 0 offset:28
	v_add_nc_u32_e32 v77, -1, v0
	s_mov_b32 s4, exec_lo
	s_waitcnt vmcnt(0)
	ds_write_b64 v80, v[81:82]
	s_waitcnt lgkmcnt(0)
	s_barrier
	buffer_gl0_inv
	v_cmpx_gt_u32_e32 3, v0
	s_cbranch_execz .LBB37_27
; %bb.24:
	v_add_nc_u32_e32 v81, -1, v0
	v_add_nc_u32_e32 v82, 0x130, v79
	v_mov_b32_e32 v83, v79
	v_mov_b32_e32 v78, 0
	;; [unrolled: 1-line block ×3, first 2 shown]
	s_mov_b32 s5, 0
	.p2align	6
.LBB37_25:                              ; =>This Inner Loop Header: Depth=1
	s_clause 0x1
	buffer_load_dword v87, v83, s[0:3], 0 offen offset:4
	buffer_load_dword v88, v83, s[0:3], 0 offen
	ds_read_b64 v[85:86], v82
	v_add_nc_u32_e32 v81, 1, v81
	v_add_nc_u32_e32 v82, 8, v82
	;; [unrolled: 1-line block ×3, first 2 shown]
	v_cmp_lt_u32_e32 vcc_lo, 1, v81
	s_or_b32 s5, vcc_lo, s5
	s_waitcnt vmcnt(1) lgkmcnt(0)
	v_mul_f32_e32 v89, v86, v87
	v_mul_f32_e32 v87, v85, v87
	s_waitcnt vmcnt(0)
	v_fma_f32 v85, v85, v88, -v89
	v_fmac_f32_e32 v87, v86, v88
	v_add_f32_e32 v84, v84, v85
	v_add_f32_e32 v78, v78, v87
	s_andn2_b32 exec_lo, exec_lo, s5
	s_cbranch_execnz .LBB37_25
; %bb.26:
	s_or_b32 exec_lo, exec_lo, s5
	v_mov_b32_e32 v81, 0
	ds_read_b64 v[81:82], v81 offset:24
	s_waitcnt lgkmcnt(0)
	v_mul_f32_e32 v83, v78, v82
	v_mul_f32_e32 v82, v84, v82
	v_fma_f32 v83, v84, v81, -v83
	v_fmac_f32_e32 v82, v78, v81
	buffer_store_dword v83, off, s[0:3], 0 offset:24
	buffer_store_dword v82, off, s[0:3], 0 offset:28
.LBB37_27:
	s_or_b32 exec_lo, exec_lo, s4
	s_waitcnt_vscnt null, 0x0
	s_barrier
	buffer_gl0_inv
	s_clause 0x1
	buffer_load_dword v81, off, s[0:3], 0 offset:32
	buffer_load_dword v82, off, s[0:3], 0 offset:36
	s_mov_b32 s4, exec_lo
	s_waitcnt vmcnt(0)
	ds_write_b64 v80, v[81:82]
	s_waitcnt lgkmcnt(0)
	s_barrier
	buffer_gl0_inv
	v_cmpx_gt_u32_e32 4, v0
	s_cbranch_execz .LBB37_31
; %bb.28:
	v_add_nc_u32_e32 v81, -1, v0
	v_add_nc_u32_e32 v82, 0x130, v79
	v_mov_b32_e32 v83, v79
	v_mov_b32_e32 v78, 0
	;; [unrolled: 1-line block ×3, first 2 shown]
	s_mov_b32 s5, 0
	.p2align	6
.LBB37_29:                              ; =>This Inner Loop Header: Depth=1
	s_clause 0x1
	buffer_load_dword v87, v83, s[0:3], 0 offen offset:4
	buffer_load_dword v88, v83, s[0:3], 0 offen
	ds_read_b64 v[85:86], v82
	v_add_nc_u32_e32 v81, 1, v81
	v_add_nc_u32_e32 v82, 8, v82
	;; [unrolled: 1-line block ×3, first 2 shown]
	v_cmp_lt_u32_e32 vcc_lo, 2, v81
	s_or_b32 s5, vcc_lo, s5
	s_waitcnt vmcnt(1) lgkmcnt(0)
	v_mul_f32_e32 v89, v86, v87
	v_mul_f32_e32 v87, v85, v87
	s_waitcnt vmcnt(0)
	v_fma_f32 v85, v85, v88, -v89
	v_fmac_f32_e32 v87, v86, v88
	v_add_f32_e32 v84, v84, v85
	v_add_f32_e32 v78, v78, v87
	s_andn2_b32 exec_lo, exec_lo, s5
	s_cbranch_execnz .LBB37_29
; %bb.30:
	s_or_b32 exec_lo, exec_lo, s5
	v_mov_b32_e32 v81, 0
	ds_read_b64 v[81:82], v81 offset:32
	s_waitcnt lgkmcnt(0)
	v_mul_f32_e32 v83, v78, v82
	v_mul_f32_e32 v82, v84, v82
	v_fma_f32 v83, v84, v81, -v83
	v_fmac_f32_e32 v82, v78, v81
	buffer_store_dword v83, off, s[0:3], 0 offset:32
	buffer_store_dword v82, off, s[0:3], 0 offset:36
.LBB37_31:
	s_or_b32 exec_lo, exec_lo, s4
	s_waitcnt_vscnt null, 0x0
	s_barrier
	buffer_gl0_inv
	s_clause 0x1
	buffer_load_dword v81, off, s[0:3], 0 offset:40
	buffer_load_dword v82, off, s[0:3], 0 offset:44
	s_mov_b32 s4, exec_lo
	s_waitcnt vmcnt(0)
	ds_write_b64 v80, v[81:82]
	s_waitcnt lgkmcnt(0)
	s_barrier
	buffer_gl0_inv
	v_cmpx_gt_u32_e32 5, v0
	s_cbranch_execz .LBB37_35
; %bb.32:
	v_add_nc_u32_e32 v81, -1, v0
	v_add_nc_u32_e32 v82, 0x130, v79
	v_mov_b32_e32 v83, v79
	v_mov_b32_e32 v78, 0
	;; [unrolled: 1-line block ×3, first 2 shown]
	s_mov_b32 s5, 0
	.p2align	6
.LBB37_33:                              ; =>This Inner Loop Header: Depth=1
	s_clause 0x1
	buffer_load_dword v87, v83, s[0:3], 0 offen offset:4
	buffer_load_dword v88, v83, s[0:3], 0 offen
	ds_read_b64 v[85:86], v82
	v_add_nc_u32_e32 v81, 1, v81
	v_add_nc_u32_e32 v82, 8, v82
	;; [unrolled: 1-line block ×3, first 2 shown]
	v_cmp_lt_u32_e32 vcc_lo, 3, v81
	s_or_b32 s5, vcc_lo, s5
	s_waitcnt vmcnt(1) lgkmcnt(0)
	v_mul_f32_e32 v89, v86, v87
	v_mul_f32_e32 v87, v85, v87
	s_waitcnt vmcnt(0)
	v_fma_f32 v85, v85, v88, -v89
	v_fmac_f32_e32 v87, v86, v88
	v_add_f32_e32 v84, v84, v85
	v_add_f32_e32 v78, v78, v87
	s_andn2_b32 exec_lo, exec_lo, s5
	s_cbranch_execnz .LBB37_33
; %bb.34:
	s_or_b32 exec_lo, exec_lo, s5
	v_mov_b32_e32 v81, 0
	ds_read_b64 v[81:82], v81 offset:40
	s_waitcnt lgkmcnt(0)
	v_mul_f32_e32 v83, v78, v82
	v_mul_f32_e32 v82, v84, v82
	v_fma_f32 v83, v84, v81, -v83
	v_fmac_f32_e32 v82, v78, v81
	buffer_store_dword v83, off, s[0:3], 0 offset:40
	buffer_store_dword v82, off, s[0:3], 0 offset:44
.LBB37_35:
	s_or_b32 exec_lo, exec_lo, s4
	s_waitcnt_vscnt null, 0x0
	s_barrier
	buffer_gl0_inv
	s_clause 0x1
	buffer_load_dword v81, off, s[0:3], 0 offset:48
	buffer_load_dword v82, off, s[0:3], 0 offset:52
	s_mov_b32 s4, exec_lo
	s_waitcnt vmcnt(0)
	ds_write_b64 v80, v[81:82]
	s_waitcnt lgkmcnt(0)
	s_barrier
	buffer_gl0_inv
	v_cmpx_gt_u32_e32 6, v0
	s_cbranch_execz .LBB37_39
; %bb.36:
	v_add_nc_u32_e32 v81, -1, v0
	v_add_nc_u32_e32 v82, 0x130, v79
	v_mov_b32_e32 v83, v79
	v_mov_b32_e32 v78, 0
	;; [unrolled: 1-line block ×3, first 2 shown]
	s_mov_b32 s5, 0
	.p2align	6
.LBB37_37:                              ; =>This Inner Loop Header: Depth=1
	s_clause 0x1
	buffer_load_dword v87, v83, s[0:3], 0 offen offset:4
	buffer_load_dword v88, v83, s[0:3], 0 offen
	ds_read_b64 v[85:86], v82
	v_add_nc_u32_e32 v81, 1, v81
	v_add_nc_u32_e32 v82, 8, v82
	;; [unrolled: 1-line block ×3, first 2 shown]
	v_cmp_lt_u32_e32 vcc_lo, 4, v81
	s_or_b32 s5, vcc_lo, s5
	s_waitcnt vmcnt(1) lgkmcnt(0)
	v_mul_f32_e32 v89, v86, v87
	v_mul_f32_e32 v87, v85, v87
	s_waitcnt vmcnt(0)
	v_fma_f32 v85, v85, v88, -v89
	v_fmac_f32_e32 v87, v86, v88
	v_add_f32_e32 v84, v84, v85
	v_add_f32_e32 v78, v78, v87
	s_andn2_b32 exec_lo, exec_lo, s5
	s_cbranch_execnz .LBB37_37
; %bb.38:
	s_or_b32 exec_lo, exec_lo, s5
	v_mov_b32_e32 v81, 0
	ds_read_b64 v[81:82], v81 offset:48
	s_waitcnt lgkmcnt(0)
	v_mul_f32_e32 v83, v78, v82
	v_mul_f32_e32 v82, v84, v82
	v_fma_f32 v83, v84, v81, -v83
	v_fmac_f32_e32 v82, v78, v81
	buffer_store_dword v83, off, s[0:3], 0 offset:48
	buffer_store_dword v82, off, s[0:3], 0 offset:52
.LBB37_39:
	s_or_b32 exec_lo, exec_lo, s4
	s_waitcnt_vscnt null, 0x0
	s_barrier
	buffer_gl0_inv
	s_clause 0x1
	buffer_load_dword v81, off, s[0:3], 0 offset:56
	buffer_load_dword v82, off, s[0:3], 0 offset:60
	s_mov_b32 s4, exec_lo
	s_waitcnt vmcnt(0)
	ds_write_b64 v80, v[81:82]
	s_waitcnt lgkmcnt(0)
	s_barrier
	buffer_gl0_inv
	v_cmpx_gt_u32_e32 7, v0
	s_cbranch_execz .LBB37_43
; %bb.40:
	v_add_nc_u32_e32 v81, -1, v0
	v_add_nc_u32_e32 v82, 0x130, v79
	v_mov_b32_e32 v83, v79
	v_mov_b32_e32 v78, 0
	;; [unrolled: 1-line block ×3, first 2 shown]
	s_mov_b32 s5, 0
	.p2align	6
.LBB37_41:                              ; =>This Inner Loop Header: Depth=1
	s_clause 0x1
	buffer_load_dword v87, v83, s[0:3], 0 offen offset:4
	buffer_load_dword v88, v83, s[0:3], 0 offen
	ds_read_b64 v[85:86], v82
	v_add_nc_u32_e32 v81, 1, v81
	v_add_nc_u32_e32 v82, 8, v82
	v_add_nc_u32_e32 v83, 8, v83
	v_cmp_lt_u32_e32 vcc_lo, 5, v81
	s_or_b32 s5, vcc_lo, s5
	s_waitcnt vmcnt(1) lgkmcnt(0)
	v_mul_f32_e32 v89, v86, v87
	v_mul_f32_e32 v87, v85, v87
	s_waitcnt vmcnt(0)
	v_fma_f32 v85, v85, v88, -v89
	v_fmac_f32_e32 v87, v86, v88
	v_add_f32_e32 v84, v84, v85
	v_add_f32_e32 v78, v78, v87
	s_andn2_b32 exec_lo, exec_lo, s5
	s_cbranch_execnz .LBB37_41
; %bb.42:
	s_or_b32 exec_lo, exec_lo, s5
	v_mov_b32_e32 v81, 0
	ds_read_b64 v[81:82], v81 offset:56
	s_waitcnt lgkmcnt(0)
	v_mul_f32_e32 v83, v78, v82
	v_mul_f32_e32 v82, v84, v82
	v_fma_f32 v83, v84, v81, -v83
	v_fmac_f32_e32 v82, v78, v81
	buffer_store_dword v83, off, s[0:3], 0 offset:56
	buffer_store_dword v82, off, s[0:3], 0 offset:60
.LBB37_43:
	s_or_b32 exec_lo, exec_lo, s4
	s_waitcnt_vscnt null, 0x0
	s_barrier
	buffer_gl0_inv
	s_clause 0x1
	buffer_load_dword v81, off, s[0:3], 0 offset:64
	buffer_load_dword v82, off, s[0:3], 0 offset:68
	s_mov_b32 s4, exec_lo
	s_waitcnt vmcnt(0)
	ds_write_b64 v80, v[81:82]
	s_waitcnt lgkmcnt(0)
	s_barrier
	buffer_gl0_inv
	v_cmpx_gt_u32_e32 8, v0
	s_cbranch_execz .LBB37_47
; %bb.44:
	v_add_nc_u32_e32 v81, -1, v0
	v_add_nc_u32_e32 v82, 0x130, v79
	v_mov_b32_e32 v83, v79
	v_mov_b32_e32 v78, 0
	;; [unrolled: 1-line block ×3, first 2 shown]
	s_mov_b32 s5, 0
	.p2align	6
.LBB37_45:                              ; =>This Inner Loop Header: Depth=1
	s_clause 0x1
	buffer_load_dword v87, v83, s[0:3], 0 offen offset:4
	buffer_load_dword v88, v83, s[0:3], 0 offen
	ds_read_b64 v[85:86], v82
	v_add_nc_u32_e32 v81, 1, v81
	v_add_nc_u32_e32 v82, 8, v82
	;; [unrolled: 1-line block ×3, first 2 shown]
	v_cmp_lt_u32_e32 vcc_lo, 6, v81
	s_or_b32 s5, vcc_lo, s5
	s_waitcnt vmcnt(1) lgkmcnt(0)
	v_mul_f32_e32 v89, v86, v87
	v_mul_f32_e32 v87, v85, v87
	s_waitcnt vmcnt(0)
	v_fma_f32 v85, v85, v88, -v89
	v_fmac_f32_e32 v87, v86, v88
	v_add_f32_e32 v84, v84, v85
	v_add_f32_e32 v78, v78, v87
	s_andn2_b32 exec_lo, exec_lo, s5
	s_cbranch_execnz .LBB37_45
; %bb.46:
	s_or_b32 exec_lo, exec_lo, s5
	v_mov_b32_e32 v81, 0
	ds_read_b64 v[81:82], v81 offset:64
	s_waitcnt lgkmcnt(0)
	v_mul_f32_e32 v83, v78, v82
	v_mul_f32_e32 v82, v84, v82
	v_fma_f32 v83, v84, v81, -v83
	v_fmac_f32_e32 v82, v78, v81
	buffer_store_dword v83, off, s[0:3], 0 offset:64
	buffer_store_dword v82, off, s[0:3], 0 offset:68
.LBB37_47:
	s_or_b32 exec_lo, exec_lo, s4
	s_waitcnt_vscnt null, 0x0
	s_barrier
	buffer_gl0_inv
	s_clause 0x1
	buffer_load_dword v81, off, s[0:3], 0 offset:72
	buffer_load_dword v82, off, s[0:3], 0 offset:76
	s_mov_b32 s4, exec_lo
	s_waitcnt vmcnt(0)
	ds_write_b64 v80, v[81:82]
	s_waitcnt lgkmcnt(0)
	s_barrier
	buffer_gl0_inv
	v_cmpx_gt_u32_e32 9, v0
	s_cbranch_execz .LBB37_51
; %bb.48:
	v_add_nc_u32_e32 v81, -1, v0
	v_add_nc_u32_e32 v82, 0x130, v79
	v_mov_b32_e32 v83, v79
	v_mov_b32_e32 v78, 0
	;; [unrolled: 1-line block ×3, first 2 shown]
	s_mov_b32 s5, 0
	.p2align	6
.LBB37_49:                              ; =>This Inner Loop Header: Depth=1
	s_clause 0x1
	buffer_load_dword v87, v83, s[0:3], 0 offen offset:4
	buffer_load_dword v88, v83, s[0:3], 0 offen
	ds_read_b64 v[85:86], v82
	v_add_nc_u32_e32 v81, 1, v81
	v_add_nc_u32_e32 v82, 8, v82
	;; [unrolled: 1-line block ×3, first 2 shown]
	v_cmp_lt_u32_e32 vcc_lo, 7, v81
	s_or_b32 s5, vcc_lo, s5
	s_waitcnt vmcnt(1) lgkmcnt(0)
	v_mul_f32_e32 v89, v86, v87
	v_mul_f32_e32 v87, v85, v87
	s_waitcnt vmcnt(0)
	v_fma_f32 v85, v85, v88, -v89
	v_fmac_f32_e32 v87, v86, v88
	v_add_f32_e32 v84, v84, v85
	v_add_f32_e32 v78, v78, v87
	s_andn2_b32 exec_lo, exec_lo, s5
	s_cbranch_execnz .LBB37_49
; %bb.50:
	s_or_b32 exec_lo, exec_lo, s5
	v_mov_b32_e32 v81, 0
	ds_read_b64 v[81:82], v81 offset:72
	s_waitcnt lgkmcnt(0)
	v_mul_f32_e32 v83, v78, v82
	v_mul_f32_e32 v82, v84, v82
	v_fma_f32 v83, v84, v81, -v83
	v_fmac_f32_e32 v82, v78, v81
	buffer_store_dword v83, off, s[0:3], 0 offset:72
	buffer_store_dword v82, off, s[0:3], 0 offset:76
.LBB37_51:
	s_or_b32 exec_lo, exec_lo, s4
	s_waitcnt_vscnt null, 0x0
	s_barrier
	buffer_gl0_inv
	s_clause 0x1
	buffer_load_dword v81, off, s[0:3], 0 offset:80
	buffer_load_dword v82, off, s[0:3], 0 offset:84
	s_mov_b32 s4, exec_lo
	s_waitcnt vmcnt(0)
	ds_write_b64 v80, v[81:82]
	s_waitcnt lgkmcnt(0)
	s_barrier
	buffer_gl0_inv
	v_cmpx_gt_u32_e32 10, v0
	s_cbranch_execz .LBB37_55
; %bb.52:
	v_add_nc_u32_e32 v81, -1, v0
	v_add_nc_u32_e32 v82, 0x130, v79
	v_mov_b32_e32 v83, v79
	v_mov_b32_e32 v78, 0
	;; [unrolled: 1-line block ×3, first 2 shown]
	s_mov_b32 s5, 0
	.p2align	6
.LBB37_53:                              ; =>This Inner Loop Header: Depth=1
	s_clause 0x1
	buffer_load_dword v87, v83, s[0:3], 0 offen offset:4
	buffer_load_dword v88, v83, s[0:3], 0 offen
	ds_read_b64 v[85:86], v82
	v_add_nc_u32_e32 v81, 1, v81
	v_add_nc_u32_e32 v82, 8, v82
	;; [unrolled: 1-line block ×3, first 2 shown]
	v_cmp_lt_u32_e32 vcc_lo, 8, v81
	s_or_b32 s5, vcc_lo, s5
	s_waitcnt vmcnt(1) lgkmcnt(0)
	v_mul_f32_e32 v89, v86, v87
	v_mul_f32_e32 v87, v85, v87
	s_waitcnt vmcnt(0)
	v_fma_f32 v85, v85, v88, -v89
	v_fmac_f32_e32 v87, v86, v88
	v_add_f32_e32 v84, v84, v85
	v_add_f32_e32 v78, v78, v87
	s_andn2_b32 exec_lo, exec_lo, s5
	s_cbranch_execnz .LBB37_53
; %bb.54:
	s_or_b32 exec_lo, exec_lo, s5
	v_mov_b32_e32 v81, 0
	ds_read_b64 v[81:82], v81 offset:80
	s_waitcnt lgkmcnt(0)
	v_mul_f32_e32 v83, v78, v82
	v_mul_f32_e32 v82, v84, v82
	v_fma_f32 v83, v84, v81, -v83
	v_fmac_f32_e32 v82, v78, v81
	buffer_store_dword v83, off, s[0:3], 0 offset:80
	buffer_store_dword v82, off, s[0:3], 0 offset:84
.LBB37_55:
	s_or_b32 exec_lo, exec_lo, s4
	s_waitcnt_vscnt null, 0x0
	s_barrier
	buffer_gl0_inv
	s_clause 0x1
	buffer_load_dword v81, off, s[0:3], 0 offset:88
	buffer_load_dword v82, off, s[0:3], 0 offset:92
	s_mov_b32 s4, exec_lo
	s_waitcnt vmcnt(0)
	ds_write_b64 v80, v[81:82]
	s_waitcnt lgkmcnt(0)
	s_barrier
	buffer_gl0_inv
	v_cmpx_gt_u32_e32 11, v0
	s_cbranch_execz .LBB37_59
; %bb.56:
	v_add_nc_u32_e32 v81, -1, v0
	v_add_nc_u32_e32 v82, 0x130, v79
	v_mov_b32_e32 v83, v79
	v_mov_b32_e32 v78, 0
	;; [unrolled: 1-line block ×3, first 2 shown]
	s_mov_b32 s5, 0
	.p2align	6
.LBB37_57:                              ; =>This Inner Loop Header: Depth=1
	s_clause 0x1
	buffer_load_dword v87, v83, s[0:3], 0 offen offset:4
	buffer_load_dword v88, v83, s[0:3], 0 offen
	ds_read_b64 v[85:86], v82
	v_add_nc_u32_e32 v81, 1, v81
	v_add_nc_u32_e32 v82, 8, v82
	v_add_nc_u32_e32 v83, 8, v83
	v_cmp_lt_u32_e32 vcc_lo, 9, v81
	s_or_b32 s5, vcc_lo, s5
	s_waitcnt vmcnt(1) lgkmcnt(0)
	v_mul_f32_e32 v89, v86, v87
	v_mul_f32_e32 v87, v85, v87
	s_waitcnt vmcnt(0)
	v_fma_f32 v85, v85, v88, -v89
	v_fmac_f32_e32 v87, v86, v88
	v_add_f32_e32 v84, v84, v85
	v_add_f32_e32 v78, v78, v87
	s_andn2_b32 exec_lo, exec_lo, s5
	s_cbranch_execnz .LBB37_57
; %bb.58:
	s_or_b32 exec_lo, exec_lo, s5
	v_mov_b32_e32 v81, 0
	ds_read_b64 v[81:82], v81 offset:88
	s_waitcnt lgkmcnt(0)
	v_mul_f32_e32 v83, v78, v82
	v_mul_f32_e32 v82, v84, v82
	v_fma_f32 v83, v84, v81, -v83
	v_fmac_f32_e32 v82, v78, v81
	buffer_store_dword v83, off, s[0:3], 0 offset:88
	buffer_store_dword v82, off, s[0:3], 0 offset:92
.LBB37_59:
	s_or_b32 exec_lo, exec_lo, s4
	s_waitcnt_vscnt null, 0x0
	s_barrier
	buffer_gl0_inv
	s_clause 0x1
	buffer_load_dword v81, off, s[0:3], 0 offset:96
	buffer_load_dword v82, off, s[0:3], 0 offset:100
	s_mov_b32 s4, exec_lo
	s_waitcnt vmcnt(0)
	ds_write_b64 v80, v[81:82]
	s_waitcnt lgkmcnt(0)
	s_barrier
	buffer_gl0_inv
	v_cmpx_gt_u32_e32 12, v0
	s_cbranch_execz .LBB37_63
; %bb.60:
	v_add_nc_u32_e32 v81, -1, v0
	v_add_nc_u32_e32 v82, 0x130, v79
	v_mov_b32_e32 v83, v79
	v_mov_b32_e32 v78, 0
	;; [unrolled: 1-line block ×3, first 2 shown]
	s_mov_b32 s5, 0
	.p2align	6
.LBB37_61:                              ; =>This Inner Loop Header: Depth=1
	s_clause 0x1
	buffer_load_dword v87, v83, s[0:3], 0 offen offset:4
	buffer_load_dword v88, v83, s[0:3], 0 offen
	ds_read_b64 v[85:86], v82
	v_add_nc_u32_e32 v81, 1, v81
	v_add_nc_u32_e32 v82, 8, v82
	;; [unrolled: 1-line block ×3, first 2 shown]
	v_cmp_lt_u32_e32 vcc_lo, 10, v81
	s_or_b32 s5, vcc_lo, s5
	s_waitcnt vmcnt(1) lgkmcnt(0)
	v_mul_f32_e32 v89, v86, v87
	v_mul_f32_e32 v87, v85, v87
	s_waitcnt vmcnt(0)
	v_fma_f32 v85, v85, v88, -v89
	v_fmac_f32_e32 v87, v86, v88
	v_add_f32_e32 v84, v84, v85
	v_add_f32_e32 v78, v78, v87
	s_andn2_b32 exec_lo, exec_lo, s5
	s_cbranch_execnz .LBB37_61
; %bb.62:
	s_or_b32 exec_lo, exec_lo, s5
	v_mov_b32_e32 v81, 0
	ds_read_b64 v[81:82], v81 offset:96
	s_waitcnt lgkmcnt(0)
	v_mul_f32_e32 v83, v78, v82
	v_mul_f32_e32 v82, v84, v82
	v_fma_f32 v83, v84, v81, -v83
	v_fmac_f32_e32 v82, v78, v81
	buffer_store_dword v83, off, s[0:3], 0 offset:96
	buffer_store_dword v82, off, s[0:3], 0 offset:100
.LBB37_63:
	s_or_b32 exec_lo, exec_lo, s4
	s_waitcnt_vscnt null, 0x0
	s_barrier
	buffer_gl0_inv
	s_clause 0x1
	buffer_load_dword v81, off, s[0:3], 0 offset:104
	buffer_load_dword v82, off, s[0:3], 0 offset:108
	s_mov_b32 s4, exec_lo
	s_waitcnt vmcnt(0)
	ds_write_b64 v80, v[81:82]
	s_waitcnt lgkmcnt(0)
	s_barrier
	buffer_gl0_inv
	v_cmpx_gt_u32_e32 13, v0
	s_cbranch_execz .LBB37_67
; %bb.64:
	v_add_nc_u32_e32 v81, -1, v0
	v_add_nc_u32_e32 v82, 0x130, v79
	v_mov_b32_e32 v83, v79
	v_mov_b32_e32 v78, 0
	;; [unrolled: 1-line block ×3, first 2 shown]
	s_mov_b32 s5, 0
	.p2align	6
.LBB37_65:                              ; =>This Inner Loop Header: Depth=1
	s_clause 0x1
	buffer_load_dword v87, v83, s[0:3], 0 offen offset:4
	buffer_load_dword v88, v83, s[0:3], 0 offen
	ds_read_b64 v[85:86], v82
	v_add_nc_u32_e32 v81, 1, v81
	v_add_nc_u32_e32 v82, 8, v82
	;; [unrolled: 1-line block ×3, first 2 shown]
	v_cmp_lt_u32_e32 vcc_lo, 11, v81
	s_or_b32 s5, vcc_lo, s5
	s_waitcnt vmcnt(1) lgkmcnt(0)
	v_mul_f32_e32 v89, v86, v87
	v_mul_f32_e32 v87, v85, v87
	s_waitcnt vmcnt(0)
	v_fma_f32 v85, v85, v88, -v89
	v_fmac_f32_e32 v87, v86, v88
	v_add_f32_e32 v84, v84, v85
	v_add_f32_e32 v78, v78, v87
	s_andn2_b32 exec_lo, exec_lo, s5
	s_cbranch_execnz .LBB37_65
; %bb.66:
	s_or_b32 exec_lo, exec_lo, s5
	v_mov_b32_e32 v81, 0
	ds_read_b64 v[81:82], v81 offset:104
	s_waitcnt lgkmcnt(0)
	v_mul_f32_e32 v83, v78, v82
	v_mul_f32_e32 v82, v84, v82
	v_fma_f32 v83, v84, v81, -v83
	v_fmac_f32_e32 v82, v78, v81
	buffer_store_dword v83, off, s[0:3], 0 offset:104
	buffer_store_dword v82, off, s[0:3], 0 offset:108
.LBB37_67:
	s_or_b32 exec_lo, exec_lo, s4
	s_waitcnt_vscnt null, 0x0
	s_barrier
	buffer_gl0_inv
	s_clause 0x1
	buffer_load_dword v81, off, s[0:3], 0 offset:112
	buffer_load_dword v82, off, s[0:3], 0 offset:116
	s_mov_b32 s4, exec_lo
	s_waitcnt vmcnt(0)
	ds_write_b64 v80, v[81:82]
	s_waitcnt lgkmcnt(0)
	s_barrier
	buffer_gl0_inv
	v_cmpx_gt_u32_e32 14, v0
	s_cbranch_execz .LBB37_71
; %bb.68:
	v_add_nc_u32_e32 v81, -1, v0
	v_add_nc_u32_e32 v82, 0x130, v79
	v_mov_b32_e32 v83, v79
	v_mov_b32_e32 v78, 0
	;; [unrolled: 1-line block ×3, first 2 shown]
	s_mov_b32 s5, 0
	.p2align	6
.LBB37_69:                              ; =>This Inner Loop Header: Depth=1
	s_clause 0x1
	buffer_load_dword v87, v83, s[0:3], 0 offen offset:4
	buffer_load_dword v88, v83, s[0:3], 0 offen
	ds_read_b64 v[85:86], v82
	v_add_nc_u32_e32 v81, 1, v81
	v_add_nc_u32_e32 v82, 8, v82
	;; [unrolled: 1-line block ×3, first 2 shown]
	v_cmp_lt_u32_e32 vcc_lo, 12, v81
	s_or_b32 s5, vcc_lo, s5
	s_waitcnt vmcnt(1) lgkmcnt(0)
	v_mul_f32_e32 v89, v86, v87
	v_mul_f32_e32 v87, v85, v87
	s_waitcnt vmcnt(0)
	v_fma_f32 v85, v85, v88, -v89
	v_fmac_f32_e32 v87, v86, v88
	v_add_f32_e32 v84, v84, v85
	v_add_f32_e32 v78, v78, v87
	s_andn2_b32 exec_lo, exec_lo, s5
	s_cbranch_execnz .LBB37_69
; %bb.70:
	s_or_b32 exec_lo, exec_lo, s5
	v_mov_b32_e32 v81, 0
	ds_read_b64 v[81:82], v81 offset:112
	s_waitcnt lgkmcnt(0)
	v_mul_f32_e32 v83, v78, v82
	v_mul_f32_e32 v82, v84, v82
	v_fma_f32 v83, v84, v81, -v83
	v_fmac_f32_e32 v82, v78, v81
	buffer_store_dword v83, off, s[0:3], 0 offset:112
	buffer_store_dword v82, off, s[0:3], 0 offset:116
.LBB37_71:
	s_or_b32 exec_lo, exec_lo, s4
	s_waitcnt_vscnt null, 0x0
	s_barrier
	buffer_gl0_inv
	s_clause 0x1
	buffer_load_dword v81, off, s[0:3], 0 offset:120
	buffer_load_dword v82, off, s[0:3], 0 offset:124
	s_mov_b32 s4, exec_lo
	s_waitcnt vmcnt(0)
	ds_write_b64 v80, v[81:82]
	s_waitcnt lgkmcnt(0)
	s_barrier
	buffer_gl0_inv
	v_cmpx_gt_u32_e32 15, v0
	s_cbranch_execz .LBB37_75
; %bb.72:
	v_add_nc_u32_e32 v81, -1, v0
	v_add_nc_u32_e32 v82, 0x130, v79
	v_mov_b32_e32 v83, v79
	v_mov_b32_e32 v78, 0
	;; [unrolled: 1-line block ×3, first 2 shown]
	s_mov_b32 s5, 0
	.p2align	6
.LBB37_73:                              ; =>This Inner Loop Header: Depth=1
	s_clause 0x1
	buffer_load_dword v87, v83, s[0:3], 0 offen offset:4
	buffer_load_dword v88, v83, s[0:3], 0 offen
	ds_read_b64 v[85:86], v82
	v_add_nc_u32_e32 v81, 1, v81
	v_add_nc_u32_e32 v82, 8, v82
	;; [unrolled: 1-line block ×3, first 2 shown]
	v_cmp_lt_u32_e32 vcc_lo, 13, v81
	s_or_b32 s5, vcc_lo, s5
	s_waitcnt vmcnt(1) lgkmcnt(0)
	v_mul_f32_e32 v89, v86, v87
	v_mul_f32_e32 v87, v85, v87
	s_waitcnt vmcnt(0)
	v_fma_f32 v85, v85, v88, -v89
	v_fmac_f32_e32 v87, v86, v88
	v_add_f32_e32 v84, v84, v85
	v_add_f32_e32 v78, v78, v87
	s_andn2_b32 exec_lo, exec_lo, s5
	s_cbranch_execnz .LBB37_73
; %bb.74:
	s_or_b32 exec_lo, exec_lo, s5
	v_mov_b32_e32 v81, 0
	ds_read_b64 v[81:82], v81 offset:120
	s_waitcnt lgkmcnt(0)
	v_mul_f32_e32 v83, v78, v82
	v_mul_f32_e32 v82, v84, v82
	v_fma_f32 v83, v84, v81, -v83
	v_fmac_f32_e32 v82, v78, v81
	buffer_store_dword v83, off, s[0:3], 0 offset:120
	buffer_store_dword v82, off, s[0:3], 0 offset:124
.LBB37_75:
	s_or_b32 exec_lo, exec_lo, s4
	s_waitcnt_vscnt null, 0x0
	s_barrier
	buffer_gl0_inv
	s_clause 0x1
	buffer_load_dword v81, off, s[0:3], 0 offset:128
	buffer_load_dword v82, off, s[0:3], 0 offset:132
	s_mov_b32 s4, exec_lo
	s_waitcnt vmcnt(0)
	ds_write_b64 v80, v[81:82]
	s_waitcnt lgkmcnt(0)
	s_barrier
	buffer_gl0_inv
	v_cmpx_gt_u32_e32 16, v0
	s_cbranch_execz .LBB37_79
; %bb.76:
	v_add_nc_u32_e32 v81, -1, v0
	v_add_nc_u32_e32 v82, 0x130, v79
	v_mov_b32_e32 v83, v79
	v_mov_b32_e32 v78, 0
	;; [unrolled: 1-line block ×3, first 2 shown]
	s_mov_b32 s5, 0
	.p2align	6
.LBB37_77:                              ; =>This Inner Loop Header: Depth=1
	s_clause 0x1
	buffer_load_dword v87, v83, s[0:3], 0 offen offset:4
	buffer_load_dword v88, v83, s[0:3], 0 offen
	ds_read_b64 v[85:86], v82
	v_add_nc_u32_e32 v81, 1, v81
	v_add_nc_u32_e32 v82, 8, v82
	;; [unrolled: 1-line block ×3, first 2 shown]
	v_cmp_lt_u32_e32 vcc_lo, 14, v81
	s_or_b32 s5, vcc_lo, s5
	s_waitcnt vmcnt(1) lgkmcnt(0)
	v_mul_f32_e32 v89, v86, v87
	v_mul_f32_e32 v87, v85, v87
	s_waitcnt vmcnt(0)
	v_fma_f32 v85, v85, v88, -v89
	v_fmac_f32_e32 v87, v86, v88
	v_add_f32_e32 v84, v84, v85
	v_add_f32_e32 v78, v78, v87
	s_andn2_b32 exec_lo, exec_lo, s5
	s_cbranch_execnz .LBB37_77
; %bb.78:
	s_or_b32 exec_lo, exec_lo, s5
	v_mov_b32_e32 v81, 0
	ds_read_b64 v[81:82], v81 offset:128
	s_waitcnt lgkmcnt(0)
	v_mul_f32_e32 v83, v78, v82
	v_mul_f32_e32 v82, v84, v82
	v_fma_f32 v83, v84, v81, -v83
	v_fmac_f32_e32 v82, v78, v81
	buffer_store_dword v83, off, s[0:3], 0 offset:128
	buffer_store_dword v82, off, s[0:3], 0 offset:132
.LBB37_79:
	s_or_b32 exec_lo, exec_lo, s4
	s_waitcnt_vscnt null, 0x0
	s_barrier
	buffer_gl0_inv
	s_clause 0x1
	buffer_load_dword v81, off, s[0:3], 0 offset:136
	buffer_load_dword v82, off, s[0:3], 0 offset:140
	s_mov_b32 s4, exec_lo
	s_waitcnt vmcnt(0)
	ds_write_b64 v80, v[81:82]
	s_waitcnt lgkmcnt(0)
	s_barrier
	buffer_gl0_inv
	v_cmpx_gt_u32_e32 17, v0
	s_cbranch_execz .LBB37_83
; %bb.80:
	v_add_nc_u32_e32 v81, -1, v0
	v_add_nc_u32_e32 v82, 0x130, v79
	v_mov_b32_e32 v83, v79
	v_mov_b32_e32 v78, 0
	;; [unrolled: 1-line block ×3, first 2 shown]
	s_mov_b32 s5, 0
	.p2align	6
.LBB37_81:                              ; =>This Inner Loop Header: Depth=1
	s_clause 0x1
	buffer_load_dword v87, v83, s[0:3], 0 offen offset:4
	buffer_load_dword v88, v83, s[0:3], 0 offen
	ds_read_b64 v[85:86], v82
	v_add_nc_u32_e32 v81, 1, v81
	v_add_nc_u32_e32 v82, 8, v82
	;; [unrolled: 1-line block ×3, first 2 shown]
	v_cmp_lt_u32_e32 vcc_lo, 15, v81
	s_or_b32 s5, vcc_lo, s5
	s_waitcnt vmcnt(1) lgkmcnt(0)
	v_mul_f32_e32 v89, v86, v87
	v_mul_f32_e32 v87, v85, v87
	s_waitcnt vmcnt(0)
	v_fma_f32 v85, v85, v88, -v89
	v_fmac_f32_e32 v87, v86, v88
	v_add_f32_e32 v84, v84, v85
	v_add_f32_e32 v78, v78, v87
	s_andn2_b32 exec_lo, exec_lo, s5
	s_cbranch_execnz .LBB37_81
; %bb.82:
	s_or_b32 exec_lo, exec_lo, s5
	v_mov_b32_e32 v81, 0
	ds_read_b64 v[81:82], v81 offset:136
	s_waitcnt lgkmcnt(0)
	v_mul_f32_e32 v83, v78, v82
	v_mul_f32_e32 v82, v84, v82
	v_fma_f32 v83, v84, v81, -v83
	v_fmac_f32_e32 v82, v78, v81
	buffer_store_dword v83, off, s[0:3], 0 offset:136
	buffer_store_dword v82, off, s[0:3], 0 offset:140
.LBB37_83:
	s_or_b32 exec_lo, exec_lo, s4
	s_waitcnt_vscnt null, 0x0
	s_barrier
	buffer_gl0_inv
	s_clause 0x1
	buffer_load_dword v81, off, s[0:3], 0 offset:144
	buffer_load_dword v82, off, s[0:3], 0 offset:148
	s_mov_b32 s4, exec_lo
	s_waitcnt vmcnt(0)
	ds_write_b64 v80, v[81:82]
	s_waitcnt lgkmcnt(0)
	s_barrier
	buffer_gl0_inv
	v_cmpx_gt_u32_e32 18, v0
	s_cbranch_execz .LBB37_87
; %bb.84:
	v_add_nc_u32_e32 v81, -1, v0
	v_add_nc_u32_e32 v82, 0x130, v79
	v_mov_b32_e32 v83, v79
	v_mov_b32_e32 v78, 0
	;; [unrolled: 1-line block ×3, first 2 shown]
	s_mov_b32 s5, 0
	.p2align	6
.LBB37_85:                              ; =>This Inner Loop Header: Depth=1
	s_clause 0x1
	buffer_load_dword v87, v83, s[0:3], 0 offen offset:4
	buffer_load_dword v88, v83, s[0:3], 0 offen
	ds_read_b64 v[85:86], v82
	v_add_nc_u32_e32 v81, 1, v81
	v_add_nc_u32_e32 v82, 8, v82
	;; [unrolled: 1-line block ×3, first 2 shown]
	v_cmp_lt_u32_e32 vcc_lo, 16, v81
	s_or_b32 s5, vcc_lo, s5
	s_waitcnt vmcnt(1) lgkmcnt(0)
	v_mul_f32_e32 v89, v86, v87
	v_mul_f32_e32 v87, v85, v87
	s_waitcnt vmcnt(0)
	v_fma_f32 v85, v85, v88, -v89
	v_fmac_f32_e32 v87, v86, v88
	v_add_f32_e32 v84, v84, v85
	v_add_f32_e32 v78, v78, v87
	s_andn2_b32 exec_lo, exec_lo, s5
	s_cbranch_execnz .LBB37_85
; %bb.86:
	s_or_b32 exec_lo, exec_lo, s5
	v_mov_b32_e32 v81, 0
	ds_read_b64 v[81:82], v81 offset:144
	s_waitcnt lgkmcnt(0)
	v_mul_f32_e32 v83, v78, v82
	v_mul_f32_e32 v82, v84, v82
	v_fma_f32 v83, v84, v81, -v83
	v_fmac_f32_e32 v82, v78, v81
	buffer_store_dword v83, off, s[0:3], 0 offset:144
	buffer_store_dword v82, off, s[0:3], 0 offset:148
.LBB37_87:
	s_or_b32 exec_lo, exec_lo, s4
	s_waitcnt_vscnt null, 0x0
	s_barrier
	buffer_gl0_inv
	s_clause 0x1
	buffer_load_dword v81, off, s[0:3], 0 offset:152
	buffer_load_dword v82, off, s[0:3], 0 offset:156
	s_mov_b32 s4, exec_lo
	s_waitcnt vmcnt(0)
	ds_write_b64 v80, v[81:82]
	s_waitcnt lgkmcnt(0)
	s_barrier
	buffer_gl0_inv
	v_cmpx_gt_u32_e32 19, v0
	s_cbranch_execz .LBB37_91
; %bb.88:
	v_add_nc_u32_e32 v81, -1, v0
	v_add_nc_u32_e32 v82, 0x130, v79
	v_mov_b32_e32 v83, v79
	v_mov_b32_e32 v78, 0
	;; [unrolled: 1-line block ×3, first 2 shown]
	s_mov_b32 s5, 0
	.p2align	6
.LBB37_89:                              ; =>This Inner Loop Header: Depth=1
	s_clause 0x1
	buffer_load_dword v87, v83, s[0:3], 0 offen offset:4
	buffer_load_dword v88, v83, s[0:3], 0 offen
	ds_read_b64 v[85:86], v82
	v_add_nc_u32_e32 v81, 1, v81
	v_add_nc_u32_e32 v82, 8, v82
	;; [unrolled: 1-line block ×3, first 2 shown]
	v_cmp_lt_u32_e32 vcc_lo, 17, v81
	s_or_b32 s5, vcc_lo, s5
	s_waitcnt vmcnt(1) lgkmcnt(0)
	v_mul_f32_e32 v89, v86, v87
	v_mul_f32_e32 v87, v85, v87
	s_waitcnt vmcnt(0)
	v_fma_f32 v85, v85, v88, -v89
	v_fmac_f32_e32 v87, v86, v88
	v_add_f32_e32 v84, v84, v85
	v_add_f32_e32 v78, v78, v87
	s_andn2_b32 exec_lo, exec_lo, s5
	s_cbranch_execnz .LBB37_89
; %bb.90:
	s_or_b32 exec_lo, exec_lo, s5
	v_mov_b32_e32 v81, 0
	ds_read_b64 v[81:82], v81 offset:152
	s_waitcnt lgkmcnt(0)
	v_mul_f32_e32 v83, v78, v82
	v_mul_f32_e32 v82, v84, v82
	v_fma_f32 v83, v84, v81, -v83
	v_fmac_f32_e32 v82, v78, v81
	buffer_store_dword v83, off, s[0:3], 0 offset:152
	buffer_store_dword v82, off, s[0:3], 0 offset:156
.LBB37_91:
	s_or_b32 exec_lo, exec_lo, s4
	s_waitcnt_vscnt null, 0x0
	s_barrier
	buffer_gl0_inv
	s_clause 0x1
	buffer_load_dword v81, off, s[0:3], 0 offset:160
	buffer_load_dword v82, off, s[0:3], 0 offset:164
	s_mov_b32 s4, exec_lo
	s_waitcnt vmcnt(0)
	ds_write_b64 v80, v[81:82]
	s_waitcnt lgkmcnt(0)
	s_barrier
	buffer_gl0_inv
	v_cmpx_gt_u32_e32 20, v0
	s_cbranch_execz .LBB37_95
; %bb.92:
	v_add_nc_u32_e32 v81, -1, v0
	v_add_nc_u32_e32 v82, 0x130, v79
	v_mov_b32_e32 v83, v79
	v_mov_b32_e32 v78, 0
	;; [unrolled: 1-line block ×3, first 2 shown]
	s_mov_b32 s5, 0
	.p2align	6
.LBB37_93:                              ; =>This Inner Loop Header: Depth=1
	s_clause 0x1
	buffer_load_dword v87, v83, s[0:3], 0 offen offset:4
	buffer_load_dword v88, v83, s[0:3], 0 offen
	ds_read_b64 v[85:86], v82
	v_add_nc_u32_e32 v81, 1, v81
	v_add_nc_u32_e32 v82, 8, v82
	;; [unrolled: 1-line block ×3, first 2 shown]
	v_cmp_lt_u32_e32 vcc_lo, 18, v81
	s_or_b32 s5, vcc_lo, s5
	s_waitcnt vmcnt(1) lgkmcnt(0)
	v_mul_f32_e32 v89, v86, v87
	v_mul_f32_e32 v87, v85, v87
	s_waitcnt vmcnt(0)
	v_fma_f32 v85, v85, v88, -v89
	v_fmac_f32_e32 v87, v86, v88
	v_add_f32_e32 v84, v84, v85
	v_add_f32_e32 v78, v78, v87
	s_andn2_b32 exec_lo, exec_lo, s5
	s_cbranch_execnz .LBB37_93
; %bb.94:
	s_or_b32 exec_lo, exec_lo, s5
	v_mov_b32_e32 v81, 0
	ds_read_b64 v[81:82], v81 offset:160
	s_waitcnt lgkmcnt(0)
	v_mul_f32_e32 v83, v78, v82
	v_mul_f32_e32 v82, v84, v82
	v_fma_f32 v83, v84, v81, -v83
	v_fmac_f32_e32 v82, v78, v81
	buffer_store_dword v83, off, s[0:3], 0 offset:160
	buffer_store_dword v82, off, s[0:3], 0 offset:164
.LBB37_95:
	s_or_b32 exec_lo, exec_lo, s4
	s_waitcnt_vscnt null, 0x0
	s_barrier
	buffer_gl0_inv
	s_clause 0x1
	buffer_load_dword v81, off, s[0:3], 0 offset:168
	buffer_load_dword v82, off, s[0:3], 0 offset:172
	s_mov_b32 s4, exec_lo
	s_waitcnt vmcnt(0)
	ds_write_b64 v80, v[81:82]
	s_waitcnt lgkmcnt(0)
	s_barrier
	buffer_gl0_inv
	v_cmpx_gt_u32_e32 21, v0
	s_cbranch_execz .LBB37_99
; %bb.96:
	v_add_nc_u32_e32 v81, -1, v0
	v_add_nc_u32_e32 v82, 0x130, v79
	v_mov_b32_e32 v83, v79
	v_mov_b32_e32 v78, 0
	;; [unrolled: 1-line block ×3, first 2 shown]
	s_mov_b32 s5, 0
	.p2align	6
.LBB37_97:                              ; =>This Inner Loop Header: Depth=1
	s_clause 0x1
	buffer_load_dword v87, v83, s[0:3], 0 offen offset:4
	buffer_load_dword v88, v83, s[0:3], 0 offen
	ds_read_b64 v[85:86], v82
	v_add_nc_u32_e32 v81, 1, v81
	v_add_nc_u32_e32 v82, 8, v82
	;; [unrolled: 1-line block ×3, first 2 shown]
	v_cmp_lt_u32_e32 vcc_lo, 19, v81
	s_or_b32 s5, vcc_lo, s5
	s_waitcnt vmcnt(1) lgkmcnt(0)
	v_mul_f32_e32 v89, v86, v87
	v_mul_f32_e32 v87, v85, v87
	s_waitcnt vmcnt(0)
	v_fma_f32 v85, v85, v88, -v89
	v_fmac_f32_e32 v87, v86, v88
	v_add_f32_e32 v84, v84, v85
	v_add_f32_e32 v78, v78, v87
	s_andn2_b32 exec_lo, exec_lo, s5
	s_cbranch_execnz .LBB37_97
; %bb.98:
	s_or_b32 exec_lo, exec_lo, s5
	v_mov_b32_e32 v81, 0
	ds_read_b64 v[81:82], v81 offset:168
	s_waitcnt lgkmcnt(0)
	v_mul_f32_e32 v83, v78, v82
	v_mul_f32_e32 v82, v84, v82
	v_fma_f32 v83, v84, v81, -v83
	v_fmac_f32_e32 v82, v78, v81
	buffer_store_dword v83, off, s[0:3], 0 offset:168
	buffer_store_dword v82, off, s[0:3], 0 offset:172
.LBB37_99:
	s_or_b32 exec_lo, exec_lo, s4
	s_waitcnt_vscnt null, 0x0
	s_barrier
	buffer_gl0_inv
	s_clause 0x1
	buffer_load_dword v81, off, s[0:3], 0 offset:176
	buffer_load_dword v82, off, s[0:3], 0 offset:180
	s_mov_b32 s4, exec_lo
	s_waitcnt vmcnt(0)
	ds_write_b64 v80, v[81:82]
	s_waitcnt lgkmcnt(0)
	s_barrier
	buffer_gl0_inv
	v_cmpx_gt_u32_e32 22, v0
	s_cbranch_execz .LBB37_103
; %bb.100:
	v_add_nc_u32_e32 v81, -1, v0
	v_add_nc_u32_e32 v82, 0x130, v79
	v_mov_b32_e32 v83, v79
	v_mov_b32_e32 v78, 0
	;; [unrolled: 1-line block ×3, first 2 shown]
	s_mov_b32 s5, 0
	.p2align	6
.LBB37_101:                             ; =>This Inner Loop Header: Depth=1
	s_clause 0x1
	buffer_load_dword v87, v83, s[0:3], 0 offen offset:4
	buffer_load_dword v88, v83, s[0:3], 0 offen
	ds_read_b64 v[85:86], v82
	v_add_nc_u32_e32 v81, 1, v81
	v_add_nc_u32_e32 v82, 8, v82
	;; [unrolled: 1-line block ×3, first 2 shown]
	v_cmp_lt_u32_e32 vcc_lo, 20, v81
	s_or_b32 s5, vcc_lo, s5
	s_waitcnt vmcnt(1) lgkmcnt(0)
	v_mul_f32_e32 v89, v86, v87
	v_mul_f32_e32 v87, v85, v87
	s_waitcnt vmcnt(0)
	v_fma_f32 v85, v85, v88, -v89
	v_fmac_f32_e32 v87, v86, v88
	v_add_f32_e32 v84, v84, v85
	v_add_f32_e32 v78, v78, v87
	s_andn2_b32 exec_lo, exec_lo, s5
	s_cbranch_execnz .LBB37_101
; %bb.102:
	s_or_b32 exec_lo, exec_lo, s5
	v_mov_b32_e32 v81, 0
	ds_read_b64 v[81:82], v81 offset:176
	s_waitcnt lgkmcnt(0)
	v_mul_f32_e32 v83, v78, v82
	v_mul_f32_e32 v82, v84, v82
	v_fma_f32 v83, v84, v81, -v83
	v_fmac_f32_e32 v82, v78, v81
	buffer_store_dword v83, off, s[0:3], 0 offset:176
	buffer_store_dword v82, off, s[0:3], 0 offset:180
.LBB37_103:
	s_or_b32 exec_lo, exec_lo, s4
	s_waitcnt_vscnt null, 0x0
	s_barrier
	buffer_gl0_inv
	s_clause 0x1
	buffer_load_dword v81, off, s[0:3], 0 offset:184
	buffer_load_dword v82, off, s[0:3], 0 offset:188
	s_mov_b32 s4, exec_lo
	s_waitcnt vmcnt(0)
	ds_write_b64 v80, v[81:82]
	s_waitcnt lgkmcnt(0)
	s_barrier
	buffer_gl0_inv
	v_cmpx_gt_u32_e32 23, v0
	s_cbranch_execz .LBB37_107
; %bb.104:
	v_add_nc_u32_e32 v81, -1, v0
	v_add_nc_u32_e32 v82, 0x130, v79
	v_mov_b32_e32 v83, v79
	v_mov_b32_e32 v78, 0
	;; [unrolled: 1-line block ×3, first 2 shown]
	s_mov_b32 s5, 0
	.p2align	6
.LBB37_105:                             ; =>This Inner Loop Header: Depth=1
	s_clause 0x1
	buffer_load_dword v87, v83, s[0:3], 0 offen offset:4
	buffer_load_dword v88, v83, s[0:3], 0 offen
	ds_read_b64 v[85:86], v82
	v_add_nc_u32_e32 v81, 1, v81
	v_add_nc_u32_e32 v82, 8, v82
	v_add_nc_u32_e32 v83, 8, v83
	v_cmp_lt_u32_e32 vcc_lo, 21, v81
	s_or_b32 s5, vcc_lo, s5
	s_waitcnt vmcnt(1) lgkmcnt(0)
	v_mul_f32_e32 v89, v86, v87
	v_mul_f32_e32 v87, v85, v87
	s_waitcnt vmcnt(0)
	v_fma_f32 v85, v85, v88, -v89
	v_fmac_f32_e32 v87, v86, v88
	v_add_f32_e32 v84, v84, v85
	v_add_f32_e32 v78, v78, v87
	s_andn2_b32 exec_lo, exec_lo, s5
	s_cbranch_execnz .LBB37_105
; %bb.106:
	s_or_b32 exec_lo, exec_lo, s5
	v_mov_b32_e32 v81, 0
	ds_read_b64 v[81:82], v81 offset:184
	s_waitcnt lgkmcnt(0)
	v_mul_f32_e32 v83, v78, v82
	v_mul_f32_e32 v82, v84, v82
	v_fma_f32 v83, v84, v81, -v83
	v_fmac_f32_e32 v82, v78, v81
	buffer_store_dword v83, off, s[0:3], 0 offset:184
	buffer_store_dword v82, off, s[0:3], 0 offset:188
.LBB37_107:
	s_or_b32 exec_lo, exec_lo, s4
	s_waitcnt_vscnt null, 0x0
	s_barrier
	buffer_gl0_inv
	s_clause 0x1
	buffer_load_dword v81, off, s[0:3], 0 offset:192
	buffer_load_dword v82, off, s[0:3], 0 offset:196
	s_mov_b32 s4, exec_lo
	s_waitcnt vmcnt(0)
	ds_write_b64 v80, v[81:82]
	s_waitcnt lgkmcnt(0)
	s_barrier
	buffer_gl0_inv
	v_cmpx_gt_u32_e32 24, v0
	s_cbranch_execz .LBB37_111
; %bb.108:
	v_add_nc_u32_e32 v81, -1, v0
	v_add_nc_u32_e32 v82, 0x130, v79
	v_mov_b32_e32 v83, v79
	v_mov_b32_e32 v78, 0
	v_mov_b32_e32 v84, 0
	s_mov_b32 s5, 0
	.p2align	6
.LBB37_109:                             ; =>This Inner Loop Header: Depth=1
	s_clause 0x1
	buffer_load_dword v87, v83, s[0:3], 0 offen offset:4
	buffer_load_dword v88, v83, s[0:3], 0 offen
	ds_read_b64 v[85:86], v82
	v_add_nc_u32_e32 v81, 1, v81
	v_add_nc_u32_e32 v82, 8, v82
	;; [unrolled: 1-line block ×3, first 2 shown]
	v_cmp_lt_u32_e32 vcc_lo, 22, v81
	s_or_b32 s5, vcc_lo, s5
	s_waitcnt vmcnt(1) lgkmcnt(0)
	v_mul_f32_e32 v89, v86, v87
	v_mul_f32_e32 v87, v85, v87
	s_waitcnt vmcnt(0)
	v_fma_f32 v85, v85, v88, -v89
	v_fmac_f32_e32 v87, v86, v88
	v_add_f32_e32 v84, v84, v85
	v_add_f32_e32 v78, v78, v87
	s_andn2_b32 exec_lo, exec_lo, s5
	s_cbranch_execnz .LBB37_109
; %bb.110:
	s_or_b32 exec_lo, exec_lo, s5
	v_mov_b32_e32 v81, 0
	ds_read_b64 v[81:82], v81 offset:192
	s_waitcnt lgkmcnt(0)
	v_mul_f32_e32 v83, v78, v82
	v_mul_f32_e32 v82, v84, v82
	v_fma_f32 v83, v84, v81, -v83
	v_fmac_f32_e32 v82, v78, v81
	buffer_store_dword v83, off, s[0:3], 0 offset:192
	buffer_store_dword v82, off, s[0:3], 0 offset:196
.LBB37_111:
	s_or_b32 exec_lo, exec_lo, s4
	s_waitcnt_vscnt null, 0x0
	s_barrier
	buffer_gl0_inv
	s_clause 0x1
	buffer_load_dword v81, off, s[0:3], 0 offset:200
	buffer_load_dword v82, off, s[0:3], 0 offset:204
	s_mov_b32 s4, exec_lo
	s_waitcnt vmcnt(0)
	ds_write_b64 v80, v[81:82]
	s_waitcnt lgkmcnt(0)
	s_barrier
	buffer_gl0_inv
	v_cmpx_gt_u32_e32 25, v0
	s_cbranch_execz .LBB37_115
; %bb.112:
	v_add_nc_u32_e32 v81, -1, v0
	v_add_nc_u32_e32 v82, 0x130, v79
	v_mov_b32_e32 v83, v79
	v_mov_b32_e32 v78, 0
	;; [unrolled: 1-line block ×3, first 2 shown]
	s_mov_b32 s5, 0
	.p2align	6
.LBB37_113:                             ; =>This Inner Loop Header: Depth=1
	s_clause 0x1
	buffer_load_dword v87, v83, s[0:3], 0 offen offset:4
	buffer_load_dword v88, v83, s[0:3], 0 offen
	ds_read_b64 v[85:86], v82
	v_add_nc_u32_e32 v81, 1, v81
	v_add_nc_u32_e32 v82, 8, v82
	;; [unrolled: 1-line block ×3, first 2 shown]
	v_cmp_lt_u32_e32 vcc_lo, 23, v81
	s_or_b32 s5, vcc_lo, s5
	s_waitcnt vmcnt(1) lgkmcnt(0)
	v_mul_f32_e32 v89, v86, v87
	v_mul_f32_e32 v87, v85, v87
	s_waitcnt vmcnt(0)
	v_fma_f32 v85, v85, v88, -v89
	v_fmac_f32_e32 v87, v86, v88
	v_add_f32_e32 v84, v84, v85
	v_add_f32_e32 v78, v78, v87
	s_andn2_b32 exec_lo, exec_lo, s5
	s_cbranch_execnz .LBB37_113
; %bb.114:
	s_or_b32 exec_lo, exec_lo, s5
	v_mov_b32_e32 v81, 0
	ds_read_b64 v[81:82], v81 offset:200
	s_waitcnt lgkmcnt(0)
	v_mul_f32_e32 v83, v78, v82
	v_mul_f32_e32 v82, v84, v82
	v_fma_f32 v83, v84, v81, -v83
	v_fmac_f32_e32 v82, v78, v81
	buffer_store_dword v83, off, s[0:3], 0 offset:200
	buffer_store_dword v82, off, s[0:3], 0 offset:204
.LBB37_115:
	s_or_b32 exec_lo, exec_lo, s4
	s_waitcnt_vscnt null, 0x0
	s_barrier
	buffer_gl0_inv
	s_clause 0x1
	buffer_load_dword v81, off, s[0:3], 0 offset:208
	buffer_load_dword v82, off, s[0:3], 0 offset:212
	s_mov_b32 s4, exec_lo
	s_waitcnt vmcnt(0)
	ds_write_b64 v80, v[81:82]
	s_waitcnt lgkmcnt(0)
	s_barrier
	buffer_gl0_inv
	v_cmpx_gt_u32_e32 26, v0
	s_cbranch_execz .LBB37_119
; %bb.116:
	v_add_nc_u32_e32 v81, -1, v0
	v_add_nc_u32_e32 v82, 0x130, v79
	v_mov_b32_e32 v83, v79
	v_mov_b32_e32 v78, 0
	;; [unrolled: 1-line block ×3, first 2 shown]
	s_mov_b32 s5, 0
	.p2align	6
.LBB37_117:                             ; =>This Inner Loop Header: Depth=1
	s_clause 0x1
	buffer_load_dword v87, v83, s[0:3], 0 offen offset:4
	buffer_load_dword v88, v83, s[0:3], 0 offen
	ds_read_b64 v[85:86], v82
	v_add_nc_u32_e32 v81, 1, v81
	v_add_nc_u32_e32 v82, 8, v82
	;; [unrolled: 1-line block ×3, first 2 shown]
	v_cmp_lt_u32_e32 vcc_lo, 24, v81
	s_or_b32 s5, vcc_lo, s5
	s_waitcnt vmcnt(1) lgkmcnt(0)
	v_mul_f32_e32 v89, v86, v87
	v_mul_f32_e32 v87, v85, v87
	s_waitcnt vmcnt(0)
	v_fma_f32 v85, v85, v88, -v89
	v_fmac_f32_e32 v87, v86, v88
	v_add_f32_e32 v84, v84, v85
	v_add_f32_e32 v78, v78, v87
	s_andn2_b32 exec_lo, exec_lo, s5
	s_cbranch_execnz .LBB37_117
; %bb.118:
	s_or_b32 exec_lo, exec_lo, s5
	v_mov_b32_e32 v81, 0
	ds_read_b64 v[81:82], v81 offset:208
	s_waitcnt lgkmcnt(0)
	v_mul_f32_e32 v83, v78, v82
	v_mul_f32_e32 v82, v84, v82
	v_fma_f32 v83, v84, v81, -v83
	v_fmac_f32_e32 v82, v78, v81
	buffer_store_dword v83, off, s[0:3], 0 offset:208
	buffer_store_dword v82, off, s[0:3], 0 offset:212
.LBB37_119:
	s_or_b32 exec_lo, exec_lo, s4
	s_waitcnt_vscnt null, 0x0
	s_barrier
	buffer_gl0_inv
	s_clause 0x1
	buffer_load_dword v81, off, s[0:3], 0 offset:216
	buffer_load_dword v82, off, s[0:3], 0 offset:220
	s_mov_b32 s4, exec_lo
	s_waitcnt vmcnt(0)
	ds_write_b64 v80, v[81:82]
	s_waitcnt lgkmcnt(0)
	s_barrier
	buffer_gl0_inv
	v_cmpx_gt_u32_e32 27, v0
	s_cbranch_execz .LBB37_123
; %bb.120:
	v_add_nc_u32_e32 v81, -1, v0
	v_add_nc_u32_e32 v82, 0x130, v79
	v_mov_b32_e32 v83, v79
	v_mov_b32_e32 v78, 0
	;; [unrolled: 1-line block ×3, first 2 shown]
	s_mov_b32 s5, 0
	.p2align	6
.LBB37_121:                             ; =>This Inner Loop Header: Depth=1
	s_clause 0x1
	buffer_load_dword v87, v83, s[0:3], 0 offen offset:4
	buffer_load_dword v88, v83, s[0:3], 0 offen
	ds_read_b64 v[85:86], v82
	v_add_nc_u32_e32 v81, 1, v81
	v_add_nc_u32_e32 v82, 8, v82
	;; [unrolled: 1-line block ×3, first 2 shown]
	v_cmp_lt_u32_e32 vcc_lo, 25, v81
	s_or_b32 s5, vcc_lo, s5
	s_waitcnt vmcnt(1) lgkmcnt(0)
	v_mul_f32_e32 v89, v86, v87
	v_mul_f32_e32 v87, v85, v87
	s_waitcnt vmcnt(0)
	v_fma_f32 v85, v85, v88, -v89
	v_fmac_f32_e32 v87, v86, v88
	v_add_f32_e32 v84, v84, v85
	v_add_f32_e32 v78, v78, v87
	s_andn2_b32 exec_lo, exec_lo, s5
	s_cbranch_execnz .LBB37_121
; %bb.122:
	s_or_b32 exec_lo, exec_lo, s5
	v_mov_b32_e32 v81, 0
	ds_read_b64 v[81:82], v81 offset:216
	s_waitcnt lgkmcnt(0)
	v_mul_f32_e32 v83, v78, v82
	v_mul_f32_e32 v82, v84, v82
	v_fma_f32 v83, v84, v81, -v83
	v_fmac_f32_e32 v82, v78, v81
	buffer_store_dword v83, off, s[0:3], 0 offset:216
	buffer_store_dword v82, off, s[0:3], 0 offset:220
.LBB37_123:
	s_or_b32 exec_lo, exec_lo, s4
	s_waitcnt_vscnt null, 0x0
	s_barrier
	buffer_gl0_inv
	s_clause 0x1
	buffer_load_dword v81, off, s[0:3], 0 offset:224
	buffer_load_dword v82, off, s[0:3], 0 offset:228
	s_mov_b32 s4, exec_lo
	s_waitcnt vmcnt(0)
	ds_write_b64 v80, v[81:82]
	s_waitcnt lgkmcnt(0)
	s_barrier
	buffer_gl0_inv
	v_cmpx_gt_u32_e32 28, v0
	s_cbranch_execz .LBB37_127
; %bb.124:
	v_add_nc_u32_e32 v81, -1, v0
	v_add_nc_u32_e32 v82, 0x130, v79
	v_mov_b32_e32 v83, v79
	v_mov_b32_e32 v78, 0
	;; [unrolled: 1-line block ×3, first 2 shown]
	s_mov_b32 s5, 0
	.p2align	6
.LBB37_125:                             ; =>This Inner Loop Header: Depth=1
	s_clause 0x1
	buffer_load_dword v87, v83, s[0:3], 0 offen offset:4
	buffer_load_dword v88, v83, s[0:3], 0 offen
	ds_read_b64 v[85:86], v82
	v_add_nc_u32_e32 v81, 1, v81
	v_add_nc_u32_e32 v82, 8, v82
	;; [unrolled: 1-line block ×3, first 2 shown]
	v_cmp_lt_u32_e32 vcc_lo, 26, v81
	s_or_b32 s5, vcc_lo, s5
	s_waitcnt vmcnt(1) lgkmcnt(0)
	v_mul_f32_e32 v89, v86, v87
	v_mul_f32_e32 v87, v85, v87
	s_waitcnt vmcnt(0)
	v_fma_f32 v85, v85, v88, -v89
	v_fmac_f32_e32 v87, v86, v88
	v_add_f32_e32 v84, v84, v85
	v_add_f32_e32 v78, v78, v87
	s_andn2_b32 exec_lo, exec_lo, s5
	s_cbranch_execnz .LBB37_125
; %bb.126:
	s_or_b32 exec_lo, exec_lo, s5
	v_mov_b32_e32 v81, 0
	ds_read_b64 v[81:82], v81 offset:224
	s_waitcnt lgkmcnt(0)
	v_mul_f32_e32 v83, v78, v82
	v_mul_f32_e32 v82, v84, v82
	v_fma_f32 v83, v84, v81, -v83
	v_fmac_f32_e32 v82, v78, v81
	buffer_store_dword v83, off, s[0:3], 0 offset:224
	buffer_store_dword v82, off, s[0:3], 0 offset:228
.LBB37_127:
	s_or_b32 exec_lo, exec_lo, s4
	s_waitcnt_vscnt null, 0x0
	s_barrier
	buffer_gl0_inv
	s_clause 0x1
	buffer_load_dword v81, off, s[0:3], 0 offset:232
	buffer_load_dword v82, off, s[0:3], 0 offset:236
	s_mov_b32 s4, exec_lo
	s_waitcnt vmcnt(0)
	ds_write_b64 v80, v[81:82]
	s_waitcnt lgkmcnt(0)
	s_barrier
	buffer_gl0_inv
	v_cmpx_gt_u32_e32 29, v0
	s_cbranch_execz .LBB37_131
; %bb.128:
	v_add_nc_u32_e32 v81, -1, v0
	v_add_nc_u32_e32 v82, 0x130, v79
	v_mov_b32_e32 v83, v79
	v_mov_b32_e32 v78, 0
	;; [unrolled: 1-line block ×3, first 2 shown]
	s_mov_b32 s5, 0
	.p2align	6
.LBB37_129:                             ; =>This Inner Loop Header: Depth=1
	s_clause 0x1
	buffer_load_dword v87, v83, s[0:3], 0 offen offset:4
	buffer_load_dword v88, v83, s[0:3], 0 offen
	ds_read_b64 v[85:86], v82
	v_add_nc_u32_e32 v81, 1, v81
	v_add_nc_u32_e32 v82, 8, v82
	;; [unrolled: 1-line block ×3, first 2 shown]
	v_cmp_lt_u32_e32 vcc_lo, 27, v81
	s_or_b32 s5, vcc_lo, s5
	s_waitcnt vmcnt(1) lgkmcnt(0)
	v_mul_f32_e32 v89, v86, v87
	v_mul_f32_e32 v87, v85, v87
	s_waitcnt vmcnt(0)
	v_fma_f32 v85, v85, v88, -v89
	v_fmac_f32_e32 v87, v86, v88
	v_add_f32_e32 v84, v84, v85
	v_add_f32_e32 v78, v78, v87
	s_andn2_b32 exec_lo, exec_lo, s5
	s_cbranch_execnz .LBB37_129
; %bb.130:
	s_or_b32 exec_lo, exec_lo, s5
	v_mov_b32_e32 v81, 0
	ds_read_b64 v[81:82], v81 offset:232
	s_waitcnt lgkmcnt(0)
	v_mul_f32_e32 v83, v78, v82
	v_mul_f32_e32 v82, v84, v82
	v_fma_f32 v83, v84, v81, -v83
	v_fmac_f32_e32 v82, v78, v81
	buffer_store_dword v83, off, s[0:3], 0 offset:232
	buffer_store_dword v82, off, s[0:3], 0 offset:236
.LBB37_131:
	s_or_b32 exec_lo, exec_lo, s4
	s_waitcnt_vscnt null, 0x0
	s_barrier
	buffer_gl0_inv
	s_clause 0x1
	buffer_load_dword v81, off, s[0:3], 0 offset:240
	buffer_load_dword v82, off, s[0:3], 0 offset:244
	s_mov_b32 s4, exec_lo
	s_waitcnt vmcnt(0)
	ds_write_b64 v80, v[81:82]
	s_waitcnt lgkmcnt(0)
	s_barrier
	buffer_gl0_inv
	v_cmpx_gt_u32_e32 30, v0
	s_cbranch_execz .LBB37_135
; %bb.132:
	v_add_nc_u32_e32 v81, -1, v0
	v_add_nc_u32_e32 v82, 0x130, v79
	v_mov_b32_e32 v83, v79
	v_mov_b32_e32 v78, 0
	;; [unrolled: 1-line block ×3, first 2 shown]
	s_mov_b32 s5, 0
	.p2align	6
.LBB37_133:                             ; =>This Inner Loop Header: Depth=1
	s_clause 0x1
	buffer_load_dword v87, v83, s[0:3], 0 offen offset:4
	buffer_load_dword v88, v83, s[0:3], 0 offen
	ds_read_b64 v[85:86], v82
	v_add_nc_u32_e32 v81, 1, v81
	v_add_nc_u32_e32 v82, 8, v82
	v_add_nc_u32_e32 v83, 8, v83
	v_cmp_lt_u32_e32 vcc_lo, 28, v81
	s_or_b32 s5, vcc_lo, s5
	s_waitcnt vmcnt(1) lgkmcnt(0)
	v_mul_f32_e32 v89, v86, v87
	v_mul_f32_e32 v87, v85, v87
	s_waitcnt vmcnt(0)
	v_fma_f32 v85, v85, v88, -v89
	v_fmac_f32_e32 v87, v86, v88
	v_add_f32_e32 v84, v84, v85
	v_add_f32_e32 v78, v78, v87
	s_andn2_b32 exec_lo, exec_lo, s5
	s_cbranch_execnz .LBB37_133
; %bb.134:
	s_or_b32 exec_lo, exec_lo, s5
	v_mov_b32_e32 v81, 0
	ds_read_b64 v[81:82], v81 offset:240
	s_waitcnt lgkmcnt(0)
	v_mul_f32_e32 v83, v78, v82
	v_mul_f32_e32 v82, v84, v82
	v_fma_f32 v83, v84, v81, -v83
	v_fmac_f32_e32 v82, v78, v81
	buffer_store_dword v83, off, s[0:3], 0 offset:240
	buffer_store_dword v82, off, s[0:3], 0 offset:244
.LBB37_135:
	s_or_b32 exec_lo, exec_lo, s4
	s_waitcnt_vscnt null, 0x0
	s_barrier
	buffer_gl0_inv
	s_clause 0x1
	buffer_load_dword v81, off, s[0:3], 0 offset:248
	buffer_load_dword v82, off, s[0:3], 0 offset:252
	s_mov_b32 s4, exec_lo
	s_waitcnt vmcnt(0)
	ds_write_b64 v80, v[81:82]
	s_waitcnt lgkmcnt(0)
	s_barrier
	buffer_gl0_inv
	v_cmpx_gt_u32_e32 31, v0
	s_cbranch_execz .LBB37_139
; %bb.136:
	v_add_nc_u32_e32 v81, -1, v0
	v_add_nc_u32_e32 v82, 0x130, v79
	v_mov_b32_e32 v83, v79
	v_mov_b32_e32 v78, 0
	v_mov_b32_e32 v84, 0
	s_mov_b32 s5, 0
	.p2align	6
.LBB37_137:                             ; =>This Inner Loop Header: Depth=1
	s_clause 0x1
	buffer_load_dword v87, v83, s[0:3], 0 offen offset:4
	buffer_load_dword v88, v83, s[0:3], 0 offen
	ds_read_b64 v[85:86], v82
	v_add_nc_u32_e32 v81, 1, v81
	v_add_nc_u32_e32 v82, 8, v82
	;; [unrolled: 1-line block ×3, first 2 shown]
	v_cmp_lt_u32_e32 vcc_lo, 29, v81
	s_or_b32 s5, vcc_lo, s5
	s_waitcnt vmcnt(1) lgkmcnt(0)
	v_mul_f32_e32 v89, v86, v87
	v_mul_f32_e32 v87, v85, v87
	s_waitcnt vmcnt(0)
	v_fma_f32 v85, v85, v88, -v89
	v_fmac_f32_e32 v87, v86, v88
	v_add_f32_e32 v84, v84, v85
	v_add_f32_e32 v78, v78, v87
	s_andn2_b32 exec_lo, exec_lo, s5
	s_cbranch_execnz .LBB37_137
; %bb.138:
	s_or_b32 exec_lo, exec_lo, s5
	v_mov_b32_e32 v81, 0
	ds_read_b64 v[81:82], v81 offset:248
	s_waitcnt lgkmcnt(0)
	v_mul_f32_e32 v83, v78, v82
	v_mul_f32_e32 v82, v84, v82
	v_fma_f32 v83, v84, v81, -v83
	v_fmac_f32_e32 v82, v78, v81
	buffer_store_dword v83, off, s[0:3], 0 offset:248
	buffer_store_dword v82, off, s[0:3], 0 offset:252
.LBB37_139:
	s_or_b32 exec_lo, exec_lo, s4
	s_waitcnt_vscnt null, 0x0
	s_barrier
	buffer_gl0_inv
	s_clause 0x1
	buffer_load_dword v81, off, s[0:3], 0 offset:256
	buffer_load_dword v82, off, s[0:3], 0 offset:260
	s_mov_b32 s4, exec_lo
	s_waitcnt vmcnt(0)
	ds_write_b64 v80, v[81:82]
	s_waitcnt lgkmcnt(0)
	s_barrier
	buffer_gl0_inv
	v_cmpx_gt_u32_e32 32, v0
	s_cbranch_execz .LBB37_143
; %bb.140:
	v_add_nc_u32_e32 v81, -1, v0
	v_add_nc_u32_e32 v82, 0x130, v79
	v_mov_b32_e32 v83, v79
	v_mov_b32_e32 v78, 0
	;; [unrolled: 1-line block ×3, first 2 shown]
	s_mov_b32 s5, 0
	.p2align	6
.LBB37_141:                             ; =>This Inner Loop Header: Depth=1
	s_clause 0x1
	buffer_load_dword v87, v83, s[0:3], 0 offen offset:4
	buffer_load_dword v88, v83, s[0:3], 0 offen
	ds_read_b64 v[85:86], v82
	v_add_nc_u32_e32 v81, 1, v81
	v_add_nc_u32_e32 v82, 8, v82
	;; [unrolled: 1-line block ×3, first 2 shown]
	v_cmp_lt_u32_e32 vcc_lo, 30, v81
	s_or_b32 s5, vcc_lo, s5
	s_waitcnt vmcnt(1) lgkmcnt(0)
	v_mul_f32_e32 v89, v86, v87
	v_mul_f32_e32 v87, v85, v87
	s_waitcnt vmcnt(0)
	v_fma_f32 v85, v85, v88, -v89
	v_fmac_f32_e32 v87, v86, v88
	v_add_f32_e32 v84, v84, v85
	v_add_f32_e32 v78, v78, v87
	s_andn2_b32 exec_lo, exec_lo, s5
	s_cbranch_execnz .LBB37_141
; %bb.142:
	s_or_b32 exec_lo, exec_lo, s5
	v_mov_b32_e32 v81, 0
	ds_read_b64 v[81:82], v81 offset:256
	s_waitcnt lgkmcnt(0)
	v_mul_f32_e32 v83, v78, v82
	v_mul_f32_e32 v82, v84, v82
	v_fma_f32 v83, v84, v81, -v83
	v_fmac_f32_e32 v82, v78, v81
	buffer_store_dword v83, off, s[0:3], 0 offset:256
	buffer_store_dword v82, off, s[0:3], 0 offset:260
.LBB37_143:
	s_or_b32 exec_lo, exec_lo, s4
	s_waitcnt_vscnt null, 0x0
	s_barrier
	buffer_gl0_inv
	s_clause 0x1
	buffer_load_dword v81, off, s[0:3], 0 offset:264
	buffer_load_dword v82, off, s[0:3], 0 offset:268
	s_mov_b32 s4, exec_lo
	s_waitcnt vmcnt(0)
	ds_write_b64 v80, v[81:82]
	s_waitcnt lgkmcnt(0)
	s_barrier
	buffer_gl0_inv
	v_cmpx_gt_u32_e32 33, v0
	s_cbranch_execz .LBB37_147
; %bb.144:
	v_add_nc_u32_e32 v81, -1, v0
	v_add_nc_u32_e32 v82, 0x130, v79
	v_mov_b32_e32 v83, v79
	v_mov_b32_e32 v78, 0
	;; [unrolled: 1-line block ×3, first 2 shown]
	s_mov_b32 s5, 0
	.p2align	6
.LBB37_145:                             ; =>This Inner Loop Header: Depth=1
	s_clause 0x1
	buffer_load_dword v87, v83, s[0:3], 0 offen offset:4
	buffer_load_dword v88, v83, s[0:3], 0 offen
	ds_read_b64 v[85:86], v82
	v_add_nc_u32_e32 v81, 1, v81
	v_add_nc_u32_e32 v82, 8, v82
	;; [unrolled: 1-line block ×3, first 2 shown]
	v_cmp_lt_u32_e32 vcc_lo, 31, v81
	s_or_b32 s5, vcc_lo, s5
	s_waitcnt vmcnt(1) lgkmcnt(0)
	v_mul_f32_e32 v89, v86, v87
	v_mul_f32_e32 v87, v85, v87
	s_waitcnt vmcnt(0)
	v_fma_f32 v85, v85, v88, -v89
	v_fmac_f32_e32 v87, v86, v88
	v_add_f32_e32 v84, v84, v85
	v_add_f32_e32 v78, v78, v87
	s_andn2_b32 exec_lo, exec_lo, s5
	s_cbranch_execnz .LBB37_145
; %bb.146:
	s_or_b32 exec_lo, exec_lo, s5
	v_mov_b32_e32 v81, 0
	ds_read_b64 v[81:82], v81 offset:264
	s_waitcnt lgkmcnt(0)
	v_mul_f32_e32 v83, v78, v82
	v_mul_f32_e32 v82, v84, v82
	v_fma_f32 v83, v84, v81, -v83
	v_fmac_f32_e32 v82, v78, v81
	buffer_store_dword v83, off, s[0:3], 0 offset:264
	buffer_store_dword v82, off, s[0:3], 0 offset:268
.LBB37_147:
	s_or_b32 exec_lo, exec_lo, s4
	s_waitcnt_vscnt null, 0x0
	s_barrier
	buffer_gl0_inv
	s_clause 0x1
	buffer_load_dword v81, off, s[0:3], 0 offset:272
	buffer_load_dword v82, off, s[0:3], 0 offset:276
	s_mov_b32 s4, exec_lo
	s_waitcnt vmcnt(0)
	ds_write_b64 v80, v[81:82]
	s_waitcnt lgkmcnt(0)
	s_barrier
	buffer_gl0_inv
	v_cmpx_gt_u32_e32 34, v0
	s_cbranch_execz .LBB37_151
; %bb.148:
	v_add_nc_u32_e32 v81, -1, v0
	v_add_nc_u32_e32 v82, 0x130, v79
	v_mov_b32_e32 v83, v79
	v_mov_b32_e32 v78, 0
	;; [unrolled: 1-line block ×3, first 2 shown]
	s_mov_b32 s5, 0
	.p2align	6
.LBB37_149:                             ; =>This Inner Loop Header: Depth=1
	s_clause 0x1
	buffer_load_dword v87, v83, s[0:3], 0 offen offset:4
	buffer_load_dword v88, v83, s[0:3], 0 offen
	ds_read_b64 v[85:86], v82
	v_add_nc_u32_e32 v81, 1, v81
	v_add_nc_u32_e32 v82, 8, v82
	;; [unrolled: 1-line block ×3, first 2 shown]
	v_cmp_lt_u32_e32 vcc_lo, 32, v81
	s_or_b32 s5, vcc_lo, s5
	s_waitcnt vmcnt(1) lgkmcnt(0)
	v_mul_f32_e32 v89, v86, v87
	v_mul_f32_e32 v87, v85, v87
	s_waitcnt vmcnt(0)
	v_fma_f32 v85, v85, v88, -v89
	v_fmac_f32_e32 v87, v86, v88
	v_add_f32_e32 v84, v84, v85
	v_add_f32_e32 v78, v78, v87
	s_andn2_b32 exec_lo, exec_lo, s5
	s_cbranch_execnz .LBB37_149
; %bb.150:
	s_or_b32 exec_lo, exec_lo, s5
	v_mov_b32_e32 v81, 0
	ds_read_b64 v[81:82], v81 offset:272
	s_waitcnt lgkmcnt(0)
	v_mul_f32_e32 v83, v78, v82
	v_mul_f32_e32 v82, v84, v82
	v_fma_f32 v83, v84, v81, -v83
	v_fmac_f32_e32 v82, v78, v81
	buffer_store_dword v83, off, s[0:3], 0 offset:272
	buffer_store_dword v82, off, s[0:3], 0 offset:276
.LBB37_151:
	s_or_b32 exec_lo, exec_lo, s4
	s_waitcnt_vscnt null, 0x0
	s_barrier
	buffer_gl0_inv
	s_clause 0x1
	buffer_load_dword v81, off, s[0:3], 0 offset:280
	buffer_load_dword v82, off, s[0:3], 0 offset:284
	s_mov_b32 s4, exec_lo
	s_waitcnt vmcnt(0)
	ds_write_b64 v80, v[81:82]
	s_waitcnt lgkmcnt(0)
	s_barrier
	buffer_gl0_inv
	v_cmpx_gt_u32_e32 35, v0
	s_cbranch_execz .LBB37_155
; %bb.152:
	v_add_nc_u32_e32 v81, -1, v0
	v_add_nc_u32_e32 v82, 0x130, v79
	v_mov_b32_e32 v83, v79
	v_mov_b32_e32 v78, 0
	;; [unrolled: 1-line block ×3, first 2 shown]
	s_mov_b32 s5, 0
	.p2align	6
.LBB37_153:                             ; =>This Inner Loop Header: Depth=1
	s_clause 0x1
	buffer_load_dword v87, v83, s[0:3], 0 offen offset:4
	buffer_load_dword v88, v83, s[0:3], 0 offen
	ds_read_b64 v[85:86], v82
	v_add_nc_u32_e32 v81, 1, v81
	v_add_nc_u32_e32 v82, 8, v82
	;; [unrolled: 1-line block ×3, first 2 shown]
	v_cmp_lt_u32_e32 vcc_lo, 33, v81
	s_or_b32 s5, vcc_lo, s5
	s_waitcnt vmcnt(1) lgkmcnt(0)
	v_mul_f32_e32 v89, v86, v87
	v_mul_f32_e32 v87, v85, v87
	s_waitcnt vmcnt(0)
	v_fma_f32 v85, v85, v88, -v89
	v_fmac_f32_e32 v87, v86, v88
	v_add_f32_e32 v84, v84, v85
	v_add_f32_e32 v78, v78, v87
	s_andn2_b32 exec_lo, exec_lo, s5
	s_cbranch_execnz .LBB37_153
; %bb.154:
	s_or_b32 exec_lo, exec_lo, s5
	v_mov_b32_e32 v81, 0
	ds_read_b64 v[81:82], v81 offset:280
	s_waitcnt lgkmcnt(0)
	v_mul_f32_e32 v83, v78, v82
	v_mul_f32_e32 v82, v84, v82
	v_fma_f32 v83, v84, v81, -v83
	v_fmac_f32_e32 v82, v78, v81
	buffer_store_dword v83, off, s[0:3], 0 offset:280
	buffer_store_dword v82, off, s[0:3], 0 offset:284
.LBB37_155:
	s_or_b32 exec_lo, exec_lo, s4
	s_waitcnt_vscnt null, 0x0
	s_barrier
	buffer_gl0_inv
	s_clause 0x1
	buffer_load_dword v81, off, s[0:3], 0 offset:288
	buffer_load_dword v82, off, s[0:3], 0 offset:292
	s_mov_b32 s4, exec_lo
	s_waitcnt vmcnt(0)
	ds_write_b64 v80, v[81:82]
	s_waitcnt lgkmcnt(0)
	s_barrier
	buffer_gl0_inv
	v_cmpx_gt_u32_e32 36, v0
	s_cbranch_execz .LBB37_159
; %bb.156:
	v_add_nc_u32_e32 v81, -1, v0
	v_add_nc_u32_e32 v82, 0x130, v79
	v_mov_b32_e32 v83, v79
	v_mov_b32_e32 v78, 0
	;; [unrolled: 1-line block ×3, first 2 shown]
	s_mov_b32 s5, 0
	.p2align	6
.LBB37_157:                             ; =>This Inner Loop Header: Depth=1
	s_clause 0x1
	buffer_load_dword v87, v83, s[0:3], 0 offen offset:4
	buffer_load_dword v88, v83, s[0:3], 0 offen
	ds_read_b64 v[85:86], v82
	v_add_nc_u32_e32 v81, 1, v81
	v_add_nc_u32_e32 v82, 8, v82
	;; [unrolled: 1-line block ×3, first 2 shown]
	v_cmp_lt_u32_e32 vcc_lo, 34, v81
	s_or_b32 s5, vcc_lo, s5
	s_waitcnt vmcnt(1) lgkmcnt(0)
	v_mul_f32_e32 v89, v86, v87
	v_mul_f32_e32 v87, v85, v87
	s_waitcnt vmcnt(0)
	v_fma_f32 v85, v85, v88, -v89
	v_fmac_f32_e32 v87, v86, v88
	v_add_f32_e32 v84, v84, v85
	v_add_f32_e32 v78, v78, v87
	s_andn2_b32 exec_lo, exec_lo, s5
	s_cbranch_execnz .LBB37_157
; %bb.158:
	s_or_b32 exec_lo, exec_lo, s5
	v_mov_b32_e32 v81, 0
	ds_read_b64 v[81:82], v81 offset:288
	s_waitcnt lgkmcnt(0)
	v_mul_f32_e32 v83, v78, v82
	v_mul_f32_e32 v82, v84, v82
	v_fma_f32 v83, v84, v81, -v83
	v_fmac_f32_e32 v82, v78, v81
	buffer_store_dword v83, off, s[0:3], 0 offset:288
	buffer_store_dword v82, off, s[0:3], 0 offset:292
.LBB37_159:
	s_or_b32 exec_lo, exec_lo, s4
	s_waitcnt_vscnt null, 0x0
	s_barrier
	buffer_gl0_inv
	s_clause 0x1
	buffer_load_dword v81, off, s[0:3], 0 offset:296
	buffer_load_dword v82, off, s[0:3], 0 offset:300
	s_mov_b32 s4, exec_lo
	s_waitcnt vmcnt(0)
	ds_write_b64 v80, v[81:82]
	s_waitcnt lgkmcnt(0)
	s_barrier
	buffer_gl0_inv
	v_cmpx_ne_u32_e32 37, v0
	s_cbranch_execz .LBB37_163
; %bb.160:
	v_mov_b32_e32 v78, 0
	v_mov_b32_e32 v81, 0
	s_mov_b32 s5, 0
	.p2align	6
.LBB37_161:                             ; =>This Inner Loop Header: Depth=1
	s_clause 0x1
	buffer_load_dword v84, v79, s[0:3], 0 offen offset:4
	buffer_load_dword v85, v79, s[0:3], 0 offen
	ds_read_b64 v[82:83], v80
	v_add_nc_u32_e32 v77, 1, v77
	v_add_nc_u32_e32 v80, 8, v80
	;; [unrolled: 1-line block ×3, first 2 shown]
	v_cmp_lt_u32_e32 vcc_lo, 35, v77
	s_or_b32 s5, vcc_lo, s5
	s_waitcnt vmcnt(1) lgkmcnt(0)
	v_mul_f32_e32 v86, v83, v84
	v_mul_f32_e32 v84, v82, v84
	s_waitcnt vmcnt(0)
	v_fma_f32 v82, v82, v85, -v86
	v_fmac_f32_e32 v84, v83, v85
	v_add_f32_e32 v81, v81, v82
	v_add_f32_e32 v78, v78, v84
	s_andn2_b32 exec_lo, exec_lo, s5
	s_cbranch_execnz .LBB37_161
; %bb.162:
	s_or_b32 exec_lo, exec_lo, s5
	v_mov_b32_e32 v77, 0
	ds_read_b64 v[79:80], v77 offset:296
	s_waitcnt lgkmcnt(0)
	v_mul_f32_e32 v77, v78, v80
	v_mul_f32_e32 v80, v81, v80
	v_fma_f32 v77, v81, v79, -v77
	v_fmac_f32_e32 v80, v78, v79
	buffer_store_dword v77, off, s[0:3], 0 offset:296
	buffer_store_dword v80, off, s[0:3], 0 offset:300
.LBB37_163:
	s_or_b32 exec_lo, exec_lo, s4
	s_mov_b32 s5, -1
	s_waitcnt_vscnt null, 0x0
	s_barrier
	buffer_gl0_inv
.LBB37_164:
	s_and_b32 vcc_lo, exec_lo, s5
	s_cbranch_vccz .LBB37_166
; %bb.165:
	s_lshl_b64 s[4:5], s[6:7], 2
	v_mov_b32_e32 v77, 0
	s_add_u32 s4, s10, s4
	s_addc_u32 s5, s11, s5
	global_load_dword v77, v77, s[4:5]
	s_waitcnt vmcnt(0)
	v_cmp_ne_u32_e32 vcc_lo, 0, v77
	s_cbranch_vccz .LBB37_167
.LBB37_166:
	s_endpgm
.LBB37_167:
	v_lshl_add_u32 v77, v0, 3, 0x130
	s_mov_b32 s4, exec_lo
	v_cmpx_eq_u32_e32 37, v0
	s_cbranch_execz .LBB37_169
; %bb.168:
	s_clause 0x1
	buffer_load_dword v78, off, s[0:3], 0 offset:288
	buffer_load_dword v79, off, s[0:3], 0 offset:292
	v_mov_b32_e32 v80, 0
	buffer_store_dword v80, off, s[0:3], 0 offset:288
	buffer_store_dword v80, off, s[0:3], 0 offset:292
	s_waitcnt vmcnt(0)
	ds_write_b64 v77, v[78:79]
.LBB37_169:
	s_or_b32 exec_lo, exec_lo, s4
	s_waitcnt lgkmcnt(0)
	s_waitcnt_vscnt null, 0x0
	s_barrier
	buffer_gl0_inv
	s_clause 0x3
	buffer_load_dword v81, off, s[0:3], 0 offset:300
	buffer_load_dword v82, off, s[0:3], 0 offset:296
	;; [unrolled: 1-line block ×4, first 2 shown]
	v_mov_b32_e32 v78, 0
	s_mov_b32 s4, exec_lo
	ds_read_b64 v[79:80], v78 offset:600
	s_waitcnt vmcnt(3) lgkmcnt(0)
	v_mul_f32_e32 v85, v80, v81
	v_mul_f32_e32 v81, v79, v81
	s_waitcnt vmcnt(2)
	v_fma_f32 v79, v79, v82, -v85
	v_fmac_f32_e32 v81, v80, v82
	v_add_f32_e32 v79, 0, v79
	v_add_f32_e32 v80, 0, v81
	s_waitcnt vmcnt(1)
	v_sub_f32_e32 v79, v83, v79
	s_waitcnt vmcnt(0)
	v_sub_f32_e32 v80, v84, v80
	buffer_store_dword v79, off, s[0:3], 0 offset:288
	buffer_store_dword v80, off, s[0:3], 0 offset:292
	v_cmpx_lt_u32_e32 35, v0
	s_cbranch_execz .LBB37_171
; %bb.170:
	s_clause 0x1
	buffer_load_dword v79, off, s[0:3], 0 offset:280
	buffer_load_dword v80, off, s[0:3], 0 offset:284
	buffer_store_dword v78, off, s[0:3], 0 offset:280
	buffer_store_dword v78, off, s[0:3], 0 offset:284
	s_waitcnt vmcnt(0)
	ds_write_b64 v77, v[79:80]
.LBB37_171:
	s_or_b32 exec_lo, exec_lo, s4
	s_waitcnt lgkmcnt(0)
	s_waitcnt_vscnt null, 0x0
	s_barrier
	buffer_gl0_inv
	s_clause 0x5
	buffer_load_dword v82, off, s[0:3], 0 offset:292
	buffer_load_dword v83, off, s[0:3], 0 offset:300
	;; [unrolled: 1-line block ×6, first 2 shown]
	ds_read_b128 v[78:81], v78 offset:592
	s_mov_b32 s4, exec_lo
	s_waitcnt vmcnt(5) lgkmcnt(0)
	v_mul_f32_e32 v88, v79, v82
	v_mul_f32_e32 v82, v78, v82
	s_waitcnt vmcnt(4)
	v_mul_f32_e32 v89, v80, v83
	v_mul_f32_e32 v83, v81, v83
	s_waitcnt vmcnt(3)
	v_fma_f32 v78, v78, v84, -v88
	v_fmac_f32_e32 v82, v79, v84
	s_waitcnt vmcnt(2)
	v_fmac_f32_e32 v89, v81, v85
	v_fma_f32 v79, v80, v85, -v83
	v_add_f32_e32 v78, 0, v78
	v_add_f32_e32 v80, 0, v82
	;; [unrolled: 1-line block ×4, first 2 shown]
	s_waitcnt vmcnt(1)
	v_sub_f32_e32 v78, v86, v78
	s_waitcnt vmcnt(0)
	v_sub_f32_e32 v79, v87, v79
	buffer_store_dword v78, off, s[0:3], 0 offset:280
	buffer_store_dword v79, off, s[0:3], 0 offset:284
	v_cmpx_lt_u32_e32 34, v0
	s_cbranch_execz .LBB37_173
; %bb.172:
	s_clause 0x1
	buffer_load_dword v78, off, s[0:3], 0 offset:272
	buffer_load_dword v79, off, s[0:3], 0 offset:276
	v_mov_b32_e32 v80, 0
	buffer_store_dword v80, off, s[0:3], 0 offset:272
	buffer_store_dword v80, off, s[0:3], 0 offset:276
	s_waitcnt vmcnt(0)
	ds_write_b64 v77, v[78:79]
.LBB37_173:
	s_or_b32 exec_lo, exec_lo, s4
	s_waitcnt lgkmcnt(0)
	s_waitcnt_vscnt null, 0x0
	s_barrier
	buffer_gl0_inv
	s_clause 0x7
	buffer_load_dword v85, off, s[0:3], 0 offset:284
	buffer_load_dword v86, off, s[0:3], 0 offset:292
	buffer_load_dword v87, off, s[0:3], 0 offset:300
	buffer_load_dword v88, off, s[0:3], 0 offset:280
	buffer_load_dword v89, off, s[0:3], 0 offset:288
	buffer_load_dword v90, off, s[0:3], 0 offset:296
	buffer_load_dword v91, off, s[0:3], 0 offset:272
	buffer_load_dword v92, off, s[0:3], 0 offset:276
	v_mov_b32_e32 v78, 0
	ds_read2_b64 v[79:82], v78 offset0:73 offset1:74
	ds_read_b64 v[83:84], v78 offset:600
	s_mov_b32 s4, exec_lo
	s_waitcnt vmcnt(7) lgkmcnt(1)
	v_mul_f32_e32 v93, v80, v85
	v_mul_f32_e32 v85, v79, v85
	s_waitcnt vmcnt(6)
	v_mul_f32_e32 v94, v81, v86
	v_mul_f32_e32 v86, v82, v86
	s_waitcnt vmcnt(5) lgkmcnt(0)
	v_mul_f32_e32 v95, v83, v87
	s_waitcnt vmcnt(4)
	v_fma_f32 v79, v79, v88, -v93
	v_fmac_f32_e32 v85, v80, v88
	v_mul_f32_e32 v80, v84, v87
	s_waitcnt vmcnt(3)
	v_fma_f32 v81, v81, v89, -v86
	v_fmac_f32_e32 v94, v82, v89
	v_add_f32_e32 v79, 0, v79
	v_add_f32_e32 v82, 0, v85
	s_waitcnt vmcnt(2)
	v_fma_f32 v80, v83, v90, -v80
	v_fmac_f32_e32 v95, v84, v90
	v_add_f32_e32 v79, v79, v81
	v_add_f32_e32 v81, v82, v94
	;; [unrolled: 1-line block ×4, first 2 shown]
	s_waitcnt vmcnt(1)
	v_sub_f32_e32 v79, v91, v79
	s_waitcnt vmcnt(0)
	v_sub_f32_e32 v80, v92, v80
	buffer_store_dword v79, off, s[0:3], 0 offset:272
	buffer_store_dword v80, off, s[0:3], 0 offset:276
	v_cmpx_lt_u32_e32 33, v0
	s_cbranch_execz .LBB37_175
; %bb.174:
	s_clause 0x1
	buffer_load_dword v79, off, s[0:3], 0 offset:264
	buffer_load_dword v80, off, s[0:3], 0 offset:268
	buffer_store_dword v78, off, s[0:3], 0 offset:264
	buffer_store_dword v78, off, s[0:3], 0 offset:268
	s_waitcnt vmcnt(0)
	ds_write_b64 v77, v[79:80]
.LBB37_175:
	s_or_b32 exec_lo, exec_lo, s4
	s_waitcnt lgkmcnt(0)
	s_waitcnt_vscnt null, 0x0
	s_barrier
	buffer_gl0_inv
	s_clause 0x9
	buffer_load_dword v87, off, s[0:3], 0 offset:276
	buffer_load_dword v88, off, s[0:3], 0 offset:284
	;; [unrolled: 1-line block ×10, first 2 shown]
	ds_read_b128 v[79:82], v78 offset:576
	ds_read_b128 v[83:86], v78 offset:592
	s_mov_b32 s4, exec_lo
	s_waitcnt vmcnt(9) lgkmcnt(1)
	v_mul_f32_e32 v78, v79, v87
	v_mul_f32_e32 v87, v80, v87
	s_waitcnt vmcnt(8)
	v_mul_f32_e32 v97, v81, v88
	v_mul_f32_e32 v88, v82, v88
	s_waitcnt vmcnt(7) lgkmcnt(0)
	v_mul_f32_e32 v98, v83, v89
	s_waitcnt vmcnt(5)
	v_fmac_f32_e32 v78, v80, v91
	v_fma_f32 v79, v79, v91, -v87
	v_mul_f32_e32 v80, v84, v89
	s_waitcnt vmcnt(4)
	v_fma_f32 v81, v81, v92, -v88
	v_fmac_f32_e32 v97, v82, v92
	v_add_f32_e32 v78, 0, v78
	v_add_f32_e32 v79, 0, v79
	v_mul_f32_e32 v82, v86, v90
	s_waitcnt vmcnt(3)
	v_fma_f32 v80, v83, v93, -v80
	v_mul_f32_e32 v99, v85, v90
	v_fmac_f32_e32 v98, v84, v93
	v_add_f32_e32 v79, v79, v81
	v_add_f32_e32 v78, v78, v97
	s_waitcnt vmcnt(2)
	v_fma_f32 v81, v85, v94, -v82
	v_fmac_f32_e32 v99, v86, v94
	v_add_f32_e32 v79, v79, v80
	v_add_f32_e32 v78, v78, v98
	;; [unrolled: 1-line block ×4, first 2 shown]
	s_waitcnt vmcnt(1)
	v_sub_f32_e32 v79, v95, v79
	s_waitcnt vmcnt(0)
	v_sub_f32_e32 v78, v96, v78
	buffer_store_dword v79, off, s[0:3], 0 offset:264
	buffer_store_dword v78, off, s[0:3], 0 offset:268
	v_cmpx_lt_u32_e32 32, v0
	s_cbranch_execz .LBB37_177
; %bb.176:
	s_clause 0x1
	buffer_load_dword v78, off, s[0:3], 0 offset:256
	buffer_load_dword v79, off, s[0:3], 0 offset:260
	v_mov_b32_e32 v80, 0
	buffer_store_dword v80, off, s[0:3], 0 offset:256
	buffer_store_dword v80, off, s[0:3], 0 offset:260
	s_waitcnt vmcnt(0)
	ds_write_b64 v77, v[78:79]
.LBB37_177:
	s_or_b32 exec_lo, exec_lo, s4
	s_waitcnt lgkmcnt(0)
	s_waitcnt_vscnt null, 0x0
	s_barrier
	buffer_gl0_inv
	s_clause 0xb
	buffer_load_dword v89, off, s[0:3], 0 offset:268
	buffer_load_dword v90, off, s[0:3], 0 offset:276
	;; [unrolled: 1-line block ×12, first 2 shown]
	v_mov_b32_e32 v78, 0
	ds_read2_b64 v[79:82], v78 offset0:71 offset1:72
	ds_read2_b64 v[83:86], v78 offset0:73 offset1:74
	ds_read_b64 v[87:88], v78 offset:600
	s_mov_b32 s4, exec_lo
	s_waitcnt vmcnt(11) lgkmcnt(2)
	v_mul_f32_e32 v101, v79, v89
	v_mul_f32_e32 v89, v80, v89
	s_waitcnt vmcnt(10)
	v_mul_f32_e32 v102, v81, v90
	v_mul_f32_e32 v90, v82, v90
	s_waitcnt vmcnt(9) lgkmcnt(1)
	v_mul_f32_e32 v103, v83, v91
	s_waitcnt vmcnt(6)
	v_fmac_f32_e32 v101, v80, v94
	v_fma_f32 v79, v79, v94, -v89
	v_mul_f32_e32 v80, v84, v91
	s_waitcnt vmcnt(5)
	v_fma_f32 v81, v81, v95, -v90
	v_fmac_f32_e32 v102, v82, v95
	v_add_f32_e32 v82, 0, v101
	v_add_f32_e32 v79, 0, v79
	v_mul_f32_e32 v89, v86, v92
	s_waitcnt vmcnt(4)
	v_fma_f32 v80, v83, v96, -v80
	v_mul_f32_e32 v104, v85, v92
	v_fmac_f32_e32 v103, v84, v96
	v_add_f32_e32 v79, v79, v81
	v_add_f32_e32 v81, v82, v102
	s_waitcnt lgkmcnt(0)
	v_mul_f32_e32 v82, v88, v93
	s_waitcnt vmcnt(3)
	v_fma_f32 v83, v85, v97, -v89
	v_mul_f32_e32 v105, v87, v93
	v_add_f32_e32 v79, v79, v80
	v_fmac_f32_e32 v104, v86, v97
	v_add_f32_e32 v80, v81, v103
	s_waitcnt vmcnt(2)
	v_fma_f32 v81, v87, v98, -v82
	v_fmac_f32_e32 v105, v88, v98
	v_add_f32_e32 v79, v79, v83
	v_add_f32_e32 v80, v80, v104
	;; [unrolled: 1-line block ×4, first 2 shown]
	s_waitcnt vmcnt(1)
	v_sub_f32_e32 v79, v99, v79
	s_waitcnt vmcnt(0)
	v_sub_f32_e32 v80, v100, v80
	buffer_store_dword v79, off, s[0:3], 0 offset:256
	buffer_store_dword v80, off, s[0:3], 0 offset:260
	v_cmpx_lt_u32_e32 31, v0
	s_cbranch_execz .LBB37_179
; %bb.178:
	s_clause 0x1
	buffer_load_dword v79, off, s[0:3], 0 offset:248
	buffer_load_dword v80, off, s[0:3], 0 offset:252
	buffer_store_dword v78, off, s[0:3], 0 offset:248
	buffer_store_dword v78, off, s[0:3], 0 offset:252
	s_waitcnt vmcnt(0)
	ds_write_b64 v77, v[79:80]
.LBB37_179:
	s_or_b32 exec_lo, exec_lo, s4
	s_waitcnt lgkmcnt(0)
	s_waitcnt_vscnt null, 0x0
	s_barrier
	buffer_gl0_inv
	s_clause 0xd
	buffer_load_dword v91, off, s[0:3], 0 offset:260
	buffer_load_dword v92, off, s[0:3], 0 offset:268
	;; [unrolled: 1-line block ×14, first 2 shown]
	ds_read_b128 v[79:82], v78 offset:560
	ds_read_b128 v[83:86], v78 offset:576
	ds_read_b128 v[87:90], v78 offset:592
	s_mov_b32 s4, exec_lo
	s_waitcnt vmcnt(13) lgkmcnt(2)
	v_mul_f32_e32 v78, v79, v91
	v_mul_f32_e32 v91, v80, v91
	s_waitcnt vmcnt(12)
	v_mul_f32_e32 v105, v81, v92
	v_mul_f32_e32 v92, v82, v92
	s_waitcnt vmcnt(11) lgkmcnt(1)
	v_mul_f32_e32 v106, v83, v93
	s_waitcnt vmcnt(10)
	v_mul_f32_e32 v107, v85, v94
	s_waitcnt vmcnt(7)
	v_fma_f32 v79, v79, v97, -v91
	v_fmac_f32_e32 v78, v80, v97
	v_mul_f32_e32 v80, v84, v93
	s_waitcnt vmcnt(6)
	v_fma_f32 v81, v81, v98, -v92
	v_fmac_f32_e32 v105, v82, v98
	v_add_f32_e32 v79, 0, v79
	v_add_f32_e32 v78, 0, v78
	v_mul_f32_e32 v82, v86, v94
	s_waitcnt vmcnt(5)
	v_fma_f32 v80, v83, v99, -v80
	v_fmac_f32_e32 v106, v84, v99
	v_add_f32_e32 v79, v79, v81
	v_add_f32_e32 v78, v78, v105
	s_waitcnt lgkmcnt(0)
	v_mul_f32_e32 v81, v88, v95
	s_waitcnt vmcnt(4)
	v_fma_f32 v82, v85, v100, -v82
	v_mul_f32_e32 v108, v87, v95
	v_add_f32_e32 v79, v79, v80
	v_fmac_f32_e32 v107, v86, v100
	v_add_f32_e32 v78, v78, v106
	v_mul_f32_e32 v80, v90, v96
	s_waitcnt vmcnt(3)
	v_fma_f32 v81, v87, v101, -v81
	v_add_f32_e32 v79, v79, v82
	v_mul_f32_e32 v109, v89, v96
	v_fmac_f32_e32 v108, v88, v101
	v_add_f32_e32 v78, v78, v107
	s_waitcnt vmcnt(2)
	v_fma_f32 v80, v89, v102, -v80
	v_add_f32_e32 v79, v79, v81
	v_fmac_f32_e32 v109, v90, v102
	v_add_f32_e32 v78, v78, v108
	v_add_f32_e32 v79, v79, v80
	;; [unrolled: 1-line block ×3, first 2 shown]
	s_waitcnt vmcnt(1)
	v_sub_f32_e32 v79, v103, v79
	s_waitcnt vmcnt(0)
	v_sub_f32_e32 v78, v104, v78
	buffer_store_dword v79, off, s[0:3], 0 offset:248
	buffer_store_dword v78, off, s[0:3], 0 offset:252
	v_cmpx_lt_u32_e32 30, v0
	s_cbranch_execz .LBB37_181
; %bb.180:
	s_clause 0x1
	buffer_load_dword v78, off, s[0:3], 0 offset:240
	buffer_load_dword v79, off, s[0:3], 0 offset:244
	v_mov_b32_e32 v80, 0
	buffer_store_dword v80, off, s[0:3], 0 offset:240
	buffer_store_dword v80, off, s[0:3], 0 offset:244
	s_waitcnt vmcnt(0)
	ds_write_b64 v77, v[78:79]
.LBB37_181:
	s_or_b32 exec_lo, exec_lo, s4
	s_waitcnt lgkmcnt(0)
	s_waitcnt_vscnt null, 0x0
	s_barrier
	buffer_gl0_inv
	s_clause 0xf
	buffer_load_dword v93, off, s[0:3], 0 offset:252
	buffer_load_dword v94, off, s[0:3], 0 offset:260
	;; [unrolled: 1-line block ×16, first 2 shown]
	v_mov_b32_e32 v78, 0
	ds_read2_b64 v[79:82], v78 offset0:69 offset1:70
	ds_read2_b64 v[83:86], v78 offset0:71 offset1:72
	;; [unrolled: 1-line block ×3, first 2 shown]
	ds_read_b64 v[91:92], v78 offset:600
	s_mov_b32 s4, exec_lo
	s_waitcnt vmcnt(15) lgkmcnt(3)
	v_mul_f32_e32 v109, v79, v93
	v_mul_f32_e32 v93, v80, v93
	s_waitcnt vmcnt(14)
	v_mul_f32_e32 v110, v81, v94
	v_mul_f32_e32 v94, v82, v94
	s_waitcnt vmcnt(13) lgkmcnt(2)
	v_mul_f32_e32 v111, v83, v95
	s_waitcnt vmcnt(12)
	v_mul_f32_e32 v112, v85, v96
	s_waitcnt vmcnt(11) lgkmcnt(1)
	v_mul_f32_e32 v113, v87, v97
	s_waitcnt vmcnt(8)
	v_fma_f32 v79, v79, v100, -v93
	v_fmac_f32_e32 v109, v80, v100
	v_mul_f32_e32 v80, v84, v95
	s_waitcnt vmcnt(7)
	v_fma_f32 v81, v81, v101, -v94
	v_fmac_f32_e32 v110, v82, v101
	v_add_f32_e32 v79, 0, v79
	v_add_f32_e32 v82, 0, v109
	v_mul_f32_e32 v93, v86, v96
	s_waitcnt vmcnt(6)
	v_fma_f32 v80, v83, v102, -v80
	v_fmac_f32_e32 v111, v84, v102
	v_add_f32_e32 v79, v79, v81
	v_add_f32_e32 v81, v82, v110
	;; [unrolled: 6-line block ×3, first 2 shown]
	v_mul_f32_e32 v81, v90, v98
	s_waitcnt vmcnt(4)
	v_fma_f32 v82, v87, v104, -v82
	v_mul_f32_e32 v114, v89, v98
	v_add_f32_e32 v79, v79, v83
	v_fmac_f32_e32 v113, v88, v104
	v_add_f32_e32 v80, v80, v112
	s_waitcnt lgkmcnt(0)
	v_mul_f32_e32 v83, v92, v99
	s_waitcnt vmcnt(3)
	v_fma_f32 v81, v89, v105, -v81
	v_add_f32_e32 v79, v79, v82
	v_mul_f32_e32 v115, v91, v99
	v_fmac_f32_e32 v114, v90, v105
	v_add_f32_e32 v80, v80, v113
	s_waitcnt vmcnt(2)
	v_fma_f32 v82, v91, v106, -v83
	v_add_f32_e32 v79, v79, v81
	v_fmac_f32_e32 v115, v92, v106
	v_add_f32_e32 v80, v80, v114
	v_add_f32_e32 v79, v79, v82
	;; [unrolled: 1-line block ×3, first 2 shown]
	s_waitcnt vmcnt(1)
	v_sub_f32_e32 v79, v107, v79
	s_waitcnt vmcnt(0)
	v_sub_f32_e32 v80, v108, v80
	buffer_store_dword v79, off, s[0:3], 0 offset:240
	buffer_store_dword v80, off, s[0:3], 0 offset:244
	v_cmpx_lt_u32_e32 29, v0
	s_cbranch_execz .LBB37_183
; %bb.182:
	s_clause 0x1
	buffer_load_dword v79, off, s[0:3], 0 offset:232
	buffer_load_dword v80, off, s[0:3], 0 offset:236
	buffer_store_dword v78, off, s[0:3], 0 offset:232
	buffer_store_dword v78, off, s[0:3], 0 offset:236
	s_waitcnt vmcnt(0)
	ds_write_b64 v77, v[79:80]
.LBB37_183:
	s_or_b32 exec_lo, exec_lo, s4
	s_waitcnt lgkmcnt(0)
	s_waitcnt_vscnt null, 0x0
	s_barrier
	buffer_gl0_inv
	s_clause 0x11
	buffer_load_dword v95, off, s[0:3], 0 offset:244
	buffer_load_dword v96, off, s[0:3], 0 offset:252
	;; [unrolled: 1-line block ×18, first 2 shown]
	ds_read_b128 v[79:82], v78 offset:544
	ds_read_b128 v[83:86], v78 offset:560
	;; [unrolled: 1-line block ×4, first 2 shown]
	s_mov_b32 s4, exec_lo
	s_waitcnt vmcnt(17) lgkmcnt(3)
	v_mul_f32_e32 v78, v79, v95
	v_mul_f32_e32 v95, v80, v95
	s_waitcnt vmcnt(16)
	v_mul_f32_e32 v113, v81, v96
	v_mul_f32_e32 v96, v82, v96
	s_waitcnt vmcnt(15) lgkmcnt(2)
	v_mul_f32_e32 v114, v83, v97
	s_waitcnt vmcnt(14)
	v_mul_f32_e32 v115, v85, v98
	s_waitcnt vmcnt(13) lgkmcnt(1)
	v_mul_f32_e32 v116, v87, v99
	s_waitcnt vmcnt(12)
	v_mul_f32_e32 v117, v89, v100
	s_waitcnt vmcnt(9)
	v_fma_f32 v79, v79, v103, -v95
	v_fmac_f32_e32 v78, v80, v103
	v_mul_f32_e32 v80, v84, v97
	s_waitcnt vmcnt(8)
	v_fma_f32 v81, v81, v104, -v96
	v_fmac_f32_e32 v113, v82, v104
	v_add_f32_e32 v79, 0, v79
	v_add_f32_e32 v78, 0, v78
	v_mul_f32_e32 v82, v86, v98
	s_waitcnt vmcnt(7)
	v_fma_f32 v80, v83, v105, -v80
	v_fmac_f32_e32 v114, v84, v105
	v_add_f32_e32 v79, v79, v81
	v_add_f32_e32 v78, v78, v113
	;; [unrolled: 6-line block ×4, first 2 shown]
	s_waitcnt lgkmcnt(0)
	v_mul_f32_e32 v82, v92, v101
	s_waitcnt vmcnt(4)
	v_fma_f32 v80, v89, v108, -v80
	v_mul_f32_e32 v118, v91, v101
	v_add_f32_e32 v79, v79, v81
	v_fmac_f32_e32 v117, v90, v108
	v_add_f32_e32 v78, v78, v116
	v_mul_f32_e32 v81, v94, v102
	s_waitcnt vmcnt(3)
	v_fma_f32 v82, v91, v109, -v82
	v_add_f32_e32 v79, v79, v80
	v_mul_f32_e32 v119, v93, v102
	v_fmac_f32_e32 v118, v92, v109
	v_add_f32_e32 v78, v78, v117
	s_waitcnt vmcnt(2)
	v_fma_f32 v80, v93, v110, -v81
	v_add_f32_e32 v79, v79, v82
	v_fmac_f32_e32 v119, v94, v110
	v_add_f32_e32 v78, v78, v118
	v_add_f32_e32 v79, v79, v80
	;; [unrolled: 1-line block ×3, first 2 shown]
	s_waitcnt vmcnt(1)
	v_sub_f32_e32 v79, v111, v79
	s_waitcnt vmcnt(0)
	v_sub_f32_e32 v78, v112, v78
	buffer_store_dword v79, off, s[0:3], 0 offset:232
	buffer_store_dword v78, off, s[0:3], 0 offset:236
	v_cmpx_lt_u32_e32 28, v0
	s_cbranch_execz .LBB37_185
; %bb.184:
	s_clause 0x1
	buffer_load_dword v78, off, s[0:3], 0 offset:224
	buffer_load_dword v79, off, s[0:3], 0 offset:228
	v_mov_b32_e32 v80, 0
	buffer_store_dword v80, off, s[0:3], 0 offset:224
	buffer_store_dword v80, off, s[0:3], 0 offset:228
	s_waitcnt vmcnt(0)
	ds_write_b64 v77, v[78:79]
.LBB37_185:
	s_or_b32 exec_lo, exec_lo, s4
	s_waitcnt lgkmcnt(0)
	s_waitcnt_vscnt null, 0x0
	s_barrier
	buffer_gl0_inv
	s_clause 0x13
	buffer_load_dword v97, off, s[0:3], 0 offset:236
	buffer_load_dword v98, off, s[0:3], 0 offset:244
	buffer_load_dword v99, off, s[0:3], 0 offset:252
	buffer_load_dword v100, off, s[0:3], 0 offset:260
	buffer_load_dword v101, off, s[0:3], 0 offset:268
	buffer_load_dword v102, off, s[0:3], 0 offset:276
	buffer_load_dword v103, off, s[0:3], 0 offset:284
	buffer_load_dword v104, off, s[0:3], 0 offset:292
	buffer_load_dword v105, off, s[0:3], 0 offset:300
	buffer_load_dword v106, off, s[0:3], 0 offset:232
	buffer_load_dword v107, off, s[0:3], 0 offset:240
	buffer_load_dword v108, off, s[0:3], 0 offset:248
	buffer_load_dword v109, off, s[0:3], 0 offset:256
	buffer_load_dword v110, off, s[0:3], 0 offset:264
	buffer_load_dword v111, off, s[0:3], 0 offset:272
	buffer_load_dword v112, off, s[0:3], 0 offset:280
	buffer_load_dword v113, off, s[0:3], 0 offset:288
	buffer_load_dword v114, off, s[0:3], 0 offset:296
	buffer_load_dword v115, off, s[0:3], 0 offset:224
	buffer_load_dword v116, off, s[0:3], 0 offset:228
	v_mov_b32_e32 v78, 0
	ds_read2_b64 v[79:82], v78 offset0:67 offset1:68
	ds_read2_b64 v[83:86], v78 offset0:69 offset1:70
	;; [unrolled: 1-line block ×4, first 2 shown]
	ds_read_b64 v[95:96], v78 offset:600
	s_mov_b32 s4, exec_lo
	s_waitcnt vmcnt(19) lgkmcnt(4)
	v_mul_f32_e32 v117, v79, v97
	v_mul_f32_e32 v97, v80, v97
	s_waitcnt vmcnt(18)
	v_mul_f32_e32 v118, v81, v98
	v_mul_f32_e32 v98, v82, v98
	s_waitcnt vmcnt(17) lgkmcnt(3)
	v_mul_f32_e32 v119, v83, v99
	s_waitcnt vmcnt(16)
	v_mul_f32_e32 v120, v85, v100
	s_waitcnt vmcnt(15) lgkmcnt(2)
	v_mul_f32_e32 v121, v87, v101
	s_waitcnt vmcnt(14)
	;; [unrolled: 4-line block ×3, first 2 shown]
	v_fma_f32 v79, v79, v106, -v97
	v_fmac_f32_e32 v117, v80, v106
	v_mul_f32_e32 v80, v84, v99
	s_waitcnt vmcnt(9)
	v_fma_f32 v81, v81, v107, -v98
	v_fmac_f32_e32 v118, v82, v107
	v_add_f32_e32 v79, 0, v79
	v_add_f32_e32 v82, 0, v117
	v_mul_f32_e32 v97, v86, v100
	s_waitcnt vmcnt(8)
	v_fma_f32 v80, v83, v108, -v80
	v_fmac_f32_e32 v119, v84, v108
	v_add_f32_e32 v79, v79, v81
	v_add_f32_e32 v81, v82, v118
	;; [unrolled: 6-line block ×5, first 2 shown]
	v_mul_f32_e32 v82, v94, v104
	s_waitcnt vmcnt(4)
	v_fma_f32 v83, v91, v112, -v83
	v_mul_f32_e32 v124, v93, v104
	v_add_f32_e32 v79, v79, v81
	v_fmac_f32_e32 v123, v92, v112
	v_add_f32_e32 v80, v80, v122
	s_waitcnt lgkmcnt(0)
	v_mul_f32_e32 v81, v96, v105
	s_waitcnt vmcnt(3)
	v_fma_f32 v82, v93, v113, -v82
	v_add_f32_e32 v79, v79, v83
	v_mul_f32_e32 v125, v95, v105
	v_fmac_f32_e32 v124, v94, v113
	v_add_f32_e32 v80, v80, v123
	s_waitcnt vmcnt(2)
	v_fma_f32 v81, v95, v114, -v81
	v_add_f32_e32 v79, v79, v82
	v_fmac_f32_e32 v125, v96, v114
	v_add_f32_e32 v80, v80, v124
	v_add_f32_e32 v79, v79, v81
	;; [unrolled: 1-line block ×3, first 2 shown]
	s_waitcnt vmcnt(1)
	v_sub_f32_e32 v79, v115, v79
	s_waitcnt vmcnt(0)
	v_sub_f32_e32 v80, v116, v80
	buffer_store_dword v79, off, s[0:3], 0 offset:224
	buffer_store_dword v80, off, s[0:3], 0 offset:228
	v_cmpx_lt_u32_e32 27, v0
	s_cbranch_execz .LBB37_187
; %bb.186:
	s_clause 0x1
	buffer_load_dword v79, off, s[0:3], 0 offset:216
	buffer_load_dword v80, off, s[0:3], 0 offset:220
	buffer_store_dword v78, off, s[0:3], 0 offset:216
	buffer_store_dword v78, off, s[0:3], 0 offset:220
	s_waitcnt vmcnt(0)
	ds_write_b64 v77, v[79:80]
.LBB37_187:
	s_or_b32 exec_lo, exec_lo, s4
	s_waitcnt lgkmcnt(0)
	s_waitcnt_vscnt null, 0x0
	s_barrier
	buffer_gl0_inv
	s_clause 0x15
	buffer_load_dword v99, off, s[0:3], 0 offset:228
	buffer_load_dword v100, off, s[0:3], 0 offset:236
	;; [unrolled: 1-line block ×22, first 2 shown]
	ds_read_b128 v[79:82], v78 offset:528
	ds_read_b128 v[83:86], v78 offset:544
	;; [unrolled: 1-line block ×5, first 2 shown]
	s_mov_b32 s4, exec_lo
	s_waitcnt vmcnt(21) lgkmcnt(4)
	v_mul_f32_e32 v78, v79, v99
	v_mul_f32_e32 v99, v80, v99
	s_waitcnt vmcnt(20)
	v_mul_f32_e32 v121, v81, v100
	v_mul_f32_e32 v100, v82, v100
	s_waitcnt vmcnt(19) lgkmcnt(3)
	v_mul_f32_e32 v122, v83, v101
	s_waitcnt vmcnt(18)
	v_mul_f32_e32 v123, v85, v102
	s_waitcnt vmcnt(17) lgkmcnt(2)
	v_mul_f32_e32 v124, v87, v103
	s_waitcnt vmcnt(16)
	;; [unrolled: 4-line block ×3, first 2 shown]
	v_mul_f32_e32 v127, v93, v106
	s_waitcnt vmcnt(11)
	v_fma_f32 v79, v79, v109, -v99
	v_fmac_f32_e32 v78, v80, v109
	v_mul_f32_e32 v80, v84, v101
	s_waitcnt vmcnt(10)
	v_fma_f32 v81, v81, v110, -v100
	v_fmac_f32_e32 v121, v82, v110
	v_add_f32_e32 v79, 0, v79
	v_add_f32_e32 v78, 0, v78
	v_mul_f32_e32 v82, v86, v102
	s_waitcnt vmcnt(9)
	v_fma_f32 v80, v83, v111, -v80
	v_fmac_f32_e32 v122, v84, v111
	v_add_f32_e32 v79, v79, v81
	v_add_f32_e32 v78, v78, v121
	;; [unrolled: 6-line block ×6, first 2 shown]
	s_waitcnt lgkmcnt(0)
	v_mul_f32_e32 v80, v96, v107
	s_waitcnt vmcnt(4)
	v_fma_f32 v81, v93, v116, -v81
	v_mul_f32_e32 v128, v95, v107
	v_add_f32_e32 v79, v79, v82
	v_fmac_f32_e32 v127, v94, v116
	v_add_f32_e32 v78, v78, v126
	v_mul_f32_e32 v82, v98, v108
	s_waitcnt vmcnt(3)
	v_fma_f32 v80, v95, v117, -v80
	v_add_f32_e32 v79, v79, v81
	v_mul_f32_e32 v129, v97, v108
	v_fmac_f32_e32 v128, v96, v117
	v_add_f32_e32 v78, v78, v127
	s_waitcnt vmcnt(2)
	v_fma_f32 v81, v97, v118, -v82
	v_add_f32_e32 v79, v79, v80
	v_fmac_f32_e32 v129, v98, v118
	v_add_f32_e32 v78, v78, v128
	v_add_f32_e32 v79, v79, v81
	;; [unrolled: 1-line block ×3, first 2 shown]
	s_waitcnt vmcnt(1)
	v_sub_f32_e32 v79, v119, v79
	s_waitcnt vmcnt(0)
	v_sub_f32_e32 v78, v120, v78
	buffer_store_dword v79, off, s[0:3], 0 offset:216
	buffer_store_dword v78, off, s[0:3], 0 offset:220
	v_cmpx_lt_u32_e32 26, v0
	s_cbranch_execz .LBB37_189
; %bb.188:
	s_clause 0x1
	buffer_load_dword v78, off, s[0:3], 0 offset:208
	buffer_load_dword v79, off, s[0:3], 0 offset:212
	v_mov_b32_e32 v80, 0
	buffer_store_dword v80, off, s[0:3], 0 offset:208
	buffer_store_dword v80, off, s[0:3], 0 offset:212
	s_waitcnt vmcnt(0)
	ds_write_b64 v77, v[78:79]
.LBB37_189:
	s_or_b32 exec_lo, exec_lo, s4
	s_waitcnt lgkmcnt(0)
	s_waitcnt_vscnt null, 0x0
	s_barrier
	buffer_gl0_inv
	s_clause 0x17
	buffer_load_dword v101, off, s[0:3], 0 offset:220
	buffer_load_dword v102, off, s[0:3], 0 offset:228
	;; [unrolled: 1-line block ×24, first 2 shown]
	v_mov_b32_e32 v78, 0
	ds_read2_b64 v[79:82], v78 offset0:65 offset1:66
	ds_read2_b64 v[83:86], v78 offset0:67 offset1:68
	;; [unrolled: 1-line block ×5, first 2 shown]
	ds_read_b64 v[99:100], v78 offset:600
	s_mov_b32 s4, exec_lo
	s_waitcnt vmcnt(23) lgkmcnt(5)
	v_mul_f32_e32 v125, v79, v101
	v_mul_f32_e32 v101, v80, v101
	s_waitcnt vmcnt(22)
	v_mul_f32_e32 v126, v81, v102
	v_mul_f32_e32 v102, v82, v102
	s_waitcnt vmcnt(21) lgkmcnt(4)
	v_mul_f32_e32 v127, v83, v103
	s_waitcnt vmcnt(20)
	v_mul_f32_e32 v128, v85, v104
	s_waitcnt vmcnt(19) lgkmcnt(3)
	v_mul_f32_e32 v129, v87, v105
	s_waitcnt vmcnt(18)
	;; [unrolled: 4-line block ×4, first 2 shown]
	v_fma_f32 v79, v79, v112, -v101
	v_fmac_f32_e32 v125, v80, v112
	v_mul_f32_e32 v80, v84, v103
	s_waitcnt vmcnt(11)
	v_fma_f32 v81, v81, v113, -v102
	v_fmac_f32_e32 v126, v82, v113
	v_add_f32_e32 v79, 0, v79
	v_add_f32_e32 v82, 0, v125
	v_mul_f32_e32 v101, v86, v104
	s_waitcnt vmcnt(10)
	v_fma_f32 v80, v83, v114, -v80
	v_fmac_f32_e32 v127, v84, v114
	v_add_f32_e32 v79, v79, v81
	v_add_f32_e32 v81, v82, v126
	;; [unrolled: 6-line block ×7, first 2 shown]
	v_mul_f32_e32 v83, v98, v110
	s_waitcnt vmcnt(4)
	v_fma_f32 v81, v95, v120, -v81
	v_mul_f32_e32 v134, v97, v110
	v_add_f32_e32 v79, v79, v82
	v_fmac_f32_e32 v133, v96, v120
	v_add_f32_e32 v80, v80, v132
	s_waitcnt lgkmcnt(0)
	v_mul_f32_e32 v82, v100, v111
	s_waitcnt vmcnt(3)
	v_fma_f32 v83, v97, v121, -v83
	v_add_f32_e32 v79, v79, v81
	v_mul_f32_e32 v135, v99, v111
	v_fmac_f32_e32 v134, v98, v121
	v_add_f32_e32 v80, v80, v133
	s_waitcnt vmcnt(2)
	v_fma_f32 v81, v99, v122, -v82
	v_add_f32_e32 v79, v79, v83
	v_fmac_f32_e32 v135, v100, v122
	v_add_f32_e32 v80, v80, v134
	v_add_f32_e32 v79, v79, v81
	;; [unrolled: 1-line block ×3, first 2 shown]
	s_waitcnt vmcnt(1)
	v_sub_f32_e32 v79, v123, v79
	s_waitcnt vmcnt(0)
	v_sub_f32_e32 v80, v124, v80
	buffer_store_dword v79, off, s[0:3], 0 offset:208
	buffer_store_dword v80, off, s[0:3], 0 offset:212
	v_cmpx_lt_u32_e32 25, v0
	s_cbranch_execz .LBB37_191
; %bb.190:
	s_clause 0x1
	buffer_load_dword v79, off, s[0:3], 0 offset:200
	buffer_load_dword v80, off, s[0:3], 0 offset:204
	buffer_store_dword v78, off, s[0:3], 0 offset:200
	buffer_store_dword v78, off, s[0:3], 0 offset:204
	s_waitcnt vmcnt(0)
	ds_write_b64 v77, v[79:80]
.LBB37_191:
	s_or_b32 exec_lo, exec_lo, s4
	s_waitcnt lgkmcnt(0)
	s_waitcnt_vscnt null, 0x0
	s_barrier
	buffer_gl0_inv
	s_clause 0x19
	buffer_load_dword v103, off, s[0:3], 0 offset:212
	buffer_load_dword v104, off, s[0:3], 0 offset:220
	buffer_load_dword v105, off, s[0:3], 0 offset:228
	buffer_load_dword v106, off, s[0:3], 0 offset:236
	buffer_load_dword v107, off, s[0:3], 0 offset:244
	buffer_load_dword v108, off, s[0:3], 0 offset:252
	buffer_load_dword v109, off, s[0:3], 0 offset:260
	buffer_load_dword v110, off, s[0:3], 0 offset:268
	buffer_load_dword v111, off, s[0:3], 0 offset:276
	buffer_load_dword v112, off, s[0:3], 0 offset:284
	buffer_load_dword v113, off, s[0:3], 0 offset:292
	buffer_load_dword v114, off, s[0:3], 0 offset:300
	buffer_load_dword v115, off, s[0:3], 0 offset:208
	buffer_load_dword v116, off, s[0:3], 0 offset:216
	buffer_load_dword v117, off, s[0:3], 0 offset:224
	buffer_load_dword v118, off, s[0:3], 0 offset:232
	buffer_load_dword v119, off, s[0:3], 0 offset:240
	buffer_load_dword v120, off, s[0:3], 0 offset:248
	buffer_load_dword v121, off, s[0:3], 0 offset:256
	buffer_load_dword v122, off, s[0:3], 0 offset:264
	buffer_load_dword v123, off, s[0:3], 0 offset:272
	buffer_load_dword v124, off, s[0:3], 0 offset:280
	buffer_load_dword v125, off, s[0:3], 0 offset:288
	buffer_load_dword v126, off, s[0:3], 0 offset:296
	buffer_load_dword v127, off, s[0:3], 0 offset:200
	buffer_load_dword v128, off, s[0:3], 0 offset:204
	ds_read_b128 v[79:82], v78 offset:512
	ds_read_b128 v[83:86], v78 offset:528
	;; [unrolled: 1-line block ×6, first 2 shown]
	s_mov_b32 s4, exec_lo
	s_waitcnt vmcnt(25) lgkmcnt(5)
	v_mul_f32_e32 v78, v79, v103
	v_mul_f32_e32 v103, v80, v103
	s_waitcnt vmcnt(24)
	v_mul_f32_e32 v129, v81, v104
	v_mul_f32_e32 v104, v82, v104
	s_waitcnt vmcnt(23) lgkmcnt(4)
	v_mul_f32_e32 v130, v83, v105
	s_waitcnt vmcnt(22)
	v_mul_f32_e32 v131, v85, v106
	s_waitcnt vmcnt(21) lgkmcnt(3)
	v_mul_f32_e32 v132, v87, v107
	s_waitcnt vmcnt(20)
	;; [unrolled: 4-line block ×4, first 2 shown]
	v_mul_f32_e32 v137, v97, v112
	s_waitcnt vmcnt(13)
	v_fma_f32 v79, v79, v115, -v103
	v_fmac_f32_e32 v78, v80, v115
	v_mul_f32_e32 v80, v84, v105
	s_waitcnt vmcnt(12)
	v_fma_f32 v81, v81, v116, -v104
	v_fmac_f32_e32 v129, v82, v116
	v_add_f32_e32 v79, 0, v79
	v_add_f32_e32 v78, 0, v78
	v_mul_f32_e32 v82, v86, v106
	s_waitcnt vmcnt(11)
	v_fma_f32 v80, v83, v117, -v80
	v_fmac_f32_e32 v130, v84, v117
	v_add_f32_e32 v79, v79, v81
	v_add_f32_e32 v78, v78, v129
	;; [unrolled: 6-line block ×8, first 2 shown]
	s_waitcnt lgkmcnt(0)
	v_mul_f32_e32 v81, v100, v113
	s_waitcnt vmcnt(4)
	v_fma_f32 v82, v97, v124, -v82
	v_mul_f32_e32 v138, v99, v113
	v_add_f32_e32 v79, v79, v80
	v_fmac_f32_e32 v137, v98, v124
	v_add_f32_e32 v78, v78, v136
	v_mul_f32_e32 v80, v102, v114
	s_waitcnt vmcnt(3)
	v_fma_f32 v81, v99, v125, -v81
	v_add_f32_e32 v79, v79, v82
	v_mul_f32_e32 v139, v101, v114
	v_fmac_f32_e32 v138, v100, v125
	v_add_f32_e32 v78, v78, v137
	s_waitcnt vmcnt(2)
	v_fma_f32 v80, v101, v126, -v80
	v_add_f32_e32 v79, v79, v81
	v_fmac_f32_e32 v139, v102, v126
	v_add_f32_e32 v78, v78, v138
	v_add_f32_e32 v79, v79, v80
	;; [unrolled: 1-line block ×3, first 2 shown]
	s_waitcnt vmcnt(1)
	v_sub_f32_e32 v79, v127, v79
	s_waitcnt vmcnt(0)
	v_sub_f32_e32 v78, v128, v78
	buffer_store_dword v79, off, s[0:3], 0 offset:200
	buffer_store_dword v78, off, s[0:3], 0 offset:204
	v_cmpx_lt_u32_e32 24, v0
	s_cbranch_execz .LBB37_193
; %bb.192:
	s_clause 0x1
	buffer_load_dword v78, off, s[0:3], 0 offset:192
	buffer_load_dword v79, off, s[0:3], 0 offset:196
	v_mov_b32_e32 v80, 0
	buffer_store_dword v80, off, s[0:3], 0 offset:192
	buffer_store_dword v80, off, s[0:3], 0 offset:196
	s_waitcnt vmcnt(0)
	ds_write_b64 v77, v[78:79]
.LBB37_193:
	s_or_b32 exec_lo, exec_lo, s4
	s_waitcnt lgkmcnt(0)
	s_waitcnt_vscnt null, 0x0
	s_barrier
	buffer_gl0_inv
	s_clause 0x1b
	buffer_load_dword v105, off, s[0:3], 0 offset:204
	buffer_load_dword v106, off, s[0:3], 0 offset:212
	;; [unrolled: 1-line block ×28, first 2 shown]
	v_mov_b32_e32 v78, 0
	ds_read2_b64 v[79:82], v78 offset0:63 offset1:64
	ds_read2_b64 v[83:86], v78 offset0:65 offset1:66
	;; [unrolled: 1-line block ×6, first 2 shown]
	ds_read_b64 v[103:104], v78 offset:600
	s_mov_b32 s4, exec_lo
	s_waitcnt vmcnt(27) lgkmcnt(6)
	v_mul_f32_e32 v133, v79, v105
	v_mul_f32_e32 v105, v80, v105
	s_waitcnt vmcnt(26)
	v_mul_f32_e32 v134, v81, v106
	v_mul_f32_e32 v106, v82, v106
	s_waitcnt vmcnt(25) lgkmcnt(5)
	v_mul_f32_e32 v135, v83, v107
	s_waitcnt vmcnt(24)
	v_mul_f32_e32 v136, v85, v108
	s_waitcnt vmcnt(23) lgkmcnt(4)
	v_mul_f32_e32 v137, v87, v109
	s_waitcnt vmcnt(22)
	;; [unrolled: 4-line block ×5, first 2 shown]
	v_fma_f32 v79, v79, v118, -v105
	v_fmac_f32_e32 v133, v80, v118
	v_mul_f32_e32 v80, v84, v107
	s_waitcnt vmcnt(13)
	v_fma_f32 v81, v81, v119, -v106
	v_fmac_f32_e32 v134, v82, v119
	v_add_f32_e32 v79, 0, v79
	v_add_f32_e32 v82, 0, v133
	v_mul_f32_e32 v105, v86, v108
	s_waitcnt vmcnt(12)
	v_fma_f32 v80, v83, v120, -v80
	v_fmac_f32_e32 v135, v84, v120
	v_add_f32_e32 v79, v79, v81
	v_add_f32_e32 v81, v82, v134
	;; [unrolled: 6-line block ×9, first 2 shown]
	v_mul_f32_e32 v81, v102, v116
	s_waitcnt vmcnt(4)
	v_fma_f32 v82, v99, v128, -v82
	v_mul_f32_e32 v144, v101, v116
	v_add_f32_e32 v79, v79, v83
	v_fmac_f32_e32 v143, v100, v128
	v_add_f32_e32 v80, v80, v142
	s_waitcnt lgkmcnt(0)
	v_mul_f32_e32 v83, v104, v117
	s_waitcnt vmcnt(3)
	v_fma_f32 v81, v101, v129, -v81
	v_add_f32_e32 v79, v79, v82
	v_mul_f32_e32 v145, v103, v117
	v_fmac_f32_e32 v144, v102, v129
	v_add_f32_e32 v80, v80, v143
	s_waitcnt vmcnt(2)
	v_fma_f32 v82, v103, v130, -v83
	v_add_f32_e32 v79, v79, v81
	v_fmac_f32_e32 v145, v104, v130
	v_add_f32_e32 v80, v80, v144
	v_add_f32_e32 v79, v79, v82
	;; [unrolled: 1-line block ×3, first 2 shown]
	s_waitcnt vmcnt(1)
	v_sub_f32_e32 v79, v131, v79
	s_waitcnt vmcnt(0)
	v_sub_f32_e32 v80, v132, v80
	buffer_store_dword v79, off, s[0:3], 0 offset:192
	buffer_store_dword v80, off, s[0:3], 0 offset:196
	v_cmpx_lt_u32_e32 23, v0
	s_cbranch_execz .LBB37_195
; %bb.194:
	s_clause 0x1
	buffer_load_dword v79, off, s[0:3], 0 offset:184
	buffer_load_dword v80, off, s[0:3], 0 offset:188
	buffer_store_dword v78, off, s[0:3], 0 offset:184
	buffer_store_dword v78, off, s[0:3], 0 offset:188
	s_waitcnt vmcnt(0)
	ds_write_b64 v77, v[79:80]
.LBB37_195:
	s_or_b32 exec_lo, exec_lo, s4
	s_waitcnt lgkmcnt(0)
	s_waitcnt_vscnt null, 0x0
	s_barrier
	buffer_gl0_inv
	s_clause 0x1d
	buffer_load_dword v107, off, s[0:3], 0 offset:196
	buffer_load_dword v108, off, s[0:3], 0 offset:204
	;; [unrolled: 1-line block ×30, first 2 shown]
	ds_read_b128 v[79:82], v78 offset:496
	ds_read_b128 v[83:86], v78 offset:512
	;; [unrolled: 1-line block ×7, first 2 shown]
	s_mov_b32 s4, exec_lo
	s_waitcnt vmcnt(29) lgkmcnt(6)
	v_mul_f32_e32 v78, v79, v107
	v_mul_f32_e32 v107, v80, v107
	s_waitcnt vmcnt(28)
	v_mul_f32_e32 v137, v81, v108
	v_mul_f32_e32 v108, v82, v108
	s_waitcnt vmcnt(27) lgkmcnt(5)
	v_mul_f32_e32 v138, v83, v109
	s_waitcnt vmcnt(26)
	v_mul_f32_e32 v139, v85, v110
	s_waitcnt vmcnt(25) lgkmcnt(4)
	v_mul_f32_e32 v140, v87, v111
	s_waitcnt vmcnt(24)
	v_mul_f32_e32 v141, v89, v112
	s_waitcnt vmcnt(23) lgkmcnt(3)
	v_mul_f32_e32 v142, v91, v113
	s_waitcnt vmcnt(22)
	v_mul_f32_e32 v143, v93, v114
	s_waitcnt vmcnt(21) lgkmcnt(2)
	v_mul_f32_e32 v144, v95, v115
	s_waitcnt vmcnt(20)
	v_mul_f32_e32 v145, v97, v116
	s_waitcnt vmcnt(19) lgkmcnt(1)
	v_mul_f32_e32 v146, v99, v117
	s_waitcnt vmcnt(18)
	v_mul_f32_e32 v147, v101, v118
	s_waitcnt vmcnt(15)
	v_fma_f32 v79, v79, v121, -v107
	v_fmac_f32_e32 v78, v80, v121
	v_mul_f32_e32 v80, v84, v109
	s_waitcnt vmcnt(14)
	v_fma_f32 v81, v81, v122, -v108
	v_fmac_f32_e32 v137, v82, v122
	v_add_f32_e32 v79, 0, v79
	v_add_f32_e32 v78, 0, v78
	v_mul_f32_e32 v82, v86, v110
	s_waitcnt vmcnt(13)
	v_fma_f32 v80, v83, v123, -v80
	v_fmac_f32_e32 v138, v84, v123
	v_add_f32_e32 v79, v79, v81
	v_add_f32_e32 v78, v78, v137
	;; [unrolled: 6-line block ×10, first 2 shown]
	s_waitcnt lgkmcnt(0)
	v_mul_f32_e32 v82, v104, v119
	s_waitcnt vmcnt(4)
	v_fma_f32 v80, v101, v132, -v80
	v_mul_f32_e32 v148, v103, v119
	v_add_f32_e32 v79, v79, v81
	v_fmac_f32_e32 v147, v102, v132
	v_add_f32_e32 v78, v78, v146
	v_mul_f32_e32 v81, v106, v120
	s_waitcnt vmcnt(3)
	v_fma_f32 v82, v103, v133, -v82
	v_add_f32_e32 v79, v79, v80
	v_mul_f32_e32 v149, v105, v120
	v_fmac_f32_e32 v148, v104, v133
	v_add_f32_e32 v78, v78, v147
	s_waitcnt vmcnt(2)
	v_fma_f32 v80, v105, v134, -v81
	v_add_f32_e32 v79, v79, v82
	v_fmac_f32_e32 v149, v106, v134
	v_add_f32_e32 v78, v78, v148
	v_add_f32_e32 v79, v79, v80
	;; [unrolled: 1-line block ×3, first 2 shown]
	s_waitcnt vmcnt(1)
	v_sub_f32_e32 v79, v135, v79
	s_waitcnt vmcnt(0)
	v_sub_f32_e32 v78, v136, v78
	buffer_store_dword v79, off, s[0:3], 0 offset:184
	buffer_store_dword v78, off, s[0:3], 0 offset:188
	v_cmpx_lt_u32_e32 22, v0
	s_cbranch_execz .LBB37_197
; %bb.196:
	s_clause 0x1
	buffer_load_dword v78, off, s[0:3], 0 offset:176
	buffer_load_dword v79, off, s[0:3], 0 offset:180
	v_mov_b32_e32 v80, 0
	buffer_store_dword v80, off, s[0:3], 0 offset:176
	buffer_store_dword v80, off, s[0:3], 0 offset:180
	s_waitcnt vmcnt(0)
	ds_write_b64 v77, v[78:79]
.LBB37_197:
	s_or_b32 exec_lo, exec_lo, s4
	s_waitcnt lgkmcnt(0)
	s_waitcnt_vscnt null, 0x0
	s_barrier
	buffer_gl0_inv
	s_clause 0x1f
	buffer_load_dword v109, off, s[0:3], 0 offset:188
	buffer_load_dword v110, off, s[0:3], 0 offset:196
	;; [unrolled: 1-line block ×32, first 2 shown]
	v_mov_b32_e32 v78, 0
	ds_read2_b64 v[79:82], v78 offset0:61 offset1:62
	ds_read2_b64 v[83:86], v78 offset0:63 offset1:64
	;; [unrolled: 1-line block ×7, first 2 shown]
	ds_read_b64 v[107:108], v78 offset:600
	s_mov_b32 s4, exec_lo
	s_waitcnt vmcnt(31) lgkmcnt(7)
	v_mul_f32_e32 v141, v79, v109
	v_mul_f32_e32 v109, v80, v109
	s_waitcnt vmcnt(30)
	v_mul_f32_e32 v142, v81, v110
	v_mul_f32_e32 v110, v82, v110
	s_waitcnt vmcnt(29) lgkmcnt(6)
	v_mul_f32_e32 v143, v83, v111
	s_waitcnt vmcnt(28)
	v_mul_f32_e32 v144, v85, v112
	s_waitcnt vmcnt(27) lgkmcnt(5)
	v_mul_f32_e32 v145, v87, v113
	s_waitcnt vmcnt(26)
	;; [unrolled: 4-line block ×6, first 2 shown]
	v_fma_f32 v79, v79, v124, -v109
	v_fmac_f32_e32 v141, v80, v124
	v_mul_f32_e32 v80, v84, v111
	s_waitcnt vmcnt(15)
	v_fma_f32 v81, v81, v125, -v110
	v_fmac_f32_e32 v142, v82, v125
	v_add_f32_e32 v79, 0, v79
	v_add_f32_e32 v82, 0, v141
	v_mul_f32_e32 v109, v86, v112
	s_waitcnt vmcnt(14)
	v_fma_f32 v80, v83, v126, -v80
	v_fmac_f32_e32 v143, v84, v126
	v_add_f32_e32 v79, v79, v81
	v_add_f32_e32 v81, v82, v142
	;; [unrolled: 6-line block ×11, first 2 shown]
	v_mul_f32_e32 v82, v106, v122
	s_waitcnt vmcnt(4)
	v_fma_f32 v83, v103, v136, -v83
	v_mul_f32_e32 v154, v105, v122
	v_add_f32_e32 v79, v79, v81
	v_fmac_f32_e32 v153, v104, v136
	v_add_f32_e32 v80, v80, v152
	s_waitcnt lgkmcnt(0)
	v_mul_f32_e32 v81, v108, v123
	s_waitcnt vmcnt(3)
	v_fma_f32 v82, v105, v137, -v82
	v_add_f32_e32 v79, v79, v83
	v_mul_f32_e32 v155, v107, v123
	v_fmac_f32_e32 v154, v106, v137
	v_add_f32_e32 v80, v80, v153
	s_waitcnt vmcnt(2)
	v_fma_f32 v81, v107, v138, -v81
	v_add_f32_e32 v79, v79, v82
	v_fmac_f32_e32 v155, v108, v138
	v_add_f32_e32 v80, v80, v154
	v_add_f32_e32 v79, v79, v81
	;; [unrolled: 1-line block ×3, first 2 shown]
	s_waitcnt vmcnt(1)
	v_sub_f32_e32 v79, v139, v79
	s_waitcnt vmcnt(0)
	v_sub_f32_e32 v80, v140, v80
	buffer_store_dword v79, off, s[0:3], 0 offset:176
	buffer_store_dword v80, off, s[0:3], 0 offset:180
	v_cmpx_lt_u32_e32 21, v0
	s_cbranch_execz .LBB37_199
; %bb.198:
	s_clause 0x1
	buffer_load_dword v79, off, s[0:3], 0 offset:168
	buffer_load_dword v80, off, s[0:3], 0 offset:172
	buffer_store_dword v78, off, s[0:3], 0 offset:168
	buffer_store_dword v78, off, s[0:3], 0 offset:172
	s_waitcnt vmcnt(0)
	ds_write_b64 v77, v[79:80]
.LBB37_199:
	s_or_b32 exec_lo, exec_lo, s4
	s_waitcnt lgkmcnt(0)
	s_waitcnt_vscnt null, 0x0
	s_barrier
	buffer_gl0_inv
	s_clause 0x21
	buffer_load_dword v111, off, s[0:3], 0 offset:180
	buffer_load_dword v112, off, s[0:3], 0 offset:188
	;; [unrolled: 1-line block ×34, first 2 shown]
	ds_read_b128 v[79:82], v78 offset:480
	ds_read_b128 v[83:86], v78 offset:496
	;; [unrolled: 1-line block ×8, first 2 shown]
	s_mov_b32 s4, exec_lo
	s_waitcnt vmcnt(33) lgkmcnt(7)
	v_mul_f32_e32 v78, v79, v111
	v_mul_f32_e32 v111, v80, v111
	s_waitcnt vmcnt(32)
	v_mul_f32_e32 v145, v81, v112
	v_mul_f32_e32 v112, v82, v112
	s_waitcnt vmcnt(31) lgkmcnt(6)
	v_mul_f32_e32 v146, v83, v113
	s_waitcnt vmcnt(30)
	v_mul_f32_e32 v147, v85, v114
	s_waitcnt vmcnt(29) lgkmcnt(5)
	v_mul_f32_e32 v148, v87, v115
	s_waitcnt vmcnt(28)
	;; [unrolled: 4-line block ×6, first 2 shown]
	v_mul_f32_e32 v157, v105, v124
	s_waitcnt vmcnt(17)
	v_fma_f32 v79, v79, v127, -v111
	v_fmac_f32_e32 v78, v80, v127
	v_mul_f32_e32 v80, v84, v113
	s_waitcnt vmcnt(16)
	v_fma_f32 v81, v81, v128, -v112
	v_fmac_f32_e32 v145, v82, v128
	v_add_f32_e32 v79, 0, v79
	v_add_f32_e32 v78, 0, v78
	v_mul_f32_e32 v82, v86, v114
	s_waitcnt vmcnt(15)
	v_fma_f32 v80, v83, v129, -v80
	v_fmac_f32_e32 v146, v84, v129
	v_add_f32_e32 v79, v79, v81
	v_add_f32_e32 v78, v78, v145
	;; [unrolled: 6-line block ×12, first 2 shown]
	s_waitcnt lgkmcnt(0)
	v_mul_f32_e32 v80, v108, v125
	s_waitcnt vmcnt(4)
	v_fma_f32 v81, v105, v140, -v81
	v_mul_f32_e32 v158, v107, v125
	v_add_f32_e32 v79, v79, v82
	v_fmac_f32_e32 v157, v106, v140
	v_add_f32_e32 v78, v78, v156
	v_mul_f32_e32 v82, v110, v126
	s_waitcnt vmcnt(3)
	v_fma_f32 v80, v107, v141, -v80
	v_add_f32_e32 v79, v79, v81
	v_mul_f32_e32 v159, v109, v126
	v_fmac_f32_e32 v158, v108, v141
	v_add_f32_e32 v78, v78, v157
	s_waitcnt vmcnt(2)
	v_fma_f32 v81, v109, v142, -v82
	v_add_f32_e32 v79, v79, v80
	v_fmac_f32_e32 v159, v110, v142
	v_add_f32_e32 v78, v78, v158
	v_add_f32_e32 v79, v79, v81
	;; [unrolled: 1-line block ×3, first 2 shown]
	s_waitcnt vmcnt(1)
	v_sub_f32_e32 v79, v143, v79
	s_waitcnt vmcnt(0)
	v_sub_f32_e32 v78, v144, v78
	buffer_store_dword v79, off, s[0:3], 0 offset:168
	buffer_store_dword v78, off, s[0:3], 0 offset:172
	v_cmpx_lt_u32_e32 20, v0
	s_cbranch_execz .LBB37_201
; %bb.200:
	s_clause 0x1
	buffer_load_dword v78, off, s[0:3], 0 offset:160
	buffer_load_dword v79, off, s[0:3], 0 offset:164
	v_mov_b32_e32 v80, 0
	buffer_store_dword v80, off, s[0:3], 0 offset:160
	buffer_store_dword v80, off, s[0:3], 0 offset:164
	s_waitcnt vmcnt(0)
	ds_write_b64 v77, v[78:79]
.LBB37_201:
	s_or_b32 exec_lo, exec_lo, s4
	s_waitcnt lgkmcnt(0)
	s_waitcnt_vscnt null, 0x0
	s_barrier
	buffer_gl0_inv
	s_clause 0x23
	buffer_load_dword v113, off, s[0:3], 0 offset:172
	buffer_load_dword v114, off, s[0:3], 0 offset:180
	;; [unrolled: 1-line block ×36, first 2 shown]
	v_mov_b32_e32 v78, 0
	ds_read2_b64 v[79:82], v78 offset0:59 offset1:60
	ds_read2_b64 v[83:86], v78 offset0:61 offset1:62
	;; [unrolled: 1-line block ×8, first 2 shown]
	ds_read_b64 v[111:112], v78 offset:600
	s_mov_b32 s4, exec_lo
	s_waitcnt vmcnt(35) lgkmcnt(8)
	v_mul_f32_e32 v149, v79, v113
	v_mul_f32_e32 v113, v80, v113
	s_waitcnt vmcnt(34)
	v_mul_f32_e32 v150, v81, v114
	v_mul_f32_e32 v114, v82, v114
	s_waitcnt vmcnt(33) lgkmcnt(7)
	v_mul_f32_e32 v151, v83, v115
	s_waitcnt vmcnt(32)
	v_mul_f32_e32 v152, v85, v116
	s_waitcnt vmcnt(31) lgkmcnt(6)
	v_mul_f32_e32 v153, v87, v117
	s_waitcnt vmcnt(30)
	;; [unrolled: 4-line block ×7, first 2 shown]
	v_fma_f32 v79, v79, v130, -v113
	v_fmac_f32_e32 v149, v80, v130
	v_mul_f32_e32 v80, v84, v115
	s_waitcnt vmcnt(17)
	v_fma_f32 v81, v81, v131, -v114
	v_fmac_f32_e32 v150, v82, v131
	v_add_f32_e32 v79, 0, v79
	v_add_f32_e32 v82, 0, v149
	v_mul_f32_e32 v113, v86, v116
	s_waitcnt vmcnt(16)
	v_fma_f32 v80, v83, v132, -v80
	v_fmac_f32_e32 v151, v84, v132
	v_add_f32_e32 v79, v79, v81
	v_add_f32_e32 v81, v82, v150
	v_mul_f32_e32 v82, v88, v117
	s_waitcnt vmcnt(15)
	v_fma_f32 v83, v85, v133, -v113
	v_fmac_f32_e32 v152, v86, v133
	v_add_f32_e32 v79, v79, v80
	v_add_f32_e32 v80, v81, v151
	v_mul_f32_e32 v81, v90, v118
	s_waitcnt vmcnt(14)
	v_fma_f32 v82, v87, v134, -v82
	v_fmac_f32_e32 v153, v88, v134
	v_add_f32_e32 v79, v79, v83
	v_add_f32_e32 v80, v80, v152
	v_mul_f32_e32 v83, v92, v119
	s_waitcnt vmcnt(13)
	v_fma_f32 v81, v89, v135, -v81
	v_fmac_f32_e32 v154, v90, v135
	v_add_f32_e32 v79, v79, v82
	v_add_f32_e32 v80, v80, v153
	v_mul_f32_e32 v82, v94, v120
	s_waitcnt vmcnt(12)
	v_fma_f32 v83, v91, v136, -v83
	v_fmac_f32_e32 v155, v92, v136
	v_add_f32_e32 v79, v79, v81
	v_add_f32_e32 v80, v80, v154
	v_mul_f32_e32 v81, v96, v121
	s_waitcnt vmcnt(11)
	v_fma_f32 v82, v93, v137, -v82
	v_fmac_f32_e32 v156, v94, v137
	v_add_f32_e32 v79, v79, v83
	v_add_f32_e32 v80, v80, v155
	v_mul_f32_e32 v83, v98, v122
	s_waitcnt vmcnt(10)
	v_fma_f32 v81, v95, v138, -v81
	v_fmac_f32_e32 v157, v96, v138
	v_add_f32_e32 v79, v79, v82
	v_add_f32_e32 v80, v80, v156
	v_mul_f32_e32 v82, v100, v123
	s_waitcnt vmcnt(9)
	v_fma_f32 v83, v97, v139, -v83
	v_fmac_f32_e32 v158, v98, v139
	v_add_f32_e32 v79, v79, v81
	v_add_f32_e32 v80, v80, v157
	v_mul_f32_e32 v81, v102, v124
	s_waitcnt vmcnt(8)
	v_fma_f32 v82, v99, v140, -v82
	v_fmac_f32_e32 v159, v100, v140
	v_add_f32_e32 v79, v79, v83
	v_add_f32_e32 v80, v80, v158
	v_mul_f32_e32 v83, v104, v125
	s_waitcnt vmcnt(7)
	v_fma_f32 v81, v101, v141, -v81
	v_fmac_f32_e32 v160, v102, v141
	v_add_f32_e32 v79, v79, v82
	v_add_f32_e32 v80, v80, v159
	v_mul_f32_e32 v82, v106, v126
	s_waitcnt vmcnt(6)
	v_fma_f32 v83, v103, v142, -v83
	v_fmac_f32_e32 v161, v104, v142
	v_add_f32_e32 v79, v79, v81
	v_add_f32_e32 v80, v80, v160
	v_mul_f32_e32 v81, v108, v127
	s_waitcnt vmcnt(5)
	v_fma_f32 v82, v105, v143, -v82
	v_fmac_f32_e32 v162, v106, v143
	v_add_f32_e32 v79, v79, v83
	v_add_f32_e32 v80, v80, v161
	v_mul_f32_e32 v83, v110, v128
	s_waitcnt vmcnt(4)
	v_fma_f32 v81, v107, v144, -v81
	v_mul_f32_e32 v164, v109, v128
	v_add_f32_e32 v79, v79, v82
	v_fmac_f32_e32 v163, v108, v144
	v_add_f32_e32 v80, v80, v162
	s_waitcnt lgkmcnt(0)
	v_mul_f32_e32 v82, v112, v129
	s_waitcnt vmcnt(3)
	v_fma_f32 v83, v109, v145, -v83
	v_add_f32_e32 v79, v79, v81
	v_mul_f32_e32 v165, v111, v129
	v_fmac_f32_e32 v164, v110, v145
	v_add_f32_e32 v80, v80, v163
	s_waitcnt vmcnt(2)
	v_fma_f32 v81, v111, v146, -v82
	v_add_f32_e32 v79, v79, v83
	v_fmac_f32_e32 v165, v112, v146
	v_add_f32_e32 v80, v80, v164
	v_add_f32_e32 v79, v79, v81
	;; [unrolled: 1-line block ×3, first 2 shown]
	s_waitcnt vmcnt(1)
	v_sub_f32_e32 v79, v147, v79
	s_waitcnt vmcnt(0)
	v_sub_f32_e32 v80, v148, v80
	buffer_store_dword v79, off, s[0:3], 0 offset:160
	buffer_store_dword v80, off, s[0:3], 0 offset:164
	v_cmpx_lt_u32_e32 19, v0
	s_cbranch_execz .LBB37_203
; %bb.202:
	s_clause 0x1
	buffer_load_dword v79, off, s[0:3], 0 offset:152
	buffer_load_dword v80, off, s[0:3], 0 offset:156
	buffer_store_dword v78, off, s[0:3], 0 offset:152
	buffer_store_dword v78, off, s[0:3], 0 offset:156
	s_waitcnt vmcnt(0)
	ds_write_b64 v77, v[79:80]
.LBB37_203:
	s_or_b32 exec_lo, exec_lo, s4
	s_waitcnt lgkmcnt(0)
	s_waitcnt_vscnt null, 0x0
	s_barrier
	buffer_gl0_inv
	s_clause 0x25
	buffer_load_dword v115, off, s[0:3], 0 offset:164
	buffer_load_dword v116, off, s[0:3], 0 offset:172
	;; [unrolled: 1-line block ×38, first 2 shown]
	ds_read_b128 v[79:82], v78 offset:464
	ds_read_b128 v[83:86], v78 offset:480
	;; [unrolled: 1-line block ×9, first 2 shown]
	s_mov_b32 s4, exec_lo
	s_waitcnt vmcnt(37) lgkmcnt(8)
	v_mul_f32_e32 v78, v79, v115
	v_mul_f32_e32 v115, v80, v115
	s_waitcnt vmcnt(36)
	v_mul_f32_e32 v153, v81, v116
	v_mul_f32_e32 v116, v82, v116
	s_waitcnt vmcnt(35) lgkmcnt(7)
	v_mul_f32_e32 v154, v83, v117
	s_waitcnt vmcnt(34)
	v_mul_f32_e32 v155, v85, v118
	s_waitcnt vmcnt(33) lgkmcnt(6)
	v_mul_f32_e32 v156, v87, v119
	s_waitcnt vmcnt(32)
	;; [unrolled: 4-line block ×7, first 2 shown]
	v_mul_f32_e32 v167, v109, v130
	s_waitcnt vmcnt(19)
	v_fma_f32 v79, v79, v133, -v115
	v_fmac_f32_e32 v78, v80, v133
	v_mul_f32_e32 v80, v84, v117
	s_waitcnt vmcnt(18)
	v_fma_f32 v81, v81, v134, -v116
	v_fmac_f32_e32 v153, v82, v134
	v_add_f32_e32 v79, 0, v79
	v_add_f32_e32 v78, 0, v78
	v_mul_f32_e32 v82, v86, v118
	s_waitcnt vmcnt(17)
	v_fma_f32 v80, v83, v135, -v80
	v_fmac_f32_e32 v154, v84, v135
	v_add_f32_e32 v79, v79, v81
	v_add_f32_e32 v78, v78, v153
	;; [unrolled: 6-line block ×14, first 2 shown]
	s_waitcnt lgkmcnt(0)
	v_mul_f32_e32 v81, v112, v131
	s_waitcnt vmcnt(4)
	v_fma_f32 v82, v109, v148, -v82
	v_mul_f32_e32 v168, v111, v131
	v_add_f32_e32 v79, v79, v80
	v_fmac_f32_e32 v167, v110, v148
	v_add_f32_e32 v78, v78, v166
	v_mul_f32_e32 v80, v114, v132
	s_waitcnt vmcnt(3)
	v_fma_f32 v81, v111, v149, -v81
	v_add_f32_e32 v79, v79, v82
	v_mul_f32_e32 v169, v113, v132
	v_fmac_f32_e32 v168, v112, v149
	v_add_f32_e32 v78, v78, v167
	s_waitcnt vmcnt(2)
	v_fma_f32 v80, v113, v150, -v80
	v_add_f32_e32 v79, v79, v81
	v_fmac_f32_e32 v169, v114, v150
	v_add_f32_e32 v78, v78, v168
	v_add_f32_e32 v79, v79, v80
	v_add_f32_e32 v78, v78, v169
	s_waitcnt vmcnt(1)
	v_sub_f32_e32 v79, v151, v79
	s_waitcnt vmcnt(0)
	v_sub_f32_e32 v78, v152, v78
	buffer_store_dword v79, off, s[0:3], 0 offset:152
	buffer_store_dword v78, off, s[0:3], 0 offset:156
	v_cmpx_lt_u32_e32 18, v0
	s_cbranch_execz .LBB37_205
; %bb.204:
	s_clause 0x1
	buffer_load_dword v78, off, s[0:3], 0 offset:144
	buffer_load_dword v79, off, s[0:3], 0 offset:148
	v_mov_b32_e32 v80, 0
	buffer_store_dword v80, off, s[0:3], 0 offset:144
	buffer_store_dword v80, off, s[0:3], 0 offset:148
	s_waitcnt vmcnt(0)
	ds_write_b64 v77, v[78:79]
.LBB37_205:
	s_or_b32 exec_lo, exec_lo, s4
	s_waitcnt lgkmcnt(0)
	s_waitcnt_vscnt null, 0x0
	s_barrier
	buffer_gl0_inv
	s_clause 0x27
	buffer_load_dword v117, off, s[0:3], 0 offset:156
	buffer_load_dword v118, off, s[0:3], 0 offset:164
	;; [unrolled: 1-line block ×40, first 2 shown]
	v_mov_b32_e32 v78, 0
	ds_read2_b64 v[79:82], v78 offset0:57 offset1:58
	ds_read2_b64 v[83:86], v78 offset0:59 offset1:60
	;; [unrolled: 1-line block ×9, first 2 shown]
	ds_read_b64 v[115:116], v78 offset:600
	s_mov_b32 s4, exec_lo
	s_waitcnt vmcnt(39) lgkmcnt(9)
	v_mul_f32_e32 v157, v79, v117
	v_mul_f32_e32 v117, v80, v117
	s_waitcnt vmcnt(38)
	v_mul_f32_e32 v158, v81, v118
	v_mul_f32_e32 v118, v82, v118
	s_waitcnt vmcnt(37) lgkmcnt(8)
	v_mul_f32_e32 v159, v83, v119
	s_waitcnt vmcnt(36)
	v_mul_f32_e32 v160, v85, v120
	s_waitcnt vmcnt(35) lgkmcnt(7)
	v_mul_f32_e32 v161, v87, v121
	s_waitcnt vmcnt(34)
	;; [unrolled: 4-line block ×8, first 2 shown]
	v_fma_f32 v79, v79, v136, -v117
	v_fmac_f32_e32 v157, v80, v136
	v_mul_f32_e32 v80, v84, v119
	s_waitcnt vmcnt(19)
	v_fma_f32 v81, v81, v137, -v118
	v_fmac_f32_e32 v158, v82, v137
	v_add_f32_e32 v79, 0, v79
	v_add_f32_e32 v82, 0, v157
	v_mul_f32_e32 v117, v86, v120
	s_waitcnt vmcnt(18)
	v_fma_f32 v80, v83, v138, -v80
	v_fmac_f32_e32 v159, v84, v138
	v_add_f32_e32 v79, v79, v81
	v_add_f32_e32 v81, v82, v158
	v_mul_f32_e32 v82, v88, v121
	s_waitcnt vmcnt(17)
	v_fma_f32 v83, v85, v139, -v117
	v_fmac_f32_e32 v160, v86, v139
	v_add_f32_e32 v79, v79, v80
	v_add_f32_e32 v80, v81, v159
	v_mul_f32_e32 v81, v90, v122
	s_waitcnt vmcnt(16)
	v_fma_f32 v82, v87, v140, -v82
	v_fmac_f32_e32 v161, v88, v140
	v_add_f32_e32 v79, v79, v83
	v_add_f32_e32 v80, v80, v160
	v_mul_f32_e32 v83, v92, v123
	s_waitcnt vmcnt(15)
	v_fma_f32 v81, v89, v141, -v81
	v_fmac_f32_e32 v162, v90, v141
	v_add_f32_e32 v79, v79, v82
	v_add_f32_e32 v80, v80, v161
	v_mul_f32_e32 v82, v94, v124
	s_waitcnt vmcnt(14)
	v_fma_f32 v83, v91, v142, -v83
	v_fmac_f32_e32 v163, v92, v142
	v_add_f32_e32 v79, v79, v81
	v_add_f32_e32 v80, v80, v162
	v_mul_f32_e32 v81, v96, v125
	s_waitcnt vmcnt(13)
	v_fma_f32 v82, v93, v143, -v82
	v_fmac_f32_e32 v164, v94, v143
	v_add_f32_e32 v79, v79, v83
	v_add_f32_e32 v80, v80, v163
	v_mul_f32_e32 v83, v98, v126
	s_waitcnt vmcnt(12)
	v_fma_f32 v81, v95, v144, -v81
	v_fmac_f32_e32 v165, v96, v144
	v_add_f32_e32 v79, v79, v82
	v_add_f32_e32 v80, v80, v164
	v_mul_f32_e32 v82, v100, v127
	s_waitcnt vmcnt(11)
	v_fma_f32 v83, v97, v145, -v83
	v_fmac_f32_e32 v166, v98, v145
	v_add_f32_e32 v79, v79, v81
	v_add_f32_e32 v80, v80, v165
	v_mul_f32_e32 v81, v102, v128
	s_waitcnt vmcnt(10)
	v_fma_f32 v82, v99, v146, -v82
	v_fmac_f32_e32 v167, v100, v146
	v_add_f32_e32 v79, v79, v83
	v_add_f32_e32 v80, v80, v166
	v_mul_f32_e32 v83, v104, v129
	s_waitcnt vmcnt(9)
	v_fma_f32 v81, v101, v147, -v81
	v_fmac_f32_e32 v168, v102, v147
	v_add_f32_e32 v79, v79, v82
	v_add_f32_e32 v80, v80, v167
	v_mul_f32_e32 v82, v106, v130
	s_waitcnt vmcnt(8)
	v_fma_f32 v83, v103, v148, -v83
	v_fmac_f32_e32 v169, v104, v148
	v_add_f32_e32 v79, v79, v81
	v_add_f32_e32 v80, v80, v168
	v_mul_f32_e32 v81, v108, v131
	s_waitcnt vmcnt(7)
	v_fma_f32 v82, v105, v149, -v82
	v_fmac_f32_e32 v170, v106, v149
	v_add_f32_e32 v79, v79, v83
	v_add_f32_e32 v80, v80, v169
	v_mul_f32_e32 v83, v110, v132
	s_waitcnt vmcnt(6)
	v_fma_f32 v81, v107, v150, -v81
	v_fmac_f32_e32 v171, v108, v150
	v_add_f32_e32 v79, v79, v82
	v_add_f32_e32 v80, v80, v170
	v_mul_f32_e32 v82, v112, v133
	s_waitcnt vmcnt(5)
	v_fma_f32 v83, v109, v151, -v83
	v_fmac_f32_e32 v172, v110, v151
	v_add_f32_e32 v79, v79, v81
	v_add_f32_e32 v80, v80, v171
	v_mul_f32_e32 v81, v114, v134
	s_waitcnt vmcnt(4)
	v_fma_f32 v82, v111, v152, -v82
	v_mul_f32_e32 v174, v113, v134
	v_add_f32_e32 v79, v79, v83
	v_fmac_f32_e32 v173, v112, v152
	v_add_f32_e32 v80, v80, v172
	s_waitcnt lgkmcnt(0)
	v_mul_f32_e32 v83, v116, v135
	s_waitcnt vmcnt(3)
	v_fma_f32 v81, v113, v153, -v81
	v_add_f32_e32 v79, v79, v82
	v_mul_f32_e32 v175, v115, v135
	v_fmac_f32_e32 v174, v114, v153
	v_add_f32_e32 v80, v80, v173
	s_waitcnt vmcnt(2)
	v_fma_f32 v82, v115, v154, -v83
	v_add_f32_e32 v79, v79, v81
	v_fmac_f32_e32 v175, v116, v154
	v_add_f32_e32 v80, v80, v174
	v_add_f32_e32 v79, v79, v82
	;; [unrolled: 1-line block ×3, first 2 shown]
	s_waitcnt vmcnt(1)
	v_sub_f32_e32 v79, v155, v79
	s_waitcnt vmcnt(0)
	v_sub_f32_e32 v80, v156, v80
	buffer_store_dword v79, off, s[0:3], 0 offset:144
	buffer_store_dword v80, off, s[0:3], 0 offset:148
	v_cmpx_lt_u32_e32 17, v0
	s_cbranch_execz .LBB37_207
; %bb.206:
	s_clause 0x1
	buffer_load_dword v79, off, s[0:3], 0 offset:136
	buffer_load_dword v80, off, s[0:3], 0 offset:140
	buffer_store_dword v78, off, s[0:3], 0 offset:136
	buffer_store_dword v78, off, s[0:3], 0 offset:140
	s_waitcnt vmcnt(0)
	ds_write_b64 v77, v[79:80]
.LBB37_207:
	s_or_b32 exec_lo, exec_lo, s4
	s_waitcnt lgkmcnt(0)
	s_waitcnt_vscnt null, 0x0
	s_barrier
	buffer_gl0_inv
	s_clause 0x29
	buffer_load_dword v119, off, s[0:3], 0 offset:148
	buffer_load_dword v120, off, s[0:3], 0 offset:156
	;; [unrolled: 1-line block ×42, first 2 shown]
	ds_read_b128 v[79:82], v78 offset:448
	ds_read_b128 v[83:86], v78 offset:464
	;; [unrolled: 1-line block ×10, first 2 shown]
	s_mov_b32 s4, exec_lo
	s_waitcnt vmcnt(41) lgkmcnt(9)
	v_mul_f32_e32 v78, v79, v119
	v_mul_f32_e32 v119, v80, v119
	s_waitcnt vmcnt(40)
	v_mul_f32_e32 v161, v81, v120
	v_mul_f32_e32 v120, v82, v120
	s_waitcnt vmcnt(39) lgkmcnt(8)
	v_mul_f32_e32 v162, v83, v121
	s_waitcnt vmcnt(38)
	v_mul_f32_e32 v163, v85, v122
	s_waitcnt vmcnt(37) lgkmcnt(7)
	v_mul_f32_e32 v164, v87, v123
	s_waitcnt vmcnt(36)
	;; [unrolled: 4-line block ×8, first 2 shown]
	v_mul_f32_e32 v177, v113, v136
	s_waitcnt vmcnt(21)
	v_fma_f32 v79, v79, v139, -v119
	v_fmac_f32_e32 v78, v80, v139
	v_mul_f32_e32 v80, v84, v121
	s_waitcnt vmcnt(20)
	v_fma_f32 v81, v81, v140, -v120
	v_fmac_f32_e32 v161, v82, v140
	v_add_f32_e32 v79, 0, v79
	v_add_f32_e32 v78, 0, v78
	v_mul_f32_e32 v82, v86, v122
	s_waitcnt vmcnt(19)
	v_fma_f32 v80, v83, v141, -v80
	v_fmac_f32_e32 v162, v84, v141
	v_add_f32_e32 v79, v79, v81
	v_add_f32_e32 v78, v78, v161
	;; [unrolled: 6-line block ×16, first 2 shown]
	s_waitcnt lgkmcnt(0)
	v_mul_f32_e32 v82, v116, v137
	s_waitcnt vmcnt(4)
	v_fma_f32 v80, v113, v156, -v80
	v_mul_f32_e32 v178, v115, v137
	v_add_f32_e32 v79, v79, v81
	v_fmac_f32_e32 v177, v114, v156
	v_add_f32_e32 v78, v78, v176
	v_mul_f32_e32 v81, v118, v138
	s_waitcnt vmcnt(3)
	v_fma_f32 v82, v115, v157, -v82
	v_add_f32_e32 v79, v79, v80
	v_mul_f32_e32 v179, v117, v138
	v_fmac_f32_e32 v178, v116, v157
	v_add_f32_e32 v78, v78, v177
	s_waitcnt vmcnt(2)
	v_fma_f32 v80, v117, v158, -v81
	v_add_f32_e32 v79, v79, v82
	v_fmac_f32_e32 v179, v118, v158
	v_add_f32_e32 v78, v78, v178
	v_add_f32_e32 v79, v79, v80
	;; [unrolled: 1-line block ×3, first 2 shown]
	s_waitcnt vmcnt(1)
	v_sub_f32_e32 v79, v159, v79
	s_waitcnt vmcnt(0)
	v_sub_f32_e32 v78, v160, v78
	buffer_store_dword v79, off, s[0:3], 0 offset:136
	buffer_store_dword v78, off, s[0:3], 0 offset:140
	v_cmpx_lt_u32_e32 16, v0
	s_cbranch_execz .LBB37_209
; %bb.208:
	s_clause 0x1
	buffer_load_dword v78, off, s[0:3], 0 offset:128
	buffer_load_dword v79, off, s[0:3], 0 offset:132
	v_mov_b32_e32 v80, 0
	buffer_store_dword v80, off, s[0:3], 0 offset:128
	buffer_store_dword v80, off, s[0:3], 0 offset:132
	s_waitcnt vmcnt(0)
	ds_write_b64 v77, v[78:79]
.LBB37_209:
	s_or_b32 exec_lo, exec_lo, s4
	s_waitcnt lgkmcnt(0)
	s_waitcnt_vscnt null, 0x0
	s_barrier
	buffer_gl0_inv
	s_clause 0x2b
	buffer_load_dword v121, off, s[0:3], 0 offset:140
	buffer_load_dword v122, off, s[0:3], 0 offset:148
	;; [unrolled: 1-line block ×44, first 2 shown]
	v_mov_b32_e32 v78, 0
	ds_read2_b64 v[79:82], v78 offset0:55 offset1:56
	ds_read2_b64 v[83:86], v78 offset0:57 offset1:58
	;; [unrolled: 1-line block ×10, first 2 shown]
	ds_read_b64 v[119:120], v78 offset:600
	s_mov_b32 s4, exec_lo
	s_waitcnt vmcnt(43) lgkmcnt(10)
	v_mul_f32_e32 v165, v79, v121
	v_mul_f32_e32 v121, v80, v121
	s_waitcnt vmcnt(42)
	v_mul_f32_e32 v166, v81, v122
	v_mul_f32_e32 v122, v82, v122
	s_waitcnt vmcnt(41) lgkmcnt(9)
	v_mul_f32_e32 v167, v83, v123
	s_waitcnt vmcnt(40)
	v_mul_f32_e32 v168, v85, v124
	s_waitcnt vmcnt(39) lgkmcnt(8)
	v_mul_f32_e32 v169, v87, v125
	s_waitcnt vmcnt(38)
	;; [unrolled: 4-line block ×9, first 2 shown]
	v_fma_f32 v79, v79, v142, -v121
	v_fmac_f32_e32 v165, v80, v142
	v_mul_f32_e32 v80, v84, v123
	s_waitcnt vmcnt(21)
	v_fma_f32 v81, v81, v143, -v122
	v_fmac_f32_e32 v166, v82, v143
	v_add_f32_e32 v79, 0, v79
	v_add_f32_e32 v82, 0, v165
	v_mul_f32_e32 v121, v86, v124
	s_waitcnt vmcnt(20)
	v_fma_f32 v80, v83, v144, -v80
	v_fmac_f32_e32 v167, v84, v144
	v_add_f32_e32 v79, v79, v81
	v_add_f32_e32 v81, v82, v166
	;; [unrolled: 6-line block ×17, first 2 shown]
	v_mul_f32_e32 v82, v118, v140
	s_waitcnt vmcnt(4)
	v_fma_f32 v83, v115, v160, -v83
	v_mul_f32_e32 v184, v117, v140
	v_add_f32_e32 v79, v79, v81
	v_fmac_f32_e32 v183, v116, v160
	v_add_f32_e32 v80, v80, v182
	s_waitcnt lgkmcnt(0)
	v_mul_f32_e32 v81, v120, v141
	s_waitcnt vmcnt(3)
	v_fma_f32 v82, v117, v161, -v82
	v_add_f32_e32 v79, v79, v83
	v_mul_f32_e32 v185, v119, v141
	v_fmac_f32_e32 v184, v118, v161
	v_add_f32_e32 v80, v80, v183
	s_waitcnt vmcnt(2)
	v_fma_f32 v81, v119, v162, -v81
	v_add_f32_e32 v79, v79, v82
	v_fmac_f32_e32 v185, v120, v162
	v_add_f32_e32 v80, v80, v184
	v_add_f32_e32 v79, v79, v81
	;; [unrolled: 1-line block ×3, first 2 shown]
	s_waitcnt vmcnt(1)
	v_sub_f32_e32 v79, v163, v79
	s_waitcnt vmcnt(0)
	v_sub_f32_e32 v80, v164, v80
	buffer_store_dword v79, off, s[0:3], 0 offset:128
	buffer_store_dword v80, off, s[0:3], 0 offset:132
	v_cmpx_lt_u32_e32 15, v0
	s_cbranch_execz .LBB37_211
; %bb.210:
	s_clause 0x1
	buffer_load_dword v79, off, s[0:3], 0 offset:120
	buffer_load_dword v80, off, s[0:3], 0 offset:124
	buffer_store_dword v78, off, s[0:3], 0 offset:120
	buffer_store_dword v78, off, s[0:3], 0 offset:124
	s_waitcnt vmcnt(0)
	ds_write_b64 v77, v[79:80]
.LBB37_211:
	s_or_b32 exec_lo, exec_lo, s4
	s_waitcnt lgkmcnt(0)
	s_waitcnt_vscnt null, 0x0
	s_barrier
	buffer_gl0_inv
	s_clause 0x2d
	buffer_load_dword v123, off, s[0:3], 0 offset:132
	buffer_load_dword v124, off, s[0:3], 0 offset:140
	;; [unrolled: 1-line block ×46, first 2 shown]
	ds_read_b128 v[79:82], v78 offset:432
	ds_read_b128 v[83:86], v78 offset:448
	;; [unrolled: 1-line block ×11, first 2 shown]
	s_mov_b32 s4, exec_lo
	s_waitcnt vmcnt(45) lgkmcnt(10)
	v_mul_f32_e32 v78, v79, v123
	v_mul_f32_e32 v123, v80, v123
	s_waitcnt vmcnt(44)
	v_mul_f32_e32 v169, v81, v124
	v_mul_f32_e32 v124, v82, v124
	s_waitcnt vmcnt(43) lgkmcnt(9)
	v_mul_f32_e32 v170, v83, v125
	s_waitcnt vmcnt(42)
	v_mul_f32_e32 v171, v85, v126
	s_waitcnt vmcnt(41) lgkmcnt(8)
	v_mul_f32_e32 v172, v87, v127
	s_waitcnt vmcnt(40)
	;; [unrolled: 4-line block ×9, first 2 shown]
	v_mul_f32_e32 v187, v117, v142
	s_waitcnt vmcnt(23)
	v_fma_f32 v79, v79, v145, -v123
	v_fmac_f32_e32 v78, v80, v145
	v_mul_f32_e32 v80, v84, v125
	s_waitcnt vmcnt(22)
	v_fma_f32 v81, v81, v146, -v124
	v_fmac_f32_e32 v169, v82, v146
	v_add_f32_e32 v79, 0, v79
	v_add_f32_e32 v78, 0, v78
	v_mul_f32_e32 v82, v86, v126
	s_waitcnt vmcnt(21)
	v_fma_f32 v80, v83, v147, -v80
	v_fmac_f32_e32 v170, v84, v147
	v_add_f32_e32 v79, v79, v81
	v_add_f32_e32 v78, v78, v169
	;; [unrolled: 6-line block ×18, first 2 shown]
	s_waitcnt lgkmcnt(0)
	v_mul_f32_e32 v80, v120, v143
	s_waitcnt vmcnt(4)
	v_fma_f32 v81, v117, v164, -v81
	v_mul_f32_e32 v188, v119, v143
	v_add_f32_e32 v79, v79, v82
	v_fmac_f32_e32 v187, v118, v164
	v_add_f32_e32 v78, v78, v186
	v_mul_f32_e32 v82, v122, v144
	s_waitcnt vmcnt(3)
	v_fma_f32 v80, v119, v165, -v80
	v_add_f32_e32 v79, v79, v81
	v_mul_f32_e32 v189, v121, v144
	v_fmac_f32_e32 v188, v120, v165
	v_add_f32_e32 v78, v78, v187
	s_waitcnt vmcnt(2)
	v_fma_f32 v81, v121, v166, -v82
	v_add_f32_e32 v79, v79, v80
	v_fmac_f32_e32 v189, v122, v166
	v_add_f32_e32 v78, v78, v188
	v_add_f32_e32 v79, v79, v81
	;; [unrolled: 1-line block ×3, first 2 shown]
	s_waitcnt vmcnt(1)
	v_sub_f32_e32 v79, v167, v79
	s_waitcnt vmcnt(0)
	v_sub_f32_e32 v78, v168, v78
	buffer_store_dword v79, off, s[0:3], 0 offset:120
	buffer_store_dword v78, off, s[0:3], 0 offset:124
	v_cmpx_lt_u32_e32 14, v0
	s_cbranch_execz .LBB37_213
; %bb.212:
	s_clause 0x1
	buffer_load_dword v78, off, s[0:3], 0 offset:112
	buffer_load_dword v79, off, s[0:3], 0 offset:116
	v_mov_b32_e32 v80, 0
	buffer_store_dword v80, off, s[0:3], 0 offset:112
	buffer_store_dword v80, off, s[0:3], 0 offset:116
	s_waitcnt vmcnt(0)
	ds_write_b64 v77, v[78:79]
.LBB37_213:
	s_or_b32 exec_lo, exec_lo, s4
	s_waitcnt lgkmcnt(0)
	s_waitcnt_vscnt null, 0x0
	s_barrier
	buffer_gl0_inv
	s_clause 0x2f
	buffer_load_dword v125, off, s[0:3], 0 offset:124
	buffer_load_dword v126, off, s[0:3], 0 offset:132
	buffer_load_dword v127, off, s[0:3], 0 offset:140
	buffer_load_dword v128, off, s[0:3], 0 offset:148
	buffer_load_dword v129, off, s[0:3], 0 offset:156
	buffer_load_dword v130, off, s[0:3], 0 offset:164
	buffer_load_dword v131, off, s[0:3], 0 offset:172
	buffer_load_dword v132, off, s[0:3], 0 offset:180
	buffer_load_dword v133, off, s[0:3], 0 offset:188
	buffer_load_dword v134, off, s[0:3], 0 offset:196
	buffer_load_dword v135, off, s[0:3], 0 offset:204
	buffer_load_dword v136, off, s[0:3], 0 offset:212
	buffer_load_dword v137, off, s[0:3], 0 offset:220
	buffer_load_dword v138, off, s[0:3], 0 offset:228
	buffer_load_dword v139, off, s[0:3], 0 offset:236
	buffer_load_dword v140, off, s[0:3], 0 offset:244
	buffer_load_dword v141, off, s[0:3], 0 offset:252
	buffer_load_dword v142, off, s[0:3], 0 offset:260
	buffer_load_dword v143, off, s[0:3], 0 offset:268
	buffer_load_dword v144, off, s[0:3], 0 offset:276
	buffer_load_dword v145, off, s[0:3], 0 offset:284
	buffer_load_dword v146, off, s[0:3], 0 offset:292
	buffer_load_dword v147, off, s[0:3], 0 offset:300
	buffer_load_dword v148, off, s[0:3], 0 offset:120
	buffer_load_dword v149, off, s[0:3], 0 offset:128
	buffer_load_dword v150, off, s[0:3], 0 offset:136
	buffer_load_dword v151, off, s[0:3], 0 offset:144
	buffer_load_dword v152, off, s[0:3], 0 offset:152
	buffer_load_dword v153, off, s[0:3], 0 offset:160
	buffer_load_dword v154, off, s[0:3], 0 offset:168
	buffer_load_dword v155, off, s[0:3], 0 offset:176
	buffer_load_dword v156, off, s[0:3], 0 offset:184
	buffer_load_dword v157, off, s[0:3], 0 offset:192
	buffer_load_dword v158, off, s[0:3], 0 offset:200
	buffer_load_dword v159, off, s[0:3], 0 offset:208
	buffer_load_dword v160, off, s[0:3], 0 offset:216
	buffer_load_dword v161, off, s[0:3], 0 offset:224
	buffer_load_dword v162, off, s[0:3], 0 offset:232
	buffer_load_dword v163, off, s[0:3], 0 offset:240
	buffer_load_dword v164, off, s[0:3], 0 offset:248
	buffer_load_dword v165, off, s[0:3], 0 offset:256
	buffer_load_dword v166, off, s[0:3], 0 offset:264
	buffer_load_dword v167, off, s[0:3], 0 offset:272
	buffer_load_dword v168, off, s[0:3], 0 offset:280
	buffer_load_dword v169, off, s[0:3], 0 offset:288
	buffer_load_dword v170, off, s[0:3], 0 offset:296
	buffer_load_dword v171, off, s[0:3], 0 offset:112
	buffer_load_dword v172, off, s[0:3], 0 offset:116
	v_mov_b32_e32 v78, 0
	ds_read2_b64 v[79:82], v78 offset0:53 offset1:54
	ds_read2_b64 v[83:86], v78 offset0:55 offset1:56
	;; [unrolled: 1-line block ×11, first 2 shown]
	ds_read_b64 v[123:124], v78 offset:600
	s_mov_b32 s4, exec_lo
	s_waitcnt vmcnt(47) lgkmcnt(11)
	v_mul_f32_e32 v173, v79, v125
	v_mul_f32_e32 v125, v80, v125
	s_waitcnt vmcnt(46)
	v_mul_f32_e32 v174, v81, v126
	v_mul_f32_e32 v126, v82, v126
	s_waitcnt vmcnt(45) lgkmcnt(10)
	v_mul_f32_e32 v175, v83, v127
	s_waitcnt vmcnt(44)
	v_mul_f32_e32 v176, v85, v128
	s_waitcnt vmcnt(43) lgkmcnt(9)
	v_mul_f32_e32 v177, v87, v129
	s_waitcnt vmcnt(42)
	;; [unrolled: 4-line block ×10, first 2 shown]
	v_fma_f32 v79, v79, v148, -v125
	v_fmac_f32_e32 v173, v80, v148
	v_mul_f32_e32 v80, v84, v127
	s_waitcnt vmcnt(23)
	v_fma_f32 v81, v81, v149, -v126
	v_fmac_f32_e32 v174, v82, v149
	v_add_f32_e32 v79, 0, v79
	v_add_f32_e32 v82, 0, v173
	v_mul_f32_e32 v125, v86, v128
	s_waitcnt vmcnt(22)
	v_fma_f32 v80, v83, v150, -v80
	v_fmac_f32_e32 v175, v84, v150
	v_add_f32_e32 v79, v79, v81
	v_add_f32_e32 v81, v82, v174
	;; [unrolled: 6-line block ×19, first 2 shown]
	v_mul_f32_e32 v83, v122, v146
	s_waitcnt vmcnt(4)
	v_fma_f32 v81, v119, v168, -v81
	v_mul_f32_e32 v194, v121, v146
	v_add_f32_e32 v79, v79, v82
	v_fmac_f32_e32 v193, v120, v168
	v_add_f32_e32 v80, v80, v192
	s_waitcnt lgkmcnt(0)
	v_mul_f32_e32 v82, v124, v147
	s_waitcnt vmcnt(3)
	v_fma_f32 v83, v121, v169, -v83
	v_add_f32_e32 v79, v79, v81
	v_mul_f32_e32 v195, v123, v147
	v_fmac_f32_e32 v194, v122, v169
	v_add_f32_e32 v80, v80, v193
	s_waitcnt vmcnt(2)
	v_fma_f32 v81, v123, v170, -v82
	v_add_f32_e32 v79, v79, v83
	v_fmac_f32_e32 v195, v124, v170
	v_add_f32_e32 v80, v80, v194
	v_add_f32_e32 v79, v79, v81
	;; [unrolled: 1-line block ×3, first 2 shown]
	s_waitcnt vmcnt(1)
	v_sub_f32_e32 v79, v171, v79
	s_waitcnt vmcnt(0)
	v_sub_f32_e32 v80, v172, v80
	buffer_store_dword v79, off, s[0:3], 0 offset:112
	buffer_store_dword v80, off, s[0:3], 0 offset:116
	v_cmpx_lt_u32_e32 13, v0
	s_cbranch_execz .LBB37_215
; %bb.214:
	s_clause 0x1
	buffer_load_dword v79, off, s[0:3], 0 offset:104
	buffer_load_dword v80, off, s[0:3], 0 offset:108
	buffer_store_dword v78, off, s[0:3], 0 offset:104
	buffer_store_dword v78, off, s[0:3], 0 offset:108
	s_waitcnt vmcnt(0)
	ds_write_b64 v77, v[79:80]
.LBB37_215:
	s_or_b32 exec_lo, exec_lo, s4
	s_waitcnt lgkmcnt(0)
	s_waitcnt_vscnt null, 0x0
	s_barrier
	buffer_gl0_inv
	s_clause 0x31
	buffer_load_dword v127, off, s[0:3], 0 offset:116
	buffer_load_dword v128, off, s[0:3], 0 offset:124
	;; [unrolled: 1-line block ×50, first 2 shown]
	ds_read_b128 v[79:82], v78 offset:416
	ds_read_b128 v[83:86], v78 offset:432
	;; [unrolled: 1-line block ×12, first 2 shown]
	s_mov_b32 s4, exec_lo
	s_waitcnt vmcnt(49) lgkmcnt(11)
	v_mul_f32_e32 v78, v79, v127
	v_mul_f32_e32 v127, v80, v127
	s_waitcnt vmcnt(48)
	v_mul_f32_e32 v177, v81, v128
	v_mul_f32_e32 v128, v82, v128
	s_waitcnt vmcnt(47) lgkmcnt(10)
	v_mul_f32_e32 v178, v83, v129
	s_waitcnt vmcnt(46)
	v_mul_f32_e32 v179, v85, v130
	s_waitcnt vmcnt(45) lgkmcnt(9)
	v_mul_f32_e32 v180, v87, v131
	s_waitcnt vmcnt(44)
	;; [unrolled: 4-line block ×10, first 2 shown]
	v_mul_f32_e32 v197, v121, v148
	s_waitcnt vmcnt(25)
	v_fma_f32 v79, v79, v151, -v127
	v_fmac_f32_e32 v78, v80, v151
	v_mul_f32_e32 v80, v84, v129
	s_waitcnt vmcnt(24)
	v_fma_f32 v81, v81, v152, -v128
	v_fmac_f32_e32 v177, v82, v152
	v_add_f32_e32 v79, 0, v79
	v_add_f32_e32 v78, 0, v78
	v_mul_f32_e32 v82, v86, v130
	s_waitcnt vmcnt(23)
	v_fma_f32 v80, v83, v153, -v80
	v_fmac_f32_e32 v178, v84, v153
	v_add_f32_e32 v79, v79, v81
	v_add_f32_e32 v78, v78, v177
	;; [unrolled: 6-line block ×20, first 2 shown]
	s_waitcnt lgkmcnt(0)
	v_mul_f32_e32 v81, v124, v149
	s_waitcnt vmcnt(4)
	v_fma_f32 v82, v121, v172, -v82
	v_mul_f32_e32 v198, v123, v149
	v_add_f32_e32 v79, v79, v80
	v_fmac_f32_e32 v197, v122, v172
	v_add_f32_e32 v78, v78, v196
	v_mul_f32_e32 v80, v126, v150
	s_waitcnt vmcnt(3)
	v_fma_f32 v81, v123, v173, -v81
	v_add_f32_e32 v79, v79, v82
	v_mul_f32_e32 v199, v125, v150
	v_fmac_f32_e32 v198, v124, v173
	v_add_f32_e32 v78, v78, v197
	s_waitcnt vmcnt(2)
	v_fma_f32 v80, v125, v174, -v80
	v_add_f32_e32 v79, v79, v81
	v_fmac_f32_e32 v199, v126, v174
	v_add_f32_e32 v78, v78, v198
	v_add_f32_e32 v79, v79, v80
	;; [unrolled: 1-line block ×3, first 2 shown]
	s_waitcnt vmcnt(1)
	v_sub_f32_e32 v79, v175, v79
	s_waitcnt vmcnt(0)
	v_sub_f32_e32 v78, v176, v78
	buffer_store_dword v79, off, s[0:3], 0 offset:104
	buffer_store_dword v78, off, s[0:3], 0 offset:108
	v_cmpx_lt_u32_e32 12, v0
	s_cbranch_execz .LBB37_217
; %bb.216:
	s_clause 0x1
	buffer_load_dword v78, off, s[0:3], 0 offset:96
	buffer_load_dword v79, off, s[0:3], 0 offset:100
	v_mov_b32_e32 v80, 0
	buffer_store_dword v80, off, s[0:3], 0 offset:96
	buffer_store_dword v80, off, s[0:3], 0 offset:100
	s_waitcnt vmcnt(0)
	ds_write_b64 v77, v[78:79]
.LBB37_217:
	s_or_b32 exec_lo, exec_lo, s4
	s_waitcnt lgkmcnt(0)
	s_waitcnt_vscnt null, 0x0
	s_barrier
	buffer_gl0_inv
	s_clause 0x33
	buffer_load_dword v129, off, s[0:3], 0 offset:108
	buffer_load_dword v130, off, s[0:3], 0 offset:116
	buffer_load_dword v131, off, s[0:3], 0 offset:124
	buffer_load_dword v132, off, s[0:3], 0 offset:132
	buffer_load_dword v133, off, s[0:3], 0 offset:140
	buffer_load_dword v134, off, s[0:3], 0 offset:148
	buffer_load_dword v135, off, s[0:3], 0 offset:156
	buffer_load_dword v136, off, s[0:3], 0 offset:164
	buffer_load_dword v137, off, s[0:3], 0 offset:172
	buffer_load_dword v138, off, s[0:3], 0 offset:180
	buffer_load_dword v139, off, s[0:3], 0 offset:188
	buffer_load_dword v140, off, s[0:3], 0 offset:196
	buffer_load_dword v141, off, s[0:3], 0 offset:204
	buffer_load_dword v142, off, s[0:3], 0 offset:212
	buffer_load_dword v143, off, s[0:3], 0 offset:220
	buffer_load_dword v144, off, s[0:3], 0 offset:228
	buffer_load_dword v145, off, s[0:3], 0 offset:236
	buffer_load_dword v146, off, s[0:3], 0 offset:244
	buffer_load_dword v147, off, s[0:3], 0 offset:252
	buffer_load_dword v148, off, s[0:3], 0 offset:260
	buffer_load_dword v149, off, s[0:3], 0 offset:268
	buffer_load_dword v150, off, s[0:3], 0 offset:276
	buffer_load_dword v151, off, s[0:3], 0 offset:284
	buffer_load_dword v152, off, s[0:3], 0 offset:292
	buffer_load_dword v153, off, s[0:3], 0 offset:300
	buffer_load_dword v154, off, s[0:3], 0 offset:104
	buffer_load_dword v155, off, s[0:3], 0 offset:112
	buffer_load_dword v156, off, s[0:3], 0 offset:120
	buffer_load_dword v157, off, s[0:3], 0 offset:128
	buffer_load_dword v158, off, s[0:3], 0 offset:136
	buffer_load_dword v159, off, s[0:3], 0 offset:144
	buffer_load_dword v160, off, s[0:3], 0 offset:152
	buffer_load_dword v161, off, s[0:3], 0 offset:160
	buffer_load_dword v162, off, s[0:3], 0 offset:168
	buffer_load_dword v163, off, s[0:3], 0 offset:176
	buffer_load_dword v164, off, s[0:3], 0 offset:184
	buffer_load_dword v165, off, s[0:3], 0 offset:192
	buffer_load_dword v166, off, s[0:3], 0 offset:200
	buffer_load_dword v167, off, s[0:3], 0 offset:208
	buffer_load_dword v168, off, s[0:3], 0 offset:216
	buffer_load_dword v169, off, s[0:3], 0 offset:224
	buffer_load_dword v170, off, s[0:3], 0 offset:232
	buffer_load_dword v171, off, s[0:3], 0 offset:240
	buffer_load_dword v172, off, s[0:3], 0 offset:248
	buffer_load_dword v173, off, s[0:3], 0 offset:256
	buffer_load_dword v174, off, s[0:3], 0 offset:264
	buffer_load_dword v175, off, s[0:3], 0 offset:272
	buffer_load_dword v176, off, s[0:3], 0 offset:280
	buffer_load_dword v177, off, s[0:3], 0 offset:288
	buffer_load_dword v178, off, s[0:3], 0 offset:296
	buffer_load_dword v179, off, s[0:3], 0 offset:96
	buffer_load_dword v180, off, s[0:3], 0 offset:100
	v_mov_b32_e32 v78, 0
	ds_read2_b64 v[79:82], v78 offset0:51 offset1:52
	ds_read2_b64 v[83:86], v78 offset0:53 offset1:54
	;; [unrolled: 1-line block ×12, first 2 shown]
	ds_read_b64 v[127:128], v78 offset:600
	s_mov_b32 s4, exec_lo
	s_waitcnt vmcnt(51) lgkmcnt(12)
	v_mul_f32_e32 v181, v79, v129
	v_mul_f32_e32 v129, v80, v129
	s_waitcnt vmcnt(50)
	v_mul_f32_e32 v182, v81, v130
	v_mul_f32_e32 v130, v82, v130
	s_waitcnt vmcnt(49) lgkmcnt(11)
	v_mul_f32_e32 v183, v83, v131
	s_waitcnt vmcnt(48)
	v_mul_f32_e32 v184, v85, v132
	s_waitcnt vmcnt(47) lgkmcnt(10)
	v_mul_f32_e32 v185, v87, v133
	s_waitcnt vmcnt(46)
	;; [unrolled: 4-line block ×11, first 2 shown]
	v_fma_f32 v79, v79, v154, -v129
	v_fmac_f32_e32 v181, v80, v154
	v_mul_f32_e32 v80, v84, v131
	s_waitcnt vmcnt(25)
	v_fma_f32 v81, v81, v155, -v130
	v_fmac_f32_e32 v182, v82, v155
	v_add_f32_e32 v79, 0, v79
	v_add_f32_e32 v82, 0, v181
	v_mul_f32_e32 v129, v86, v132
	s_waitcnt vmcnt(24)
	v_fma_f32 v80, v83, v156, -v80
	v_fmac_f32_e32 v183, v84, v156
	v_add_f32_e32 v79, v79, v81
	v_add_f32_e32 v81, v82, v182
	;; [unrolled: 6-line block ×21, first 2 shown]
	v_mul_f32_e32 v81, v126, v152
	s_waitcnt vmcnt(4)
	v_fma_f32 v82, v123, v176, -v82
	v_mul_f32_e32 v204, v125, v152
	v_add_f32_e32 v79, v79, v83
	v_fmac_f32_e32 v203, v124, v176
	v_add_f32_e32 v80, v80, v202
	s_waitcnt lgkmcnt(0)
	v_mul_f32_e32 v83, v128, v153
	s_waitcnt vmcnt(3)
	v_fma_f32 v81, v125, v177, -v81
	v_add_f32_e32 v79, v79, v82
	v_mul_f32_e32 v205, v127, v153
	v_fmac_f32_e32 v204, v126, v177
	v_add_f32_e32 v80, v80, v203
	s_waitcnt vmcnt(2)
	v_fma_f32 v82, v127, v178, -v83
	v_add_f32_e32 v79, v79, v81
	v_fmac_f32_e32 v205, v128, v178
	v_add_f32_e32 v80, v80, v204
	v_add_f32_e32 v79, v79, v82
	;; [unrolled: 1-line block ×3, first 2 shown]
	s_waitcnt vmcnt(1)
	v_sub_f32_e32 v79, v179, v79
	s_waitcnt vmcnt(0)
	v_sub_f32_e32 v80, v180, v80
	buffer_store_dword v79, off, s[0:3], 0 offset:96
	buffer_store_dword v80, off, s[0:3], 0 offset:100
	v_cmpx_lt_u32_e32 11, v0
	s_cbranch_execz .LBB37_219
; %bb.218:
	s_clause 0x1
	buffer_load_dword v79, off, s[0:3], 0 offset:88
	buffer_load_dword v80, off, s[0:3], 0 offset:92
	buffer_store_dword v78, off, s[0:3], 0 offset:88
	buffer_store_dword v78, off, s[0:3], 0 offset:92
	s_waitcnt vmcnt(0)
	ds_write_b64 v77, v[79:80]
.LBB37_219:
	s_or_b32 exec_lo, exec_lo, s4
	s_waitcnt lgkmcnt(0)
	s_waitcnt_vscnt null, 0x0
	s_barrier
	buffer_gl0_inv
	s_clause 0x35
	buffer_load_dword v131, off, s[0:3], 0 offset:100
	buffer_load_dword v132, off, s[0:3], 0 offset:108
	;; [unrolled: 1-line block ×54, first 2 shown]
	ds_read_b128 v[79:82], v78 offset:400
	ds_read_b128 v[83:86], v78 offset:416
	;; [unrolled: 1-line block ×13, first 2 shown]
	s_mov_b32 s4, exec_lo
	s_waitcnt vmcnt(53) lgkmcnt(12)
	v_mul_f32_e32 v78, v79, v131
	v_mul_f32_e32 v131, v80, v131
	s_waitcnt vmcnt(52)
	v_mul_f32_e32 v185, v81, v132
	v_mul_f32_e32 v132, v82, v132
	s_waitcnt vmcnt(51) lgkmcnt(11)
	v_mul_f32_e32 v186, v83, v133
	s_waitcnt vmcnt(50)
	v_mul_f32_e32 v187, v85, v134
	s_waitcnt vmcnt(49) lgkmcnt(10)
	v_mul_f32_e32 v188, v87, v135
	s_waitcnt vmcnt(48)
	;; [unrolled: 4-line block ×11, first 2 shown]
	v_mul_f32_e32 v207, v125, v154
	s_waitcnt vmcnt(27)
	v_fma_f32 v79, v79, v157, -v131
	v_fmac_f32_e32 v78, v80, v157
	v_mul_f32_e32 v80, v84, v133
	s_waitcnt vmcnt(26)
	v_fma_f32 v81, v81, v158, -v132
	v_fmac_f32_e32 v185, v82, v158
	v_add_f32_e32 v79, 0, v79
	v_add_f32_e32 v78, 0, v78
	v_mul_f32_e32 v82, v86, v134
	s_waitcnt vmcnt(25)
	v_fma_f32 v80, v83, v159, -v80
	v_fmac_f32_e32 v186, v84, v159
	v_add_f32_e32 v79, v79, v81
	v_add_f32_e32 v78, v78, v185
	;; [unrolled: 6-line block ×22, first 2 shown]
	s_waitcnt lgkmcnt(0)
	v_mul_f32_e32 v82, v128, v155
	s_waitcnt vmcnt(4)
	v_fma_f32 v80, v125, v180, -v80
	v_mul_f32_e32 v208, v127, v155
	v_add_f32_e32 v79, v79, v81
	v_fmac_f32_e32 v207, v126, v180
	v_add_f32_e32 v78, v78, v206
	v_mul_f32_e32 v81, v130, v156
	s_waitcnt vmcnt(3)
	v_fma_f32 v82, v127, v181, -v82
	v_add_f32_e32 v79, v79, v80
	v_mul_f32_e32 v209, v129, v156
	v_fmac_f32_e32 v208, v128, v181
	v_add_f32_e32 v78, v78, v207
	s_waitcnt vmcnt(2)
	v_fma_f32 v80, v129, v182, -v81
	v_add_f32_e32 v79, v79, v82
	v_fmac_f32_e32 v209, v130, v182
	v_add_f32_e32 v78, v78, v208
	v_add_f32_e32 v79, v79, v80
	;; [unrolled: 1-line block ×3, first 2 shown]
	s_waitcnt vmcnt(1)
	v_sub_f32_e32 v79, v183, v79
	s_waitcnt vmcnt(0)
	v_sub_f32_e32 v78, v184, v78
	buffer_store_dword v79, off, s[0:3], 0 offset:88
	buffer_store_dword v78, off, s[0:3], 0 offset:92
	v_cmpx_lt_u32_e32 10, v0
	s_cbranch_execz .LBB37_221
; %bb.220:
	s_clause 0x1
	buffer_load_dword v78, off, s[0:3], 0 offset:80
	buffer_load_dword v79, off, s[0:3], 0 offset:84
	v_mov_b32_e32 v80, 0
	buffer_store_dword v80, off, s[0:3], 0 offset:80
	buffer_store_dword v80, off, s[0:3], 0 offset:84
	s_waitcnt vmcnt(0)
	ds_write_b64 v77, v[78:79]
.LBB37_221:
	s_or_b32 exec_lo, exec_lo, s4
	s_waitcnt lgkmcnt(0)
	s_waitcnt_vscnt null, 0x0
	s_barrier
	buffer_gl0_inv
	s_clause 0x37
	buffer_load_dword v133, off, s[0:3], 0 offset:92
	buffer_load_dword v134, off, s[0:3], 0 offset:100
	;; [unrolled: 1-line block ×56, first 2 shown]
	v_mov_b32_e32 v78, 0
	ds_read2_b64 v[79:82], v78 offset0:49 offset1:50
	ds_read2_b64 v[83:86], v78 offset0:51 offset1:52
	;; [unrolled: 1-line block ×13, first 2 shown]
	ds_read_b64 v[131:132], v78 offset:600
	s_mov_b32 s4, exec_lo
	s_waitcnt vmcnt(55) lgkmcnt(13)
	v_mul_f32_e32 v189, v79, v133
	v_mul_f32_e32 v133, v80, v133
	s_waitcnt vmcnt(54)
	v_mul_f32_e32 v190, v81, v134
	v_mul_f32_e32 v134, v82, v134
	s_waitcnt vmcnt(53) lgkmcnt(12)
	v_mul_f32_e32 v191, v83, v135
	s_waitcnt vmcnt(52)
	v_mul_f32_e32 v192, v85, v136
	s_waitcnt vmcnt(51) lgkmcnt(11)
	v_mul_f32_e32 v193, v87, v137
	s_waitcnt vmcnt(50)
	;; [unrolled: 4-line block ×12, first 2 shown]
	v_fma_f32 v79, v79, v160, -v133
	v_fmac_f32_e32 v189, v80, v160
	v_mul_f32_e32 v80, v84, v135
	s_waitcnt vmcnt(27)
	v_fma_f32 v81, v81, v161, -v134
	v_fmac_f32_e32 v190, v82, v161
	v_add_f32_e32 v79, 0, v79
	v_add_f32_e32 v82, 0, v189
	v_mul_f32_e32 v133, v86, v136
	s_waitcnt vmcnt(26)
	v_fma_f32 v80, v83, v162, -v80
	v_fmac_f32_e32 v191, v84, v162
	v_add_f32_e32 v79, v79, v81
	v_add_f32_e32 v81, v82, v190
	;; [unrolled: 6-line block ×23, first 2 shown]
	v_mul_f32_e32 v82, v130, v158
	s_waitcnt vmcnt(4)
	v_fma_f32 v83, v127, v184, -v83
	v_mul_f32_e32 v214, v129, v158
	v_add_f32_e32 v79, v79, v81
	v_fmac_f32_e32 v213, v128, v184
	v_add_f32_e32 v80, v80, v212
	s_waitcnt lgkmcnt(0)
	v_mul_f32_e32 v81, v132, v159
	s_waitcnt vmcnt(3)
	v_fma_f32 v82, v129, v185, -v82
	v_add_f32_e32 v79, v79, v83
	v_mul_f32_e32 v215, v131, v159
	v_fmac_f32_e32 v214, v130, v185
	v_add_f32_e32 v80, v80, v213
	s_waitcnt vmcnt(2)
	v_fma_f32 v81, v131, v186, -v81
	v_add_f32_e32 v79, v79, v82
	v_fmac_f32_e32 v215, v132, v186
	v_add_f32_e32 v80, v80, v214
	v_add_f32_e32 v79, v79, v81
	;; [unrolled: 1-line block ×3, first 2 shown]
	s_waitcnt vmcnt(1)
	v_sub_f32_e32 v79, v187, v79
	s_waitcnt vmcnt(0)
	v_sub_f32_e32 v80, v188, v80
	buffer_store_dword v79, off, s[0:3], 0 offset:80
	buffer_store_dword v80, off, s[0:3], 0 offset:84
	v_cmpx_lt_u32_e32 9, v0
	s_cbranch_execz .LBB37_223
; %bb.222:
	s_clause 0x1
	buffer_load_dword v79, off, s[0:3], 0 offset:72
	buffer_load_dword v80, off, s[0:3], 0 offset:76
	buffer_store_dword v78, off, s[0:3], 0 offset:72
	buffer_store_dword v78, off, s[0:3], 0 offset:76
	s_waitcnt vmcnt(0)
	ds_write_b64 v77, v[79:80]
.LBB37_223:
	s_or_b32 exec_lo, exec_lo, s4
	s_waitcnt lgkmcnt(0)
	s_waitcnt_vscnt null, 0x0
	s_barrier
	buffer_gl0_inv
	s_clause 0x39
	buffer_load_dword v135, off, s[0:3], 0 offset:84
	buffer_load_dword v136, off, s[0:3], 0 offset:92
	;; [unrolled: 1-line block ×58, first 2 shown]
	ds_read_b128 v[79:82], v78 offset:384
	ds_read_b128 v[83:86], v78 offset:400
	;; [unrolled: 1-line block ×14, first 2 shown]
	s_mov_b32 s4, exec_lo
	s_waitcnt vmcnt(57) lgkmcnt(13)
	v_mul_f32_e32 v78, v79, v135
	v_mul_f32_e32 v135, v80, v135
	s_waitcnt vmcnt(56)
	v_mul_f32_e32 v193, v81, v136
	v_mul_f32_e32 v136, v82, v136
	s_waitcnt vmcnt(55) lgkmcnt(12)
	v_mul_f32_e32 v194, v83, v137
	s_waitcnt vmcnt(54)
	v_mul_f32_e32 v195, v85, v138
	s_waitcnt vmcnt(53) lgkmcnt(11)
	v_mul_f32_e32 v196, v87, v139
	s_waitcnt vmcnt(52)
	v_mul_f32_e32 v197, v89, v140
	s_waitcnt vmcnt(51) lgkmcnt(10)
	v_mul_f32_e32 v198, v91, v141
	s_waitcnt vmcnt(50)
	v_mul_f32_e32 v199, v93, v142
	s_waitcnt vmcnt(49) lgkmcnt(9)
	v_mul_f32_e32 v200, v95, v143
	s_waitcnt vmcnt(48)
	v_mul_f32_e32 v201, v97, v144
	s_waitcnt vmcnt(47) lgkmcnt(8)
	v_mul_f32_e32 v202, v99, v145
	s_waitcnt vmcnt(46)
	v_mul_f32_e32 v203, v101, v146
	s_waitcnt vmcnt(45) lgkmcnt(7)
	v_mul_f32_e32 v204, v103, v147
	s_waitcnt vmcnt(44)
	v_mul_f32_e32 v205, v105, v148
	s_waitcnt vmcnt(43) lgkmcnt(6)
	v_mul_f32_e32 v206, v107, v149
	s_waitcnt vmcnt(42)
	v_mul_f32_e32 v207, v109, v150
	s_waitcnt vmcnt(41) lgkmcnt(5)
	v_mul_f32_e32 v208, v111, v151
	s_waitcnt vmcnt(40)
	v_mul_f32_e32 v209, v113, v152
	s_waitcnt vmcnt(39) lgkmcnt(4)
	v_mul_f32_e32 v210, v115, v153
	s_waitcnt vmcnt(38)
	v_mul_f32_e32 v211, v117, v154
	s_waitcnt vmcnt(37) lgkmcnt(3)
	v_mul_f32_e32 v212, v119, v155
	s_waitcnt vmcnt(36)
	v_mul_f32_e32 v213, v121, v156
	s_waitcnt vmcnt(35) lgkmcnt(2)
	v_mul_f32_e32 v214, v123, v157
	s_waitcnt vmcnt(34)
	v_mul_f32_e32 v215, v125, v158
	s_waitcnt vmcnt(33) lgkmcnt(1)
	v_mul_f32_e32 v216, v127, v159
	s_waitcnt vmcnt(32)
	v_mul_f32_e32 v217, v129, v160
	s_waitcnt vmcnt(29)
	v_fma_f32 v79, v79, v163, -v135
	v_fmac_f32_e32 v78, v80, v163
	v_mul_f32_e32 v80, v84, v137
	s_waitcnt vmcnt(28)
	v_fma_f32 v81, v81, v164, -v136
	v_fmac_f32_e32 v193, v82, v164
	v_add_f32_e32 v79, 0, v79
	v_add_f32_e32 v78, 0, v78
	v_mul_f32_e32 v82, v86, v138
	s_waitcnt vmcnt(27)
	v_fma_f32 v80, v83, v165, -v80
	v_fmac_f32_e32 v194, v84, v165
	v_add_f32_e32 v79, v79, v81
	v_add_f32_e32 v78, v78, v193
	v_mul_f32_e32 v81, v88, v139
	s_waitcnt vmcnt(26)
	v_fma_f32 v82, v85, v166, -v82
	v_fmac_f32_e32 v195, v86, v166
	v_add_f32_e32 v79, v79, v80
	v_add_f32_e32 v78, v78, v194
	v_mul_f32_e32 v80, v90, v140
	s_waitcnt vmcnt(25)
	v_fma_f32 v81, v87, v167, -v81
	v_fmac_f32_e32 v196, v88, v167
	v_add_f32_e32 v79, v79, v82
	v_add_f32_e32 v78, v78, v195
	v_mul_f32_e32 v82, v92, v141
	s_waitcnt vmcnt(24)
	v_fma_f32 v80, v89, v168, -v80
	v_fmac_f32_e32 v197, v90, v168
	v_add_f32_e32 v79, v79, v81
	v_add_f32_e32 v78, v78, v196
	v_mul_f32_e32 v81, v94, v142
	s_waitcnt vmcnt(23)
	v_fma_f32 v82, v91, v169, -v82
	v_fmac_f32_e32 v198, v92, v169
	v_add_f32_e32 v79, v79, v80
	v_add_f32_e32 v78, v78, v197
	v_mul_f32_e32 v80, v96, v143
	s_waitcnt vmcnt(22)
	v_fma_f32 v81, v93, v170, -v81
	v_fmac_f32_e32 v199, v94, v170
	v_add_f32_e32 v79, v79, v82
	v_add_f32_e32 v78, v78, v198
	v_mul_f32_e32 v82, v98, v144
	s_waitcnt vmcnt(21)
	v_fma_f32 v80, v95, v171, -v80
	v_fmac_f32_e32 v200, v96, v171
	v_add_f32_e32 v79, v79, v81
	v_add_f32_e32 v78, v78, v199
	v_mul_f32_e32 v81, v100, v145
	s_waitcnt vmcnt(20)
	v_fma_f32 v82, v97, v172, -v82
	v_fmac_f32_e32 v201, v98, v172
	v_add_f32_e32 v79, v79, v80
	v_add_f32_e32 v78, v78, v200
	v_mul_f32_e32 v80, v102, v146
	s_waitcnt vmcnt(19)
	v_fma_f32 v81, v99, v173, -v81
	v_fmac_f32_e32 v202, v100, v173
	v_add_f32_e32 v79, v79, v82
	v_add_f32_e32 v78, v78, v201
	v_mul_f32_e32 v82, v104, v147
	s_waitcnt vmcnt(18)
	v_fma_f32 v80, v101, v174, -v80
	v_fmac_f32_e32 v203, v102, v174
	v_add_f32_e32 v79, v79, v81
	v_add_f32_e32 v78, v78, v202
	v_mul_f32_e32 v81, v106, v148
	s_waitcnt vmcnt(17)
	v_fma_f32 v82, v103, v175, -v82
	v_fmac_f32_e32 v204, v104, v175
	v_add_f32_e32 v79, v79, v80
	v_add_f32_e32 v78, v78, v203
	v_mul_f32_e32 v80, v108, v149
	s_waitcnt vmcnt(16)
	v_fma_f32 v81, v105, v176, -v81
	v_fmac_f32_e32 v205, v106, v176
	v_add_f32_e32 v79, v79, v82
	v_add_f32_e32 v78, v78, v204
	v_mul_f32_e32 v82, v110, v150
	s_waitcnt vmcnt(15)
	v_fma_f32 v80, v107, v177, -v80
	v_fmac_f32_e32 v206, v108, v177
	v_add_f32_e32 v79, v79, v81
	v_add_f32_e32 v78, v78, v205
	v_mul_f32_e32 v81, v112, v151
	s_waitcnt vmcnt(14)
	v_fma_f32 v82, v109, v178, -v82
	v_fmac_f32_e32 v207, v110, v178
	v_add_f32_e32 v79, v79, v80
	v_add_f32_e32 v78, v78, v206
	v_mul_f32_e32 v80, v114, v152
	s_waitcnt vmcnt(13)
	v_fma_f32 v81, v111, v179, -v81
	v_fmac_f32_e32 v208, v112, v179
	v_add_f32_e32 v79, v79, v82
	v_add_f32_e32 v78, v78, v207
	v_mul_f32_e32 v82, v116, v153
	s_waitcnt vmcnt(12)
	v_fma_f32 v80, v113, v180, -v80
	v_fmac_f32_e32 v209, v114, v180
	v_add_f32_e32 v79, v79, v81
	v_add_f32_e32 v78, v78, v208
	v_mul_f32_e32 v81, v118, v154
	s_waitcnt vmcnt(11)
	v_fma_f32 v82, v115, v181, -v82
	v_fmac_f32_e32 v210, v116, v181
	v_add_f32_e32 v79, v79, v80
	v_add_f32_e32 v78, v78, v209
	v_mul_f32_e32 v80, v120, v155
	s_waitcnt vmcnt(10)
	v_fma_f32 v81, v117, v182, -v81
	v_fmac_f32_e32 v211, v118, v182
	v_add_f32_e32 v79, v79, v82
	v_add_f32_e32 v78, v78, v210
	v_mul_f32_e32 v82, v122, v156
	s_waitcnt vmcnt(9)
	v_fma_f32 v80, v119, v183, -v80
	v_fmac_f32_e32 v212, v120, v183
	v_add_f32_e32 v79, v79, v81
	v_add_f32_e32 v78, v78, v211
	v_mul_f32_e32 v81, v124, v157
	s_waitcnt vmcnt(8)
	v_fma_f32 v82, v121, v184, -v82
	v_fmac_f32_e32 v213, v122, v184
	v_add_f32_e32 v79, v79, v80
	v_add_f32_e32 v78, v78, v212
	v_mul_f32_e32 v80, v126, v158
	s_waitcnt vmcnt(7)
	v_fma_f32 v81, v123, v185, -v81
	v_fmac_f32_e32 v214, v124, v185
	v_add_f32_e32 v79, v79, v82
	v_add_f32_e32 v78, v78, v213
	v_mul_f32_e32 v82, v128, v159
	s_waitcnt vmcnt(6)
	v_fma_f32 v80, v125, v186, -v80
	v_fmac_f32_e32 v215, v126, v186
	v_add_f32_e32 v79, v79, v81
	v_add_f32_e32 v78, v78, v214
	v_mul_f32_e32 v81, v130, v160
	s_waitcnt vmcnt(5)
	v_fma_f32 v82, v127, v187, -v82
	v_fmac_f32_e32 v216, v128, v187
	v_add_f32_e32 v79, v79, v80
	v_add_f32_e32 v78, v78, v215
	s_waitcnt lgkmcnt(0)
	v_mul_f32_e32 v80, v132, v161
	s_waitcnt vmcnt(4)
	v_fma_f32 v81, v129, v188, -v81
	v_mul_f32_e32 v218, v131, v161
	v_add_f32_e32 v79, v79, v82
	v_fmac_f32_e32 v217, v130, v188
	v_add_f32_e32 v78, v78, v216
	v_mul_f32_e32 v82, v134, v162
	s_waitcnt vmcnt(3)
	v_fma_f32 v80, v131, v189, -v80
	v_add_f32_e32 v79, v79, v81
	v_mul_f32_e32 v219, v133, v162
	v_fmac_f32_e32 v218, v132, v189
	v_add_f32_e32 v78, v78, v217
	s_waitcnt vmcnt(2)
	v_fma_f32 v81, v133, v190, -v82
	v_add_f32_e32 v79, v79, v80
	v_fmac_f32_e32 v219, v134, v190
	v_add_f32_e32 v78, v78, v218
	v_add_f32_e32 v79, v79, v81
	;; [unrolled: 1-line block ×3, first 2 shown]
	s_waitcnt vmcnt(1)
	v_sub_f32_e32 v79, v191, v79
	s_waitcnt vmcnt(0)
	v_sub_f32_e32 v78, v192, v78
	buffer_store_dword v79, off, s[0:3], 0 offset:72
	buffer_store_dword v78, off, s[0:3], 0 offset:76
	v_cmpx_lt_u32_e32 8, v0
	s_cbranch_execz .LBB37_225
; %bb.224:
	s_clause 0x1
	buffer_load_dword v78, off, s[0:3], 0 offset:64
	buffer_load_dword v79, off, s[0:3], 0 offset:68
	v_mov_b32_e32 v80, 0
	buffer_store_dword v80, off, s[0:3], 0 offset:64
	buffer_store_dword v80, off, s[0:3], 0 offset:68
	s_waitcnt vmcnt(0)
	ds_write_b64 v77, v[78:79]
.LBB37_225:
	s_or_b32 exec_lo, exec_lo, s4
	s_waitcnt lgkmcnt(0)
	s_waitcnt_vscnt null, 0x0
	s_barrier
	buffer_gl0_inv
	s_clause 0x3b
	buffer_load_dword v137, off, s[0:3], 0 offset:76
	buffer_load_dword v138, off, s[0:3], 0 offset:84
	;; [unrolled: 1-line block ×60, first 2 shown]
	v_mov_b32_e32 v78, 0
	ds_read2_b64 v[79:82], v78 offset0:47 offset1:48
	ds_read2_b64 v[83:86], v78 offset0:49 offset1:50
	;; [unrolled: 1-line block ×14, first 2 shown]
	ds_read_b64 v[135:136], v78 offset:600
	s_mov_b32 s4, exec_lo
	s_waitcnt vmcnt(59) lgkmcnt(14)
	v_mul_f32_e32 v197, v79, v137
	v_mul_f32_e32 v137, v80, v137
	s_waitcnt vmcnt(58)
	v_mul_f32_e32 v198, v81, v138
	v_mul_f32_e32 v138, v82, v138
	s_waitcnt vmcnt(57) lgkmcnt(13)
	v_mul_f32_e32 v199, v83, v139
	s_waitcnt vmcnt(56)
	v_mul_f32_e32 v200, v85, v140
	s_waitcnt vmcnt(55) lgkmcnt(12)
	v_mul_f32_e32 v201, v87, v141
	s_waitcnt vmcnt(54)
	;; [unrolled: 4-line block ×13, first 2 shown]
	v_fma_f32 v79, v79, v166, -v137
	v_fmac_f32_e32 v197, v80, v166
	v_mul_f32_e32 v80, v84, v139
	s_waitcnt vmcnt(29)
	v_fma_f32 v81, v81, v167, -v138
	v_fmac_f32_e32 v198, v82, v167
	v_add_f32_e32 v79, 0, v79
	v_add_f32_e32 v82, 0, v197
	v_mul_f32_e32 v137, v86, v140
	s_waitcnt vmcnt(28)
	v_fma_f32 v80, v83, v168, -v80
	v_fmac_f32_e32 v199, v84, v168
	v_add_f32_e32 v79, v79, v81
	v_add_f32_e32 v81, v82, v198
	;; [unrolled: 6-line block ×25, first 2 shown]
	v_mul_f32_e32 v83, v134, v164
	s_waitcnt vmcnt(4)
	v_fma_f32 v81, v131, v192, -v81
	v_mul_f32_e32 v224, v133, v164
	v_add_f32_e32 v79, v79, v82
	v_fmac_f32_e32 v223, v132, v192
	v_add_f32_e32 v80, v80, v222
	s_waitcnt lgkmcnt(0)
	v_mul_f32_e32 v82, v136, v165
	s_waitcnt vmcnt(3)
	v_fma_f32 v83, v133, v193, -v83
	v_add_f32_e32 v79, v79, v81
	v_mul_f32_e32 v225, v135, v165
	v_fmac_f32_e32 v224, v134, v193
	v_add_f32_e32 v80, v80, v223
	s_waitcnt vmcnt(2)
	v_fma_f32 v81, v135, v194, -v82
	v_add_f32_e32 v79, v79, v83
	v_fmac_f32_e32 v225, v136, v194
	v_add_f32_e32 v80, v80, v224
	v_add_f32_e32 v79, v79, v81
	;; [unrolled: 1-line block ×3, first 2 shown]
	s_waitcnt vmcnt(1)
	v_sub_f32_e32 v79, v195, v79
	s_waitcnt vmcnt(0)
	v_sub_f32_e32 v80, v196, v80
	buffer_store_dword v79, off, s[0:3], 0 offset:64
	buffer_store_dword v80, off, s[0:3], 0 offset:68
	v_cmpx_lt_u32_e32 7, v0
	s_cbranch_execz .LBB37_227
; %bb.226:
	s_clause 0x1
	buffer_load_dword v79, off, s[0:3], 0 offset:56
	buffer_load_dword v80, off, s[0:3], 0 offset:60
	buffer_store_dword v78, off, s[0:3], 0 offset:56
	buffer_store_dword v78, off, s[0:3], 0 offset:60
	s_waitcnt vmcnt(0)
	ds_write_b64 v77, v[79:80]
.LBB37_227:
	s_or_b32 exec_lo, exec_lo, s4
	s_waitcnt lgkmcnt(0)
	s_waitcnt_vscnt null, 0x0
	s_barrier
	buffer_gl0_inv
	s_clause 0x3d
	buffer_load_dword v139, off, s[0:3], 0 offset:68
	buffer_load_dword v140, off, s[0:3], 0 offset:76
	;; [unrolled: 1-line block ×62, first 2 shown]
	ds_read_b128 v[79:82], v78 offset:368
	ds_read_b128 v[83:86], v78 offset:384
	ds_read_b128 v[87:90], v78 offset:400
	ds_read_b128 v[91:94], v78 offset:416
	ds_read_b128 v[95:98], v78 offset:432
	ds_read_b128 v[99:102], v78 offset:448
	ds_read_b128 v[103:106], v78 offset:464
	ds_read_b128 v[107:110], v78 offset:480
	ds_read_b128 v[111:114], v78 offset:496
	ds_read_b128 v[115:118], v78 offset:512
	ds_read_b128 v[119:122], v78 offset:528
	ds_read_b128 v[123:126], v78 offset:544
	ds_read_b128 v[127:130], v78 offset:560
	ds_read_b128 v[131:134], v78 offset:576
	ds_read_b128 v[135:138], v78 offset:592
	s_mov_b32 s4, exec_lo
	s_waitcnt vmcnt(61) lgkmcnt(14)
	v_mul_f32_e32 v78, v79, v139
	v_mul_f32_e32 v139, v80, v139
	s_waitcnt vmcnt(60)
	v_mul_f32_e32 v201, v81, v140
	v_mul_f32_e32 v140, v82, v140
	s_waitcnt vmcnt(59) lgkmcnt(13)
	v_mul_f32_e32 v202, v83, v141
	s_waitcnt vmcnt(58)
	v_mul_f32_e32 v203, v85, v142
	s_waitcnt vmcnt(57) lgkmcnt(12)
	v_mul_f32_e32 v204, v87, v143
	s_waitcnt vmcnt(56)
	;; [unrolled: 4-line block ×13, first 2 shown]
	v_mul_f32_e32 v227, v133, v166
	s_waitcnt vmcnt(31)
	v_fma_f32 v79, v79, v169, -v139
	v_fmac_f32_e32 v78, v80, v169
	v_mul_f32_e32 v80, v84, v141
	s_waitcnt vmcnt(30)
	v_fma_f32 v81, v81, v170, -v140
	v_fmac_f32_e32 v201, v82, v170
	v_add_f32_e32 v79, 0, v79
	v_add_f32_e32 v78, 0, v78
	v_mul_f32_e32 v82, v86, v142
	s_waitcnt vmcnt(29)
	v_fma_f32 v80, v83, v171, -v80
	v_fmac_f32_e32 v202, v84, v171
	v_add_f32_e32 v79, v79, v81
	v_add_f32_e32 v78, v78, v201
	;; [unrolled: 6-line block ×26, first 2 shown]
	s_waitcnt lgkmcnt(0)
	v_mul_f32_e32 v81, v136, v167
	s_waitcnt vmcnt(4)
	v_fma_f32 v82, v133, v196, -v82
	v_mul_f32_e32 v228, v135, v167
	v_add_f32_e32 v79, v79, v80
	v_fmac_f32_e32 v227, v134, v196
	v_add_f32_e32 v78, v78, v226
	v_mul_f32_e32 v80, v138, v168
	s_waitcnt vmcnt(3)
	v_fma_f32 v81, v135, v197, -v81
	v_add_f32_e32 v79, v79, v82
	v_mul_f32_e32 v229, v137, v168
	v_fmac_f32_e32 v228, v136, v197
	v_add_f32_e32 v78, v78, v227
	s_waitcnt vmcnt(2)
	v_fma_f32 v80, v137, v198, -v80
	v_add_f32_e32 v79, v79, v81
	v_fmac_f32_e32 v229, v138, v198
	v_add_f32_e32 v78, v78, v228
	v_add_f32_e32 v79, v79, v80
	;; [unrolled: 1-line block ×3, first 2 shown]
	s_waitcnt vmcnt(1)
	v_sub_f32_e32 v79, v199, v79
	s_waitcnt vmcnt(0)
	v_sub_f32_e32 v78, v200, v78
	buffer_store_dword v79, off, s[0:3], 0 offset:56
	buffer_store_dword v78, off, s[0:3], 0 offset:60
	v_cmpx_lt_u32_e32 6, v0
	s_cbranch_execz .LBB37_229
; %bb.228:
	s_clause 0x1
	buffer_load_dword v78, off, s[0:3], 0 offset:48
	buffer_load_dword v79, off, s[0:3], 0 offset:52
	v_mov_b32_e32 v80, 0
	buffer_store_dword v80, off, s[0:3], 0 offset:48
	buffer_store_dword v80, off, s[0:3], 0 offset:52
	s_waitcnt vmcnt(0)
	ds_write_b64 v77, v[78:79]
.LBB37_229:
	s_or_b32 exec_lo, exec_lo, s4
	s_waitcnt lgkmcnt(0)
	s_waitcnt_vscnt null, 0x0
	s_barrier
	buffer_gl0_inv
	s_clause 0x3e
	buffer_load_dword v141, off, s[0:3], 0 offset:60
	buffer_load_dword v142, off, s[0:3], 0 offset:68
	;; [unrolled: 1-line block ×64, first 2 shown]
	v_mov_b32_e32 v78, 0
	ds_read2_b64 v[79:82], v78 offset0:45 offset1:46
	ds_read2_b64 v[83:86], v78 offset0:47 offset1:48
	;; [unrolled: 1-line block ×15, first 2 shown]
	ds_read_b64 v[139:140], v78 offset:600
	s_mov_b32 s4, exec_lo
	s_waitcnt vmcnt(62) lgkmcnt(15)
	v_mul_f32_e32 v205, v79, v141
	v_mul_f32_e32 v141, v80, v141
	;; [unrolled: 1-line block ×4, first 2 shown]
	s_waitcnt vmcnt(61) lgkmcnt(14)
	v_mul_f32_e32 v207, v83, v143
	s_waitcnt vmcnt(60)
	v_mul_f32_e32 v208, v85, v144
	s_waitcnt vmcnt(59) lgkmcnt(13)
	v_mul_f32_e32 v209, v87, v145
	s_waitcnt vmcnt(58)
	v_mul_f32_e32 v210, v89, v146
	;; [unrolled: 4-line block ×13, first 2 shown]
	s_waitcnt vmcnt(35) lgkmcnt(1)
	v_mul_f32_e32 v233, v135, v169
	s_waitcnt vmcnt(32)
	v_fma_f32 v79, v79, v172, -v141
	v_fmac_f32_e32 v205, v80, v172
	v_mul_f32_e32 v80, v84, v143
	s_waitcnt vmcnt(31)
	v_fma_f32 v81, v81, v173, -v142
	v_fmac_f32_e32 v206, v82, v173
	v_add_f32_e32 v79, 0, v79
	v_add_f32_e32 v82, 0, v205
	v_mul_f32_e32 v141, v86, v144
	s_waitcnt vmcnt(30)
	v_fma_f32 v80, v83, v174, -v80
	v_fmac_f32_e32 v207, v84, v174
	v_add_f32_e32 v79, v79, v81
	v_add_f32_e32 v81, v82, v206
	;; [unrolled: 6-line block ×27, first 2 shown]
	v_mul_f32_e32 v81, v138, v170
	s_waitcnt vmcnt(4)
	v_fma_f32 v82, v135, v200, -v82
	v_mul_f32_e32 v234, v137, v170
	v_add_f32_e32 v79, v79, v83
	v_fmac_f32_e32 v233, v136, v200
	v_add_f32_e32 v80, v80, v232
	s_waitcnt lgkmcnt(0)
	v_mul_f32_e32 v83, v140, v171
	s_waitcnt vmcnt(3)
	v_fma_f32 v81, v137, v201, -v81
	v_add_f32_e32 v79, v79, v82
	v_mul_f32_e32 v235, v139, v171
	v_fmac_f32_e32 v234, v138, v201
	v_add_f32_e32 v80, v80, v233
	s_waitcnt vmcnt(2)
	v_fma_f32 v82, v139, v202, -v83
	v_add_f32_e32 v79, v79, v81
	v_fmac_f32_e32 v235, v140, v202
	v_add_f32_e32 v80, v80, v234
	v_add_f32_e32 v79, v79, v82
	;; [unrolled: 1-line block ×3, first 2 shown]
	s_waitcnt vmcnt(1)
	v_sub_f32_e32 v79, v203, v79
	s_waitcnt vmcnt(0)
	v_sub_f32_e32 v80, v204, v80
	buffer_store_dword v79, off, s[0:3], 0 offset:48
	buffer_store_dword v80, off, s[0:3], 0 offset:52
	v_cmpx_lt_u32_e32 5, v0
	s_cbranch_execz .LBB37_231
; %bb.230:
	s_clause 0x1
	buffer_load_dword v79, off, s[0:3], 0 offset:40
	buffer_load_dword v80, off, s[0:3], 0 offset:44
	buffer_store_dword v78, off, s[0:3], 0 offset:40
	buffer_store_dword v78, off, s[0:3], 0 offset:44
	s_waitcnt vmcnt(0)
	ds_write_b64 v77, v[79:80]
.LBB37_231:
	s_or_b32 exec_lo, exec_lo, s4
	s_waitcnt lgkmcnt(0)
	s_waitcnt_vscnt null, 0x0
	s_barrier
	buffer_gl0_inv
	s_clause 0x3e
	buffer_load_dword v143, off, s[0:3], 0 offset:52
	buffer_load_dword v144, off, s[0:3], 0 offset:60
	;; [unrolled: 1-line block ×63, first 2 shown]
	s_clause 0x2
	buffer_load_dword v206, off, s[0:3], 0 offset:296
	buffer_load_dword v207, off, s[0:3], 0 offset:40
	;; [unrolled: 1-line block ×3, first 2 shown]
	ds_read_b128 v[79:82], v78 offset:352
	ds_read_b128 v[83:86], v78 offset:368
	;; [unrolled: 1-line block ×16, first 2 shown]
	s_mov_b32 s4, exec_lo
	s_waitcnt vmcnt(62) lgkmcnt(15)
	v_mul_f32_e32 v78, v79, v143
	v_mul_f32_e32 v143, v80, v143
	;; [unrolled: 1-line block ×4, first 2 shown]
	s_waitcnt lgkmcnt(14)
	v_mul_f32_e32 v210, v83, v145
	v_mul_f32_e32 v211, v85, v146
	s_waitcnt vmcnt(61) lgkmcnt(13)
	v_mul_f32_e32 v212, v87, v147
	s_waitcnt vmcnt(60)
	v_mul_f32_e32 v213, v89, v148
	s_waitcnt vmcnt(59) lgkmcnt(12)
	v_mul_f32_e32 v214, v91, v149
	s_waitcnt vmcnt(58)
	;; [unrolled: 4-line block ×13, first 2 shown]
	v_mul_f32_e32 v237, v137, v172
	s_waitcnt vmcnt(33)
	v_fma_f32 v79, v79, v175, -v143
	v_fmac_f32_e32 v78, v80, v175
	v_mul_f32_e32 v80, v84, v145
	s_waitcnt vmcnt(32)
	v_fma_f32 v81, v81, v176, -v144
	v_fmac_f32_e32 v209, v82, v176
	v_add_f32_e32 v79, 0, v79
	v_add_f32_e32 v78, 0, v78
	v_mul_f32_e32 v82, v86, v146
	s_waitcnt vmcnt(31)
	v_fma_f32 v80, v83, v177, -v80
	v_fmac_f32_e32 v210, v84, v177
	v_add_f32_e32 v79, v79, v81
	v_add_f32_e32 v78, v78, v209
	;; [unrolled: 6-line block ×28, first 2 shown]
	s_waitcnt lgkmcnt(0)
	v_mul_f32_e32 v82, v140, v173
	s_waitcnt vmcnt(4)
	v_fma_f32 v80, v137, v204, -v80
	v_mul_f32_e32 v238, v139, v173
	v_add_f32_e32 v79, v79, v81
	v_fmac_f32_e32 v237, v138, v204
	v_add_f32_e32 v78, v78, v236
	v_mul_f32_e32 v81, v142, v174
	s_waitcnt vmcnt(3)
	v_fma_f32 v82, v139, v205, -v82
	v_add_f32_e32 v79, v79, v80
	v_mul_f32_e32 v239, v141, v174
	v_fmac_f32_e32 v238, v140, v205
	v_add_f32_e32 v78, v78, v237
	s_waitcnt vmcnt(2)
	v_fma_f32 v80, v141, v206, -v81
	v_add_f32_e32 v79, v79, v82
	v_fmac_f32_e32 v239, v142, v206
	v_add_f32_e32 v78, v78, v238
	v_add_f32_e32 v79, v79, v80
	;; [unrolled: 1-line block ×3, first 2 shown]
	s_waitcnt vmcnt(1)
	v_sub_f32_e32 v79, v207, v79
	s_waitcnt vmcnt(0)
	v_sub_f32_e32 v78, v208, v78
	buffer_store_dword v79, off, s[0:3], 0 offset:40
	buffer_store_dword v78, off, s[0:3], 0 offset:44
	v_cmpx_lt_u32_e32 4, v0
	s_cbranch_execz .LBB37_233
; %bb.232:
	s_clause 0x1
	buffer_load_dword v78, off, s[0:3], 0 offset:32
	buffer_load_dword v79, off, s[0:3], 0 offset:36
	v_mov_b32_e32 v80, 0
	buffer_store_dword v80, off, s[0:3], 0 offset:32
	buffer_store_dword v80, off, s[0:3], 0 offset:36
	s_waitcnt vmcnt(0)
	ds_write_b64 v77, v[78:79]
.LBB37_233:
	s_or_b32 exec_lo, exec_lo, s4
	s_waitcnt lgkmcnt(0)
	s_waitcnt_vscnt null, 0x0
	s_barrier
	buffer_gl0_inv
	s_clause 0x3e
	buffer_load_dword v145, off, s[0:3], 0 offset:44
	buffer_load_dword v146, off, s[0:3], 0 offset:52
	;; [unrolled: 1-line block ×63, first 2 shown]
	s_clause 0x4
	buffer_load_dword v208, off, s[0:3], 0 offset:280
	buffer_load_dword v209, off, s[0:3], 0 offset:288
	;; [unrolled: 1-line block ×5, first 2 shown]
	v_mov_b32_e32 v78, 0
	ds_read2_b64 v[79:82], v78 offset0:43 offset1:44
	ds_read2_b64 v[83:86], v78 offset0:45 offset1:46
	ds_read2_b64 v[87:90], v78 offset0:47 offset1:48
	ds_read2_b64 v[91:94], v78 offset0:49 offset1:50
	ds_read2_b64 v[95:98], v78 offset0:51 offset1:52
	ds_read2_b64 v[99:102], v78 offset0:53 offset1:54
	ds_read2_b64 v[103:106], v78 offset0:55 offset1:56
	ds_read2_b64 v[107:110], v78 offset0:57 offset1:58
	ds_read2_b64 v[111:114], v78 offset0:59 offset1:60
	ds_read2_b64 v[115:118], v78 offset0:61 offset1:62
	ds_read2_b64 v[119:122], v78 offset0:63 offset1:64
	ds_read2_b64 v[123:126], v78 offset0:65 offset1:66
	ds_read2_b64 v[127:130], v78 offset0:67 offset1:68
	ds_read2_b64 v[131:134], v78 offset0:69 offset1:70
	ds_read2_b64 v[135:138], v78 offset0:71 offset1:72
	ds_read2_b64 v[139:142], v78 offset0:73 offset1:74
	ds_read_b64 v[143:144], v78 offset:600
	s_mov_b32 s4, exec_lo
	s_waitcnt vmcnt(62) lgkmcnt(16)
	v_mul_f32_e32 v213, v79, v145
	v_mul_f32_e32 v145, v80, v145
	;; [unrolled: 1-line block ×4, first 2 shown]
	s_waitcnt lgkmcnt(15)
	v_mul_f32_e32 v215, v83, v147
	v_mul_f32_e32 v216, v85, v148
	s_waitcnt lgkmcnt(14)
	v_mul_f32_e32 v217, v87, v149
	v_mul_f32_e32 v218, v89, v150
	s_waitcnt vmcnt(61) lgkmcnt(13)
	v_mul_f32_e32 v219, v91, v151
	s_waitcnt vmcnt(60)
	v_mul_f32_e32 v220, v93, v152
	s_waitcnt vmcnt(59) lgkmcnt(12)
	v_mul_f32_e32 v221, v95, v153
	s_waitcnt vmcnt(58)
	;; [unrolled: 4-line block ×13, first 2 shown]
	v_fma_f32 v79, v79, v178, -v145
	v_fmac_f32_e32 v213, v80, v178
	v_mul_f32_e32 v80, v84, v147
	s_waitcnt vmcnt(33)
	v_fma_f32 v81, v81, v179, -v146
	v_fmac_f32_e32 v214, v82, v179
	v_add_f32_e32 v79, 0, v79
	v_add_f32_e32 v82, 0, v213
	v_mul_f32_e32 v145, v86, v148
	s_waitcnt vmcnt(32)
	v_fma_f32 v80, v83, v180, -v80
	v_fmac_f32_e32 v215, v84, v180
	v_add_f32_e32 v79, v79, v81
	v_add_f32_e32 v81, v82, v214
	;; [unrolled: 6-line block ×29, first 2 shown]
	v_mul_f32_e32 v82, v142, v176
	s_waitcnt vmcnt(4)
	v_fma_f32 v83, v139, v208, -v83
	v_mul_f32_e32 v244, v141, v176
	v_add_f32_e32 v79, v79, v81
	v_fmac_f32_e32 v243, v140, v208
	v_add_f32_e32 v80, v80, v242
	s_waitcnt lgkmcnt(0)
	v_mul_f32_e32 v81, v144, v177
	s_waitcnt vmcnt(3)
	v_fma_f32 v82, v141, v209, -v82
	v_add_f32_e32 v79, v79, v83
	v_mul_f32_e32 v245, v143, v177
	v_fmac_f32_e32 v244, v142, v209
	v_add_f32_e32 v80, v80, v243
	s_waitcnt vmcnt(2)
	v_fma_f32 v81, v143, v210, -v81
	v_add_f32_e32 v79, v79, v82
	v_fmac_f32_e32 v245, v144, v210
	v_add_f32_e32 v80, v80, v244
	v_add_f32_e32 v79, v79, v81
	;; [unrolled: 1-line block ×3, first 2 shown]
	s_waitcnt vmcnt(1)
	v_sub_f32_e32 v79, v211, v79
	s_waitcnt vmcnt(0)
	v_sub_f32_e32 v80, v212, v80
	buffer_store_dword v79, off, s[0:3], 0 offset:32
	buffer_store_dword v80, off, s[0:3], 0 offset:36
	v_cmpx_lt_u32_e32 3, v0
	s_cbranch_execz .LBB37_235
; %bb.234:
	s_clause 0x1
	buffer_load_dword v79, off, s[0:3], 0 offset:24
	buffer_load_dword v80, off, s[0:3], 0 offset:28
	buffer_store_dword v78, off, s[0:3], 0 offset:24
	buffer_store_dword v78, off, s[0:3], 0 offset:28
	s_waitcnt vmcnt(0)
	ds_write_b64 v77, v[79:80]
.LBB37_235:
	s_or_b32 exec_lo, exec_lo, s4
	s_waitcnt lgkmcnt(0)
	s_waitcnt_vscnt null, 0x0
	s_barrier
	buffer_gl0_inv
	s_clause 0x3e
	buffer_load_dword v147, off, s[0:3], 0 offset:36
	buffer_load_dword v148, off, s[0:3], 0 offset:44
	;; [unrolled: 1-line block ×63, first 2 shown]
	s_clause 0x6
	buffer_load_dword v210, off, s[0:3], 0 offset:264
	buffer_load_dword v211, off, s[0:3], 0 offset:272
	;; [unrolled: 1-line block ×7, first 2 shown]
	ds_read_b128 v[79:82], v78 offset:336
	ds_read_b128 v[83:86], v78 offset:352
	;; [unrolled: 1-line block ×17, first 2 shown]
	s_mov_b32 s4, exec_lo
	s_waitcnt vmcnt(62) lgkmcnt(16)
	v_mul_f32_e32 v78, v79, v147
	v_mul_f32_e32 v147, v80, v147
	;; [unrolled: 1-line block ×4, first 2 shown]
	s_waitcnt lgkmcnt(15)
	v_mul_f32_e32 v218, v83, v149
	v_mul_f32_e32 v219, v85, v150
	s_waitcnt lgkmcnt(14)
	v_mul_f32_e32 v220, v87, v151
	v_mul_f32_e32 v221, v89, v152
	s_waitcnt lgkmcnt(13)
	v_mul_f32_e32 v222, v91, v153
	v_mul_f32_e32 v223, v93, v154
	s_waitcnt vmcnt(61) lgkmcnt(12)
	v_mul_f32_e32 v224, v95, v155
	s_waitcnt vmcnt(60)
	v_mul_f32_e32 v225, v97, v156
	s_waitcnt vmcnt(59) lgkmcnt(11)
	v_mul_f32_e32 v226, v99, v157
	s_waitcnt vmcnt(58)
	v_mul_f32_e32 v227, v101, v158
	;; [unrolled: 4-line block ×12, first 2 shown]
	s_waitcnt vmcnt(35)
	v_fma_f32 v79, v79, v181, -v147
	v_fmac_f32_e32 v78, v80, v181
	v_mul_f32_e32 v80, v84, v149
	s_waitcnt vmcnt(34)
	v_fma_f32 v81, v81, v182, -v148
	v_fmac_f32_e32 v217, v82, v182
	v_add_f32_e32 v79, 0, v79
	v_add_f32_e32 v78, 0, v78
	v_mul_f32_e32 v82, v86, v150
	s_waitcnt vmcnt(33)
	v_fma_f32 v80, v83, v183, -v80
	v_fmac_f32_e32 v218, v84, v183
	v_add_f32_e32 v79, v79, v81
	v_add_f32_e32 v78, v78, v217
	v_mul_f32_e32 v81, v88, v151
	s_waitcnt vmcnt(32)
	v_fma_f32 v82, v85, v184, -v82
	v_fmac_f32_e32 v219, v86, v184
	v_add_f32_e32 v79, v79, v80
	v_add_f32_e32 v78, v78, v218
	v_mul_f32_e32 v80, v90, v152
	s_waitcnt vmcnt(31)
	v_fma_f32 v81, v87, v185, -v81
	v_fmac_f32_e32 v220, v88, v185
	v_add_f32_e32 v79, v79, v82
	v_add_f32_e32 v78, v78, v219
	v_mul_f32_e32 v82, v92, v153
	s_waitcnt vmcnt(30)
	v_fma_f32 v80, v89, v186, -v80
	v_fmac_f32_e32 v221, v90, v186
	v_add_f32_e32 v79, v79, v81
	v_add_f32_e32 v78, v78, v220
	v_mul_f32_e32 v81, v94, v154
	s_waitcnt vmcnt(29)
	v_fma_f32 v82, v91, v187, -v82
	v_fmac_f32_e32 v222, v92, v187
	v_add_f32_e32 v79, v79, v80
	v_add_f32_e32 v78, v78, v221
	v_mul_f32_e32 v80, v96, v155
	s_waitcnt vmcnt(28)
	v_fma_f32 v81, v93, v188, -v81
	v_fmac_f32_e32 v223, v94, v188
	v_add_f32_e32 v79, v79, v82
	v_add_f32_e32 v78, v78, v222
	v_mul_f32_e32 v82, v98, v156
	s_waitcnt vmcnt(27)
	v_fma_f32 v80, v95, v189, -v80
	v_fmac_f32_e32 v224, v96, v189
	v_add_f32_e32 v79, v79, v81
	v_add_f32_e32 v78, v78, v223
	v_mul_f32_e32 v81, v100, v157
	s_waitcnt vmcnt(26)
	v_fma_f32 v82, v97, v190, -v82
	v_fmac_f32_e32 v225, v98, v190
	v_add_f32_e32 v79, v79, v80
	v_add_f32_e32 v78, v78, v224
	v_mul_f32_e32 v80, v102, v158
	s_waitcnt vmcnt(25)
	v_fma_f32 v81, v99, v191, -v81
	v_fmac_f32_e32 v226, v100, v191
	v_add_f32_e32 v79, v79, v82
	v_add_f32_e32 v78, v78, v225
	v_mul_f32_e32 v82, v104, v159
	s_waitcnt vmcnt(24)
	v_fma_f32 v80, v101, v192, -v80
	v_fmac_f32_e32 v227, v102, v192
	v_add_f32_e32 v79, v79, v81
	v_add_f32_e32 v78, v78, v226
	v_mul_f32_e32 v81, v106, v160
	s_waitcnt vmcnt(23)
	v_fma_f32 v82, v103, v193, -v82
	v_fmac_f32_e32 v228, v104, v193
	v_add_f32_e32 v79, v79, v80
	v_add_f32_e32 v78, v78, v227
	v_mul_f32_e32 v80, v108, v161
	s_waitcnt vmcnt(22)
	v_fma_f32 v81, v105, v194, -v81
	v_fmac_f32_e32 v229, v106, v194
	v_add_f32_e32 v79, v79, v82
	v_add_f32_e32 v78, v78, v228
	v_mul_f32_e32 v82, v110, v162
	s_waitcnt vmcnt(21)
	v_fma_f32 v80, v107, v195, -v80
	v_fmac_f32_e32 v230, v108, v195
	v_add_f32_e32 v79, v79, v81
	v_add_f32_e32 v78, v78, v229
	v_mul_f32_e32 v81, v112, v163
	s_waitcnt vmcnt(20)
	v_fma_f32 v82, v109, v196, -v82
	v_fmac_f32_e32 v231, v110, v196
	v_add_f32_e32 v79, v79, v80
	v_add_f32_e32 v78, v78, v230
	v_mul_f32_e32 v80, v114, v164
	s_waitcnt vmcnt(19)
	v_fma_f32 v81, v111, v197, -v81
	v_fmac_f32_e32 v232, v112, v197
	v_add_f32_e32 v79, v79, v82
	v_add_f32_e32 v78, v78, v231
	v_mul_f32_e32 v82, v116, v165
	s_waitcnt vmcnt(18)
	v_fma_f32 v80, v113, v198, -v80
	v_fmac_f32_e32 v233, v114, v198
	v_add_f32_e32 v79, v79, v81
	v_add_f32_e32 v78, v78, v232
	v_mul_f32_e32 v81, v118, v166
	s_waitcnt vmcnt(17)
	v_fma_f32 v82, v115, v199, -v82
	v_fmac_f32_e32 v234, v116, v199
	v_add_f32_e32 v79, v79, v80
	v_add_f32_e32 v78, v78, v233
	v_mul_f32_e32 v80, v120, v167
	s_waitcnt vmcnt(16)
	v_fma_f32 v81, v117, v200, -v81
	v_fmac_f32_e32 v235, v118, v200
	v_add_f32_e32 v79, v79, v82
	v_add_f32_e32 v78, v78, v234
	v_mul_f32_e32 v82, v122, v168
	s_waitcnt vmcnt(15)
	v_fma_f32 v80, v119, v201, -v80
	v_fmac_f32_e32 v236, v120, v201
	v_add_f32_e32 v79, v79, v81
	v_add_f32_e32 v78, v78, v235
	v_mul_f32_e32 v81, v124, v169
	s_waitcnt vmcnt(14)
	v_fma_f32 v82, v121, v202, -v82
	v_fmac_f32_e32 v237, v122, v202
	v_add_f32_e32 v79, v79, v80
	v_add_f32_e32 v78, v78, v236
	v_mul_f32_e32 v80, v126, v170
	s_waitcnt vmcnt(13)
	v_fma_f32 v81, v123, v203, -v81
	v_fmac_f32_e32 v238, v124, v203
	v_add_f32_e32 v79, v79, v82
	v_add_f32_e32 v78, v78, v237
	v_mul_f32_e32 v82, v128, v171
	s_waitcnt vmcnt(12)
	v_fma_f32 v80, v125, v204, -v80
	v_fmac_f32_e32 v239, v126, v204
	v_add_f32_e32 v79, v79, v81
	v_add_f32_e32 v78, v78, v238
	v_mul_f32_e32 v81, v130, v172
	s_waitcnt vmcnt(11)
	v_fma_f32 v82, v127, v205, -v82
	v_fmac_f32_e32 v240, v128, v205
	v_add_f32_e32 v79, v79, v80
	v_add_f32_e32 v78, v78, v239
	v_mul_f32_e32 v80, v132, v173
	s_waitcnt vmcnt(10)
	v_fma_f32 v81, v129, v206, -v81
	v_fmac_f32_e32 v241, v130, v206
	v_add_f32_e32 v79, v79, v82
	v_add_f32_e32 v78, v78, v240
	v_mul_f32_e32 v82, v134, v174
	s_waitcnt vmcnt(9)
	v_fma_f32 v80, v131, v207, -v80
	v_fmac_f32_e32 v242, v132, v207
	v_add_f32_e32 v79, v79, v81
	v_add_f32_e32 v78, v78, v241
	v_mul_f32_e32 v81, v136, v175
	s_waitcnt vmcnt(8)
	v_fma_f32 v82, v133, v208, -v82
	v_fmac_f32_e32 v243, v134, v208
	v_add_f32_e32 v79, v79, v80
	v_add_f32_e32 v78, v78, v242
	v_mul_f32_e32 v80, v138, v176
	s_waitcnt vmcnt(7)
	v_fma_f32 v81, v135, v209, -v81
	v_fmac_f32_e32 v244, v136, v209
	v_add_f32_e32 v79, v79, v82
	v_add_f32_e32 v78, v78, v243
	v_mul_f32_e32 v82, v140, v177
	s_waitcnt vmcnt(6)
	v_fma_f32 v80, v137, v210, -v80
	v_fmac_f32_e32 v245, v138, v210
	v_add_f32_e32 v79, v79, v81
	v_add_f32_e32 v78, v78, v244
	v_mul_f32_e32 v81, v142, v178
	s_waitcnt vmcnt(5)
	v_fma_f32 v82, v139, v211, -v82
	v_fmac_f32_e32 v246, v140, v211
	v_add_f32_e32 v79, v79, v80
	v_add_f32_e32 v78, v78, v245
	s_waitcnt lgkmcnt(0)
	v_mul_f32_e32 v80, v144, v179
	s_waitcnt vmcnt(4)
	v_fma_f32 v81, v141, v212, -v81
	v_mul_f32_e32 v248, v143, v179
	v_add_f32_e32 v79, v79, v82
	v_fmac_f32_e32 v247, v142, v212
	v_add_f32_e32 v78, v78, v246
	v_mul_f32_e32 v82, v146, v180
	s_waitcnt vmcnt(3)
	v_fma_f32 v80, v143, v213, -v80
	v_add_f32_e32 v79, v79, v81
	v_mul_f32_e32 v249, v145, v180
	v_fmac_f32_e32 v248, v144, v213
	v_add_f32_e32 v78, v78, v247
	s_waitcnt vmcnt(2)
	v_fma_f32 v81, v145, v214, -v82
	v_add_f32_e32 v79, v79, v80
	v_fmac_f32_e32 v249, v146, v214
	v_add_f32_e32 v78, v78, v248
	v_add_f32_e32 v79, v79, v81
	;; [unrolled: 1-line block ×3, first 2 shown]
	s_waitcnt vmcnt(1)
	v_sub_f32_e32 v79, v215, v79
	s_waitcnt vmcnt(0)
	v_sub_f32_e32 v78, v216, v78
	buffer_store_dword v79, off, s[0:3], 0 offset:24
	buffer_store_dword v78, off, s[0:3], 0 offset:28
	v_cmpx_lt_u32_e32 2, v0
	s_cbranch_execz .LBB37_237
; %bb.236:
	s_clause 0x1
	buffer_load_dword v78, off, s[0:3], 0 offset:16
	buffer_load_dword v79, off, s[0:3], 0 offset:20
	v_mov_b32_e32 v80, 0
	buffer_store_dword v80, off, s[0:3], 0 offset:16
	buffer_store_dword v80, off, s[0:3], 0 offset:20
	s_waitcnt vmcnt(0)
	ds_write_b64 v77, v[78:79]
.LBB37_237:
	s_or_b32 exec_lo, exec_lo, s4
	s_waitcnt lgkmcnt(0)
	s_waitcnt_vscnt null, 0x0
	s_barrier
	buffer_gl0_inv
	s_clause 0x2a
	buffer_load_dword v84, off, s[0:3], 0 offset:28
	buffer_load_dword v85, off, s[0:3], 0 offset:36
	;; [unrolled: 1-line block ×43, first 2 shown]
	v_mov_b32_e32 v78, 0
	ds_read2_b64 v[118:121], v78 offset0:41 offset1:42
	ds_read2_b64 v[122:125], v78 offset0:43 offset1:44
	;; [unrolled: 1-line block ×3, first 2 shown]
	buffer_load_dword v136, off, s[0:3], 0 offset:20
	s_mov_b32 s4, exec_lo
	s_waitcnt vmcnt(43) lgkmcnt(2)
	v_mul_f32_e32 v134, v118, v84
	s_waitcnt vmcnt(42)
	v_mul_f32_e32 v135, v120, v85
	v_mul_f32_e32 v84, v119, v84
	;; [unrolled: 1-line block ×3, first 2 shown]
	s_waitcnt vmcnt(39)
	v_fmac_f32_e32 v134, v119, v83
	v_fmac_f32_e32 v135, v121, v82
	v_fma_f32 v137, v118, v83, -v84
	v_fma_f32 v138, v120, v82, -v85
	ds_read2_b64 v[82:85], v78 offset0:47 offset1:48
	ds_read2_b64 v[118:121], v78 offset0:49 offset1:50
	s_waitcnt vmcnt(38) lgkmcnt(3)
	v_mul_f32_e32 v139, v122, v80
	v_mul_f32_e32 v80, v123, v80
	s_waitcnt vmcnt(37)
	v_mul_f32_e32 v140, v124, v81
	v_mul_f32_e32 v81, v125, v81
	s_waitcnt vmcnt(32) lgkmcnt(2)
	v_mul_f32_e32 v142, v126, v93
	v_fmac_f32_e32 v139, v123, v79
	v_fma_f32 v141, v122, v79, -v80
	v_mul_f32_e32 v79, v127, v93
	s_waitcnt vmcnt(31)
	v_mul_f32_e32 v80, v129, v92
	v_fmac_f32_e32 v140, v125, v94
	v_fma_f32 v94, v124, v94, -v81
	ds_read2_b64 v[122:125], v78 offset0:51 offset1:52
	v_mul_f32_e32 v93, v128, v92
	v_fmac_f32_e32 v142, v127, v89
	v_fma_f32 v92, v126, v89, -v79
	v_fma_f32 v127, v128, v87, -v80
	v_fmac_f32_e32 v93, v129, v87
	s_waitcnt vmcnt(30) lgkmcnt(2)
	v_mul_f32_e32 v126, v82, v90
	v_mul_f32_e32 v79, v83, v90
	s_waitcnt vmcnt(29)
	v_mul_f32_e32 v128, v84, v88
	v_mul_f32_e32 v80, v85, v88
	s_waitcnt vmcnt(23) lgkmcnt(1)
	v_mul_f32_e32 v144, v120, v100
	v_fmac_f32_e32 v126, v83, v86
	v_fma_f32 v129, v82, v86, -v79
	v_fmac_f32_e32 v128, v85, v101
	v_fma_f32 v101, v84, v101, -v80
	v_mul_f32_e32 v83, v119, v91
	v_mul_f32_e32 v84, v121, v100
	ds_read2_b64 v[79:82], v78 offset0:53 offset1:54
	v_mul_f32_e32 v143, v118, v91
	v_fmac_f32_e32 v144, v121, v96
	v_fma_f32 v91, v118, v99, -v83
	v_fma_f32 v96, v120, v96, -v84
	ds_read2_b64 v[83:86], v78 offset0:55 offset1:56
	v_fmac_f32_e32 v143, v119, v99
	s_waitcnt vmcnt(22) lgkmcnt(2)
	v_mul_f32_e32 v99, v122, v98
	v_mul_f32_e32 v87, v123, v98
	s_waitcnt vmcnt(21)
	v_mul_f32_e32 v98, v124, v97
	v_mul_f32_e32 v88, v125, v97
	buffer_load_dword v97, off, s[0:3], 0 offset:188
	v_fmac_f32_e32 v99, v123, v95
	v_fma_f32 v95, v122, v95, -v87
	s_waitcnt vmcnt(18)
	v_fmac_f32_e32 v98, v125, v109
	v_fma_f32 v100, v124, v109, -v88
	s_waitcnt vmcnt(17) lgkmcnt(1)
	v_mul_f32_e32 v109, v79, v107
	s_waitcnt vmcnt(16)
	v_mul_f32_e32 v118, v81, v108
	v_mul_f32_e32 v87, v80, v107
	;; [unrolled: 1-line block ×3, first 2 shown]
	v_fmac_f32_e32 v109, v80, v104
	v_fmac_f32_e32 v118, v82, v103
	v_fma_f32 v104, v79, v104, -v87
	v_fma_f32 v103, v81, v103, -v88
	ds_read2_b64 v[79:82], v78 offset0:57 offset1:58
	s_waitcnt vmcnt(15) lgkmcnt(1)
	v_mul_f32_e32 v107, v83, v106
	v_mul_f32_e32 v89, v84, v106
	s_waitcnt vmcnt(14)
	v_mul_f32_e32 v106, v85, v105
	v_mul_f32_e32 v105, v86, v105
	v_fmac_f32_e32 v107, v84, v102
	v_fma_f32 v102, v83, v102, -v89
	ds_read2_b64 v[87:90], v78 offset0:59 offset1:60
	s_waitcnt vmcnt(10)
	v_fmac_f32_e32 v106, v86, v117
	v_fma_f32 v105, v85, v117, -v105
	s_clause 0x1
	buffer_load_dword v108, off, s[0:3], 0 offset:196
	buffer_load_dword v117, off, s[0:3], 0 offset:204
	s_waitcnt vmcnt(11) lgkmcnt(1)
	v_mul_f32_e32 v119, v79, v116
	v_mul_f32_e32 v83, v80, v116
	buffer_load_dword v116, off, s[0:3], 0 offset:212
	s_waitcnt vmcnt(11)
	v_mul_f32_e32 v120, v81, v115
	v_mul_f32_e32 v84, v82, v115
	v_fmac_f32_e32 v119, v80, v113
	v_fma_f32 v113, v79, v113, -v83
	s_waitcnt vmcnt(10) lgkmcnt(0)
	v_mul_f32_e32 v115, v87, v114
	v_mul_f32_e32 v79, v88, v114
	s_clause 0x3
	buffer_load_dword v114, off, s[0:3], 0 offset:232
	buffer_load_dword v121, off, s[0:3], 0 offset:224
	;; [unrolled: 1-line block ×4, first 2 shown]
	s_waitcnt vmcnt(13)
	v_mul_f32_e32 v124, v89, v112
	v_mul_f32_e32 v80, v90, v112
	v_fmac_f32_e32 v115, v88, v110
	v_fma_f32 v110, v87, v110, -v79
	buffer_load_dword v112, off, s[0:3], 0 offset:220
	v_add_f32_e32 v79, 0, v134
	s_waitcnt vmcnt(10)
	v_fmac_f32_e32 v124, v90, v133
	v_fma_f32 v125, v89, v133, -v80
	s_clause 0x1
	buffer_load_dword v133, off, s[0:3], 0 offset:228
	buffer_load_dword v134, off, s[0:3], 0 offset:236
	v_add_f32_e32 v79, v79, v135
	v_add_f32_e32 v80, 0, v137
	s_clause 0x3
	buffer_load_dword v135, off, s[0:3], 0 offset:244
	buffer_load_dword v137, off, s[0:3], 0 offset:252
	;; [unrolled: 1-line block ×4, first 2 shown]
	v_fmac_f32_e32 v120, v82, v111
	v_fma_f32 v111, v81, v111, -v84
	v_add_f32_e32 v79, v79, v139
	v_add_f32_e32 v80, v80, v138
	s_clause 0x1
	buffer_load_dword v138, off, s[0:3], 0 offset:276
	buffer_load_dword v139, off, s[0:3], 0 offset:284
	v_add_f32_e32 v79, v79, v140
	v_add_f32_e32 v80, v80, v141
	s_clause 0x1
	buffer_load_dword v140, off, s[0:3], 0 offset:292
	buffer_load_dword v141, off, s[0:3], 0 offset:300
	v_add_f32_e32 v79, v79, v142
	s_clause 0x3
	buffer_load_dword v142, off, s[0:3], 0 offset:264
	buffer_load_dword v147, off, s[0:3], 0 offset:256
	;; [unrolled: 1-line block ×4, first 2 shown]
	v_add_f32_e32 v80, v80, v94
	v_add_f32_e32 v79, v79, v93
	;; [unrolled: 1-line block ×7, first 2 shown]
	s_clause 0x3
	buffer_load_dword v126, off, s[0:3], 0 offset:296
	buffer_load_dword v127, off, s[0:3], 0 offset:288
	;; [unrolled: 1-line block ×4, first 2 shown]
	v_add_f32_e32 v79, v79, v143
	v_add_f32_e32 v80, v80, v101
	buffer_load_dword v101, off, s[0:3], 0 offset:16
	v_add_f32_e32 v83, v79, v144
	v_add_f32_e32 v80, v80, v91
	;; [unrolled: 1-line block ×4, first 2 shown]
	ds_read2_b64 v[79:82], v78 offset0:61 offset1:62
	v_add_f32_e32 v87, v83, v98
	v_add_f32_e32 v84, v84, v95
	;; [unrolled: 1-line block ×6, first 2 shown]
	ds_read2_b64 v[83:86], v78 offset0:63 offset1:64
	v_add_f32_e32 v91, v87, v107
	v_add_f32_e32 v88, v88, v103
	;; [unrolled: 1-line block ×4, first 2 shown]
	s_waitcnt vmcnt(27) lgkmcnt(1)
	v_mul_f32_e32 v104, v79, v97
	v_mul_f32_e32 v89, v80, v97
	v_fmac_f32_e32 v104, v80, v132
	v_add_f32_e32 v80, v88, v102
	v_fma_f32 v102, v79, v132, -v89
	v_add_f32_e32 v95, v80, v105
	v_add_f32_e32 v95, v95, v113
	v_add_f32_e32 v95, v95, v111
	s_waitcnt vmcnt(26)
	v_mul_f32_e32 v103, v81, v108
	s_waitcnt vmcnt(25) lgkmcnt(0)
	v_mul_f32_e32 v97, v84, v117
	v_mul_f32_e32 v105, v83, v117
	;; [unrolled: 1-line block ×3, first 2 shown]
	v_fmac_f32_e32 v103, v82, v131
	v_fma_f32 v108, v83, v130, -v97
	v_add_f32_e32 v83, v96, v120
	v_fmac_f32_e32 v105, v84, v130
	v_add_f32_e32 v84, v95, v110
	v_fma_f32 v107, v81, v131, -v90
	ds_read2_b64 v[79:82], v78 offset0:65 offset1:66
	ds_read2_b64 v[87:90], v78 offset0:67 offset1:68
	v_add_f32_e32 v110, v83, v115
	s_waitcnt vmcnt(24)
	v_mul_f32_e32 v99, v86, v116
	v_add_f32_e32 v111, v84, v125
	v_mul_f32_e32 v106, v85, v116
	ds_read2_b64 v[91:94], v78 offset0:69 offset1:70
	ds_read2_b64 v[95:98], v78 offset0:71 offset1:72
	v_add_f32_e32 v110, v110, v124
	v_add_f32_e32 v102, v111, v102
	s_waitcnt vmcnt(20)
	v_fma_f32 v109, v85, v123, -v99
	v_fmac_f32_e32 v106, v86, v123
	ds_read2_b64 v[83:86], v78 offset0:73 offset1:74
	ds_read_b64 v[99:100], v78 offset:600
	v_add_f32_e32 v104, v110, v104
	v_add_f32_e32 v102, v102, v107
	;; [unrolled: 1-line block ×4, first 2 shown]
	s_waitcnt vmcnt(19) lgkmcnt(5)
	v_mul_f32_e32 v111, v80, v112
	v_mul_f32_e32 v113, v79, v112
	s_waitcnt vmcnt(18)
	v_mul_f32_e32 v112, v82, v133
	v_add_f32_e32 v103, v103, v105
	v_add_f32_e32 v102, v102, v109
	v_fma_f32 v79, v79, v122, -v111
	v_mul_f32_e32 v115, v81, v133
	v_fmac_f32_e32 v113, v80, v122
	v_add_f32_e32 v103, v103, v106
	s_waitcnt vmcnt(17) lgkmcnt(4)
	v_mul_f32_e32 v111, v88, v134
	v_fma_f32 v81, v81, v121, -v112
	v_add_f32_e32 v79, v102, v79
	v_mul_f32_e32 v110, v87, v134
	v_fmac_f32_e32 v115, v82, v121
	v_add_f32_e32 v82, v103, v113
	s_waitcnt vmcnt(16)
	v_mul_f32_e32 v102, v90, v135
	v_fma_f32 v87, v87, v114, -v111
	v_add_f32_e32 v79, v79, v81
	v_mul_f32_e32 v107, v89, v135
	v_fmac_f32_e32 v110, v88, v114
	v_add_f32_e32 v81, v82, v115
	s_waitcnt vmcnt(15) lgkmcnt(3)
	v_mul_f32_e32 v82, v92, v137
	s_waitcnt vmcnt(5)
	v_fma_f32 v88, v89, v149, -v102
	v_add_f32_e32 v79, v79, v87
	v_mul_f32_e32 v116, v91, v137
	v_fmac_f32_e32 v107, v90, v149
	v_add_f32_e32 v81, v81, v110
	v_mul_f32_e32 v87, v94, v145
	v_fma_f32 v82, v91, v148, -v82
	v_add_f32_e32 v79, v79, v88
	v_mul_f32_e32 v104, v93, v145
	v_fmac_f32_e32 v116, v92, v148
	v_add_f32_e32 v81, v81, v107
	s_waitcnt lgkmcnt(2)
	v_mul_f32_e32 v88, v96, v146
	v_fma_f32 v87, v93, v147, -v87
	v_add_f32_e32 v79, v79, v82
	v_mul_f32_e32 v108, v95, v146
	v_fmac_f32_e32 v104, v94, v147
	v_add_f32_e32 v81, v81, v116
	v_mul_f32_e32 v82, v98, v138
	v_fma_f32 v88, v95, v142, -v88
	v_add_f32_e32 v79, v79, v87
	v_mul_f32_e32 v80, v97, v138
	v_fmac_f32_e32 v108, v96, v142
	v_add_f32_e32 v81, v81, v104
	s_waitcnt lgkmcnt(1)
	v_mul_f32_e32 v87, v84, v139
	s_waitcnt vmcnt(1)
	v_fma_f32 v82, v97, v129, -v82
	v_add_f32_e32 v79, v79, v88
	v_mul_f32_e32 v105, v83, v139
	v_fmac_f32_e32 v80, v98, v129
	v_add_f32_e32 v81, v81, v108
	v_mul_f32_e32 v88, v86, v140
	v_fma_f32 v83, v83, v128, -v87
	v_add_f32_e32 v79, v79, v82
	v_mul_f32_e32 v109, v85, v140
	v_fmac_f32_e32 v105, v84, v128
	v_add_f32_e32 v80, v81, v80
	s_waitcnt lgkmcnt(0)
	v_mul_f32_e32 v81, v100, v141
	v_fma_f32 v82, v85, v127, -v88
	v_add_f32_e32 v79, v79, v83
	v_mul_f32_e32 v106, v99, v141
	v_fmac_f32_e32 v109, v86, v127
	v_add_f32_e32 v80, v80, v105
	v_fma_f32 v81, v99, v126, -v81
	v_add_f32_e32 v79, v79, v82
	v_fmac_f32_e32 v106, v100, v126
	v_add_f32_e32 v80, v80, v109
	v_add_f32_e32 v79, v79, v81
	;; [unrolled: 1-line block ×3, first 2 shown]
	s_waitcnt vmcnt(0)
	v_sub_f32_e32 v79, v101, v79
	v_sub_f32_e32 v80, v136, v80
	buffer_store_dword v79, off, s[0:3], 0 offset:16
	buffer_store_dword v80, off, s[0:3], 0 offset:20
	v_cmpx_lt_u32_e32 1, v0
	s_cbranch_execz .LBB37_239
; %bb.238:
	s_clause 0x1
	buffer_load_dword v79, off, s[0:3], 0 offset:8
	buffer_load_dword v80, off, s[0:3], 0 offset:12
	buffer_store_dword v78, off, s[0:3], 0 offset:8
	buffer_store_dword v78, off, s[0:3], 0 offset:12
	s_waitcnt vmcnt(0)
	ds_write_b64 v77, v[79:80]
.LBB37_239:
	s_or_b32 exec_lo, exec_lo, s4
	s_waitcnt lgkmcnt(0)
	s_waitcnt_vscnt null, 0x0
	s_barrier
	buffer_gl0_inv
	s_clause 0x2a
	buffer_load_dword v85, off, s[0:3], 0 offset:20
	buffer_load_dword v86, off, s[0:3], 0 offset:28
	;; [unrolled: 1-line block ×43, first 2 shown]
	ds_read_b128 v[118:121], v78 offset:320
	ds_read_b128 v[122:125], v78 offset:336
	;; [unrolled: 1-line block ×3, first 2 shown]
	buffer_load_dword v136, off, s[0:3], 0 offset:12
	s_mov_b32 s4, exec_lo
	s_waitcnt vmcnt(43) lgkmcnt(2)
	v_mul_f32_e32 v134, v118, v85
	s_waitcnt vmcnt(42)
	v_mul_f32_e32 v135, v120, v86
	v_mul_f32_e32 v85, v119, v85
	;; [unrolled: 1-line block ×3, first 2 shown]
	s_waitcnt vmcnt(39)
	v_fmac_f32_e32 v134, v119, v83
	v_fmac_f32_e32 v135, v121, v82
	v_fma_f32 v137, v118, v83, -v85
	v_fma_f32 v138, v120, v82, -v86
	ds_read_b128 v[118:121], v78 offset:368
	s_waitcnt vmcnt(38) lgkmcnt(2)
	v_mul_f32_e32 v139, v122, v80
	s_waitcnt vmcnt(37)
	v_mul_f32_e32 v140, v124, v81
	v_mul_f32_e32 v80, v123, v80
	;; [unrolled: 1-line block ×3, first 2 shown]
	s_waitcnt vmcnt(32) lgkmcnt(1)
	v_mul_f32_e32 v83, v127, v91
	v_fmac_f32_e32 v139, v123, v79
	v_fmac_f32_e32 v140, v125, v93
	v_fma_f32 v122, v122, v79, -v80
	v_fma_f32 v123, v124, v93, -v81
	ds_read_b128 v[79:82], v78 offset:384
	v_mul_f32_e32 v124, v126, v91
	s_waitcnt vmcnt(31)
	v_mul_f32_e32 v125, v128, v92
	v_mul_f32_e32 v85, v129, v92
	v_fma_f32 v126, v126, v90, -v83
	v_fmac_f32_e32 v124, v127, v90
	v_fmac_f32_e32 v125, v129, v87
	v_fma_f32 v127, v128, v87, -v85
	ds_read_b128 v[90:93], v78 offset:400
	s_waitcnt vmcnt(30) lgkmcnt(2)
	v_mul_f32_e32 v128, v118, v88
	s_waitcnt vmcnt(29)
	v_mul_f32_e32 v129, v120, v89
	v_mul_f32_e32 v83, v119, v88
	;; [unrolled: 1-line block ×3, first 2 shown]
	v_fmac_f32_e32 v128, v119, v84
	s_waitcnt vmcnt(25)
	v_fmac_f32_e32 v129, v121, v101
	v_fma_f32 v118, v118, v84, -v83
	v_fma_f32 v101, v120, v101, -v85
	ds_read_b128 v[83:86], v78 offset:416
	s_waitcnt vmcnt(24) lgkmcnt(2)
	v_mul_f32_e32 v119, v79, v99
	s_waitcnt vmcnt(23)
	v_mul_f32_e32 v120, v81, v100
	v_mul_f32_e32 v87, v80, v99
	;; [unrolled: 1-line block ×3, first 2 shown]
	v_fmac_f32_e32 v119, v80, v98
	v_fmac_f32_e32 v120, v82, v95
	v_fma_f32 v98, v79, v98, -v87
	v_fma_f32 v95, v81, v95, -v88
	ds_read_b128 v[79:82], v78 offset:432
	s_waitcnt vmcnt(22) lgkmcnt(2)
	v_mul_f32_e32 v99, v90, v96
	v_mul_f32_e32 v87, v91, v96
	s_waitcnt vmcnt(21)
	v_mul_f32_e32 v100, v92, v97
	v_mul_f32_e32 v88, v93, v97
	v_fmac_f32_e32 v99, v91, v94
	v_fma_f32 v91, v90, v94, -v87
	s_waitcnt vmcnt(17)
	v_fmac_f32_e32 v100, v93, v109
	v_fma_f32 v92, v92, v109, -v88
	s_waitcnt vmcnt(15) lgkmcnt(1)
	v_mul_f32_e32 v94, v85, v108
	v_mul_f32_e32 v96, v84, v107
	v_mul_f32_e32 v97, v86, v108
	ds_read_b128 v[87:90], v78 offset:448
	v_mul_f32_e32 v93, v83, v107
	v_fmac_f32_e32 v94, v86, v103
	v_fma_f32 v83, v83, v106, -v96
	v_fma_f32 v96, v85, v103, -v97
	s_clause 0x1
	buffer_load_dword v97, off, s[0:3], 0 offset:180
	buffer_load_dword v103, off, s[0:3], 0 offset:188
	v_fmac_f32_e32 v93, v84, v106
	s_waitcnt vmcnt(16) lgkmcnt(1)
	v_mul_f32_e32 v106, v79, v104
	s_waitcnt vmcnt(15)
	v_mul_f32_e32 v107, v81, v105
	v_mul_f32_e32 v84, v80, v104
	v_mul_f32_e32 v85, v82, v105
	buffer_load_dword v105, off, s[0:3], 0 offset:196
	v_fmac_f32_e32 v106, v80, v102
	s_waitcnt vmcnt(12)
	v_fmac_f32_e32 v107, v82, v117
	v_fma_f32 v102, v79, v102, -v84
	v_fma_f32 v104, v81, v117, -v85
	ds_read_b128 v[79:82], v78 offset:464
	s_waitcnt vmcnt(11) lgkmcnt(1)
	v_mul_f32_e32 v108, v87, v115
	s_waitcnt vmcnt(10)
	v_mul_f32_e32 v109, v89, v116
	v_mul_f32_e32 v84, v88, v115
	v_mul_f32_e32 v85, v90, v116
	s_clause 0x5
	buffer_load_dword v115, off, s[0:3], 0 offset:204
	buffer_load_dword v116, off, s[0:3], 0 offset:224
	;; [unrolled: 1-line block ×6, first 2 shown]
	v_fmac_f32_e32 v108, v88, v114
	v_fma_f32 v114, v87, v114, -v84
	v_fmac_f32_e32 v109, v90, v113
	v_fma_f32 v113, v89, v113, -v85
	s_waitcnt vmcnt(15) lgkmcnt(0)
	v_mul_f32_e32 v142, v79, v112
	v_mul_f32_e32 v84, v80, v112
	s_waitcnt vmcnt(14)
	v_mul_f32_e32 v112, v81, v111
	v_fmac_f32_e32 v142, v80, v110
	v_add_f32_e32 v80, 0, v134
	v_fma_f32 v110, v79, v110, -v84
	v_add_f32_e32 v79, 0, v137
	v_mul_f32_e32 v84, v82, v111
	s_clause 0x1
	buffer_load_dword v111, off, s[0:3], 0 offset:220
	buffer_load_dword v134, off, s[0:3], 0 offset:228
	v_add_f32_e32 v80, v80, v135
	v_add_f32_e32 v79, v79, v138
	buffer_load_dword v135, off, s[0:3], 0 offset:236
	s_waitcnt vmcnt(13)
	v_fmac_f32_e32 v112, v82, v133
	v_fma_f32 v133, v81, v133, -v84
	v_add_f32_e32 v80, v80, v139
	v_add_f32_e32 v79, v79, v122
	s_clause 0x2
	buffer_load_dword v122, off, s[0:3], 0 offset:244
	buffer_load_dword v137, off, s[0:3], 0 offset:252
	;; [unrolled: 1-line block ×3, first 2 shown]
	v_add_f32_e32 v80, v80, v140
	v_add_f32_e32 v79, v79, v123
	s_clause 0x3
	buffer_load_dword v123, off, s[0:3], 0 offset:268
	buffer_load_dword v139, off, s[0:3], 0 offset:276
	;; [unrolled: 1-line block ×4, first 2 shown]
	v_add_f32_e32 v80, v80, v124
	v_add_f32_e32 v79, v79, v126
	buffer_load_dword v124, off, s[0:3], 0 offset:300
	v_add_f32_e32 v80, v80, v125
	v_add_f32_e32 v79, v79, v127
	s_clause 0x3
	buffer_load_dword v125, off, s[0:3], 0 offset:256
	buffer_load_dword v126, off, s[0:3], 0 offset:248
	;; [unrolled: 1-line block ×4, first 2 shown]
	v_add_f32_e32 v80, v80, v128
	v_add_f32_e32 v79, v79, v118
	;; [unrolled: 1-line block ×3, first 2 shown]
	s_clause 0x4
	buffer_load_dword v118, off, s[0:3], 0 offset:288
	buffer_load_dword v128, off, s[0:3], 0 offset:280
	;; [unrolled: 1-line block ×5, first 2 shown]
	v_add_f32_e32 v79, v79, v101
	v_add_f32_e32 v80, v80, v119
	buffer_load_dword v119, off, s[0:3], 0 offset:296
	v_add_f32_e32 v79, v79, v98
	v_add_f32_e32 v80, v80, v120
	v_add_f32_e32 v79, v79, v95
	v_add_f32_e32 v84, v80, v99
	v_add_f32_e32 v85, v79, v91
	ds_read_b128 v[79:82], v78 offset:480
	v_add_f32_e32 v84, v84, v100
	v_add_f32_e32 v85, v85, v92
	;; [unrolled: 1-line block ×4, first 2 shown]
	ds_read_b128 v[83:86], v78 offset:496
	v_add_f32_e32 v87, v87, v94
	v_add_f32_e32 v88, v88, v96
	;; [unrolled: 1-line block ×11, first 2 shown]
	s_waitcnt vmcnt(29) lgkmcnt(1)
	v_mul_f32_e32 v99, v79, v97
	v_mul_f32_e32 v89, v80, v97
	s_waitcnt vmcnt(28)
	v_mul_f32_e32 v120, v81, v103
	v_mul_f32_e32 v90, v82, v103
	v_fmac_f32_e32 v99, v80, v132
	v_fma_f32 v103, v79, v132, -v89
	v_fmac_f32_e32 v120, v82, v131
	v_fma_f32 v106, v81, v131, -v90
	ds_read_b128 v[79:82], v78 offset:512
	ds_read_b128 v[87:90], v78 offset:528
	s_waitcnt vmcnt(27) lgkmcnt(2)
	v_mul_f32_e32 v107, v83, v105
	v_mul_f32_e32 v93, v84, v105
	v_fmac_f32_e32 v107, v84, v130
	v_add_f32_e32 v84, v92, v109
	v_fma_f32 v105, v83, v130, -v93
	s_waitcnt vmcnt(26)
	v_mul_f32_e32 v104, v85, v115
	v_mul_f32_e32 v94, v86, v115
	v_add_f32_e32 v96, v84, v142
	s_waitcnt vmcnt(22)
	v_fmac_f32_e32 v104, v86, v141
	v_fma_f32 v108, v85, v141, -v94
	v_add_f32_e32 v102, v96, v112
	ds_read_b128 v[83:86], v78 offset:544
	ds_read_b128 v[91:94], v78 offset:560
	s_waitcnt vmcnt(21) lgkmcnt(3)
	v_mul_f32_e32 v109, v79, v143
	v_mul_f32_e32 v101, v80, v143
	ds_read_b128 v[95:98], v78 offset:576
	v_fmac_f32_e32 v109, v80, v121
	v_fma_f32 v79, v79, v121, -v101
	v_add_f32_e32 v80, v102, v99
	ds_read_b128 v[99:102], v78 offset:592
	v_add_f32_e32 v78, v110, v103
	v_add_f32_e32 v80, v80, v120
	s_waitcnt vmcnt(20)
	v_mul_f32_e32 v110, v82, v111
	v_add_f32_e32 v78, v78, v106
	v_mul_f32_e32 v103, v81, v111
	s_waitcnt vmcnt(19) lgkmcnt(4)
	v_mul_f32_e32 v112, v88, v134
	v_add_f32_e32 v80, v80, v107
	v_fma_f32 v81, v81, v117, -v110
	v_add_f32_e32 v78, v78, v105
	v_mul_f32_e32 v111, v87, v134
	v_fmac_f32_e32 v103, v82, v117
	v_add_f32_e32 v80, v80, v104
	s_waitcnt vmcnt(18)
	v_mul_f32_e32 v104, v90, v135
	v_add_f32_e32 v78, v78, v108
	v_fma_f32 v87, v87, v116, -v112
	v_mul_f32_e32 v106, v89, v135
	v_fmac_f32_e32 v111, v88, v116
	s_waitcnt vmcnt(17) lgkmcnt(3)
	v_mul_f32_e32 v82, v83, v122
	v_add_f32_e32 v78, v78, v79
	v_add_f32_e32 v79, v80, v109
	s_waitcnt vmcnt(16)
	v_mul_f32_e32 v110, v85, v137
	s_waitcnt vmcnt(15) lgkmcnt(2)
	v_mul_f32_e32 v105, v91, v138
	s_waitcnt vmcnt(14)
	v_mul_f32_e32 v107, v93, v123
	v_add_f32_e32 v78, v78, v81
	v_add_f32_e32 v79, v79, v103
	v_mul_f32_e32 v81, v84, v122
	s_waitcnt vmcnt(6)
	v_fma_f32 v88, v89, v145, -v104
	v_fmac_f32_e32 v106, v90, v145
	v_add_f32_e32 v78, v78, v87
	v_add_f32_e32 v79, v79, v111
	v_mul_f32_e32 v87, v86, v137
	v_fma_f32 v81, v83, v127, -v81
	v_fmac_f32_e32 v82, v84, v127
	v_add_f32_e32 v78, v78, v88
	v_add_f32_e32 v79, v79, v106
	v_mul_f32_e32 v83, v92, v138
	;; [unrolled: 5-line block ×3, first 2 shown]
	v_fma_f32 v82, v91, v125, -v83
	v_fmac_f32_e32 v105, v92, v125
	v_add_f32_e32 v78, v78, v84
	v_add_f32_e32 v79, v79, v110
	s_waitcnt lgkmcnt(1)
	v_mul_f32_e32 v83, v96, v139
	s_waitcnt vmcnt(2)
	v_fma_f32 v81, v93, v146, -v81
	v_mul_f32_e32 v113, v95, v139
	v_add_f32_e32 v78, v78, v82
	v_fmac_f32_e32 v107, v94, v146
	v_add_f32_e32 v79, v79, v105
	v_mul_f32_e32 v82, v98, v140
	v_fma_f32 v83, v95, v129, -v83
	v_add_f32_e32 v78, v78, v81
	v_mul_f32_e32 v108, v97, v140
	v_fmac_f32_e32 v113, v96, v129
	v_add_f32_e32 v79, v79, v107
	s_waitcnt lgkmcnt(0)
	v_mul_f32_e32 v81, v100, v144
	v_fma_f32 v82, v97, v128, -v82
	v_add_f32_e32 v78, v78, v83
	v_mul_f32_e32 v114, v99, v144
	v_fmac_f32_e32 v108, v98, v128
	v_add_f32_e32 v79, v79, v113
	v_mul_f32_e32 v83, v102, v124
	v_fma_f32 v81, v99, v118, -v81
	v_add_f32_e32 v78, v78, v82
	v_mul_f32_e32 v80, v101, v124
	v_fmac_f32_e32 v114, v100, v118
	v_add_f32_e32 v79, v79, v108
	s_waitcnt vmcnt(0)
	v_fma_f32 v82, v101, v119, -v83
	v_add_f32_e32 v78, v78, v81
	v_fmac_f32_e32 v80, v102, v119
	v_add_f32_e32 v79, v79, v114
	v_add_f32_e32 v78, v78, v82
	;; [unrolled: 1-line block ×3, first 2 shown]
	v_sub_f32_e32 v78, v147, v78
	v_sub_f32_e32 v79, v136, v79
	buffer_store_dword v78, off, s[0:3], 0 offset:8
	buffer_store_dword v79, off, s[0:3], 0 offset:12
	v_cmpx_ne_u32_e32 0, v0
	s_cbranch_execz .LBB37_241
; %bb.240:
	s_clause 0x1
	buffer_load_dword v78, off, s[0:3], 0
	buffer_load_dword v79, off, s[0:3], 0 offset:4
	v_mov_b32_e32 v0, 0
	buffer_store_dword v0, off, s[0:3], 0
	buffer_store_dword v0, off, s[0:3], 0 offset:4
	s_waitcnt vmcnt(0)
	ds_write_b64 v77, v[78:79]
.LBB37_241:
	s_or_b32 exec_lo, exec_lo, s4
	s_waitcnt lgkmcnt(0)
	s_waitcnt_vscnt null, 0x0
	s_barrier
	buffer_gl0_inv
	s_clause 0x2b
	buffer_load_dword v114, off, s[0:3], 0 offset:12
	buffer_load_dword v115, off, s[0:3], 0 offset:20
	;; [unrolled: 1-line block ×44, first 2 shown]
	v_mov_b32_e32 v112, 0
	ds_read2_b64 v[116:119], v112 offset0:39 offset1:40
	ds_read2_b64 v[120:123], v112 offset0:41 offset1:42
	;; [unrolled: 1-line block ×3, first 2 shown]
	buffer_load_dword v135, off, s[0:3], 0 offset:4
	s_and_b32 vcc_lo, exec_lo, s22
	s_waitcnt vmcnt(44) lgkmcnt(2)
	v_mul_f32_e32 v133, v116, v114
	v_mul_f32_e32 v114, v117, v114
	s_waitcnt vmcnt(43)
	v_mul_f32_e32 v134, v118, v115
	v_mul_f32_e32 v115, v119, v115
	s_waitcnt vmcnt(40)
	v_fmac_f32_e32 v133, v117, v84
	v_fma_f32 v136, v116, v84, -v114
	s_waitcnt vmcnt(39) lgkmcnt(1)
	v_mul_f32_e32 v138, v120, v78
	v_fma_f32 v137, v118, v81, -v115
	ds_read2_b64 v[114:117], v112 offset0:45 offset1:46
	s_waitcnt vmcnt(38)
	v_mul_f32_e32 v139, v122, v79
	v_mul_f32_e32 v78, v121, v78
	;; [unrolled: 1-line block ×3, first 2 shown]
	v_fmac_f32_e32 v134, v119, v81
	v_fmac_f32_e32 v138, v121, v0
	s_waitcnt vmcnt(34)
	v_fmac_f32_e32 v139, v123, v87
	v_fma_f32 v0, v120, v0, -v78
	v_fma_f32 v87, v122, v87, -v79
	ds_read2_b64 v[118:121], v112 offset0:47 offset1:48
	s_waitcnt vmcnt(33) lgkmcnt(2)
	v_mul_f32_e32 v122, v124, v86
	v_mul_f32_e32 v78, v125, v86
	s_waitcnt vmcnt(32)
	v_mul_f32_e32 v86, v126, v85
	v_mul_f32_e32 v79, v127, v85
	v_fmac_f32_e32 v122, v125, v83
	v_fma_f32 v123, v124, v83, -v78
	v_fmac_f32_e32 v86, v127, v80
	v_fma_f32 v124, v126, v80, -v79
	ds_read2_b64 v[78:81], v112 offset0:49 offset1:50
	s_waitcnt vmcnt(31) lgkmcnt(2)
	v_mul_f32_e32 v125, v114, v82
	v_mul_f32_e32 v82, v115, v82
	s_waitcnt vmcnt(30)
	v_mul_f32_e32 v126, v116, v88
	v_mul_f32_e32 v83, v117, v88
	v_fmac_f32_e32 v125, v115, v77
	v_fma_f32 v88, v114, v77, -v82
	s_waitcnt vmcnt(26)
	v_fmac_f32_e32 v126, v117, v96
	v_fma_f32 v96, v116, v96, -v83
	ds_read2_b64 v[82:85], v112 offset0:51 offset1:52
	s_waitcnt vmcnt(25) lgkmcnt(2)
	v_mul_f32_e32 v127, v118, v94
	v_mul_f32_e32 v77, v119, v94
	s_waitcnt vmcnt(24)
	v_mul_f32_e32 v94, v120, v93
	v_mul_f32_e32 v93, v121, v93
	ds_read2_b64 v[114:117], v112 offset0:53 offset1:54
	v_fmac_f32_e32 v127, v119, v92
	v_fma_f32 v92, v118, v92, -v77
	v_fmac_f32_e32 v94, v121, v90
	v_fma_f32 v90, v120, v90, -v93
	s_waitcnt vmcnt(23) lgkmcnt(2)
	v_mul_f32_e32 v93, v78, v91
	v_mul_f32_e32 v77, v79, v91
	s_waitcnt vmcnt(22)
	v_mul_f32_e32 v91, v80, v95
	v_mul_f32_e32 v95, v81, v95
	v_fmac_f32_e32 v93, v79, v89
	v_fma_f32 v89, v78, v89, -v77
	s_waitcnt vmcnt(17)
	v_fmac_f32_e32 v91, v81, v104
	v_fma_f32 v95, v80, v104, -v95
	s_waitcnt lgkmcnt(1)
	v_mul_f32_e32 v118, v82, v97
	v_mul_f32_e32 v77, v83, v97
	buffer_load_dword v97, off, s[0:3], 0 offset:180
	s_waitcnt vmcnt(17)
	v_mul_f32_e32 v104, v84, v103
	v_mul_f32_e32 v81, v85, v103
	v_fmac_f32_e32 v118, v83, v102
	v_fma_f32 v102, v82, v102, -v77
	ds_read2_b64 v[77:80], v112 offset0:55 offset1:56
	v_fmac_f32_e32 v104, v85, v99
	v_fma_f32 v85, v84, v99, -v81
	s_waitcnt vmcnt(16) lgkmcnt(1)
	v_mul_f32_e32 v99, v114, v100
	v_mul_f32_e32 v81, v115, v100
	s_waitcnt vmcnt(15)
	v_mul_f32_e32 v100, v116, v105
	v_mul_f32_e32 v82, v117, v105
	buffer_load_dword v103, off, s[0:3], 0 offset:188
	v_fmac_f32_e32 v99, v115, v98
	v_fma_f32 v98, v114, v98, -v81
	v_add_f32_e32 v81, 0, v133
	s_waitcnt vmcnt(12)
	v_fmac_f32_e32 v100, v117, v113
	v_fma_f32 v105, v116, v113, -v82
	s_clause 0x4
	buffer_load_dword v114, off, s[0:3], 0 offset:196
	buffer_load_dword v115, off, s[0:3], 0 offset:216
	;; [unrolled: 1-line block ×5, first 2 shown]
	v_add_f32_e32 v113, 0, v136
	v_add_f32_e32 v120, v81, v134
	ds_read2_b64 v[81:84], v112 offset0:57 offset1:58
	v_add_f32_e32 v113, v113, v137
	s_waitcnt vmcnt(16) lgkmcnt(1)
	v_mul_f32_e32 v121, v77, v111
	v_mul_f32_e32 v111, v78, v111
	v_add_f32_e32 v0, v113, v0
	v_fmac_f32_e32 v121, v78, v110
	v_fma_f32 v110, v77, v110, -v111
	v_add_f32_e32 v77, v120, v138
	s_clause 0x1
	buffer_load_dword v111, off, s[0:3], 0 offset:204
	buffer_load_dword v120, off, s[0:3], 0 offset:212
	v_add_f32_e32 v0, v0, v87
	s_waitcnt vmcnt(17)
	v_mul_f32_e32 v113, v79, v109
	v_mul_f32_e32 v78, v80, v109
	v_add_f32_e32 v77, v77, v139
	buffer_load_dword v109, off, s[0:3], 0 offset:220
	v_add_f32_e32 v0, v0, v123
	v_fmac_f32_e32 v113, v80, v107
	s_waitcnt vmcnt(17) lgkmcnt(0)
	v_mul_f32_e32 v123, v81, v106
	v_add_f32_e32 v87, v77, v122
	s_clause 0x3
	buffer_load_dword v122, off, s[0:3], 0 offset:228
	buffer_load_dword v133, off, s[0:3], 0 offset:236
	;; [unrolled: 1-line block ×4, first 2 shown]
	v_fma_f32 v107, v79, v107, -v78
	ds_read2_b64 v[77:80], v112 offset0:59 offset1:60
	v_fmac_f32_e32 v123, v82, v101
	v_add_f32_e32 v86, v87, v86
	v_mul_f32_e32 v87, v82, v106
	s_waitcnt vmcnt(20)
	v_mul_f32_e32 v106, v83, v108
	v_mul_f32_e32 v108, v84, v108
	v_add_f32_e32 v0, v0, v124
	v_add_f32_e32 v86, v86, v125
	v_fma_f32 v101, v81, v101, -v87
	s_waitcnt vmcnt(16)
	v_fmac_f32_e32 v106, v84, v131
	v_fma_f32 v108, v83, v131, -v108
	v_add_f32_e32 v0, v0, v88
	v_add_f32_e32 v81, v86, v126
	s_clause 0x4
	buffer_load_dword v124, off, s[0:3], 0 offset:260
	buffer_load_dword v125, off, s[0:3], 0 offset:268
	;; [unrolled: 1-line block ×5, first 2 shown]
	v_add_f32_e32 v0, v0, v96
	v_add_f32_e32 v81, v81, v127
	s_clause 0x4
	buffer_load_dword v127, off, s[0:3], 0 offset:248
	buffer_load_dword v138, off, s[0:3], 0 offset:240
	;; [unrolled: 1-line block ×5, first 2 shown]
	s_waitcnt vmcnt(25) lgkmcnt(0)
	v_mul_f32_e32 v142, v77, v132
	v_add_f32_e32 v0, v0, v92
	v_add_f32_e32 v86, v81, v94
	ds_read2_b64 v[81:84], v112 offset0:61 offset1:62
	v_mul_f32_e32 v87, v78, v132
	s_clause 0x3
	buffer_load_dword v132, off, s[0:3], 0 offset:280
	buffer_load_dword v143, off, s[0:3], 0 offset:272
	;; [unrolled: 1-line block ×4, first 2 shown]
	v_add_f32_e32 v0, v0, v90
	v_add_f32_e32 v86, v86, v93
	v_fmac_f32_e32 v142, v78, v130
	v_fma_f32 v130, v77, v130, -v87
	v_add_f32_e32 v0, v0, v89
	v_add_f32_e32 v77, v86, v91
	;; [unrolled: 1-line block ×5, first 2 shown]
	s_clause 0x1
	buffer_load_dword v102, off, s[0:3], 0 offset:296
	buffer_load_dword v118, off, s[0:3], 0 offset:288
	v_add_f32_e32 v86, v77, v104
	buffer_load_dword v104, off, s[0:3], 0
	v_add_f32_e32 v0, v0, v85
	v_add_f32_e32 v85, v86, v99
	;; [unrolled: 1-line block ×4, first 2 shown]
	ds_read2_b64 v[85:88], v112 offset0:65 offset1:66
	v_add_f32_e32 v0, v0, v105
	v_add_f32_e32 v93, v90, v121
	;; [unrolled: 1-line block ×9, first 2 shown]
	s_waitcnt vmcnt(30)
	v_mul_f32_e32 v146, v79, v97
	v_mul_f32_e32 v77, v80, v97
	v_fmac_f32_e32 v146, v80, v129
	v_fma_f32 v129, v79, v129, -v77
	ds_read2_b64 v[77:80], v112 offset0:63 offset1:64
	v_add_f32_e32 v0, v0, v129
	s_waitcnt vmcnt(29) lgkmcnt(2)
	v_mul_f32_e32 v89, v82, v103
	v_mul_f32_e32 v99, v81, v103
	s_waitcnt vmcnt(28)
	v_mul_f32_e32 v91, v84, v114
	v_mul_f32_e32 v103, v83, v114
	v_fma_f32 v100, v81, v128, -v89
	v_fmac_f32_e32 v99, v82, v128
	s_waitcnt vmcnt(24)
	v_fma_f32 v105, v83, v119, -v91
	v_fmac_f32_e32 v103, v84, v119
	ds_read2_b64 v[81:84], v112 offset0:67 offset1:68
	ds_read2_b64 v[89:92], v112 offset0:69 offset1:70
	v_add_f32_e32 v0, v0, v100
	v_add_f32_e32 v0, v0, v105
	s_waitcnt vmcnt(23) lgkmcnt(2)
	v_mul_f32_e32 v94, v78, v111
	v_mul_f32_e32 v107, v77, v111
	s_waitcnt vmcnt(22)
	v_mul_f32_e32 v97, v80, v120
	v_mul_f32_e32 v101, v79, v120
	v_fma_f32 v108, v77, v117, -v94
	v_add_f32_e32 v77, v93, v106
	v_fmac_f32_e32 v107, v78, v117
	v_fma_f32 v106, v79, v116, -v97
	s_waitcnt vmcnt(21)
	v_mul_f32_e32 v111, v85, v109
	v_mul_f32_e32 v109, v86, v109
	v_add_f32_e32 v110, v77, v142
	v_add_f32_e32 v0, v0, v108
	v_fmac_f32_e32 v101, v80, v116
	s_waitcnt vmcnt(20)
	v_mul_f32_e32 v100, v88, v122
	v_fma_f32 v85, v85, v115, -v109
	v_add_f32_e32 v110, v110, v146
	v_add_f32_e32 v0, v0, v106
	v_mul_f32_e32 v113, v87, v122
	v_fmac_f32_e32 v111, v86, v115
	ds_read2_b64 v[93:96], v112 offset0:71 offset1:72
	v_add_f32_e32 v99, v110, v99
	s_waitcnt vmcnt(19) lgkmcnt(2)
	v_mul_f32_e32 v109, v82, v133
	v_add_f32_e32 v0, v0, v85
	v_mul_f32_e32 v110, v81, v133
	s_waitcnt vmcnt(18)
	v_mul_f32_e32 v114, v83, v134
	v_add_f32_e32 v99, v99, v103
	ds_read2_b64 v[77:80], v112 offset0:73 offset1:74
	ds_read_b64 v[97:98], v112 offset:600
	s_waitcnt vmcnt(17) lgkmcnt(3)
	v_mul_f32_e32 v105, v89, v136
	s_waitcnt vmcnt(9)
	v_fma_f32 v81, v81, v139, -v109
	s_waitcnt vmcnt(8)
	v_fma_f32 v87, v87, v140, -v100
	v_add_f32_e32 v99, v99, v107
	v_fmac_f32_e32 v113, v88, v140
	v_mul_f32_e32 v88, v84, v134
	v_fmac_f32_e32 v110, v82, v139
	v_add_f32_e32 v0, v0, v87
	v_add_f32_e32 v99, v99, v101
	v_fmac_f32_e32 v114, v84, v138
	v_fma_f32 v83, v83, v138, -v88
	v_mul_f32_e32 v103, v91, v124
	v_add_f32_e32 v0, v0, v81
	v_add_f32_e32 v85, v99, v111
	v_fmac_f32_e32 v105, v90, v127
	s_waitcnt lgkmcnt(2)
	v_mul_f32_e32 v116, v93, v125
	s_waitcnt vmcnt(3)
	v_fmac_f32_e32 v103, v92, v145
	v_add_f32_e32 v0, v0, v83
	v_add_f32_e32 v82, v85, v113
	v_mul_f32_e32 v85, v90, v136
	v_mul_f32_e32 v83, v94, v125
	;; [unrolled: 1-line block ×3, first 2 shown]
	v_fmac_f32_e32 v116, v94, v144
	v_add_f32_e32 v81, v82, v110
	v_mul_f32_e32 v82, v92, v124
	v_fma_f32 v84, v89, v127, -v85
	v_fma_f32 v83, v93, v144, -v83
	s_waitcnt lgkmcnt(1)
	v_mul_f32_e32 v107, v77, v137
	v_add_f32_e32 v81, v81, v114
	v_fma_f32 v82, v91, v145, -v82
	v_add_f32_e32 v0, v0, v84
	v_mul_f32_e32 v84, v96, v126
	v_fmac_f32_e32 v108, v96, v143
	v_add_f32_e32 v81, v81, v105
	v_mul_f32_e32 v86, v79, v131
	v_add_f32_e32 v0, v0, v82
	v_mul_f32_e32 v82, v78, v137
	v_fma_f32 v84, v95, v143, -v84
	v_add_f32_e32 v81, v81, v103
	v_fmac_f32_e32 v107, v78, v132
	v_add_f32_e32 v0, v0, v83
	v_mul_f32_e32 v83, v80, v131
	v_fma_f32 v77, v77, v132, -v82
	v_add_f32_e32 v81, v81, v116
	s_waitcnt lgkmcnt(0)
	v_mul_f32_e32 v101, v97, v141
	v_add_f32_e32 v0, v0, v84
	s_waitcnt vmcnt(1)
	v_fma_f32 v79, v79, v118, -v83
	v_fmac_f32_e32 v86, v80, v118
	v_add_f32_e32 v78, v81, v108
	v_mul_f32_e32 v81, v98, v141
	v_add_f32_e32 v0, v0, v77
	v_fmac_f32_e32 v101, v98, v102
	v_add_f32_e32 v77, v78, v107
	v_fma_f32 v78, v97, v102, -v81
	v_add_f32_e32 v0, v0, v79
	v_add_f32_e32 v77, v77, v86
	;; [unrolled: 1-line block ×4, first 2 shown]
	s_waitcnt vmcnt(0)
	v_sub_f32_e32 v0, v104, v0
	v_sub_f32_e32 v77, v135, v77
	buffer_store_dword v0, off, s[0:3], 0
	buffer_store_dword v77, off, s[0:3], 0 offset:4
	s_cbranch_vccz .LBB37_316
; %bb.242:
	global_load_dword v0, v112, s[20:21] offset:144
	s_waitcnt vmcnt(0)
	v_add_nc_u32_e32 v0, -1, v0
	v_cmp_ne_u32_e32 vcc_lo, 36, v0
	s_cbranch_vccz .LBB37_244
; %bb.243:
	v_lshlrev_b32_e32 v0, 3, v0
	s_clause 0x3
	buffer_load_dword v77, v0, s[0:3], 0 offen
	buffer_load_dword v78, v0, s[0:3], 0 offen offset:4
	buffer_load_dword v79, off, s[0:3], 0 offset:292
	buffer_load_dword v80, off, s[0:3], 0 offset:288
	s_waitcnt vmcnt(3)
	buffer_store_dword v77, off, s[0:3], 0 offset:288
	s_waitcnt vmcnt(2)
	buffer_store_dword v78, off, s[0:3], 0 offset:292
	s_waitcnt vmcnt(1)
	buffer_store_dword v79, v0, s[0:3], 0 offen offset:4
	s_waitcnt vmcnt(0)
	buffer_store_dword v80, v0, s[0:3], 0 offen
.LBB37_244:
	v_mov_b32_e32 v0, 0
	global_load_dword v77, v0, s[20:21] offset:140
	s_waitcnt vmcnt(0)
	v_add_nc_u32_e32 v77, -1, v77
	v_cmp_eq_u32_e32 vcc_lo, 35, v77
	s_cbranch_vccnz .LBB37_246
; %bb.245:
	v_lshlrev_b32_e32 v77, 3, v77
	s_clause 0x3
	buffer_load_dword v78, v77, s[0:3], 0 offen
	buffer_load_dword v79, v77, s[0:3], 0 offen offset:4
	buffer_load_dword v80, off, s[0:3], 0 offset:280
	buffer_load_dword v81, off, s[0:3], 0 offset:284
	s_waitcnt vmcnt(3)
	buffer_store_dword v78, off, s[0:3], 0 offset:280
	s_waitcnt vmcnt(2)
	buffer_store_dword v79, off, s[0:3], 0 offset:284
	s_waitcnt vmcnt(1)
	buffer_store_dword v80, v77, s[0:3], 0 offen
	s_waitcnt vmcnt(0)
	buffer_store_dword v81, v77, s[0:3], 0 offen offset:4
.LBB37_246:
	global_load_dword v0, v0, s[20:21] offset:136
	s_waitcnt vmcnt(0)
	v_add_nc_u32_e32 v0, -1, v0
	v_cmp_eq_u32_e32 vcc_lo, 34, v0
	s_cbranch_vccnz .LBB37_248
; %bb.247:
	v_lshlrev_b32_e32 v0, 3, v0
	s_clause 0x3
	buffer_load_dword v77, v0, s[0:3], 0 offen
	buffer_load_dword v78, v0, s[0:3], 0 offen offset:4
	buffer_load_dword v79, off, s[0:3], 0 offset:276
	buffer_load_dword v80, off, s[0:3], 0 offset:272
	s_waitcnt vmcnt(3)
	buffer_store_dword v77, off, s[0:3], 0 offset:272
	s_waitcnt vmcnt(2)
	buffer_store_dword v78, off, s[0:3], 0 offset:276
	s_waitcnt vmcnt(1)
	buffer_store_dword v79, v0, s[0:3], 0 offen offset:4
	s_waitcnt vmcnt(0)
	buffer_store_dword v80, v0, s[0:3], 0 offen
.LBB37_248:
	v_mov_b32_e32 v0, 0
	global_load_dword v77, v0, s[20:21] offset:132
	s_waitcnt vmcnt(0)
	v_add_nc_u32_e32 v77, -1, v77
	v_cmp_eq_u32_e32 vcc_lo, 33, v77
	s_cbranch_vccnz .LBB37_250
; %bb.249:
	v_lshlrev_b32_e32 v77, 3, v77
	s_clause 0x3
	buffer_load_dword v78, v77, s[0:3], 0 offen
	buffer_load_dword v79, v77, s[0:3], 0 offen offset:4
	buffer_load_dword v80, off, s[0:3], 0 offset:264
	buffer_load_dword v81, off, s[0:3], 0 offset:268
	s_waitcnt vmcnt(3)
	buffer_store_dword v78, off, s[0:3], 0 offset:264
	s_waitcnt vmcnt(2)
	buffer_store_dword v79, off, s[0:3], 0 offset:268
	s_waitcnt vmcnt(1)
	buffer_store_dword v80, v77, s[0:3], 0 offen
	s_waitcnt vmcnt(0)
	buffer_store_dword v81, v77, s[0:3], 0 offen offset:4
.LBB37_250:
	global_load_dword v0, v0, s[20:21] offset:128
	s_waitcnt vmcnt(0)
	v_add_nc_u32_e32 v0, -1, v0
	v_cmp_eq_u32_e32 vcc_lo, 32, v0
	s_cbranch_vccnz .LBB37_252
; %bb.251:
	v_lshlrev_b32_e32 v0, 3, v0
	s_clause 0x3
	buffer_load_dword v77, v0, s[0:3], 0 offen
	buffer_load_dword v78, v0, s[0:3], 0 offen offset:4
	buffer_load_dword v79, off, s[0:3], 0 offset:260
	buffer_load_dword v80, off, s[0:3], 0 offset:256
	s_waitcnt vmcnt(3)
	buffer_store_dword v77, off, s[0:3], 0 offset:256
	s_waitcnt vmcnt(2)
	buffer_store_dword v78, off, s[0:3], 0 offset:260
	s_waitcnt vmcnt(1)
	buffer_store_dword v79, v0, s[0:3], 0 offen offset:4
	s_waitcnt vmcnt(0)
	buffer_store_dword v80, v0, s[0:3], 0 offen
.LBB37_252:
	;; [unrolled: 43-line block ×17, first 2 shown]
	v_mov_b32_e32 v0, 0
	global_load_dword v77, v0, s[20:21] offset:4
	s_waitcnt vmcnt(0)
	v_add_nc_u32_e32 v77, -1, v77
	v_cmp_eq_u32_e32 vcc_lo, 1, v77
	s_cbranch_vccnz .LBB37_314
; %bb.313:
	v_lshlrev_b32_e32 v77, 3, v77
	s_clause 0x3
	buffer_load_dword v78, v77, s[0:3], 0 offen
	buffer_load_dword v79, v77, s[0:3], 0 offen offset:4
	buffer_load_dword v80, off, s[0:3], 0 offset:8
	buffer_load_dword v81, off, s[0:3], 0 offset:12
	s_waitcnt vmcnt(3)
	buffer_store_dword v78, off, s[0:3], 0 offset:8
	s_waitcnt vmcnt(2)
	buffer_store_dword v79, off, s[0:3], 0 offset:12
	s_waitcnt vmcnt(1)
	buffer_store_dword v80, v77, s[0:3], 0 offen
	s_waitcnt vmcnt(0)
	buffer_store_dword v81, v77, s[0:3], 0 offen offset:4
.LBB37_314:
	global_load_dword v0, v0, s[20:21]
	s_waitcnt vmcnt(0)
	v_add_nc_u32_e32 v0, -1, v0
	v_cmp_eq_u32_e32 vcc_lo, 0, v0
	s_cbranch_vccnz .LBB37_316
; %bb.315:
	v_lshlrev_b32_e32 v0, 3, v0
	s_clause 0x3
	buffer_load_dword v77, v0, s[0:3], 0 offen
	buffer_load_dword v78, v0, s[0:3], 0 offen offset:4
	buffer_load_dword v79, off, s[0:3], 0 offset:4
	buffer_load_dword v80, off, s[0:3], 0
	s_waitcnt vmcnt(3)
	buffer_store_dword v77, off, s[0:3], 0
	s_waitcnt vmcnt(2)
	buffer_store_dword v78, off, s[0:3], 0 offset:4
	s_waitcnt vmcnt(1)
	buffer_store_dword v79, v0, s[0:3], 0 offen offset:4
	s_waitcnt vmcnt(0)
	buffer_store_dword v80, v0, s[0:3], 0 offen
.LBB37_316:
	s_clause 0x3e
	buffer_load_dword v77, off, s[0:3], 0
	buffer_load_dword v78, off, s[0:3], 0 offset:4
	buffer_load_dword v79, off, s[0:3], 0 offset:8
	;; [unrolled: 1-line block ×62, first 2 shown]
	s_clause 0xc
	buffer_load_dword v140, off, s[0:3], 0 offset:252
	buffer_load_dword v141, off, s[0:3], 0 offset:256
	;; [unrolled: 1-line block ×13, first 2 shown]
	s_waitcnt vmcnt(62)
	global_store_dwordx2 v[63:64], v[77:78], off
	global_store_dwordx2 v[65:66], v[79:80], off
	;; [unrolled: 1-line block ×7, first 2 shown]
	s_waitcnt vmcnt(60)
	global_store_dwordx2 v[11:12], v[91:92], off
	s_waitcnt vmcnt(52)
	global_store_dwordx2 v[13:14], v[93:94], off
	global_store_dwordx2 v[15:16], v[95:96], off
	;; [unrolled: 1-line block ×4, first 2 shown]
	s_waitcnt vmcnt(50)
	global_store_dwordx2 v[21:22], v[101:102], off
	s_waitcnt vmcnt(48)
	global_store_dwordx2 v[23:24], v[103:104], off
	;; [unrolled: 2-line block ×26, first 2 shown]
	s_endpgm
	.section	.rodata,"a",@progbits
	.p2align	6, 0x0
	.amdhsa_kernel _ZN9rocsolver6v33100L18getri_kernel_smallILi38E19rocblas_complex_numIfEPS3_EEvT1_iilPiilS6_bb
		.amdhsa_group_segment_fixed_size 612
		.amdhsa_private_segment_fixed_size 320
		.amdhsa_kernarg_size 60
		.amdhsa_user_sgpr_count 6
		.amdhsa_user_sgpr_private_segment_buffer 1
		.amdhsa_user_sgpr_dispatch_ptr 0
		.amdhsa_user_sgpr_queue_ptr 0
		.amdhsa_user_sgpr_kernarg_segment_ptr 1
		.amdhsa_user_sgpr_dispatch_id 0
		.amdhsa_user_sgpr_flat_scratch_init 0
		.amdhsa_user_sgpr_private_segment_size 0
		.amdhsa_wavefront_size32 1
		.amdhsa_uses_dynamic_stack 0
		.amdhsa_system_sgpr_private_segment_wavefront_offset 1
		.amdhsa_system_sgpr_workgroup_id_x 1
		.amdhsa_system_sgpr_workgroup_id_y 0
		.amdhsa_system_sgpr_workgroup_id_z 0
		.amdhsa_system_sgpr_workgroup_info 0
		.amdhsa_system_vgpr_workitem_id 0
		.amdhsa_next_free_vgpr 250
		.amdhsa_next_free_sgpr 23
		.amdhsa_reserve_vcc 1
		.amdhsa_reserve_flat_scratch 0
		.amdhsa_float_round_mode_32 0
		.amdhsa_float_round_mode_16_64 0
		.amdhsa_float_denorm_mode_32 3
		.amdhsa_float_denorm_mode_16_64 3
		.amdhsa_dx10_clamp 1
		.amdhsa_ieee_mode 1
		.amdhsa_fp16_overflow 0
		.amdhsa_workgroup_processor_mode 1
		.amdhsa_memory_ordered 1
		.amdhsa_forward_progress 1
		.amdhsa_shared_vgpr_count 0
		.amdhsa_exception_fp_ieee_invalid_op 0
		.amdhsa_exception_fp_denorm_src 0
		.amdhsa_exception_fp_ieee_div_zero 0
		.amdhsa_exception_fp_ieee_overflow 0
		.amdhsa_exception_fp_ieee_underflow 0
		.amdhsa_exception_fp_ieee_inexact 0
		.amdhsa_exception_int_div_zero 0
	.end_amdhsa_kernel
	.section	.text._ZN9rocsolver6v33100L18getri_kernel_smallILi38E19rocblas_complex_numIfEPS3_EEvT1_iilPiilS6_bb,"axG",@progbits,_ZN9rocsolver6v33100L18getri_kernel_smallILi38E19rocblas_complex_numIfEPS3_EEvT1_iilPiilS6_bb,comdat
.Lfunc_end37:
	.size	_ZN9rocsolver6v33100L18getri_kernel_smallILi38E19rocblas_complex_numIfEPS3_EEvT1_iilPiilS6_bb, .Lfunc_end37-_ZN9rocsolver6v33100L18getri_kernel_smallILi38E19rocblas_complex_numIfEPS3_EEvT1_iilPiilS6_bb
                                        ; -- End function
	.set _ZN9rocsolver6v33100L18getri_kernel_smallILi38E19rocblas_complex_numIfEPS3_EEvT1_iilPiilS6_bb.num_vgpr, 250
	.set _ZN9rocsolver6v33100L18getri_kernel_smallILi38E19rocblas_complex_numIfEPS3_EEvT1_iilPiilS6_bb.num_agpr, 0
	.set _ZN9rocsolver6v33100L18getri_kernel_smallILi38E19rocblas_complex_numIfEPS3_EEvT1_iilPiilS6_bb.numbered_sgpr, 23
	.set _ZN9rocsolver6v33100L18getri_kernel_smallILi38E19rocblas_complex_numIfEPS3_EEvT1_iilPiilS6_bb.num_named_barrier, 0
	.set _ZN9rocsolver6v33100L18getri_kernel_smallILi38E19rocblas_complex_numIfEPS3_EEvT1_iilPiilS6_bb.private_seg_size, 320
	.set _ZN9rocsolver6v33100L18getri_kernel_smallILi38E19rocblas_complex_numIfEPS3_EEvT1_iilPiilS6_bb.uses_vcc, 1
	.set _ZN9rocsolver6v33100L18getri_kernel_smallILi38E19rocblas_complex_numIfEPS3_EEvT1_iilPiilS6_bb.uses_flat_scratch, 0
	.set _ZN9rocsolver6v33100L18getri_kernel_smallILi38E19rocblas_complex_numIfEPS3_EEvT1_iilPiilS6_bb.has_dyn_sized_stack, 0
	.set _ZN9rocsolver6v33100L18getri_kernel_smallILi38E19rocblas_complex_numIfEPS3_EEvT1_iilPiilS6_bb.has_recursion, 0
	.set _ZN9rocsolver6v33100L18getri_kernel_smallILi38E19rocblas_complex_numIfEPS3_EEvT1_iilPiilS6_bb.has_indirect_call, 0
	.section	.AMDGPU.csdata,"",@progbits
; Kernel info:
; codeLenInByte = 62224
; TotalNumSgprs: 25
; NumVgprs: 250
; ScratchSize: 320
; MemoryBound: 0
; FloatMode: 240
; IeeeMode: 1
; LDSByteSize: 612 bytes/workgroup (compile time only)
; SGPRBlocks: 0
; VGPRBlocks: 31
; NumSGPRsForWavesPerEU: 25
; NumVGPRsForWavesPerEU: 250
; Occupancy: 4
; WaveLimiterHint : 1
; COMPUTE_PGM_RSRC2:SCRATCH_EN: 1
; COMPUTE_PGM_RSRC2:USER_SGPR: 6
; COMPUTE_PGM_RSRC2:TRAP_HANDLER: 0
; COMPUTE_PGM_RSRC2:TGID_X_EN: 1
; COMPUTE_PGM_RSRC2:TGID_Y_EN: 0
; COMPUTE_PGM_RSRC2:TGID_Z_EN: 0
; COMPUTE_PGM_RSRC2:TIDIG_COMP_CNT: 0
	.section	.text._ZN9rocsolver6v33100L18getri_kernel_smallILi39E19rocblas_complex_numIfEPS3_EEvT1_iilPiilS6_bb,"axG",@progbits,_ZN9rocsolver6v33100L18getri_kernel_smallILi39E19rocblas_complex_numIfEPS3_EEvT1_iilPiilS6_bb,comdat
	.globl	_ZN9rocsolver6v33100L18getri_kernel_smallILi39E19rocblas_complex_numIfEPS3_EEvT1_iilPiilS6_bb ; -- Begin function _ZN9rocsolver6v33100L18getri_kernel_smallILi39E19rocblas_complex_numIfEPS3_EEvT1_iilPiilS6_bb
	.p2align	8
	.type	_ZN9rocsolver6v33100L18getri_kernel_smallILi39E19rocblas_complex_numIfEPS3_EEvT1_iilPiilS6_bb,@function
_ZN9rocsolver6v33100L18getri_kernel_smallILi39E19rocblas_complex_numIfEPS3_EEvT1_iilPiilS6_bb: ; @_ZN9rocsolver6v33100L18getri_kernel_smallILi39E19rocblas_complex_numIfEPS3_EEvT1_iilPiilS6_bb
; %bb.0:
	s_add_u32 s0, s0, s7
	s_addc_u32 s1, s1, 0
	s_mov_b32 s7, exec_lo
	v_cmpx_gt_u32_e32 39, v0
	s_cbranch_execz .LBB38_170
; %bb.1:
	s_clause 0x2
	s_load_dword s7, s[4:5], 0x38
	s_load_dwordx4 s[16:19], s[4:5], 0x10
	s_load_dwordx4 s[8:11], s[4:5], 0x28
                                        ; implicit-def: $sgpr20_sgpr21
	s_waitcnt lgkmcnt(0)
	s_bitcmp1_b32 s7, 8
	s_cselect_b32 s22, -1, 0
	s_bfe_u32 s12, s7, 0x10008
	s_ashr_i32 s7, s6, 31
	s_cmp_eq_u32 s12, 0
	s_cbranch_scc1 .LBB38_3
; %bb.2:
	s_load_dword s12, s[4:5], 0x20
	s_mul_i32 s13, s8, s7
	s_mul_hi_u32 s14, s8, s6
	s_mul_i32 s9, s9, s6
	s_add_i32 s13, s14, s13
	s_mul_i32 s8, s8, s6
	s_add_i32 s9, s13, s9
	s_lshl_b64 s[8:9], s[8:9], 2
	s_waitcnt lgkmcnt(0)
	s_ashr_i32 s13, s12, 31
	s_add_u32 s14, s18, s8
	s_addc_u32 s15, s19, s9
	s_lshl_b64 s[8:9], s[12:13], 2
	s_add_u32 s20, s14, s8
	s_addc_u32 s21, s15, s9
.LBB38_3:
	s_clause 0x1
	s_load_dwordx4 s[12:15], s[4:5], 0x0
	s_load_dword s8, s[4:5], 0x38
	s_mul_i32 s4, s16, s7
	s_mul_hi_u32 s5, s16, s6
	s_mul_i32 s9, s17, s6
	s_add_i32 s5, s5, s4
	s_mul_i32 s4, s16, s6
	s_add_i32 s5, s5, s9
	v_lshlrev_b32_e32 v81, 3, v0
	s_lshl_b64 s[4:5], s[4:5], 3
	s_waitcnt lgkmcnt(0)
	v_add3_u32 v1, s15, s15, v0
	s_ashr_i32 s17, s14, 31
	s_mov_b32 s16, s14
	s_add_u32 s9, s12, s4
	s_addc_u32 s12, s13, s5
	v_add_nc_u32_e32 v3, s15, v1
	v_ashrrev_i32_e32 v2, 31, v1
	s_lshl_b64 s[4:5], s[16:17], 3
	s_add_u32 s4, s9, s4
	v_add_nc_u32_e32 v5, s15, v3
	v_ashrrev_i32_e32 v4, 31, v3
	v_lshlrev_b64 v[1:2], 3, v[1:2]
	s_addc_u32 s5, s12, s5
	v_add_co_u32 v65, s9, s4, v81
	v_add_nc_u32_e32 v7, s15, v5
	v_ashrrev_i32_e32 v6, 31, v5
	v_lshlrev_b64 v[3:4], 3, v[3:4]
	v_add_co_u32 v1, vcc_lo, s4, v1
	v_add_nc_u32_e32 v9, s15, v7
	v_ashrrev_i32_e32 v8, 31, v7
	v_lshlrev_b64 v[5:6], 3, v[5:6]
	v_add_co_ci_u32_e64 v2, null, s5, v2, vcc_lo
	v_add_nc_u32_e32 v11, s15, v9
	v_ashrrev_i32_e32 v10, 31, v9
	v_lshlrev_b64 v[7:8], 3, v[7:8]
	v_add_co_u32 v3, vcc_lo, s4, v3
	v_add_nc_u32_e32 v13, s15, v11
	v_ashrrev_i32_e32 v12, 31, v11
	v_lshlrev_b64 v[9:10], 3, v[9:10]
	v_add_co_ci_u32_e64 v4, null, s5, v4, vcc_lo
	v_add_nc_u32_e32 v15, s15, v13
	v_ashrrev_i32_e32 v14, 31, v13
	v_add_co_u32 v5, vcc_lo, s4, v5
	v_lshlrev_b64 v[11:12], 3, v[11:12]
	v_add_nc_u32_e32 v17, s15, v15
	v_ashrrev_i32_e32 v16, 31, v15
	v_add_co_ci_u32_e64 v6, null, s5, v6, vcc_lo
	v_add_co_u32 v7, vcc_lo, s4, v7
	v_add_nc_u32_e32 v19, s15, v17
	v_ashrrev_i32_e32 v18, 31, v17
	v_lshlrev_b64 v[13:14], 3, v[13:14]
	v_add_co_ci_u32_e64 v8, null, s5, v8, vcc_lo
	v_add_nc_u32_e32 v21, s15, v19
	v_ashrrev_i32_e32 v20, 31, v19
	v_add_co_u32 v9, vcc_lo, s4, v9
	v_lshlrev_b64 v[15:16], 3, v[15:16]
	v_add_nc_u32_e32 v23, s15, v21
	v_ashrrev_i32_e32 v22, 31, v21
	v_add_co_ci_u32_e64 v10, null, s5, v10, vcc_lo
	v_add_co_u32 v11, vcc_lo, s4, v11
	v_add_nc_u32_e32 v25, s15, v23
	v_lshlrev_b64 v[17:18], 3, v[17:18]
	v_ashrrev_i32_e32 v24, 31, v23
	v_add_co_ci_u32_e64 v12, null, s5, v12, vcc_lo
	v_add_nc_u32_e32 v27, s15, v25
	v_add_co_u32 v13, vcc_lo, s4, v13
	v_lshlrev_b64 v[19:20], 3, v[19:20]
	v_ashrrev_i32_e32 v26, 31, v25
	v_add_nc_u32_e32 v29, s15, v27
	v_add_co_ci_u32_e64 v14, null, s5, v14, vcc_lo
	v_add_co_u32 v15, vcc_lo, s4, v15
	v_add_nc_u32_e32 v31, s15, v29
	v_lshlrev_b64 v[21:22], 3, v[21:22]
	v_ashrrev_i32_e32 v28, 31, v27
	v_add_co_ci_u32_e64 v16, null, s5, v16, vcc_lo
	v_add_nc_u32_e32 v33, s15, v31
	v_add_co_u32 v17, vcc_lo, s4, v17
	v_lshlrev_b64 v[23:24], 3, v[23:24]
	v_ashrrev_i32_e32 v30, 31, v29
	v_add_nc_u32_e32 v35, s15, v33
	v_add_co_ci_u32_e64 v18, null, s5, v18, vcc_lo
	v_add_co_u32 v19, vcc_lo, s4, v19
	v_add_nc_u32_e32 v37, s15, v35
	v_lshlrev_b64 v[25:26], 3, v[25:26]
	v_ashrrev_i32_e32 v32, 31, v31
	v_add_co_ci_u32_e64 v20, null, s5, v20, vcc_lo
	v_add_nc_u32_e32 v39, s15, v37
	v_add_co_u32 v21, vcc_lo, s4, v21
	v_lshlrev_b64 v[27:28], 3, v[27:28]
	v_ashrrev_i32_e32 v34, 31, v33
	v_add_nc_u32_e32 v41, s15, v39
	v_add_co_ci_u32_e64 v22, null, s5, v22, vcc_lo
	v_add_co_u32 v23, vcc_lo, s4, v23
	v_add_nc_u32_e32 v43, s15, v41
	v_lshlrev_b64 v[29:30], 3, v[29:30]
	v_ashrrev_i32_e32 v36, 31, v35
	v_add_co_ci_u32_e64 v24, null, s5, v24, vcc_lo
	v_add_nc_u32_e32 v45, s15, v43
	v_add_co_u32 v25, vcc_lo, s4, v25
	v_lshlrev_b64 v[31:32], 3, v[31:32]
	v_ashrrev_i32_e32 v38, 31, v37
	v_add_nc_u32_e32 v47, s15, v45
	v_add_co_ci_u32_e64 v26, null, s5, v26, vcc_lo
	v_add_co_u32 v27, vcc_lo, s4, v27
	v_add_nc_u32_e32 v49, s15, v47
	v_lshlrev_b64 v[33:34], 3, v[33:34]
	v_ashrrev_i32_e32 v40, 31, v39
	v_add_co_ci_u32_e64 v28, null, s5, v28, vcc_lo
	v_add_nc_u32_e32 v51, s15, v49
	v_add_co_u32 v29, vcc_lo, s4, v29
	v_lshlrev_b64 v[35:36], 3, v[35:36]
	v_ashrrev_i32_e32 v42, 31, v41
	v_add_nc_u32_e32 v53, s15, v51
	v_add_co_ci_u32_e64 v30, null, s5, v30, vcc_lo
	v_add_co_u32 v31, vcc_lo, s4, v31
	v_add_nc_u32_e32 v55, s15, v53
	v_lshlrev_b64 v[37:38], 3, v[37:38]
	v_ashrrev_i32_e32 v44, 31, v43
	v_add_co_ci_u32_e64 v32, null, s5, v32, vcc_lo
	v_add_nc_u32_e32 v57, s15, v55
	v_add_co_u32 v33, vcc_lo, s4, v33
	v_lshlrev_b64 v[39:40], 3, v[39:40]
	v_ashrrev_i32_e32 v46, 31, v45
	v_add_nc_u32_e32 v59, s15, v57
	v_add_co_ci_u32_e64 v34, null, s5, v34, vcc_lo
	v_add_co_u32 v35, vcc_lo, s4, v35
	v_add_nc_u32_e32 v61, s15, v59
	v_lshlrev_b64 v[41:42], 3, v[41:42]
	v_ashrrev_i32_e32 v48, 31, v47
	v_add_co_ci_u32_e64 v36, null, s5, v36, vcc_lo
	v_add_co_u32 v37, vcc_lo, s4, v37
	v_lshlrev_b64 v[43:44], 3, v[43:44]
	v_ashrrev_i32_e32 v50, 31, v49
	v_add_nc_u32_e32 v69, s15, v61
	v_add_co_ci_u32_e64 v38, null, s5, v38, vcc_lo
	v_add_co_u32 v39, vcc_lo, s4, v39
	v_lshlrev_b64 v[45:46], 3, v[45:46]
	v_ashrrev_i32_e32 v52, 31, v51
	v_add_co_ci_u32_e64 v40, null, s5, v40, vcc_lo
	v_add_co_u32 v41, vcc_lo, s4, v41
	v_lshlrev_b64 v[47:48], 3, v[47:48]
	v_ashrrev_i32_e32 v54, 31, v53
	v_add_co_ci_u32_e64 v42, null, s5, v42, vcc_lo
	v_add_co_u32 v43, vcc_lo, s4, v43
	v_lshlrev_b64 v[49:50], 3, v[49:50]
	v_add_nc_u32_e32 v71, s15, v69
	v_ashrrev_i32_e32 v56, 31, v55
	v_add_co_ci_u32_e64 v44, null, s5, v44, vcc_lo
	v_add_co_u32 v45, vcc_lo, s4, v45
	v_lshlrev_b64 v[51:52], 3, v[51:52]
	v_ashrrev_i32_e32 v58, 31, v57
	v_add_co_ci_u32_e64 v46, null, s5, v46, vcc_lo
	v_add_co_u32 v47, vcc_lo, s4, v47
	v_lshlrev_b64 v[53:54], 3, v[53:54]
	v_ashrrev_i32_e32 v60, 31, v59
	v_add_nc_u32_e32 v73, s15, v71
	v_add_co_ci_u32_e64 v48, null, s5, v48, vcc_lo
	v_add_co_u32 v49, vcc_lo, s4, v49
	v_lshlrev_b64 v[55:56], 3, v[55:56]
	v_ashrrev_i32_e32 v62, 31, v61
	v_add_co_ci_u32_e64 v50, null, s5, v50, vcc_lo
	v_add_co_u32 v51, vcc_lo, s4, v51
	v_lshlrev_b64 v[57:58], 3, v[57:58]
	v_add_co_ci_u32_e64 v52, null, s5, v52, vcc_lo
	v_add_co_u32 v53, vcc_lo, s4, v53
	v_lshlrev_b64 v[59:60], 3, v[59:60]
	v_add_nc_u32_e32 v75, s15, v73
	v_add_co_ci_u32_e64 v54, null, s5, v54, vcc_lo
	v_add_co_u32 v55, vcc_lo, s4, v55
	v_lshlrev_b64 v[62:63], 3, v[61:62]
	v_add_co_ci_u32_e64 v56, null, s5, v56, vcc_lo
	v_add_co_u32 v57, vcc_lo, s4, v57
	v_ashrrev_i32_e32 v70, 31, v69
	v_add_nc_u32_e32 v77, s15, v75
	v_add_co_ci_u32_e64 v58, null, s5, v58, vcc_lo
	v_add_co_u32 v59, vcc_lo, s4, v59
	v_ashrrev_i32_e32 v72, 31, v71
	v_add_co_ci_u32_e64 v60, null, s5, v60, vcc_lo
	v_add_co_u32 v61, vcc_lo, s4, v62
	v_ashrrev_i32_e32 v74, 31, v73
	v_add_co_ci_u32_e64 v62, null, s5, v63, vcc_lo
	s_mov_b32 s12, s15
	s_ashr_i32 s13, s15, 31
	v_lshlrev_b64 v[63:64], 3, v[69:70]
	v_add_nc_u32_e32 v122, s15, v77
	v_add_co_ci_u32_e64 v66, null, s5, 0, s9
	v_ashrrev_i32_e32 v76, 31, v75
	s_lshl_b64 s[12:13], s[12:13], 3
	v_lshlrev_b64 v[69:70], 3, v[71:72]
	v_ashrrev_i32_e32 v78, 31, v77
	v_add_co_u32 v67, vcc_lo, v65, s12
	v_lshlrev_b64 v[71:72], 3, v[73:74]
	v_ashrrev_i32_e32 v123, 31, v122
	v_add_co_ci_u32_e64 v68, null, s13, v66, vcc_lo
	v_add_co_u32 v63, vcc_lo, s4, v63
	v_lshlrev_b64 v[73:74], 3, v[75:76]
	v_add_co_ci_u32_e64 v64, null, s5, v64, vcc_lo
	v_add_co_u32 v69, vcc_lo, s4, v69
	v_lshlrev_b64 v[75:76], 3, v[77:78]
	;; [unrolled: 3-line block ×3, first 2 shown]
	v_add_co_ci_u32_e64 v72, null, s5, v72, vcc_lo
	v_add_co_u32 v73, vcc_lo, s4, v73
	v_add_co_ci_u32_e64 v74, null, s5, v74, vcc_lo
	v_add_co_u32 v75, vcc_lo, s4, v75
	;; [unrolled: 2-line block ×3, first 2 shown]
	v_add_co_ci_u32_e64 v78, null, s5, v78, vcc_lo
	s_clause 0x26
	global_load_dwordx2 v[79:80], v81, s[4:5]
	global_load_dwordx2 v[82:83], v[67:68], off
	global_load_dwordx2 v[84:85], v[1:2], off
	;; [unrolled: 1-line block ×38, first 2 shown]
	s_mov_b32 s5, -1
	s_bitcmp0_b32 s8, 0
	s_waitcnt vmcnt(38)
	buffer_store_dword v80, off, s[0:3], 0 offset:4
	buffer_store_dword v79, off, s[0:3], 0
	s_waitcnt vmcnt(37)
	buffer_store_dword v83, off, s[0:3], 0 offset:12
	buffer_store_dword v82, off, s[0:3], 0 offset:8
	s_waitcnt vmcnt(36)
	buffer_store_dword v85, off, s[0:3], 0 offset:20
	buffer_store_dword v84, off, s[0:3], 0 offset:16
	;; [unrolled: 3-line block ×38, first 2 shown]
	s_cbranch_scc1 .LBB38_168
; %bb.4:
	v_cmp_eq_u32_e64 s4, 0, v0
	s_and_saveexec_b32 s5, s4
; %bb.5:
	v_mov_b32_e32 v79, 0
	ds_write_b32 v79, v79 offset:312
; %bb.6:
	s_or_b32 exec_lo, exec_lo, s5
	v_lshl_add_u32 v83, v0, 3, 0
	s_waitcnt lgkmcnt(0)
	s_waitcnt_vscnt null, 0x0
	s_barrier
	buffer_gl0_inv
	s_clause 0x1
	buffer_load_dword v79, v83, s[0:3], 0 offen
	buffer_load_dword v80, v83, s[0:3], 0 offen offset:4
	s_waitcnt vmcnt(1)
	v_cmp_eq_f32_e32 vcc_lo, 0, v79
	s_waitcnt vmcnt(0)
	v_cmp_eq_f32_e64 s5, 0, v80
	s_and_b32 s5, vcc_lo, s5
	s_and_saveexec_b32 s8, s5
	s_cbranch_execz .LBB38_10
; %bb.7:
	v_mov_b32_e32 v79, 0
	s_mov_b32 s9, 0
	ds_read_b32 v80, v79 offset:312
	s_waitcnt lgkmcnt(0)
	v_readfirstlane_b32 s5, v80
	v_add_nc_u32_e32 v80, 1, v0
	s_cmp_eq_u32 s5, 0
	v_cmp_gt_i32_e32 vcc_lo, s5, v80
	s_cselect_b32 s12, -1, 0
	s_or_b32 s12, s12, vcc_lo
	s_and_b32 exec_lo, exec_lo, s12
	s_cbranch_execz .LBB38_10
; %bb.8:
	v_mov_b32_e32 v82, s5
.LBB38_9:                               ; =>This Inner Loop Header: Depth=1
	ds_cmpst_rtn_b32 v82, v79, v82, v80 offset:312
	s_waitcnt lgkmcnt(0)
	v_cmp_ne_u32_e32 vcc_lo, 0, v82
	v_cmp_le_i32_e64 s5, v82, v80
	s_and_b32 s5, vcc_lo, s5
	s_and_b32 s5, exec_lo, s5
	s_or_b32 s9, s5, s9
	s_andn2_b32 exec_lo, exec_lo, s9
	s_cbranch_execnz .LBB38_9
.LBB38_10:
	s_or_b32 exec_lo, exec_lo, s8
	v_mov_b32_e32 v79, 0
	s_barrier
	buffer_gl0_inv
	ds_read_b32 v80, v79 offset:312
	s_and_saveexec_b32 s5, s4
	s_cbranch_execz .LBB38_12
; %bb.11:
	s_lshl_b64 s[8:9], s[6:7], 2
	s_add_u32 s8, s10, s8
	s_addc_u32 s9, s11, s9
	s_waitcnt lgkmcnt(0)
	global_store_dword v79, v80, s[8:9]
.LBB38_12:
	s_or_b32 exec_lo, exec_lo, s5
	s_waitcnt lgkmcnt(0)
	v_cmp_ne_u32_e32 vcc_lo, 0, v80
	s_mov_b32 s5, 0
	s_cbranch_vccnz .LBB38_168
; %bb.13:
	s_clause 0x1
	buffer_load_dword v80, v83, s[0:3], 0 offen
	buffer_load_dword v82, v83, s[0:3], 0 offen offset:4
                                        ; implicit-def: $vgpr85
                                        ; implicit-def: $vgpr84
                                        ; implicit-def: $vgpr79
	s_waitcnt vmcnt(0)
	v_cmp_ngt_f32_e64 s5, |v80|, |v82|
	s_and_saveexec_b32 s8, s5
	s_xor_b32 s5, exec_lo, s8
	s_cbranch_execz .LBB38_15
; %bb.14:
	v_div_scale_f32 v79, null, v82, v82, v80
	v_div_scale_f32 v86, vcc_lo, v80, v82, v80
	v_rcp_f32_e32 v84, v79
	v_fma_f32 v85, -v79, v84, 1.0
	v_fmac_f32_e32 v84, v85, v84
	v_mul_f32_e32 v85, v86, v84
	v_fma_f32 v87, -v79, v85, v86
	v_fmac_f32_e32 v85, v87, v84
	v_fma_f32 v79, -v79, v85, v86
	v_div_fmas_f32 v79, v79, v84, v85
	v_div_fixup_f32 v79, v79, v82, v80
	v_fmac_f32_e32 v82, v80, v79
	v_div_scale_f32 v80, null, v82, v82, 1.0
	v_rcp_f32_e32 v84, v80
	v_fma_f32 v85, -v80, v84, 1.0
	v_fmac_f32_e32 v84, v85, v84
	v_div_scale_f32 v85, vcc_lo, 1.0, v82, 1.0
	v_mul_f32_e32 v86, v85, v84
	v_fma_f32 v87, -v80, v86, v85
	v_fmac_f32_e32 v86, v87, v84
	v_fma_f32 v80, -v80, v86, v85
	v_div_fmas_f32 v80, v80, v84, v86
	v_div_fixup_f32 v80, v80, v82, 1.0
                                        ; implicit-def: $vgpr82
	v_mul_f32_e32 v85, v79, v80
	v_xor_b32_e32 v84, 0x80000000, v80
                                        ; implicit-def: $vgpr80
	v_xor_b32_e32 v79, 0x80000000, v85
.LBB38_15:
	s_andn2_saveexec_b32 s5, s5
	s_cbranch_execz .LBB38_17
; %bb.16:
	v_div_scale_f32 v79, null, v80, v80, v82
	v_div_scale_f32 v86, vcc_lo, v82, v80, v82
	v_rcp_f32_e32 v84, v79
	v_fma_f32 v85, -v79, v84, 1.0
	v_fmac_f32_e32 v84, v85, v84
	v_mul_f32_e32 v85, v86, v84
	v_fma_f32 v87, -v79, v85, v86
	v_fmac_f32_e32 v85, v87, v84
	v_fma_f32 v79, -v79, v85, v86
	v_div_fmas_f32 v79, v79, v84, v85
	v_div_fixup_f32 v84, v79, v80, v82
	v_fmac_f32_e32 v80, v82, v84
	v_div_scale_f32 v79, null, v80, v80, 1.0
	v_div_scale_f32 v86, vcc_lo, 1.0, v80, 1.0
	v_rcp_f32_e32 v82, v79
	v_fma_f32 v85, -v79, v82, 1.0
	v_fmac_f32_e32 v82, v85, v82
	v_mul_f32_e32 v85, v86, v82
	v_fma_f32 v87, -v79, v85, v86
	v_fmac_f32_e32 v85, v87, v82
	v_fma_f32 v79, -v79, v85, v86
	v_div_fmas_f32 v79, v79, v82, v85
	v_div_fixup_f32 v85, v79, v80, 1.0
	v_xor_b32_e32 v79, 0x80000000, v85
	v_mul_f32_e64 v84, v84, -v85
.LBB38_17:
	s_or_b32 exec_lo, exec_lo, s5
	buffer_store_dword v85, v83, s[0:3], 0 offen
	buffer_store_dword v84, v83, s[0:3], 0 offen offset:4
	s_clause 0x1
	buffer_load_dword v86, off, s[0:3], 0 offset:12
	buffer_load_dword v85, off, s[0:3], 0 offset:8
	v_xor_b32_e32 v80, 0x80000000, v84
	v_add_nc_u32_e32 v82, 0x140, v81
	s_waitcnt vmcnt(0)
	ds_write2_b64 v81, v[79:80], v[85:86] offset1:40
	s_waitcnt lgkmcnt(0)
	s_waitcnt_vscnt null, 0x0
	s_barrier
	buffer_gl0_inv
	s_and_saveexec_b32 s5, s4
	s_cbranch_execz .LBB38_19
; %bb.18:
	s_clause 0x1
	buffer_load_dword v86, v83, s[0:3], 0 offen offset:4
	buffer_load_dword v87, v83, s[0:3], 0 offen
	ds_read_b64 v[79:80], v82
	v_mov_b32_e32 v84, 0
	ds_read_b64 v[84:85], v84 offset:8
	s_waitcnt vmcnt(1) lgkmcnt(1)
	v_mul_f32_e32 v88, v79, v86
	v_mul_f32_e32 v86, v80, v86
	s_waitcnt vmcnt(0)
	v_fmac_f32_e32 v88, v80, v87
	v_fma_f32 v79, v79, v87, -v86
	v_add_f32_e32 v80, 0, v88
	v_add_f32_e32 v79, 0, v79
	s_waitcnt lgkmcnt(0)
	v_mul_f32_e32 v86, v80, v85
	v_mul_f32_e32 v85, v79, v85
	v_fma_f32 v79, v79, v84, -v86
	v_fmac_f32_e32 v85, v80, v84
	buffer_store_dword v79, off, s[0:3], 0 offset:8
	buffer_store_dword v85, off, s[0:3], 0 offset:12
.LBB38_19:
	s_or_b32 exec_lo, exec_lo, s5
	s_waitcnt_vscnt null, 0x0
	s_barrier
	buffer_gl0_inv
	s_clause 0x1
	buffer_load_dword v79, off, s[0:3], 0 offset:16
	buffer_load_dword v80, off, s[0:3], 0 offset:20
	s_mov_b32 s5, exec_lo
	s_waitcnt vmcnt(0)
	ds_write_b64 v82, v[79:80]
	s_waitcnt lgkmcnt(0)
	s_barrier
	buffer_gl0_inv
	v_cmpx_gt_u32_e32 2, v0
	s_cbranch_execz .LBB38_23
; %bb.20:
	s_clause 0x1
	buffer_load_dword v84, v83, s[0:3], 0 offen offset:4
	buffer_load_dword v83, v83, s[0:3], 0 offen
	ds_read_b64 v[79:80], v82
	s_waitcnt vmcnt(1) lgkmcnt(0)
	v_mul_f32_e32 v85, v80, v84
	v_mul_f32_e32 v84, v79, v84
	s_waitcnt vmcnt(0)
	v_fma_f32 v79, v79, v83, -v85
	v_fmac_f32_e32 v84, v80, v83
	v_add_f32_e32 v80, 0, v79
	v_add_f32_e32 v79, 0, v84
	s_and_saveexec_b32 s8, s4
	s_cbranch_execz .LBB38_22
; %bb.21:
	s_clause 0x1
	buffer_load_dword v85, off, s[0:3], 0 offset:12
	buffer_load_dword v86, off, s[0:3], 0 offset:8
	v_mov_b32_e32 v83, 0
	ds_read_b64 v[83:84], v83 offset:328
	s_waitcnt vmcnt(1) lgkmcnt(0)
	v_mul_f32_e32 v87, v83, v85
	v_mul_f32_e32 v85, v84, v85
	s_waitcnt vmcnt(0)
	v_fmac_f32_e32 v87, v84, v86
	v_fma_f32 v83, v83, v86, -v85
	v_add_f32_e32 v79, v79, v87
	v_add_f32_e32 v80, v80, v83
.LBB38_22:
	s_or_b32 exec_lo, exec_lo, s8
	v_mov_b32_e32 v83, 0
	ds_read_b64 v[83:84], v83 offset:16
	s_waitcnt lgkmcnt(0)
	v_mul_f32_e32 v85, v79, v84
	v_mul_f32_e32 v84, v80, v84
	v_fma_f32 v80, v80, v83, -v85
	v_fmac_f32_e32 v84, v79, v83
	buffer_store_dword v80, off, s[0:3], 0 offset:16
	buffer_store_dword v84, off, s[0:3], 0 offset:20
.LBB38_23:
	s_or_b32 exec_lo, exec_lo, s5
	s_waitcnt_vscnt null, 0x0
	s_barrier
	buffer_gl0_inv
	s_clause 0x1
	buffer_load_dword v83, off, s[0:3], 0 offset:24
	buffer_load_dword v84, off, s[0:3], 0 offset:28
	v_add_nc_u32_e32 v79, -1, v0
	s_mov_b32 s4, exec_lo
	s_waitcnt vmcnt(0)
	ds_write_b64 v82, v[83:84]
	s_waitcnt lgkmcnt(0)
	s_barrier
	buffer_gl0_inv
	v_cmpx_gt_u32_e32 3, v0
	s_cbranch_execz .LBB38_27
; %bb.24:
	v_add_nc_u32_e32 v83, -1, v0
	v_add_nc_u32_e32 v84, 0x140, v81
	v_mov_b32_e32 v85, v81
	v_mov_b32_e32 v80, 0
	;; [unrolled: 1-line block ×3, first 2 shown]
	s_mov_b32 s5, 0
	.p2align	6
.LBB38_25:                              ; =>This Inner Loop Header: Depth=1
	s_clause 0x1
	buffer_load_dword v89, v85, s[0:3], 0 offen offset:4
	buffer_load_dword v90, v85, s[0:3], 0 offen
	ds_read_b64 v[87:88], v84
	v_add_nc_u32_e32 v83, 1, v83
	v_add_nc_u32_e32 v84, 8, v84
	;; [unrolled: 1-line block ×3, first 2 shown]
	v_cmp_lt_u32_e32 vcc_lo, 1, v83
	s_or_b32 s5, vcc_lo, s5
	s_waitcnt vmcnt(1) lgkmcnt(0)
	v_mul_f32_e32 v91, v88, v89
	v_mul_f32_e32 v89, v87, v89
	s_waitcnt vmcnt(0)
	v_fma_f32 v87, v87, v90, -v91
	v_fmac_f32_e32 v89, v88, v90
	v_add_f32_e32 v86, v86, v87
	v_add_f32_e32 v80, v80, v89
	s_andn2_b32 exec_lo, exec_lo, s5
	s_cbranch_execnz .LBB38_25
; %bb.26:
	s_or_b32 exec_lo, exec_lo, s5
	v_mov_b32_e32 v83, 0
	ds_read_b64 v[83:84], v83 offset:24
	s_waitcnt lgkmcnt(0)
	v_mul_f32_e32 v85, v80, v84
	v_mul_f32_e32 v84, v86, v84
	v_fma_f32 v85, v86, v83, -v85
	v_fmac_f32_e32 v84, v80, v83
	buffer_store_dword v85, off, s[0:3], 0 offset:24
	buffer_store_dword v84, off, s[0:3], 0 offset:28
.LBB38_27:
	s_or_b32 exec_lo, exec_lo, s4
	s_waitcnt_vscnt null, 0x0
	s_barrier
	buffer_gl0_inv
	s_clause 0x1
	buffer_load_dword v83, off, s[0:3], 0 offset:32
	buffer_load_dword v84, off, s[0:3], 0 offset:36
	s_mov_b32 s4, exec_lo
	s_waitcnt vmcnt(0)
	ds_write_b64 v82, v[83:84]
	s_waitcnt lgkmcnt(0)
	s_barrier
	buffer_gl0_inv
	v_cmpx_gt_u32_e32 4, v0
	s_cbranch_execz .LBB38_31
; %bb.28:
	v_add_nc_u32_e32 v83, -1, v0
	v_add_nc_u32_e32 v84, 0x140, v81
	v_mov_b32_e32 v85, v81
	v_mov_b32_e32 v80, 0
	v_mov_b32_e32 v86, 0
	s_mov_b32 s5, 0
	.p2align	6
.LBB38_29:                              ; =>This Inner Loop Header: Depth=1
	s_clause 0x1
	buffer_load_dword v89, v85, s[0:3], 0 offen offset:4
	buffer_load_dword v90, v85, s[0:3], 0 offen
	ds_read_b64 v[87:88], v84
	v_add_nc_u32_e32 v83, 1, v83
	v_add_nc_u32_e32 v84, 8, v84
	;; [unrolled: 1-line block ×3, first 2 shown]
	v_cmp_lt_u32_e32 vcc_lo, 2, v83
	s_or_b32 s5, vcc_lo, s5
	s_waitcnt vmcnt(1) lgkmcnt(0)
	v_mul_f32_e32 v91, v88, v89
	v_mul_f32_e32 v89, v87, v89
	s_waitcnt vmcnt(0)
	v_fma_f32 v87, v87, v90, -v91
	v_fmac_f32_e32 v89, v88, v90
	v_add_f32_e32 v86, v86, v87
	v_add_f32_e32 v80, v80, v89
	s_andn2_b32 exec_lo, exec_lo, s5
	s_cbranch_execnz .LBB38_29
; %bb.30:
	s_or_b32 exec_lo, exec_lo, s5
	v_mov_b32_e32 v83, 0
	ds_read_b64 v[83:84], v83 offset:32
	s_waitcnt lgkmcnt(0)
	v_mul_f32_e32 v85, v80, v84
	v_mul_f32_e32 v84, v86, v84
	v_fma_f32 v85, v86, v83, -v85
	v_fmac_f32_e32 v84, v80, v83
	buffer_store_dword v85, off, s[0:3], 0 offset:32
	buffer_store_dword v84, off, s[0:3], 0 offset:36
.LBB38_31:
	s_or_b32 exec_lo, exec_lo, s4
	s_waitcnt_vscnt null, 0x0
	s_barrier
	buffer_gl0_inv
	s_clause 0x1
	buffer_load_dword v83, off, s[0:3], 0 offset:40
	buffer_load_dword v84, off, s[0:3], 0 offset:44
	s_mov_b32 s4, exec_lo
	s_waitcnt vmcnt(0)
	ds_write_b64 v82, v[83:84]
	s_waitcnt lgkmcnt(0)
	s_barrier
	buffer_gl0_inv
	v_cmpx_gt_u32_e32 5, v0
	s_cbranch_execz .LBB38_35
; %bb.32:
	v_add_nc_u32_e32 v83, -1, v0
	v_add_nc_u32_e32 v84, 0x140, v81
	v_mov_b32_e32 v85, v81
	v_mov_b32_e32 v80, 0
	;; [unrolled: 1-line block ×3, first 2 shown]
	s_mov_b32 s5, 0
	.p2align	6
.LBB38_33:                              ; =>This Inner Loop Header: Depth=1
	s_clause 0x1
	buffer_load_dword v89, v85, s[0:3], 0 offen offset:4
	buffer_load_dword v90, v85, s[0:3], 0 offen
	ds_read_b64 v[87:88], v84
	v_add_nc_u32_e32 v83, 1, v83
	v_add_nc_u32_e32 v84, 8, v84
	;; [unrolled: 1-line block ×3, first 2 shown]
	v_cmp_lt_u32_e32 vcc_lo, 3, v83
	s_or_b32 s5, vcc_lo, s5
	s_waitcnt vmcnt(1) lgkmcnt(0)
	v_mul_f32_e32 v91, v88, v89
	v_mul_f32_e32 v89, v87, v89
	s_waitcnt vmcnt(0)
	v_fma_f32 v87, v87, v90, -v91
	v_fmac_f32_e32 v89, v88, v90
	v_add_f32_e32 v86, v86, v87
	v_add_f32_e32 v80, v80, v89
	s_andn2_b32 exec_lo, exec_lo, s5
	s_cbranch_execnz .LBB38_33
; %bb.34:
	s_or_b32 exec_lo, exec_lo, s5
	v_mov_b32_e32 v83, 0
	ds_read_b64 v[83:84], v83 offset:40
	s_waitcnt lgkmcnt(0)
	v_mul_f32_e32 v85, v80, v84
	v_mul_f32_e32 v84, v86, v84
	v_fma_f32 v85, v86, v83, -v85
	v_fmac_f32_e32 v84, v80, v83
	buffer_store_dword v85, off, s[0:3], 0 offset:40
	buffer_store_dword v84, off, s[0:3], 0 offset:44
.LBB38_35:
	s_or_b32 exec_lo, exec_lo, s4
	s_waitcnt_vscnt null, 0x0
	s_barrier
	buffer_gl0_inv
	s_clause 0x1
	buffer_load_dword v83, off, s[0:3], 0 offset:48
	buffer_load_dword v84, off, s[0:3], 0 offset:52
	s_mov_b32 s4, exec_lo
	s_waitcnt vmcnt(0)
	ds_write_b64 v82, v[83:84]
	s_waitcnt lgkmcnt(0)
	s_barrier
	buffer_gl0_inv
	v_cmpx_gt_u32_e32 6, v0
	s_cbranch_execz .LBB38_39
; %bb.36:
	v_add_nc_u32_e32 v83, -1, v0
	v_add_nc_u32_e32 v84, 0x140, v81
	v_mov_b32_e32 v85, v81
	v_mov_b32_e32 v80, 0
	;; [unrolled: 1-line block ×3, first 2 shown]
	s_mov_b32 s5, 0
	.p2align	6
.LBB38_37:                              ; =>This Inner Loop Header: Depth=1
	s_clause 0x1
	buffer_load_dword v89, v85, s[0:3], 0 offen offset:4
	buffer_load_dword v90, v85, s[0:3], 0 offen
	ds_read_b64 v[87:88], v84
	v_add_nc_u32_e32 v83, 1, v83
	v_add_nc_u32_e32 v84, 8, v84
	;; [unrolled: 1-line block ×3, first 2 shown]
	v_cmp_lt_u32_e32 vcc_lo, 4, v83
	s_or_b32 s5, vcc_lo, s5
	s_waitcnt vmcnt(1) lgkmcnt(0)
	v_mul_f32_e32 v91, v88, v89
	v_mul_f32_e32 v89, v87, v89
	s_waitcnt vmcnt(0)
	v_fma_f32 v87, v87, v90, -v91
	v_fmac_f32_e32 v89, v88, v90
	v_add_f32_e32 v86, v86, v87
	v_add_f32_e32 v80, v80, v89
	s_andn2_b32 exec_lo, exec_lo, s5
	s_cbranch_execnz .LBB38_37
; %bb.38:
	s_or_b32 exec_lo, exec_lo, s5
	v_mov_b32_e32 v83, 0
	ds_read_b64 v[83:84], v83 offset:48
	s_waitcnt lgkmcnt(0)
	v_mul_f32_e32 v85, v80, v84
	v_mul_f32_e32 v84, v86, v84
	v_fma_f32 v85, v86, v83, -v85
	v_fmac_f32_e32 v84, v80, v83
	buffer_store_dword v85, off, s[0:3], 0 offset:48
	buffer_store_dword v84, off, s[0:3], 0 offset:52
.LBB38_39:
	s_or_b32 exec_lo, exec_lo, s4
	s_waitcnt_vscnt null, 0x0
	s_barrier
	buffer_gl0_inv
	s_clause 0x1
	buffer_load_dword v83, off, s[0:3], 0 offset:56
	buffer_load_dword v84, off, s[0:3], 0 offset:60
	s_mov_b32 s4, exec_lo
	s_waitcnt vmcnt(0)
	ds_write_b64 v82, v[83:84]
	s_waitcnt lgkmcnt(0)
	s_barrier
	buffer_gl0_inv
	v_cmpx_gt_u32_e32 7, v0
	s_cbranch_execz .LBB38_43
; %bb.40:
	v_add_nc_u32_e32 v83, -1, v0
	v_add_nc_u32_e32 v84, 0x140, v81
	v_mov_b32_e32 v85, v81
	v_mov_b32_e32 v80, 0
	;; [unrolled: 1-line block ×3, first 2 shown]
	s_mov_b32 s5, 0
	.p2align	6
.LBB38_41:                              ; =>This Inner Loop Header: Depth=1
	s_clause 0x1
	buffer_load_dword v89, v85, s[0:3], 0 offen offset:4
	buffer_load_dword v90, v85, s[0:3], 0 offen
	ds_read_b64 v[87:88], v84
	v_add_nc_u32_e32 v83, 1, v83
	v_add_nc_u32_e32 v84, 8, v84
	;; [unrolled: 1-line block ×3, first 2 shown]
	v_cmp_lt_u32_e32 vcc_lo, 5, v83
	s_or_b32 s5, vcc_lo, s5
	s_waitcnt vmcnt(1) lgkmcnt(0)
	v_mul_f32_e32 v91, v88, v89
	v_mul_f32_e32 v89, v87, v89
	s_waitcnt vmcnt(0)
	v_fma_f32 v87, v87, v90, -v91
	v_fmac_f32_e32 v89, v88, v90
	v_add_f32_e32 v86, v86, v87
	v_add_f32_e32 v80, v80, v89
	s_andn2_b32 exec_lo, exec_lo, s5
	s_cbranch_execnz .LBB38_41
; %bb.42:
	s_or_b32 exec_lo, exec_lo, s5
	v_mov_b32_e32 v83, 0
	ds_read_b64 v[83:84], v83 offset:56
	s_waitcnt lgkmcnt(0)
	v_mul_f32_e32 v85, v80, v84
	v_mul_f32_e32 v84, v86, v84
	v_fma_f32 v85, v86, v83, -v85
	v_fmac_f32_e32 v84, v80, v83
	buffer_store_dword v85, off, s[0:3], 0 offset:56
	buffer_store_dword v84, off, s[0:3], 0 offset:60
.LBB38_43:
	s_or_b32 exec_lo, exec_lo, s4
	s_waitcnt_vscnt null, 0x0
	s_barrier
	buffer_gl0_inv
	s_clause 0x1
	buffer_load_dword v83, off, s[0:3], 0 offset:64
	buffer_load_dword v84, off, s[0:3], 0 offset:68
	s_mov_b32 s4, exec_lo
	s_waitcnt vmcnt(0)
	ds_write_b64 v82, v[83:84]
	s_waitcnt lgkmcnt(0)
	s_barrier
	buffer_gl0_inv
	v_cmpx_gt_u32_e32 8, v0
	s_cbranch_execz .LBB38_47
; %bb.44:
	v_add_nc_u32_e32 v83, -1, v0
	v_add_nc_u32_e32 v84, 0x140, v81
	v_mov_b32_e32 v85, v81
	v_mov_b32_e32 v80, 0
	;; [unrolled: 1-line block ×3, first 2 shown]
	s_mov_b32 s5, 0
	.p2align	6
.LBB38_45:                              ; =>This Inner Loop Header: Depth=1
	s_clause 0x1
	buffer_load_dword v89, v85, s[0:3], 0 offen offset:4
	buffer_load_dword v90, v85, s[0:3], 0 offen
	ds_read_b64 v[87:88], v84
	v_add_nc_u32_e32 v83, 1, v83
	v_add_nc_u32_e32 v84, 8, v84
	;; [unrolled: 1-line block ×3, first 2 shown]
	v_cmp_lt_u32_e32 vcc_lo, 6, v83
	s_or_b32 s5, vcc_lo, s5
	s_waitcnt vmcnt(1) lgkmcnt(0)
	v_mul_f32_e32 v91, v88, v89
	v_mul_f32_e32 v89, v87, v89
	s_waitcnt vmcnt(0)
	v_fma_f32 v87, v87, v90, -v91
	v_fmac_f32_e32 v89, v88, v90
	v_add_f32_e32 v86, v86, v87
	v_add_f32_e32 v80, v80, v89
	s_andn2_b32 exec_lo, exec_lo, s5
	s_cbranch_execnz .LBB38_45
; %bb.46:
	s_or_b32 exec_lo, exec_lo, s5
	v_mov_b32_e32 v83, 0
	ds_read_b64 v[83:84], v83 offset:64
	s_waitcnt lgkmcnt(0)
	v_mul_f32_e32 v85, v80, v84
	v_mul_f32_e32 v84, v86, v84
	v_fma_f32 v85, v86, v83, -v85
	v_fmac_f32_e32 v84, v80, v83
	buffer_store_dword v85, off, s[0:3], 0 offset:64
	buffer_store_dword v84, off, s[0:3], 0 offset:68
.LBB38_47:
	s_or_b32 exec_lo, exec_lo, s4
	s_waitcnt_vscnt null, 0x0
	s_barrier
	buffer_gl0_inv
	s_clause 0x1
	buffer_load_dword v83, off, s[0:3], 0 offset:72
	buffer_load_dword v84, off, s[0:3], 0 offset:76
	s_mov_b32 s4, exec_lo
	s_waitcnt vmcnt(0)
	ds_write_b64 v82, v[83:84]
	s_waitcnt lgkmcnt(0)
	s_barrier
	buffer_gl0_inv
	v_cmpx_gt_u32_e32 9, v0
	s_cbranch_execz .LBB38_51
; %bb.48:
	v_add_nc_u32_e32 v83, -1, v0
	v_add_nc_u32_e32 v84, 0x140, v81
	v_mov_b32_e32 v85, v81
	v_mov_b32_e32 v80, 0
	;; [unrolled: 1-line block ×3, first 2 shown]
	s_mov_b32 s5, 0
	.p2align	6
.LBB38_49:                              ; =>This Inner Loop Header: Depth=1
	s_clause 0x1
	buffer_load_dword v89, v85, s[0:3], 0 offen offset:4
	buffer_load_dword v90, v85, s[0:3], 0 offen
	ds_read_b64 v[87:88], v84
	v_add_nc_u32_e32 v83, 1, v83
	v_add_nc_u32_e32 v84, 8, v84
	v_add_nc_u32_e32 v85, 8, v85
	v_cmp_lt_u32_e32 vcc_lo, 7, v83
	s_or_b32 s5, vcc_lo, s5
	s_waitcnt vmcnt(1) lgkmcnt(0)
	v_mul_f32_e32 v91, v88, v89
	v_mul_f32_e32 v89, v87, v89
	s_waitcnt vmcnt(0)
	v_fma_f32 v87, v87, v90, -v91
	v_fmac_f32_e32 v89, v88, v90
	v_add_f32_e32 v86, v86, v87
	v_add_f32_e32 v80, v80, v89
	s_andn2_b32 exec_lo, exec_lo, s5
	s_cbranch_execnz .LBB38_49
; %bb.50:
	s_or_b32 exec_lo, exec_lo, s5
	v_mov_b32_e32 v83, 0
	ds_read_b64 v[83:84], v83 offset:72
	s_waitcnt lgkmcnt(0)
	v_mul_f32_e32 v85, v80, v84
	v_mul_f32_e32 v84, v86, v84
	v_fma_f32 v85, v86, v83, -v85
	v_fmac_f32_e32 v84, v80, v83
	buffer_store_dword v85, off, s[0:3], 0 offset:72
	buffer_store_dword v84, off, s[0:3], 0 offset:76
.LBB38_51:
	s_or_b32 exec_lo, exec_lo, s4
	s_waitcnt_vscnt null, 0x0
	s_barrier
	buffer_gl0_inv
	s_clause 0x1
	buffer_load_dword v83, off, s[0:3], 0 offset:80
	buffer_load_dword v84, off, s[0:3], 0 offset:84
	s_mov_b32 s4, exec_lo
	s_waitcnt vmcnt(0)
	ds_write_b64 v82, v[83:84]
	s_waitcnt lgkmcnt(0)
	s_barrier
	buffer_gl0_inv
	v_cmpx_gt_u32_e32 10, v0
	s_cbranch_execz .LBB38_55
; %bb.52:
	v_add_nc_u32_e32 v83, -1, v0
	v_add_nc_u32_e32 v84, 0x140, v81
	v_mov_b32_e32 v85, v81
	v_mov_b32_e32 v80, 0
	;; [unrolled: 1-line block ×3, first 2 shown]
	s_mov_b32 s5, 0
	.p2align	6
.LBB38_53:                              ; =>This Inner Loop Header: Depth=1
	s_clause 0x1
	buffer_load_dword v89, v85, s[0:3], 0 offen offset:4
	buffer_load_dword v90, v85, s[0:3], 0 offen
	ds_read_b64 v[87:88], v84
	v_add_nc_u32_e32 v83, 1, v83
	v_add_nc_u32_e32 v84, 8, v84
	;; [unrolled: 1-line block ×3, first 2 shown]
	v_cmp_lt_u32_e32 vcc_lo, 8, v83
	s_or_b32 s5, vcc_lo, s5
	s_waitcnt vmcnt(1) lgkmcnt(0)
	v_mul_f32_e32 v91, v88, v89
	v_mul_f32_e32 v89, v87, v89
	s_waitcnt vmcnt(0)
	v_fma_f32 v87, v87, v90, -v91
	v_fmac_f32_e32 v89, v88, v90
	v_add_f32_e32 v86, v86, v87
	v_add_f32_e32 v80, v80, v89
	s_andn2_b32 exec_lo, exec_lo, s5
	s_cbranch_execnz .LBB38_53
; %bb.54:
	s_or_b32 exec_lo, exec_lo, s5
	v_mov_b32_e32 v83, 0
	ds_read_b64 v[83:84], v83 offset:80
	s_waitcnt lgkmcnt(0)
	v_mul_f32_e32 v85, v80, v84
	v_mul_f32_e32 v84, v86, v84
	v_fma_f32 v85, v86, v83, -v85
	v_fmac_f32_e32 v84, v80, v83
	buffer_store_dword v85, off, s[0:3], 0 offset:80
	buffer_store_dword v84, off, s[0:3], 0 offset:84
.LBB38_55:
	s_or_b32 exec_lo, exec_lo, s4
	s_waitcnt_vscnt null, 0x0
	s_barrier
	buffer_gl0_inv
	s_clause 0x1
	buffer_load_dword v83, off, s[0:3], 0 offset:88
	buffer_load_dword v84, off, s[0:3], 0 offset:92
	s_mov_b32 s4, exec_lo
	s_waitcnt vmcnt(0)
	ds_write_b64 v82, v[83:84]
	s_waitcnt lgkmcnt(0)
	s_barrier
	buffer_gl0_inv
	v_cmpx_gt_u32_e32 11, v0
	s_cbranch_execz .LBB38_59
; %bb.56:
	v_add_nc_u32_e32 v83, -1, v0
	v_add_nc_u32_e32 v84, 0x140, v81
	v_mov_b32_e32 v85, v81
	v_mov_b32_e32 v80, 0
	v_mov_b32_e32 v86, 0
	s_mov_b32 s5, 0
	.p2align	6
.LBB38_57:                              ; =>This Inner Loop Header: Depth=1
	s_clause 0x1
	buffer_load_dword v89, v85, s[0:3], 0 offen offset:4
	buffer_load_dword v90, v85, s[0:3], 0 offen
	ds_read_b64 v[87:88], v84
	v_add_nc_u32_e32 v83, 1, v83
	v_add_nc_u32_e32 v84, 8, v84
	;; [unrolled: 1-line block ×3, first 2 shown]
	v_cmp_lt_u32_e32 vcc_lo, 9, v83
	s_or_b32 s5, vcc_lo, s5
	s_waitcnt vmcnt(1) lgkmcnt(0)
	v_mul_f32_e32 v91, v88, v89
	v_mul_f32_e32 v89, v87, v89
	s_waitcnt vmcnt(0)
	v_fma_f32 v87, v87, v90, -v91
	v_fmac_f32_e32 v89, v88, v90
	v_add_f32_e32 v86, v86, v87
	v_add_f32_e32 v80, v80, v89
	s_andn2_b32 exec_lo, exec_lo, s5
	s_cbranch_execnz .LBB38_57
; %bb.58:
	s_or_b32 exec_lo, exec_lo, s5
	v_mov_b32_e32 v83, 0
	ds_read_b64 v[83:84], v83 offset:88
	s_waitcnt lgkmcnt(0)
	v_mul_f32_e32 v85, v80, v84
	v_mul_f32_e32 v84, v86, v84
	v_fma_f32 v85, v86, v83, -v85
	v_fmac_f32_e32 v84, v80, v83
	buffer_store_dword v85, off, s[0:3], 0 offset:88
	buffer_store_dword v84, off, s[0:3], 0 offset:92
.LBB38_59:
	s_or_b32 exec_lo, exec_lo, s4
	s_waitcnt_vscnt null, 0x0
	s_barrier
	buffer_gl0_inv
	s_clause 0x1
	buffer_load_dword v83, off, s[0:3], 0 offset:96
	buffer_load_dword v84, off, s[0:3], 0 offset:100
	s_mov_b32 s4, exec_lo
	s_waitcnt vmcnt(0)
	ds_write_b64 v82, v[83:84]
	s_waitcnt lgkmcnt(0)
	s_barrier
	buffer_gl0_inv
	v_cmpx_gt_u32_e32 12, v0
	s_cbranch_execz .LBB38_63
; %bb.60:
	v_add_nc_u32_e32 v83, -1, v0
	v_add_nc_u32_e32 v84, 0x140, v81
	v_mov_b32_e32 v85, v81
	v_mov_b32_e32 v80, 0
	;; [unrolled: 1-line block ×3, first 2 shown]
	s_mov_b32 s5, 0
	.p2align	6
.LBB38_61:                              ; =>This Inner Loop Header: Depth=1
	s_clause 0x1
	buffer_load_dword v89, v85, s[0:3], 0 offen offset:4
	buffer_load_dword v90, v85, s[0:3], 0 offen
	ds_read_b64 v[87:88], v84
	v_add_nc_u32_e32 v83, 1, v83
	v_add_nc_u32_e32 v84, 8, v84
	v_add_nc_u32_e32 v85, 8, v85
	v_cmp_lt_u32_e32 vcc_lo, 10, v83
	s_or_b32 s5, vcc_lo, s5
	s_waitcnt vmcnt(1) lgkmcnt(0)
	v_mul_f32_e32 v91, v88, v89
	v_mul_f32_e32 v89, v87, v89
	s_waitcnt vmcnt(0)
	v_fma_f32 v87, v87, v90, -v91
	v_fmac_f32_e32 v89, v88, v90
	v_add_f32_e32 v86, v86, v87
	v_add_f32_e32 v80, v80, v89
	s_andn2_b32 exec_lo, exec_lo, s5
	s_cbranch_execnz .LBB38_61
; %bb.62:
	s_or_b32 exec_lo, exec_lo, s5
	v_mov_b32_e32 v83, 0
	ds_read_b64 v[83:84], v83 offset:96
	s_waitcnt lgkmcnt(0)
	v_mul_f32_e32 v85, v80, v84
	v_mul_f32_e32 v84, v86, v84
	v_fma_f32 v85, v86, v83, -v85
	v_fmac_f32_e32 v84, v80, v83
	buffer_store_dword v85, off, s[0:3], 0 offset:96
	buffer_store_dword v84, off, s[0:3], 0 offset:100
.LBB38_63:
	s_or_b32 exec_lo, exec_lo, s4
	s_waitcnt_vscnt null, 0x0
	s_barrier
	buffer_gl0_inv
	s_clause 0x1
	buffer_load_dword v83, off, s[0:3], 0 offset:104
	buffer_load_dword v84, off, s[0:3], 0 offset:108
	s_mov_b32 s4, exec_lo
	s_waitcnt vmcnt(0)
	ds_write_b64 v82, v[83:84]
	s_waitcnt lgkmcnt(0)
	s_barrier
	buffer_gl0_inv
	v_cmpx_gt_u32_e32 13, v0
	s_cbranch_execz .LBB38_67
; %bb.64:
	v_add_nc_u32_e32 v83, -1, v0
	v_add_nc_u32_e32 v84, 0x140, v81
	v_mov_b32_e32 v85, v81
	v_mov_b32_e32 v80, 0
	;; [unrolled: 1-line block ×3, first 2 shown]
	s_mov_b32 s5, 0
	.p2align	6
.LBB38_65:                              ; =>This Inner Loop Header: Depth=1
	s_clause 0x1
	buffer_load_dword v89, v85, s[0:3], 0 offen offset:4
	buffer_load_dword v90, v85, s[0:3], 0 offen
	ds_read_b64 v[87:88], v84
	v_add_nc_u32_e32 v83, 1, v83
	v_add_nc_u32_e32 v84, 8, v84
	v_add_nc_u32_e32 v85, 8, v85
	v_cmp_lt_u32_e32 vcc_lo, 11, v83
	s_or_b32 s5, vcc_lo, s5
	s_waitcnt vmcnt(1) lgkmcnt(0)
	v_mul_f32_e32 v91, v88, v89
	v_mul_f32_e32 v89, v87, v89
	s_waitcnt vmcnt(0)
	v_fma_f32 v87, v87, v90, -v91
	v_fmac_f32_e32 v89, v88, v90
	v_add_f32_e32 v86, v86, v87
	v_add_f32_e32 v80, v80, v89
	s_andn2_b32 exec_lo, exec_lo, s5
	s_cbranch_execnz .LBB38_65
; %bb.66:
	s_or_b32 exec_lo, exec_lo, s5
	v_mov_b32_e32 v83, 0
	ds_read_b64 v[83:84], v83 offset:104
	s_waitcnt lgkmcnt(0)
	v_mul_f32_e32 v85, v80, v84
	v_mul_f32_e32 v84, v86, v84
	v_fma_f32 v85, v86, v83, -v85
	v_fmac_f32_e32 v84, v80, v83
	buffer_store_dword v85, off, s[0:3], 0 offset:104
	buffer_store_dword v84, off, s[0:3], 0 offset:108
.LBB38_67:
	s_or_b32 exec_lo, exec_lo, s4
	s_waitcnt_vscnt null, 0x0
	s_barrier
	buffer_gl0_inv
	s_clause 0x1
	buffer_load_dword v83, off, s[0:3], 0 offset:112
	buffer_load_dword v84, off, s[0:3], 0 offset:116
	s_mov_b32 s4, exec_lo
	s_waitcnt vmcnt(0)
	ds_write_b64 v82, v[83:84]
	s_waitcnt lgkmcnt(0)
	s_barrier
	buffer_gl0_inv
	v_cmpx_gt_u32_e32 14, v0
	s_cbranch_execz .LBB38_71
; %bb.68:
	v_add_nc_u32_e32 v83, -1, v0
	v_add_nc_u32_e32 v84, 0x140, v81
	v_mov_b32_e32 v85, v81
	v_mov_b32_e32 v80, 0
	;; [unrolled: 1-line block ×3, first 2 shown]
	s_mov_b32 s5, 0
	.p2align	6
.LBB38_69:                              ; =>This Inner Loop Header: Depth=1
	s_clause 0x1
	buffer_load_dword v89, v85, s[0:3], 0 offen offset:4
	buffer_load_dword v90, v85, s[0:3], 0 offen
	ds_read_b64 v[87:88], v84
	v_add_nc_u32_e32 v83, 1, v83
	v_add_nc_u32_e32 v84, 8, v84
	;; [unrolled: 1-line block ×3, first 2 shown]
	v_cmp_lt_u32_e32 vcc_lo, 12, v83
	s_or_b32 s5, vcc_lo, s5
	s_waitcnt vmcnt(1) lgkmcnt(0)
	v_mul_f32_e32 v91, v88, v89
	v_mul_f32_e32 v89, v87, v89
	s_waitcnt vmcnt(0)
	v_fma_f32 v87, v87, v90, -v91
	v_fmac_f32_e32 v89, v88, v90
	v_add_f32_e32 v86, v86, v87
	v_add_f32_e32 v80, v80, v89
	s_andn2_b32 exec_lo, exec_lo, s5
	s_cbranch_execnz .LBB38_69
; %bb.70:
	s_or_b32 exec_lo, exec_lo, s5
	v_mov_b32_e32 v83, 0
	ds_read_b64 v[83:84], v83 offset:112
	s_waitcnt lgkmcnt(0)
	v_mul_f32_e32 v85, v80, v84
	v_mul_f32_e32 v84, v86, v84
	v_fma_f32 v85, v86, v83, -v85
	v_fmac_f32_e32 v84, v80, v83
	buffer_store_dword v85, off, s[0:3], 0 offset:112
	buffer_store_dword v84, off, s[0:3], 0 offset:116
.LBB38_71:
	s_or_b32 exec_lo, exec_lo, s4
	s_waitcnt_vscnt null, 0x0
	s_barrier
	buffer_gl0_inv
	s_clause 0x1
	buffer_load_dword v83, off, s[0:3], 0 offset:120
	buffer_load_dword v84, off, s[0:3], 0 offset:124
	s_mov_b32 s4, exec_lo
	s_waitcnt vmcnt(0)
	ds_write_b64 v82, v[83:84]
	s_waitcnt lgkmcnt(0)
	s_barrier
	buffer_gl0_inv
	v_cmpx_gt_u32_e32 15, v0
	s_cbranch_execz .LBB38_75
; %bb.72:
	v_add_nc_u32_e32 v83, -1, v0
	v_add_nc_u32_e32 v84, 0x140, v81
	v_mov_b32_e32 v85, v81
	v_mov_b32_e32 v80, 0
	;; [unrolled: 1-line block ×3, first 2 shown]
	s_mov_b32 s5, 0
	.p2align	6
.LBB38_73:                              ; =>This Inner Loop Header: Depth=1
	s_clause 0x1
	buffer_load_dword v89, v85, s[0:3], 0 offen offset:4
	buffer_load_dword v90, v85, s[0:3], 0 offen
	ds_read_b64 v[87:88], v84
	v_add_nc_u32_e32 v83, 1, v83
	v_add_nc_u32_e32 v84, 8, v84
	;; [unrolled: 1-line block ×3, first 2 shown]
	v_cmp_lt_u32_e32 vcc_lo, 13, v83
	s_or_b32 s5, vcc_lo, s5
	s_waitcnt vmcnt(1) lgkmcnt(0)
	v_mul_f32_e32 v91, v88, v89
	v_mul_f32_e32 v89, v87, v89
	s_waitcnt vmcnt(0)
	v_fma_f32 v87, v87, v90, -v91
	v_fmac_f32_e32 v89, v88, v90
	v_add_f32_e32 v86, v86, v87
	v_add_f32_e32 v80, v80, v89
	s_andn2_b32 exec_lo, exec_lo, s5
	s_cbranch_execnz .LBB38_73
; %bb.74:
	s_or_b32 exec_lo, exec_lo, s5
	v_mov_b32_e32 v83, 0
	ds_read_b64 v[83:84], v83 offset:120
	s_waitcnt lgkmcnt(0)
	v_mul_f32_e32 v85, v80, v84
	v_mul_f32_e32 v84, v86, v84
	v_fma_f32 v85, v86, v83, -v85
	v_fmac_f32_e32 v84, v80, v83
	buffer_store_dword v85, off, s[0:3], 0 offset:120
	buffer_store_dword v84, off, s[0:3], 0 offset:124
.LBB38_75:
	s_or_b32 exec_lo, exec_lo, s4
	s_waitcnt_vscnt null, 0x0
	s_barrier
	buffer_gl0_inv
	s_clause 0x1
	buffer_load_dword v83, off, s[0:3], 0 offset:128
	buffer_load_dword v84, off, s[0:3], 0 offset:132
	s_mov_b32 s4, exec_lo
	s_waitcnt vmcnt(0)
	ds_write_b64 v82, v[83:84]
	s_waitcnt lgkmcnt(0)
	s_barrier
	buffer_gl0_inv
	v_cmpx_gt_u32_e32 16, v0
	s_cbranch_execz .LBB38_79
; %bb.76:
	v_add_nc_u32_e32 v83, -1, v0
	v_add_nc_u32_e32 v84, 0x140, v81
	v_mov_b32_e32 v85, v81
	v_mov_b32_e32 v80, 0
	;; [unrolled: 1-line block ×3, first 2 shown]
	s_mov_b32 s5, 0
	.p2align	6
.LBB38_77:                              ; =>This Inner Loop Header: Depth=1
	s_clause 0x1
	buffer_load_dword v89, v85, s[0:3], 0 offen offset:4
	buffer_load_dword v90, v85, s[0:3], 0 offen
	ds_read_b64 v[87:88], v84
	v_add_nc_u32_e32 v83, 1, v83
	v_add_nc_u32_e32 v84, 8, v84
	;; [unrolled: 1-line block ×3, first 2 shown]
	v_cmp_lt_u32_e32 vcc_lo, 14, v83
	s_or_b32 s5, vcc_lo, s5
	s_waitcnt vmcnt(1) lgkmcnt(0)
	v_mul_f32_e32 v91, v88, v89
	v_mul_f32_e32 v89, v87, v89
	s_waitcnt vmcnt(0)
	v_fma_f32 v87, v87, v90, -v91
	v_fmac_f32_e32 v89, v88, v90
	v_add_f32_e32 v86, v86, v87
	v_add_f32_e32 v80, v80, v89
	s_andn2_b32 exec_lo, exec_lo, s5
	s_cbranch_execnz .LBB38_77
; %bb.78:
	s_or_b32 exec_lo, exec_lo, s5
	v_mov_b32_e32 v83, 0
	ds_read_b64 v[83:84], v83 offset:128
	s_waitcnt lgkmcnt(0)
	v_mul_f32_e32 v85, v80, v84
	v_mul_f32_e32 v84, v86, v84
	v_fma_f32 v85, v86, v83, -v85
	v_fmac_f32_e32 v84, v80, v83
	buffer_store_dword v85, off, s[0:3], 0 offset:128
	buffer_store_dword v84, off, s[0:3], 0 offset:132
.LBB38_79:
	s_or_b32 exec_lo, exec_lo, s4
	s_waitcnt_vscnt null, 0x0
	s_barrier
	buffer_gl0_inv
	s_clause 0x1
	buffer_load_dword v83, off, s[0:3], 0 offset:136
	buffer_load_dword v84, off, s[0:3], 0 offset:140
	s_mov_b32 s4, exec_lo
	s_waitcnt vmcnt(0)
	ds_write_b64 v82, v[83:84]
	s_waitcnt lgkmcnt(0)
	s_barrier
	buffer_gl0_inv
	v_cmpx_gt_u32_e32 17, v0
	s_cbranch_execz .LBB38_83
; %bb.80:
	v_add_nc_u32_e32 v83, -1, v0
	v_add_nc_u32_e32 v84, 0x140, v81
	v_mov_b32_e32 v85, v81
	v_mov_b32_e32 v80, 0
	;; [unrolled: 1-line block ×3, first 2 shown]
	s_mov_b32 s5, 0
	.p2align	6
.LBB38_81:                              ; =>This Inner Loop Header: Depth=1
	s_clause 0x1
	buffer_load_dword v89, v85, s[0:3], 0 offen offset:4
	buffer_load_dword v90, v85, s[0:3], 0 offen
	ds_read_b64 v[87:88], v84
	v_add_nc_u32_e32 v83, 1, v83
	v_add_nc_u32_e32 v84, 8, v84
	;; [unrolled: 1-line block ×3, first 2 shown]
	v_cmp_lt_u32_e32 vcc_lo, 15, v83
	s_or_b32 s5, vcc_lo, s5
	s_waitcnt vmcnt(1) lgkmcnt(0)
	v_mul_f32_e32 v91, v88, v89
	v_mul_f32_e32 v89, v87, v89
	s_waitcnt vmcnt(0)
	v_fma_f32 v87, v87, v90, -v91
	v_fmac_f32_e32 v89, v88, v90
	v_add_f32_e32 v86, v86, v87
	v_add_f32_e32 v80, v80, v89
	s_andn2_b32 exec_lo, exec_lo, s5
	s_cbranch_execnz .LBB38_81
; %bb.82:
	s_or_b32 exec_lo, exec_lo, s5
	v_mov_b32_e32 v83, 0
	ds_read_b64 v[83:84], v83 offset:136
	s_waitcnt lgkmcnt(0)
	v_mul_f32_e32 v85, v80, v84
	v_mul_f32_e32 v84, v86, v84
	v_fma_f32 v85, v86, v83, -v85
	v_fmac_f32_e32 v84, v80, v83
	buffer_store_dword v85, off, s[0:3], 0 offset:136
	buffer_store_dword v84, off, s[0:3], 0 offset:140
.LBB38_83:
	s_or_b32 exec_lo, exec_lo, s4
	s_waitcnt_vscnt null, 0x0
	s_barrier
	buffer_gl0_inv
	s_clause 0x1
	buffer_load_dword v83, off, s[0:3], 0 offset:144
	buffer_load_dword v84, off, s[0:3], 0 offset:148
	s_mov_b32 s4, exec_lo
	s_waitcnt vmcnt(0)
	ds_write_b64 v82, v[83:84]
	s_waitcnt lgkmcnt(0)
	s_barrier
	buffer_gl0_inv
	v_cmpx_gt_u32_e32 18, v0
	s_cbranch_execz .LBB38_87
; %bb.84:
	v_add_nc_u32_e32 v83, -1, v0
	v_add_nc_u32_e32 v84, 0x140, v81
	v_mov_b32_e32 v85, v81
	v_mov_b32_e32 v80, 0
	;; [unrolled: 1-line block ×3, first 2 shown]
	s_mov_b32 s5, 0
	.p2align	6
.LBB38_85:                              ; =>This Inner Loop Header: Depth=1
	s_clause 0x1
	buffer_load_dword v89, v85, s[0:3], 0 offen offset:4
	buffer_load_dword v90, v85, s[0:3], 0 offen
	ds_read_b64 v[87:88], v84
	v_add_nc_u32_e32 v83, 1, v83
	v_add_nc_u32_e32 v84, 8, v84
	;; [unrolled: 1-line block ×3, first 2 shown]
	v_cmp_lt_u32_e32 vcc_lo, 16, v83
	s_or_b32 s5, vcc_lo, s5
	s_waitcnt vmcnt(1) lgkmcnt(0)
	v_mul_f32_e32 v91, v88, v89
	v_mul_f32_e32 v89, v87, v89
	s_waitcnt vmcnt(0)
	v_fma_f32 v87, v87, v90, -v91
	v_fmac_f32_e32 v89, v88, v90
	v_add_f32_e32 v86, v86, v87
	v_add_f32_e32 v80, v80, v89
	s_andn2_b32 exec_lo, exec_lo, s5
	s_cbranch_execnz .LBB38_85
; %bb.86:
	s_or_b32 exec_lo, exec_lo, s5
	v_mov_b32_e32 v83, 0
	ds_read_b64 v[83:84], v83 offset:144
	s_waitcnt lgkmcnt(0)
	v_mul_f32_e32 v85, v80, v84
	v_mul_f32_e32 v84, v86, v84
	v_fma_f32 v85, v86, v83, -v85
	v_fmac_f32_e32 v84, v80, v83
	buffer_store_dword v85, off, s[0:3], 0 offset:144
	buffer_store_dword v84, off, s[0:3], 0 offset:148
.LBB38_87:
	s_or_b32 exec_lo, exec_lo, s4
	s_waitcnt_vscnt null, 0x0
	s_barrier
	buffer_gl0_inv
	s_clause 0x1
	buffer_load_dword v83, off, s[0:3], 0 offset:152
	buffer_load_dword v84, off, s[0:3], 0 offset:156
	s_mov_b32 s4, exec_lo
	s_waitcnt vmcnt(0)
	ds_write_b64 v82, v[83:84]
	s_waitcnt lgkmcnt(0)
	s_barrier
	buffer_gl0_inv
	v_cmpx_gt_u32_e32 19, v0
	s_cbranch_execz .LBB38_91
; %bb.88:
	v_add_nc_u32_e32 v83, -1, v0
	v_add_nc_u32_e32 v84, 0x140, v81
	v_mov_b32_e32 v85, v81
	v_mov_b32_e32 v80, 0
	;; [unrolled: 1-line block ×3, first 2 shown]
	s_mov_b32 s5, 0
	.p2align	6
.LBB38_89:                              ; =>This Inner Loop Header: Depth=1
	s_clause 0x1
	buffer_load_dword v89, v85, s[0:3], 0 offen offset:4
	buffer_load_dword v90, v85, s[0:3], 0 offen
	ds_read_b64 v[87:88], v84
	v_add_nc_u32_e32 v83, 1, v83
	v_add_nc_u32_e32 v84, 8, v84
	;; [unrolled: 1-line block ×3, first 2 shown]
	v_cmp_lt_u32_e32 vcc_lo, 17, v83
	s_or_b32 s5, vcc_lo, s5
	s_waitcnt vmcnt(1) lgkmcnt(0)
	v_mul_f32_e32 v91, v88, v89
	v_mul_f32_e32 v89, v87, v89
	s_waitcnt vmcnt(0)
	v_fma_f32 v87, v87, v90, -v91
	v_fmac_f32_e32 v89, v88, v90
	v_add_f32_e32 v86, v86, v87
	v_add_f32_e32 v80, v80, v89
	s_andn2_b32 exec_lo, exec_lo, s5
	s_cbranch_execnz .LBB38_89
; %bb.90:
	s_or_b32 exec_lo, exec_lo, s5
	v_mov_b32_e32 v83, 0
	ds_read_b64 v[83:84], v83 offset:152
	s_waitcnt lgkmcnt(0)
	v_mul_f32_e32 v85, v80, v84
	v_mul_f32_e32 v84, v86, v84
	v_fma_f32 v85, v86, v83, -v85
	v_fmac_f32_e32 v84, v80, v83
	buffer_store_dword v85, off, s[0:3], 0 offset:152
	buffer_store_dword v84, off, s[0:3], 0 offset:156
.LBB38_91:
	s_or_b32 exec_lo, exec_lo, s4
	s_waitcnt_vscnt null, 0x0
	s_barrier
	buffer_gl0_inv
	s_clause 0x1
	buffer_load_dword v83, off, s[0:3], 0 offset:160
	buffer_load_dword v84, off, s[0:3], 0 offset:164
	s_mov_b32 s4, exec_lo
	s_waitcnt vmcnt(0)
	ds_write_b64 v82, v[83:84]
	s_waitcnt lgkmcnt(0)
	s_barrier
	buffer_gl0_inv
	v_cmpx_gt_u32_e32 20, v0
	s_cbranch_execz .LBB38_95
; %bb.92:
	v_add_nc_u32_e32 v83, -1, v0
	v_add_nc_u32_e32 v84, 0x140, v81
	v_mov_b32_e32 v85, v81
	v_mov_b32_e32 v80, 0
	;; [unrolled: 1-line block ×3, first 2 shown]
	s_mov_b32 s5, 0
	.p2align	6
.LBB38_93:                              ; =>This Inner Loop Header: Depth=1
	s_clause 0x1
	buffer_load_dword v89, v85, s[0:3], 0 offen offset:4
	buffer_load_dword v90, v85, s[0:3], 0 offen
	ds_read_b64 v[87:88], v84
	v_add_nc_u32_e32 v83, 1, v83
	v_add_nc_u32_e32 v84, 8, v84
	;; [unrolled: 1-line block ×3, first 2 shown]
	v_cmp_lt_u32_e32 vcc_lo, 18, v83
	s_or_b32 s5, vcc_lo, s5
	s_waitcnt vmcnt(1) lgkmcnt(0)
	v_mul_f32_e32 v91, v88, v89
	v_mul_f32_e32 v89, v87, v89
	s_waitcnt vmcnt(0)
	v_fma_f32 v87, v87, v90, -v91
	v_fmac_f32_e32 v89, v88, v90
	v_add_f32_e32 v86, v86, v87
	v_add_f32_e32 v80, v80, v89
	s_andn2_b32 exec_lo, exec_lo, s5
	s_cbranch_execnz .LBB38_93
; %bb.94:
	s_or_b32 exec_lo, exec_lo, s5
	v_mov_b32_e32 v83, 0
	ds_read_b64 v[83:84], v83 offset:160
	s_waitcnt lgkmcnt(0)
	v_mul_f32_e32 v85, v80, v84
	v_mul_f32_e32 v84, v86, v84
	v_fma_f32 v85, v86, v83, -v85
	v_fmac_f32_e32 v84, v80, v83
	buffer_store_dword v85, off, s[0:3], 0 offset:160
	buffer_store_dword v84, off, s[0:3], 0 offset:164
.LBB38_95:
	s_or_b32 exec_lo, exec_lo, s4
	s_waitcnt_vscnt null, 0x0
	s_barrier
	buffer_gl0_inv
	s_clause 0x1
	buffer_load_dword v83, off, s[0:3], 0 offset:168
	buffer_load_dword v84, off, s[0:3], 0 offset:172
	s_mov_b32 s4, exec_lo
	s_waitcnt vmcnt(0)
	ds_write_b64 v82, v[83:84]
	s_waitcnt lgkmcnt(0)
	s_barrier
	buffer_gl0_inv
	v_cmpx_gt_u32_e32 21, v0
	s_cbranch_execz .LBB38_99
; %bb.96:
	v_add_nc_u32_e32 v83, -1, v0
	v_add_nc_u32_e32 v84, 0x140, v81
	v_mov_b32_e32 v85, v81
	v_mov_b32_e32 v80, 0
	;; [unrolled: 1-line block ×3, first 2 shown]
	s_mov_b32 s5, 0
	.p2align	6
.LBB38_97:                              ; =>This Inner Loop Header: Depth=1
	s_clause 0x1
	buffer_load_dword v89, v85, s[0:3], 0 offen offset:4
	buffer_load_dword v90, v85, s[0:3], 0 offen
	ds_read_b64 v[87:88], v84
	v_add_nc_u32_e32 v83, 1, v83
	v_add_nc_u32_e32 v84, 8, v84
	;; [unrolled: 1-line block ×3, first 2 shown]
	v_cmp_lt_u32_e32 vcc_lo, 19, v83
	s_or_b32 s5, vcc_lo, s5
	s_waitcnt vmcnt(1) lgkmcnt(0)
	v_mul_f32_e32 v91, v88, v89
	v_mul_f32_e32 v89, v87, v89
	s_waitcnt vmcnt(0)
	v_fma_f32 v87, v87, v90, -v91
	v_fmac_f32_e32 v89, v88, v90
	v_add_f32_e32 v86, v86, v87
	v_add_f32_e32 v80, v80, v89
	s_andn2_b32 exec_lo, exec_lo, s5
	s_cbranch_execnz .LBB38_97
; %bb.98:
	s_or_b32 exec_lo, exec_lo, s5
	v_mov_b32_e32 v83, 0
	ds_read_b64 v[83:84], v83 offset:168
	s_waitcnt lgkmcnt(0)
	v_mul_f32_e32 v85, v80, v84
	v_mul_f32_e32 v84, v86, v84
	v_fma_f32 v85, v86, v83, -v85
	v_fmac_f32_e32 v84, v80, v83
	buffer_store_dword v85, off, s[0:3], 0 offset:168
	buffer_store_dword v84, off, s[0:3], 0 offset:172
.LBB38_99:
	s_or_b32 exec_lo, exec_lo, s4
	s_waitcnt_vscnt null, 0x0
	s_barrier
	buffer_gl0_inv
	s_clause 0x1
	buffer_load_dword v83, off, s[0:3], 0 offset:176
	buffer_load_dword v84, off, s[0:3], 0 offset:180
	s_mov_b32 s4, exec_lo
	s_waitcnt vmcnt(0)
	ds_write_b64 v82, v[83:84]
	s_waitcnt lgkmcnt(0)
	s_barrier
	buffer_gl0_inv
	v_cmpx_gt_u32_e32 22, v0
	s_cbranch_execz .LBB38_103
; %bb.100:
	v_add_nc_u32_e32 v83, -1, v0
	v_add_nc_u32_e32 v84, 0x140, v81
	v_mov_b32_e32 v85, v81
	v_mov_b32_e32 v80, 0
	;; [unrolled: 1-line block ×3, first 2 shown]
	s_mov_b32 s5, 0
	.p2align	6
.LBB38_101:                             ; =>This Inner Loop Header: Depth=1
	s_clause 0x1
	buffer_load_dword v89, v85, s[0:3], 0 offen offset:4
	buffer_load_dword v90, v85, s[0:3], 0 offen
	ds_read_b64 v[87:88], v84
	v_add_nc_u32_e32 v83, 1, v83
	v_add_nc_u32_e32 v84, 8, v84
	;; [unrolled: 1-line block ×3, first 2 shown]
	v_cmp_lt_u32_e32 vcc_lo, 20, v83
	s_or_b32 s5, vcc_lo, s5
	s_waitcnt vmcnt(1) lgkmcnt(0)
	v_mul_f32_e32 v91, v88, v89
	v_mul_f32_e32 v89, v87, v89
	s_waitcnt vmcnt(0)
	v_fma_f32 v87, v87, v90, -v91
	v_fmac_f32_e32 v89, v88, v90
	v_add_f32_e32 v86, v86, v87
	v_add_f32_e32 v80, v80, v89
	s_andn2_b32 exec_lo, exec_lo, s5
	s_cbranch_execnz .LBB38_101
; %bb.102:
	s_or_b32 exec_lo, exec_lo, s5
	v_mov_b32_e32 v83, 0
	ds_read_b64 v[83:84], v83 offset:176
	s_waitcnt lgkmcnt(0)
	v_mul_f32_e32 v85, v80, v84
	v_mul_f32_e32 v84, v86, v84
	v_fma_f32 v85, v86, v83, -v85
	v_fmac_f32_e32 v84, v80, v83
	buffer_store_dword v85, off, s[0:3], 0 offset:176
	buffer_store_dword v84, off, s[0:3], 0 offset:180
.LBB38_103:
	s_or_b32 exec_lo, exec_lo, s4
	s_waitcnt_vscnt null, 0x0
	s_barrier
	buffer_gl0_inv
	s_clause 0x1
	buffer_load_dword v83, off, s[0:3], 0 offset:184
	buffer_load_dword v84, off, s[0:3], 0 offset:188
	s_mov_b32 s4, exec_lo
	s_waitcnt vmcnt(0)
	ds_write_b64 v82, v[83:84]
	s_waitcnt lgkmcnt(0)
	s_barrier
	buffer_gl0_inv
	v_cmpx_gt_u32_e32 23, v0
	s_cbranch_execz .LBB38_107
; %bb.104:
	v_add_nc_u32_e32 v83, -1, v0
	v_add_nc_u32_e32 v84, 0x140, v81
	v_mov_b32_e32 v85, v81
	v_mov_b32_e32 v80, 0
	;; [unrolled: 1-line block ×3, first 2 shown]
	s_mov_b32 s5, 0
	.p2align	6
.LBB38_105:                             ; =>This Inner Loop Header: Depth=1
	s_clause 0x1
	buffer_load_dword v89, v85, s[0:3], 0 offen offset:4
	buffer_load_dword v90, v85, s[0:3], 0 offen
	ds_read_b64 v[87:88], v84
	v_add_nc_u32_e32 v83, 1, v83
	v_add_nc_u32_e32 v84, 8, v84
	;; [unrolled: 1-line block ×3, first 2 shown]
	v_cmp_lt_u32_e32 vcc_lo, 21, v83
	s_or_b32 s5, vcc_lo, s5
	s_waitcnt vmcnt(1) lgkmcnt(0)
	v_mul_f32_e32 v91, v88, v89
	v_mul_f32_e32 v89, v87, v89
	s_waitcnt vmcnt(0)
	v_fma_f32 v87, v87, v90, -v91
	v_fmac_f32_e32 v89, v88, v90
	v_add_f32_e32 v86, v86, v87
	v_add_f32_e32 v80, v80, v89
	s_andn2_b32 exec_lo, exec_lo, s5
	s_cbranch_execnz .LBB38_105
; %bb.106:
	s_or_b32 exec_lo, exec_lo, s5
	v_mov_b32_e32 v83, 0
	ds_read_b64 v[83:84], v83 offset:184
	s_waitcnt lgkmcnt(0)
	v_mul_f32_e32 v85, v80, v84
	v_mul_f32_e32 v84, v86, v84
	v_fma_f32 v85, v86, v83, -v85
	v_fmac_f32_e32 v84, v80, v83
	buffer_store_dword v85, off, s[0:3], 0 offset:184
	buffer_store_dword v84, off, s[0:3], 0 offset:188
.LBB38_107:
	s_or_b32 exec_lo, exec_lo, s4
	s_waitcnt_vscnt null, 0x0
	s_barrier
	buffer_gl0_inv
	s_clause 0x1
	buffer_load_dword v83, off, s[0:3], 0 offset:192
	buffer_load_dword v84, off, s[0:3], 0 offset:196
	s_mov_b32 s4, exec_lo
	s_waitcnt vmcnt(0)
	ds_write_b64 v82, v[83:84]
	s_waitcnt lgkmcnt(0)
	s_barrier
	buffer_gl0_inv
	v_cmpx_gt_u32_e32 24, v0
	s_cbranch_execz .LBB38_111
; %bb.108:
	v_add_nc_u32_e32 v83, -1, v0
	v_add_nc_u32_e32 v84, 0x140, v81
	v_mov_b32_e32 v85, v81
	v_mov_b32_e32 v80, 0
	;; [unrolled: 1-line block ×3, first 2 shown]
	s_mov_b32 s5, 0
	.p2align	6
.LBB38_109:                             ; =>This Inner Loop Header: Depth=1
	s_clause 0x1
	buffer_load_dword v89, v85, s[0:3], 0 offen offset:4
	buffer_load_dword v90, v85, s[0:3], 0 offen
	ds_read_b64 v[87:88], v84
	v_add_nc_u32_e32 v83, 1, v83
	v_add_nc_u32_e32 v84, 8, v84
	;; [unrolled: 1-line block ×3, first 2 shown]
	v_cmp_lt_u32_e32 vcc_lo, 22, v83
	s_or_b32 s5, vcc_lo, s5
	s_waitcnt vmcnt(1) lgkmcnt(0)
	v_mul_f32_e32 v91, v88, v89
	v_mul_f32_e32 v89, v87, v89
	s_waitcnt vmcnt(0)
	v_fma_f32 v87, v87, v90, -v91
	v_fmac_f32_e32 v89, v88, v90
	v_add_f32_e32 v86, v86, v87
	v_add_f32_e32 v80, v80, v89
	s_andn2_b32 exec_lo, exec_lo, s5
	s_cbranch_execnz .LBB38_109
; %bb.110:
	s_or_b32 exec_lo, exec_lo, s5
	v_mov_b32_e32 v83, 0
	ds_read_b64 v[83:84], v83 offset:192
	s_waitcnt lgkmcnt(0)
	v_mul_f32_e32 v85, v80, v84
	v_mul_f32_e32 v84, v86, v84
	v_fma_f32 v85, v86, v83, -v85
	v_fmac_f32_e32 v84, v80, v83
	buffer_store_dword v85, off, s[0:3], 0 offset:192
	buffer_store_dword v84, off, s[0:3], 0 offset:196
.LBB38_111:
	s_or_b32 exec_lo, exec_lo, s4
	s_waitcnt_vscnt null, 0x0
	s_barrier
	buffer_gl0_inv
	s_clause 0x1
	buffer_load_dword v83, off, s[0:3], 0 offset:200
	buffer_load_dword v84, off, s[0:3], 0 offset:204
	s_mov_b32 s4, exec_lo
	s_waitcnt vmcnt(0)
	ds_write_b64 v82, v[83:84]
	s_waitcnt lgkmcnt(0)
	s_barrier
	buffer_gl0_inv
	v_cmpx_gt_u32_e32 25, v0
	s_cbranch_execz .LBB38_115
; %bb.112:
	v_add_nc_u32_e32 v83, -1, v0
	v_add_nc_u32_e32 v84, 0x140, v81
	v_mov_b32_e32 v85, v81
	v_mov_b32_e32 v80, 0
	;; [unrolled: 1-line block ×3, first 2 shown]
	s_mov_b32 s5, 0
	.p2align	6
.LBB38_113:                             ; =>This Inner Loop Header: Depth=1
	s_clause 0x1
	buffer_load_dword v89, v85, s[0:3], 0 offen offset:4
	buffer_load_dword v90, v85, s[0:3], 0 offen
	ds_read_b64 v[87:88], v84
	v_add_nc_u32_e32 v83, 1, v83
	v_add_nc_u32_e32 v84, 8, v84
	;; [unrolled: 1-line block ×3, first 2 shown]
	v_cmp_lt_u32_e32 vcc_lo, 23, v83
	s_or_b32 s5, vcc_lo, s5
	s_waitcnt vmcnt(1) lgkmcnt(0)
	v_mul_f32_e32 v91, v88, v89
	v_mul_f32_e32 v89, v87, v89
	s_waitcnt vmcnt(0)
	v_fma_f32 v87, v87, v90, -v91
	v_fmac_f32_e32 v89, v88, v90
	v_add_f32_e32 v86, v86, v87
	v_add_f32_e32 v80, v80, v89
	s_andn2_b32 exec_lo, exec_lo, s5
	s_cbranch_execnz .LBB38_113
; %bb.114:
	s_or_b32 exec_lo, exec_lo, s5
	v_mov_b32_e32 v83, 0
	ds_read_b64 v[83:84], v83 offset:200
	s_waitcnt lgkmcnt(0)
	v_mul_f32_e32 v85, v80, v84
	v_mul_f32_e32 v84, v86, v84
	v_fma_f32 v85, v86, v83, -v85
	v_fmac_f32_e32 v84, v80, v83
	buffer_store_dword v85, off, s[0:3], 0 offset:200
	buffer_store_dword v84, off, s[0:3], 0 offset:204
.LBB38_115:
	s_or_b32 exec_lo, exec_lo, s4
	s_waitcnt_vscnt null, 0x0
	s_barrier
	buffer_gl0_inv
	s_clause 0x1
	buffer_load_dword v83, off, s[0:3], 0 offset:208
	buffer_load_dword v84, off, s[0:3], 0 offset:212
	s_mov_b32 s4, exec_lo
	s_waitcnt vmcnt(0)
	ds_write_b64 v82, v[83:84]
	s_waitcnt lgkmcnt(0)
	s_barrier
	buffer_gl0_inv
	v_cmpx_gt_u32_e32 26, v0
	s_cbranch_execz .LBB38_119
; %bb.116:
	v_add_nc_u32_e32 v83, -1, v0
	v_add_nc_u32_e32 v84, 0x140, v81
	v_mov_b32_e32 v85, v81
	v_mov_b32_e32 v80, 0
	;; [unrolled: 1-line block ×3, first 2 shown]
	s_mov_b32 s5, 0
	.p2align	6
.LBB38_117:                             ; =>This Inner Loop Header: Depth=1
	s_clause 0x1
	buffer_load_dword v89, v85, s[0:3], 0 offen offset:4
	buffer_load_dword v90, v85, s[0:3], 0 offen
	ds_read_b64 v[87:88], v84
	v_add_nc_u32_e32 v83, 1, v83
	v_add_nc_u32_e32 v84, 8, v84
	;; [unrolled: 1-line block ×3, first 2 shown]
	v_cmp_lt_u32_e32 vcc_lo, 24, v83
	s_or_b32 s5, vcc_lo, s5
	s_waitcnt vmcnt(1) lgkmcnt(0)
	v_mul_f32_e32 v91, v88, v89
	v_mul_f32_e32 v89, v87, v89
	s_waitcnt vmcnt(0)
	v_fma_f32 v87, v87, v90, -v91
	v_fmac_f32_e32 v89, v88, v90
	v_add_f32_e32 v86, v86, v87
	v_add_f32_e32 v80, v80, v89
	s_andn2_b32 exec_lo, exec_lo, s5
	s_cbranch_execnz .LBB38_117
; %bb.118:
	s_or_b32 exec_lo, exec_lo, s5
	v_mov_b32_e32 v83, 0
	ds_read_b64 v[83:84], v83 offset:208
	s_waitcnt lgkmcnt(0)
	v_mul_f32_e32 v85, v80, v84
	v_mul_f32_e32 v84, v86, v84
	v_fma_f32 v85, v86, v83, -v85
	v_fmac_f32_e32 v84, v80, v83
	buffer_store_dword v85, off, s[0:3], 0 offset:208
	buffer_store_dword v84, off, s[0:3], 0 offset:212
.LBB38_119:
	s_or_b32 exec_lo, exec_lo, s4
	s_waitcnt_vscnt null, 0x0
	s_barrier
	buffer_gl0_inv
	s_clause 0x1
	buffer_load_dword v83, off, s[0:3], 0 offset:216
	buffer_load_dword v84, off, s[0:3], 0 offset:220
	s_mov_b32 s4, exec_lo
	s_waitcnt vmcnt(0)
	ds_write_b64 v82, v[83:84]
	s_waitcnt lgkmcnt(0)
	s_barrier
	buffer_gl0_inv
	v_cmpx_gt_u32_e32 27, v0
	s_cbranch_execz .LBB38_123
; %bb.120:
	v_add_nc_u32_e32 v83, -1, v0
	v_add_nc_u32_e32 v84, 0x140, v81
	v_mov_b32_e32 v85, v81
	v_mov_b32_e32 v80, 0
	;; [unrolled: 1-line block ×3, first 2 shown]
	s_mov_b32 s5, 0
	.p2align	6
.LBB38_121:                             ; =>This Inner Loop Header: Depth=1
	s_clause 0x1
	buffer_load_dword v89, v85, s[0:3], 0 offen offset:4
	buffer_load_dword v90, v85, s[0:3], 0 offen
	ds_read_b64 v[87:88], v84
	v_add_nc_u32_e32 v83, 1, v83
	v_add_nc_u32_e32 v84, 8, v84
	;; [unrolled: 1-line block ×3, first 2 shown]
	v_cmp_lt_u32_e32 vcc_lo, 25, v83
	s_or_b32 s5, vcc_lo, s5
	s_waitcnt vmcnt(1) lgkmcnt(0)
	v_mul_f32_e32 v91, v88, v89
	v_mul_f32_e32 v89, v87, v89
	s_waitcnt vmcnt(0)
	v_fma_f32 v87, v87, v90, -v91
	v_fmac_f32_e32 v89, v88, v90
	v_add_f32_e32 v86, v86, v87
	v_add_f32_e32 v80, v80, v89
	s_andn2_b32 exec_lo, exec_lo, s5
	s_cbranch_execnz .LBB38_121
; %bb.122:
	s_or_b32 exec_lo, exec_lo, s5
	v_mov_b32_e32 v83, 0
	ds_read_b64 v[83:84], v83 offset:216
	s_waitcnt lgkmcnt(0)
	v_mul_f32_e32 v85, v80, v84
	v_mul_f32_e32 v84, v86, v84
	v_fma_f32 v85, v86, v83, -v85
	v_fmac_f32_e32 v84, v80, v83
	buffer_store_dword v85, off, s[0:3], 0 offset:216
	buffer_store_dword v84, off, s[0:3], 0 offset:220
.LBB38_123:
	s_or_b32 exec_lo, exec_lo, s4
	s_waitcnt_vscnt null, 0x0
	s_barrier
	buffer_gl0_inv
	s_clause 0x1
	buffer_load_dword v83, off, s[0:3], 0 offset:224
	buffer_load_dword v84, off, s[0:3], 0 offset:228
	s_mov_b32 s4, exec_lo
	s_waitcnt vmcnt(0)
	ds_write_b64 v82, v[83:84]
	s_waitcnt lgkmcnt(0)
	s_barrier
	buffer_gl0_inv
	v_cmpx_gt_u32_e32 28, v0
	s_cbranch_execz .LBB38_127
; %bb.124:
	v_add_nc_u32_e32 v83, -1, v0
	v_add_nc_u32_e32 v84, 0x140, v81
	v_mov_b32_e32 v85, v81
	v_mov_b32_e32 v80, 0
	v_mov_b32_e32 v86, 0
	s_mov_b32 s5, 0
	.p2align	6
.LBB38_125:                             ; =>This Inner Loop Header: Depth=1
	s_clause 0x1
	buffer_load_dword v89, v85, s[0:3], 0 offen offset:4
	buffer_load_dword v90, v85, s[0:3], 0 offen
	ds_read_b64 v[87:88], v84
	v_add_nc_u32_e32 v83, 1, v83
	v_add_nc_u32_e32 v84, 8, v84
	;; [unrolled: 1-line block ×3, first 2 shown]
	v_cmp_lt_u32_e32 vcc_lo, 26, v83
	s_or_b32 s5, vcc_lo, s5
	s_waitcnt vmcnt(1) lgkmcnt(0)
	v_mul_f32_e32 v91, v88, v89
	v_mul_f32_e32 v89, v87, v89
	s_waitcnt vmcnt(0)
	v_fma_f32 v87, v87, v90, -v91
	v_fmac_f32_e32 v89, v88, v90
	v_add_f32_e32 v86, v86, v87
	v_add_f32_e32 v80, v80, v89
	s_andn2_b32 exec_lo, exec_lo, s5
	s_cbranch_execnz .LBB38_125
; %bb.126:
	s_or_b32 exec_lo, exec_lo, s5
	v_mov_b32_e32 v83, 0
	ds_read_b64 v[83:84], v83 offset:224
	s_waitcnt lgkmcnt(0)
	v_mul_f32_e32 v85, v80, v84
	v_mul_f32_e32 v84, v86, v84
	v_fma_f32 v85, v86, v83, -v85
	v_fmac_f32_e32 v84, v80, v83
	buffer_store_dword v85, off, s[0:3], 0 offset:224
	buffer_store_dword v84, off, s[0:3], 0 offset:228
.LBB38_127:
	s_or_b32 exec_lo, exec_lo, s4
	s_waitcnt_vscnt null, 0x0
	s_barrier
	buffer_gl0_inv
	s_clause 0x1
	buffer_load_dword v83, off, s[0:3], 0 offset:232
	buffer_load_dword v84, off, s[0:3], 0 offset:236
	s_mov_b32 s4, exec_lo
	s_waitcnt vmcnt(0)
	ds_write_b64 v82, v[83:84]
	s_waitcnt lgkmcnt(0)
	s_barrier
	buffer_gl0_inv
	v_cmpx_gt_u32_e32 29, v0
	s_cbranch_execz .LBB38_131
; %bb.128:
	v_add_nc_u32_e32 v83, -1, v0
	v_add_nc_u32_e32 v84, 0x140, v81
	v_mov_b32_e32 v85, v81
	v_mov_b32_e32 v80, 0
	v_mov_b32_e32 v86, 0
	s_mov_b32 s5, 0
	.p2align	6
.LBB38_129:                             ; =>This Inner Loop Header: Depth=1
	s_clause 0x1
	buffer_load_dword v89, v85, s[0:3], 0 offen offset:4
	buffer_load_dword v90, v85, s[0:3], 0 offen
	ds_read_b64 v[87:88], v84
	v_add_nc_u32_e32 v83, 1, v83
	v_add_nc_u32_e32 v84, 8, v84
	;; [unrolled: 1-line block ×3, first 2 shown]
	v_cmp_lt_u32_e32 vcc_lo, 27, v83
	s_or_b32 s5, vcc_lo, s5
	s_waitcnt vmcnt(1) lgkmcnt(0)
	v_mul_f32_e32 v91, v88, v89
	v_mul_f32_e32 v89, v87, v89
	s_waitcnt vmcnt(0)
	v_fma_f32 v87, v87, v90, -v91
	v_fmac_f32_e32 v89, v88, v90
	v_add_f32_e32 v86, v86, v87
	v_add_f32_e32 v80, v80, v89
	s_andn2_b32 exec_lo, exec_lo, s5
	s_cbranch_execnz .LBB38_129
; %bb.130:
	s_or_b32 exec_lo, exec_lo, s5
	v_mov_b32_e32 v83, 0
	ds_read_b64 v[83:84], v83 offset:232
	s_waitcnt lgkmcnt(0)
	v_mul_f32_e32 v85, v80, v84
	v_mul_f32_e32 v84, v86, v84
	v_fma_f32 v85, v86, v83, -v85
	v_fmac_f32_e32 v84, v80, v83
	buffer_store_dword v85, off, s[0:3], 0 offset:232
	buffer_store_dword v84, off, s[0:3], 0 offset:236
.LBB38_131:
	s_or_b32 exec_lo, exec_lo, s4
	s_waitcnt_vscnt null, 0x0
	s_barrier
	buffer_gl0_inv
	s_clause 0x1
	buffer_load_dword v83, off, s[0:3], 0 offset:240
	buffer_load_dword v84, off, s[0:3], 0 offset:244
	s_mov_b32 s4, exec_lo
	s_waitcnt vmcnt(0)
	ds_write_b64 v82, v[83:84]
	s_waitcnt lgkmcnt(0)
	s_barrier
	buffer_gl0_inv
	v_cmpx_gt_u32_e32 30, v0
	s_cbranch_execz .LBB38_135
; %bb.132:
	v_add_nc_u32_e32 v83, -1, v0
	v_add_nc_u32_e32 v84, 0x140, v81
	v_mov_b32_e32 v85, v81
	v_mov_b32_e32 v80, 0
	v_mov_b32_e32 v86, 0
	s_mov_b32 s5, 0
	.p2align	6
.LBB38_133:                             ; =>This Inner Loop Header: Depth=1
	s_clause 0x1
	buffer_load_dword v89, v85, s[0:3], 0 offen offset:4
	buffer_load_dword v90, v85, s[0:3], 0 offen
	ds_read_b64 v[87:88], v84
	v_add_nc_u32_e32 v83, 1, v83
	v_add_nc_u32_e32 v84, 8, v84
	;; [unrolled: 1-line block ×3, first 2 shown]
	v_cmp_lt_u32_e32 vcc_lo, 28, v83
	s_or_b32 s5, vcc_lo, s5
	s_waitcnt vmcnt(1) lgkmcnt(0)
	v_mul_f32_e32 v91, v88, v89
	v_mul_f32_e32 v89, v87, v89
	s_waitcnt vmcnt(0)
	v_fma_f32 v87, v87, v90, -v91
	v_fmac_f32_e32 v89, v88, v90
	v_add_f32_e32 v86, v86, v87
	v_add_f32_e32 v80, v80, v89
	s_andn2_b32 exec_lo, exec_lo, s5
	s_cbranch_execnz .LBB38_133
; %bb.134:
	s_or_b32 exec_lo, exec_lo, s5
	v_mov_b32_e32 v83, 0
	ds_read_b64 v[83:84], v83 offset:240
	s_waitcnt lgkmcnt(0)
	v_mul_f32_e32 v85, v80, v84
	v_mul_f32_e32 v84, v86, v84
	v_fma_f32 v85, v86, v83, -v85
	v_fmac_f32_e32 v84, v80, v83
	buffer_store_dword v85, off, s[0:3], 0 offset:240
	buffer_store_dword v84, off, s[0:3], 0 offset:244
.LBB38_135:
	s_or_b32 exec_lo, exec_lo, s4
	s_waitcnt_vscnt null, 0x0
	s_barrier
	buffer_gl0_inv
	s_clause 0x1
	buffer_load_dword v83, off, s[0:3], 0 offset:248
	buffer_load_dword v84, off, s[0:3], 0 offset:252
	s_mov_b32 s4, exec_lo
	s_waitcnt vmcnt(0)
	ds_write_b64 v82, v[83:84]
	s_waitcnt lgkmcnt(0)
	s_barrier
	buffer_gl0_inv
	v_cmpx_gt_u32_e32 31, v0
	s_cbranch_execz .LBB38_139
; %bb.136:
	v_add_nc_u32_e32 v83, -1, v0
	v_add_nc_u32_e32 v84, 0x140, v81
	v_mov_b32_e32 v85, v81
	v_mov_b32_e32 v80, 0
	;; [unrolled: 1-line block ×3, first 2 shown]
	s_mov_b32 s5, 0
	.p2align	6
.LBB38_137:                             ; =>This Inner Loop Header: Depth=1
	s_clause 0x1
	buffer_load_dword v89, v85, s[0:3], 0 offen offset:4
	buffer_load_dword v90, v85, s[0:3], 0 offen
	ds_read_b64 v[87:88], v84
	v_add_nc_u32_e32 v83, 1, v83
	v_add_nc_u32_e32 v84, 8, v84
	;; [unrolled: 1-line block ×3, first 2 shown]
	v_cmp_lt_u32_e32 vcc_lo, 29, v83
	s_or_b32 s5, vcc_lo, s5
	s_waitcnt vmcnt(1) lgkmcnt(0)
	v_mul_f32_e32 v91, v88, v89
	v_mul_f32_e32 v89, v87, v89
	s_waitcnt vmcnt(0)
	v_fma_f32 v87, v87, v90, -v91
	v_fmac_f32_e32 v89, v88, v90
	v_add_f32_e32 v86, v86, v87
	v_add_f32_e32 v80, v80, v89
	s_andn2_b32 exec_lo, exec_lo, s5
	s_cbranch_execnz .LBB38_137
; %bb.138:
	s_or_b32 exec_lo, exec_lo, s5
	v_mov_b32_e32 v83, 0
	ds_read_b64 v[83:84], v83 offset:248
	s_waitcnt lgkmcnt(0)
	v_mul_f32_e32 v85, v80, v84
	v_mul_f32_e32 v84, v86, v84
	v_fma_f32 v85, v86, v83, -v85
	v_fmac_f32_e32 v84, v80, v83
	buffer_store_dword v85, off, s[0:3], 0 offset:248
	buffer_store_dword v84, off, s[0:3], 0 offset:252
.LBB38_139:
	s_or_b32 exec_lo, exec_lo, s4
	s_waitcnt_vscnt null, 0x0
	s_barrier
	buffer_gl0_inv
	s_clause 0x1
	buffer_load_dword v83, off, s[0:3], 0 offset:256
	buffer_load_dword v84, off, s[0:3], 0 offset:260
	s_mov_b32 s4, exec_lo
	s_waitcnt vmcnt(0)
	ds_write_b64 v82, v[83:84]
	s_waitcnt lgkmcnt(0)
	s_barrier
	buffer_gl0_inv
	v_cmpx_gt_u32_e32 32, v0
	s_cbranch_execz .LBB38_143
; %bb.140:
	v_add_nc_u32_e32 v83, -1, v0
	v_add_nc_u32_e32 v84, 0x140, v81
	v_mov_b32_e32 v85, v81
	v_mov_b32_e32 v80, 0
	;; [unrolled: 1-line block ×3, first 2 shown]
	s_mov_b32 s5, 0
	.p2align	6
.LBB38_141:                             ; =>This Inner Loop Header: Depth=1
	s_clause 0x1
	buffer_load_dword v89, v85, s[0:3], 0 offen offset:4
	buffer_load_dword v90, v85, s[0:3], 0 offen
	ds_read_b64 v[87:88], v84
	v_add_nc_u32_e32 v83, 1, v83
	v_add_nc_u32_e32 v84, 8, v84
	v_add_nc_u32_e32 v85, 8, v85
	v_cmp_lt_u32_e32 vcc_lo, 30, v83
	s_or_b32 s5, vcc_lo, s5
	s_waitcnt vmcnt(1) lgkmcnt(0)
	v_mul_f32_e32 v91, v88, v89
	v_mul_f32_e32 v89, v87, v89
	s_waitcnt vmcnt(0)
	v_fma_f32 v87, v87, v90, -v91
	v_fmac_f32_e32 v89, v88, v90
	v_add_f32_e32 v86, v86, v87
	v_add_f32_e32 v80, v80, v89
	s_andn2_b32 exec_lo, exec_lo, s5
	s_cbranch_execnz .LBB38_141
; %bb.142:
	s_or_b32 exec_lo, exec_lo, s5
	v_mov_b32_e32 v83, 0
	ds_read_b64 v[83:84], v83 offset:256
	s_waitcnt lgkmcnt(0)
	v_mul_f32_e32 v85, v80, v84
	v_mul_f32_e32 v84, v86, v84
	v_fma_f32 v85, v86, v83, -v85
	v_fmac_f32_e32 v84, v80, v83
	buffer_store_dword v85, off, s[0:3], 0 offset:256
	buffer_store_dword v84, off, s[0:3], 0 offset:260
.LBB38_143:
	s_or_b32 exec_lo, exec_lo, s4
	s_waitcnt_vscnt null, 0x0
	s_barrier
	buffer_gl0_inv
	s_clause 0x1
	buffer_load_dword v83, off, s[0:3], 0 offset:264
	buffer_load_dword v84, off, s[0:3], 0 offset:268
	s_mov_b32 s4, exec_lo
	s_waitcnt vmcnt(0)
	ds_write_b64 v82, v[83:84]
	s_waitcnt lgkmcnt(0)
	s_barrier
	buffer_gl0_inv
	v_cmpx_gt_u32_e32 33, v0
	s_cbranch_execz .LBB38_147
; %bb.144:
	v_add_nc_u32_e32 v83, -1, v0
	v_add_nc_u32_e32 v84, 0x140, v81
	v_mov_b32_e32 v85, v81
	v_mov_b32_e32 v80, 0
	;; [unrolled: 1-line block ×3, first 2 shown]
	s_mov_b32 s5, 0
	.p2align	6
.LBB38_145:                             ; =>This Inner Loop Header: Depth=1
	s_clause 0x1
	buffer_load_dword v89, v85, s[0:3], 0 offen offset:4
	buffer_load_dword v90, v85, s[0:3], 0 offen
	ds_read_b64 v[87:88], v84
	v_add_nc_u32_e32 v83, 1, v83
	v_add_nc_u32_e32 v84, 8, v84
	v_add_nc_u32_e32 v85, 8, v85
	v_cmp_lt_u32_e32 vcc_lo, 31, v83
	s_or_b32 s5, vcc_lo, s5
	s_waitcnt vmcnt(1) lgkmcnt(0)
	v_mul_f32_e32 v91, v88, v89
	v_mul_f32_e32 v89, v87, v89
	s_waitcnt vmcnt(0)
	v_fma_f32 v87, v87, v90, -v91
	v_fmac_f32_e32 v89, v88, v90
	v_add_f32_e32 v86, v86, v87
	v_add_f32_e32 v80, v80, v89
	s_andn2_b32 exec_lo, exec_lo, s5
	s_cbranch_execnz .LBB38_145
; %bb.146:
	s_or_b32 exec_lo, exec_lo, s5
	v_mov_b32_e32 v83, 0
	ds_read_b64 v[83:84], v83 offset:264
	s_waitcnt lgkmcnt(0)
	v_mul_f32_e32 v85, v80, v84
	v_mul_f32_e32 v84, v86, v84
	v_fma_f32 v85, v86, v83, -v85
	v_fmac_f32_e32 v84, v80, v83
	buffer_store_dword v85, off, s[0:3], 0 offset:264
	buffer_store_dword v84, off, s[0:3], 0 offset:268
.LBB38_147:
	s_or_b32 exec_lo, exec_lo, s4
	s_waitcnt_vscnt null, 0x0
	s_barrier
	buffer_gl0_inv
	s_clause 0x1
	buffer_load_dword v83, off, s[0:3], 0 offset:272
	buffer_load_dword v84, off, s[0:3], 0 offset:276
	s_mov_b32 s4, exec_lo
	s_waitcnt vmcnt(0)
	ds_write_b64 v82, v[83:84]
	s_waitcnt lgkmcnt(0)
	s_barrier
	buffer_gl0_inv
	v_cmpx_gt_u32_e32 34, v0
	s_cbranch_execz .LBB38_151
; %bb.148:
	v_add_nc_u32_e32 v83, -1, v0
	v_add_nc_u32_e32 v84, 0x140, v81
	v_mov_b32_e32 v85, v81
	v_mov_b32_e32 v80, 0
	;; [unrolled: 1-line block ×3, first 2 shown]
	s_mov_b32 s5, 0
	.p2align	6
.LBB38_149:                             ; =>This Inner Loop Header: Depth=1
	s_clause 0x1
	buffer_load_dword v89, v85, s[0:3], 0 offen offset:4
	buffer_load_dword v90, v85, s[0:3], 0 offen
	ds_read_b64 v[87:88], v84
	v_add_nc_u32_e32 v83, 1, v83
	v_add_nc_u32_e32 v84, 8, v84
	;; [unrolled: 1-line block ×3, first 2 shown]
	v_cmp_lt_u32_e32 vcc_lo, 32, v83
	s_or_b32 s5, vcc_lo, s5
	s_waitcnt vmcnt(1) lgkmcnt(0)
	v_mul_f32_e32 v91, v88, v89
	v_mul_f32_e32 v89, v87, v89
	s_waitcnt vmcnt(0)
	v_fma_f32 v87, v87, v90, -v91
	v_fmac_f32_e32 v89, v88, v90
	v_add_f32_e32 v86, v86, v87
	v_add_f32_e32 v80, v80, v89
	s_andn2_b32 exec_lo, exec_lo, s5
	s_cbranch_execnz .LBB38_149
; %bb.150:
	s_or_b32 exec_lo, exec_lo, s5
	v_mov_b32_e32 v83, 0
	ds_read_b64 v[83:84], v83 offset:272
	s_waitcnt lgkmcnt(0)
	v_mul_f32_e32 v85, v80, v84
	v_mul_f32_e32 v84, v86, v84
	v_fma_f32 v85, v86, v83, -v85
	v_fmac_f32_e32 v84, v80, v83
	buffer_store_dword v85, off, s[0:3], 0 offset:272
	buffer_store_dword v84, off, s[0:3], 0 offset:276
.LBB38_151:
	s_or_b32 exec_lo, exec_lo, s4
	s_waitcnt_vscnt null, 0x0
	s_barrier
	buffer_gl0_inv
	s_clause 0x1
	buffer_load_dword v83, off, s[0:3], 0 offset:280
	buffer_load_dword v84, off, s[0:3], 0 offset:284
	s_mov_b32 s4, exec_lo
	s_waitcnt vmcnt(0)
	ds_write_b64 v82, v[83:84]
	s_waitcnt lgkmcnt(0)
	s_barrier
	buffer_gl0_inv
	v_cmpx_gt_u32_e32 35, v0
	s_cbranch_execz .LBB38_155
; %bb.152:
	v_add_nc_u32_e32 v83, -1, v0
	v_add_nc_u32_e32 v84, 0x140, v81
	v_mov_b32_e32 v85, v81
	v_mov_b32_e32 v80, 0
	;; [unrolled: 1-line block ×3, first 2 shown]
	s_mov_b32 s5, 0
	.p2align	6
.LBB38_153:                             ; =>This Inner Loop Header: Depth=1
	s_clause 0x1
	buffer_load_dword v89, v85, s[0:3], 0 offen offset:4
	buffer_load_dword v90, v85, s[0:3], 0 offen
	ds_read_b64 v[87:88], v84
	v_add_nc_u32_e32 v83, 1, v83
	v_add_nc_u32_e32 v84, 8, v84
	;; [unrolled: 1-line block ×3, first 2 shown]
	v_cmp_lt_u32_e32 vcc_lo, 33, v83
	s_or_b32 s5, vcc_lo, s5
	s_waitcnt vmcnt(1) lgkmcnt(0)
	v_mul_f32_e32 v91, v88, v89
	v_mul_f32_e32 v89, v87, v89
	s_waitcnt vmcnt(0)
	v_fma_f32 v87, v87, v90, -v91
	v_fmac_f32_e32 v89, v88, v90
	v_add_f32_e32 v86, v86, v87
	v_add_f32_e32 v80, v80, v89
	s_andn2_b32 exec_lo, exec_lo, s5
	s_cbranch_execnz .LBB38_153
; %bb.154:
	s_or_b32 exec_lo, exec_lo, s5
	v_mov_b32_e32 v83, 0
	ds_read_b64 v[83:84], v83 offset:280
	s_waitcnt lgkmcnt(0)
	v_mul_f32_e32 v85, v80, v84
	v_mul_f32_e32 v84, v86, v84
	v_fma_f32 v85, v86, v83, -v85
	v_fmac_f32_e32 v84, v80, v83
	buffer_store_dword v85, off, s[0:3], 0 offset:280
	buffer_store_dword v84, off, s[0:3], 0 offset:284
.LBB38_155:
	s_or_b32 exec_lo, exec_lo, s4
	s_waitcnt_vscnt null, 0x0
	s_barrier
	buffer_gl0_inv
	s_clause 0x1
	buffer_load_dword v83, off, s[0:3], 0 offset:288
	buffer_load_dword v84, off, s[0:3], 0 offset:292
	s_mov_b32 s4, exec_lo
	s_waitcnt vmcnt(0)
	ds_write_b64 v82, v[83:84]
	s_waitcnt lgkmcnt(0)
	s_barrier
	buffer_gl0_inv
	v_cmpx_gt_u32_e32 36, v0
	s_cbranch_execz .LBB38_159
; %bb.156:
	v_add_nc_u32_e32 v83, -1, v0
	v_add_nc_u32_e32 v84, 0x140, v81
	v_mov_b32_e32 v85, v81
	v_mov_b32_e32 v80, 0
	;; [unrolled: 1-line block ×3, first 2 shown]
	s_mov_b32 s5, 0
	.p2align	6
.LBB38_157:                             ; =>This Inner Loop Header: Depth=1
	s_clause 0x1
	buffer_load_dword v89, v85, s[0:3], 0 offen offset:4
	buffer_load_dword v90, v85, s[0:3], 0 offen
	ds_read_b64 v[87:88], v84
	v_add_nc_u32_e32 v83, 1, v83
	v_add_nc_u32_e32 v84, 8, v84
	;; [unrolled: 1-line block ×3, first 2 shown]
	v_cmp_lt_u32_e32 vcc_lo, 34, v83
	s_or_b32 s5, vcc_lo, s5
	s_waitcnt vmcnt(1) lgkmcnt(0)
	v_mul_f32_e32 v91, v88, v89
	v_mul_f32_e32 v89, v87, v89
	s_waitcnt vmcnt(0)
	v_fma_f32 v87, v87, v90, -v91
	v_fmac_f32_e32 v89, v88, v90
	v_add_f32_e32 v86, v86, v87
	v_add_f32_e32 v80, v80, v89
	s_andn2_b32 exec_lo, exec_lo, s5
	s_cbranch_execnz .LBB38_157
; %bb.158:
	s_or_b32 exec_lo, exec_lo, s5
	v_mov_b32_e32 v83, 0
	ds_read_b64 v[83:84], v83 offset:288
	s_waitcnt lgkmcnt(0)
	v_mul_f32_e32 v85, v80, v84
	v_mul_f32_e32 v84, v86, v84
	v_fma_f32 v85, v86, v83, -v85
	v_fmac_f32_e32 v84, v80, v83
	buffer_store_dword v85, off, s[0:3], 0 offset:288
	buffer_store_dword v84, off, s[0:3], 0 offset:292
.LBB38_159:
	s_or_b32 exec_lo, exec_lo, s4
	s_waitcnt_vscnt null, 0x0
	s_barrier
	buffer_gl0_inv
	s_clause 0x1
	buffer_load_dword v83, off, s[0:3], 0 offset:296
	buffer_load_dword v84, off, s[0:3], 0 offset:300
	s_mov_b32 s4, exec_lo
	s_waitcnt vmcnt(0)
	ds_write_b64 v82, v[83:84]
	s_waitcnt lgkmcnt(0)
	s_barrier
	buffer_gl0_inv
	v_cmpx_gt_u32_e32 37, v0
	s_cbranch_execz .LBB38_163
; %bb.160:
	v_add_nc_u32_e32 v83, -1, v0
	v_add_nc_u32_e32 v84, 0x140, v81
	v_mov_b32_e32 v85, v81
	v_mov_b32_e32 v80, 0
	;; [unrolled: 1-line block ×3, first 2 shown]
	s_mov_b32 s5, 0
	.p2align	6
.LBB38_161:                             ; =>This Inner Loop Header: Depth=1
	s_clause 0x1
	buffer_load_dword v89, v85, s[0:3], 0 offen offset:4
	buffer_load_dword v90, v85, s[0:3], 0 offen
	ds_read_b64 v[87:88], v84
	v_add_nc_u32_e32 v83, 1, v83
	v_add_nc_u32_e32 v84, 8, v84
	;; [unrolled: 1-line block ×3, first 2 shown]
	v_cmp_lt_u32_e32 vcc_lo, 35, v83
	s_or_b32 s5, vcc_lo, s5
	s_waitcnt vmcnt(1) lgkmcnt(0)
	v_mul_f32_e32 v91, v88, v89
	v_mul_f32_e32 v89, v87, v89
	s_waitcnt vmcnt(0)
	v_fma_f32 v87, v87, v90, -v91
	v_fmac_f32_e32 v89, v88, v90
	v_add_f32_e32 v86, v86, v87
	v_add_f32_e32 v80, v80, v89
	s_andn2_b32 exec_lo, exec_lo, s5
	s_cbranch_execnz .LBB38_161
; %bb.162:
	s_or_b32 exec_lo, exec_lo, s5
	v_mov_b32_e32 v83, 0
	ds_read_b64 v[83:84], v83 offset:296
	s_waitcnt lgkmcnt(0)
	v_mul_f32_e32 v85, v80, v84
	v_mul_f32_e32 v84, v86, v84
	v_fma_f32 v85, v86, v83, -v85
	v_fmac_f32_e32 v84, v80, v83
	buffer_store_dword v85, off, s[0:3], 0 offset:296
	buffer_store_dword v84, off, s[0:3], 0 offset:300
.LBB38_163:
	s_or_b32 exec_lo, exec_lo, s4
	s_waitcnt_vscnt null, 0x0
	s_barrier
	buffer_gl0_inv
	s_clause 0x1
	buffer_load_dword v83, off, s[0:3], 0 offset:304
	buffer_load_dword v84, off, s[0:3], 0 offset:308
	s_mov_b32 s4, exec_lo
	s_waitcnt vmcnt(0)
	ds_write_b64 v82, v[83:84]
	s_waitcnt lgkmcnt(0)
	s_barrier
	buffer_gl0_inv
	v_cmpx_ne_u32_e32 38, v0
	s_cbranch_execz .LBB38_167
; %bb.164:
	v_mov_b32_e32 v80, 0
	v_mov_b32_e32 v83, 0
	s_mov_b32 s5, 0
	.p2align	6
.LBB38_165:                             ; =>This Inner Loop Header: Depth=1
	s_clause 0x1
	buffer_load_dword v86, v81, s[0:3], 0 offen offset:4
	buffer_load_dword v87, v81, s[0:3], 0 offen
	ds_read_b64 v[84:85], v82
	v_add_nc_u32_e32 v79, 1, v79
	v_add_nc_u32_e32 v82, 8, v82
	;; [unrolled: 1-line block ×3, first 2 shown]
	v_cmp_lt_u32_e32 vcc_lo, 36, v79
	s_or_b32 s5, vcc_lo, s5
	s_waitcnt vmcnt(1) lgkmcnt(0)
	v_mul_f32_e32 v88, v85, v86
	v_mul_f32_e32 v86, v84, v86
	s_waitcnt vmcnt(0)
	v_fma_f32 v84, v84, v87, -v88
	v_fmac_f32_e32 v86, v85, v87
	v_add_f32_e32 v83, v83, v84
	v_add_f32_e32 v80, v80, v86
	s_andn2_b32 exec_lo, exec_lo, s5
	s_cbranch_execnz .LBB38_165
; %bb.166:
	s_or_b32 exec_lo, exec_lo, s5
	v_mov_b32_e32 v79, 0
	ds_read_b64 v[81:82], v79 offset:304
	s_waitcnt lgkmcnt(0)
	v_mul_f32_e32 v79, v80, v82
	v_mul_f32_e32 v82, v83, v82
	v_fma_f32 v79, v83, v81, -v79
	v_fmac_f32_e32 v82, v80, v81
	buffer_store_dword v79, off, s[0:3], 0 offset:304
	buffer_store_dword v82, off, s[0:3], 0 offset:308
.LBB38_167:
	s_or_b32 exec_lo, exec_lo, s4
	s_mov_b32 s5, -1
	s_waitcnt_vscnt null, 0x0
	s_barrier
	buffer_gl0_inv
.LBB38_168:
	s_and_b32 vcc_lo, exec_lo, s5
	s_cbranch_vccz .LBB38_170
; %bb.169:
	s_lshl_b64 s[4:5], s[6:7], 2
	v_mov_b32_e32 v79, 0
	s_add_u32 s4, s10, s4
	s_addc_u32 s5, s11, s5
	global_load_dword v79, v79, s[4:5]
	s_waitcnt vmcnt(0)
	v_cmp_ne_u32_e32 vcc_lo, 0, v79
	s_cbranch_vccz .LBB38_171
.LBB38_170:
	s_endpgm
.LBB38_171:
	v_lshl_add_u32 v79, v0, 3, 0x140
	s_mov_b32 s4, exec_lo
	v_cmpx_eq_u32_e32 38, v0
	s_cbranch_execz .LBB38_173
; %bb.172:
	s_clause 0x1
	buffer_load_dword v80, off, s[0:3], 0 offset:296
	buffer_load_dword v81, off, s[0:3], 0 offset:300
	v_mov_b32_e32 v82, 0
	buffer_store_dword v82, off, s[0:3], 0 offset:296
	buffer_store_dword v82, off, s[0:3], 0 offset:300
	s_waitcnt vmcnt(0)
	ds_write_b64 v79, v[80:81]
.LBB38_173:
	s_or_b32 exec_lo, exec_lo, s4
	s_waitcnt lgkmcnt(0)
	s_waitcnt_vscnt null, 0x0
	s_barrier
	buffer_gl0_inv
	s_clause 0x3
	buffer_load_dword v83, off, s[0:3], 0 offset:308
	buffer_load_dword v84, off, s[0:3], 0 offset:304
	;; [unrolled: 1-line block ×4, first 2 shown]
	v_mov_b32_e32 v80, 0
	s_mov_b32 s4, exec_lo
	ds_read_b64 v[81:82], v80 offset:624
	s_waitcnt vmcnt(3) lgkmcnt(0)
	v_mul_f32_e32 v87, v82, v83
	v_mul_f32_e32 v83, v81, v83
	s_waitcnt vmcnt(2)
	v_fma_f32 v81, v81, v84, -v87
	v_fmac_f32_e32 v83, v82, v84
	v_add_f32_e32 v81, 0, v81
	v_add_f32_e32 v82, 0, v83
	s_waitcnt vmcnt(1)
	v_sub_f32_e32 v81, v85, v81
	s_waitcnt vmcnt(0)
	v_sub_f32_e32 v82, v86, v82
	buffer_store_dword v81, off, s[0:3], 0 offset:296
	buffer_store_dword v82, off, s[0:3], 0 offset:300
	v_cmpx_lt_u32_e32 36, v0
	s_cbranch_execz .LBB38_175
; %bb.174:
	s_clause 0x1
	buffer_load_dword v81, off, s[0:3], 0 offset:288
	buffer_load_dword v82, off, s[0:3], 0 offset:292
	buffer_store_dword v80, off, s[0:3], 0 offset:288
	buffer_store_dword v80, off, s[0:3], 0 offset:292
	s_waitcnt vmcnt(0)
	ds_write_b64 v79, v[81:82]
.LBB38_175:
	s_or_b32 exec_lo, exec_lo, s4
	s_waitcnt lgkmcnt(0)
	s_waitcnt_vscnt null, 0x0
	s_barrier
	buffer_gl0_inv
	s_clause 0x5
	buffer_load_dword v84, off, s[0:3], 0 offset:300
	buffer_load_dword v85, off, s[0:3], 0 offset:308
	;; [unrolled: 1-line block ×6, first 2 shown]
	ds_read2_b64 v[80:83], v80 offset0:77 offset1:78
	s_mov_b32 s4, exec_lo
	s_waitcnt vmcnt(5) lgkmcnt(0)
	v_mul_f32_e32 v90, v81, v84
	v_mul_f32_e32 v84, v80, v84
	s_waitcnt vmcnt(4)
	v_mul_f32_e32 v91, v82, v85
	v_mul_f32_e32 v85, v83, v85
	s_waitcnt vmcnt(3)
	v_fma_f32 v80, v80, v86, -v90
	v_fmac_f32_e32 v84, v81, v86
	s_waitcnt vmcnt(2)
	v_fmac_f32_e32 v91, v83, v87
	v_fma_f32 v81, v82, v87, -v85
	v_add_f32_e32 v80, 0, v80
	v_add_f32_e32 v82, 0, v84
	;; [unrolled: 1-line block ×4, first 2 shown]
	s_waitcnt vmcnt(1)
	v_sub_f32_e32 v80, v88, v80
	s_waitcnt vmcnt(0)
	v_sub_f32_e32 v81, v89, v81
	buffer_store_dword v80, off, s[0:3], 0 offset:288
	buffer_store_dword v81, off, s[0:3], 0 offset:292
	v_cmpx_lt_u32_e32 35, v0
	s_cbranch_execz .LBB38_177
; %bb.176:
	s_clause 0x1
	buffer_load_dword v80, off, s[0:3], 0 offset:280
	buffer_load_dword v81, off, s[0:3], 0 offset:284
	v_mov_b32_e32 v82, 0
	buffer_store_dword v82, off, s[0:3], 0 offset:280
	buffer_store_dword v82, off, s[0:3], 0 offset:284
	s_waitcnt vmcnt(0)
	ds_write_b64 v79, v[80:81]
.LBB38_177:
	s_or_b32 exec_lo, exec_lo, s4
	s_waitcnt lgkmcnt(0)
	s_waitcnt_vscnt null, 0x0
	s_barrier
	buffer_gl0_inv
	s_clause 0x7
	buffer_load_dword v87, off, s[0:3], 0 offset:292
	buffer_load_dword v88, off, s[0:3], 0 offset:300
	buffer_load_dword v89, off, s[0:3], 0 offset:308
	buffer_load_dword v90, off, s[0:3], 0 offset:288
	buffer_load_dword v91, off, s[0:3], 0 offset:296
	buffer_load_dword v92, off, s[0:3], 0 offset:304
	buffer_load_dword v93, off, s[0:3], 0 offset:280
	buffer_load_dword v94, off, s[0:3], 0 offset:284
	v_mov_b32_e32 v80, 0
	ds_read_b128 v[81:84], v80 offset:608
	ds_read_b64 v[85:86], v80 offset:624
	s_mov_b32 s4, exec_lo
	s_waitcnt vmcnt(7) lgkmcnt(1)
	v_mul_f32_e32 v95, v82, v87
	v_mul_f32_e32 v87, v81, v87
	s_waitcnt vmcnt(6)
	v_mul_f32_e32 v96, v83, v88
	v_mul_f32_e32 v88, v84, v88
	s_waitcnt vmcnt(5) lgkmcnt(0)
	v_mul_f32_e32 v97, v85, v89
	s_waitcnt vmcnt(4)
	v_fma_f32 v81, v81, v90, -v95
	v_fmac_f32_e32 v87, v82, v90
	v_mul_f32_e32 v82, v86, v89
	s_waitcnt vmcnt(3)
	v_fma_f32 v83, v83, v91, -v88
	v_fmac_f32_e32 v96, v84, v91
	v_add_f32_e32 v81, 0, v81
	v_add_f32_e32 v84, 0, v87
	s_waitcnt vmcnt(2)
	v_fma_f32 v82, v85, v92, -v82
	v_fmac_f32_e32 v97, v86, v92
	v_add_f32_e32 v81, v81, v83
	v_add_f32_e32 v83, v84, v96
	;; [unrolled: 1-line block ×4, first 2 shown]
	s_waitcnt vmcnt(1)
	v_sub_f32_e32 v81, v93, v81
	s_waitcnt vmcnt(0)
	v_sub_f32_e32 v82, v94, v82
	buffer_store_dword v81, off, s[0:3], 0 offset:280
	buffer_store_dword v82, off, s[0:3], 0 offset:284
	v_cmpx_lt_u32_e32 34, v0
	s_cbranch_execz .LBB38_179
; %bb.178:
	s_clause 0x1
	buffer_load_dword v81, off, s[0:3], 0 offset:272
	buffer_load_dword v82, off, s[0:3], 0 offset:276
	buffer_store_dword v80, off, s[0:3], 0 offset:272
	buffer_store_dword v80, off, s[0:3], 0 offset:276
	s_waitcnt vmcnt(0)
	ds_write_b64 v79, v[81:82]
.LBB38_179:
	s_or_b32 exec_lo, exec_lo, s4
	s_waitcnt lgkmcnt(0)
	s_waitcnt_vscnt null, 0x0
	s_barrier
	buffer_gl0_inv
	s_clause 0x9
	buffer_load_dword v89, off, s[0:3], 0 offset:284
	buffer_load_dword v90, off, s[0:3], 0 offset:292
	;; [unrolled: 1-line block ×10, first 2 shown]
	ds_read2_b64 v[81:84], v80 offset0:75 offset1:76
	ds_read2_b64 v[85:88], v80 offset0:77 offset1:78
	s_mov_b32 s4, exec_lo
	s_waitcnt vmcnt(9) lgkmcnt(1)
	v_mul_f32_e32 v80, v81, v89
	v_mul_f32_e32 v89, v82, v89
	s_waitcnt vmcnt(8)
	v_mul_f32_e32 v99, v83, v90
	v_mul_f32_e32 v90, v84, v90
	s_waitcnt vmcnt(7) lgkmcnt(0)
	v_mul_f32_e32 v100, v85, v91
	s_waitcnt vmcnt(5)
	v_fmac_f32_e32 v80, v82, v93
	v_fma_f32 v81, v81, v93, -v89
	v_mul_f32_e32 v82, v86, v91
	s_waitcnt vmcnt(4)
	v_fma_f32 v83, v83, v94, -v90
	v_fmac_f32_e32 v99, v84, v94
	v_add_f32_e32 v80, 0, v80
	v_add_f32_e32 v81, 0, v81
	v_mul_f32_e32 v84, v88, v92
	s_waitcnt vmcnt(3)
	v_fma_f32 v82, v85, v95, -v82
	v_mul_f32_e32 v101, v87, v92
	v_fmac_f32_e32 v100, v86, v95
	v_add_f32_e32 v81, v81, v83
	v_add_f32_e32 v80, v80, v99
	s_waitcnt vmcnt(2)
	v_fma_f32 v83, v87, v96, -v84
	v_fmac_f32_e32 v101, v88, v96
	v_add_f32_e32 v81, v81, v82
	v_add_f32_e32 v80, v80, v100
	;; [unrolled: 1-line block ×4, first 2 shown]
	s_waitcnt vmcnt(1)
	v_sub_f32_e32 v81, v97, v81
	s_waitcnt vmcnt(0)
	v_sub_f32_e32 v80, v98, v80
	buffer_store_dword v81, off, s[0:3], 0 offset:272
	buffer_store_dword v80, off, s[0:3], 0 offset:276
	v_cmpx_lt_u32_e32 33, v0
	s_cbranch_execz .LBB38_181
; %bb.180:
	s_clause 0x1
	buffer_load_dword v80, off, s[0:3], 0 offset:264
	buffer_load_dword v81, off, s[0:3], 0 offset:268
	v_mov_b32_e32 v82, 0
	buffer_store_dword v82, off, s[0:3], 0 offset:264
	buffer_store_dword v82, off, s[0:3], 0 offset:268
	s_waitcnt vmcnt(0)
	ds_write_b64 v79, v[80:81]
.LBB38_181:
	s_or_b32 exec_lo, exec_lo, s4
	s_waitcnt lgkmcnt(0)
	s_waitcnt_vscnt null, 0x0
	s_barrier
	buffer_gl0_inv
	s_clause 0xb
	buffer_load_dword v91, off, s[0:3], 0 offset:276
	buffer_load_dword v92, off, s[0:3], 0 offset:284
	;; [unrolled: 1-line block ×12, first 2 shown]
	v_mov_b32_e32 v80, 0
	ds_read_b128 v[81:84], v80 offset:592
	ds_read_b128 v[85:88], v80 offset:608
	ds_read_b64 v[89:90], v80 offset:624
	s_mov_b32 s4, exec_lo
	s_waitcnt vmcnt(11) lgkmcnt(2)
	v_mul_f32_e32 v103, v81, v91
	v_mul_f32_e32 v91, v82, v91
	s_waitcnt vmcnt(10)
	v_mul_f32_e32 v104, v83, v92
	v_mul_f32_e32 v92, v84, v92
	s_waitcnt vmcnt(9) lgkmcnt(1)
	v_mul_f32_e32 v105, v85, v93
	s_waitcnt vmcnt(6)
	v_fmac_f32_e32 v103, v82, v96
	v_fma_f32 v81, v81, v96, -v91
	v_mul_f32_e32 v82, v86, v93
	s_waitcnt vmcnt(5)
	v_fma_f32 v83, v83, v97, -v92
	v_fmac_f32_e32 v104, v84, v97
	v_add_f32_e32 v84, 0, v103
	v_add_f32_e32 v81, 0, v81
	v_mul_f32_e32 v91, v88, v94
	s_waitcnt vmcnt(4)
	v_fma_f32 v82, v85, v98, -v82
	v_mul_f32_e32 v106, v87, v94
	v_fmac_f32_e32 v105, v86, v98
	v_add_f32_e32 v81, v81, v83
	v_add_f32_e32 v83, v84, v104
	s_waitcnt lgkmcnt(0)
	v_mul_f32_e32 v84, v90, v95
	s_waitcnt vmcnt(3)
	v_fma_f32 v85, v87, v99, -v91
	v_mul_f32_e32 v107, v89, v95
	v_add_f32_e32 v81, v81, v82
	v_fmac_f32_e32 v106, v88, v99
	v_add_f32_e32 v82, v83, v105
	s_waitcnt vmcnt(2)
	v_fma_f32 v83, v89, v100, -v84
	v_fmac_f32_e32 v107, v90, v100
	v_add_f32_e32 v81, v81, v85
	v_add_f32_e32 v82, v82, v106
	;; [unrolled: 1-line block ×4, first 2 shown]
	s_waitcnt vmcnt(1)
	v_sub_f32_e32 v81, v101, v81
	s_waitcnt vmcnt(0)
	v_sub_f32_e32 v82, v102, v82
	buffer_store_dword v81, off, s[0:3], 0 offset:264
	buffer_store_dword v82, off, s[0:3], 0 offset:268
	v_cmpx_lt_u32_e32 32, v0
	s_cbranch_execz .LBB38_183
; %bb.182:
	s_clause 0x1
	buffer_load_dword v81, off, s[0:3], 0 offset:256
	buffer_load_dword v82, off, s[0:3], 0 offset:260
	buffer_store_dword v80, off, s[0:3], 0 offset:256
	buffer_store_dword v80, off, s[0:3], 0 offset:260
	s_waitcnt vmcnt(0)
	ds_write_b64 v79, v[81:82]
.LBB38_183:
	s_or_b32 exec_lo, exec_lo, s4
	s_waitcnt lgkmcnt(0)
	s_waitcnt_vscnt null, 0x0
	s_barrier
	buffer_gl0_inv
	s_clause 0xd
	buffer_load_dword v93, off, s[0:3], 0 offset:268
	buffer_load_dword v94, off, s[0:3], 0 offset:276
	;; [unrolled: 1-line block ×14, first 2 shown]
	ds_read2_b64 v[81:84], v80 offset0:73 offset1:74
	ds_read2_b64 v[85:88], v80 offset0:75 offset1:76
	;; [unrolled: 1-line block ×3, first 2 shown]
	s_mov_b32 s4, exec_lo
	s_waitcnt vmcnt(13) lgkmcnt(2)
	v_mul_f32_e32 v80, v81, v93
	v_mul_f32_e32 v93, v82, v93
	s_waitcnt vmcnt(12)
	v_mul_f32_e32 v107, v83, v94
	v_mul_f32_e32 v94, v84, v94
	s_waitcnt vmcnt(11) lgkmcnt(1)
	v_mul_f32_e32 v108, v85, v95
	s_waitcnt vmcnt(10)
	v_mul_f32_e32 v109, v87, v96
	s_waitcnt vmcnt(7)
	v_fma_f32 v81, v81, v99, -v93
	v_fmac_f32_e32 v80, v82, v99
	v_mul_f32_e32 v82, v86, v95
	s_waitcnt vmcnt(6)
	v_fma_f32 v83, v83, v100, -v94
	v_fmac_f32_e32 v107, v84, v100
	v_add_f32_e32 v81, 0, v81
	v_add_f32_e32 v80, 0, v80
	v_mul_f32_e32 v84, v88, v96
	s_waitcnt vmcnt(5)
	v_fma_f32 v82, v85, v101, -v82
	v_fmac_f32_e32 v108, v86, v101
	v_add_f32_e32 v81, v81, v83
	v_add_f32_e32 v80, v80, v107
	s_waitcnt lgkmcnt(0)
	v_mul_f32_e32 v83, v90, v97
	s_waitcnt vmcnt(4)
	v_fma_f32 v84, v87, v102, -v84
	v_mul_f32_e32 v110, v89, v97
	v_add_f32_e32 v81, v81, v82
	v_fmac_f32_e32 v109, v88, v102
	v_add_f32_e32 v80, v80, v108
	v_mul_f32_e32 v82, v92, v98
	s_waitcnt vmcnt(3)
	v_fma_f32 v83, v89, v103, -v83
	v_add_f32_e32 v81, v81, v84
	v_mul_f32_e32 v111, v91, v98
	v_fmac_f32_e32 v110, v90, v103
	v_add_f32_e32 v80, v80, v109
	s_waitcnt vmcnt(2)
	v_fma_f32 v82, v91, v104, -v82
	v_add_f32_e32 v81, v81, v83
	v_fmac_f32_e32 v111, v92, v104
	v_add_f32_e32 v80, v80, v110
	v_add_f32_e32 v81, v81, v82
	;; [unrolled: 1-line block ×3, first 2 shown]
	s_waitcnt vmcnt(1)
	v_sub_f32_e32 v81, v105, v81
	s_waitcnt vmcnt(0)
	v_sub_f32_e32 v80, v106, v80
	buffer_store_dword v81, off, s[0:3], 0 offset:256
	buffer_store_dword v80, off, s[0:3], 0 offset:260
	v_cmpx_lt_u32_e32 31, v0
	s_cbranch_execz .LBB38_185
; %bb.184:
	s_clause 0x1
	buffer_load_dword v80, off, s[0:3], 0 offset:248
	buffer_load_dword v81, off, s[0:3], 0 offset:252
	v_mov_b32_e32 v82, 0
	buffer_store_dword v82, off, s[0:3], 0 offset:248
	buffer_store_dword v82, off, s[0:3], 0 offset:252
	s_waitcnt vmcnt(0)
	ds_write_b64 v79, v[80:81]
.LBB38_185:
	s_or_b32 exec_lo, exec_lo, s4
	s_waitcnt lgkmcnt(0)
	s_waitcnt_vscnt null, 0x0
	s_barrier
	buffer_gl0_inv
	s_clause 0xf
	buffer_load_dword v95, off, s[0:3], 0 offset:260
	buffer_load_dword v96, off, s[0:3], 0 offset:268
	;; [unrolled: 1-line block ×16, first 2 shown]
	v_mov_b32_e32 v80, 0
	ds_read_b128 v[81:84], v80 offset:576
	ds_read_b128 v[85:88], v80 offset:592
	;; [unrolled: 1-line block ×3, first 2 shown]
	ds_read_b64 v[93:94], v80 offset:624
	s_mov_b32 s4, exec_lo
	s_waitcnt vmcnt(15) lgkmcnt(3)
	v_mul_f32_e32 v111, v81, v95
	v_mul_f32_e32 v95, v82, v95
	s_waitcnt vmcnt(14)
	v_mul_f32_e32 v112, v83, v96
	v_mul_f32_e32 v96, v84, v96
	s_waitcnt vmcnt(13) lgkmcnt(2)
	v_mul_f32_e32 v113, v85, v97
	s_waitcnt vmcnt(12)
	v_mul_f32_e32 v114, v87, v98
	s_waitcnt vmcnt(11) lgkmcnt(1)
	v_mul_f32_e32 v115, v89, v99
	s_waitcnt vmcnt(8)
	v_fma_f32 v81, v81, v102, -v95
	v_fmac_f32_e32 v111, v82, v102
	v_mul_f32_e32 v82, v86, v97
	s_waitcnt vmcnt(7)
	v_fma_f32 v83, v83, v103, -v96
	v_fmac_f32_e32 v112, v84, v103
	v_add_f32_e32 v81, 0, v81
	v_add_f32_e32 v84, 0, v111
	v_mul_f32_e32 v95, v88, v98
	s_waitcnt vmcnt(6)
	v_fma_f32 v82, v85, v104, -v82
	v_fmac_f32_e32 v113, v86, v104
	v_add_f32_e32 v81, v81, v83
	v_add_f32_e32 v83, v84, v112
	;; [unrolled: 6-line block ×3, first 2 shown]
	v_mul_f32_e32 v83, v92, v100
	s_waitcnt vmcnt(4)
	v_fma_f32 v84, v89, v106, -v84
	v_mul_f32_e32 v116, v91, v100
	v_add_f32_e32 v81, v81, v85
	v_fmac_f32_e32 v115, v90, v106
	v_add_f32_e32 v82, v82, v114
	s_waitcnt lgkmcnt(0)
	v_mul_f32_e32 v85, v94, v101
	s_waitcnt vmcnt(3)
	v_fma_f32 v83, v91, v107, -v83
	v_add_f32_e32 v81, v81, v84
	v_mul_f32_e32 v117, v93, v101
	v_fmac_f32_e32 v116, v92, v107
	v_add_f32_e32 v82, v82, v115
	s_waitcnt vmcnt(2)
	v_fma_f32 v84, v93, v108, -v85
	v_add_f32_e32 v81, v81, v83
	v_fmac_f32_e32 v117, v94, v108
	v_add_f32_e32 v82, v82, v116
	v_add_f32_e32 v81, v81, v84
	;; [unrolled: 1-line block ×3, first 2 shown]
	s_waitcnt vmcnt(1)
	v_sub_f32_e32 v81, v109, v81
	s_waitcnt vmcnt(0)
	v_sub_f32_e32 v82, v110, v82
	buffer_store_dword v81, off, s[0:3], 0 offset:248
	buffer_store_dword v82, off, s[0:3], 0 offset:252
	v_cmpx_lt_u32_e32 30, v0
	s_cbranch_execz .LBB38_187
; %bb.186:
	s_clause 0x1
	buffer_load_dword v81, off, s[0:3], 0 offset:240
	buffer_load_dword v82, off, s[0:3], 0 offset:244
	buffer_store_dword v80, off, s[0:3], 0 offset:240
	buffer_store_dword v80, off, s[0:3], 0 offset:244
	s_waitcnt vmcnt(0)
	ds_write_b64 v79, v[81:82]
.LBB38_187:
	s_or_b32 exec_lo, exec_lo, s4
	s_waitcnt lgkmcnt(0)
	s_waitcnt_vscnt null, 0x0
	s_barrier
	buffer_gl0_inv
	s_clause 0x11
	buffer_load_dword v97, off, s[0:3], 0 offset:252
	buffer_load_dword v98, off, s[0:3], 0 offset:260
	;; [unrolled: 1-line block ×18, first 2 shown]
	ds_read2_b64 v[81:84], v80 offset0:71 offset1:72
	ds_read2_b64 v[85:88], v80 offset0:73 offset1:74
	ds_read2_b64 v[89:92], v80 offset0:75 offset1:76
	ds_read2_b64 v[93:96], v80 offset0:77 offset1:78
	s_mov_b32 s4, exec_lo
	s_waitcnt vmcnt(17) lgkmcnt(3)
	v_mul_f32_e32 v80, v81, v97
	v_mul_f32_e32 v97, v82, v97
	s_waitcnt vmcnt(16)
	v_mul_f32_e32 v115, v83, v98
	v_mul_f32_e32 v98, v84, v98
	s_waitcnt vmcnt(15) lgkmcnt(2)
	v_mul_f32_e32 v116, v85, v99
	s_waitcnt vmcnt(14)
	v_mul_f32_e32 v117, v87, v100
	s_waitcnt vmcnt(13) lgkmcnt(1)
	v_mul_f32_e32 v118, v89, v101
	s_waitcnt vmcnt(12)
	v_mul_f32_e32 v119, v91, v102
	s_waitcnt vmcnt(9)
	v_fma_f32 v81, v81, v105, -v97
	v_fmac_f32_e32 v80, v82, v105
	v_mul_f32_e32 v82, v86, v99
	s_waitcnt vmcnt(8)
	v_fma_f32 v83, v83, v106, -v98
	v_fmac_f32_e32 v115, v84, v106
	v_add_f32_e32 v81, 0, v81
	v_add_f32_e32 v80, 0, v80
	v_mul_f32_e32 v84, v88, v100
	s_waitcnt vmcnt(7)
	v_fma_f32 v82, v85, v107, -v82
	v_fmac_f32_e32 v116, v86, v107
	v_add_f32_e32 v81, v81, v83
	v_add_f32_e32 v80, v80, v115
	;; [unrolled: 6-line block ×4, first 2 shown]
	s_waitcnt lgkmcnt(0)
	v_mul_f32_e32 v84, v94, v103
	s_waitcnt vmcnt(4)
	v_fma_f32 v82, v91, v110, -v82
	v_mul_f32_e32 v120, v93, v103
	v_add_f32_e32 v81, v81, v83
	v_fmac_f32_e32 v119, v92, v110
	v_add_f32_e32 v80, v80, v118
	v_mul_f32_e32 v83, v96, v104
	s_waitcnt vmcnt(3)
	v_fma_f32 v84, v93, v111, -v84
	v_add_f32_e32 v81, v81, v82
	v_mul_f32_e32 v121, v95, v104
	v_fmac_f32_e32 v120, v94, v111
	v_add_f32_e32 v80, v80, v119
	s_waitcnt vmcnt(2)
	v_fma_f32 v82, v95, v112, -v83
	v_add_f32_e32 v81, v81, v84
	v_fmac_f32_e32 v121, v96, v112
	v_add_f32_e32 v80, v80, v120
	v_add_f32_e32 v81, v81, v82
	;; [unrolled: 1-line block ×3, first 2 shown]
	s_waitcnt vmcnt(1)
	v_sub_f32_e32 v81, v113, v81
	s_waitcnt vmcnt(0)
	v_sub_f32_e32 v80, v114, v80
	buffer_store_dword v81, off, s[0:3], 0 offset:240
	buffer_store_dword v80, off, s[0:3], 0 offset:244
	v_cmpx_lt_u32_e32 29, v0
	s_cbranch_execz .LBB38_189
; %bb.188:
	s_clause 0x1
	buffer_load_dword v80, off, s[0:3], 0 offset:232
	buffer_load_dword v81, off, s[0:3], 0 offset:236
	v_mov_b32_e32 v82, 0
	buffer_store_dword v82, off, s[0:3], 0 offset:232
	buffer_store_dword v82, off, s[0:3], 0 offset:236
	s_waitcnt vmcnt(0)
	ds_write_b64 v79, v[80:81]
.LBB38_189:
	s_or_b32 exec_lo, exec_lo, s4
	s_waitcnt lgkmcnt(0)
	s_waitcnt_vscnt null, 0x0
	s_barrier
	buffer_gl0_inv
	s_clause 0x13
	buffer_load_dword v99, off, s[0:3], 0 offset:244
	buffer_load_dword v100, off, s[0:3], 0 offset:252
	;; [unrolled: 1-line block ×20, first 2 shown]
	v_mov_b32_e32 v80, 0
	ds_read_b128 v[81:84], v80 offset:560
	ds_read_b128 v[85:88], v80 offset:576
	;; [unrolled: 1-line block ×4, first 2 shown]
	ds_read_b64 v[97:98], v80 offset:624
	s_mov_b32 s4, exec_lo
	s_waitcnt vmcnt(19) lgkmcnt(4)
	v_mul_f32_e32 v119, v81, v99
	v_mul_f32_e32 v99, v82, v99
	s_waitcnt vmcnt(18)
	v_mul_f32_e32 v120, v83, v100
	v_mul_f32_e32 v100, v84, v100
	s_waitcnt vmcnt(17) lgkmcnt(3)
	v_mul_f32_e32 v121, v85, v101
	s_waitcnt vmcnt(16)
	v_mul_f32_e32 v122, v87, v102
	s_waitcnt vmcnt(15) lgkmcnt(2)
	v_mul_f32_e32 v123, v89, v103
	s_waitcnt vmcnt(14)
	v_mul_f32_e32 v124, v91, v104
	s_waitcnt vmcnt(13) lgkmcnt(1)
	v_mul_f32_e32 v125, v93, v105
	s_waitcnt vmcnt(10)
	v_fma_f32 v81, v81, v108, -v99
	v_fmac_f32_e32 v119, v82, v108
	v_mul_f32_e32 v82, v86, v101
	s_waitcnt vmcnt(9)
	v_fma_f32 v83, v83, v109, -v100
	v_fmac_f32_e32 v120, v84, v109
	v_add_f32_e32 v81, 0, v81
	v_add_f32_e32 v84, 0, v119
	v_mul_f32_e32 v99, v88, v102
	s_waitcnt vmcnt(8)
	v_fma_f32 v82, v85, v110, -v82
	v_fmac_f32_e32 v121, v86, v110
	v_add_f32_e32 v81, v81, v83
	v_add_f32_e32 v83, v84, v120
	;; [unrolled: 6-line block ×5, first 2 shown]
	v_mul_f32_e32 v84, v96, v106
	s_waitcnt vmcnt(4)
	v_fma_f32 v85, v93, v114, -v85
	v_mul_f32_e32 v126, v95, v106
	v_add_f32_e32 v81, v81, v83
	v_fmac_f32_e32 v125, v94, v114
	v_add_f32_e32 v82, v82, v124
	s_waitcnt lgkmcnt(0)
	v_mul_f32_e32 v83, v98, v107
	s_waitcnt vmcnt(3)
	v_fma_f32 v84, v95, v115, -v84
	v_add_f32_e32 v81, v81, v85
	v_mul_f32_e32 v127, v97, v107
	v_fmac_f32_e32 v126, v96, v115
	v_add_f32_e32 v82, v82, v125
	s_waitcnt vmcnt(2)
	v_fma_f32 v83, v97, v116, -v83
	v_add_f32_e32 v81, v81, v84
	v_fmac_f32_e32 v127, v98, v116
	v_add_f32_e32 v82, v82, v126
	v_add_f32_e32 v81, v81, v83
	;; [unrolled: 1-line block ×3, first 2 shown]
	s_waitcnt vmcnt(1)
	v_sub_f32_e32 v81, v117, v81
	s_waitcnt vmcnt(0)
	v_sub_f32_e32 v82, v118, v82
	buffer_store_dword v81, off, s[0:3], 0 offset:232
	buffer_store_dword v82, off, s[0:3], 0 offset:236
	v_cmpx_lt_u32_e32 28, v0
	s_cbranch_execz .LBB38_191
; %bb.190:
	s_clause 0x1
	buffer_load_dword v81, off, s[0:3], 0 offset:224
	buffer_load_dword v82, off, s[0:3], 0 offset:228
	buffer_store_dword v80, off, s[0:3], 0 offset:224
	buffer_store_dword v80, off, s[0:3], 0 offset:228
	s_waitcnt vmcnt(0)
	ds_write_b64 v79, v[81:82]
.LBB38_191:
	s_or_b32 exec_lo, exec_lo, s4
	s_waitcnt lgkmcnt(0)
	s_waitcnt_vscnt null, 0x0
	s_barrier
	buffer_gl0_inv
	s_clause 0x15
	buffer_load_dword v101, off, s[0:3], 0 offset:236
	buffer_load_dword v102, off, s[0:3], 0 offset:244
	;; [unrolled: 1-line block ×22, first 2 shown]
	ds_read2_b64 v[81:84], v80 offset0:69 offset1:70
	ds_read2_b64 v[85:88], v80 offset0:71 offset1:72
	;; [unrolled: 1-line block ×5, first 2 shown]
	s_mov_b32 s4, exec_lo
	s_waitcnt vmcnt(21) lgkmcnt(4)
	v_mul_f32_e32 v80, v81, v101
	v_mul_f32_e32 v101, v82, v101
	s_waitcnt vmcnt(20)
	v_mul_f32_e32 v123, v83, v102
	v_mul_f32_e32 v102, v84, v102
	s_waitcnt vmcnt(19) lgkmcnt(3)
	v_mul_f32_e32 v124, v85, v103
	s_waitcnt vmcnt(18)
	v_mul_f32_e32 v125, v87, v104
	s_waitcnt vmcnt(17) lgkmcnt(2)
	v_mul_f32_e32 v126, v89, v105
	s_waitcnt vmcnt(16)
	v_mul_f32_e32 v127, v91, v106
	s_waitcnt vmcnt(15) lgkmcnt(1)
	v_mul_f32_e32 v128, v93, v107
	s_waitcnt vmcnt(14)
	v_mul_f32_e32 v129, v95, v108
	s_waitcnt vmcnt(11)
	v_fma_f32 v81, v81, v111, -v101
	v_fmac_f32_e32 v80, v82, v111
	v_mul_f32_e32 v82, v86, v103
	s_waitcnt vmcnt(10)
	v_fma_f32 v83, v83, v112, -v102
	v_fmac_f32_e32 v123, v84, v112
	v_add_f32_e32 v81, 0, v81
	v_add_f32_e32 v80, 0, v80
	v_mul_f32_e32 v84, v88, v104
	s_waitcnt vmcnt(9)
	v_fma_f32 v82, v85, v113, -v82
	v_fmac_f32_e32 v124, v86, v113
	v_add_f32_e32 v81, v81, v83
	v_add_f32_e32 v80, v80, v123
	v_mul_f32_e32 v83, v90, v105
	s_waitcnt vmcnt(8)
	v_fma_f32 v84, v87, v114, -v84
	v_fmac_f32_e32 v125, v88, v114
	v_add_f32_e32 v81, v81, v82
	v_add_f32_e32 v80, v80, v124
	v_mul_f32_e32 v82, v92, v106
	s_waitcnt vmcnt(7)
	v_fma_f32 v83, v89, v115, -v83
	v_fmac_f32_e32 v126, v90, v115
	v_add_f32_e32 v81, v81, v84
	v_add_f32_e32 v80, v80, v125
	v_mul_f32_e32 v84, v94, v107
	s_waitcnt vmcnt(6)
	v_fma_f32 v82, v91, v116, -v82
	v_fmac_f32_e32 v127, v92, v116
	v_add_f32_e32 v81, v81, v83
	v_add_f32_e32 v80, v80, v126
	v_mul_f32_e32 v83, v96, v108
	s_waitcnt vmcnt(5)
	v_fma_f32 v84, v93, v117, -v84
	v_fmac_f32_e32 v128, v94, v117
	v_add_f32_e32 v81, v81, v82
	v_add_f32_e32 v80, v80, v127
	s_waitcnt lgkmcnt(0)
	v_mul_f32_e32 v82, v98, v109
	s_waitcnt vmcnt(4)
	v_fma_f32 v83, v95, v118, -v83
	v_mul_f32_e32 v130, v97, v109
	v_add_f32_e32 v81, v81, v84
	v_fmac_f32_e32 v129, v96, v118
	v_add_f32_e32 v80, v80, v128
	v_mul_f32_e32 v84, v100, v110
	s_waitcnt vmcnt(3)
	v_fma_f32 v82, v97, v119, -v82
	v_add_f32_e32 v81, v81, v83
	v_mul_f32_e32 v131, v99, v110
	v_fmac_f32_e32 v130, v98, v119
	v_add_f32_e32 v80, v80, v129
	s_waitcnt vmcnt(2)
	v_fma_f32 v83, v99, v120, -v84
	v_add_f32_e32 v81, v81, v82
	v_fmac_f32_e32 v131, v100, v120
	v_add_f32_e32 v80, v80, v130
	v_add_f32_e32 v81, v81, v83
	;; [unrolled: 1-line block ×3, first 2 shown]
	s_waitcnt vmcnt(1)
	v_sub_f32_e32 v81, v121, v81
	s_waitcnt vmcnt(0)
	v_sub_f32_e32 v80, v122, v80
	buffer_store_dword v81, off, s[0:3], 0 offset:224
	buffer_store_dword v80, off, s[0:3], 0 offset:228
	v_cmpx_lt_u32_e32 27, v0
	s_cbranch_execz .LBB38_193
; %bb.192:
	s_clause 0x1
	buffer_load_dword v80, off, s[0:3], 0 offset:216
	buffer_load_dword v81, off, s[0:3], 0 offset:220
	v_mov_b32_e32 v82, 0
	buffer_store_dword v82, off, s[0:3], 0 offset:216
	buffer_store_dword v82, off, s[0:3], 0 offset:220
	s_waitcnt vmcnt(0)
	ds_write_b64 v79, v[80:81]
.LBB38_193:
	s_or_b32 exec_lo, exec_lo, s4
	s_waitcnt lgkmcnt(0)
	s_waitcnt_vscnt null, 0x0
	s_barrier
	buffer_gl0_inv
	s_clause 0x17
	buffer_load_dword v103, off, s[0:3], 0 offset:228
	buffer_load_dword v104, off, s[0:3], 0 offset:236
	;; [unrolled: 1-line block ×24, first 2 shown]
	v_mov_b32_e32 v80, 0
	ds_read_b128 v[81:84], v80 offset:544
	ds_read_b128 v[85:88], v80 offset:560
	;; [unrolled: 1-line block ×5, first 2 shown]
	ds_read_b64 v[101:102], v80 offset:624
	s_mov_b32 s4, exec_lo
	s_waitcnt vmcnt(23) lgkmcnt(5)
	v_mul_f32_e32 v127, v81, v103
	v_mul_f32_e32 v103, v82, v103
	s_waitcnt vmcnt(22)
	v_mul_f32_e32 v128, v83, v104
	v_mul_f32_e32 v104, v84, v104
	s_waitcnt vmcnt(21) lgkmcnt(4)
	v_mul_f32_e32 v129, v85, v105
	s_waitcnt vmcnt(20)
	v_mul_f32_e32 v130, v87, v106
	s_waitcnt vmcnt(19) lgkmcnt(3)
	v_mul_f32_e32 v131, v89, v107
	s_waitcnt vmcnt(18)
	v_mul_f32_e32 v132, v91, v108
	s_waitcnt vmcnt(17) lgkmcnt(2)
	v_mul_f32_e32 v133, v93, v109
	s_waitcnt vmcnt(16)
	v_mul_f32_e32 v134, v95, v110
	s_waitcnt vmcnt(15) lgkmcnt(1)
	v_mul_f32_e32 v135, v97, v111
	s_waitcnt vmcnt(12)
	v_fma_f32 v81, v81, v114, -v103
	v_fmac_f32_e32 v127, v82, v114
	v_mul_f32_e32 v82, v86, v105
	s_waitcnt vmcnt(11)
	v_fma_f32 v83, v83, v115, -v104
	v_fmac_f32_e32 v128, v84, v115
	v_add_f32_e32 v81, 0, v81
	v_add_f32_e32 v84, 0, v127
	v_mul_f32_e32 v103, v88, v106
	s_waitcnt vmcnt(10)
	v_fma_f32 v82, v85, v116, -v82
	v_fmac_f32_e32 v129, v86, v116
	v_add_f32_e32 v81, v81, v83
	v_add_f32_e32 v83, v84, v128
	;; [unrolled: 6-line block ×7, first 2 shown]
	v_mul_f32_e32 v85, v100, v112
	s_waitcnt vmcnt(4)
	v_fma_f32 v83, v97, v122, -v83
	v_mul_f32_e32 v136, v99, v112
	v_add_f32_e32 v81, v81, v84
	v_fmac_f32_e32 v135, v98, v122
	v_add_f32_e32 v82, v82, v134
	s_waitcnt lgkmcnt(0)
	v_mul_f32_e32 v84, v102, v113
	s_waitcnt vmcnt(3)
	v_fma_f32 v85, v99, v123, -v85
	v_add_f32_e32 v81, v81, v83
	v_mul_f32_e32 v137, v101, v113
	v_fmac_f32_e32 v136, v100, v123
	v_add_f32_e32 v82, v82, v135
	s_waitcnt vmcnt(2)
	v_fma_f32 v83, v101, v124, -v84
	v_add_f32_e32 v81, v81, v85
	v_fmac_f32_e32 v137, v102, v124
	v_add_f32_e32 v82, v82, v136
	v_add_f32_e32 v81, v81, v83
	;; [unrolled: 1-line block ×3, first 2 shown]
	s_waitcnt vmcnt(1)
	v_sub_f32_e32 v81, v125, v81
	s_waitcnt vmcnt(0)
	v_sub_f32_e32 v82, v126, v82
	buffer_store_dword v81, off, s[0:3], 0 offset:216
	buffer_store_dword v82, off, s[0:3], 0 offset:220
	v_cmpx_lt_u32_e32 26, v0
	s_cbranch_execz .LBB38_195
; %bb.194:
	s_clause 0x1
	buffer_load_dword v81, off, s[0:3], 0 offset:208
	buffer_load_dword v82, off, s[0:3], 0 offset:212
	buffer_store_dword v80, off, s[0:3], 0 offset:208
	buffer_store_dword v80, off, s[0:3], 0 offset:212
	s_waitcnt vmcnt(0)
	ds_write_b64 v79, v[81:82]
.LBB38_195:
	s_or_b32 exec_lo, exec_lo, s4
	s_waitcnt lgkmcnt(0)
	s_waitcnt_vscnt null, 0x0
	s_barrier
	buffer_gl0_inv
	s_clause 0x19
	buffer_load_dword v105, off, s[0:3], 0 offset:220
	buffer_load_dword v106, off, s[0:3], 0 offset:228
	;; [unrolled: 1-line block ×26, first 2 shown]
	ds_read2_b64 v[81:84], v80 offset0:67 offset1:68
	ds_read2_b64 v[85:88], v80 offset0:69 offset1:70
	;; [unrolled: 1-line block ×6, first 2 shown]
	s_mov_b32 s4, exec_lo
	s_waitcnt vmcnt(25) lgkmcnt(5)
	v_mul_f32_e32 v80, v81, v105
	v_mul_f32_e32 v105, v82, v105
	s_waitcnt vmcnt(24)
	v_mul_f32_e32 v131, v83, v106
	v_mul_f32_e32 v106, v84, v106
	s_waitcnt vmcnt(23) lgkmcnt(4)
	v_mul_f32_e32 v132, v85, v107
	s_waitcnt vmcnt(22)
	v_mul_f32_e32 v133, v87, v108
	s_waitcnt vmcnt(21) lgkmcnt(3)
	v_mul_f32_e32 v134, v89, v109
	s_waitcnt vmcnt(20)
	;; [unrolled: 4-line block ×4, first 2 shown]
	v_mul_f32_e32 v139, v99, v114
	s_waitcnt vmcnt(13)
	v_fma_f32 v81, v81, v117, -v105
	v_fmac_f32_e32 v80, v82, v117
	v_mul_f32_e32 v82, v86, v107
	s_waitcnt vmcnt(12)
	v_fma_f32 v83, v83, v118, -v106
	v_fmac_f32_e32 v131, v84, v118
	v_add_f32_e32 v81, 0, v81
	v_add_f32_e32 v80, 0, v80
	v_mul_f32_e32 v84, v88, v108
	s_waitcnt vmcnt(11)
	v_fma_f32 v82, v85, v119, -v82
	v_fmac_f32_e32 v132, v86, v119
	v_add_f32_e32 v81, v81, v83
	v_add_f32_e32 v80, v80, v131
	;; [unrolled: 6-line block ×8, first 2 shown]
	s_waitcnt lgkmcnt(0)
	v_mul_f32_e32 v83, v102, v115
	s_waitcnt vmcnt(4)
	v_fma_f32 v84, v99, v126, -v84
	v_mul_f32_e32 v140, v101, v115
	v_add_f32_e32 v81, v81, v82
	v_fmac_f32_e32 v139, v100, v126
	v_add_f32_e32 v80, v80, v138
	v_mul_f32_e32 v82, v104, v116
	s_waitcnt vmcnt(3)
	v_fma_f32 v83, v101, v127, -v83
	v_add_f32_e32 v81, v81, v84
	v_mul_f32_e32 v141, v103, v116
	v_fmac_f32_e32 v140, v102, v127
	v_add_f32_e32 v80, v80, v139
	s_waitcnt vmcnt(2)
	v_fma_f32 v82, v103, v128, -v82
	v_add_f32_e32 v81, v81, v83
	v_fmac_f32_e32 v141, v104, v128
	v_add_f32_e32 v80, v80, v140
	v_add_f32_e32 v81, v81, v82
	;; [unrolled: 1-line block ×3, first 2 shown]
	s_waitcnt vmcnt(1)
	v_sub_f32_e32 v81, v129, v81
	s_waitcnt vmcnt(0)
	v_sub_f32_e32 v80, v130, v80
	buffer_store_dword v81, off, s[0:3], 0 offset:208
	buffer_store_dword v80, off, s[0:3], 0 offset:212
	v_cmpx_lt_u32_e32 25, v0
	s_cbranch_execz .LBB38_197
; %bb.196:
	s_clause 0x1
	buffer_load_dword v80, off, s[0:3], 0 offset:200
	buffer_load_dword v81, off, s[0:3], 0 offset:204
	v_mov_b32_e32 v82, 0
	buffer_store_dword v82, off, s[0:3], 0 offset:200
	buffer_store_dword v82, off, s[0:3], 0 offset:204
	s_waitcnt vmcnt(0)
	ds_write_b64 v79, v[80:81]
.LBB38_197:
	s_or_b32 exec_lo, exec_lo, s4
	s_waitcnt lgkmcnt(0)
	s_waitcnt_vscnt null, 0x0
	s_barrier
	buffer_gl0_inv
	s_clause 0x1b
	buffer_load_dword v107, off, s[0:3], 0 offset:212
	buffer_load_dword v108, off, s[0:3], 0 offset:220
	;; [unrolled: 1-line block ×28, first 2 shown]
	v_mov_b32_e32 v80, 0
	ds_read_b128 v[81:84], v80 offset:528
	ds_read_b128 v[85:88], v80 offset:544
	;; [unrolled: 1-line block ×6, first 2 shown]
	ds_read_b64 v[105:106], v80 offset:624
	s_mov_b32 s4, exec_lo
	s_waitcnt vmcnt(27) lgkmcnt(6)
	v_mul_f32_e32 v135, v81, v107
	v_mul_f32_e32 v107, v82, v107
	s_waitcnt vmcnt(26)
	v_mul_f32_e32 v136, v83, v108
	v_mul_f32_e32 v108, v84, v108
	s_waitcnt vmcnt(25) lgkmcnt(5)
	v_mul_f32_e32 v137, v85, v109
	s_waitcnt vmcnt(24)
	v_mul_f32_e32 v138, v87, v110
	s_waitcnt vmcnt(23) lgkmcnt(4)
	v_mul_f32_e32 v139, v89, v111
	s_waitcnt vmcnt(22)
	;; [unrolled: 4-line block ×5, first 2 shown]
	v_fma_f32 v81, v81, v120, -v107
	v_fmac_f32_e32 v135, v82, v120
	v_mul_f32_e32 v82, v86, v109
	s_waitcnt vmcnt(13)
	v_fma_f32 v83, v83, v121, -v108
	v_fmac_f32_e32 v136, v84, v121
	v_add_f32_e32 v81, 0, v81
	v_add_f32_e32 v84, 0, v135
	v_mul_f32_e32 v107, v88, v110
	s_waitcnt vmcnt(12)
	v_fma_f32 v82, v85, v122, -v82
	v_fmac_f32_e32 v137, v86, v122
	v_add_f32_e32 v81, v81, v83
	v_add_f32_e32 v83, v84, v136
	;; [unrolled: 6-line block ×9, first 2 shown]
	v_mul_f32_e32 v83, v104, v118
	s_waitcnt vmcnt(4)
	v_fma_f32 v84, v101, v130, -v84
	v_mul_f32_e32 v146, v103, v118
	v_add_f32_e32 v81, v81, v85
	v_fmac_f32_e32 v145, v102, v130
	v_add_f32_e32 v82, v82, v144
	s_waitcnt lgkmcnt(0)
	v_mul_f32_e32 v85, v106, v119
	s_waitcnt vmcnt(3)
	v_fma_f32 v83, v103, v131, -v83
	v_add_f32_e32 v81, v81, v84
	v_mul_f32_e32 v147, v105, v119
	v_fmac_f32_e32 v146, v104, v131
	v_add_f32_e32 v82, v82, v145
	s_waitcnt vmcnt(2)
	v_fma_f32 v84, v105, v132, -v85
	v_add_f32_e32 v81, v81, v83
	v_fmac_f32_e32 v147, v106, v132
	v_add_f32_e32 v82, v82, v146
	v_add_f32_e32 v81, v81, v84
	;; [unrolled: 1-line block ×3, first 2 shown]
	s_waitcnt vmcnt(1)
	v_sub_f32_e32 v81, v133, v81
	s_waitcnt vmcnt(0)
	v_sub_f32_e32 v82, v134, v82
	buffer_store_dword v81, off, s[0:3], 0 offset:200
	buffer_store_dword v82, off, s[0:3], 0 offset:204
	v_cmpx_lt_u32_e32 24, v0
	s_cbranch_execz .LBB38_199
; %bb.198:
	s_clause 0x1
	buffer_load_dword v81, off, s[0:3], 0 offset:192
	buffer_load_dword v82, off, s[0:3], 0 offset:196
	buffer_store_dword v80, off, s[0:3], 0 offset:192
	buffer_store_dword v80, off, s[0:3], 0 offset:196
	s_waitcnt vmcnt(0)
	ds_write_b64 v79, v[81:82]
.LBB38_199:
	s_or_b32 exec_lo, exec_lo, s4
	s_waitcnt lgkmcnt(0)
	s_waitcnt_vscnt null, 0x0
	s_barrier
	buffer_gl0_inv
	s_clause 0x1d
	buffer_load_dword v109, off, s[0:3], 0 offset:204
	buffer_load_dword v110, off, s[0:3], 0 offset:212
	;; [unrolled: 1-line block ×30, first 2 shown]
	ds_read2_b64 v[81:84], v80 offset0:65 offset1:66
	ds_read2_b64 v[85:88], v80 offset0:67 offset1:68
	;; [unrolled: 1-line block ×7, first 2 shown]
	s_mov_b32 s4, exec_lo
	s_waitcnt vmcnt(29) lgkmcnt(6)
	v_mul_f32_e32 v80, v81, v109
	v_mul_f32_e32 v109, v82, v109
	s_waitcnt vmcnt(28)
	v_mul_f32_e32 v139, v83, v110
	v_mul_f32_e32 v110, v84, v110
	s_waitcnt vmcnt(27) lgkmcnt(5)
	v_mul_f32_e32 v140, v85, v111
	s_waitcnt vmcnt(26)
	v_mul_f32_e32 v141, v87, v112
	s_waitcnt vmcnt(25) lgkmcnt(4)
	v_mul_f32_e32 v142, v89, v113
	s_waitcnt vmcnt(24)
	;; [unrolled: 4-line block ×5, first 2 shown]
	v_mul_f32_e32 v149, v103, v120
	s_waitcnt vmcnt(15)
	v_fma_f32 v81, v81, v123, -v109
	v_fmac_f32_e32 v80, v82, v123
	v_mul_f32_e32 v82, v86, v111
	s_waitcnt vmcnt(14)
	v_fma_f32 v83, v83, v124, -v110
	v_fmac_f32_e32 v139, v84, v124
	v_add_f32_e32 v81, 0, v81
	v_add_f32_e32 v80, 0, v80
	v_mul_f32_e32 v84, v88, v112
	s_waitcnt vmcnt(13)
	v_fma_f32 v82, v85, v125, -v82
	v_fmac_f32_e32 v140, v86, v125
	v_add_f32_e32 v81, v81, v83
	v_add_f32_e32 v80, v80, v139
	;; [unrolled: 6-line block ×10, first 2 shown]
	s_waitcnt lgkmcnt(0)
	v_mul_f32_e32 v84, v106, v121
	s_waitcnt vmcnt(4)
	v_fma_f32 v82, v103, v134, -v82
	v_mul_f32_e32 v150, v105, v121
	v_add_f32_e32 v81, v81, v83
	v_fmac_f32_e32 v149, v104, v134
	v_add_f32_e32 v80, v80, v148
	v_mul_f32_e32 v83, v108, v122
	s_waitcnt vmcnt(3)
	v_fma_f32 v84, v105, v135, -v84
	v_add_f32_e32 v81, v81, v82
	v_mul_f32_e32 v151, v107, v122
	v_fmac_f32_e32 v150, v106, v135
	v_add_f32_e32 v80, v80, v149
	s_waitcnt vmcnt(2)
	v_fma_f32 v82, v107, v136, -v83
	v_add_f32_e32 v81, v81, v84
	v_fmac_f32_e32 v151, v108, v136
	v_add_f32_e32 v80, v80, v150
	v_add_f32_e32 v81, v81, v82
	;; [unrolled: 1-line block ×3, first 2 shown]
	s_waitcnt vmcnt(1)
	v_sub_f32_e32 v81, v137, v81
	s_waitcnt vmcnt(0)
	v_sub_f32_e32 v80, v138, v80
	buffer_store_dword v81, off, s[0:3], 0 offset:192
	buffer_store_dword v80, off, s[0:3], 0 offset:196
	v_cmpx_lt_u32_e32 23, v0
	s_cbranch_execz .LBB38_201
; %bb.200:
	s_clause 0x1
	buffer_load_dword v80, off, s[0:3], 0 offset:184
	buffer_load_dword v81, off, s[0:3], 0 offset:188
	v_mov_b32_e32 v82, 0
	buffer_store_dword v82, off, s[0:3], 0 offset:184
	buffer_store_dword v82, off, s[0:3], 0 offset:188
	s_waitcnt vmcnt(0)
	ds_write_b64 v79, v[80:81]
.LBB38_201:
	s_or_b32 exec_lo, exec_lo, s4
	s_waitcnt lgkmcnt(0)
	s_waitcnt_vscnt null, 0x0
	s_barrier
	buffer_gl0_inv
	s_clause 0x1f
	buffer_load_dword v111, off, s[0:3], 0 offset:196
	buffer_load_dword v112, off, s[0:3], 0 offset:204
	;; [unrolled: 1-line block ×32, first 2 shown]
	v_mov_b32_e32 v80, 0
	ds_read_b128 v[81:84], v80 offset:512
	ds_read_b128 v[85:88], v80 offset:528
	;; [unrolled: 1-line block ×7, first 2 shown]
	ds_read_b64 v[109:110], v80 offset:624
	s_mov_b32 s4, exec_lo
	s_waitcnt vmcnt(31) lgkmcnt(7)
	v_mul_f32_e32 v143, v81, v111
	v_mul_f32_e32 v111, v82, v111
	s_waitcnt vmcnt(30)
	v_mul_f32_e32 v144, v83, v112
	v_mul_f32_e32 v112, v84, v112
	s_waitcnt vmcnt(29) lgkmcnt(6)
	v_mul_f32_e32 v145, v85, v113
	s_waitcnt vmcnt(28)
	v_mul_f32_e32 v146, v87, v114
	s_waitcnt vmcnt(27) lgkmcnt(5)
	v_mul_f32_e32 v147, v89, v115
	s_waitcnt vmcnt(26)
	v_mul_f32_e32 v148, v91, v116
	s_waitcnt vmcnt(25) lgkmcnt(4)
	v_mul_f32_e32 v149, v93, v117
	s_waitcnt vmcnt(24)
	v_mul_f32_e32 v150, v95, v118
	s_waitcnt vmcnt(23) lgkmcnt(3)
	v_mul_f32_e32 v151, v97, v119
	s_waitcnt vmcnt(22)
	v_mul_f32_e32 v152, v99, v120
	s_waitcnt vmcnt(21) lgkmcnt(2)
	v_mul_f32_e32 v153, v101, v121
	s_waitcnt vmcnt(20)
	v_mul_f32_e32 v154, v103, v122
	s_waitcnt vmcnt(19) lgkmcnt(1)
	v_mul_f32_e32 v155, v105, v123
	s_waitcnt vmcnt(16)
	v_fma_f32 v81, v81, v126, -v111
	v_fmac_f32_e32 v143, v82, v126
	v_mul_f32_e32 v82, v86, v113
	s_waitcnt vmcnt(15)
	v_fma_f32 v83, v83, v127, -v112
	v_fmac_f32_e32 v144, v84, v127
	v_add_f32_e32 v81, 0, v81
	v_add_f32_e32 v84, 0, v143
	v_mul_f32_e32 v111, v88, v114
	s_waitcnt vmcnt(14)
	v_fma_f32 v82, v85, v128, -v82
	v_fmac_f32_e32 v145, v86, v128
	v_add_f32_e32 v81, v81, v83
	v_add_f32_e32 v83, v84, v144
	;; [unrolled: 6-line block ×11, first 2 shown]
	v_mul_f32_e32 v84, v108, v124
	s_waitcnt vmcnt(4)
	v_fma_f32 v85, v105, v138, -v85
	v_mul_f32_e32 v156, v107, v124
	v_add_f32_e32 v81, v81, v83
	v_fmac_f32_e32 v155, v106, v138
	v_add_f32_e32 v82, v82, v154
	s_waitcnt lgkmcnt(0)
	v_mul_f32_e32 v83, v110, v125
	s_waitcnt vmcnt(3)
	v_fma_f32 v84, v107, v139, -v84
	v_add_f32_e32 v81, v81, v85
	v_mul_f32_e32 v157, v109, v125
	v_fmac_f32_e32 v156, v108, v139
	v_add_f32_e32 v82, v82, v155
	s_waitcnt vmcnt(2)
	v_fma_f32 v83, v109, v140, -v83
	v_add_f32_e32 v81, v81, v84
	v_fmac_f32_e32 v157, v110, v140
	v_add_f32_e32 v82, v82, v156
	v_add_f32_e32 v81, v81, v83
	v_add_f32_e32 v82, v82, v157
	s_waitcnt vmcnt(1)
	v_sub_f32_e32 v81, v141, v81
	s_waitcnt vmcnt(0)
	v_sub_f32_e32 v82, v142, v82
	buffer_store_dword v81, off, s[0:3], 0 offset:184
	buffer_store_dword v82, off, s[0:3], 0 offset:188
	v_cmpx_lt_u32_e32 22, v0
	s_cbranch_execz .LBB38_203
; %bb.202:
	s_clause 0x1
	buffer_load_dword v81, off, s[0:3], 0 offset:176
	buffer_load_dword v82, off, s[0:3], 0 offset:180
	buffer_store_dword v80, off, s[0:3], 0 offset:176
	buffer_store_dword v80, off, s[0:3], 0 offset:180
	s_waitcnt vmcnt(0)
	ds_write_b64 v79, v[81:82]
.LBB38_203:
	s_or_b32 exec_lo, exec_lo, s4
	s_waitcnt lgkmcnt(0)
	s_waitcnt_vscnt null, 0x0
	s_barrier
	buffer_gl0_inv
	s_clause 0x21
	buffer_load_dword v113, off, s[0:3], 0 offset:188
	buffer_load_dword v114, off, s[0:3], 0 offset:196
	;; [unrolled: 1-line block ×34, first 2 shown]
	ds_read2_b64 v[81:84], v80 offset0:63 offset1:64
	ds_read2_b64 v[85:88], v80 offset0:65 offset1:66
	;; [unrolled: 1-line block ×8, first 2 shown]
	s_mov_b32 s4, exec_lo
	s_waitcnt vmcnt(33) lgkmcnt(7)
	v_mul_f32_e32 v80, v81, v113
	v_mul_f32_e32 v113, v82, v113
	s_waitcnt vmcnt(32)
	v_mul_f32_e32 v147, v83, v114
	v_mul_f32_e32 v114, v84, v114
	s_waitcnt vmcnt(31) lgkmcnt(6)
	v_mul_f32_e32 v148, v85, v115
	s_waitcnt vmcnt(30)
	v_mul_f32_e32 v149, v87, v116
	s_waitcnt vmcnt(29) lgkmcnt(5)
	v_mul_f32_e32 v150, v89, v117
	s_waitcnt vmcnt(28)
	;; [unrolled: 4-line block ×6, first 2 shown]
	v_mul_f32_e32 v159, v107, v126
	s_waitcnt vmcnt(17)
	v_fma_f32 v81, v81, v129, -v113
	v_fmac_f32_e32 v80, v82, v129
	v_mul_f32_e32 v82, v86, v115
	s_waitcnt vmcnt(16)
	v_fma_f32 v83, v83, v130, -v114
	v_fmac_f32_e32 v147, v84, v130
	v_add_f32_e32 v81, 0, v81
	v_add_f32_e32 v80, 0, v80
	v_mul_f32_e32 v84, v88, v116
	s_waitcnt vmcnt(15)
	v_fma_f32 v82, v85, v131, -v82
	v_fmac_f32_e32 v148, v86, v131
	v_add_f32_e32 v81, v81, v83
	v_add_f32_e32 v80, v80, v147
	;; [unrolled: 6-line block ×12, first 2 shown]
	s_waitcnt lgkmcnt(0)
	v_mul_f32_e32 v82, v110, v127
	s_waitcnt vmcnt(4)
	v_fma_f32 v83, v107, v142, -v83
	v_mul_f32_e32 v160, v109, v127
	v_add_f32_e32 v81, v81, v84
	v_fmac_f32_e32 v159, v108, v142
	v_add_f32_e32 v80, v80, v158
	v_mul_f32_e32 v84, v112, v128
	s_waitcnt vmcnt(3)
	v_fma_f32 v82, v109, v143, -v82
	v_add_f32_e32 v81, v81, v83
	v_mul_f32_e32 v161, v111, v128
	v_fmac_f32_e32 v160, v110, v143
	v_add_f32_e32 v80, v80, v159
	s_waitcnt vmcnt(2)
	v_fma_f32 v83, v111, v144, -v84
	v_add_f32_e32 v81, v81, v82
	v_fmac_f32_e32 v161, v112, v144
	v_add_f32_e32 v80, v80, v160
	v_add_f32_e32 v81, v81, v83
	;; [unrolled: 1-line block ×3, first 2 shown]
	s_waitcnt vmcnt(1)
	v_sub_f32_e32 v81, v145, v81
	s_waitcnt vmcnt(0)
	v_sub_f32_e32 v80, v146, v80
	buffer_store_dword v81, off, s[0:3], 0 offset:176
	buffer_store_dword v80, off, s[0:3], 0 offset:180
	v_cmpx_lt_u32_e32 21, v0
	s_cbranch_execz .LBB38_205
; %bb.204:
	s_clause 0x1
	buffer_load_dword v80, off, s[0:3], 0 offset:168
	buffer_load_dword v81, off, s[0:3], 0 offset:172
	v_mov_b32_e32 v82, 0
	buffer_store_dword v82, off, s[0:3], 0 offset:168
	buffer_store_dword v82, off, s[0:3], 0 offset:172
	s_waitcnt vmcnt(0)
	ds_write_b64 v79, v[80:81]
.LBB38_205:
	s_or_b32 exec_lo, exec_lo, s4
	s_waitcnt lgkmcnt(0)
	s_waitcnt_vscnt null, 0x0
	s_barrier
	buffer_gl0_inv
	s_clause 0x23
	buffer_load_dword v115, off, s[0:3], 0 offset:180
	buffer_load_dword v116, off, s[0:3], 0 offset:188
	;; [unrolled: 1-line block ×36, first 2 shown]
	v_mov_b32_e32 v80, 0
	ds_read_b128 v[81:84], v80 offset:496
	ds_read_b128 v[85:88], v80 offset:512
	;; [unrolled: 1-line block ×8, first 2 shown]
	ds_read_b64 v[113:114], v80 offset:624
	s_mov_b32 s4, exec_lo
	s_waitcnt vmcnt(35) lgkmcnt(8)
	v_mul_f32_e32 v151, v81, v115
	v_mul_f32_e32 v115, v82, v115
	s_waitcnt vmcnt(34)
	v_mul_f32_e32 v152, v83, v116
	v_mul_f32_e32 v116, v84, v116
	s_waitcnt vmcnt(33) lgkmcnt(7)
	v_mul_f32_e32 v153, v85, v117
	s_waitcnt vmcnt(32)
	v_mul_f32_e32 v154, v87, v118
	s_waitcnt vmcnt(31) lgkmcnt(6)
	v_mul_f32_e32 v155, v89, v119
	s_waitcnt vmcnt(30)
	v_mul_f32_e32 v156, v91, v120
	s_waitcnt vmcnt(29) lgkmcnt(5)
	v_mul_f32_e32 v157, v93, v121
	s_waitcnt vmcnt(28)
	v_mul_f32_e32 v158, v95, v122
	s_waitcnt vmcnt(27) lgkmcnt(4)
	v_mul_f32_e32 v159, v97, v123
	s_waitcnt vmcnt(26)
	v_mul_f32_e32 v160, v99, v124
	s_waitcnt vmcnt(25) lgkmcnt(3)
	v_mul_f32_e32 v161, v101, v125
	s_waitcnt vmcnt(24)
	v_mul_f32_e32 v162, v103, v126
	s_waitcnt vmcnt(23) lgkmcnt(2)
	v_mul_f32_e32 v163, v105, v127
	s_waitcnt vmcnt(22)
	v_mul_f32_e32 v164, v107, v128
	s_waitcnt vmcnt(21) lgkmcnt(1)
	v_mul_f32_e32 v165, v109, v129
	s_waitcnt vmcnt(18)
	v_fma_f32 v81, v81, v132, -v115
	v_fmac_f32_e32 v151, v82, v132
	v_mul_f32_e32 v82, v86, v117
	s_waitcnt vmcnt(17)
	v_fma_f32 v83, v83, v133, -v116
	v_fmac_f32_e32 v152, v84, v133
	v_add_f32_e32 v81, 0, v81
	v_add_f32_e32 v84, 0, v151
	v_mul_f32_e32 v115, v88, v118
	s_waitcnt vmcnt(16)
	v_fma_f32 v82, v85, v134, -v82
	v_fmac_f32_e32 v153, v86, v134
	v_add_f32_e32 v81, v81, v83
	v_add_f32_e32 v83, v84, v152
	;; [unrolled: 6-line block ×13, first 2 shown]
	v_mul_f32_e32 v85, v112, v130
	s_waitcnt vmcnt(4)
	v_fma_f32 v83, v109, v146, -v83
	v_mul_f32_e32 v166, v111, v130
	v_add_f32_e32 v81, v81, v84
	v_fmac_f32_e32 v165, v110, v146
	v_add_f32_e32 v82, v82, v164
	s_waitcnt lgkmcnt(0)
	v_mul_f32_e32 v84, v114, v131
	s_waitcnt vmcnt(3)
	v_fma_f32 v85, v111, v147, -v85
	v_add_f32_e32 v81, v81, v83
	v_mul_f32_e32 v167, v113, v131
	v_fmac_f32_e32 v166, v112, v147
	v_add_f32_e32 v82, v82, v165
	s_waitcnt vmcnt(2)
	v_fma_f32 v83, v113, v148, -v84
	v_add_f32_e32 v81, v81, v85
	v_fmac_f32_e32 v167, v114, v148
	v_add_f32_e32 v82, v82, v166
	v_add_f32_e32 v81, v81, v83
	v_add_f32_e32 v82, v82, v167
	s_waitcnt vmcnt(1)
	v_sub_f32_e32 v81, v149, v81
	s_waitcnt vmcnt(0)
	v_sub_f32_e32 v82, v150, v82
	buffer_store_dword v81, off, s[0:3], 0 offset:168
	buffer_store_dword v82, off, s[0:3], 0 offset:172
	v_cmpx_lt_u32_e32 20, v0
	s_cbranch_execz .LBB38_207
; %bb.206:
	s_clause 0x1
	buffer_load_dword v81, off, s[0:3], 0 offset:160
	buffer_load_dword v82, off, s[0:3], 0 offset:164
	buffer_store_dword v80, off, s[0:3], 0 offset:160
	buffer_store_dword v80, off, s[0:3], 0 offset:164
	s_waitcnt vmcnt(0)
	ds_write_b64 v79, v[81:82]
.LBB38_207:
	s_or_b32 exec_lo, exec_lo, s4
	s_waitcnt lgkmcnt(0)
	s_waitcnt_vscnt null, 0x0
	s_barrier
	buffer_gl0_inv
	s_clause 0x25
	buffer_load_dword v117, off, s[0:3], 0 offset:172
	buffer_load_dword v118, off, s[0:3], 0 offset:180
	;; [unrolled: 1-line block ×38, first 2 shown]
	ds_read2_b64 v[81:84], v80 offset0:61 offset1:62
	ds_read2_b64 v[85:88], v80 offset0:63 offset1:64
	;; [unrolled: 1-line block ×9, first 2 shown]
	s_mov_b32 s4, exec_lo
	s_waitcnt vmcnt(37) lgkmcnt(8)
	v_mul_f32_e32 v80, v81, v117
	v_mul_f32_e32 v117, v82, v117
	s_waitcnt vmcnt(36)
	v_mul_f32_e32 v155, v83, v118
	v_mul_f32_e32 v118, v84, v118
	s_waitcnt vmcnt(35) lgkmcnt(7)
	v_mul_f32_e32 v156, v85, v119
	s_waitcnt vmcnt(34)
	v_mul_f32_e32 v157, v87, v120
	s_waitcnt vmcnt(33) lgkmcnt(6)
	v_mul_f32_e32 v158, v89, v121
	s_waitcnt vmcnt(32)
	;; [unrolled: 4-line block ×7, first 2 shown]
	v_mul_f32_e32 v169, v111, v132
	s_waitcnt vmcnt(19)
	v_fma_f32 v81, v81, v135, -v117
	v_fmac_f32_e32 v80, v82, v135
	v_mul_f32_e32 v82, v86, v119
	s_waitcnt vmcnt(18)
	v_fma_f32 v83, v83, v136, -v118
	v_fmac_f32_e32 v155, v84, v136
	v_add_f32_e32 v81, 0, v81
	v_add_f32_e32 v80, 0, v80
	v_mul_f32_e32 v84, v88, v120
	s_waitcnt vmcnt(17)
	v_fma_f32 v82, v85, v137, -v82
	v_fmac_f32_e32 v156, v86, v137
	v_add_f32_e32 v81, v81, v83
	v_add_f32_e32 v80, v80, v155
	;; [unrolled: 6-line block ×14, first 2 shown]
	s_waitcnt lgkmcnt(0)
	v_mul_f32_e32 v83, v114, v133
	s_waitcnt vmcnt(4)
	v_fma_f32 v84, v111, v150, -v84
	v_mul_f32_e32 v170, v113, v133
	v_add_f32_e32 v81, v81, v82
	v_fmac_f32_e32 v169, v112, v150
	v_add_f32_e32 v80, v80, v168
	v_mul_f32_e32 v82, v116, v134
	s_waitcnt vmcnt(3)
	v_fma_f32 v83, v113, v151, -v83
	v_add_f32_e32 v81, v81, v84
	v_mul_f32_e32 v171, v115, v134
	v_fmac_f32_e32 v170, v114, v151
	v_add_f32_e32 v80, v80, v169
	s_waitcnt vmcnt(2)
	v_fma_f32 v82, v115, v152, -v82
	v_add_f32_e32 v81, v81, v83
	v_fmac_f32_e32 v171, v116, v152
	v_add_f32_e32 v80, v80, v170
	v_add_f32_e32 v81, v81, v82
	;; [unrolled: 1-line block ×3, first 2 shown]
	s_waitcnt vmcnt(1)
	v_sub_f32_e32 v81, v153, v81
	s_waitcnt vmcnt(0)
	v_sub_f32_e32 v80, v154, v80
	buffer_store_dword v81, off, s[0:3], 0 offset:160
	buffer_store_dword v80, off, s[0:3], 0 offset:164
	v_cmpx_lt_u32_e32 19, v0
	s_cbranch_execz .LBB38_209
; %bb.208:
	s_clause 0x1
	buffer_load_dword v80, off, s[0:3], 0 offset:152
	buffer_load_dword v81, off, s[0:3], 0 offset:156
	v_mov_b32_e32 v82, 0
	buffer_store_dword v82, off, s[0:3], 0 offset:152
	buffer_store_dword v82, off, s[0:3], 0 offset:156
	s_waitcnt vmcnt(0)
	ds_write_b64 v79, v[80:81]
.LBB38_209:
	s_or_b32 exec_lo, exec_lo, s4
	s_waitcnt lgkmcnt(0)
	s_waitcnt_vscnt null, 0x0
	s_barrier
	buffer_gl0_inv
	s_clause 0x27
	buffer_load_dword v119, off, s[0:3], 0 offset:164
	buffer_load_dword v120, off, s[0:3], 0 offset:172
	;; [unrolled: 1-line block ×40, first 2 shown]
	v_mov_b32_e32 v80, 0
	ds_read_b128 v[81:84], v80 offset:480
	ds_read_b128 v[85:88], v80 offset:496
	;; [unrolled: 1-line block ×9, first 2 shown]
	ds_read_b64 v[117:118], v80 offset:624
	s_mov_b32 s4, exec_lo
	s_waitcnt vmcnt(39) lgkmcnt(9)
	v_mul_f32_e32 v159, v81, v119
	v_mul_f32_e32 v119, v82, v119
	s_waitcnt vmcnt(38)
	v_mul_f32_e32 v160, v83, v120
	v_mul_f32_e32 v120, v84, v120
	s_waitcnt vmcnt(37) lgkmcnt(8)
	v_mul_f32_e32 v161, v85, v121
	s_waitcnt vmcnt(36)
	v_mul_f32_e32 v162, v87, v122
	s_waitcnt vmcnt(35) lgkmcnt(7)
	v_mul_f32_e32 v163, v89, v123
	s_waitcnt vmcnt(34)
	;; [unrolled: 4-line block ×8, first 2 shown]
	v_fma_f32 v81, v81, v138, -v119
	v_fmac_f32_e32 v159, v82, v138
	v_mul_f32_e32 v82, v86, v121
	s_waitcnt vmcnt(19)
	v_fma_f32 v83, v83, v139, -v120
	v_fmac_f32_e32 v160, v84, v139
	v_add_f32_e32 v81, 0, v81
	v_add_f32_e32 v84, 0, v159
	v_mul_f32_e32 v119, v88, v122
	s_waitcnt vmcnt(18)
	v_fma_f32 v82, v85, v140, -v82
	v_fmac_f32_e32 v161, v86, v140
	v_add_f32_e32 v81, v81, v83
	v_add_f32_e32 v83, v84, v160
	;; [unrolled: 6-line block ×15, first 2 shown]
	v_mul_f32_e32 v83, v116, v136
	s_waitcnt vmcnt(4)
	v_fma_f32 v84, v113, v154, -v84
	v_mul_f32_e32 v176, v115, v136
	v_add_f32_e32 v81, v81, v85
	v_fmac_f32_e32 v175, v114, v154
	v_add_f32_e32 v82, v82, v174
	s_waitcnt lgkmcnt(0)
	v_mul_f32_e32 v85, v118, v137
	s_waitcnt vmcnt(3)
	v_fma_f32 v83, v115, v155, -v83
	v_add_f32_e32 v81, v81, v84
	v_mul_f32_e32 v177, v117, v137
	v_fmac_f32_e32 v176, v116, v155
	v_add_f32_e32 v82, v82, v175
	s_waitcnt vmcnt(2)
	v_fma_f32 v84, v117, v156, -v85
	v_add_f32_e32 v81, v81, v83
	v_fmac_f32_e32 v177, v118, v156
	v_add_f32_e32 v82, v82, v176
	v_add_f32_e32 v81, v81, v84
	;; [unrolled: 1-line block ×3, first 2 shown]
	s_waitcnt vmcnt(1)
	v_sub_f32_e32 v81, v157, v81
	s_waitcnt vmcnt(0)
	v_sub_f32_e32 v82, v158, v82
	buffer_store_dword v81, off, s[0:3], 0 offset:152
	buffer_store_dword v82, off, s[0:3], 0 offset:156
	v_cmpx_lt_u32_e32 18, v0
	s_cbranch_execz .LBB38_211
; %bb.210:
	s_clause 0x1
	buffer_load_dword v81, off, s[0:3], 0 offset:144
	buffer_load_dword v82, off, s[0:3], 0 offset:148
	buffer_store_dword v80, off, s[0:3], 0 offset:144
	buffer_store_dword v80, off, s[0:3], 0 offset:148
	s_waitcnt vmcnt(0)
	ds_write_b64 v79, v[81:82]
.LBB38_211:
	s_or_b32 exec_lo, exec_lo, s4
	s_waitcnt lgkmcnt(0)
	s_waitcnt_vscnt null, 0x0
	s_barrier
	buffer_gl0_inv
	s_clause 0x29
	buffer_load_dword v121, off, s[0:3], 0 offset:156
	buffer_load_dword v122, off, s[0:3], 0 offset:164
	;; [unrolled: 1-line block ×42, first 2 shown]
	ds_read2_b64 v[81:84], v80 offset0:59 offset1:60
	ds_read2_b64 v[85:88], v80 offset0:61 offset1:62
	;; [unrolled: 1-line block ×10, first 2 shown]
	s_mov_b32 s4, exec_lo
	s_waitcnt vmcnt(41) lgkmcnt(9)
	v_mul_f32_e32 v80, v81, v121
	v_mul_f32_e32 v121, v82, v121
	s_waitcnt vmcnt(40)
	v_mul_f32_e32 v163, v83, v122
	v_mul_f32_e32 v122, v84, v122
	s_waitcnt vmcnt(39) lgkmcnt(8)
	v_mul_f32_e32 v164, v85, v123
	s_waitcnt vmcnt(38)
	v_mul_f32_e32 v165, v87, v124
	s_waitcnt vmcnt(37) lgkmcnt(7)
	v_mul_f32_e32 v166, v89, v125
	s_waitcnt vmcnt(36)
	;; [unrolled: 4-line block ×8, first 2 shown]
	v_mul_f32_e32 v179, v115, v138
	s_waitcnt vmcnt(21)
	v_fma_f32 v81, v81, v141, -v121
	v_fmac_f32_e32 v80, v82, v141
	v_mul_f32_e32 v82, v86, v123
	s_waitcnt vmcnt(20)
	v_fma_f32 v83, v83, v142, -v122
	v_fmac_f32_e32 v163, v84, v142
	v_add_f32_e32 v81, 0, v81
	v_add_f32_e32 v80, 0, v80
	v_mul_f32_e32 v84, v88, v124
	s_waitcnt vmcnt(19)
	v_fma_f32 v82, v85, v143, -v82
	v_fmac_f32_e32 v164, v86, v143
	v_add_f32_e32 v81, v81, v83
	v_add_f32_e32 v80, v80, v163
	;; [unrolled: 6-line block ×16, first 2 shown]
	s_waitcnt lgkmcnt(0)
	v_mul_f32_e32 v84, v118, v139
	s_waitcnt vmcnt(4)
	v_fma_f32 v82, v115, v158, -v82
	v_mul_f32_e32 v180, v117, v139
	v_add_f32_e32 v81, v81, v83
	v_fmac_f32_e32 v179, v116, v158
	v_add_f32_e32 v80, v80, v178
	v_mul_f32_e32 v83, v120, v140
	s_waitcnt vmcnt(3)
	v_fma_f32 v84, v117, v159, -v84
	v_add_f32_e32 v81, v81, v82
	v_mul_f32_e32 v181, v119, v140
	v_fmac_f32_e32 v180, v118, v159
	v_add_f32_e32 v80, v80, v179
	s_waitcnt vmcnt(2)
	v_fma_f32 v82, v119, v160, -v83
	v_add_f32_e32 v81, v81, v84
	v_fmac_f32_e32 v181, v120, v160
	v_add_f32_e32 v80, v80, v180
	v_add_f32_e32 v81, v81, v82
	;; [unrolled: 1-line block ×3, first 2 shown]
	s_waitcnt vmcnt(1)
	v_sub_f32_e32 v81, v161, v81
	s_waitcnt vmcnt(0)
	v_sub_f32_e32 v80, v162, v80
	buffer_store_dword v81, off, s[0:3], 0 offset:144
	buffer_store_dword v80, off, s[0:3], 0 offset:148
	v_cmpx_lt_u32_e32 17, v0
	s_cbranch_execz .LBB38_213
; %bb.212:
	s_clause 0x1
	buffer_load_dword v80, off, s[0:3], 0 offset:136
	buffer_load_dword v81, off, s[0:3], 0 offset:140
	v_mov_b32_e32 v82, 0
	buffer_store_dword v82, off, s[0:3], 0 offset:136
	buffer_store_dword v82, off, s[0:3], 0 offset:140
	s_waitcnt vmcnt(0)
	ds_write_b64 v79, v[80:81]
.LBB38_213:
	s_or_b32 exec_lo, exec_lo, s4
	s_waitcnt lgkmcnt(0)
	s_waitcnt_vscnt null, 0x0
	s_barrier
	buffer_gl0_inv
	s_clause 0x2b
	buffer_load_dword v123, off, s[0:3], 0 offset:148
	buffer_load_dword v124, off, s[0:3], 0 offset:156
	;; [unrolled: 1-line block ×44, first 2 shown]
	v_mov_b32_e32 v80, 0
	ds_read_b128 v[81:84], v80 offset:464
	ds_read_b128 v[85:88], v80 offset:480
	;; [unrolled: 1-line block ×10, first 2 shown]
	ds_read_b64 v[121:122], v80 offset:624
	s_mov_b32 s4, exec_lo
	s_waitcnt vmcnt(43) lgkmcnt(10)
	v_mul_f32_e32 v167, v81, v123
	v_mul_f32_e32 v123, v82, v123
	s_waitcnt vmcnt(42)
	v_mul_f32_e32 v168, v83, v124
	v_mul_f32_e32 v124, v84, v124
	s_waitcnt vmcnt(41) lgkmcnt(9)
	v_mul_f32_e32 v169, v85, v125
	s_waitcnt vmcnt(40)
	v_mul_f32_e32 v170, v87, v126
	s_waitcnt vmcnt(39) lgkmcnt(8)
	v_mul_f32_e32 v171, v89, v127
	s_waitcnt vmcnt(38)
	;; [unrolled: 4-line block ×9, first 2 shown]
	v_fma_f32 v81, v81, v144, -v123
	v_fmac_f32_e32 v167, v82, v144
	v_mul_f32_e32 v82, v86, v125
	s_waitcnt vmcnt(21)
	v_fma_f32 v83, v83, v145, -v124
	v_fmac_f32_e32 v168, v84, v145
	v_add_f32_e32 v81, 0, v81
	v_add_f32_e32 v84, 0, v167
	v_mul_f32_e32 v123, v88, v126
	s_waitcnt vmcnt(20)
	v_fma_f32 v82, v85, v146, -v82
	v_fmac_f32_e32 v169, v86, v146
	v_add_f32_e32 v81, v81, v83
	v_add_f32_e32 v83, v84, v168
	;; [unrolled: 6-line block ×17, first 2 shown]
	v_mul_f32_e32 v84, v120, v142
	s_waitcnt vmcnt(4)
	v_fma_f32 v85, v117, v162, -v85
	v_mul_f32_e32 v186, v119, v142
	v_add_f32_e32 v81, v81, v83
	v_fmac_f32_e32 v185, v118, v162
	v_add_f32_e32 v82, v82, v184
	s_waitcnt lgkmcnt(0)
	v_mul_f32_e32 v83, v122, v143
	s_waitcnt vmcnt(3)
	v_fma_f32 v84, v119, v163, -v84
	v_add_f32_e32 v81, v81, v85
	v_mul_f32_e32 v187, v121, v143
	v_fmac_f32_e32 v186, v120, v163
	v_add_f32_e32 v82, v82, v185
	s_waitcnt vmcnt(2)
	v_fma_f32 v83, v121, v164, -v83
	v_add_f32_e32 v81, v81, v84
	v_fmac_f32_e32 v187, v122, v164
	v_add_f32_e32 v82, v82, v186
	v_add_f32_e32 v81, v81, v83
	;; [unrolled: 1-line block ×3, first 2 shown]
	s_waitcnt vmcnt(1)
	v_sub_f32_e32 v81, v165, v81
	s_waitcnt vmcnt(0)
	v_sub_f32_e32 v82, v166, v82
	buffer_store_dword v81, off, s[0:3], 0 offset:136
	buffer_store_dword v82, off, s[0:3], 0 offset:140
	v_cmpx_lt_u32_e32 16, v0
	s_cbranch_execz .LBB38_215
; %bb.214:
	s_clause 0x1
	buffer_load_dword v81, off, s[0:3], 0 offset:128
	buffer_load_dword v82, off, s[0:3], 0 offset:132
	buffer_store_dword v80, off, s[0:3], 0 offset:128
	buffer_store_dword v80, off, s[0:3], 0 offset:132
	s_waitcnt vmcnt(0)
	ds_write_b64 v79, v[81:82]
.LBB38_215:
	s_or_b32 exec_lo, exec_lo, s4
	s_waitcnt lgkmcnt(0)
	s_waitcnt_vscnt null, 0x0
	s_barrier
	buffer_gl0_inv
	s_clause 0x2d
	buffer_load_dword v125, off, s[0:3], 0 offset:140
	buffer_load_dword v126, off, s[0:3], 0 offset:148
	;; [unrolled: 1-line block ×46, first 2 shown]
	ds_read2_b64 v[81:84], v80 offset0:57 offset1:58
	ds_read2_b64 v[85:88], v80 offset0:59 offset1:60
	;; [unrolled: 1-line block ×11, first 2 shown]
	s_mov_b32 s4, exec_lo
	s_waitcnt vmcnt(45) lgkmcnt(10)
	v_mul_f32_e32 v80, v81, v125
	v_mul_f32_e32 v125, v82, v125
	s_waitcnt vmcnt(44)
	v_mul_f32_e32 v171, v83, v126
	v_mul_f32_e32 v126, v84, v126
	s_waitcnt vmcnt(43) lgkmcnt(9)
	v_mul_f32_e32 v172, v85, v127
	s_waitcnt vmcnt(42)
	v_mul_f32_e32 v173, v87, v128
	s_waitcnt vmcnt(41) lgkmcnt(8)
	v_mul_f32_e32 v174, v89, v129
	s_waitcnt vmcnt(40)
	;; [unrolled: 4-line block ×9, first 2 shown]
	v_mul_f32_e32 v189, v119, v144
	s_waitcnt vmcnt(23)
	v_fma_f32 v81, v81, v147, -v125
	v_fmac_f32_e32 v80, v82, v147
	v_mul_f32_e32 v82, v86, v127
	s_waitcnt vmcnt(22)
	v_fma_f32 v83, v83, v148, -v126
	v_fmac_f32_e32 v171, v84, v148
	v_add_f32_e32 v81, 0, v81
	v_add_f32_e32 v80, 0, v80
	v_mul_f32_e32 v84, v88, v128
	s_waitcnt vmcnt(21)
	v_fma_f32 v82, v85, v149, -v82
	v_fmac_f32_e32 v172, v86, v149
	v_add_f32_e32 v81, v81, v83
	v_add_f32_e32 v80, v80, v171
	;; [unrolled: 6-line block ×18, first 2 shown]
	s_waitcnt lgkmcnt(0)
	v_mul_f32_e32 v82, v122, v145
	s_waitcnt vmcnt(4)
	v_fma_f32 v83, v119, v166, -v83
	v_mul_f32_e32 v190, v121, v145
	v_add_f32_e32 v81, v81, v84
	v_fmac_f32_e32 v189, v120, v166
	v_add_f32_e32 v80, v80, v188
	v_mul_f32_e32 v84, v124, v146
	s_waitcnt vmcnt(3)
	v_fma_f32 v82, v121, v167, -v82
	v_add_f32_e32 v81, v81, v83
	v_mul_f32_e32 v191, v123, v146
	v_fmac_f32_e32 v190, v122, v167
	v_add_f32_e32 v80, v80, v189
	s_waitcnt vmcnt(2)
	v_fma_f32 v83, v123, v168, -v84
	v_add_f32_e32 v81, v81, v82
	v_fmac_f32_e32 v191, v124, v168
	v_add_f32_e32 v80, v80, v190
	v_add_f32_e32 v81, v81, v83
	;; [unrolled: 1-line block ×3, first 2 shown]
	s_waitcnt vmcnt(1)
	v_sub_f32_e32 v81, v169, v81
	s_waitcnt vmcnt(0)
	v_sub_f32_e32 v80, v170, v80
	buffer_store_dword v81, off, s[0:3], 0 offset:128
	buffer_store_dword v80, off, s[0:3], 0 offset:132
	v_cmpx_lt_u32_e32 15, v0
	s_cbranch_execz .LBB38_217
; %bb.216:
	s_clause 0x1
	buffer_load_dword v80, off, s[0:3], 0 offset:120
	buffer_load_dword v81, off, s[0:3], 0 offset:124
	v_mov_b32_e32 v82, 0
	buffer_store_dword v82, off, s[0:3], 0 offset:120
	buffer_store_dword v82, off, s[0:3], 0 offset:124
	s_waitcnt vmcnt(0)
	ds_write_b64 v79, v[80:81]
.LBB38_217:
	s_or_b32 exec_lo, exec_lo, s4
	s_waitcnt lgkmcnt(0)
	s_waitcnt_vscnt null, 0x0
	s_barrier
	buffer_gl0_inv
	s_clause 0x2f
	buffer_load_dword v127, off, s[0:3], 0 offset:132
	buffer_load_dword v128, off, s[0:3], 0 offset:140
	;; [unrolled: 1-line block ×48, first 2 shown]
	v_mov_b32_e32 v80, 0
	ds_read_b128 v[81:84], v80 offset:448
	ds_read_b128 v[85:88], v80 offset:464
	;; [unrolled: 1-line block ×11, first 2 shown]
	ds_read_b64 v[125:126], v80 offset:624
	s_mov_b32 s4, exec_lo
	s_waitcnt vmcnt(47) lgkmcnt(11)
	v_mul_f32_e32 v175, v81, v127
	v_mul_f32_e32 v127, v82, v127
	s_waitcnt vmcnt(46)
	v_mul_f32_e32 v176, v83, v128
	v_mul_f32_e32 v128, v84, v128
	s_waitcnt vmcnt(45) lgkmcnt(10)
	v_mul_f32_e32 v177, v85, v129
	s_waitcnt vmcnt(44)
	v_mul_f32_e32 v178, v87, v130
	s_waitcnt vmcnt(43) lgkmcnt(9)
	v_mul_f32_e32 v179, v89, v131
	s_waitcnt vmcnt(42)
	v_mul_f32_e32 v180, v91, v132
	s_waitcnt vmcnt(41) lgkmcnt(8)
	v_mul_f32_e32 v181, v93, v133
	s_waitcnt vmcnt(40)
	v_mul_f32_e32 v182, v95, v134
	s_waitcnt vmcnt(39) lgkmcnt(7)
	v_mul_f32_e32 v183, v97, v135
	s_waitcnt vmcnt(38)
	v_mul_f32_e32 v184, v99, v136
	s_waitcnt vmcnt(37) lgkmcnt(6)
	v_mul_f32_e32 v185, v101, v137
	s_waitcnt vmcnt(36)
	v_mul_f32_e32 v186, v103, v138
	s_waitcnt vmcnt(35) lgkmcnt(5)
	v_mul_f32_e32 v187, v105, v139
	s_waitcnt vmcnt(34)
	v_mul_f32_e32 v188, v107, v140
	s_waitcnt vmcnt(33) lgkmcnt(4)
	v_mul_f32_e32 v189, v109, v141
	s_waitcnt vmcnt(32)
	v_mul_f32_e32 v190, v111, v142
	s_waitcnt vmcnt(31) lgkmcnt(3)
	v_mul_f32_e32 v191, v113, v143
	s_waitcnt vmcnt(30)
	v_mul_f32_e32 v192, v115, v144
	s_waitcnt vmcnt(29) lgkmcnt(2)
	v_mul_f32_e32 v193, v117, v145
	s_waitcnt vmcnt(28)
	v_mul_f32_e32 v194, v119, v146
	s_waitcnt vmcnt(27) lgkmcnt(1)
	v_mul_f32_e32 v195, v121, v147
	s_waitcnt vmcnt(24)
	v_fma_f32 v81, v81, v150, -v127
	v_fmac_f32_e32 v175, v82, v150
	v_mul_f32_e32 v82, v86, v129
	s_waitcnt vmcnt(23)
	v_fma_f32 v83, v83, v151, -v128
	v_fmac_f32_e32 v176, v84, v151
	v_add_f32_e32 v81, 0, v81
	v_add_f32_e32 v84, 0, v175
	v_mul_f32_e32 v127, v88, v130
	s_waitcnt vmcnt(22)
	v_fma_f32 v82, v85, v152, -v82
	v_fmac_f32_e32 v177, v86, v152
	v_add_f32_e32 v81, v81, v83
	v_add_f32_e32 v83, v84, v176
	v_mul_f32_e32 v84, v90, v131
	s_waitcnt vmcnt(21)
	v_fma_f32 v85, v87, v153, -v127
	v_fmac_f32_e32 v178, v88, v153
	v_add_f32_e32 v81, v81, v82
	v_add_f32_e32 v82, v83, v177
	v_mul_f32_e32 v83, v92, v132
	s_waitcnt vmcnt(20)
	v_fma_f32 v84, v89, v154, -v84
	v_fmac_f32_e32 v179, v90, v154
	v_add_f32_e32 v81, v81, v85
	v_add_f32_e32 v82, v82, v178
	v_mul_f32_e32 v85, v94, v133
	s_waitcnt vmcnt(19)
	v_fma_f32 v83, v91, v155, -v83
	v_fmac_f32_e32 v180, v92, v155
	v_add_f32_e32 v81, v81, v84
	v_add_f32_e32 v82, v82, v179
	v_mul_f32_e32 v84, v96, v134
	s_waitcnt vmcnt(18)
	v_fma_f32 v85, v93, v156, -v85
	v_fmac_f32_e32 v181, v94, v156
	v_add_f32_e32 v81, v81, v83
	v_add_f32_e32 v82, v82, v180
	v_mul_f32_e32 v83, v98, v135
	s_waitcnt vmcnt(17)
	v_fma_f32 v84, v95, v157, -v84
	v_fmac_f32_e32 v182, v96, v157
	v_add_f32_e32 v81, v81, v85
	v_add_f32_e32 v82, v82, v181
	v_mul_f32_e32 v85, v100, v136
	s_waitcnt vmcnt(16)
	v_fma_f32 v83, v97, v158, -v83
	v_fmac_f32_e32 v183, v98, v158
	v_add_f32_e32 v81, v81, v84
	v_add_f32_e32 v82, v82, v182
	v_mul_f32_e32 v84, v102, v137
	s_waitcnt vmcnt(15)
	v_fma_f32 v85, v99, v159, -v85
	v_fmac_f32_e32 v184, v100, v159
	v_add_f32_e32 v81, v81, v83
	v_add_f32_e32 v82, v82, v183
	v_mul_f32_e32 v83, v104, v138
	s_waitcnt vmcnt(14)
	v_fma_f32 v84, v101, v160, -v84
	v_fmac_f32_e32 v185, v102, v160
	v_add_f32_e32 v81, v81, v85
	v_add_f32_e32 v82, v82, v184
	v_mul_f32_e32 v85, v106, v139
	s_waitcnt vmcnt(13)
	v_fma_f32 v83, v103, v161, -v83
	v_fmac_f32_e32 v186, v104, v161
	v_add_f32_e32 v81, v81, v84
	v_add_f32_e32 v82, v82, v185
	v_mul_f32_e32 v84, v108, v140
	s_waitcnt vmcnt(12)
	v_fma_f32 v85, v105, v162, -v85
	v_fmac_f32_e32 v187, v106, v162
	v_add_f32_e32 v81, v81, v83
	v_add_f32_e32 v82, v82, v186
	v_mul_f32_e32 v83, v110, v141
	s_waitcnt vmcnt(11)
	v_fma_f32 v84, v107, v163, -v84
	v_fmac_f32_e32 v188, v108, v163
	v_add_f32_e32 v81, v81, v85
	v_add_f32_e32 v82, v82, v187
	v_mul_f32_e32 v85, v112, v142
	s_waitcnt vmcnt(10)
	v_fma_f32 v83, v109, v164, -v83
	v_fmac_f32_e32 v189, v110, v164
	v_add_f32_e32 v81, v81, v84
	v_add_f32_e32 v82, v82, v188
	v_mul_f32_e32 v84, v114, v143
	s_waitcnt vmcnt(9)
	v_fma_f32 v85, v111, v165, -v85
	v_fmac_f32_e32 v190, v112, v165
	v_add_f32_e32 v81, v81, v83
	v_add_f32_e32 v82, v82, v189
	v_mul_f32_e32 v83, v116, v144
	s_waitcnt vmcnt(8)
	v_fma_f32 v84, v113, v166, -v84
	v_fmac_f32_e32 v191, v114, v166
	v_add_f32_e32 v81, v81, v85
	v_add_f32_e32 v82, v82, v190
	v_mul_f32_e32 v85, v118, v145
	s_waitcnt vmcnt(7)
	v_fma_f32 v83, v115, v167, -v83
	v_fmac_f32_e32 v192, v116, v167
	v_add_f32_e32 v81, v81, v84
	v_add_f32_e32 v82, v82, v191
	v_mul_f32_e32 v84, v120, v146
	s_waitcnt vmcnt(6)
	v_fma_f32 v85, v117, v168, -v85
	v_fmac_f32_e32 v193, v118, v168
	v_add_f32_e32 v81, v81, v83
	v_add_f32_e32 v82, v82, v192
	v_mul_f32_e32 v83, v122, v147
	s_waitcnt vmcnt(5)
	v_fma_f32 v84, v119, v169, -v84
	v_fmac_f32_e32 v194, v120, v169
	v_add_f32_e32 v81, v81, v85
	v_add_f32_e32 v82, v82, v193
	v_mul_f32_e32 v85, v124, v148
	s_waitcnt vmcnt(4)
	v_fma_f32 v83, v121, v170, -v83
	v_mul_f32_e32 v196, v123, v148
	v_add_f32_e32 v81, v81, v84
	v_fmac_f32_e32 v195, v122, v170
	v_add_f32_e32 v82, v82, v194
	s_waitcnt lgkmcnt(0)
	v_mul_f32_e32 v84, v126, v149
	s_waitcnt vmcnt(3)
	v_fma_f32 v85, v123, v171, -v85
	v_add_f32_e32 v81, v81, v83
	v_mul_f32_e32 v197, v125, v149
	v_fmac_f32_e32 v196, v124, v171
	v_add_f32_e32 v82, v82, v195
	s_waitcnt vmcnt(2)
	v_fma_f32 v83, v125, v172, -v84
	v_add_f32_e32 v81, v81, v85
	v_fmac_f32_e32 v197, v126, v172
	v_add_f32_e32 v82, v82, v196
	v_add_f32_e32 v81, v81, v83
	v_add_f32_e32 v82, v82, v197
	s_waitcnt vmcnt(1)
	v_sub_f32_e32 v81, v173, v81
	s_waitcnt vmcnt(0)
	v_sub_f32_e32 v82, v174, v82
	buffer_store_dword v81, off, s[0:3], 0 offset:120
	buffer_store_dword v82, off, s[0:3], 0 offset:124
	v_cmpx_lt_u32_e32 14, v0
	s_cbranch_execz .LBB38_219
; %bb.218:
	s_clause 0x1
	buffer_load_dword v81, off, s[0:3], 0 offset:112
	buffer_load_dword v82, off, s[0:3], 0 offset:116
	buffer_store_dword v80, off, s[0:3], 0 offset:112
	buffer_store_dword v80, off, s[0:3], 0 offset:116
	s_waitcnt vmcnt(0)
	ds_write_b64 v79, v[81:82]
.LBB38_219:
	s_or_b32 exec_lo, exec_lo, s4
	s_waitcnt lgkmcnt(0)
	s_waitcnt_vscnt null, 0x0
	s_barrier
	buffer_gl0_inv
	s_clause 0x31
	buffer_load_dword v129, off, s[0:3], 0 offset:124
	buffer_load_dword v130, off, s[0:3], 0 offset:132
	;; [unrolled: 1-line block ×50, first 2 shown]
	ds_read2_b64 v[81:84], v80 offset0:55 offset1:56
	ds_read2_b64 v[85:88], v80 offset0:57 offset1:58
	;; [unrolled: 1-line block ×12, first 2 shown]
	s_mov_b32 s4, exec_lo
	s_waitcnt vmcnt(49) lgkmcnt(11)
	v_mul_f32_e32 v80, v81, v129
	v_mul_f32_e32 v129, v82, v129
	s_waitcnt vmcnt(48)
	v_mul_f32_e32 v179, v83, v130
	v_mul_f32_e32 v130, v84, v130
	s_waitcnt vmcnt(47) lgkmcnt(10)
	v_mul_f32_e32 v180, v85, v131
	s_waitcnt vmcnt(46)
	v_mul_f32_e32 v181, v87, v132
	s_waitcnt vmcnt(45) lgkmcnt(9)
	v_mul_f32_e32 v182, v89, v133
	s_waitcnt vmcnt(44)
	;; [unrolled: 4-line block ×10, first 2 shown]
	v_mul_f32_e32 v199, v123, v150
	s_waitcnt vmcnt(25)
	v_fma_f32 v81, v81, v153, -v129
	v_fmac_f32_e32 v80, v82, v153
	v_mul_f32_e32 v82, v86, v131
	s_waitcnt vmcnt(24)
	v_fma_f32 v83, v83, v154, -v130
	v_fmac_f32_e32 v179, v84, v154
	v_add_f32_e32 v81, 0, v81
	v_add_f32_e32 v80, 0, v80
	v_mul_f32_e32 v84, v88, v132
	s_waitcnt vmcnt(23)
	v_fma_f32 v82, v85, v155, -v82
	v_fmac_f32_e32 v180, v86, v155
	v_add_f32_e32 v81, v81, v83
	v_add_f32_e32 v80, v80, v179
	;; [unrolled: 6-line block ×20, first 2 shown]
	s_waitcnt lgkmcnt(0)
	v_mul_f32_e32 v83, v126, v151
	s_waitcnt vmcnt(4)
	v_fma_f32 v84, v123, v174, -v84
	v_mul_f32_e32 v200, v125, v151
	v_add_f32_e32 v81, v81, v82
	v_fmac_f32_e32 v199, v124, v174
	v_add_f32_e32 v80, v80, v198
	v_mul_f32_e32 v82, v128, v152
	s_waitcnt vmcnt(3)
	v_fma_f32 v83, v125, v175, -v83
	v_add_f32_e32 v81, v81, v84
	v_mul_f32_e32 v201, v127, v152
	v_fmac_f32_e32 v200, v126, v175
	v_add_f32_e32 v80, v80, v199
	s_waitcnt vmcnt(2)
	v_fma_f32 v82, v127, v176, -v82
	v_add_f32_e32 v81, v81, v83
	v_fmac_f32_e32 v201, v128, v176
	v_add_f32_e32 v80, v80, v200
	v_add_f32_e32 v81, v81, v82
	;; [unrolled: 1-line block ×3, first 2 shown]
	s_waitcnt vmcnt(1)
	v_sub_f32_e32 v81, v177, v81
	s_waitcnt vmcnt(0)
	v_sub_f32_e32 v80, v178, v80
	buffer_store_dword v81, off, s[0:3], 0 offset:112
	buffer_store_dword v80, off, s[0:3], 0 offset:116
	v_cmpx_lt_u32_e32 13, v0
	s_cbranch_execz .LBB38_221
; %bb.220:
	s_clause 0x1
	buffer_load_dword v80, off, s[0:3], 0 offset:104
	buffer_load_dword v81, off, s[0:3], 0 offset:108
	v_mov_b32_e32 v82, 0
	buffer_store_dword v82, off, s[0:3], 0 offset:104
	buffer_store_dword v82, off, s[0:3], 0 offset:108
	s_waitcnt vmcnt(0)
	ds_write_b64 v79, v[80:81]
.LBB38_221:
	s_or_b32 exec_lo, exec_lo, s4
	s_waitcnt lgkmcnt(0)
	s_waitcnt_vscnt null, 0x0
	s_barrier
	buffer_gl0_inv
	s_clause 0x33
	buffer_load_dword v131, off, s[0:3], 0 offset:116
	buffer_load_dword v132, off, s[0:3], 0 offset:124
	;; [unrolled: 1-line block ×52, first 2 shown]
	v_mov_b32_e32 v80, 0
	ds_read_b128 v[81:84], v80 offset:432
	ds_read_b128 v[85:88], v80 offset:448
	;; [unrolled: 1-line block ×12, first 2 shown]
	ds_read_b64 v[129:130], v80 offset:624
	s_mov_b32 s4, exec_lo
	s_waitcnt vmcnt(51) lgkmcnt(12)
	v_mul_f32_e32 v183, v81, v131
	v_mul_f32_e32 v131, v82, v131
	s_waitcnt vmcnt(50)
	v_mul_f32_e32 v184, v83, v132
	v_mul_f32_e32 v132, v84, v132
	s_waitcnt vmcnt(49) lgkmcnt(11)
	v_mul_f32_e32 v185, v85, v133
	s_waitcnt vmcnt(48)
	v_mul_f32_e32 v186, v87, v134
	s_waitcnt vmcnt(47) lgkmcnt(10)
	v_mul_f32_e32 v187, v89, v135
	s_waitcnt vmcnt(46)
	;; [unrolled: 4-line block ×11, first 2 shown]
	v_fma_f32 v81, v81, v156, -v131
	v_fmac_f32_e32 v183, v82, v156
	v_mul_f32_e32 v82, v86, v133
	s_waitcnt vmcnt(25)
	v_fma_f32 v83, v83, v157, -v132
	v_fmac_f32_e32 v184, v84, v157
	v_add_f32_e32 v81, 0, v81
	v_add_f32_e32 v84, 0, v183
	v_mul_f32_e32 v131, v88, v134
	s_waitcnt vmcnt(24)
	v_fma_f32 v82, v85, v158, -v82
	v_fmac_f32_e32 v185, v86, v158
	v_add_f32_e32 v81, v81, v83
	v_add_f32_e32 v83, v84, v184
	;; [unrolled: 6-line block ×21, first 2 shown]
	v_mul_f32_e32 v83, v128, v154
	s_waitcnt vmcnt(4)
	v_fma_f32 v84, v125, v178, -v84
	v_mul_f32_e32 v206, v127, v154
	v_add_f32_e32 v81, v81, v85
	v_fmac_f32_e32 v205, v126, v178
	v_add_f32_e32 v82, v82, v204
	s_waitcnt lgkmcnt(0)
	v_mul_f32_e32 v85, v130, v155
	s_waitcnt vmcnt(3)
	v_fma_f32 v83, v127, v179, -v83
	v_add_f32_e32 v81, v81, v84
	v_mul_f32_e32 v207, v129, v155
	v_fmac_f32_e32 v206, v128, v179
	v_add_f32_e32 v82, v82, v205
	s_waitcnt vmcnt(2)
	v_fma_f32 v84, v129, v180, -v85
	v_add_f32_e32 v81, v81, v83
	v_fmac_f32_e32 v207, v130, v180
	v_add_f32_e32 v82, v82, v206
	v_add_f32_e32 v81, v81, v84
	;; [unrolled: 1-line block ×3, first 2 shown]
	s_waitcnt vmcnt(1)
	v_sub_f32_e32 v81, v181, v81
	s_waitcnt vmcnt(0)
	v_sub_f32_e32 v82, v182, v82
	buffer_store_dword v81, off, s[0:3], 0 offset:104
	buffer_store_dword v82, off, s[0:3], 0 offset:108
	v_cmpx_lt_u32_e32 12, v0
	s_cbranch_execz .LBB38_223
; %bb.222:
	s_clause 0x1
	buffer_load_dword v81, off, s[0:3], 0 offset:96
	buffer_load_dword v82, off, s[0:3], 0 offset:100
	buffer_store_dword v80, off, s[0:3], 0 offset:96
	buffer_store_dword v80, off, s[0:3], 0 offset:100
	s_waitcnt vmcnt(0)
	ds_write_b64 v79, v[81:82]
.LBB38_223:
	s_or_b32 exec_lo, exec_lo, s4
	s_waitcnt lgkmcnt(0)
	s_waitcnt_vscnt null, 0x0
	s_barrier
	buffer_gl0_inv
	s_clause 0x35
	buffer_load_dword v133, off, s[0:3], 0 offset:108
	buffer_load_dword v134, off, s[0:3], 0 offset:116
	;; [unrolled: 1-line block ×54, first 2 shown]
	ds_read2_b64 v[81:84], v80 offset0:53 offset1:54
	ds_read2_b64 v[85:88], v80 offset0:55 offset1:56
	;; [unrolled: 1-line block ×13, first 2 shown]
	s_mov_b32 s4, exec_lo
	s_waitcnt vmcnt(53) lgkmcnt(12)
	v_mul_f32_e32 v80, v81, v133
	v_mul_f32_e32 v133, v82, v133
	s_waitcnt vmcnt(52)
	v_mul_f32_e32 v187, v83, v134
	v_mul_f32_e32 v134, v84, v134
	s_waitcnt vmcnt(51) lgkmcnt(11)
	v_mul_f32_e32 v188, v85, v135
	s_waitcnt vmcnt(50)
	v_mul_f32_e32 v189, v87, v136
	s_waitcnt vmcnt(49) lgkmcnt(10)
	v_mul_f32_e32 v190, v89, v137
	s_waitcnt vmcnt(48)
	;; [unrolled: 4-line block ×11, first 2 shown]
	v_mul_f32_e32 v209, v127, v156
	s_waitcnt vmcnt(27)
	v_fma_f32 v81, v81, v159, -v133
	v_fmac_f32_e32 v80, v82, v159
	v_mul_f32_e32 v82, v86, v135
	s_waitcnt vmcnt(26)
	v_fma_f32 v83, v83, v160, -v134
	v_fmac_f32_e32 v187, v84, v160
	v_add_f32_e32 v81, 0, v81
	v_add_f32_e32 v80, 0, v80
	v_mul_f32_e32 v84, v88, v136
	s_waitcnt vmcnt(25)
	v_fma_f32 v82, v85, v161, -v82
	v_fmac_f32_e32 v188, v86, v161
	v_add_f32_e32 v81, v81, v83
	v_add_f32_e32 v80, v80, v187
	v_mul_f32_e32 v83, v90, v137
	s_waitcnt vmcnt(24)
	v_fma_f32 v84, v87, v162, -v84
	v_fmac_f32_e32 v189, v88, v162
	v_add_f32_e32 v81, v81, v82
	v_add_f32_e32 v80, v80, v188
	v_mul_f32_e32 v82, v92, v138
	s_waitcnt vmcnt(23)
	v_fma_f32 v83, v89, v163, -v83
	v_fmac_f32_e32 v190, v90, v163
	v_add_f32_e32 v81, v81, v84
	v_add_f32_e32 v80, v80, v189
	v_mul_f32_e32 v84, v94, v139
	s_waitcnt vmcnt(22)
	v_fma_f32 v82, v91, v164, -v82
	v_fmac_f32_e32 v191, v92, v164
	v_add_f32_e32 v81, v81, v83
	v_add_f32_e32 v80, v80, v190
	v_mul_f32_e32 v83, v96, v140
	s_waitcnt vmcnt(21)
	v_fma_f32 v84, v93, v165, -v84
	v_fmac_f32_e32 v192, v94, v165
	v_add_f32_e32 v81, v81, v82
	v_add_f32_e32 v80, v80, v191
	v_mul_f32_e32 v82, v98, v141
	s_waitcnt vmcnt(20)
	v_fma_f32 v83, v95, v166, -v83
	v_fmac_f32_e32 v193, v96, v166
	v_add_f32_e32 v81, v81, v84
	v_add_f32_e32 v80, v80, v192
	v_mul_f32_e32 v84, v100, v142
	s_waitcnt vmcnt(19)
	v_fma_f32 v82, v97, v167, -v82
	v_fmac_f32_e32 v194, v98, v167
	v_add_f32_e32 v81, v81, v83
	v_add_f32_e32 v80, v80, v193
	v_mul_f32_e32 v83, v102, v143
	s_waitcnt vmcnt(18)
	v_fma_f32 v84, v99, v168, -v84
	v_fmac_f32_e32 v195, v100, v168
	v_add_f32_e32 v81, v81, v82
	v_add_f32_e32 v80, v80, v194
	v_mul_f32_e32 v82, v104, v144
	s_waitcnt vmcnt(17)
	v_fma_f32 v83, v101, v169, -v83
	v_fmac_f32_e32 v196, v102, v169
	v_add_f32_e32 v81, v81, v84
	v_add_f32_e32 v80, v80, v195
	v_mul_f32_e32 v84, v106, v145
	s_waitcnt vmcnt(16)
	v_fma_f32 v82, v103, v170, -v82
	v_fmac_f32_e32 v197, v104, v170
	v_add_f32_e32 v81, v81, v83
	v_add_f32_e32 v80, v80, v196
	v_mul_f32_e32 v83, v108, v146
	s_waitcnt vmcnt(15)
	v_fma_f32 v84, v105, v171, -v84
	v_fmac_f32_e32 v198, v106, v171
	v_add_f32_e32 v81, v81, v82
	v_add_f32_e32 v80, v80, v197
	v_mul_f32_e32 v82, v110, v147
	s_waitcnt vmcnt(14)
	v_fma_f32 v83, v107, v172, -v83
	v_fmac_f32_e32 v199, v108, v172
	v_add_f32_e32 v81, v81, v84
	v_add_f32_e32 v80, v80, v198
	v_mul_f32_e32 v84, v112, v148
	s_waitcnt vmcnt(13)
	v_fma_f32 v82, v109, v173, -v82
	v_fmac_f32_e32 v200, v110, v173
	v_add_f32_e32 v81, v81, v83
	v_add_f32_e32 v80, v80, v199
	v_mul_f32_e32 v83, v114, v149
	s_waitcnt vmcnt(12)
	v_fma_f32 v84, v111, v174, -v84
	v_fmac_f32_e32 v201, v112, v174
	v_add_f32_e32 v81, v81, v82
	v_add_f32_e32 v80, v80, v200
	v_mul_f32_e32 v82, v116, v150
	s_waitcnt vmcnt(11)
	v_fma_f32 v83, v113, v175, -v83
	v_fmac_f32_e32 v202, v114, v175
	v_add_f32_e32 v81, v81, v84
	v_add_f32_e32 v80, v80, v201
	v_mul_f32_e32 v84, v118, v151
	s_waitcnt vmcnt(10)
	v_fma_f32 v82, v115, v176, -v82
	v_fmac_f32_e32 v203, v116, v176
	v_add_f32_e32 v81, v81, v83
	v_add_f32_e32 v80, v80, v202
	v_mul_f32_e32 v83, v120, v152
	s_waitcnt vmcnt(9)
	v_fma_f32 v84, v117, v177, -v84
	v_fmac_f32_e32 v204, v118, v177
	v_add_f32_e32 v81, v81, v82
	v_add_f32_e32 v80, v80, v203
	v_mul_f32_e32 v82, v122, v153
	s_waitcnt vmcnt(8)
	v_fma_f32 v83, v119, v178, -v83
	v_fmac_f32_e32 v205, v120, v178
	v_add_f32_e32 v81, v81, v84
	v_add_f32_e32 v80, v80, v204
	v_mul_f32_e32 v84, v124, v154
	s_waitcnt vmcnt(7)
	v_fma_f32 v82, v121, v179, -v82
	v_fmac_f32_e32 v206, v122, v179
	v_add_f32_e32 v81, v81, v83
	v_add_f32_e32 v80, v80, v205
	v_mul_f32_e32 v83, v126, v155
	s_waitcnt vmcnt(6)
	v_fma_f32 v84, v123, v180, -v84
	v_fmac_f32_e32 v207, v124, v180
	v_add_f32_e32 v81, v81, v82
	v_add_f32_e32 v80, v80, v206
	v_mul_f32_e32 v82, v128, v156
	s_waitcnt vmcnt(5)
	v_fma_f32 v83, v125, v181, -v83
	v_fmac_f32_e32 v208, v126, v181
	v_add_f32_e32 v81, v81, v84
	v_add_f32_e32 v80, v80, v207
	s_waitcnt lgkmcnt(0)
	v_mul_f32_e32 v84, v130, v157
	s_waitcnt vmcnt(4)
	v_fma_f32 v82, v127, v182, -v82
	v_mul_f32_e32 v210, v129, v157
	v_add_f32_e32 v81, v81, v83
	v_fmac_f32_e32 v209, v128, v182
	v_add_f32_e32 v80, v80, v208
	v_mul_f32_e32 v83, v132, v158
	s_waitcnt vmcnt(3)
	v_fma_f32 v84, v129, v183, -v84
	v_add_f32_e32 v81, v81, v82
	v_mul_f32_e32 v211, v131, v158
	v_fmac_f32_e32 v210, v130, v183
	v_add_f32_e32 v80, v80, v209
	s_waitcnt vmcnt(2)
	v_fma_f32 v82, v131, v184, -v83
	v_add_f32_e32 v81, v81, v84
	v_fmac_f32_e32 v211, v132, v184
	v_add_f32_e32 v80, v80, v210
	v_add_f32_e32 v81, v81, v82
	;; [unrolled: 1-line block ×3, first 2 shown]
	s_waitcnt vmcnt(1)
	v_sub_f32_e32 v81, v185, v81
	s_waitcnt vmcnt(0)
	v_sub_f32_e32 v80, v186, v80
	buffer_store_dword v81, off, s[0:3], 0 offset:96
	buffer_store_dword v80, off, s[0:3], 0 offset:100
	v_cmpx_lt_u32_e32 11, v0
	s_cbranch_execz .LBB38_225
; %bb.224:
	s_clause 0x1
	buffer_load_dword v80, off, s[0:3], 0 offset:88
	buffer_load_dword v81, off, s[0:3], 0 offset:92
	v_mov_b32_e32 v82, 0
	buffer_store_dword v82, off, s[0:3], 0 offset:88
	buffer_store_dword v82, off, s[0:3], 0 offset:92
	s_waitcnt vmcnt(0)
	ds_write_b64 v79, v[80:81]
.LBB38_225:
	s_or_b32 exec_lo, exec_lo, s4
	s_waitcnt lgkmcnt(0)
	s_waitcnt_vscnt null, 0x0
	s_barrier
	buffer_gl0_inv
	s_clause 0x37
	buffer_load_dword v135, off, s[0:3], 0 offset:100
	buffer_load_dword v136, off, s[0:3], 0 offset:108
	;; [unrolled: 1-line block ×56, first 2 shown]
	v_mov_b32_e32 v80, 0
	ds_read_b128 v[81:84], v80 offset:416
	ds_read_b128 v[85:88], v80 offset:432
	;; [unrolled: 1-line block ×13, first 2 shown]
	ds_read_b64 v[133:134], v80 offset:624
	s_mov_b32 s4, exec_lo
	s_waitcnt vmcnt(55) lgkmcnt(13)
	v_mul_f32_e32 v191, v81, v135
	v_mul_f32_e32 v135, v82, v135
	s_waitcnt vmcnt(54)
	v_mul_f32_e32 v192, v83, v136
	v_mul_f32_e32 v136, v84, v136
	s_waitcnt vmcnt(53) lgkmcnt(12)
	v_mul_f32_e32 v193, v85, v137
	s_waitcnt vmcnt(52)
	v_mul_f32_e32 v194, v87, v138
	s_waitcnt vmcnt(51) lgkmcnt(11)
	v_mul_f32_e32 v195, v89, v139
	s_waitcnt vmcnt(50)
	;; [unrolled: 4-line block ×12, first 2 shown]
	v_fma_f32 v81, v81, v162, -v135
	v_fmac_f32_e32 v191, v82, v162
	v_mul_f32_e32 v82, v86, v137
	s_waitcnt vmcnt(27)
	v_fma_f32 v83, v83, v163, -v136
	v_fmac_f32_e32 v192, v84, v163
	v_add_f32_e32 v81, 0, v81
	v_add_f32_e32 v84, 0, v191
	v_mul_f32_e32 v135, v88, v138
	s_waitcnt vmcnt(26)
	v_fma_f32 v82, v85, v164, -v82
	v_fmac_f32_e32 v193, v86, v164
	v_add_f32_e32 v81, v81, v83
	v_add_f32_e32 v83, v84, v192
	;; [unrolled: 6-line block ×23, first 2 shown]
	v_mul_f32_e32 v84, v132, v160
	s_waitcnt vmcnt(4)
	v_fma_f32 v85, v129, v186, -v85
	v_mul_f32_e32 v216, v131, v160
	v_add_f32_e32 v81, v81, v83
	v_fmac_f32_e32 v215, v130, v186
	v_add_f32_e32 v82, v82, v214
	s_waitcnt lgkmcnt(0)
	v_mul_f32_e32 v83, v134, v161
	s_waitcnt vmcnt(3)
	v_fma_f32 v84, v131, v187, -v84
	v_add_f32_e32 v81, v81, v85
	v_mul_f32_e32 v217, v133, v161
	v_fmac_f32_e32 v216, v132, v187
	v_add_f32_e32 v82, v82, v215
	s_waitcnt vmcnt(2)
	v_fma_f32 v83, v133, v188, -v83
	v_add_f32_e32 v81, v81, v84
	v_fmac_f32_e32 v217, v134, v188
	v_add_f32_e32 v82, v82, v216
	v_add_f32_e32 v81, v81, v83
	;; [unrolled: 1-line block ×3, first 2 shown]
	s_waitcnt vmcnt(1)
	v_sub_f32_e32 v81, v189, v81
	s_waitcnt vmcnt(0)
	v_sub_f32_e32 v82, v190, v82
	buffer_store_dword v81, off, s[0:3], 0 offset:88
	buffer_store_dword v82, off, s[0:3], 0 offset:92
	v_cmpx_lt_u32_e32 10, v0
	s_cbranch_execz .LBB38_227
; %bb.226:
	s_clause 0x1
	buffer_load_dword v81, off, s[0:3], 0 offset:80
	buffer_load_dword v82, off, s[0:3], 0 offset:84
	buffer_store_dword v80, off, s[0:3], 0 offset:80
	buffer_store_dword v80, off, s[0:3], 0 offset:84
	s_waitcnt vmcnt(0)
	ds_write_b64 v79, v[81:82]
.LBB38_227:
	s_or_b32 exec_lo, exec_lo, s4
	s_waitcnt lgkmcnt(0)
	s_waitcnt_vscnt null, 0x0
	s_barrier
	buffer_gl0_inv
	s_clause 0x39
	buffer_load_dword v137, off, s[0:3], 0 offset:92
	buffer_load_dword v138, off, s[0:3], 0 offset:100
	;; [unrolled: 1-line block ×58, first 2 shown]
	ds_read2_b64 v[81:84], v80 offset0:51 offset1:52
	ds_read2_b64 v[85:88], v80 offset0:53 offset1:54
	;; [unrolled: 1-line block ×14, first 2 shown]
	s_mov_b32 s4, exec_lo
	s_waitcnt vmcnt(57) lgkmcnt(13)
	v_mul_f32_e32 v80, v81, v137
	v_mul_f32_e32 v137, v82, v137
	s_waitcnt vmcnt(56)
	v_mul_f32_e32 v195, v83, v138
	v_mul_f32_e32 v138, v84, v138
	s_waitcnt vmcnt(55) lgkmcnt(12)
	v_mul_f32_e32 v196, v85, v139
	s_waitcnt vmcnt(54)
	v_mul_f32_e32 v197, v87, v140
	s_waitcnt vmcnt(53) lgkmcnt(11)
	v_mul_f32_e32 v198, v89, v141
	s_waitcnt vmcnt(52)
	;; [unrolled: 4-line block ×12, first 2 shown]
	v_mul_f32_e32 v219, v131, v162
	s_waitcnt vmcnt(29)
	v_fma_f32 v81, v81, v165, -v137
	v_fmac_f32_e32 v80, v82, v165
	v_mul_f32_e32 v82, v86, v139
	s_waitcnt vmcnt(28)
	v_fma_f32 v83, v83, v166, -v138
	v_fmac_f32_e32 v195, v84, v166
	v_add_f32_e32 v81, 0, v81
	v_add_f32_e32 v80, 0, v80
	v_mul_f32_e32 v84, v88, v140
	s_waitcnt vmcnt(27)
	v_fma_f32 v82, v85, v167, -v82
	v_fmac_f32_e32 v196, v86, v167
	v_add_f32_e32 v81, v81, v83
	v_add_f32_e32 v80, v80, v195
	;; [unrolled: 6-line block ×24, first 2 shown]
	s_waitcnt lgkmcnt(0)
	v_mul_f32_e32 v82, v134, v163
	s_waitcnt vmcnt(4)
	v_fma_f32 v83, v131, v190, -v83
	v_mul_f32_e32 v220, v133, v163
	v_add_f32_e32 v81, v81, v84
	v_fmac_f32_e32 v219, v132, v190
	v_add_f32_e32 v80, v80, v218
	v_mul_f32_e32 v84, v136, v164
	s_waitcnt vmcnt(3)
	v_fma_f32 v82, v133, v191, -v82
	v_add_f32_e32 v81, v81, v83
	v_mul_f32_e32 v221, v135, v164
	v_fmac_f32_e32 v220, v134, v191
	v_add_f32_e32 v80, v80, v219
	s_waitcnt vmcnt(2)
	v_fma_f32 v83, v135, v192, -v84
	v_add_f32_e32 v81, v81, v82
	v_fmac_f32_e32 v221, v136, v192
	v_add_f32_e32 v80, v80, v220
	v_add_f32_e32 v81, v81, v83
	;; [unrolled: 1-line block ×3, first 2 shown]
	s_waitcnt vmcnt(1)
	v_sub_f32_e32 v81, v193, v81
	s_waitcnt vmcnt(0)
	v_sub_f32_e32 v80, v194, v80
	buffer_store_dword v81, off, s[0:3], 0 offset:80
	buffer_store_dword v80, off, s[0:3], 0 offset:84
	v_cmpx_lt_u32_e32 9, v0
	s_cbranch_execz .LBB38_229
; %bb.228:
	s_clause 0x1
	buffer_load_dword v80, off, s[0:3], 0 offset:72
	buffer_load_dword v81, off, s[0:3], 0 offset:76
	v_mov_b32_e32 v82, 0
	buffer_store_dword v82, off, s[0:3], 0 offset:72
	buffer_store_dword v82, off, s[0:3], 0 offset:76
	s_waitcnt vmcnt(0)
	ds_write_b64 v79, v[80:81]
.LBB38_229:
	s_or_b32 exec_lo, exec_lo, s4
	s_waitcnt lgkmcnt(0)
	s_waitcnt_vscnt null, 0x0
	s_barrier
	buffer_gl0_inv
	s_clause 0x3b
	buffer_load_dword v139, off, s[0:3], 0 offset:84
	buffer_load_dword v140, off, s[0:3], 0 offset:92
	;; [unrolled: 1-line block ×60, first 2 shown]
	v_mov_b32_e32 v80, 0
	ds_read_b128 v[81:84], v80 offset:400
	ds_read_b128 v[85:88], v80 offset:416
	;; [unrolled: 1-line block ×14, first 2 shown]
	ds_read_b64 v[137:138], v80 offset:624
	s_mov_b32 s4, exec_lo
	s_waitcnt vmcnt(59) lgkmcnt(14)
	v_mul_f32_e32 v199, v81, v139
	v_mul_f32_e32 v139, v82, v139
	s_waitcnt vmcnt(58)
	v_mul_f32_e32 v200, v83, v140
	v_mul_f32_e32 v140, v84, v140
	s_waitcnt vmcnt(57) lgkmcnt(13)
	v_mul_f32_e32 v201, v85, v141
	s_waitcnt vmcnt(56)
	v_mul_f32_e32 v202, v87, v142
	s_waitcnt vmcnt(55) lgkmcnt(12)
	v_mul_f32_e32 v203, v89, v143
	s_waitcnt vmcnt(54)
	v_mul_f32_e32 v204, v91, v144
	s_waitcnt vmcnt(53) lgkmcnt(11)
	v_mul_f32_e32 v205, v93, v145
	s_waitcnt vmcnt(52)
	v_mul_f32_e32 v206, v95, v146
	s_waitcnt vmcnt(51) lgkmcnt(10)
	v_mul_f32_e32 v207, v97, v147
	s_waitcnt vmcnt(50)
	v_mul_f32_e32 v208, v99, v148
	s_waitcnt vmcnt(49) lgkmcnt(9)
	v_mul_f32_e32 v209, v101, v149
	s_waitcnt vmcnt(48)
	v_mul_f32_e32 v210, v103, v150
	s_waitcnt vmcnt(47) lgkmcnt(8)
	v_mul_f32_e32 v211, v105, v151
	s_waitcnt vmcnt(46)
	v_mul_f32_e32 v212, v107, v152
	s_waitcnt vmcnt(45) lgkmcnt(7)
	v_mul_f32_e32 v213, v109, v153
	s_waitcnt vmcnt(44)
	v_mul_f32_e32 v214, v111, v154
	s_waitcnt vmcnt(43) lgkmcnt(6)
	v_mul_f32_e32 v215, v113, v155
	s_waitcnt vmcnt(42)
	v_mul_f32_e32 v216, v115, v156
	s_waitcnt vmcnt(41) lgkmcnt(5)
	v_mul_f32_e32 v217, v117, v157
	s_waitcnt vmcnt(40)
	v_mul_f32_e32 v218, v119, v158
	s_waitcnt vmcnt(39) lgkmcnt(4)
	v_mul_f32_e32 v219, v121, v159
	s_waitcnt vmcnt(38)
	v_mul_f32_e32 v220, v123, v160
	s_waitcnt vmcnt(37) lgkmcnt(3)
	v_mul_f32_e32 v221, v125, v161
	s_waitcnt vmcnt(36)
	v_mul_f32_e32 v222, v127, v162
	s_waitcnt vmcnt(35) lgkmcnt(2)
	v_mul_f32_e32 v223, v129, v163
	s_waitcnt vmcnt(34)
	v_mul_f32_e32 v224, v131, v164
	s_waitcnt vmcnt(33) lgkmcnt(1)
	v_mul_f32_e32 v225, v133, v165
	s_waitcnt vmcnt(30)
	v_fma_f32 v81, v81, v168, -v139
	v_fmac_f32_e32 v199, v82, v168
	v_mul_f32_e32 v82, v86, v141
	s_waitcnt vmcnt(29)
	v_fma_f32 v83, v83, v169, -v140
	v_fmac_f32_e32 v200, v84, v169
	v_add_f32_e32 v81, 0, v81
	v_add_f32_e32 v84, 0, v199
	v_mul_f32_e32 v139, v88, v142
	s_waitcnt vmcnt(28)
	v_fma_f32 v82, v85, v170, -v82
	v_fmac_f32_e32 v201, v86, v170
	v_add_f32_e32 v81, v81, v83
	v_add_f32_e32 v83, v84, v200
	;; [unrolled: 6-line block ×25, first 2 shown]
	v_mul_f32_e32 v85, v136, v166
	s_waitcnt vmcnt(4)
	v_fma_f32 v83, v133, v194, -v83
	v_mul_f32_e32 v226, v135, v166
	v_add_f32_e32 v81, v81, v84
	v_fmac_f32_e32 v225, v134, v194
	v_add_f32_e32 v82, v82, v224
	s_waitcnt lgkmcnt(0)
	v_mul_f32_e32 v84, v138, v167
	s_waitcnt vmcnt(3)
	v_fma_f32 v85, v135, v195, -v85
	v_add_f32_e32 v81, v81, v83
	v_mul_f32_e32 v227, v137, v167
	v_fmac_f32_e32 v226, v136, v195
	v_add_f32_e32 v82, v82, v225
	s_waitcnt vmcnt(2)
	v_fma_f32 v83, v137, v196, -v84
	v_add_f32_e32 v81, v81, v85
	v_fmac_f32_e32 v227, v138, v196
	v_add_f32_e32 v82, v82, v226
	v_add_f32_e32 v81, v81, v83
	;; [unrolled: 1-line block ×3, first 2 shown]
	s_waitcnt vmcnt(1)
	v_sub_f32_e32 v81, v197, v81
	s_waitcnt vmcnt(0)
	v_sub_f32_e32 v82, v198, v82
	buffer_store_dword v81, off, s[0:3], 0 offset:72
	buffer_store_dword v82, off, s[0:3], 0 offset:76
	v_cmpx_lt_u32_e32 8, v0
	s_cbranch_execz .LBB38_231
; %bb.230:
	s_clause 0x1
	buffer_load_dword v81, off, s[0:3], 0 offset:64
	buffer_load_dword v82, off, s[0:3], 0 offset:68
	buffer_store_dword v80, off, s[0:3], 0 offset:64
	buffer_store_dword v80, off, s[0:3], 0 offset:68
	s_waitcnt vmcnt(0)
	ds_write_b64 v79, v[81:82]
.LBB38_231:
	s_or_b32 exec_lo, exec_lo, s4
	s_waitcnt lgkmcnt(0)
	s_waitcnt_vscnt null, 0x0
	s_barrier
	buffer_gl0_inv
	s_clause 0x3d
	buffer_load_dword v141, off, s[0:3], 0 offset:76
	buffer_load_dword v142, off, s[0:3], 0 offset:84
	;; [unrolled: 1-line block ×62, first 2 shown]
	ds_read2_b64 v[81:84], v80 offset0:49 offset1:50
	ds_read2_b64 v[85:88], v80 offset0:51 offset1:52
	;; [unrolled: 1-line block ×15, first 2 shown]
	s_mov_b32 s4, exec_lo
	s_waitcnt vmcnt(61) lgkmcnt(14)
	v_mul_f32_e32 v80, v81, v141
	v_mul_f32_e32 v141, v82, v141
	s_waitcnt vmcnt(60)
	v_mul_f32_e32 v203, v83, v142
	v_mul_f32_e32 v142, v84, v142
	s_waitcnt vmcnt(59) lgkmcnt(13)
	v_mul_f32_e32 v204, v85, v143
	s_waitcnt vmcnt(58)
	v_mul_f32_e32 v205, v87, v144
	s_waitcnt vmcnt(57) lgkmcnt(12)
	v_mul_f32_e32 v206, v89, v145
	s_waitcnt vmcnt(56)
	;; [unrolled: 4-line block ×13, first 2 shown]
	v_mul_f32_e32 v229, v135, v168
	s_waitcnt vmcnt(31)
	v_fma_f32 v81, v81, v171, -v141
	v_fmac_f32_e32 v80, v82, v171
	v_mul_f32_e32 v82, v86, v143
	s_waitcnt vmcnt(30)
	v_fma_f32 v83, v83, v172, -v142
	v_fmac_f32_e32 v203, v84, v172
	v_add_f32_e32 v81, 0, v81
	v_add_f32_e32 v80, 0, v80
	v_mul_f32_e32 v84, v88, v144
	s_waitcnt vmcnt(29)
	v_fma_f32 v82, v85, v173, -v82
	v_fmac_f32_e32 v204, v86, v173
	v_add_f32_e32 v81, v81, v83
	v_add_f32_e32 v80, v80, v203
	;; [unrolled: 6-line block ×26, first 2 shown]
	s_waitcnt lgkmcnt(0)
	v_mul_f32_e32 v83, v138, v169
	s_waitcnt vmcnt(4)
	v_fma_f32 v84, v135, v198, -v84
	v_mul_f32_e32 v230, v137, v169
	v_add_f32_e32 v81, v81, v82
	v_fmac_f32_e32 v229, v136, v198
	v_add_f32_e32 v80, v80, v228
	v_mul_f32_e32 v82, v140, v170
	s_waitcnt vmcnt(3)
	v_fma_f32 v83, v137, v199, -v83
	v_add_f32_e32 v81, v81, v84
	v_mul_f32_e32 v231, v139, v170
	v_fmac_f32_e32 v230, v138, v199
	v_add_f32_e32 v80, v80, v229
	s_waitcnt vmcnt(2)
	v_fma_f32 v82, v139, v200, -v82
	v_add_f32_e32 v81, v81, v83
	v_fmac_f32_e32 v231, v140, v200
	v_add_f32_e32 v80, v80, v230
	v_add_f32_e32 v81, v81, v82
	v_add_f32_e32 v80, v80, v231
	s_waitcnt vmcnt(1)
	v_sub_f32_e32 v81, v201, v81
	s_waitcnt vmcnt(0)
	v_sub_f32_e32 v80, v202, v80
	buffer_store_dword v81, off, s[0:3], 0 offset:64
	buffer_store_dword v80, off, s[0:3], 0 offset:68
	v_cmpx_lt_u32_e32 7, v0
	s_cbranch_execz .LBB38_233
; %bb.232:
	s_clause 0x1
	buffer_load_dword v80, off, s[0:3], 0 offset:56
	buffer_load_dword v81, off, s[0:3], 0 offset:60
	v_mov_b32_e32 v82, 0
	buffer_store_dword v82, off, s[0:3], 0 offset:56
	buffer_store_dword v82, off, s[0:3], 0 offset:60
	s_waitcnt vmcnt(0)
	ds_write_b64 v79, v[80:81]
.LBB38_233:
	s_or_b32 exec_lo, exec_lo, s4
	s_waitcnt lgkmcnt(0)
	s_waitcnt_vscnt null, 0x0
	s_barrier
	buffer_gl0_inv
	s_clause 0x3e
	buffer_load_dword v143, off, s[0:3], 0 offset:68
	buffer_load_dword v144, off, s[0:3], 0 offset:76
	;; [unrolled: 1-line block ×64, first 2 shown]
	v_mov_b32_e32 v80, 0
	ds_read_b128 v[81:84], v80 offset:384
	ds_read_b128 v[85:88], v80 offset:400
	;; [unrolled: 1-line block ×15, first 2 shown]
	ds_read_b64 v[141:142], v80 offset:624
	s_mov_b32 s4, exec_lo
	s_waitcnt vmcnt(62) lgkmcnt(15)
	v_mul_f32_e32 v207, v81, v143
	v_mul_f32_e32 v143, v82, v143
	;; [unrolled: 1-line block ×4, first 2 shown]
	s_waitcnt vmcnt(61) lgkmcnt(14)
	v_mul_f32_e32 v209, v85, v145
	s_waitcnt vmcnt(60)
	v_mul_f32_e32 v210, v87, v146
	s_waitcnt vmcnt(59) lgkmcnt(13)
	v_mul_f32_e32 v211, v89, v147
	s_waitcnt vmcnt(58)
	v_mul_f32_e32 v212, v91, v148
	;; [unrolled: 4-line block ×13, first 2 shown]
	s_waitcnt vmcnt(35) lgkmcnt(1)
	v_mul_f32_e32 v235, v137, v171
	s_waitcnt vmcnt(32)
	v_fma_f32 v81, v81, v174, -v143
	v_fmac_f32_e32 v207, v82, v174
	v_mul_f32_e32 v82, v86, v145
	s_waitcnt vmcnt(31)
	v_fma_f32 v83, v83, v175, -v144
	v_fmac_f32_e32 v208, v84, v175
	v_add_f32_e32 v81, 0, v81
	v_add_f32_e32 v84, 0, v207
	v_mul_f32_e32 v143, v88, v146
	s_waitcnt vmcnt(30)
	v_fma_f32 v82, v85, v176, -v82
	v_fmac_f32_e32 v209, v86, v176
	v_add_f32_e32 v81, v81, v83
	v_add_f32_e32 v83, v84, v208
	v_mul_f32_e32 v84, v90, v147
	s_waitcnt vmcnt(29)
	v_fma_f32 v85, v87, v177, -v143
	v_fmac_f32_e32 v210, v88, v177
	v_add_f32_e32 v81, v81, v82
	v_add_f32_e32 v82, v83, v209
	v_mul_f32_e32 v83, v92, v148
	s_waitcnt vmcnt(28)
	v_fma_f32 v84, v89, v178, -v84
	v_fmac_f32_e32 v211, v90, v178
	v_add_f32_e32 v81, v81, v85
	v_add_f32_e32 v82, v82, v210
	v_mul_f32_e32 v85, v94, v149
	s_waitcnt vmcnt(27)
	v_fma_f32 v83, v91, v179, -v83
	v_fmac_f32_e32 v212, v92, v179
	v_add_f32_e32 v81, v81, v84
	v_add_f32_e32 v82, v82, v211
	v_mul_f32_e32 v84, v96, v150
	s_waitcnt vmcnt(26)
	v_fma_f32 v85, v93, v180, -v85
	v_fmac_f32_e32 v213, v94, v180
	v_add_f32_e32 v81, v81, v83
	v_add_f32_e32 v82, v82, v212
	v_mul_f32_e32 v83, v98, v151
	s_waitcnt vmcnt(25)
	v_fma_f32 v84, v95, v181, -v84
	v_fmac_f32_e32 v214, v96, v181
	v_add_f32_e32 v81, v81, v85
	v_add_f32_e32 v82, v82, v213
	v_mul_f32_e32 v85, v100, v152
	s_waitcnt vmcnt(24)
	v_fma_f32 v83, v97, v182, -v83
	v_fmac_f32_e32 v215, v98, v182
	v_add_f32_e32 v81, v81, v84
	v_add_f32_e32 v82, v82, v214
	v_mul_f32_e32 v84, v102, v153
	s_waitcnt vmcnt(23)
	v_fma_f32 v85, v99, v183, -v85
	v_fmac_f32_e32 v216, v100, v183
	v_add_f32_e32 v81, v81, v83
	v_add_f32_e32 v82, v82, v215
	v_mul_f32_e32 v83, v104, v154
	s_waitcnt vmcnt(22)
	v_fma_f32 v84, v101, v184, -v84
	v_fmac_f32_e32 v217, v102, v184
	v_add_f32_e32 v81, v81, v85
	v_add_f32_e32 v82, v82, v216
	v_mul_f32_e32 v85, v106, v155
	s_waitcnt vmcnt(21)
	v_fma_f32 v83, v103, v185, -v83
	v_fmac_f32_e32 v218, v104, v185
	v_add_f32_e32 v81, v81, v84
	v_add_f32_e32 v82, v82, v217
	v_mul_f32_e32 v84, v108, v156
	s_waitcnt vmcnt(20)
	v_fma_f32 v85, v105, v186, -v85
	v_fmac_f32_e32 v219, v106, v186
	v_add_f32_e32 v81, v81, v83
	v_add_f32_e32 v82, v82, v218
	v_mul_f32_e32 v83, v110, v157
	s_waitcnt vmcnt(19)
	v_fma_f32 v84, v107, v187, -v84
	v_fmac_f32_e32 v220, v108, v187
	v_add_f32_e32 v81, v81, v85
	v_add_f32_e32 v82, v82, v219
	v_mul_f32_e32 v85, v112, v158
	s_waitcnt vmcnt(18)
	v_fma_f32 v83, v109, v188, -v83
	v_fmac_f32_e32 v221, v110, v188
	v_add_f32_e32 v81, v81, v84
	v_add_f32_e32 v82, v82, v220
	v_mul_f32_e32 v84, v114, v159
	s_waitcnt vmcnt(17)
	v_fma_f32 v85, v111, v189, -v85
	v_fmac_f32_e32 v222, v112, v189
	v_add_f32_e32 v81, v81, v83
	v_add_f32_e32 v82, v82, v221
	v_mul_f32_e32 v83, v116, v160
	s_waitcnt vmcnt(16)
	v_fma_f32 v84, v113, v190, -v84
	v_fmac_f32_e32 v223, v114, v190
	v_add_f32_e32 v81, v81, v85
	v_add_f32_e32 v82, v82, v222
	v_mul_f32_e32 v85, v118, v161
	s_waitcnt vmcnt(15)
	v_fma_f32 v83, v115, v191, -v83
	v_fmac_f32_e32 v224, v116, v191
	v_add_f32_e32 v81, v81, v84
	v_add_f32_e32 v82, v82, v223
	v_mul_f32_e32 v84, v120, v162
	s_waitcnt vmcnt(14)
	v_fma_f32 v85, v117, v192, -v85
	v_fmac_f32_e32 v225, v118, v192
	v_add_f32_e32 v81, v81, v83
	v_add_f32_e32 v82, v82, v224
	v_mul_f32_e32 v83, v122, v163
	s_waitcnt vmcnt(13)
	v_fma_f32 v84, v119, v193, -v84
	v_fmac_f32_e32 v226, v120, v193
	v_add_f32_e32 v81, v81, v85
	v_add_f32_e32 v82, v82, v225
	v_mul_f32_e32 v85, v124, v164
	s_waitcnt vmcnt(12)
	v_fma_f32 v83, v121, v194, -v83
	v_fmac_f32_e32 v227, v122, v194
	v_add_f32_e32 v81, v81, v84
	v_add_f32_e32 v82, v82, v226
	v_mul_f32_e32 v84, v126, v165
	s_waitcnt vmcnt(11)
	v_fma_f32 v85, v123, v195, -v85
	v_fmac_f32_e32 v228, v124, v195
	v_add_f32_e32 v81, v81, v83
	v_add_f32_e32 v82, v82, v227
	v_mul_f32_e32 v83, v128, v166
	s_waitcnt vmcnt(10)
	v_fma_f32 v84, v125, v196, -v84
	v_fmac_f32_e32 v229, v126, v196
	v_add_f32_e32 v81, v81, v85
	v_add_f32_e32 v82, v82, v228
	v_mul_f32_e32 v85, v130, v167
	s_waitcnt vmcnt(9)
	v_fma_f32 v83, v127, v197, -v83
	v_fmac_f32_e32 v230, v128, v197
	v_add_f32_e32 v81, v81, v84
	v_add_f32_e32 v82, v82, v229
	v_mul_f32_e32 v84, v132, v168
	s_waitcnt vmcnt(8)
	v_fma_f32 v85, v129, v198, -v85
	v_fmac_f32_e32 v231, v130, v198
	v_add_f32_e32 v81, v81, v83
	v_add_f32_e32 v82, v82, v230
	v_mul_f32_e32 v83, v134, v169
	s_waitcnt vmcnt(7)
	v_fma_f32 v84, v131, v199, -v84
	v_fmac_f32_e32 v232, v132, v199
	v_add_f32_e32 v81, v81, v85
	v_add_f32_e32 v82, v82, v231
	v_mul_f32_e32 v85, v136, v170
	s_waitcnt vmcnt(6)
	v_fma_f32 v83, v133, v200, -v83
	v_fmac_f32_e32 v233, v134, v200
	v_add_f32_e32 v81, v81, v84
	v_add_f32_e32 v82, v82, v232
	v_mul_f32_e32 v84, v138, v171
	s_waitcnt vmcnt(5)
	v_fma_f32 v85, v135, v201, -v85
	v_fmac_f32_e32 v234, v136, v201
	v_add_f32_e32 v81, v81, v83
	v_add_f32_e32 v82, v82, v233
	v_mul_f32_e32 v83, v140, v172
	s_waitcnt vmcnt(4)
	v_fma_f32 v84, v137, v202, -v84
	v_mul_f32_e32 v236, v139, v172
	v_add_f32_e32 v81, v81, v85
	v_fmac_f32_e32 v235, v138, v202
	v_add_f32_e32 v82, v82, v234
	s_waitcnt lgkmcnt(0)
	v_mul_f32_e32 v85, v142, v173
	s_waitcnt vmcnt(3)
	v_fma_f32 v83, v139, v203, -v83
	v_add_f32_e32 v81, v81, v84
	v_mul_f32_e32 v237, v141, v173
	v_fmac_f32_e32 v236, v140, v203
	v_add_f32_e32 v82, v82, v235
	s_waitcnt vmcnt(2)
	v_fma_f32 v84, v141, v204, -v85
	v_add_f32_e32 v81, v81, v83
	v_fmac_f32_e32 v237, v142, v204
	v_add_f32_e32 v82, v82, v236
	v_add_f32_e32 v81, v81, v84
	;; [unrolled: 1-line block ×3, first 2 shown]
	s_waitcnt vmcnt(1)
	v_sub_f32_e32 v81, v205, v81
	s_waitcnt vmcnt(0)
	v_sub_f32_e32 v82, v206, v82
	buffer_store_dword v81, off, s[0:3], 0 offset:56
	buffer_store_dword v82, off, s[0:3], 0 offset:60
	v_cmpx_lt_u32_e32 6, v0
	s_cbranch_execz .LBB38_235
; %bb.234:
	s_clause 0x1
	buffer_load_dword v81, off, s[0:3], 0 offset:48
	buffer_load_dword v82, off, s[0:3], 0 offset:52
	buffer_store_dword v80, off, s[0:3], 0 offset:48
	buffer_store_dword v80, off, s[0:3], 0 offset:52
	s_waitcnt vmcnt(0)
	ds_write_b64 v79, v[81:82]
.LBB38_235:
	s_or_b32 exec_lo, exec_lo, s4
	s_waitcnt lgkmcnt(0)
	s_waitcnt_vscnt null, 0x0
	s_barrier
	buffer_gl0_inv
	s_clause 0x3e
	buffer_load_dword v145, off, s[0:3], 0 offset:60
	buffer_load_dword v146, off, s[0:3], 0 offset:68
	;; [unrolled: 1-line block ×63, first 2 shown]
	s_clause 0x2
	buffer_load_dword v208, off, s[0:3], 0 offset:304
	buffer_load_dword v209, off, s[0:3], 0 offset:48
	;; [unrolled: 1-line block ×3, first 2 shown]
	ds_read2_b64 v[81:84], v80 offset0:47 offset1:48
	ds_read2_b64 v[85:88], v80 offset0:49 offset1:50
	;; [unrolled: 1-line block ×16, first 2 shown]
	s_mov_b32 s4, exec_lo
	s_waitcnt vmcnt(62) lgkmcnt(15)
	v_mul_f32_e32 v80, v81, v145
	v_mul_f32_e32 v145, v82, v145
	;; [unrolled: 1-line block ×4, first 2 shown]
	s_waitcnt lgkmcnt(14)
	v_mul_f32_e32 v212, v85, v147
	v_mul_f32_e32 v213, v87, v148
	s_waitcnt vmcnt(61) lgkmcnt(13)
	v_mul_f32_e32 v214, v89, v149
	s_waitcnt vmcnt(60)
	v_mul_f32_e32 v215, v91, v150
	s_waitcnt vmcnt(59) lgkmcnt(12)
	v_mul_f32_e32 v216, v93, v151
	s_waitcnt vmcnt(58)
	;; [unrolled: 4-line block ×13, first 2 shown]
	v_mul_f32_e32 v239, v139, v174
	s_waitcnt vmcnt(33)
	v_fma_f32 v81, v81, v177, -v145
	v_fmac_f32_e32 v80, v82, v177
	v_mul_f32_e32 v82, v86, v147
	s_waitcnt vmcnt(32)
	v_fma_f32 v83, v83, v178, -v146
	v_fmac_f32_e32 v211, v84, v178
	v_add_f32_e32 v81, 0, v81
	v_add_f32_e32 v80, 0, v80
	v_mul_f32_e32 v84, v88, v148
	s_waitcnt vmcnt(31)
	v_fma_f32 v82, v85, v179, -v82
	v_fmac_f32_e32 v212, v86, v179
	v_add_f32_e32 v81, v81, v83
	v_add_f32_e32 v80, v80, v211
	;; [unrolled: 6-line block ×28, first 2 shown]
	s_waitcnt lgkmcnt(0)
	v_mul_f32_e32 v84, v142, v175
	s_waitcnt vmcnt(4)
	v_fma_f32 v82, v139, v206, -v82
	v_mul_f32_e32 v240, v141, v175
	v_add_f32_e32 v81, v81, v83
	v_fmac_f32_e32 v239, v140, v206
	v_add_f32_e32 v80, v80, v238
	v_mul_f32_e32 v83, v144, v176
	s_waitcnt vmcnt(3)
	v_fma_f32 v84, v141, v207, -v84
	v_add_f32_e32 v81, v81, v82
	v_mul_f32_e32 v241, v143, v176
	v_fmac_f32_e32 v240, v142, v207
	v_add_f32_e32 v80, v80, v239
	s_waitcnt vmcnt(2)
	v_fma_f32 v82, v143, v208, -v83
	v_add_f32_e32 v81, v81, v84
	v_fmac_f32_e32 v241, v144, v208
	v_add_f32_e32 v80, v80, v240
	v_add_f32_e32 v81, v81, v82
	;; [unrolled: 1-line block ×3, first 2 shown]
	s_waitcnt vmcnt(1)
	v_sub_f32_e32 v81, v209, v81
	s_waitcnt vmcnt(0)
	v_sub_f32_e32 v80, v210, v80
	buffer_store_dword v81, off, s[0:3], 0 offset:48
	buffer_store_dword v80, off, s[0:3], 0 offset:52
	v_cmpx_lt_u32_e32 5, v0
	s_cbranch_execz .LBB38_237
; %bb.236:
	s_clause 0x1
	buffer_load_dword v80, off, s[0:3], 0 offset:40
	buffer_load_dword v81, off, s[0:3], 0 offset:44
	v_mov_b32_e32 v82, 0
	buffer_store_dword v82, off, s[0:3], 0 offset:40
	buffer_store_dword v82, off, s[0:3], 0 offset:44
	s_waitcnt vmcnt(0)
	ds_write_b64 v79, v[80:81]
.LBB38_237:
	s_or_b32 exec_lo, exec_lo, s4
	s_waitcnt lgkmcnt(0)
	s_waitcnt_vscnt null, 0x0
	s_barrier
	buffer_gl0_inv
	s_clause 0x3e
	buffer_load_dword v147, off, s[0:3], 0 offset:52
	buffer_load_dword v148, off, s[0:3], 0 offset:60
	;; [unrolled: 1-line block ×63, first 2 shown]
	s_clause 0x4
	buffer_load_dword v210, off, s[0:3], 0 offset:288
	buffer_load_dword v211, off, s[0:3], 0 offset:296
	;; [unrolled: 1-line block ×5, first 2 shown]
	v_mov_b32_e32 v80, 0
	ds_read_b128 v[81:84], v80 offset:368
	ds_read_b128 v[85:88], v80 offset:384
	;; [unrolled: 1-line block ×16, first 2 shown]
	ds_read_b64 v[145:146], v80 offset:624
	s_mov_b32 s4, exec_lo
	s_waitcnt vmcnt(62) lgkmcnt(16)
	v_mul_f32_e32 v215, v81, v147
	v_mul_f32_e32 v147, v82, v147
	v_mul_f32_e32 v216, v83, v148
	v_mul_f32_e32 v148, v84, v148
	s_waitcnt lgkmcnt(15)
	v_mul_f32_e32 v217, v85, v149
	v_mul_f32_e32 v218, v87, v150
	s_waitcnt lgkmcnt(14)
	v_mul_f32_e32 v219, v89, v151
	v_mul_f32_e32 v220, v91, v152
	s_waitcnt vmcnt(61) lgkmcnt(13)
	v_mul_f32_e32 v221, v93, v153
	s_waitcnt vmcnt(60)
	v_mul_f32_e32 v222, v95, v154
	s_waitcnt vmcnt(59) lgkmcnt(12)
	v_mul_f32_e32 v223, v97, v155
	s_waitcnt vmcnt(58)
	;; [unrolled: 4-line block ×13, first 2 shown]
	v_fma_f32 v81, v81, v180, -v147
	v_fmac_f32_e32 v215, v82, v180
	v_mul_f32_e32 v82, v86, v149
	s_waitcnt vmcnt(33)
	v_fma_f32 v83, v83, v181, -v148
	v_fmac_f32_e32 v216, v84, v181
	v_add_f32_e32 v81, 0, v81
	v_add_f32_e32 v84, 0, v215
	v_mul_f32_e32 v147, v88, v150
	s_waitcnt vmcnt(32)
	v_fma_f32 v82, v85, v182, -v82
	v_fmac_f32_e32 v217, v86, v182
	v_add_f32_e32 v81, v81, v83
	v_add_f32_e32 v83, v84, v216
	;; [unrolled: 6-line block ×29, first 2 shown]
	v_mul_f32_e32 v84, v144, v178
	s_waitcnt vmcnt(4)
	v_fma_f32 v85, v141, v210, -v85
	v_mul_f32_e32 v246, v143, v178
	v_add_f32_e32 v81, v81, v83
	v_fmac_f32_e32 v245, v142, v210
	v_add_f32_e32 v82, v82, v244
	s_waitcnt lgkmcnt(0)
	v_mul_f32_e32 v83, v146, v179
	s_waitcnt vmcnt(3)
	v_fma_f32 v84, v143, v211, -v84
	v_add_f32_e32 v81, v81, v85
	v_mul_f32_e32 v247, v145, v179
	v_fmac_f32_e32 v246, v144, v211
	v_add_f32_e32 v82, v82, v245
	s_waitcnt vmcnt(2)
	v_fma_f32 v83, v145, v212, -v83
	v_add_f32_e32 v81, v81, v84
	v_fmac_f32_e32 v247, v146, v212
	v_add_f32_e32 v82, v82, v246
	v_add_f32_e32 v81, v81, v83
	;; [unrolled: 1-line block ×3, first 2 shown]
	s_waitcnt vmcnt(1)
	v_sub_f32_e32 v81, v213, v81
	s_waitcnt vmcnt(0)
	v_sub_f32_e32 v82, v214, v82
	buffer_store_dword v81, off, s[0:3], 0 offset:40
	buffer_store_dword v82, off, s[0:3], 0 offset:44
	v_cmpx_lt_u32_e32 4, v0
	s_cbranch_execz .LBB38_239
; %bb.238:
	s_clause 0x1
	buffer_load_dword v81, off, s[0:3], 0 offset:32
	buffer_load_dword v82, off, s[0:3], 0 offset:36
	buffer_store_dword v80, off, s[0:3], 0 offset:32
	buffer_store_dword v80, off, s[0:3], 0 offset:36
	s_waitcnt vmcnt(0)
	ds_write_b64 v79, v[81:82]
.LBB38_239:
	s_or_b32 exec_lo, exec_lo, s4
	s_waitcnt lgkmcnt(0)
	s_waitcnt_vscnt null, 0x0
	s_barrier
	buffer_gl0_inv
	s_clause 0x3e
	buffer_load_dword v149, off, s[0:3], 0 offset:44
	buffer_load_dword v150, off, s[0:3], 0 offset:52
	buffer_load_dword v151, off, s[0:3], 0 offset:60
	buffer_load_dword v152, off, s[0:3], 0 offset:68
	buffer_load_dword v153, off, s[0:3], 0 offset:76
	buffer_load_dword v154, off, s[0:3], 0 offset:84
	buffer_load_dword v155, off, s[0:3], 0 offset:92
	buffer_load_dword v156, off, s[0:3], 0 offset:100
	buffer_load_dword v157, off, s[0:3], 0 offset:108
	buffer_load_dword v158, off, s[0:3], 0 offset:116
	buffer_load_dword v159, off, s[0:3], 0 offset:124
	buffer_load_dword v160, off, s[0:3], 0 offset:132
	buffer_load_dword v161, off, s[0:3], 0 offset:140
	buffer_load_dword v162, off, s[0:3], 0 offset:148
	buffer_load_dword v163, off, s[0:3], 0 offset:156
	buffer_load_dword v164, off, s[0:3], 0 offset:164
	buffer_load_dword v165, off, s[0:3], 0 offset:172
	buffer_load_dword v166, off, s[0:3], 0 offset:180
	buffer_load_dword v167, off, s[0:3], 0 offset:188
	buffer_load_dword v168, off, s[0:3], 0 offset:196
	buffer_load_dword v169, off, s[0:3], 0 offset:204
	buffer_load_dword v170, off, s[0:3], 0 offset:212
	buffer_load_dword v171, off, s[0:3], 0 offset:220
	buffer_load_dword v172, off, s[0:3], 0 offset:228
	buffer_load_dword v173, off, s[0:3], 0 offset:236
	buffer_load_dword v174, off, s[0:3], 0 offset:244
	buffer_load_dword v175, off, s[0:3], 0 offset:252
	buffer_load_dword v176, off, s[0:3], 0 offset:260
	buffer_load_dword v177, off, s[0:3], 0 offset:268
	buffer_load_dword v178, off, s[0:3], 0 offset:276
	buffer_load_dword v179, off, s[0:3], 0 offset:284
	buffer_load_dword v180, off, s[0:3], 0 offset:292
	buffer_load_dword v181, off, s[0:3], 0 offset:300
	buffer_load_dword v182, off, s[0:3], 0 offset:308
	buffer_load_dword v183, off, s[0:3], 0 offset:40
	buffer_load_dword v184, off, s[0:3], 0 offset:48
	buffer_load_dword v185, off, s[0:3], 0 offset:56
	buffer_load_dword v186, off, s[0:3], 0 offset:64
	buffer_load_dword v187, off, s[0:3], 0 offset:72
	buffer_load_dword v188, off, s[0:3], 0 offset:80
	buffer_load_dword v189, off, s[0:3], 0 offset:88
	buffer_load_dword v190, off, s[0:3], 0 offset:96
	buffer_load_dword v191, off, s[0:3], 0 offset:104
	buffer_load_dword v192, off, s[0:3], 0 offset:112
	buffer_load_dword v193, off, s[0:3], 0 offset:120
	buffer_load_dword v194, off, s[0:3], 0 offset:128
	buffer_load_dword v195, off, s[0:3], 0 offset:136
	buffer_load_dword v196, off, s[0:3], 0 offset:144
	buffer_load_dword v197, off, s[0:3], 0 offset:152
	buffer_load_dword v198, off, s[0:3], 0 offset:160
	buffer_load_dword v199, off, s[0:3], 0 offset:168
	buffer_load_dword v200, off, s[0:3], 0 offset:176
	buffer_load_dword v201, off, s[0:3], 0 offset:184
	buffer_load_dword v202, off, s[0:3], 0 offset:192
	buffer_load_dword v203, off, s[0:3], 0 offset:200
	buffer_load_dword v204, off, s[0:3], 0 offset:208
	buffer_load_dword v205, off, s[0:3], 0 offset:216
	buffer_load_dword v206, off, s[0:3], 0 offset:224
	buffer_load_dword v207, off, s[0:3], 0 offset:232
	buffer_load_dword v208, off, s[0:3], 0 offset:240
	buffer_load_dword v209, off, s[0:3], 0 offset:248
	buffer_load_dword v210, off, s[0:3], 0 offset:256
	buffer_load_dword v211, off, s[0:3], 0 offset:264
	s_clause 0x6
	buffer_load_dword v212, off, s[0:3], 0 offset:272
	buffer_load_dword v213, off, s[0:3], 0 offset:280
	;; [unrolled: 1-line block ×7, first 2 shown]
	ds_read2_b64 v[81:84], v80 offset0:45 offset1:46
	ds_read2_b64 v[85:88], v80 offset0:47 offset1:48
	;; [unrolled: 1-line block ×17, first 2 shown]
	s_mov_b32 s4, exec_lo
	s_waitcnt vmcnt(62) lgkmcnt(16)
	v_mul_f32_e32 v80, v81, v149
	v_mul_f32_e32 v149, v82, v149
	;; [unrolled: 1-line block ×4, first 2 shown]
	s_waitcnt lgkmcnt(15)
	v_mul_f32_e32 v220, v85, v151
	v_mul_f32_e32 v221, v87, v152
	s_waitcnt lgkmcnt(14)
	v_mul_f32_e32 v222, v89, v153
	v_mul_f32_e32 v223, v91, v154
	;; [unrolled: 3-line block ×3, first 2 shown]
	s_waitcnt vmcnt(61) lgkmcnt(12)
	v_mul_f32_e32 v226, v97, v157
	s_waitcnt vmcnt(60)
	v_mul_f32_e32 v227, v99, v158
	s_waitcnt vmcnt(59) lgkmcnt(11)
	v_mul_f32_e32 v228, v101, v159
	s_waitcnt vmcnt(58)
	v_mul_f32_e32 v229, v103, v160
	;; [unrolled: 4-line block ×12, first 2 shown]
	s_waitcnt vmcnt(35)
	v_fma_f32 v81, v81, v183, -v149
	v_fmac_f32_e32 v80, v82, v183
	v_mul_f32_e32 v82, v86, v151
	s_waitcnt vmcnt(34)
	v_fma_f32 v83, v83, v184, -v150
	v_fmac_f32_e32 v219, v84, v184
	v_add_f32_e32 v81, 0, v81
	v_add_f32_e32 v80, 0, v80
	v_mul_f32_e32 v84, v88, v152
	s_waitcnt vmcnt(33)
	v_fma_f32 v82, v85, v185, -v82
	v_fmac_f32_e32 v220, v86, v185
	v_add_f32_e32 v81, v81, v83
	v_add_f32_e32 v80, v80, v219
	;; [unrolled: 6-line block ×30, first 2 shown]
	s_waitcnt lgkmcnt(0)
	v_mul_f32_e32 v82, v146, v181
	s_waitcnt vmcnt(4)
	v_fma_f32 v83, v143, v214, -v83
	v_mul_f32_e32 v250, v145, v181
	v_add_f32_e32 v81, v81, v84
	v_fmac_f32_e32 v249, v144, v214
	v_add_f32_e32 v80, v80, v248
	v_mul_f32_e32 v84, v148, v182
	s_waitcnt vmcnt(3)
	v_fma_f32 v82, v145, v215, -v82
	v_add_f32_e32 v81, v81, v83
	v_mul_f32_e32 v251, v147, v182
	v_fmac_f32_e32 v250, v146, v215
	v_add_f32_e32 v80, v80, v249
	s_waitcnt vmcnt(2)
	v_fma_f32 v83, v147, v216, -v84
	v_add_f32_e32 v81, v81, v82
	v_fmac_f32_e32 v251, v148, v216
	v_add_f32_e32 v80, v80, v250
	v_add_f32_e32 v81, v81, v83
	;; [unrolled: 1-line block ×3, first 2 shown]
	s_waitcnt vmcnt(1)
	v_sub_f32_e32 v81, v217, v81
	s_waitcnt vmcnt(0)
	v_sub_f32_e32 v80, v218, v80
	buffer_store_dword v81, off, s[0:3], 0 offset:32
	buffer_store_dword v80, off, s[0:3], 0 offset:36
	v_cmpx_lt_u32_e32 3, v0
	s_cbranch_execz .LBB38_241
; %bb.240:
	s_clause 0x1
	buffer_load_dword v80, off, s[0:3], 0 offset:24
	buffer_load_dword v81, off, s[0:3], 0 offset:28
	v_mov_b32_e32 v82, 0
	buffer_store_dword v82, off, s[0:3], 0 offset:24
	buffer_store_dword v82, off, s[0:3], 0 offset:28
	s_waitcnt vmcnt(0)
	ds_write_b64 v79, v[80:81]
.LBB38_241:
	s_or_b32 exec_lo, exec_lo, s4
	s_waitcnt lgkmcnt(0)
	s_waitcnt_vscnt null, 0x0
	s_barrier
	buffer_gl0_inv
	s_clause 0x2a
	buffer_load_dword v86, off, s[0:3], 0 offset:36
	buffer_load_dword v87, off, s[0:3], 0 offset:44
	;; [unrolled: 1-line block ×43, first 2 shown]
	v_mov_b32_e32 v80, 0
	ds_read_b128 v[120:123], v80 offset:352
	ds_read_b128 v[124:127], v80 offset:368
	;; [unrolled: 1-line block ×3, first 2 shown]
	buffer_load_dword v138, off, s[0:3], 0 offset:28
	s_mov_b32 s4, exec_lo
	s_waitcnt vmcnt(43) lgkmcnt(2)
	v_mul_f32_e32 v136, v120, v86
	s_waitcnt vmcnt(42)
	v_mul_f32_e32 v137, v122, v87
	v_mul_f32_e32 v86, v121, v86
	;; [unrolled: 1-line block ×3, first 2 shown]
	s_waitcnt vmcnt(39)
	v_fmac_f32_e32 v136, v121, v85
	v_fmac_f32_e32 v137, v123, v84
	v_fma_f32 v139, v120, v85, -v86
	v_fma_f32 v140, v122, v84, -v87
	ds_read_b128 v[84:87], v80 offset:400
	ds_read_b128 v[120:123], v80 offset:416
	s_waitcnt vmcnt(38) lgkmcnt(3)
	v_mul_f32_e32 v141, v124, v82
	v_mul_f32_e32 v82, v125, v82
	s_waitcnt vmcnt(37)
	v_mul_f32_e32 v142, v126, v83
	v_mul_f32_e32 v83, v127, v83
	s_waitcnt vmcnt(32) lgkmcnt(2)
	v_mul_f32_e32 v144, v128, v95
	v_fmac_f32_e32 v141, v125, v81
	v_fma_f32 v143, v124, v81, -v82
	v_mul_f32_e32 v81, v129, v95
	s_waitcnt vmcnt(31)
	v_mul_f32_e32 v82, v131, v94
	v_fmac_f32_e32 v142, v127, v96
	v_fma_f32 v96, v126, v96, -v83
	ds_read_b128 v[124:127], v80 offset:432
	v_mul_f32_e32 v95, v130, v94
	v_fmac_f32_e32 v144, v129, v91
	v_fma_f32 v94, v128, v91, -v81
	v_fma_f32 v129, v130, v89, -v82
	v_fmac_f32_e32 v95, v131, v89
	s_waitcnt vmcnt(30) lgkmcnt(2)
	v_mul_f32_e32 v128, v84, v92
	v_mul_f32_e32 v81, v85, v92
	s_waitcnt vmcnt(29)
	v_mul_f32_e32 v130, v86, v90
	v_mul_f32_e32 v82, v87, v90
	s_waitcnt vmcnt(23) lgkmcnt(1)
	v_mul_f32_e32 v146, v122, v102
	v_fmac_f32_e32 v128, v85, v88
	v_fma_f32 v131, v84, v88, -v81
	v_fmac_f32_e32 v130, v87, v103
	v_fma_f32 v103, v86, v103, -v82
	v_mul_f32_e32 v85, v121, v93
	v_mul_f32_e32 v86, v123, v102
	ds_read_b128 v[81:84], v80 offset:448
	v_mul_f32_e32 v145, v120, v93
	v_fmac_f32_e32 v146, v123, v98
	v_fma_f32 v93, v120, v101, -v85
	v_fma_f32 v98, v122, v98, -v86
	ds_read_b128 v[85:88], v80 offset:464
	v_fmac_f32_e32 v145, v121, v101
	s_waitcnt vmcnt(22) lgkmcnt(2)
	v_mul_f32_e32 v101, v124, v100
	v_mul_f32_e32 v89, v125, v100
	s_waitcnt vmcnt(21)
	v_mul_f32_e32 v100, v126, v99
	v_mul_f32_e32 v90, v127, v99
	buffer_load_dword v99, off, s[0:3], 0 offset:196
	v_fmac_f32_e32 v101, v125, v97
	v_fma_f32 v97, v124, v97, -v89
	s_waitcnt vmcnt(18)
	v_fmac_f32_e32 v100, v127, v111
	v_fma_f32 v102, v126, v111, -v90
	s_waitcnt vmcnt(17) lgkmcnt(1)
	v_mul_f32_e32 v111, v81, v109
	s_waitcnt vmcnt(16)
	v_mul_f32_e32 v120, v83, v110
	v_mul_f32_e32 v89, v82, v109
	;; [unrolled: 1-line block ×3, first 2 shown]
	v_fmac_f32_e32 v111, v82, v106
	v_fmac_f32_e32 v120, v84, v105
	v_fma_f32 v106, v81, v106, -v89
	v_fma_f32 v105, v83, v105, -v90
	ds_read_b128 v[81:84], v80 offset:480
	s_waitcnt vmcnt(15) lgkmcnt(1)
	v_mul_f32_e32 v109, v85, v108
	v_mul_f32_e32 v91, v86, v108
	s_waitcnt vmcnt(14)
	v_mul_f32_e32 v108, v87, v107
	v_mul_f32_e32 v107, v88, v107
	v_fmac_f32_e32 v109, v86, v104
	v_fma_f32 v104, v85, v104, -v91
	ds_read_b128 v[89:92], v80 offset:496
	s_waitcnt vmcnt(10)
	v_fmac_f32_e32 v108, v88, v119
	v_fma_f32 v107, v87, v119, -v107
	s_clause 0x1
	buffer_load_dword v110, off, s[0:3], 0 offset:204
	buffer_load_dword v119, off, s[0:3], 0 offset:212
	s_waitcnt vmcnt(11) lgkmcnt(1)
	v_mul_f32_e32 v121, v81, v118
	v_mul_f32_e32 v85, v82, v118
	buffer_load_dword v118, off, s[0:3], 0 offset:220
	s_waitcnt vmcnt(11)
	v_mul_f32_e32 v122, v83, v117
	v_mul_f32_e32 v86, v84, v117
	v_fmac_f32_e32 v121, v82, v115
	v_fma_f32 v115, v81, v115, -v85
	s_waitcnt vmcnt(10) lgkmcnt(0)
	v_mul_f32_e32 v117, v89, v116
	v_mul_f32_e32 v81, v90, v116
	s_clause 0x3
	buffer_load_dword v116, off, s[0:3], 0 offset:240
	buffer_load_dword v123, off, s[0:3], 0 offset:232
	buffer_load_dword v124, off, s[0:3], 0 offset:224
	buffer_load_dword v125, off, s[0:3], 0 offset:216
	s_waitcnt vmcnt(13)
	v_mul_f32_e32 v126, v91, v114
	v_mul_f32_e32 v82, v92, v114
	v_fmac_f32_e32 v117, v90, v112
	v_fma_f32 v112, v89, v112, -v81
	buffer_load_dword v114, off, s[0:3], 0 offset:228
	v_add_f32_e32 v81, 0, v136
	s_waitcnt vmcnt(10)
	v_fmac_f32_e32 v126, v92, v135
	v_fma_f32 v127, v91, v135, -v82
	s_clause 0x1
	buffer_load_dword v135, off, s[0:3], 0 offset:236
	buffer_load_dword v136, off, s[0:3], 0 offset:244
	v_add_f32_e32 v81, v81, v137
	v_add_f32_e32 v82, 0, v139
	s_clause 0x3
	buffer_load_dword v137, off, s[0:3], 0 offset:252
	buffer_load_dword v139, off, s[0:3], 0 offset:260
	;; [unrolled: 1-line block ×4, first 2 shown]
	v_fmac_f32_e32 v122, v84, v113
	v_fma_f32 v113, v83, v113, -v86
	v_add_f32_e32 v81, v81, v141
	v_add_f32_e32 v82, v82, v140
	s_clause 0x1
	buffer_load_dword v140, off, s[0:3], 0 offset:284
	buffer_load_dword v141, off, s[0:3], 0 offset:292
	v_add_f32_e32 v81, v81, v142
	v_add_f32_e32 v82, v82, v143
	s_clause 0x1
	buffer_load_dword v142, off, s[0:3], 0 offset:300
	buffer_load_dword v143, off, s[0:3], 0 offset:308
	v_add_f32_e32 v81, v81, v144
	s_clause 0x3
	buffer_load_dword v144, off, s[0:3], 0 offset:272
	buffer_load_dword v149, off, s[0:3], 0 offset:264
	;; [unrolled: 1-line block ×4, first 2 shown]
	v_add_f32_e32 v82, v82, v96
	v_add_f32_e32 v81, v81, v95
	;; [unrolled: 1-line block ×7, first 2 shown]
	s_clause 0x3
	buffer_load_dword v128, off, s[0:3], 0 offset:304
	buffer_load_dword v129, off, s[0:3], 0 offset:296
	buffer_load_dword v130, off, s[0:3], 0 offset:288
	buffer_load_dword v131, off, s[0:3], 0 offset:280
	v_add_f32_e32 v81, v81, v145
	v_add_f32_e32 v82, v82, v103
	buffer_load_dword v103, off, s[0:3], 0 offset:24
	v_add_f32_e32 v85, v81, v146
	v_add_f32_e32 v82, v82, v93
	;; [unrolled: 1-line block ×4, first 2 shown]
	ds_read_b128 v[81:84], v80 offset:512
	v_add_f32_e32 v89, v85, v100
	v_add_f32_e32 v86, v86, v97
	;; [unrolled: 1-line block ×6, first 2 shown]
	ds_read_b128 v[85:88], v80 offset:528
	v_add_f32_e32 v93, v89, v109
	v_add_f32_e32 v90, v90, v105
	;; [unrolled: 1-line block ×4, first 2 shown]
	s_waitcnt vmcnt(27) lgkmcnt(1)
	v_mul_f32_e32 v106, v81, v99
	v_mul_f32_e32 v91, v82, v99
	v_fmac_f32_e32 v106, v82, v134
	v_add_f32_e32 v82, v90, v104
	v_fma_f32 v104, v81, v134, -v91
	v_add_f32_e32 v97, v82, v107
	v_add_f32_e32 v97, v97, v115
	v_add_f32_e32 v97, v97, v113
	s_waitcnt vmcnt(26)
	v_mul_f32_e32 v105, v83, v110
	s_waitcnt vmcnt(25) lgkmcnt(0)
	v_mul_f32_e32 v99, v86, v119
	v_mul_f32_e32 v107, v85, v119
	;; [unrolled: 1-line block ×3, first 2 shown]
	v_fmac_f32_e32 v105, v84, v133
	v_fma_f32 v110, v85, v132, -v99
	v_add_f32_e32 v85, v98, v122
	v_fmac_f32_e32 v107, v86, v132
	v_add_f32_e32 v86, v97, v112
	v_fma_f32 v109, v83, v133, -v92
	ds_read_b128 v[81:84], v80 offset:544
	ds_read_b128 v[89:92], v80 offset:560
	v_add_f32_e32 v112, v85, v117
	s_waitcnt vmcnt(24)
	v_mul_f32_e32 v101, v88, v118
	v_add_f32_e32 v113, v86, v127
	v_mul_f32_e32 v108, v87, v118
	ds_read_b128 v[93:96], v80 offset:576
	ds_read_b128 v[97:100], v80 offset:592
	v_add_f32_e32 v112, v112, v126
	v_add_f32_e32 v104, v113, v104
	s_waitcnt vmcnt(20)
	v_fma_f32 v111, v87, v125, -v101
	v_fmac_f32_e32 v108, v88, v125
	ds_read_b128 v[85:88], v80 offset:608
	ds_read_b64 v[101:102], v80 offset:624
	v_add_f32_e32 v106, v112, v106
	v_add_f32_e32 v104, v104, v109
	;; [unrolled: 1-line block ×4, first 2 shown]
	s_waitcnt vmcnt(19) lgkmcnt(5)
	v_mul_f32_e32 v113, v82, v114
	v_mul_f32_e32 v115, v81, v114
	s_waitcnt vmcnt(18)
	v_mul_f32_e32 v114, v84, v135
	v_add_f32_e32 v105, v105, v107
	v_add_f32_e32 v104, v104, v111
	v_fma_f32 v81, v81, v124, -v113
	v_mul_f32_e32 v117, v83, v135
	v_fmac_f32_e32 v115, v82, v124
	v_add_f32_e32 v105, v105, v108
	s_waitcnt vmcnt(17) lgkmcnt(4)
	v_mul_f32_e32 v113, v90, v136
	v_fma_f32 v83, v83, v123, -v114
	v_add_f32_e32 v81, v104, v81
	v_mul_f32_e32 v112, v89, v136
	v_fmac_f32_e32 v117, v84, v123
	v_add_f32_e32 v84, v105, v115
	s_waitcnt vmcnt(16)
	v_mul_f32_e32 v104, v92, v137
	v_fma_f32 v89, v89, v116, -v113
	v_add_f32_e32 v81, v81, v83
	v_mul_f32_e32 v109, v91, v137
	v_fmac_f32_e32 v112, v90, v116
	v_add_f32_e32 v83, v84, v117
	s_waitcnt vmcnt(15) lgkmcnt(3)
	v_mul_f32_e32 v84, v94, v139
	s_waitcnt vmcnt(5)
	v_fma_f32 v90, v91, v151, -v104
	v_add_f32_e32 v81, v81, v89
	v_mul_f32_e32 v118, v93, v139
	v_fmac_f32_e32 v109, v92, v151
	v_add_f32_e32 v83, v83, v112
	v_mul_f32_e32 v89, v96, v147
	v_fma_f32 v84, v93, v150, -v84
	v_add_f32_e32 v81, v81, v90
	v_mul_f32_e32 v106, v95, v147
	v_fmac_f32_e32 v118, v94, v150
	v_add_f32_e32 v83, v83, v109
	s_waitcnt lgkmcnt(2)
	v_mul_f32_e32 v90, v98, v148
	v_fma_f32 v89, v95, v149, -v89
	v_add_f32_e32 v81, v81, v84
	v_mul_f32_e32 v110, v97, v148
	v_fmac_f32_e32 v106, v96, v149
	v_add_f32_e32 v83, v83, v118
	v_mul_f32_e32 v84, v100, v140
	v_fma_f32 v90, v97, v144, -v90
	v_add_f32_e32 v81, v81, v89
	v_mul_f32_e32 v82, v99, v140
	v_fmac_f32_e32 v110, v98, v144
	v_add_f32_e32 v83, v83, v106
	s_waitcnt lgkmcnt(1)
	v_mul_f32_e32 v89, v86, v141
	s_waitcnt vmcnt(1)
	v_fma_f32 v84, v99, v131, -v84
	v_add_f32_e32 v81, v81, v90
	v_mul_f32_e32 v107, v85, v141
	v_fmac_f32_e32 v82, v100, v131
	v_add_f32_e32 v83, v83, v110
	v_mul_f32_e32 v90, v88, v142
	v_fma_f32 v85, v85, v130, -v89
	v_add_f32_e32 v81, v81, v84
	v_mul_f32_e32 v111, v87, v142
	v_fmac_f32_e32 v107, v86, v130
	v_add_f32_e32 v82, v83, v82
	s_waitcnt lgkmcnt(0)
	v_mul_f32_e32 v83, v102, v143
	v_fma_f32 v84, v87, v129, -v90
	v_add_f32_e32 v81, v81, v85
	v_mul_f32_e32 v108, v101, v143
	v_fmac_f32_e32 v111, v88, v129
	v_add_f32_e32 v82, v82, v107
	v_fma_f32 v83, v101, v128, -v83
	v_add_f32_e32 v81, v81, v84
	v_fmac_f32_e32 v108, v102, v128
	v_add_f32_e32 v82, v82, v111
	v_add_f32_e32 v81, v81, v83
	;; [unrolled: 1-line block ×3, first 2 shown]
	s_waitcnt vmcnt(0)
	v_sub_f32_e32 v81, v103, v81
	v_sub_f32_e32 v82, v138, v82
	buffer_store_dword v81, off, s[0:3], 0 offset:24
	buffer_store_dword v82, off, s[0:3], 0 offset:28
	v_cmpx_lt_u32_e32 2, v0
	s_cbranch_execz .LBB38_243
; %bb.242:
	s_clause 0x1
	buffer_load_dword v81, off, s[0:3], 0 offset:16
	buffer_load_dword v82, off, s[0:3], 0 offset:20
	buffer_store_dword v80, off, s[0:3], 0 offset:16
	buffer_store_dword v80, off, s[0:3], 0 offset:20
	s_waitcnt vmcnt(0)
	ds_write_b64 v79, v[81:82]
.LBB38_243:
	s_or_b32 exec_lo, exec_lo, s4
	s_waitcnt lgkmcnt(0)
	s_waitcnt_vscnt null, 0x0
	s_barrier
	buffer_gl0_inv
	s_clause 0x2a
	buffer_load_dword v86, off, s[0:3], 0 offset:28
	buffer_load_dword v87, off, s[0:3], 0 offset:36
	;; [unrolled: 1-line block ×43, first 2 shown]
	ds_read2_b64 v[120:123], v80 offset0:43 offset1:44
	ds_read2_b64 v[124:127], v80 offset0:45 offset1:46
	;; [unrolled: 1-line block ×3, first 2 shown]
	buffer_load_dword v138, off, s[0:3], 0 offset:20
	s_mov_b32 s4, exec_lo
	s_waitcnt vmcnt(43) lgkmcnt(2)
	v_mul_f32_e32 v136, v120, v86
	s_waitcnt vmcnt(42)
	v_mul_f32_e32 v137, v122, v87
	v_mul_f32_e32 v86, v121, v86
	;; [unrolled: 1-line block ×3, first 2 shown]
	s_waitcnt vmcnt(39)
	v_fmac_f32_e32 v136, v121, v85
	v_fmac_f32_e32 v137, v123, v84
	v_fma_f32 v139, v120, v85, -v86
	v_fma_f32 v140, v122, v84, -v87
	ds_read2_b64 v[84:87], v80 offset0:49 offset1:50
	ds_read2_b64 v[120:123], v80 offset0:51 offset1:52
	s_waitcnt vmcnt(38) lgkmcnt(3)
	v_mul_f32_e32 v141, v124, v82
	s_waitcnt vmcnt(37)
	v_mul_f32_e32 v142, v126, v83
	v_mul_f32_e32 v82, v125, v82
	;; [unrolled: 1-line block ×3, first 2 shown]
	v_fmac_f32_e32 v141, v125, v81
	s_waitcnt vmcnt(33)
	v_fmac_f32_e32 v142, v127, v95
	v_fma_f32 v124, v124, v81, -v82
	v_fma_f32 v125, v126, v95, -v83
	s_waitcnt vmcnt(32) lgkmcnt(2)
	v_mul_f32_e32 v126, v128, v93
	s_waitcnt vmcnt(31)
	v_mul_f32_e32 v127, v130, v94
	v_mul_f32_e32 v81, v129, v93
	;; [unrolled: 1-line block ×3, first 2 shown]
	v_fmac_f32_e32 v126, v129, v92
	v_fmac_f32_e32 v127, v131, v89
	v_fma_f32 v128, v128, v92, -v81
	v_fma_f32 v129, v130, v89, -v82
	ds_read2_b64 v[92:95], v80 offset0:53 offset1:54
	s_waitcnt vmcnt(29) lgkmcnt(2)
	v_mul_f32_e32 v131, v86, v91
	v_mul_f32_e32 v81, v85, v90
	;; [unrolled: 1-line block ×4, first 2 shown]
	s_waitcnt vmcnt(24) lgkmcnt(1)
	v_mul_f32_e32 v144, v120, v101
	v_fmac_f32_e32 v131, v87, v103
	v_fma_f32 v143, v84, v88, -v81
	v_fma_f32 v103, v86, v103, -v82
	ds_read2_b64 v[81:84], v80 offset0:55 offset1:56
	v_fmac_f32_e32 v130, v85, v88
	s_waitcnt vmcnt(23)
	v_mul_f32_e32 v145, v122, v102
	v_mul_f32_e32 v85, v121, v101
	;; [unrolled: 1-line block ×3, first 2 shown]
	v_fmac_f32_e32 v144, v121, v100
	v_fmac_f32_e32 v145, v123, v97
	v_fma_f32 v100, v120, v100, -v85
	v_fma_f32 v97, v122, v97, -v86
	ds_read2_b64 v[85:88], v80 offset0:57 offset1:58
	s_waitcnt vmcnt(22) lgkmcnt(2)
	v_mul_f32_e32 v101, v92, v98
	s_waitcnt vmcnt(21)
	v_mul_f32_e32 v102, v94, v99
	v_mul_f32_e32 v89, v93, v98
	;; [unrolled: 1-line block ×3, first 2 shown]
	v_fmac_f32_e32 v101, v93, v96
	s_waitcnt vmcnt(17)
	v_fmac_f32_e32 v102, v95, v111
	v_fma_f32 v93, v92, v96, -v89
	v_fma_f32 v94, v94, v111, -v90
	s_waitcnt vmcnt(16) lgkmcnt(1)
	v_mul_f32_e32 v95, v81, v109
	s_waitcnt vmcnt(15)
	v_mul_f32_e32 v96, v83, v110
	v_mul_f32_e32 v98, v82, v109
	;; [unrolled: 1-line block ×3, first 2 shown]
	ds_read2_b64 v[89:92], v80 offset0:59 offset1:60
	v_fmac_f32_e32 v95, v82, v108
	v_fmac_f32_e32 v96, v84, v105
	v_fma_f32 v98, v81, v108, -v98
	v_fma_f32 v99, v83, v105, -v99
	s_clause 0x1
	buffer_load_dword v105, off, s[0:3], 0 offset:188
	buffer_load_dword v108, off, s[0:3], 0 offset:196
	s_waitcnt vmcnt(16) lgkmcnt(1)
	v_mul_f32_e32 v109, v85, v106
	v_mul_f32_e32 v81, v86, v106
	s_waitcnt vmcnt(15)
	v_mul_f32_e32 v82, v88, v107
	v_mul_f32_e32 v110, v87, v107
	buffer_load_dword v107, off, s[0:3], 0 offset:204
	v_fmac_f32_e32 v109, v86, v104
	v_fma_f32 v104, v85, v104, -v81
	s_waitcnt vmcnt(12)
	v_fma_f32 v106, v87, v119, -v82
	ds_read2_b64 v[81:84], v80 offset0:61 offset1:62
	v_fmac_f32_e32 v110, v88, v119
	s_waitcnt vmcnt(11) lgkmcnt(1)
	v_mul_f32_e32 v111, v89, v117
	s_waitcnt vmcnt(10)
	v_mul_f32_e32 v119, v91, v118
	v_mul_f32_e32 v85, v90, v117
	;; [unrolled: 1-line block ×3, first 2 shown]
	s_clause 0x5
	buffer_load_dword v117, off, s[0:3], 0 offset:212
	buffer_load_dword v118, off, s[0:3], 0 offset:232
	;; [unrolled: 1-line block ×6, first 2 shown]
	v_fmac_f32_e32 v111, v90, v116
	v_fma_f32 v116, v89, v116, -v85
	v_fmac_f32_e32 v119, v92, v115
	v_fma_f32 v115, v91, v115, -v86
	s_waitcnt vmcnt(15) lgkmcnt(0)
	v_mul_f32_e32 v123, v81, v114
	v_mul_f32_e32 v85, v82, v114
	s_waitcnt vmcnt(14)
	v_mul_f32_e32 v114, v83, v113
	v_fmac_f32_e32 v123, v82, v112
	v_add_f32_e32 v82, 0, v136
	v_fma_f32 v112, v81, v112, -v85
	v_add_f32_e32 v81, 0, v139
	v_mul_f32_e32 v85, v84, v113
	s_clause 0x1
	buffer_load_dword v113, off, s[0:3], 0 offset:228
	buffer_load_dword v136, off, s[0:3], 0 offset:236
	v_add_f32_e32 v82, v82, v137
	v_add_f32_e32 v81, v81, v140
	buffer_load_dword v137, off, s[0:3], 0 offset:244
	s_waitcnt vmcnt(13)
	v_fmac_f32_e32 v114, v84, v135
	v_fma_f32 v135, v83, v135, -v85
	v_add_f32_e32 v82, v82, v141
	v_add_f32_e32 v81, v81, v124
	s_clause 0x2
	buffer_load_dword v124, off, s[0:3], 0 offset:252
	buffer_load_dword v139, off, s[0:3], 0 offset:260
	;; [unrolled: 1-line block ×3, first 2 shown]
	v_add_f32_e32 v82, v82, v142
	v_add_f32_e32 v81, v81, v125
	s_clause 0x3
	buffer_load_dword v125, off, s[0:3], 0 offset:276
	buffer_load_dword v141, off, s[0:3], 0 offset:284
	;; [unrolled: 1-line block ×4, first 2 shown]
	v_add_f32_e32 v82, v82, v126
	v_add_f32_e32 v81, v81, v128
	buffer_load_dword v126, off, s[0:3], 0 offset:308
	v_add_f32_e32 v82, v82, v127
	v_add_f32_e32 v81, v81, v129
	s_clause 0x3
	buffer_load_dword v127, off, s[0:3], 0 offset:264
	buffer_load_dword v128, off, s[0:3], 0 offset:256
	;; [unrolled: 1-line block ×4, first 2 shown]
	v_add_f32_e32 v82, v82, v130
	v_add_f32_e32 v81, v81, v143
	;; [unrolled: 1-line block ×3, first 2 shown]
	s_clause 0x4
	buffer_load_dword v130, off, s[0:3], 0 offset:296
	buffer_load_dword v131, off, s[0:3], 0 offset:288
	;; [unrolled: 1-line block ×5, first 2 shown]
	v_add_f32_e32 v81, v81, v103
	v_add_f32_e32 v82, v82, v144
	buffer_load_dword v144, off, s[0:3], 0 offset:304
	v_add_f32_e32 v81, v81, v100
	v_add_f32_e32 v82, v82, v145
	;; [unrolled: 1-line block ×5, first 2 shown]
	ds_read2_b64 v[81:84], v80 offset0:63 offset1:64
	v_add_f32_e32 v85, v85, v102
	v_add_f32_e32 v86, v86, v94
	;; [unrolled: 1-line block ×4, first 2 shown]
	ds_read2_b64 v[85:88], v80 offset0:65 offset1:66
	v_add_f32_e32 v89, v89, v96
	v_add_f32_e32 v90, v90, v99
	v_add_f32_e32 v89, v89, v109
	v_add_f32_e32 v93, v90, v104
	v_add_f32_e32 v94, v89, v110
	v_add_f32_e32 v93, v93, v106
	v_add_f32_e32 v94, v94, v111
	v_add_f32_e32 v93, v93, v116
	v_add_f32_e32 v97, v93, v115
	v_add_f32_e32 v102, v97, v112
	s_waitcnt vmcnt(29) lgkmcnt(1)
	v_mul_f32_e32 v101, v81, v105
	v_mul_f32_e32 v91, v82, v105
	s_waitcnt vmcnt(28)
	v_mul_f32_e32 v105, v83, v108
	v_mul_f32_e32 v92, v84, v108
	v_fmac_f32_e32 v101, v82, v134
	v_fma_f32 v108, v81, v134, -v91
	v_fmac_f32_e32 v105, v84, v133
	v_fma_f32 v109, v83, v133, -v92
	ds_read2_b64 v[81:84], v80 offset0:67 offset1:68
	ds_read2_b64 v[89:92], v80 offset0:69 offset1:70
	s_waitcnt vmcnt(27) lgkmcnt(2)
	v_mul_f32_e32 v110, v85, v107
	v_mul_f32_e32 v95, v86, v107
	v_fmac_f32_e32 v110, v86, v132
	v_add_f32_e32 v86, v94, v119
	v_fma_f32 v107, v85, v132, -v95
	s_waitcnt vmcnt(26)
	v_mul_f32_e32 v106, v87, v117
	v_mul_f32_e32 v96, v88, v117
	v_add_f32_e32 v98, v86, v123
	s_waitcnt vmcnt(22)
	v_fmac_f32_e32 v106, v88, v122
	v_fma_f32 v111, v87, v122, -v96
	v_add_f32_e32 v104, v98, v114
	v_add_f32_e32 v114, v102, v135
	s_waitcnt vmcnt(21) lgkmcnt(1)
	v_mul_f32_e32 v112, v81, v146
	v_mul_f32_e32 v103, v82, v146
	ds_read2_b64 v[85:88], v80 offset0:71 offset1:72
	ds_read2_b64 v[93:96], v80 offset0:73 offset1:74
	;; [unrolled: 1-line block ×3, first 2 shown]
	v_fmac_f32_e32 v112, v82, v121
	v_fma_f32 v81, v81, v121, -v103
	v_add_f32_e32 v82, v104, v101
	ds_read2_b64 v[101:104], v80 offset0:77 offset1:78
	v_add_f32_e32 v80, v114, v108
	s_waitcnt vmcnt(20)
	v_mul_f32_e32 v108, v83, v113
	v_add_f32_e32 v82, v82, v105
	v_mul_f32_e32 v113, v84, v113
	v_add_f32_e32 v80, v80, v109
	s_waitcnt vmcnt(19) lgkmcnt(4)
	v_mul_f32_e32 v114, v90, v136
	v_mul_f32_e32 v105, v89, v136
	v_add_f32_e32 v82, v82, v110
	v_fma_f32 v83, v83, v120, -v113
	v_add_f32_e32 v80, v80, v107
	v_fmac_f32_e32 v108, v84, v120
	v_fma_f32 v89, v89, v118, -v114
	v_add_f32_e32 v82, v82, v106
	s_waitcnt vmcnt(18)
	v_mul_f32_e32 v106, v92, v137
	v_add_f32_e32 v80, v80, v111
	v_mul_f32_e32 v109, v91, v137
	v_fmac_f32_e32 v105, v90, v118
	s_waitcnt vmcnt(17) lgkmcnt(3)
	v_mul_f32_e32 v84, v85, v124
	s_waitcnt vmcnt(16)
	v_mul_f32_e32 v113, v87, v139
	v_add_f32_e32 v80, v80, v81
	v_add_f32_e32 v81, v82, v112
	s_waitcnt vmcnt(15) lgkmcnt(2)
	v_mul_f32_e32 v107, v93, v140
	s_waitcnt vmcnt(14)
	v_mul_f32_e32 v110, v95, v125
	s_waitcnt vmcnt(8)
	v_fmac_f32_e32 v113, v88, v128
	v_add_f32_e32 v80, v80, v83
	v_add_f32_e32 v81, v81, v108
	v_mul_f32_e32 v83, v86, v124
	s_waitcnt vmcnt(6)
	v_fma_f32 v90, v91, v148, -v106
	v_fmac_f32_e32 v109, v92, v148
	v_add_f32_e32 v80, v80, v89
	v_add_f32_e32 v81, v81, v105
	v_mul_f32_e32 v89, v88, v139
	v_fma_f32 v83, v85, v129, -v83
	v_fmac_f32_e32 v84, v86, v129
	v_add_f32_e32 v80, v80, v90
	v_add_f32_e32 v81, v81, v109
	v_mul_f32_e32 v85, v94, v140
	;; [unrolled: 5-line block ×3, first 2 shown]
	v_fma_f32 v84, v93, v127, -v85
	s_waitcnt lgkmcnt(1)
	v_mul_f32_e32 v85, v98, v141
	v_add_f32_e32 v80, v80, v86
	v_add_f32_e32 v81, v81, v113
	s_waitcnt vmcnt(2)
	v_fma_f32 v83, v95, v149, -v83
	v_mul_f32_e32 v115, v97, v141
	v_fmac_f32_e32 v110, v96, v149
	v_add_f32_e32 v80, v80, v84
	v_add_f32_e32 v81, v81, v107
	v_mul_f32_e32 v84, v100, v142
	v_fma_f32 v85, v97, v143, -v85
	v_mul_f32_e32 v111, v99, v142
	v_add_f32_e32 v80, v80, v83
	v_fmac_f32_e32 v115, v98, v143
	v_add_f32_e32 v81, v81, v110
	s_waitcnt lgkmcnt(0)
	v_mul_f32_e32 v83, v102, v147
	v_fma_f32 v84, v99, v131, -v84
	v_add_f32_e32 v80, v80, v85
	v_mul_f32_e32 v116, v101, v147
	v_fmac_f32_e32 v111, v100, v131
	v_add_f32_e32 v81, v81, v115
	v_mul_f32_e32 v85, v104, v126
	v_fma_f32 v83, v101, v130, -v83
	v_add_f32_e32 v80, v80, v84
	v_mul_f32_e32 v82, v103, v126
	v_fmac_f32_e32 v116, v102, v130
	v_add_f32_e32 v81, v81, v111
	s_waitcnt vmcnt(0)
	v_fma_f32 v84, v103, v144, -v85
	v_add_f32_e32 v80, v80, v83
	v_fmac_f32_e32 v82, v104, v144
	v_add_f32_e32 v81, v81, v116
	v_add_f32_e32 v80, v80, v84
	;; [unrolled: 1-line block ×3, first 2 shown]
	v_sub_f32_e32 v80, v150, v80
	v_sub_f32_e32 v81, v138, v81
	buffer_store_dword v80, off, s[0:3], 0 offset:16
	buffer_store_dword v81, off, s[0:3], 0 offset:20
	v_cmpx_lt_u32_e32 1, v0
	s_cbranch_execz .LBB38_245
; %bb.244:
	s_clause 0x1
	buffer_load_dword v80, off, s[0:3], 0 offset:8
	buffer_load_dword v81, off, s[0:3], 0 offset:12
	v_mov_b32_e32 v82, 0
	buffer_store_dword v82, off, s[0:3], 0 offset:8
	buffer_store_dword v82, off, s[0:3], 0 offset:12
	s_waitcnt vmcnt(0)
	ds_write_b64 v79, v[80:81]
.LBB38_245:
	s_or_b32 exec_lo, exec_lo, s4
	s_waitcnt lgkmcnt(0)
	s_waitcnt_vscnt null, 0x0
	s_barrier
	buffer_gl0_inv
	s_clause 0x2b
	buffer_load_dword v119, off, s[0:3], 0 offset:20
	buffer_load_dword v81, off, s[0:3], 0 offset:32
	;; [unrolled: 1-line block ×44, first 2 shown]
	v_mov_b32_e32 v80, 0
	ds_read_b128 v[120:123], v80 offset:336
	ds_read_b128 v[124:127], v80 offset:352
	;; [unrolled: 1-line block ×3, first 2 shown]
	buffer_load_dword v138, off, s[0:3], 0 offset:12
	s_mov_b32 s4, exec_lo
	s_waitcnt vmcnt(44) lgkmcnt(2)
	v_mul_f32_e32 v137, v120, v119
	v_mul_f32_e32 v119, v121, v119
	s_waitcnt vmcnt(40)
	v_mul_f32_e32 v140, v122, v88
	v_mul_f32_e32 v88, v123, v88
	v_fmac_f32_e32 v137, v121, v89
	v_fma_f32 v139, v120, v89, -v119
	s_waitcnt vmcnt(39) lgkmcnt(1)
	v_mul_f32_e32 v142, v124, v86
	v_fmac_f32_e32 v140, v123, v84
	v_fma_f32 v141, v122, v84, -v88
	v_mul_f32_e32 v84, v125, v86
	ds_read_b128 v[119:122], v80 offset:384
	v_fmac_f32_e32 v142, v125, v81
	s_waitcnt vmcnt(38)
	v_mul_f32_e32 v144, v126, v83
	s_waitcnt vmcnt(33) lgkmcnt(1)
	v_mul_f32_e32 v145, v128, v92
	v_fma_f32 v143, v124, v81, -v84
	v_mul_f32_e32 v81, v127, v83
	v_fmac_f32_e32 v144, v127, v93
	v_fmac_f32_e32 v145, v129, v90
	v_fma_f32 v127, v126, v93, -v81
	v_mul_f32_e32 v81, v129, v92
	ds_read_b128 v[123:126], v80 offset:400
	s_waitcnt vmcnt(32)
	v_mul_f32_e32 v129, v130, v91
	v_fma_f32 v128, v128, v90, -v81
	v_mul_f32_e32 v81, v131, v91
	v_fmac_f32_e32 v129, v131, v85
	s_waitcnt vmcnt(31) lgkmcnt(1)
	v_mul_f32_e32 v131, v119, v87
	v_fma_f32 v130, v130, v85, -v81
	v_mul_f32_e32 v81, v120, v87
	ds_read_b128 v[83:86], v80 offset:416
	v_fmac_f32_e32 v131, v120, v82
	s_waitcnt vmcnt(30)
	v_mul_f32_e32 v120, v121, v94
	ds_read_b128 v[87:90], v80 offset:432
	v_fma_f32 v119, v119, v82, -v81
	v_mul_f32_e32 v81, v122, v94
	ds_read_b128 v[91:94], v80 offset:448
	s_waitcnt vmcnt(26)
	v_fmac_f32_e32 v120, v122, v102
	v_fma_f32 v102, v121, v102, -v81
	s_waitcnt vmcnt(25) lgkmcnt(3)
	v_mul_f32_e32 v121, v123, v101
	v_mul_f32_e32 v81, v124, v101
	s_waitcnt vmcnt(24)
	v_mul_f32_e32 v101, v125, v99
	v_fmac_f32_e32 v121, v124, v98
	v_fma_f32 v98, v123, v98, -v81
	v_mul_f32_e32 v81, v126, v99
	v_fmac_f32_e32 v101, v126, v96
	s_waitcnt vmcnt(23) lgkmcnt(2)
	v_mul_f32_e32 v99, v83, v97
	v_fma_f32 v96, v125, v96, -v81
	v_mul_f32_e32 v81, v84, v97
	v_fmac_f32_e32 v99, v84, v95
	s_waitcnt vmcnt(22)
	v_mul_f32_e32 v97, v85, v100
	v_fma_f32 v95, v83, v95, -v81
	v_mul_f32_e32 v81, v86, v100
	s_waitcnt vmcnt(18)
	v_fmac_f32_e32 v97, v86, v111
	s_waitcnt vmcnt(14) lgkmcnt(0)
	v_mul_f32_e32 v86, v94, v108
	v_fma_f32 v100, v85, v111, -v81
	v_mul_f32_e32 v111, v87, v110
	v_mul_f32_e32 v81, v88, v110
	;; [unrolled: 1-line block ×5, first 2 shown]
	v_fmac_f32_e32 v111, v88, v107
	v_fma_f32 v107, v87, v107, -v81
	ds_read_b128 v[81:84], v80 offset:464
	v_fmac_f32_e32 v110, v90, v104
	v_fma_f32 v89, v89, v104, -v85
	s_clause 0x2
	buffer_load_dword v90, off, s[0:3], 0 offset:188
	buffer_load_dword v104, off, s[0:3], 0 offset:196
	;; [unrolled: 1-line block ×3, first 2 shown]
	v_mul_f32_e32 v85, v92, v105
	v_mul_f32_e32 v105, v93, v108
	v_add_f32_e32 v87, 0, v137
	v_fmac_f32_e32 v109, v92, v103
	s_waitcnt vmcnt(13)
	v_fma_f32 v92, v93, v118, -v86
	v_fma_f32 v91, v91, v103, -v85
	v_fmac_f32_e32 v105, v94, v118
	v_add_f32_e32 v94, v87, v140
	ds_read_b128 v[85:88], v80 offset:480
	v_add_f32_e32 v93, 0, v139
	v_add_f32_e32 v94, v94, v142
	;; [unrolled: 1-line block ×3, first 2 shown]
	s_waitcnt vmcnt(12) lgkmcnt(1)
	v_mul_f32_e32 v103, v81, v117
	v_mul_f32_e32 v108, v82, v117
	s_clause 0x3
	buffer_load_dword v117, off, s[0:3], 0 offset:224
	buffer_load_dword v118, off, s[0:3], 0 offset:216
	;; [unrolled: 1-line block ×4, first 2 shown]
	v_fmac_f32_e32 v103, v82, v116
	v_fma_f32 v108, v81, v116, -v108
	s_clause 0x1
	buffer_load_dword v116, off, s[0:3], 0 offset:212
	buffer_load_dword v125, off, s[0:3], 0 offset:220
	v_add_f32_e32 v81, v93, v143
	v_add_f32_e32 v82, v94, v144
	s_waitcnt vmcnt(17)
	v_mul_f32_e32 v93, v83, v115
	v_mul_f32_e32 v94, v84, v115
	buffer_load_dword v115, off, s[0:3], 0 offset:228
	v_add_f32_e32 v81, v81, v127
	v_add_f32_e32 v82, v82, v145
	v_fmac_f32_e32 v93, v84, v113
	v_fma_f32 v94, v83, v113, -v94
	v_add_f32_e32 v113, v81, v128
	v_add_f32_e32 v129, v82, v129
	s_clause 0x3
	buffer_load_dword v126, off, s[0:3], 0 offset:236
	buffer_load_dword v127, off, s[0:3], 0 offset:244
	;; [unrolled: 1-line block ×4, first 2 shown]
	ds_read_b128 v[81:84], v80 offset:496
	v_add_f32_e32 v113, v113, v130
	s_waitcnt vmcnt(21) lgkmcnt(1)
	v_mul_f32_e32 v130, v85, v112
	v_mul_f32_e32 v112, v86, v112
	v_add_f32_e32 v129, v129, v131
	s_waitcnt vmcnt(20)
	v_mul_f32_e32 v131, v87, v114
	v_add_f32_e32 v113, v113, v119
	v_fmac_f32_e32 v130, v86, v106
	v_fma_f32 v106, v85, v106, -v112
	v_add_f32_e32 v85, v129, v120
	v_mul_f32_e32 v114, v88, v114
	v_add_f32_e32 v86, v113, v102
	s_clause 0x3
	buffer_load_dword v112, off, s[0:3], 0 offset:268
	buffer_load_dword v113, off, s[0:3], 0 offset:276
	;; [unrolled: 1-line block ×4, first 2 shown]
	s_waitcnt vmcnt(20)
	v_fmac_f32_e32 v131, v88, v135
	v_add_f32_e32 v85, v85, v121
	v_fma_f32 v102, v87, v135, -v114
	s_clause 0x5
	buffer_load_dword v114, off, s[0:3], 0 offset:300
	buffer_load_dword v121, off, s[0:3], 0 offset:256
	buffer_load_dword v129, off, s[0:3], 0 offset:248
	buffer_load_dword v135, off, s[0:3], 0 offset:240
	buffer_load_dword v139, off, s[0:3], 0 offset:232
	buffer_load_dword v140, off, s[0:3], 0 offset:308
	v_add_f32_e32 v86, v86, v98
	v_add_f32_e32 v85, v85, v101
	s_waitcnt vmcnt(25) lgkmcnt(0)
	v_mul_f32_e32 v101, v81, v136
	v_add_f32_e32 v96, v86, v96
	v_add_f32_e32 v98, v85, v99
	ds_read_b128 v[85:88], v80 offset:512
	v_fmac_f32_e32 v101, v82, v134
	v_add_f32_e32 v95, v96, v95
	v_mul_f32_e32 v96, v82, v136
	v_add_f32_e32 v97, v98, v97
	v_fma_f32 v98, v81, v134, -v96
	v_add_f32_e32 v82, v97, v111
	s_clause 0x3
	buffer_load_dword v111, off, s[0:3], 0 offset:288
	buffer_load_dword v134, off, s[0:3], 0 offset:280
	;; [unrolled: 1-line block ×4, first 2 shown]
	v_add_f32_e32 v81, v95, v100
	v_add_f32_e32 v82, v82, v110
	;; [unrolled: 1-line block ×3, first 2 shown]
	s_clause 0x2
	buffer_load_dword v107, off, s[0:3], 0 offset:304
	buffer_load_dword v110, off, s[0:3], 0 offset:296
	;; [unrolled: 1-line block ×3, first 2 shown]
	v_add_f32_e32 v81, v81, v89
	v_add_f32_e32 v89, v82, v109
	;; [unrolled: 1-line block ×4, first 2 shown]
	s_waitcnt vmcnt(30)
	v_mul_f32_e32 v109, v83, v90
	v_mul_f32_e32 v82, v84, v90
	v_add_f32_e32 v90, v81, v91
	s_waitcnt vmcnt(28) lgkmcnt(0)
	v_mul_f32_e32 v99, v88, v122
	v_mul_f32_e32 v105, v85, v104
	v_fmac_f32_e32 v109, v84, v133
	v_fma_f32 v133, v83, v133, -v82
	ds_read_b128 v[81:84], v80 offset:528
	v_add_f32_e32 v90, v90, v92
	v_mul_f32_e32 v95, v86, v104
	v_mul_f32_e32 v104, v87, v122
	v_fmac_f32_e32 v105, v86, v132
	v_add_f32_e32 v97, v90, v108
	ds_read_b128 v[89:92], v80 offset:544
	v_fma_f32 v103, v85, v132, -v95
	v_add_f32_e32 v97, v97, v94
	s_waitcnt vmcnt(24)
	v_fma_f32 v108, v87, v124, -v99
	v_add_f32_e32 v99, v96, v93
	v_fmac_f32_e32 v104, v88, v124
	v_add_f32_e32 v97, v97, v106
	ds_read_b128 v[85:88], v80 offset:560
	ds_read_b128 v[93:96], v80 offset:576
	v_add_f32_e32 v99, v99, v130
	s_waitcnt vmcnt(23) lgkmcnt(3)
	v_mul_f32_e32 v100, v82, v116
	v_mul_f32_e32 v106, v81, v116
	v_add_f32_e32 v97, v97, v102
	s_waitcnt vmcnt(22)
	v_mul_f32_e32 v116, v83, v125
	v_mul_f32_e32 v102, v84, v125
	v_fma_f32 v122, v81, v123, -v100
	v_add_f32_e32 v81, v99, v131
	v_fmac_f32_e32 v106, v82, v123
	v_add_f32_e32 v123, v97, v98
	v_fmac_f32_e32 v116, v84, v118
	v_fma_f32 v118, v83, v118, -v102
	v_add_f32_e32 v124, v81, v101
	s_waitcnt vmcnt(21) lgkmcnt(2)
	v_mul_f32_e32 v125, v89, v115
	v_add_f32_e32 v123, v123, v133
	v_mul_f32_e32 v115, v90, v115
	ds_read_b128 v[97:100], v80 offset:592
	ds_read_b128 v[81:84], v80 offset:608
	v_add_f32_e32 v109, v124, v109
	v_add_f32_e32 v103, v123, v103
	s_waitcnt vmcnt(20)
	v_mul_f32_e32 v123, v92, v126
	v_fma_f32 v89, v89, v117, -v115
	v_mul_f32_e32 v124, v91, v126
	v_add_f32_e32 v105, v109, v105
	v_add_f32_e32 v103, v103, v108
	v_fmac_f32_e32 v125, v90, v117
	s_waitcnt vmcnt(19) lgkmcnt(3)
	v_mul_f32_e32 v109, v85, v127
	v_mul_f32_e32 v117, v86, v127
	v_add_f32_e32 v104, v105, v104
	v_add_f32_e32 v103, v103, v122
	s_waitcnt vmcnt(8)
	v_fma_f32 v91, v91, v139, -v123
	v_fmac_f32_e32 v124, v92, v139
	v_fmac_f32_e32 v109, v86, v135
	v_add_f32_e32 v104, v104, v106
	v_add_f32_e32 v103, v103, v118
	v_fma_f32 v85, v85, v135, -v117
	v_mul_f32_e32 v108, v87, v128
	s_waitcnt lgkmcnt(2)
	v_mul_f32_e32 v126, v93, v137
	v_add_f32_e32 v104, v104, v116
	v_add_f32_e32 v89, v103, v89
	v_mul_f32_e32 v103, v88, v128
	v_fmac_f32_e32 v108, v88, v129
	v_mul_f32_e32 v88, v96, v112
	v_add_f32_e32 v92, v104, v125
	v_add_f32_e32 v86, v89, v91
	v_mul_f32_e32 v91, v94, v137
	v_fma_f32 v87, v87, v129, -v103
	v_mul_f32_e32 v105, v95, v112
	v_add_f32_e32 v89, v92, v124
	v_add_f32_e32 v85, v86, v85
	v_fmac_f32_e32 v126, v94, v121
	ds_read_b64 v[101:102], v80 offset:624
	s_waitcnt vmcnt(3)
	v_fma_f32 v88, v95, v141, -v88
	v_add_f32_e32 v86, v89, v109
	v_fma_f32 v89, v93, v121, -v91
	v_add_f32_e32 v85, v85, v87
	s_waitcnt lgkmcnt(2)
	v_mul_f32_e32 v87, v98, v113
	v_mul_f32_e32 v122, v97, v113
	v_add_f32_e32 v86, v86, v108
	v_fmac_f32_e32 v105, v96, v141
	v_add_f32_e32 v85, v85, v89
	v_mul_f32_e32 v89, v100, v119
	v_fma_f32 v87, v97, v136, -v87
	v_add_f32_e32 v86, v86, v126
	v_mul_f32_e32 v90, v99, v119
	v_add_f32_e32 v85, v85, v88
	v_fmac_f32_e32 v122, v98, v136
	s_waitcnt lgkmcnt(1)
	v_mul_f32_e32 v106, v81, v120
	v_add_f32_e32 v86, v86, v105
	v_mul_f32_e32 v88, v82, v120
	v_fma_f32 v89, v99, v134, -v89
	v_add_f32_e32 v85, v85, v87
	v_fmac_f32_e32 v90, v100, v134
	v_add_f32_e32 v86, v86, v122
	v_mul_f32_e32 v87, v84, v114
	v_fmac_f32_e32 v106, v82, v111
	v_fma_f32 v81, v81, v111, -v88
	v_add_f32_e32 v82, v85, v89
	v_mul_f32_e32 v115, v83, v114
	v_add_f32_e32 v85, v86, v90
	s_waitcnt lgkmcnt(0)
	v_mul_f32_e32 v86, v102, v140
	s_waitcnt vmcnt(1)
	v_fma_f32 v83, v83, v110, -v87
	v_add_f32_e32 v81, v82, v81
	v_mul_f32_e32 v116, v101, v140
	v_fmac_f32_e32 v115, v84, v110
	v_add_f32_e32 v82, v85, v106
	v_fma_f32 v84, v101, v107, -v86
	v_add_f32_e32 v81, v81, v83
	v_fmac_f32_e32 v116, v102, v107
	v_add_f32_e32 v82, v82, v115
	v_add_f32_e32 v81, v81, v84
	;; [unrolled: 1-line block ×3, first 2 shown]
	s_waitcnt vmcnt(0)
	v_sub_f32_e32 v81, v142, v81
	v_sub_f32_e32 v82, v138, v82
	buffer_store_dword v81, off, s[0:3], 0 offset:8
	buffer_store_dword v82, off, s[0:3], 0 offset:12
	v_cmpx_ne_u32_e32 0, v0
	s_cbranch_execz .LBB38_247
; %bb.246:
	s_clause 0x1
	buffer_load_dword v81, off, s[0:3], 0
	buffer_load_dword v82, off, s[0:3], 0 offset:4
	buffer_store_dword v80, off, s[0:3], 0
	buffer_store_dword v80, off, s[0:3], 0 offset:4
	s_waitcnt vmcnt(0)
	ds_write_b64 v79, v[81:82]
.LBB38_247:
	s_or_b32 exec_lo, exec_lo, s4
	s_waitcnt lgkmcnt(0)
	s_waitcnt_vscnt null, 0x0
	s_barrier
	buffer_gl0_inv
	s_clause 0x2b
	buffer_load_dword v116, off, s[0:3], 0 offset:12
	buffer_load_dword v117, off, s[0:3], 0 offset:20
	;; [unrolled: 1-line block ×44, first 2 shown]
	ds_read2_b64 v[118:121], v80 offset0:41 offset1:42
	ds_read2_b64 v[122:125], v80 offset0:43 offset1:44
	;; [unrolled: 1-line block ×3, first 2 shown]
	buffer_load_dword v137, off, s[0:3], 0 offset:4
	s_and_b32 vcc_lo, exec_lo, s22
	s_waitcnt vmcnt(44) lgkmcnt(2)
	v_mul_f32_e32 v135, v118, v116
	v_mul_f32_e32 v116, v119, v116
	s_waitcnt vmcnt(43)
	v_mul_f32_e32 v136, v120, v117
	v_mul_f32_e32 v117, v121, v117
	s_waitcnt vmcnt(40)
	v_fmac_f32_e32 v135, v119, v86
	v_fma_f32 v138, v118, v86, -v116
	s_waitcnt vmcnt(39) lgkmcnt(1)
	v_mul_f32_e32 v140, v122, v82
	v_fma_f32 v139, v120, v84, -v117
	ds_read2_b64 v[116:119], v80 offset0:47 offset1:48
	v_mul_f32_e32 v82, v123, v82
	s_waitcnt vmcnt(38)
	v_mul_f32_e32 v141, v124, v83
	v_mul_f32_e32 v83, v125, v83
	v_fmac_f32_e32 v136, v121, v84
	v_fmac_f32_e32 v140, v123, v0
	v_fma_f32 v0, v122, v0, -v82
	ds_read2_b64 v[120:123], v80 offset0:49 offset1:50
	s_waitcnt vmcnt(34)
	v_fma_f32 v124, v124, v90, -v83
	s_waitcnt vmcnt(33) lgkmcnt(2)
	v_mul_f32_e32 v82, v127, v89
	s_waitcnt vmcnt(32)
	v_mul_f32_e32 v142, v128, v88
	v_mul_f32_e32 v83, v129, v88
	v_fmac_f32_e32 v141, v125, v90
	v_mul_f32_e32 v125, v126, v89
	v_fma_f32 v126, v126, v85, -v82
	v_fmac_f32_e32 v142, v129, v81
	v_fma_f32 v128, v128, v81, -v83
	ds_read2_b64 v[81:84], v80 offset0:51 offset1:52
	v_fmac_f32_e32 v125, v127, v85
	s_waitcnt vmcnt(31) lgkmcnt(2)
	v_mul_f32_e32 v127, v116, v87
	v_mul_f32_e32 v85, v117, v87
	s_waitcnt vmcnt(30)
	v_mul_f32_e32 v129, v118, v91
	v_mul_f32_e32 v86, v119, v91
	v_fmac_f32_e32 v127, v117, v79
	v_fma_f32 v79, v116, v79, -v85
	s_waitcnt vmcnt(29) lgkmcnt(1)
	v_mul_f32_e32 v116, v120, v92
	v_mul_f32_e32 v89, v121, v92
	s_waitcnt vmcnt(25)
	v_fmac_f32_e32 v129, v119, v98
	v_fma_f32 v98, v118, v98, -v86
	s_waitcnt vmcnt(24)
	v_mul_f32_e32 v117, v122, v97
	v_mul_f32_e32 v90, v123, v97
	ds_read2_b64 v[85:88], v80 offset0:53 offset1:54
	v_fmac_f32_e32 v116, v121, v96
	v_fma_f32 v96, v120, v96, -v89
	v_fmac_f32_e32 v117, v123, v94
	v_fma_f32 v94, v122, v94, -v90
	ds_read2_b64 v[89:92], v80 offset0:55 offset1:56
	s_waitcnt vmcnt(23) lgkmcnt(2)
	v_mul_f32_e32 v97, v81, v95
	v_mul_f32_e32 v95, v82, v95
	s_waitcnt vmcnt(22)
	v_mul_f32_e32 v118, v83, v99
	v_mul_f32_e32 v99, v84, v99
	v_fmac_f32_e32 v97, v82, v93
	v_fma_f32 v93, v81, v93, -v95
	s_waitcnt vmcnt(18)
	v_fmac_f32_e32 v118, v84, v109
	v_fma_f32 v95, v83, v109, -v99
	s_clause 0x2
	buffer_load_dword v99, off, s[0:3], 0 offset:180
	buffer_load_dword v109, off, s[0:3], 0 offset:188
	;; [unrolled: 1-line block ×3, first 2 shown]
	s_waitcnt vmcnt(20) lgkmcnt(1)
	v_mul_f32_e32 v120, v85, v107
	v_mul_f32_e32 v81, v86, v107
	s_waitcnt vmcnt(19)
	v_mul_f32_e32 v107, v87, v106
	v_mul_f32_e32 v82, v88, v106
	s_waitcnt vmcnt(18) lgkmcnt(0)
	v_mul_f32_e32 v106, v89, v104
	v_fmac_f32_e32 v120, v86, v103
	v_fma_f32 v103, v85, v103, -v81
	s_waitcnt vmcnt(17)
	v_mul_f32_e32 v85, v92, v110
	v_fmac_f32_e32 v107, v88, v101
	v_fma_f32 v101, v87, v101, -v82
	ds_read2_b64 v[81:84], v80 offset0:57 offset1:58
	v_mul_f32_e32 v104, v90, v104
	v_mul_f32_e32 v121, v91, v110
	v_fmac_f32_e32 v106, v90, v100
	s_waitcnt vmcnt(13)
	v_fma_f32 v90, v91, v115, -v85
	v_add_f32_e32 v85, 0, v135
	v_fma_f32 v89, v89, v100, -v104
	v_fmac_f32_e32 v121, v92, v115
	s_clause 0x3
	buffer_load_dword v110, off, s[0:3], 0 offset:216
	buffer_load_dword v100, off, s[0:3], 0 offset:208
	;; [unrolled: 1-line block ×4, first 2 shown]
	v_add_f32_e32 v86, 0, v138
	v_add_f32_e32 v85, v85, v136
	s_clause 0x2
	buffer_load_dword v122, off, s[0:3], 0 offset:204
	buffer_load_dword v123, off, s[0:3], 0 offset:212
	;; [unrolled: 1-line block ×3, first 2 shown]
	v_add_f32_e32 v86, v86, v139
	v_add_f32_e32 v91, v85, v140
	v_add_f32_e32 v0, v86, v0
	v_add_f32_e32 v91, v91, v141
	s_waitcnt vmcnt(19) lgkmcnt(0)
	v_mul_f32_e32 v92, v81, v114
	ds_read2_b64 v[85:88], v80 offset0:59 offset1:60
	v_mul_f32_e32 v114, v82, v114
	v_add_f32_e32 v0, v0, v124
	s_waitcnt vmcnt(18)
	v_mul_f32_e32 v124, v83, v113
	v_mul_f32_e32 v113, v84, v113
	v_fmac_f32_e32 v92, v82, v112
	v_add_f32_e32 v82, v91, v125
	v_fma_f32 v91, v81, v112, -v114
	v_fmac_f32_e32 v124, v84, v111
	v_fma_f32 v111, v83, v111, -v113
	v_add_f32_e32 v0, v0, v126
	v_add_f32_e32 v81, v82, v142
	s_clause 0x7
	buffer_load_dword v112, off, s[0:3], 0 offset:228
	buffer_load_dword v113, off, s[0:3], 0 offset:236
	;; [unrolled: 1-line block ×8, first 2 shown]
	v_add_f32_e32 v0, v0, v128
	v_add_f32_e32 v81, v81, v127
	buffer_load_dword v127, off, s[0:3], 0 offset:260
	v_add_f32_e32 v0, v0, v79
	v_add_f32_e32 v79, v81, v129
	s_waitcnt vmcnt(26) lgkmcnt(0)
	v_mul_f32_e32 v128, v85, v108
	v_mul_f32_e32 v82, v86, v108
	s_waitcnt vmcnt(25)
	v_mul_f32_e32 v81, v88, v105
	v_add_f32_e32 v0, v0, v98
	v_add_f32_e32 v79, v79, v116
	v_mul_f32_e32 v98, v87, v105
	s_clause 0x2
	buffer_load_dword v108, off, s[0:3], 0 offset:268
	buffer_load_dword v129, off, s[0:3], 0 offset:276
	buffer_load_dword v140, off, s[0:3], 0 offset:284
	v_fmac_f32_e32 v128, v86, v102
	v_fma_f32 v102, v85, v102, -v82
	s_clause 0x2
	buffer_load_dword v141, off, s[0:3], 0 offset:292
	buffer_load_dword v142, off, s[0:3], 0 offset:300
	;; [unrolled: 1-line block ×3, first 2 shown]
	s_waitcnt vmcnt(27)
	v_fmac_f32_e32 v98, v88, v133
	v_fma_f32 v116, v87, v133, -v81
	ds_read2_b64 v[81:84], v80 offset0:61 offset1:62
	v_add_f32_e32 v79, v79, v117
	s_clause 0x3
	buffer_load_dword v117, off, s[0:3], 0 offset:280
	buffer_load_dword v133, off, s[0:3], 0 offset:272
	;; [unrolled: 1-line block ×4, first 2 shown]
	ds_read2_b64 v[85:88], v80 offset0:63 offset1:64
	v_add_f32_e32 v0, v0, v96
	v_add_f32_e32 v79, v79, v97
	;; [unrolled: 1-line block ×7, first 2 shown]
	s_waitcnt vmcnt(30) lgkmcnt(1)
	v_mul_f32_e32 v93, v82, v134
	v_add_f32_e32 v79, v79, v107
	s_clause 0x2
	buffer_load_dword v107, off, s[0:3], 0 offset:304
	buffer_load_dword v118, off, s[0:3], 0 offset:296
	;; [unrolled: 1-line block ×3, first 2 shown]
	v_mul_f32_e32 v97, v81, v134
	v_add_f32_e32 v0, v0, v103
	v_fma_f32 v103, v81, v132, -v93
	v_add_f32_e32 v79, v79, v106
	buffer_load_dword v106, off, s[0:3], 0
	v_fmac_f32_e32 v97, v82, v132
	v_add_f32_e32 v0, v0, v101
	v_add_f32_e32 v79, v79, v121
	;; [unrolled: 1-line block ×7, first 2 shown]
	ds_read2_b64 v[89:92], v80 offset0:67 offset1:68
	v_add_f32_e32 v79, v79, v128
	v_add_f32_e32 v0, v0, v111
	;; [unrolled: 1-line block ×7, first 2 shown]
	s_waitcnt vmcnt(32)
	v_mul_f32_e32 v101, v83, v99
	v_mul_f32_e32 v81, v84, v99
	s_waitcnt vmcnt(31) lgkmcnt(1)
	v_mul_f32_e32 v93, v86, v109
	s_waitcnt vmcnt(30)
	v_mul_f32_e32 v94, v88, v119
	v_fmac_f32_e32 v101, v84, v131
	v_fma_f32 v121, v83, v131, -v81
	ds_read2_b64 v[81:84], v80 offset0:65 offset1:66
	v_mul_f32_e32 v131, v85, v109
	v_mul_f32_e32 v109, v87, v119
	v_fma_f32 v119, v85, v130, -v93
	v_add_f32_e32 v0, v0, v121
	v_add_f32_e32 v79, v79, v101
	v_fmac_f32_e32 v131, v86, v130
	v_add_f32_e32 v0, v0, v119
	v_add_f32_e32 v79, v79, v131
	s_waitcnt vmcnt(26)
	v_fma_f32 v111, v87, v115, -v94
	v_fmac_f32_e32 v109, v88, v115
	ds_read2_b64 v[85:88], v80 offset0:69 offset1:70
	ds_read2_b64 v[93:96], v80 offset0:71 offset1:72
	s_waitcnt vmcnt(25) lgkmcnt(2)
	v_mul_f32_e32 v98, v82, v122
	v_mul_f32_e32 v115, v81, v122
	s_waitcnt vmcnt(24)
	v_mul_f32_e32 v99, v84, v123
	v_add_f32_e32 v0, v0, v111
	v_mul_f32_e32 v124, v83, v123
	v_fma_f32 v116, v81, v104, -v98
	v_fmac_f32_e32 v115, v82, v104
	v_add_f32_e32 v79, v79, v109
	v_fma_f32 v122, v83, v100, -v99
	s_waitcnt vmcnt(23)
	v_mul_f32_e32 v121, v90, v135
	v_add_f32_e32 v0, v0, v116
	v_fmac_f32_e32 v124, v84, v100
	ds_read2_b64 v[81:84], v80 offset0:73 offset1:74
	ds_read2_b64 v[97:100], v80 offset0:75 offset1:76
	;; [unrolled: 1-line block ×3, first 2 shown]
	v_mul_f32_e32 v80, v89, v135
	v_add_f32_e32 v79, v79, v115
	s_waitcnt vmcnt(22)
	v_mul_f32_e32 v119, v91, v112
	v_mul_f32_e32 v112, v92, v112
	v_fma_f32 v89, v89, v110, -v121
	v_add_f32_e32 v0, v0, v122
	v_fmac_f32_e32 v80, v90, v110
	v_add_f32_e32 v79, v79, v124
	s_waitcnt vmcnt(21) lgkmcnt(4)
	v_mul_f32_e32 v109, v85, v113
	v_mul_f32_e32 v113, v86, v113
	s_waitcnt vmcnt(15)
	v_fma_f32 v91, v91, v139, -v112
	v_add_f32_e32 v0, v0, v89
	v_fmac_f32_e32 v119, v92, v139
	v_add_f32_e32 v79, v79, v80
	v_mul_f32_e32 v90, v87, v114
	v_mul_f32_e32 v114, v88, v114
	v_fma_f32 v85, v85, v138, -v113
	v_add_f32_e32 v0, v0, v91
	v_fmac_f32_e32 v109, v86, v138
	v_add_f32_e32 v79, v79, v119
	s_waitcnt lgkmcnt(3)
	v_mul_f32_e32 v86, v94, v125
	v_fma_f32 v87, v87, v136, -v114
	v_add_f32_e32 v0, v0, v85
	v_mul_f32_e32 v110, v93, v125
	v_fmac_f32_e32 v90, v88, v136
	v_add_f32_e32 v79, v79, v109
	s_waitcnt vmcnt(14)
	v_mul_f32_e32 v85, v96, v127
	v_fma_f32 v86, v93, v126, -v86
	v_add_f32_e32 v0, v0, v87
	v_mul_f32_e32 v111, v95, v127
	v_fmac_f32_e32 v110, v94, v126
	v_add_f32_e32 v79, v79, v90
	s_waitcnt vmcnt(13) lgkmcnt(2)
	v_mul_f32_e32 v87, v82, v108
	v_add_f32_e32 v0, v0, v86
	s_waitcnt vmcnt(4)
	v_fma_f32 v85, v95, v144, -v85
	v_mul_f32_e32 v115, v81, v108
	v_fmac_f32_e32 v111, v96, v144
	v_add_f32_e32 v79, v79, v110
	v_mul_f32_e32 v86, v84, v129
	v_fma_f32 v81, v81, v143, -v87
	v_add_f32_e32 v0, v0, v85
	v_mul_f32_e32 v92, v83, v129
	v_fmac_f32_e32 v115, v82, v143
	v_add_f32_e32 v79, v79, v111
	s_waitcnt lgkmcnt(1)
	v_mul_f32_e32 v82, v98, v140
	v_fma_f32 v83, v83, v133, -v86
	v_add_f32_e32 v0, v0, v81
	v_mul_f32_e32 v112, v97, v140
	v_fmac_f32_e32 v92, v84, v133
	v_add_f32_e32 v79, v79, v115
	v_mul_f32_e32 v81, v100, v141
	v_fma_f32 v82, v97, v117, -v82
	v_add_f32_e32 v0, v0, v83
	v_mul_f32_e32 v116, v99, v141
	v_fmac_f32_e32 v112, v98, v117
	v_add_f32_e32 v79, v79, v92
	s_waitcnt lgkmcnt(0)
	v_mul_f32_e32 v83, v102, v142
	s_waitcnt vmcnt(1)
	v_fma_f32 v81, v99, v120, -v81
	v_add_f32_e32 v0, v0, v82
	v_mul_f32_e32 v121, v101, v142
	v_fmac_f32_e32 v116, v100, v120
	v_add_f32_e32 v79, v79, v112
	v_mul_f32_e32 v82, v104, v105
	v_fma_f32 v83, v101, v118, -v83
	v_add_f32_e32 v0, v0, v81
	v_mul_f32_e32 v80, v103, v105
	v_fmac_f32_e32 v121, v102, v118
	v_add_f32_e32 v79, v79, v116
	v_fma_f32 v81, v103, v107, -v82
	v_add_f32_e32 v0, v0, v83
	v_fmac_f32_e32 v80, v104, v107
	v_add_f32_e32 v79, v79, v121
	v_add_f32_e32 v0, v0, v81
	;; [unrolled: 1-line block ×3, first 2 shown]
	s_waitcnt vmcnt(0)
	v_sub_f32_e32 v0, v106, v0
	v_sub_f32_e32 v79, v137, v79
	buffer_store_dword v0, off, s[0:3], 0
	buffer_store_dword v79, off, s[0:3], 0 offset:4
	s_cbranch_vccz .LBB38_324
; %bb.248:
	v_mov_b32_e32 v0, 0
	global_load_dword v79, v0, s[20:21] offset:148
	s_waitcnt vmcnt(0)
	v_add_nc_u32_e32 v79, -1, v79
	v_cmp_ne_u32_e32 vcc_lo, 37, v79
	s_cbranch_vccz .LBB38_250
; %bb.249:
	v_lshlrev_b32_e32 v79, 3, v79
	s_clause 0x3
	buffer_load_dword v80, v79, s[0:3], 0 offen
	buffer_load_dword v81, v79, s[0:3], 0 offen offset:4
	buffer_load_dword v82, off, s[0:3], 0 offset:296
	buffer_load_dword v83, off, s[0:3], 0 offset:300
	s_waitcnt vmcnt(3)
	buffer_store_dword v80, off, s[0:3], 0 offset:296
	s_waitcnt vmcnt(2)
	buffer_store_dword v81, off, s[0:3], 0 offset:300
	s_waitcnt vmcnt(1)
	buffer_store_dword v82, v79, s[0:3], 0 offen
	s_waitcnt vmcnt(0)
	buffer_store_dword v83, v79, s[0:3], 0 offen offset:4
.LBB38_250:
	global_load_dword v0, v0, s[20:21] offset:144
	s_waitcnt vmcnt(0)
	v_add_nc_u32_e32 v0, -1, v0
	v_cmp_eq_u32_e32 vcc_lo, 36, v0
	s_cbranch_vccnz .LBB38_252
; %bb.251:
	v_lshlrev_b32_e32 v0, 3, v0
	s_clause 0x3
	buffer_load_dword v79, v0, s[0:3], 0 offen
	buffer_load_dword v80, v0, s[0:3], 0 offen offset:4
	buffer_load_dword v81, off, s[0:3], 0 offset:292
	buffer_load_dword v82, off, s[0:3], 0 offset:288
	s_waitcnt vmcnt(3)
	buffer_store_dword v79, off, s[0:3], 0 offset:288
	s_waitcnt vmcnt(2)
	buffer_store_dword v80, off, s[0:3], 0 offset:292
	s_waitcnt vmcnt(1)
	buffer_store_dword v81, v0, s[0:3], 0 offen offset:4
	s_waitcnt vmcnt(0)
	buffer_store_dword v82, v0, s[0:3], 0 offen
.LBB38_252:
	v_mov_b32_e32 v0, 0
	global_load_dword v79, v0, s[20:21] offset:140
	s_waitcnt vmcnt(0)
	v_add_nc_u32_e32 v79, -1, v79
	v_cmp_eq_u32_e32 vcc_lo, 35, v79
	s_cbranch_vccnz .LBB38_254
; %bb.253:
	v_lshlrev_b32_e32 v79, 3, v79
	s_clause 0x3
	buffer_load_dword v80, v79, s[0:3], 0 offen
	buffer_load_dword v81, v79, s[0:3], 0 offen offset:4
	buffer_load_dword v82, off, s[0:3], 0 offset:280
	buffer_load_dword v83, off, s[0:3], 0 offset:284
	s_waitcnt vmcnt(3)
	buffer_store_dword v80, off, s[0:3], 0 offset:280
	s_waitcnt vmcnt(2)
	buffer_store_dword v81, off, s[0:3], 0 offset:284
	s_waitcnt vmcnt(1)
	buffer_store_dword v82, v79, s[0:3], 0 offen
	s_waitcnt vmcnt(0)
	buffer_store_dword v83, v79, s[0:3], 0 offen offset:4
.LBB38_254:
	global_load_dword v0, v0, s[20:21] offset:136
	s_waitcnt vmcnt(0)
	v_add_nc_u32_e32 v0, -1, v0
	v_cmp_eq_u32_e32 vcc_lo, 34, v0
	s_cbranch_vccnz .LBB38_256
; %bb.255:
	v_lshlrev_b32_e32 v0, 3, v0
	s_clause 0x3
	buffer_load_dword v79, v0, s[0:3], 0 offen
	buffer_load_dword v80, v0, s[0:3], 0 offen offset:4
	buffer_load_dword v81, off, s[0:3], 0 offset:276
	buffer_load_dword v82, off, s[0:3], 0 offset:272
	s_waitcnt vmcnt(3)
	buffer_store_dword v79, off, s[0:3], 0 offset:272
	s_waitcnt vmcnt(2)
	buffer_store_dword v80, off, s[0:3], 0 offset:276
	s_waitcnt vmcnt(1)
	buffer_store_dword v81, v0, s[0:3], 0 offen offset:4
	s_waitcnt vmcnt(0)
	buffer_store_dword v82, v0, s[0:3], 0 offen
.LBB38_256:
	v_mov_b32_e32 v0, 0
	global_load_dword v79, v0, s[20:21] offset:132
	s_waitcnt vmcnt(0)
	v_add_nc_u32_e32 v79, -1, v79
	v_cmp_eq_u32_e32 vcc_lo, 33, v79
	s_cbranch_vccnz .LBB38_258
; %bb.257:
	v_lshlrev_b32_e32 v79, 3, v79
	s_clause 0x3
	buffer_load_dword v80, v79, s[0:3], 0 offen
	buffer_load_dword v81, v79, s[0:3], 0 offen offset:4
	buffer_load_dword v82, off, s[0:3], 0 offset:264
	buffer_load_dword v83, off, s[0:3], 0 offset:268
	s_waitcnt vmcnt(3)
	buffer_store_dword v80, off, s[0:3], 0 offset:264
	s_waitcnt vmcnt(2)
	buffer_store_dword v81, off, s[0:3], 0 offset:268
	s_waitcnt vmcnt(1)
	buffer_store_dword v82, v79, s[0:3], 0 offen
	s_waitcnt vmcnt(0)
	buffer_store_dword v83, v79, s[0:3], 0 offen offset:4
.LBB38_258:
	global_load_dword v0, v0, s[20:21] offset:128
	s_waitcnt vmcnt(0)
	v_add_nc_u32_e32 v0, -1, v0
	v_cmp_eq_u32_e32 vcc_lo, 32, v0
	s_cbranch_vccnz .LBB38_260
; %bb.259:
	v_lshlrev_b32_e32 v0, 3, v0
	s_clause 0x3
	buffer_load_dword v79, v0, s[0:3], 0 offen
	buffer_load_dword v80, v0, s[0:3], 0 offen offset:4
	buffer_load_dword v81, off, s[0:3], 0 offset:260
	buffer_load_dword v82, off, s[0:3], 0 offset:256
	s_waitcnt vmcnt(3)
	buffer_store_dword v79, off, s[0:3], 0 offset:256
	s_waitcnt vmcnt(2)
	buffer_store_dword v80, off, s[0:3], 0 offset:260
	s_waitcnt vmcnt(1)
	buffer_store_dword v81, v0, s[0:3], 0 offen offset:4
	s_waitcnt vmcnt(0)
	buffer_store_dword v82, v0, s[0:3], 0 offen
.LBB38_260:
	v_mov_b32_e32 v0, 0
	global_load_dword v79, v0, s[20:21] offset:124
	s_waitcnt vmcnt(0)
	v_add_nc_u32_e32 v79, -1, v79
	v_cmp_eq_u32_e32 vcc_lo, 31, v79
	s_cbranch_vccnz .LBB38_262
; %bb.261:
	v_lshlrev_b32_e32 v79, 3, v79
	s_clause 0x3
	buffer_load_dword v80, v79, s[0:3], 0 offen
	buffer_load_dword v81, v79, s[0:3], 0 offen offset:4
	buffer_load_dword v82, off, s[0:3], 0 offset:248
	buffer_load_dword v83, off, s[0:3], 0 offset:252
	s_waitcnt vmcnt(3)
	buffer_store_dword v80, off, s[0:3], 0 offset:248
	s_waitcnt vmcnt(2)
	buffer_store_dword v81, off, s[0:3], 0 offset:252
	s_waitcnt vmcnt(1)
	buffer_store_dword v82, v79, s[0:3], 0 offen
	s_waitcnt vmcnt(0)
	buffer_store_dword v83, v79, s[0:3], 0 offen offset:4
.LBB38_262:
	global_load_dword v0, v0, s[20:21] offset:120
	s_waitcnt vmcnt(0)
	v_add_nc_u32_e32 v0, -1, v0
	v_cmp_eq_u32_e32 vcc_lo, 30, v0
	s_cbranch_vccnz .LBB38_264
; %bb.263:
	v_lshlrev_b32_e32 v0, 3, v0
	s_clause 0x3
	buffer_load_dword v79, v0, s[0:3], 0 offen
	buffer_load_dword v80, v0, s[0:3], 0 offen offset:4
	buffer_load_dword v81, off, s[0:3], 0 offset:244
	buffer_load_dword v82, off, s[0:3], 0 offset:240
	s_waitcnt vmcnt(3)
	buffer_store_dword v79, off, s[0:3], 0 offset:240
	s_waitcnt vmcnt(2)
	buffer_store_dword v80, off, s[0:3], 0 offset:244
	s_waitcnt vmcnt(1)
	buffer_store_dword v81, v0, s[0:3], 0 offen offset:4
	s_waitcnt vmcnt(0)
	buffer_store_dword v82, v0, s[0:3], 0 offen
.LBB38_264:
	v_mov_b32_e32 v0, 0
	global_load_dword v79, v0, s[20:21] offset:116
	s_waitcnt vmcnt(0)
	v_add_nc_u32_e32 v79, -1, v79
	v_cmp_eq_u32_e32 vcc_lo, 29, v79
	s_cbranch_vccnz .LBB38_266
; %bb.265:
	v_lshlrev_b32_e32 v79, 3, v79
	s_clause 0x3
	buffer_load_dword v80, v79, s[0:3], 0 offen
	buffer_load_dword v81, v79, s[0:3], 0 offen offset:4
	buffer_load_dword v82, off, s[0:3], 0 offset:232
	buffer_load_dword v83, off, s[0:3], 0 offset:236
	s_waitcnt vmcnt(3)
	buffer_store_dword v80, off, s[0:3], 0 offset:232
	s_waitcnt vmcnt(2)
	buffer_store_dword v81, off, s[0:3], 0 offset:236
	s_waitcnt vmcnt(1)
	buffer_store_dword v82, v79, s[0:3], 0 offen
	s_waitcnt vmcnt(0)
	buffer_store_dword v83, v79, s[0:3], 0 offen offset:4
.LBB38_266:
	global_load_dword v0, v0, s[20:21] offset:112
	s_waitcnt vmcnt(0)
	v_add_nc_u32_e32 v0, -1, v0
	v_cmp_eq_u32_e32 vcc_lo, 28, v0
	s_cbranch_vccnz .LBB38_268
; %bb.267:
	v_lshlrev_b32_e32 v0, 3, v0
	s_clause 0x3
	buffer_load_dword v79, v0, s[0:3], 0 offen
	buffer_load_dword v80, v0, s[0:3], 0 offen offset:4
	buffer_load_dword v81, off, s[0:3], 0 offset:228
	buffer_load_dword v82, off, s[0:3], 0 offset:224
	s_waitcnt vmcnt(3)
	buffer_store_dword v79, off, s[0:3], 0 offset:224
	s_waitcnt vmcnt(2)
	buffer_store_dword v80, off, s[0:3], 0 offset:228
	s_waitcnt vmcnt(1)
	buffer_store_dword v81, v0, s[0:3], 0 offen offset:4
	s_waitcnt vmcnt(0)
	buffer_store_dword v82, v0, s[0:3], 0 offen
.LBB38_268:
	v_mov_b32_e32 v0, 0
	global_load_dword v79, v0, s[20:21] offset:108
	s_waitcnt vmcnt(0)
	v_add_nc_u32_e32 v79, -1, v79
	v_cmp_eq_u32_e32 vcc_lo, 27, v79
	s_cbranch_vccnz .LBB38_270
; %bb.269:
	v_lshlrev_b32_e32 v79, 3, v79
	s_clause 0x3
	buffer_load_dword v80, v79, s[0:3], 0 offen
	buffer_load_dword v81, v79, s[0:3], 0 offen offset:4
	buffer_load_dword v82, off, s[0:3], 0 offset:216
	buffer_load_dword v83, off, s[0:3], 0 offset:220
	s_waitcnt vmcnt(3)
	buffer_store_dword v80, off, s[0:3], 0 offset:216
	s_waitcnt vmcnt(2)
	buffer_store_dword v81, off, s[0:3], 0 offset:220
	s_waitcnt vmcnt(1)
	buffer_store_dword v82, v79, s[0:3], 0 offen
	s_waitcnt vmcnt(0)
	buffer_store_dword v83, v79, s[0:3], 0 offen offset:4
.LBB38_270:
	global_load_dword v0, v0, s[20:21] offset:104
	s_waitcnt vmcnt(0)
	v_add_nc_u32_e32 v0, -1, v0
	v_cmp_eq_u32_e32 vcc_lo, 26, v0
	s_cbranch_vccnz .LBB38_272
; %bb.271:
	v_lshlrev_b32_e32 v0, 3, v0
	s_clause 0x3
	buffer_load_dword v79, v0, s[0:3], 0 offen
	buffer_load_dword v80, v0, s[0:3], 0 offen offset:4
	buffer_load_dword v81, off, s[0:3], 0 offset:212
	buffer_load_dword v82, off, s[0:3], 0 offset:208
	s_waitcnt vmcnt(3)
	buffer_store_dword v79, off, s[0:3], 0 offset:208
	s_waitcnt vmcnt(2)
	buffer_store_dword v80, off, s[0:3], 0 offset:212
	s_waitcnt vmcnt(1)
	buffer_store_dword v81, v0, s[0:3], 0 offen offset:4
	s_waitcnt vmcnt(0)
	buffer_store_dword v82, v0, s[0:3], 0 offen
.LBB38_272:
	v_mov_b32_e32 v0, 0
	global_load_dword v79, v0, s[20:21] offset:100
	s_waitcnt vmcnt(0)
	v_add_nc_u32_e32 v79, -1, v79
	v_cmp_eq_u32_e32 vcc_lo, 25, v79
	s_cbranch_vccnz .LBB38_274
; %bb.273:
	v_lshlrev_b32_e32 v79, 3, v79
	s_clause 0x3
	buffer_load_dword v80, v79, s[0:3], 0 offen
	buffer_load_dword v81, v79, s[0:3], 0 offen offset:4
	buffer_load_dword v82, off, s[0:3], 0 offset:200
	buffer_load_dword v83, off, s[0:3], 0 offset:204
	s_waitcnt vmcnt(3)
	buffer_store_dword v80, off, s[0:3], 0 offset:200
	s_waitcnt vmcnt(2)
	buffer_store_dword v81, off, s[0:3], 0 offset:204
	s_waitcnt vmcnt(1)
	buffer_store_dword v82, v79, s[0:3], 0 offen
	s_waitcnt vmcnt(0)
	buffer_store_dword v83, v79, s[0:3], 0 offen offset:4
.LBB38_274:
	global_load_dword v0, v0, s[20:21] offset:96
	s_waitcnt vmcnt(0)
	v_add_nc_u32_e32 v0, -1, v0
	v_cmp_eq_u32_e32 vcc_lo, 24, v0
	s_cbranch_vccnz .LBB38_276
; %bb.275:
	v_lshlrev_b32_e32 v0, 3, v0
	s_clause 0x3
	buffer_load_dword v79, v0, s[0:3], 0 offen
	buffer_load_dword v80, v0, s[0:3], 0 offen offset:4
	buffer_load_dword v81, off, s[0:3], 0 offset:196
	buffer_load_dword v82, off, s[0:3], 0 offset:192
	s_waitcnt vmcnt(3)
	buffer_store_dword v79, off, s[0:3], 0 offset:192
	s_waitcnt vmcnt(2)
	buffer_store_dword v80, off, s[0:3], 0 offset:196
	s_waitcnt vmcnt(1)
	buffer_store_dword v81, v0, s[0:3], 0 offen offset:4
	s_waitcnt vmcnt(0)
	buffer_store_dword v82, v0, s[0:3], 0 offen
.LBB38_276:
	v_mov_b32_e32 v0, 0
	global_load_dword v79, v0, s[20:21] offset:92
	s_waitcnt vmcnt(0)
	v_add_nc_u32_e32 v79, -1, v79
	v_cmp_eq_u32_e32 vcc_lo, 23, v79
	s_cbranch_vccnz .LBB38_278
; %bb.277:
	v_lshlrev_b32_e32 v79, 3, v79
	s_clause 0x3
	buffer_load_dword v80, v79, s[0:3], 0 offen
	buffer_load_dword v81, v79, s[0:3], 0 offen offset:4
	buffer_load_dword v82, off, s[0:3], 0 offset:184
	buffer_load_dword v83, off, s[0:3], 0 offset:188
	s_waitcnt vmcnt(3)
	buffer_store_dword v80, off, s[0:3], 0 offset:184
	s_waitcnt vmcnt(2)
	buffer_store_dword v81, off, s[0:3], 0 offset:188
	s_waitcnt vmcnt(1)
	buffer_store_dword v82, v79, s[0:3], 0 offen
	s_waitcnt vmcnt(0)
	buffer_store_dword v83, v79, s[0:3], 0 offen offset:4
.LBB38_278:
	global_load_dword v0, v0, s[20:21] offset:88
	s_waitcnt vmcnt(0)
	v_add_nc_u32_e32 v0, -1, v0
	v_cmp_eq_u32_e32 vcc_lo, 22, v0
	s_cbranch_vccnz .LBB38_280
; %bb.279:
	v_lshlrev_b32_e32 v0, 3, v0
	s_clause 0x3
	buffer_load_dword v79, v0, s[0:3], 0 offen
	buffer_load_dword v80, v0, s[0:3], 0 offen offset:4
	buffer_load_dword v81, off, s[0:3], 0 offset:180
	buffer_load_dword v82, off, s[0:3], 0 offset:176
	s_waitcnt vmcnt(3)
	buffer_store_dword v79, off, s[0:3], 0 offset:176
	s_waitcnt vmcnt(2)
	buffer_store_dword v80, off, s[0:3], 0 offset:180
	s_waitcnt vmcnt(1)
	buffer_store_dword v81, v0, s[0:3], 0 offen offset:4
	s_waitcnt vmcnt(0)
	buffer_store_dword v82, v0, s[0:3], 0 offen
.LBB38_280:
	v_mov_b32_e32 v0, 0
	global_load_dword v79, v0, s[20:21] offset:84
	s_waitcnt vmcnt(0)
	v_add_nc_u32_e32 v79, -1, v79
	v_cmp_eq_u32_e32 vcc_lo, 21, v79
	s_cbranch_vccnz .LBB38_282
; %bb.281:
	v_lshlrev_b32_e32 v79, 3, v79
	s_clause 0x3
	buffer_load_dword v80, v79, s[0:3], 0 offen
	buffer_load_dword v81, v79, s[0:3], 0 offen offset:4
	buffer_load_dword v82, off, s[0:3], 0 offset:168
	buffer_load_dword v83, off, s[0:3], 0 offset:172
	s_waitcnt vmcnt(3)
	buffer_store_dword v80, off, s[0:3], 0 offset:168
	s_waitcnt vmcnt(2)
	buffer_store_dword v81, off, s[0:3], 0 offset:172
	s_waitcnt vmcnt(1)
	buffer_store_dword v82, v79, s[0:3], 0 offen
	s_waitcnt vmcnt(0)
	buffer_store_dword v83, v79, s[0:3], 0 offen offset:4
.LBB38_282:
	global_load_dword v0, v0, s[20:21] offset:80
	s_waitcnt vmcnt(0)
	v_add_nc_u32_e32 v0, -1, v0
	v_cmp_eq_u32_e32 vcc_lo, 20, v0
	s_cbranch_vccnz .LBB38_284
; %bb.283:
	v_lshlrev_b32_e32 v0, 3, v0
	s_clause 0x3
	buffer_load_dword v79, v0, s[0:3], 0 offen
	buffer_load_dword v80, v0, s[0:3], 0 offen offset:4
	buffer_load_dword v81, off, s[0:3], 0 offset:164
	buffer_load_dword v82, off, s[0:3], 0 offset:160
	s_waitcnt vmcnt(3)
	buffer_store_dword v79, off, s[0:3], 0 offset:160
	s_waitcnt vmcnt(2)
	buffer_store_dword v80, off, s[0:3], 0 offset:164
	s_waitcnt vmcnt(1)
	buffer_store_dword v81, v0, s[0:3], 0 offen offset:4
	s_waitcnt vmcnt(0)
	buffer_store_dword v82, v0, s[0:3], 0 offen
.LBB38_284:
	v_mov_b32_e32 v0, 0
	global_load_dword v79, v0, s[20:21] offset:76
	s_waitcnt vmcnt(0)
	v_add_nc_u32_e32 v79, -1, v79
	v_cmp_eq_u32_e32 vcc_lo, 19, v79
	s_cbranch_vccnz .LBB38_286
; %bb.285:
	v_lshlrev_b32_e32 v79, 3, v79
	s_clause 0x3
	buffer_load_dword v80, v79, s[0:3], 0 offen
	buffer_load_dword v81, v79, s[0:3], 0 offen offset:4
	buffer_load_dword v82, off, s[0:3], 0 offset:152
	buffer_load_dword v83, off, s[0:3], 0 offset:156
	s_waitcnt vmcnt(3)
	buffer_store_dword v80, off, s[0:3], 0 offset:152
	s_waitcnt vmcnt(2)
	buffer_store_dword v81, off, s[0:3], 0 offset:156
	s_waitcnt vmcnt(1)
	buffer_store_dword v82, v79, s[0:3], 0 offen
	s_waitcnt vmcnt(0)
	buffer_store_dword v83, v79, s[0:3], 0 offen offset:4
.LBB38_286:
	global_load_dword v0, v0, s[20:21] offset:72
	s_waitcnt vmcnt(0)
	v_add_nc_u32_e32 v0, -1, v0
	v_cmp_eq_u32_e32 vcc_lo, 18, v0
	s_cbranch_vccnz .LBB38_288
; %bb.287:
	v_lshlrev_b32_e32 v0, 3, v0
	s_clause 0x3
	buffer_load_dword v79, v0, s[0:3], 0 offen
	buffer_load_dword v80, v0, s[0:3], 0 offen offset:4
	buffer_load_dword v81, off, s[0:3], 0 offset:148
	buffer_load_dword v82, off, s[0:3], 0 offset:144
	s_waitcnt vmcnt(3)
	buffer_store_dword v79, off, s[0:3], 0 offset:144
	s_waitcnt vmcnt(2)
	buffer_store_dword v80, off, s[0:3], 0 offset:148
	s_waitcnt vmcnt(1)
	buffer_store_dword v81, v0, s[0:3], 0 offen offset:4
	s_waitcnt vmcnt(0)
	buffer_store_dword v82, v0, s[0:3], 0 offen
.LBB38_288:
	v_mov_b32_e32 v0, 0
	global_load_dword v79, v0, s[20:21] offset:68
	s_waitcnt vmcnt(0)
	v_add_nc_u32_e32 v79, -1, v79
	v_cmp_eq_u32_e32 vcc_lo, 17, v79
	s_cbranch_vccnz .LBB38_290
; %bb.289:
	v_lshlrev_b32_e32 v79, 3, v79
	s_clause 0x3
	buffer_load_dword v80, v79, s[0:3], 0 offen
	buffer_load_dword v81, v79, s[0:3], 0 offen offset:4
	buffer_load_dword v82, off, s[0:3], 0 offset:136
	buffer_load_dword v83, off, s[0:3], 0 offset:140
	s_waitcnt vmcnt(3)
	buffer_store_dword v80, off, s[0:3], 0 offset:136
	s_waitcnt vmcnt(2)
	buffer_store_dword v81, off, s[0:3], 0 offset:140
	s_waitcnt vmcnt(1)
	buffer_store_dword v82, v79, s[0:3], 0 offen
	s_waitcnt vmcnt(0)
	buffer_store_dword v83, v79, s[0:3], 0 offen offset:4
.LBB38_290:
	global_load_dword v0, v0, s[20:21] offset:64
	s_waitcnt vmcnt(0)
	v_add_nc_u32_e32 v0, -1, v0
	v_cmp_eq_u32_e32 vcc_lo, 16, v0
	s_cbranch_vccnz .LBB38_292
; %bb.291:
	v_lshlrev_b32_e32 v0, 3, v0
	s_clause 0x3
	buffer_load_dword v79, v0, s[0:3], 0 offen
	buffer_load_dword v80, v0, s[0:3], 0 offen offset:4
	buffer_load_dword v81, off, s[0:3], 0 offset:132
	buffer_load_dword v82, off, s[0:3], 0 offset:128
	s_waitcnt vmcnt(3)
	buffer_store_dword v79, off, s[0:3], 0 offset:128
	s_waitcnt vmcnt(2)
	buffer_store_dword v80, off, s[0:3], 0 offset:132
	s_waitcnt vmcnt(1)
	buffer_store_dword v81, v0, s[0:3], 0 offen offset:4
	s_waitcnt vmcnt(0)
	buffer_store_dword v82, v0, s[0:3], 0 offen
.LBB38_292:
	v_mov_b32_e32 v0, 0
	global_load_dword v79, v0, s[20:21] offset:60
	s_waitcnt vmcnt(0)
	v_add_nc_u32_e32 v79, -1, v79
	v_cmp_eq_u32_e32 vcc_lo, 15, v79
	s_cbranch_vccnz .LBB38_294
; %bb.293:
	v_lshlrev_b32_e32 v79, 3, v79
	s_clause 0x3
	buffer_load_dword v80, v79, s[0:3], 0 offen
	buffer_load_dword v81, v79, s[0:3], 0 offen offset:4
	buffer_load_dword v82, off, s[0:3], 0 offset:120
	buffer_load_dword v83, off, s[0:3], 0 offset:124
	s_waitcnt vmcnt(3)
	buffer_store_dword v80, off, s[0:3], 0 offset:120
	s_waitcnt vmcnt(2)
	buffer_store_dword v81, off, s[0:3], 0 offset:124
	s_waitcnt vmcnt(1)
	buffer_store_dword v82, v79, s[0:3], 0 offen
	s_waitcnt vmcnt(0)
	buffer_store_dword v83, v79, s[0:3], 0 offen offset:4
.LBB38_294:
	global_load_dword v0, v0, s[20:21] offset:56
	s_waitcnt vmcnt(0)
	v_add_nc_u32_e32 v0, -1, v0
	v_cmp_eq_u32_e32 vcc_lo, 14, v0
	s_cbranch_vccnz .LBB38_296
; %bb.295:
	v_lshlrev_b32_e32 v0, 3, v0
	s_clause 0x3
	buffer_load_dword v79, v0, s[0:3], 0 offen
	buffer_load_dword v80, v0, s[0:3], 0 offen offset:4
	buffer_load_dword v81, off, s[0:3], 0 offset:116
	buffer_load_dword v82, off, s[0:3], 0 offset:112
	s_waitcnt vmcnt(3)
	buffer_store_dword v79, off, s[0:3], 0 offset:112
	s_waitcnt vmcnt(2)
	buffer_store_dword v80, off, s[0:3], 0 offset:116
	s_waitcnt vmcnt(1)
	buffer_store_dword v81, v0, s[0:3], 0 offen offset:4
	s_waitcnt vmcnt(0)
	buffer_store_dword v82, v0, s[0:3], 0 offen
.LBB38_296:
	v_mov_b32_e32 v0, 0
	global_load_dword v79, v0, s[20:21] offset:52
	s_waitcnt vmcnt(0)
	v_add_nc_u32_e32 v79, -1, v79
	v_cmp_eq_u32_e32 vcc_lo, 13, v79
	s_cbranch_vccnz .LBB38_298
; %bb.297:
	v_lshlrev_b32_e32 v79, 3, v79
	s_clause 0x3
	buffer_load_dword v80, v79, s[0:3], 0 offen
	buffer_load_dword v81, v79, s[0:3], 0 offen offset:4
	buffer_load_dword v82, off, s[0:3], 0 offset:104
	buffer_load_dword v83, off, s[0:3], 0 offset:108
	s_waitcnt vmcnt(3)
	buffer_store_dword v80, off, s[0:3], 0 offset:104
	s_waitcnt vmcnt(2)
	buffer_store_dword v81, off, s[0:3], 0 offset:108
	s_waitcnt vmcnt(1)
	buffer_store_dword v82, v79, s[0:3], 0 offen
	s_waitcnt vmcnt(0)
	buffer_store_dword v83, v79, s[0:3], 0 offen offset:4
.LBB38_298:
	global_load_dword v0, v0, s[20:21] offset:48
	s_waitcnt vmcnt(0)
	v_add_nc_u32_e32 v0, -1, v0
	v_cmp_eq_u32_e32 vcc_lo, 12, v0
	s_cbranch_vccnz .LBB38_300
; %bb.299:
	v_lshlrev_b32_e32 v0, 3, v0
	s_clause 0x3
	buffer_load_dword v79, v0, s[0:3], 0 offen
	buffer_load_dword v80, v0, s[0:3], 0 offen offset:4
	buffer_load_dword v81, off, s[0:3], 0 offset:100
	buffer_load_dword v82, off, s[0:3], 0 offset:96
	s_waitcnt vmcnt(3)
	buffer_store_dword v79, off, s[0:3], 0 offset:96
	s_waitcnt vmcnt(2)
	buffer_store_dword v80, off, s[0:3], 0 offset:100
	s_waitcnt vmcnt(1)
	buffer_store_dword v81, v0, s[0:3], 0 offen offset:4
	s_waitcnt vmcnt(0)
	buffer_store_dword v82, v0, s[0:3], 0 offen
.LBB38_300:
	v_mov_b32_e32 v0, 0
	global_load_dword v79, v0, s[20:21] offset:44
	s_waitcnt vmcnt(0)
	v_add_nc_u32_e32 v79, -1, v79
	v_cmp_eq_u32_e32 vcc_lo, 11, v79
	s_cbranch_vccnz .LBB38_302
; %bb.301:
	v_lshlrev_b32_e32 v79, 3, v79
	s_clause 0x3
	buffer_load_dword v80, v79, s[0:3], 0 offen
	buffer_load_dword v81, v79, s[0:3], 0 offen offset:4
	buffer_load_dword v82, off, s[0:3], 0 offset:88
	buffer_load_dword v83, off, s[0:3], 0 offset:92
	s_waitcnt vmcnt(3)
	buffer_store_dword v80, off, s[0:3], 0 offset:88
	s_waitcnt vmcnt(2)
	buffer_store_dword v81, off, s[0:3], 0 offset:92
	s_waitcnt vmcnt(1)
	buffer_store_dword v82, v79, s[0:3], 0 offen
	s_waitcnt vmcnt(0)
	buffer_store_dword v83, v79, s[0:3], 0 offen offset:4
.LBB38_302:
	global_load_dword v0, v0, s[20:21] offset:40
	s_waitcnt vmcnt(0)
	v_add_nc_u32_e32 v0, -1, v0
	v_cmp_eq_u32_e32 vcc_lo, 10, v0
	s_cbranch_vccnz .LBB38_304
; %bb.303:
	v_lshlrev_b32_e32 v0, 3, v0
	s_clause 0x3
	buffer_load_dword v79, v0, s[0:3], 0 offen
	buffer_load_dword v80, v0, s[0:3], 0 offen offset:4
	buffer_load_dword v81, off, s[0:3], 0 offset:84
	buffer_load_dword v82, off, s[0:3], 0 offset:80
	s_waitcnt vmcnt(3)
	buffer_store_dword v79, off, s[0:3], 0 offset:80
	s_waitcnt vmcnt(2)
	buffer_store_dword v80, off, s[0:3], 0 offset:84
	s_waitcnt vmcnt(1)
	buffer_store_dword v81, v0, s[0:3], 0 offen offset:4
	s_waitcnt vmcnt(0)
	buffer_store_dword v82, v0, s[0:3], 0 offen
.LBB38_304:
	v_mov_b32_e32 v0, 0
	global_load_dword v79, v0, s[20:21] offset:36
	s_waitcnt vmcnt(0)
	v_add_nc_u32_e32 v79, -1, v79
	v_cmp_eq_u32_e32 vcc_lo, 9, v79
	s_cbranch_vccnz .LBB38_306
; %bb.305:
	v_lshlrev_b32_e32 v79, 3, v79
	s_clause 0x3
	buffer_load_dword v80, v79, s[0:3], 0 offen
	buffer_load_dword v81, v79, s[0:3], 0 offen offset:4
	buffer_load_dword v82, off, s[0:3], 0 offset:72
	buffer_load_dword v83, off, s[0:3], 0 offset:76
	s_waitcnt vmcnt(3)
	buffer_store_dword v80, off, s[0:3], 0 offset:72
	s_waitcnt vmcnt(2)
	buffer_store_dword v81, off, s[0:3], 0 offset:76
	s_waitcnt vmcnt(1)
	buffer_store_dword v82, v79, s[0:3], 0 offen
	s_waitcnt vmcnt(0)
	buffer_store_dword v83, v79, s[0:3], 0 offen offset:4
.LBB38_306:
	global_load_dword v0, v0, s[20:21] offset:32
	s_waitcnt vmcnt(0)
	v_add_nc_u32_e32 v0, -1, v0
	v_cmp_eq_u32_e32 vcc_lo, 8, v0
	s_cbranch_vccnz .LBB38_308
; %bb.307:
	v_lshlrev_b32_e32 v0, 3, v0
	s_clause 0x3
	buffer_load_dword v79, v0, s[0:3], 0 offen
	buffer_load_dword v80, v0, s[0:3], 0 offen offset:4
	buffer_load_dword v81, off, s[0:3], 0 offset:68
	buffer_load_dword v82, off, s[0:3], 0 offset:64
	s_waitcnt vmcnt(3)
	buffer_store_dword v79, off, s[0:3], 0 offset:64
	s_waitcnt vmcnt(2)
	buffer_store_dword v80, off, s[0:3], 0 offset:68
	s_waitcnt vmcnt(1)
	buffer_store_dword v81, v0, s[0:3], 0 offen offset:4
	s_waitcnt vmcnt(0)
	buffer_store_dword v82, v0, s[0:3], 0 offen
.LBB38_308:
	v_mov_b32_e32 v0, 0
	global_load_dword v79, v0, s[20:21] offset:28
	s_waitcnt vmcnt(0)
	v_add_nc_u32_e32 v79, -1, v79
	v_cmp_eq_u32_e32 vcc_lo, 7, v79
	s_cbranch_vccnz .LBB38_310
; %bb.309:
	v_lshlrev_b32_e32 v79, 3, v79
	s_clause 0x3
	buffer_load_dword v80, v79, s[0:3], 0 offen
	buffer_load_dword v81, v79, s[0:3], 0 offen offset:4
	buffer_load_dword v82, off, s[0:3], 0 offset:56
	buffer_load_dword v83, off, s[0:3], 0 offset:60
	s_waitcnt vmcnt(3)
	buffer_store_dword v80, off, s[0:3], 0 offset:56
	s_waitcnt vmcnt(2)
	buffer_store_dword v81, off, s[0:3], 0 offset:60
	s_waitcnt vmcnt(1)
	buffer_store_dword v82, v79, s[0:3], 0 offen
	s_waitcnt vmcnt(0)
	buffer_store_dword v83, v79, s[0:3], 0 offen offset:4
.LBB38_310:
	global_load_dword v0, v0, s[20:21] offset:24
	s_waitcnt vmcnt(0)
	v_add_nc_u32_e32 v0, -1, v0
	v_cmp_eq_u32_e32 vcc_lo, 6, v0
	s_cbranch_vccnz .LBB38_312
; %bb.311:
	v_lshlrev_b32_e32 v0, 3, v0
	s_clause 0x3
	buffer_load_dword v79, v0, s[0:3], 0 offen
	buffer_load_dword v80, v0, s[0:3], 0 offen offset:4
	buffer_load_dword v81, off, s[0:3], 0 offset:52
	buffer_load_dword v82, off, s[0:3], 0 offset:48
	s_waitcnt vmcnt(3)
	buffer_store_dword v79, off, s[0:3], 0 offset:48
	s_waitcnt vmcnt(2)
	buffer_store_dword v80, off, s[0:3], 0 offset:52
	s_waitcnt vmcnt(1)
	buffer_store_dword v81, v0, s[0:3], 0 offen offset:4
	s_waitcnt vmcnt(0)
	buffer_store_dword v82, v0, s[0:3], 0 offen
.LBB38_312:
	v_mov_b32_e32 v0, 0
	global_load_dword v79, v0, s[20:21] offset:20
	s_waitcnt vmcnt(0)
	v_add_nc_u32_e32 v79, -1, v79
	v_cmp_eq_u32_e32 vcc_lo, 5, v79
	s_cbranch_vccnz .LBB38_314
; %bb.313:
	v_lshlrev_b32_e32 v79, 3, v79
	s_clause 0x3
	buffer_load_dword v80, v79, s[0:3], 0 offen
	buffer_load_dword v81, v79, s[0:3], 0 offen offset:4
	buffer_load_dword v82, off, s[0:3], 0 offset:40
	buffer_load_dword v83, off, s[0:3], 0 offset:44
	s_waitcnt vmcnt(3)
	buffer_store_dword v80, off, s[0:3], 0 offset:40
	s_waitcnt vmcnt(2)
	buffer_store_dword v81, off, s[0:3], 0 offset:44
	s_waitcnt vmcnt(1)
	buffer_store_dword v82, v79, s[0:3], 0 offen
	s_waitcnt vmcnt(0)
	buffer_store_dword v83, v79, s[0:3], 0 offen offset:4
.LBB38_314:
	global_load_dword v0, v0, s[20:21] offset:16
	s_waitcnt vmcnt(0)
	v_add_nc_u32_e32 v0, -1, v0
	v_cmp_eq_u32_e32 vcc_lo, 4, v0
	s_cbranch_vccnz .LBB38_316
; %bb.315:
	v_lshlrev_b32_e32 v0, 3, v0
	s_clause 0x3
	buffer_load_dword v79, v0, s[0:3], 0 offen
	buffer_load_dword v80, v0, s[0:3], 0 offen offset:4
	buffer_load_dword v81, off, s[0:3], 0 offset:36
	buffer_load_dword v82, off, s[0:3], 0 offset:32
	s_waitcnt vmcnt(3)
	buffer_store_dword v79, off, s[0:3], 0 offset:32
	s_waitcnt vmcnt(2)
	buffer_store_dword v80, off, s[0:3], 0 offset:36
	s_waitcnt vmcnt(1)
	buffer_store_dword v81, v0, s[0:3], 0 offen offset:4
	s_waitcnt vmcnt(0)
	buffer_store_dword v82, v0, s[0:3], 0 offen
.LBB38_316:
	v_mov_b32_e32 v0, 0
	global_load_dword v79, v0, s[20:21] offset:12
	s_waitcnt vmcnt(0)
	v_add_nc_u32_e32 v79, -1, v79
	v_cmp_eq_u32_e32 vcc_lo, 3, v79
	s_cbranch_vccnz .LBB38_318
; %bb.317:
	v_lshlrev_b32_e32 v79, 3, v79
	s_clause 0x3
	buffer_load_dword v80, v79, s[0:3], 0 offen
	buffer_load_dword v81, v79, s[0:3], 0 offen offset:4
	buffer_load_dword v82, off, s[0:3], 0 offset:24
	buffer_load_dword v83, off, s[0:3], 0 offset:28
	s_waitcnt vmcnt(3)
	buffer_store_dword v80, off, s[0:3], 0 offset:24
	s_waitcnt vmcnt(2)
	buffer_store_dword v81, off, s[0:3], 0 offset:28
	s_waitcnt vmcnt(1)
	buffer_store_dword v82, v79, s[0:3], 0 offen
	s_waitcnt vmcnt(0)
	buffer_store_dword v83, v79, s[0:3], 0 offen offset:4
.LBB38_318:
	global_load_dword v0, v0, s[20:21] offset:8
	s_waitcnt vmcnt(0)
	v_add_nc_u32_e32 v0, -1, v0
	v_cmp_eq_u32_e32 vcc_lo, 2, v0
	s_cbranch_vccnz .LBB38_320
; %bb.319:
	v_lshlrev_b32_e32 v0, 3, v0
	s_clause 0x3
	buffer_load_dword v79, v0, s[0:3], 0 offen
	buffer_load_dword v80, v0, s[0:3], 0 offen offset:4
	buffer_load_dword v81, off, s[0:3], 0 offset:20
	buffer_load_dword v82, off, s[0:3], 0 offset:16
	s_waitcnt vmcnt(3)
	buffer_store_dword v79, off, s[0:3], 0 offset:16
	s_waitcnt vmcnt(2)
	buffer_store_dword v80, off, s[0:3], 0 offset:20
	s_waitcnt vmcnt(1)
	buffer_store_dword v81, v0, s[0:3], 0 offen offset:4
	s_waitcnt vmcnt(0)
	buffer_store_dword v82, v0, s[0:3], 0 offen
.LBB38_320:
	v_mov_b32_e32 v0, 0
	global_load_dword v79, v0, s[20:21] offset:4
	s_waitcnt vmcnt(0)
	v_add_nc_u32_e32 v79, -1, v79
	v_cmp_eq_u32_e32 vcc_lo, 1, v79
	s_cbranch_vccnz .LBB38_322
; %bb.321:
	v_lshlrev_b32_e32 v79, 3, v79
	s_clause 0x3
	buffer_load_dword v80, v79, s[0:3], 0 offen
	buffer_load_dword v81, v79, s[0:3], 0 offen offset:4
	buffer_load_dword v82, off, s[0:3], 0 offset:8
	buffer_load_dword v83, off, s[0:3], 0 offset:12
	s_waitcnt vmcnt(3)
	buffer_store_dword v80, off, s[0:3], 0 offset:8
	s_waitcnt vmcnt(2)
	buffer_store_dword v81, off, s[0:3], 0 offset:12
	s_waitcnt vmcnt(1)
	buffer_store_dword v82, v79, s[0:3], 0 offen
	s_waitcnt vmcnt(0)
	buffer_store_dword v83, v79, s[0:3], 0 offen offset:4
.LBB38_322:
	global_load_dword v0, v0, s[20:21]
	s_waitcnt vmcnt(0)
	v_add_nc_u32_e32 v0, -1, v0
	v_cmp_eq_u32_e32 vcc_lo, 0, v0
	s_cbranch_vccnz .LBB38_324
; %bb.323:
	v_lshlrev_b32_e32 v0, 3, v0
	s_clause 0x3
	buffer_load_dword v79, v0, s[0:3], 0 offen
	buffer_load_dword v80, v0, s[0:3], 0 offen offset:4
	buffer_load_dword v81, off, s[0:3], 0 offset:4
	buffer_load_dword v82, off, s[0:3], 0
	s_waitcnt vmcnt(3)
	buffer_store_dword v79, off, s[0:3], 0
	s_waitcnt vmcnt(2)
	buffer_store_dword v80, off, s[0:3], 0 offset:4
	s_waitcnt vmcnt(1)
	buffer_store_dword v81, v0, s[0:3], 0 offen offset:4
	s_waitcnt vmcnt(0)
	buffer_store_dword v82, v0, s[0:3], 0 offen
.LBB38_324:
	s_clause 0x3e
	buffer_load_dword v79, off, s[0:3], 0
	buffer_load_dword v80, off, s[0:3], 0 offset:4
	buffer_load_dword v81, off, s[0:3], 0 offset:8
	;; [unrolled: 1-line block ×62, first 2 shown]
	s_clause 0xe
	buffer_load_dword v142, off, s[0:3], 0 offset:252
	buffer_load_dword v143, off, s[0:3], 0 offset:256
	;; [unrolled: 1-line block ×15, first 2 shown]
	s_waitcnt vmcnt(62)
	global_store_dwordx2 v[65:66], v[79:80], off
	global_store_dwordx2 v[67:68], v[81:82], off
	;; [unrolled: 1-line block ×8, first 2 shown]
	s_waitcnt vmcnt(54)
	global_store_dwordx2 v[13:14], v[95:96], off
	global_store_dwordx2 v[15:16], v[97:98], off
	;; [unrolled: 1-line block ×4, first 2 shown]
	s_waitcnt vmcnt(52)
	global_store_dwordx2 v[21:22], v[103:104], off
	s_waitcnt vmcnt(50)
	global_store_dwordx2 v[23:24], v[105:106], off
	;; [unrolled: 2-line block ×27, first 2 shown]
	s_endpgm
	.section	.rodata,"a",@progbits
	.p2align	6, 0x0
	.amdhsa_kernel _ZN9rocsolver6v33100L18getri_kernel_smallILi39E19rocblas_complex_numIfEPS3_EEvT1_iilPiilS6_bb
		.amdhsa_group_segment_fixed_size 632
		.amdhsa_private_segment_fixed_size 320
		.amdhsa_kernarg_size 60
		.amdhsa_user_sgpr_count 6
		.amdhsa_user_sgpr_private_segment_buffer 1
		.amdhsa_user_sgpr_dispatch_ptr 0
		.amdhsa_user_sgpr_queue_ptr 0
		.amdhsa_user_sgpr_kernarg_segment_ptr 1
		.amdhsa_user_sgpr_dispatch_id 0
		.amdhsa_user_sgpr_flat_scratch_init 0
		.amdhsa_user_sgpr_private_segment_size 0
		.amdhsa_wavefront_size32 1
		.amdhsa_uses_dynamic_stack 0
		.amdhsa_system_sgpr_private_segment_wavefront_offset 1
		.amdhsa_system_sgpr_workgroup_id_x 1
		.amdhsa_system_sgpr_workgroup_id_y 0
		.amdhsa_system_sgpr_workgroup_id_z 0
		.amdhsa_system_sgpr_workgroup_info 0
		.amdhsa_system_vgpr_workitem_id 0
		.amdhsa_next_free_vgpr 252
		.amdhsa_next_free_sgpr 23
		.amdhsa_reserve_vcc 1
		.amdhsa_reserve_flat_scratch 0
		.amdhsa_float_round_mode_32 0
		.amdhsa_float_round_mode_16_64 0
		.amdhsa_float_denorm_mode_32 3
		.amdhsa_float_denorm_mode_16_64 3
		.amdhsa_dx10_clamp 1
		.amdhsa_ieee_mode 1
		.amdhsa_fp16_overflow 0
		.amdhsa_workgroup_processor_mode 1
		.amdhsa_memory_ordered 1
		.amdhsa_forward_progress 1
		.amdhsa_shared_vgpr_count 0
		.amdhsa_exception_fp_ieee_invalid_op 0
		.amdhsa_exception_fp_denorm_src 0
		.amdhsa_exception_fp_ieee_div_zero 0
		.amdhsa_exception_fp_ieee_overflow 0
		.amdhsa_exception_fp_ieee_underflow 0
		.amdhsa_exception_fp_ieee_inexact 0
		.amdhsa_exception_int_div_zero 0
	.end_amdhsa_kernel
	.section	.text._ZN9rocsolver6v33100L18getri_kernel_smallILi39E19rocblas_complex_numIfEPS3_EEvT1_iilPiilS6_bb,"axG",@progbits,_ZN9rocsolver6v33100L18getri_kernel_smallILi39E19rocblas_complex_numIfEPS3_EEvT1_iilPiilS6_bb,comdat
.Lfunc_end38:
	.size	_ZN9rocsolver6v33100L18getri_kernel_smallILi39E19rocblas_complex_numIfEPS3_EEvT1_iilPiilS6_bb, .Lfunc_end38-_ZN9rocsolver6v33100L18getri_kernel_smallILi39E19rocblas_complex_numIfEPS3_EEvT1_iilPiilS6_bb
                                        ; -- End function
	.set _ZN9rocsolver6v33100L18getri_kernel_smallILi39E19rocblas_complex_numIfEPS3_EEvT1_iilPiilS6_bb.num_vgpr, 252
	.set _ZN9rocsolver6v33100L18getri_kernel_smallILi39E19rocblas_complex_numIfEPS3_EEvT1_iilPiilS6_bb.num_agpr, 0
	.set _ZN9rocsolver6v33100L18getri_kernel_smallILi39E19rocblas_complex_numIfEPS3_EEvT1_iilPiilS6_bb.numbered_sgpr, 23
	.set _ZN9rocsolver6v33100L18getri_kernel_smallILi39E19rocblas_complex_numIfEPS3_EEvT1_iilPiilS6_bb.num_named_barrier, 0
	.set _ZN9rocsolver6v33100L18getri_kernel_smallILi39E19rocblas_complex_numIfEPS3_EEvT1_iilPiilS6_bb.private_seg_size, 320
	.set _ZN9rocsolver6v33100L18getri_kernel_smallILi39E19rocblas_complex_numIfEPS3_EEvT1_iilPiilS6_bb.uses_vcc, 1
	.set _ZN9rocsolver6v33100L18getri_kernel_smallILi39E19rocblas_complex_numIfEPS3_EEvT1_iilPiilS6_bb.uses_flat_scratch, 0
	.set _ZN9rocsolver6v33100L18getri_kernel_smallILi39E19rocblas_complex_numIfEPS3_EEvT1_iilPiilS6_bb.has_dyn_sized_stack, 0
	.set _ZN9rocsolver6v33100L18getri_kernel_smallILi39E19rocblas_complex_numIfEPS3_EEvT1_iilPiilS6_bb.has_recursion, 0
	.set _ZN9rocsolver6v33100L18getri_kernel_smallILi39E19rocblas_complex_numIfEPS3_EEvT1_iilPiilS6_bb.has_indirect_call, 0
	.section	.AMDGPU.csdata,"",@progbits
; Kernel info:
; codeLenInByte = 64760
; TotalNumSgprs: 25
; NumVgprs: 252
; ScratchSize: 320
; MemoryBound: 0
; FloatMode: 240
; IeeeMode: 1
; LDSByteSize: 632 bytes/workgroup (compile time only)
; SGPRBlocks: 0
; VGPRBlocks: 31
; NumSGPRsForWavesPerEU: 25
; NumVGPRsForWavesPerEU: 252
; Occupancy: 4
; WaveLimiterHint : 1
; COMPUTE_PGM_RSRC2:SCRATCH_EN: 1
; COMPUTE_PGM_RSRC2:USER_SGPR: 6
; COMPUTE_PGM_RSRC2:TRAP_HANDLER: 0
; COMPUTE_PGM_RSRC2:TGID_X_EN: 1
; COMPUTE_PGM_RSRC2:TGID_Y_EN: 0
; COMPUTE_PGM_RSRC2:TGID_Z_EN: 0
; COMPUTE_PGM_RSRC2:TIDIG_COMP_CNT: 0
	.section	.text._ZN9rocsolver6v33100L18getri_kernel_smallILi40E19rocblas_complex_numIfEPS3_EEvT1_iilPiilS6_bb,"axG",@progbits,_ZN9rocsolver6v33100L18getri_kernel_smallILi40E19rocblas_complex_numIfEPS3_EEvT1_iilPiilS6_bb,comdat
	.globl	_ZN9rocsolver6v33100L18getri_kernel_smallILi40E19rocblas_complex_numIfEPS3_EEvT1_iilPiilS6_bb ; -- Begin function _ZN9rocsolver6v33100L18getri_kernel_smallILi40E19rocblas_complex_numIfEPS3_EEvT1_iilPiilS6_bb
	.p2align	8
	.type	_ZN9rocsolver6v33100L18getri_kernel_smallILi40E19rocblas_complex_numIfEPS3_EEvT1_iilPiilS6_bb,@function
_ZN9rocsolver6v33100L18getri_kernel_smallILi40E19rocblas_complex_numIfEPS3_EEvT1_iilPiilS6_bb: ; @_ZN9rocsolver6v33100L18getri_kernel_smallILi40E19rocblas_complex_numIfEPS3_EEvT1_iilPiilS6_bb
; %bb.0:
	s_add_u32 s0, s0, s7
	s_addc_u32 s1, s1, 0
	s_mov_b32 s7, exec_lo
	v_cmpx_gt_u32_e32 40, v0
	s_cbranch_execz .LBB39_174
; %bb.1:
	s_clause 0x2
	s_load_dword s7, s[4:5], 0x38
	s_load_dwordx4 s[16:19], s[4:5], 0x10
	s_load_dwordx4 s[8:11], s[4:5], 0x28
                                        ; implicit-def: $sgpr20_sgpr21
	s_waitcnt lgkmcnt(0)
	s_bitcmp1_b32 s7, 8
	s_cselect_b32 s22, -1, 0
	s_bfe_u32 s12, s7, 0x10008
	s_ashr_i32 s7, s6, 31
	s_cmp_eq_u32 s12, 0
	s_cbranch_scc1 .LBB39_3
; %bb.2:
	s_load_dword s12, s[4:5], 0x20
	s_mul_i32 s13, s8, s7
	s_mul_hi_u32 s14, s8, s6
	s_mul_i32 s9, s9, s6
	s_add_i32 s13, s14, s13
	s_mul_i32 s8, s8, s6
	s_add_i32 s9, s13, s9
	s_lshl_b64 s[8:9], s[8:9], 2
	s_waitcnt lgkmcnt(0)
	s_ashr_i32 s13, s12, 31
	s_add_u32 s14, s18, s8
	s_addc_u32 s15, s19, s9
	s_lshl_b64 s[8:9], s[12:13], 2
	s_add_u32 s20, s14, s8
	s_addc_u32 s21, s15, s9
.LBB39_3:
	s_clause 0x1
	s_load_dwordx4 s[12:15], s[4:5], 0x0
	s_load_dword s8, s[4:5], 0x38
	s_mul_i32 s4, s16, s7
	s_mul_hi_u32 s5, s16, s6
	s_mul_i32 s9, s17, s6
	s_add_i32 s5, s5, s4
	s_mul_i32 s4, s16, s6
	s_add_i32 s5, s5, s9
	v_lshlrev_b32_e32 v83, 3, v0
	s_lshl_b64 s[4:5], s[4:5], 3
	s_waitcnt lgkmcnt(0)
	v_add3_u32 v1, s15, s15, v0
	s_ashr_i32 s17, s14, 31
	s_mov_b32 s16, s14
	s_add_u32 s9, s12, s4
	s_addc_u32 s12, s13, s5
	v_add_nc_u32_e32 v3, s15, v1
	v_ashrrev_i32_e32 v2, 31, v1
	s_lshl_b64 s[4:5], s[16:17], 3
	s_add_u32 s4, s9, s4
	v_add_nc_u32_e32 v5, s15, v3
	v_ashrrev_i32_e32 v4, 31, v3
	v_lshlrev_b64 v[1:2], 3, v[1:2]
	s_addc_u32 s5, s12, s5
	v_add_co_u32 v67, s9, s4, v83
	v_add_nc_u32_e32 v7, s15, v5
	v_ashrrev_i32_e32 v6, 31, v5
	v_lshlrev_b64 v[3:4], 3, v[3:4]
	v_add_co_u32 v1, vcc_lo, s4, v1
	v_add_nc_u32_e32 v9, s15, v7
	v_ashrrev_i32_e32 v8, 31, v7
	v_lshlrev_b64 v[5:6], 3, v[5:6]
	v_add_co_ci_u32_e64 v2, null, s5, v2, vcc_lo
	v_add_nc_u32_e32 v11, s15, v9
	v_ashrrev_i32_e32 v10, 31, v9
	v_lshlrev_b64 v[7:8], 3, v[7:8]
	v_add_co_u32 v3, vcc_lo, s4, v3
	v_add_nc_u32_e32 v13, s15, v11
	v_ashrrev_i32_e32 v12, 31, v11
	v_lshlrev_b64 v[9:10], 3, v[9:10]
	v_add_co_ci_u32_e64 v4, null, s5, v4, vcc_lo
	v_add_nc_u32_e32 v15, s15, v13
	v_ashrrev_i32_e32 v14, 31, v13
	v_add_co_u32 v5, vcc_lo, s4, v5
	v_lshlrev_b64 v[11:12], 3, v[11:12]
	v_add_nc_u32_e32 v17, s15, v15
	v_ashrrev_i32_e32 v16, 31, v15
	v_add_co_ci_u32_e64 v6, null, s5, v6, vcc_lo
	v_add_co_u32 v7, vcc_lo, s4, v7
	v_add_nc_u32_e32 v19, s15, v17
	v_ashrrev_i32_e32 v18, 31, v17
	v_lshlrev_b64 v[13:14], 3, v[13:14]
	v_add_co_ci_u32_e64 v8, null, s5, v8, vcc_lo
	v_add_nc_u32_e32 v21, s15, v19
	v_ashrrev_i32_e32 v20, 31, v19
	v_add_co_u32 v9, vcc_lo, s4, v9
	v_lshlrev_b64 v[15:16], 3, v[15:16]
	v_add_nc_u32_e32 v23, s15, v21
	v_ashrrev_i32_e32 v22, 31, v21
	v_add_co_ci_u32_e64 v10, null, s5, v10, vcc_lo
	v_add_co_u32 v11, vcc_lo, s4, v11
	v_add_nc_u32_e32 v25, s15, v23
	v_lshlrev_b64 v[17:18], 3, v[17:18]
	v_ashrrev_i32_e32 v24, 31, v23
	v_add_co_ci_u32_e64 v12, null, s5, v12, vcc_lo
	v_add_nc_u32_e32 v27, s15, v25
	v_add_co_u32 v13, vcc_lo, s4, v13
	v_lshlrev_b64 v[19:20], 3, v[19:20]
	v_ashrrev_i32_e32 v26, 31, v25
	v_add_nc_u32_e32 v29, s15, v27
	v_add_co_ci_u32_e64 v14, null, s5, v14, vcc_lo
	v_add_co_u32 v15, vcc_lo, s4, v15
	v_add_nc_u32_e32 v31, s15, v29
	v_lshlrev_b64 v[21:22], 3, v[21:22]
	v_ashrrev_i32_e32 v28, 31, v27
	v_add_co_ci_u32_e64 v16, null, s5, v16, vcc_lo
	v_add_nc_u32_e32 v33, s15, v31
	v_add_co_u32 v17, vcc_lo, s4, v17
	v_lshlrev_b64 v[23:24], 3, v[23:24]
	v_ashrrev_i32_e32 v30, 31, v29
	v_add_nc_u32_e32 v35, s15, v33
	;; [unrolled: 11-line block ×6, first 2 shown]
	v_add_co_ci_u32_e64 v34, null, s5, v34, vcc_lo
	v_add_co_u32 v35, vcc_lo, s4, v35
	v_add_nc_u32_e32 v61, s15, v59
	v_lshlrev_b64 v[41:42], 3, v[41:42]
	v_ashrrev_i32_e32 v48, 31, v47
	v_add_co_ci_u32_e64 v36, null, s5, v36, vcc_lo
	v_add_nc_u32_e32 v63, s15, v61
	v_add_co_u32 v37, vcc_lo, s4, v37
	v_lshlrev_b64 v[43:44], 3, v[43:44]
	v_ashrrev_i32_e32 v50, 31, v49
	v_add_co_ci_u32_e64 v38, null, s5, v38, vcc_lo
	v_add_co_u32 v39, vcc_lo, s4, v39
	v_lshlrev_b64 v[45:46], 3, v[45:46]
	v_ashrrev_i32_e32 v52, 31, v51
	v_add_nc_u32_e32 v71, s15, v63
	v_add_co_ci_u32_e64 v40, null, s5, v40, vcc_lo
	v_add_co_u32 v41, vcc_lo, s4, v41
	v_lshlrev_b64 v[47:48], 3, v[47:48]
	v_ashrrev_i32_e32 v54, 31, v53
	v_add_co_ci_u32_e64 v42, null, s5, v42, vcc_lo
	v_add_co_u32 v43, vcc_lo, s4, v43
	v_lshlrev_b64 v[49:50], 3, v[49:50]
	v_ashrrev_i32_e32 v56, 31, v55
	v_add_co_ci_u32_e64 v44, null, s5, v44, vcc_lo
	v_add_co_u32 v45, vcc_lo, s4, v45
	v_lshlrev_b64 v[51:52], 3, v[51:52]
	v_add_nc_u32_e32 v73, s15, v71
	v_ashrrev_i32_e32 v58, 31, v57
	v_add_co_ci_u32_e64 v46, null, s5, v46, vcc_lo
	v_add_co_u32 v47, vcc_lo, s4, v47
	v_lshlrev_b64 v[53:54], 3, v[53:54]
	v_ashrrev_i32_e32 v60, 31, v59
	v_add_co_ci_u32_e64 v48, null, s5, v48, vcc_lo
	v_add_co_u32 v49, vcc_lo, s4, v49
	v_lshlrev_b64 v[55:56], 3, v[55:56]
	v_ashrrev_i32_e32 v62, 31, v61
	v_add_nc_u32_e32 v75, s15, v73
	v_add_co_ci_u32_e64 v50, null, s5, v50, vcc_lo
	v_add_co_u32 v51, vcc_lo, s4, v51
	v_lshlrev_b64 v[57:58], 3, v[57:58]
	v_ashrrev_i32_e32 v64, 31, v63
	v_add_co_ci_u32_e64 v52, null, s5, v52, vcc_lo
	v_add_co_u32 v53, vcc_lo, s4, v53
	v_lshlrev_b64 v[59:60], 3, v[59:60]
	v_add_co_ci_u32_e64 v54, null, s5, v54, vcc_lo
	v_add_co_u32 v55, vcc_lo, s4, v55
	v_lshlrev_b64 v[61:62], 3, v[61:62]
	v_add_nc_u32_e32 v77, s15, v75
	v_add_co_ci_u32_e64 v56, null, s5, v56, vcc_lo
	v_add_co_u32 v57, vcc_lo, s4, v57
	v_lshlrev_b64 v[64:65], 3, v[63:64]
	v_add_co_ci_u32_e64 v58, null, s5, v58, vcc_lo
	v_add_co_u32 v59, vcc_lo, s4, v59
	v_ashrrev_i32_e32 v72, 31, v71
	v_add_nc_u32_e32 v79, s15, v77
	v_add_co_ci_u32_e64 v60, null, s5, v60, vcc_lo
	v_add_co_u32 v61, vcc_lo, s4, v61
	v_ashrrev_i32_e32 v74, 31, v73
	v_add_co_ci_u32_e64 v62, null, s5, v62, vcc_lo
	v_add_co_u32 v63, vcc_lo, s4, v64
	v_ashrrev_i32_e32 v76, 31, v75
	v_add_co_ci_u32_e64 v64, null, s5, v65, vcc_lo
	s_mov_b32 s12, s15
	s_ashr_i32 s13, s15, 31
	v_lshlrev_b64 v[65:66], 3, v[71:72]
	v_add_nc_u32_e32 v126, s15, v79
	v_add_co_ci_u32_e64 v68, null, s5, 0, s9
	v_ashrrev_i32_e32 v78, 31, v77
	s_lshl_b64 s[12:13], s[12:13], 3
	v_lshlrev_b64 v[71:72], 3, v[73:74]
	v_ashrrev_i32_e32 v80, 31, v79
	v_add_co_u32 v69, vcc_lo, v67, s12
	v_lshlrev_b64 v[73:74], 3, v[75:76]
	v_ashrrev_i32_e32 v127, 31, v126
	v_add_co_ci_u32_e64 v70, null, s13, v68, vcc_lo
	v_add_co_u32 v65, vcc_lo, s4, v65
	v_lshlrev_b64 v[75:76], 3, v[77:78]
	v_add_co_ci_u32_e64 v66, null, s5, v66, vcc_lo
	v_add_co_u32 v71, vcc_lo, s4, v71
	v_lshlrev_b64 v[77:78], 3, v[79:80]
	;; [unrolled: 3-line block ×3, first 2 shown]
	v_add_co_ci_u32_e64 v74, null, s5, v74, vcc_lo
	v_add_co_u32 v75, vcc_lo, s4, v75
	v_add_co_ci_u32_e64 v76, null, s5, v76, vcc_lo
	v_add_co_u32 v77, vcc_lo, s4, v77
	;; [unrolled: 2-line block ×3, first 2 shown]
	v_add_co_ci_u32_e64 v80, null, s5, v80, vcc_lo
	s_clause 0x27
	global_load_dwordx2 v[81:82], v83, s[4:5]
	global_load_dwordx2 v[84:85], v[69:70], off
	global_load_dwordx2 v[86:87], v[1:2], off
	global_load_dwordx2 v[88:89], v[3:4], off
	global_load_dwordx2 v[90:91], v[5:6], off
	global_load_dwordx2 v[92:93], v[7:8], off
	global_load_dwordx2 v[94:95], v[9:10], off
	global_load_dwordx2 v[96:97], v[11:12], off
	global_load_dwordx2 v[98:99], v[13:14], off
	global_load_dwordx2 v[100:101], v[15:16], off
	global_load_dwordx2 v[102:103], v[17:18], off
	global_load_dwordx2 v[104:105], v[19:20], off
	global_load_dwordx2 v[106:107], v[21:22], off
	global_load_dwordx2 v[108:109], v[23:24], off
	global_load_dwordx2 v[110:111], v[25:26], off
	global_load_dwordx2 v[112:113], v[27:28], off
	global_load_dwordx2 v[114:115], v[29:30], off
	global_load_dwordx2 v[116:117], v[31:32], off
	global_load_dwordx2 v[118:119], v[33:34], off
	global_load_dwordx2 v[120:121], v[35:36], off
	global_load_dwordx2 v[122:123], v[37:38], off
	global_load_dwordx2 v[124:125], v[39:40], off
	global_load_dwordx2 v[128:129], v[41:42], off
	global_load_dwordx2 v[130:131], v[43:44], off
	global_load_dwordx2 v[132:133], v[45:46], off
	global_load_dwordx2 v[134:135], v[47:48], off
	global_load_dwordx2 v[136:137], v[49:50], off
	global_load_dwordx2 v[138:139], v[51:52], off
	global_load_dwordx2 v[140:141], v[53:54], off
	global_load_dwordx2 v[142:143], v[55:56], off
	global_load_dwordx2 v[144:145], v[57:58], off
	global_load_dwordx2 v[146:147], v[59:60], off
	global_load_dwordx2 v[148:149], v[61:62], off
	global_load_dwordx2 v[126:127], v[63:64], off
	global_load_dwordx2 v[150:151], v[65:66], off
	global_load_dwordx2 v[152:153], v[71:72], off
	global_load_dwordx2 v[154:155], v[73:74], off
	global_load_dwordx2 v[156:157], v[75:76], off
	global_load_dwordx2 v[158:159], v[77:78], off
	global_load_dwordx2 v[160:161], v[79:80], off
	s_mov_b32 s5, -1
	s_bitcmp0_b32 s8, 0
	s_waitcnt vmcnt(39)
	buffer_store_dword v82, off, s[0:3], 0 offset:4
	buffer_store_dword v81, off, s[0:3], 0
	s_waitcnt vmcnt(38)
	buffer_store_dword v85, off, s[0:3], 0 offset:12
	buffer_store_dword v84, off, s[0:3], 0 offset:8
	s_waitcnt vmcnt(37)
	buffer_store_dword v87, off, s[0:3], 0 offset:20
	buffer_store_dword v86, off, s[0:3], 0 offset:16
	;; [unrolled: 3-line block ×39, first 2 shown]
	s_cbranch_scc1 .LBB39_172
; %bb.4:
	v_cmp_eq_u32_e64 s4, 0, v0
	s_and_saveexec_b32 s5, s4
; %bb.5:
	v_mov_b32_e32 v81, 0
	ds_write_b32 v81, v81 offset:640
; %bb.6:
	s_or_b32 exec_lo, exec_lo, s5
	v_lshl_add_u32 v85, v0, 3, 0
	s_waitcnt lgkmcnt(0)
	s_waitcnt_vscnt null, 0x0
	s_barrier
	buffer_gl0_inv
	s_clause 0x1
	buffer_load_dword v81, v85, s[0:3], 0 offen
	buffer_load_dword v82, v85, s[0:3], 0 offen offset:4
	s_waitcnt vmcnt(1)
	v_cmp_eq_f32_e32 vcc_lo, 0, v81
	s_waitcnt vmcnt(0)
	v_cmp_eq_f32_e64 s5, 0, v82
	s_and_b32 s5, vcc_lo, s5
	s_and_saveexec_b32 s8, s5
	s_cbranch_execz .LBB39_10
; %bb.7:
	v_mov_b32_e32 v81, 0
	s_mov_b32 s9, 0
	ds_read_b32 v82, v81 offset:640
	s_waitcnt lgkmcnt(0)
	v_readfirstlane_b32 s5, v82
	v_add_nc_u32_e32 v82, 1, v0
	s_cmp_eq_u32 s5, 0
	v_cmp_gt_i32_e32 vcc_lo, s5, v82
	s_cselect_b32 s12, -1, 0
	s_or_b32 s12, s12, vcc_lo
	s_and_b32 exec_lo, exec_lo, s12
	s_cbranch_execz .LBB39_10
; %bb.8:
	v_mov_b32_e32 v84, s5
.LBB39_9:                               ; =>This Inner Loop Header: Depth=1
	ds_cmpst_rtn_b32 v84, v81, v84, v82 offset:640
	s_waitcnt lgkmcnt(0)
	v_cmp_ne_u32_e32 vcc_lo, 0, v84
	v_cmp_le_i32_e64 s5, v84, v82
	s_and_b32 s5, vcc_lo, s5
	s_and_b32 s5, exec_lo, s5
	s_or_b32 s9, s5, s9
	s_andn2_b32 exec_lo, exec_lo, s9
	s_cbranch_execnz .LBB39_9
.LBB39_10:
	s_or_b32 exec_lo, exec_lo, s8
	v_mov_b32_e32 v81, 0
	s_barrier
	buffer_gl0_inv
	ds_read_b32 v82, v81 offset:640
	s_and_saveexec_b32 s5, s4
	s_cbranch_execz .LBB39_12
; %bb.11:
	s_lshl_b64 s[8:9], s[6:7], 2
	s_add_u32 s8, s10, s8
	s_addc_u32 s9, s11, s9
	s_waitcnt lgkmcnt(0)
	global_store_dword v81, v82, s[8:9]
.LBB39_12:
	s_or_b32 exec_lo, exec_lo, s5
	s_waitcnt lgkmcnt(0)
	v_cmp_ne_u32_e32 vcc_lo, 0, v82
	s_mov_b32 s5, 0
	s_cbranch_vccnz .LBB39_172
; %bb.13:
	s_clause 0x1
	buffer_load_dword v82, v85, s[0:3], 0 offen
	buffer_load_dword v84, v85, s[0:3], 0 offen offset:4
                                        ; implicit-def: $vgpr87
                                        ; implicit-def: $vgpr86
                                        ; implicit-def: $vgpr81
	s_waitcnt vmcnt(0)
	v_cmp_ngt_f32_e64 s5, |v82|, |v84|
	s_and_saveexec_b32 s8, s5
	s_xor_b32 s5, exec_lo, s8
	s_cbranch_execz .LBB39_15
; %bb.14:
	v_div_scale_f32 v81, null, v84, v84, v82
	v_div_scale_f32 v88, vcc_lo, v82, v84, v82
	v_rcp_f32_e32 v86, v81
	v_fma_f32 v87, -v81, v86, 1.0
	v_fmac_f32_e32 v86, v87, v86
	v_mul_f32_e32 v87, v88, v86
	v_fma_f32 v89, -v81, v87, v88
	v_fmac_f32_e32 v87, v89, v86
	v_fma_f32 v81, -v81, v87, v88
	v_div_fmas_f32 v81, v81, v86, v87
	v_div_fixup_f32 v81, v81, v84, v82
	v_fmac_f32_e32 v84, v82, v81
	v_div_scale_f32 v82, null, v84, v84, 1.0
	v_rcp_f32_e32 v86, v82
	v_fma_f32 v87, -v82, v86, 1.0
	v_fmac_f32_e32 v86, v87, v86
	v_div_scale_f32 v87, vcc_lo, 1.0, v84, 1.0
	v_mul_f32_e32 v88, v87, v86
	v_fma_f32 v89, -v82, v88, v87
	v_fmac_f32_e32 v88, v89, v86
	v_fma_f32 v82, -v82, v88, v87
	v_div_fmas_f32 v82, v82, v86, v88
	v_div_fixup_f32 v82, v82, v84, 1.0
                                        ; implicit-def: $vgpr84
	v_mul_f32_e32 v87, v81, v82
	v_xor_b32_e32 v86, 0x80000000, v82
                                        ; implicit-def: $vgpr82
	v_xor_b32_e32 v81, 0x80000000, v87
.LBB39_15:
	s_andn2_saveexec_b32 s5, s5
	s_cbranch_execz .LBB39_17
; %bb.16:
	v_div_scale_f32 v81, null, v82, v82, v84
	v_div_scale_f32 v88, vcc_lo, v84, v82, v84
	v_rcp_f32_e32 v86, v81
	v_fma_f32 v87, -v81, v86, 1.0
	v_fmac_f32_e32 v86, v87, v86
	v_mul_f32_e32 v87, v88, v86
	v_fma_f32 v89, -v81, v87, v88
	v_fmac_f32_e32 v87, v89, v86
	v_fma_f32 v81, -v81, v87, v88
	v_div_fmas_f32 v81, v81, v86, v87
	v_div_fixup_f32 v86, v81, v82, v84
	v_fmac_f32_e32 v82, v84, v86
	v_div_scale_f32 v81, null, v82, v82, 1.0
	v_div_scale_f32 v88, vcc_lo, 1.0, v82, 1.0
	v_rcp_f32_e32 v84, v81
	v_fma_f32 v87, -v81, v84, 1.0
	v_fmac_f32_e32 v84, v87, v84
	v_mul_f32_e32 v87, v88, v84
	v_fma_f32 v89, -v81, v87, v88
	v_fmac_f32_e32 v87, v89, v84
	v_fma_f32 v81, -v81, v87, v88
	v_div_fmas_f32 v81, v81, v84, v87
	v_div_fixup_f32 v87, v81, v82, 1.0
	v_xor_b32_e32 v81, 0x80000000, v87
	v_mul_f32_e64 v86, v86, -v87
.LBB39_17:
	s_or_b32 exec_lo, exec_lo, s5
	buffer_store_dword v87, v85, s[0:3], 0 offen
	buffer_store_dword v86, v85, s[0:3], 0 offen offset:4
	s_clause 0x1
	buffer_load_dword v88, off, s[0:3], 0 offset:12
	buffer_load_dword v87, off, s[0:3], 0 offset:8
	v_xor_b32_e32 v82, 0x80000000, v86
	v_add_nc_u32_e32 v84, 0x140, v83
	s_waitcnt vmcnt(0)
	ds_write2_b64 v83, v[81:82], v[87:88] offset1:40
	s_waitcnt lgkmcnt(0)
	s_waitcnt_vscnt null, 0x0
	s_barrier
	buffer_gl0_inv
	s_and_saveexec_b32 s5, s4
	s_cbranch_execz .LBB39_19
; %bb.18:
	s_clause 0x1
	buffer_load_dword v88, v85, s[0:3], 0 offen offset:4
	buffer_load_dword v89, v85, s[0:3], 0 offen
	ds_read_b64 v[81:82], v84
	v_mov_b32_e32 v86, 0
	ds_read_b64 v[86:87], v86 offset:8
	s_waitcnt vmcnt(1) lgkmcnt(1)
	v_mul_f32_e32 v90, v81, v88
	v_mul_f32_e32 v88, v82, v88
	s_waitcnt vmcnt(0)
	v_fmac_f32_e32 v90, v82, v89
	v_fma_f32 v81, v81, v89, -v88
	v_add_f32_e32 v82, 0, v90
	v_add_f32_e32 v81, 0, v81
	s_waitcnt lgkmcnt(0)
	v_mul_f32_e32 v88, v82, v87
	v_mul_f32_e32 v87, v81, v87
	v_fma_f32 v81, v81, v86, -v88
	v_fmac_f32_e32 v87, v82, v86
	buffer_store_dword v81, off, s[0:3], 0 offset:8
	buffer_store_dword v87, off, s[0:3], 0 offset:12
.LBB39_19:
	s_or_b32 exec_lo, exec_lo, s5
	s_waitcnt_vscnt null, 0x0
	s_barrier
	buffer_gl0_inv
	s_clause 0x1
	buffer_load_dword v81, off, s[0:3], 0 offset:16
	buffer_load_dword v82, off, s[0:3], 0 offset:20
	s_mov_b32 s5, exec_lo
	s_waitcnt vmcnt(0)
	ds_write_b64 v84, v[81:82]
	s_waitcnt lgkmcnt(0)
	s_barrier
	buffer_gl0_inv
	v_cmpx_gt_u32_e32 2, v0
	s_cbranch_execz .LBB39_23
; %bb.20:
	s_clause 0x1
	buffer_load_dword v86, v85, s[0:3], 0 offen offset:4
	buffer_load_dword v85, v85, s[0:3], 0 offen
	ds_read_b64 v[81:82], v84
	s_waitcnt vmcnt(1) lgkmcnt(0)
	v_mul_f32_e32 v87, v82, v86
	v_mul_f32_e32 v86, v81, v86
	s_waitcnt vmcnt(0)
	v_fma_f32 v81, v81, v85, -v87
	v_fmac_f32_e32 v86, v82, v85
	v_add_f32_e32 v82, 0, v81
	v_add_f32_e32 v81, 0, v86
	s_and_saveexec_b32 s8, s4
	s_cbranch_execz .LBB39_22
; %bb.21:
	s_clause 0x1
	buffer_load_dword v87, off, s[0:3], 0 offset:12
	buffer_load_dword v88, off, s[0:3], 0 offset:8
	v_mov_b32_e32 v85, 0
	ds_read_b64 v[85:86], v85 offset:328
	s_waitcnt vmcnt(1) lgkmcnt(0)
	v_mul_f32_e32 v89, v85, v87
	v_mul_f32_e32 v87, v86, v87
	s_waitcnt vmcnt(0)
	v_fmac_f32_e32 v89, v86, v88
	v_fma_f32 v85, v85, v88, -v87
	v_add_f32_e32 v81, v81, v89
	v_add_f32_e32 v82, v82, v85
.LBB39_22:
	s_or_b32 exec_lo, exec_lo, s8
	v_mov_b32_e32 v85, 0
	ds_read_b64 v[85:86], v85 offset:16
	s_waitcnt lgkmcnt(0)
	v_mul_f32_e32 v87, v81, v86
	v_mul_f32_e32 v86, v82, v86
	v_fma_f32 v82, v82, v85, -v87
	v_fmac_f32_e32 v86, v81, v85
	buffer_store_dword v82, off, s[0:3], 0 offset:16
	buffer_store_dword v86, off, s[0:3], 0 offset:20
.LBB39_23:
	s_or_b32 exec_lo, exec_lo, s5
	s_waitcnt_vscnt null, 0x0
	s_barrier
	buffer_gl0_inv
	s_clause 0x1
	buffer_load_dword v85, off, s[0:3], 0 offset:24
	buffer_load_dword v86, off, s[0:3], 0 offset:28
	v_add_nc_u32_e32 v81, -1, v0
	s_mov_b32 s4, exec_lo
	s_waitcnt vmcnt(0)
	ds_write_b64 v84, v[85:86]
	s_waitcnt lgkmcnt(0)
	s_barrier
	buffer_gl0_inv
	v_cmpx_gt_u32_e32 3, v0
	s_cbranch_execz .LBB39_27
; %bb.24:
	v_add_nc_u32_e32 v85, -1, v0
	v_add_nc_u32_e32 v86, 0x140, v83
	v_mov_b32_e32 v87, v83
	v_mov_b32_e32 v82, 0
	;; [unrolled: 1-line block ×3, first 2 shown]
	s_mov_b32 s5, 0
	.p2align	6
.LBB39_25:                              ; =>This Inner Loop Header: Depth=1
	s_clause 0x1
	buffer_load_dword v91, v87, s[0:3], 0 offen offset:4
	buffer_load_dword v92, v87, s[0:3], 0 offen
	ds_read_b64 v[89:90], v86
	v_add_nc_u32_e32 v85, 1, v85
	v_add_nc_u32_e32 v86, 8, v86
	;; [unrolled: 1-line block ×3, first 2 shown]
	v_cmp_lt_u32_e32 vcc_lo, 1, v85
	s_or_b32 s5, vcc_lo, s5
	s_waitcnt vmcnt(1) lgkmcnt(0)
	v_mul_f32_e32 v93, v90, v91
	v_mul_f32_e32 v91, v89, v91
	s_waitcnt vmcnt(0)
	v_fma_f32 v89, v89, v92, -v93
	v_fmac_f32_e32 v91, v90, v92
	v_add_f32_e32 v88, v88, v89
	v_add_f32_e32 v82, v82, v91
	s_andn2_b32 exec_lo, exec_lo, s5
	s_cbranch_execnz .LBB39_25
; %bb.26:
	s_or_b32 exec_lo, exec_lo, s5
	v_mov_b32_e32 v85, 0
	ds_read_b64 v[85:86], v85 offset:24
	s_waitcnt lgkmcnt(0)
	v_mul_f32_e32 v87, v82, v86
	v_mul_f32_e32 v86, v88, v86
	v_fma_f32 v87, v88, v85, -v87
	v_fmac_f32_e32 v86, v82, v85
	buffer_store_dword v87, off, s[0:3], 0 offset:24
	buffer_store_dword v86, off, s[0:3], 0 offset:28
.LBB39_27:
	s_or_b32 exec_lo, exec_lo, s4
	s_waitcnt_vscnt null, 0x0
	s_barrier
	buffer_gl0_inv
	s_clause 0x1
	buffer_load_dword v85, off, s[0:3], 0 offset:32
	buffer_load_dword v86, off, s[0:3], 0 offset:36
	s_mov_b32 s4, exec_lo
	s_waitcnt vmcnt(0)
	ds_write_b64 v84, v[85:86]
	s_waitcnt lgkmcnt(0)
	s_barrier
	buffer_gl0_inv
	v_cmpx_gt_u32_e32 4, v0
	s_cbranch_execz .LBB39_31
; %bb.28:
	v_add_nc_u32_e32 v85, -1, v0
	v_add_nc_u32_e32 v86, 0x140, v83
	v_mov_b32_e32 v87, v83
	v_mov_b32_e32 v82, 0
	;; [unrolled: 1-line block ×3, first 2 shown]
	s_mov_b32 s5, 0
	.p2align	6
.LBB39_29:                              ; =>This Inner Loop Header: Depth=1
	s_clause 0x1
	buffer_load_dword v91, v87, s[0:3], 0 offen offset:4
	buffer_load_dword v92, v87, s[0:3], 0 offen
	ds_read_b64 v[89:90], v86
	v_add_nc_u32_e32 v85, 1, v85
	v_add_nc_u32_e32 v86, 8, v86
	;; [unrolled: 1-line block ×3, first 2 shown]
	v_cmp_lt_u32_e32 vcc_lo, 2, v85
	s_or_b32 s5, vcc_lo, s5
	s_waitcnt vmcnt(1) lgkmcnt(0)
	v_mul_f32_e32 v93, v90, v91
	v_mul_f32_e32 v91, v89, v91
	s_waitcnt vmcnt(0)
	v_fma_f32 v89, v89, v92, -v93
	v_fmac_f32_e32 v91, v90, v92
	v_add_f32_e32 v88, v88, v89
	v_add_f32_e32 v82, v82, v91
	s_andn2_b32 exec_lo, exec_lo, s5
	s_cbranch_execnz .LBB39_29
; %bb.30:
	s_or_b32 exec_lo, exec_lo, s5
	v_mov_b32_e32 v85, 0
	ds_read_b64 v[85:86], v85 offset:32
	s_waitcnt lgkmcnt(0)
	v_mul_f32_e32 v87, v82, v86
	v_mul_f32_e32 v86, v88, v86
	v_fma_f32 v87, v88, v85, -v87
	v_fmac_f32_e32 v86, v82, v85
	buffer_store_dword v87, off, s[0:3], 0 offset:32
	buffer_store_dword v86, off, s[0:3], 0 offset:36
.LBB39_31:
	s_or_b32 exec_lo, exec_lo, s4
	s_waitcnt_vscnt null, 0x0
	s_barrier
	buffer_gl0_inv
	s_clause 0x1
	buffer_load_dword v85, off, s[0:3], 0 offset:40
	buffer_load_dword v86, off, s[0:3], 0 offset:44
	s_mov_b32 s4, exec_lo
	s_waitcnt vmcnt(0)
	ds_write_b64 v84, v[85:86]
	s_waitcnt lgkmcnt(0)
	s_barrier
	buffer_gl0_inv
	v_cmpx_gt_u32_e32 5, v0
	s_cbranch_execz .LBB39_35
; %bb.32:
	v_add_nc_u32_e32 v85, -1, v0
	v_add_nc_u32_e32 v86, 0x140, v83
	v_mov_b32_e32 v87, v83
	v_mov_b32_e32 v82, 0
	;; [unrolled: 1-line block ×3, first 2 shown]
	s_mov_b32 s5, 0
	.p2align	6
.LBB39_33:                              ; =>This Inner Loop Header: Depth=1
	s_clause 0x1
	buffer_load_dword v91, v87, s[0:3], 0 offen offset:4
	buffer_load_dword v92, v87, s[0:3], 0 offen
	ds_read_b64 v[89:90], v86
	v_add_nc_u32_e32 v85, 1, v85
	v_add_nc_u32_e32 v86, 8, v86
	;; [unrolled: 1-line block ×3, first 2 shown]
	v_cmp_lt_u32_e32 vcc_lo, 3, v85
	s_or_b32 s5, vcc_lo, s5
	s_waitcnt vmcnt(1) lgkmcnt(0)
	v_mul_f32_e32 v93, v90, v91
	v_mul_f32_e32 v91, v89, v91
	s_waitcnt vmcnt(0)
	v_fma_f32 v89, v89, v92, -v93
	v_fmac_f32_e32 v91, v90, v92
	v_add_f32_e32 v88, v88, v89
	v_add_f32_e32 v82, v82, v91
	s_andn2_b32 exec_lo, exec_lo, s5
	s_cbranch_execnz .LBB39_33
; %bb.34:
	s_or_b32 exec_lo, exec_lo, s5
	v_mov_b32_e32 v85, 0
	ds_read_b64 v[85:86], v85 offset:40
	s_waitcnt lgkmcnt(0)
	v_mul_f32_e32 v87, v82, v86
	v_mul_f32_e32 v86, v88, v86
	v_fma_f32 v87, v88, v85, -v87
	v_fmac_f32_e32 v86, v82, v85
	buffer_store_dword v87, off, s[0:3], 0 offset:40
	buffer_store_dword v86, off, s[0:3], 0 offset:44
.LBB39_35:
	s_or_b32 exec_lo, exec_lo, s4
	s_waitcnt_vscnt null, 0x0
	s_barrier
	buffer_gl0_inv
	s_clause 0x1
	buffer_load_dword v85, off, s[0:3], 0 offset:48
	buffer_load_dword v86, off, s[0:3], 0 offset:52
	s_mov_b32 s4, exec_lo
	s_waitcnt vmcnt(0)
	ds_write_b64 v84, v[85:86]
	s_waitcnt lgkmcnt(0)
	s_barrier
	buffer_gl0_inv
	v_cmpx_gt_u32_e32 6, v0
	s_cbranch_execz .LBB39_39
; %bb.36:
	v_add_nc_u32_e32 v85, -1, v0
	v_add_nc_u32_e32 v86, 0x140, v83
	v_mov_b32_e32 v87, v83
	v_mov_b32_e32 v82, 0
	;; [unrolled: 1-line block ×3, first 2 shown]
	s_mov_b32 s5, 0
	.p2align	6
.LBB39_37:                              ; =>This Inner Loop Header: Depth=1
	s_clause 0x1
	buffer_load_dword v91, v87, s[0:3], 0 offen offset:4
	buffer_load_dword v92, v87, s[0:3], 0 offen
	ds_read_b64 v[89:90], v86
	v_add_nc_u32_e32 v85, 1, v85
	v_add_nc_u32_e32 v86, 8, v86
	;; [unrolled: 1-line block ×3, first 2 shown]
	v_cmp_lt_u32_e32 vcc_lo, 4, v85
	s_or_b32 s5, vcc_lo, s5
	s_waitcnt vmcnt(1) lgkmcnt(0)
	v_mul_f32_e32 v93, v90, v91
	v_mul_f32_e32 v91, v89, v91
	s_waitcnt vmcnt(0)
	v_fma_f32 v89, v89, v92, -v93
	v_fmac_f32_e32 v91, v90, v92
	v_add_f32_e32 v88, v88, v89
	v_add_f32_e32 v82, v82, v91
	s_andn2_b32 exec_lo, exec_lo, s5
	s_cbranch_execnz .LBB39_37
; %bb.38:
	s_or_b32 exec_lo, exec_lo, s5
	v_mov_b32_e32 v85, 0
	ds_read_b64 v[85:86], v85 offset:48
	s_waitcnt lgkmcnt(0)
	v_mul_f32_e32 v87, v82, v86
	v_mul_f32_e32 v86, v88, v86
	v_fma_f32 v87, v88, v85, -v87
	v_fmac_f32_e32 v86, v82, v85
	buffer_store_dword v87, off, s[0:3], 0 offset:48
	buffer_store_dword v86, off, s[0:3], 0 offset:52
.LBB39_39:
	s_or_b32 exec_lo, exec_lo, s4
	s_waitcnt_vscnt null, 0x0
	s_barrier
	buffer_gl0_inv
	s_clause 0x1
	buffer_load_dword v85, off, s[0:3], 0 offset:56
	buffer_load_dword v86, off, s[0:3], 0 offset:60
	s_mov_b32 s4, exec_lo
	s_waitcnt vmcnt(0)
	ds_write_b64 v84, v[85:86]
	s_waitcnt lgkmcnt(0)
	s_barrier
	buffer_gl0_inv
	v_cmpx_gt_u32_e32 7, v0
	s_cbranch_execz .LBB39_43
; %bb.40:
	v_add_nc_u32_e32 v85, -1, v0
	v_add_nc_u32_e32 v86, 0x140, v83
	v_mov_b32_e32 v87, v83
	v_mov_b32_e32 v82, 0
	v_mov_b32_e32 v88, 0
	s_mov_b32 s5, 0
	.p2align	6
.LBB39_41:                              ; =>This Inner Loop Header: Depth=1
	s_clause 0x1
	buffer_load_dword v91, v87, s[0:3], 0 offen offset:4
	buffer_load_dword v92, v87, s[0:3], 0 offen
	ds_read_b64 v[89:90], v86
	v_add_nc_u32_e32 v85, 1, v85
	v_add_nc_u32_e32 v86, 8, v86
	;; [unrolled: 1-line block ×3, first 2 shown]
	v_cmp_lt_u32_e32 vcc_lo, 5, v85
	s_or_b32 s5, vcc_lo, s5
	s_waitcnt vmcnt(1) lgkmcnt(0)
	v_mul_f32_e32 v93, v90, v91
	v_mul_f32_e32 v91, v89, v91
	s_waitcnt vmcnt(0)
	v_fma_f32 v89, v89, v92, -v93
	v_fmac_f32_e32 v91, v90, v92
	v_add_f32_e32 v88, v88, v89
	v_add_f32_e32 v82, v82, v91
	s_andn2_b32 exec_lo, exec_lo, s5
	s_cbranch_execnz .LBB39_41
; %bb.42:
	s_or_b32 exec_lo, exec_lo, s5
	v_mov_b32_e32 v85, 0
	ds_read_b64 v[85:86], v85 offset:56
	s_waitcnt lgkmcnt(0)
	v_mul_f32_e32 v87, v82, v86
	v_mul_f32_e32 v86, v88, v86
	v_fma_f32 v87, v88, v85, -v87
	v_fmac_f32_e32 v86, v82, v85
	buffer_store_dword v87, off, s[0:3], 0 offset:56
	buffer_store_dword v86, off, s[0:3], 0 offset:60
.LBB39_43:
	s_or_b32 exec_lo, exec_lo, s4
	s_waitcnt_vscnt null, 0x0
	s_barrier
	buffer_gl0_inv
	s_clause 0x1
	buffer_load_dword v85, off, s[0:3], 0 offset:64
	buffer_load_dword v86, off, s[0:3], 0 offset:68
	s_mov_b32 s4, exec_lo
	s_waitcnt vmcnt(0)
	ds_write_b64 v84, v[85:86]
	s_waitcnt lgkmcnt(0)
	s_barrier
	buffer_gl0_inv
	v_cmpx_gt_u32_e32 8, v0
	s_cbranch_execz .LBB39_47
; %bb.44:
	v_add_nc_u32_e32 v85, -1, v0
	v_add_nc_u32_e32 v86, 0x140, v83
	v_mov_b32_e32 v87, v83
	v_mov_b32_e32 v82, 0
	;; [unrolled: 1-line block ×3, first 2 shown]
	s_mov_b32 s5, 0
	.p2align	6
.LBB39_45:                              ; =>This Inner Loop Header: Depth=1
	s_clause 0x1
	buffer_load_dword v91, v87, s[0:3], 0 offen offset:4
	buffer_load_dword v92, v87, s[0:3], 0 offen
	ds_read_b64 v[89:90], v86
	v_add_nc_u32_e32 v85, 1, v85
	v_add_nc_u32_e32 v86, 8, v86
	;; [unrolled: 1-line block ×3, first 2 shown]
	v_cmp_lt_u32_e32 vcc_lo, 6, v85
	s_or_b32 s5, vcc_lo, s5
	s_waitcnt vmcnt(1) lgkmcnt(0)
	v_mul_f32_e32 v93, v90, v91
	v_mul_f32_e32 v91, v89, v91
	s_waitcnt vmcnt(0)
	v_fma_f32 v89, v89, v92, -v93
	v_fmac_f32_e32 v91, v90, v92
	v_add_f32_e32 v88, v88, v89
	v_add_f32_e32 v82, v82, v91
	s_andn2_b32 exec_lo, exec_lo, s5
	s_cbranch_execnz .LBB39_45
; %bb.46:
	s_or_b32 exec_lo, exec_lo, s5
	v_mov_b32_e32 v85, 0
	ds_read_b64 v[85:86], v85 offset:64
	s_waitcnt lgkmcnt(0)
	v_mul_f32_e32 v87, v82, v86
	v_mul_f32_e32 v86, v88, v86
	v_fma_f32 v87, v88, v85, -v87
	v_fmac_f32_e32 v86, v82, v85
	buffer_store_dword v87, off, s[0:3], 0 offset:64
	buffer_store_dword v86, off, s[0:3], 0 offset:68
.LBB39_47:
	s_or_b32 exec_lo, exec_lo, s4
	s_waitcnt_vscnt null, 0x0
	s_barrier
	buffer_gl0_inv
	s_clause 0x1
	buffer_load_dword v85, off, s[0:3], 0 offset:72
	buffer_load_dword v86, off, s[0:3], 0 offset:76
	s_mov_b32 s4, exec_lo
	s_waitcnt vmcnt(0)
	ds_write_b64 v84, v[85:86]
	s_waitcnt lgkmcnt(0)
	s_barrier
	buffer_gl0_inv
	v_cmpx_gt_u32_e32 9, v0
	s_cbranch_execz .LBB39_51
; %bb.48:
	v_add_nc_u32_e32 v85, -1, v0
	v_add_nc_u32_e32 v86, 0x140, v83
	v_mov_b32_e32 v87, v83
	v_mov_b32_e32 v82, 0
	;; [unrolled: 1-line block ×3, first 2 shown]
	s_mov_b32 s5, 0
	.p2align	6
.LBB39_49:                              ; =>This Inner Loop Header: Depth=1
	s_clause 0x1
	buffer_load_dword v91, v87, s[0:3], 0 offen offset:4
	buffer_load_dword v92, v87, s[0:3], 0 offen
	ds_read_b64 v[89:90], v86
	v_add_nc_u32_e32 v85, 1, v85
	v_add_nc_u32_e32 v86, 8, v86
	;; [unrolled: 1-line block ×3, first 2 shown]
	v_cmp_lt_u32_e32 vcc_lo, 7, v85
	s_or_b32 s5, vcc_lo, s5
	s_waitcnt vmcnt(1) lgkmcnt(0)
	v_mul_f32_e32 v93, v90, v91
	v_mul_f32_e32 v91, v89, v91
	s_waitcnt vmcnt(0)
	v_fma_f32 v89, v89, v92, -v93
	v_fmac_f32_e32 v91, v90, v92
	v_add_f32_e32 v88, v88, v89
	v_add_f32_e32 v82, v82, v91
	s_andn2_b32 exec_lo, exec_lo, s5
	s_cbranch_execnz .LBB39_49
; %bb.50:
	s_or_b32 exec_lo, exec_lo, s5
	v_mov_b32_e32 v85, 0
	ds_read_b64 v[85:86], v85 offset:72
	s_waitcnt lgkmcnt(0)
	v_mul_f32_e32 v87, v82, v86
	v_mul_f32_e32 v86, v88, v86
	v_fma_f32 v87, v88, v85, -v87
	v_fmac_f32_e32 v86, v82, v85
	buffer_store_dword v87, off, s[0:3], 0 offset:72
	buffer_store_dword v86, off, s[0:3], 0 offset:76
.LBB39_51:
	s_or_b32 exec_lo, exec_lo, s4
	s_waitcnt_vscnt null, 0x0
	s_barrier
	buffer_gl0_inv
	s_clause 0x1
	buffer_load_dword v85, off, s[0:3], 0 offset:80
	buffer_load_dword v86, off, s[0:3], 0 offset:84
	s_mov_b32 s4, exec_lo
	s_waitcnt vmcnt(0)
	ds_write_b64 v84, v[85:86]
	s_waitcnt lgkmcnt(0)
	s_barrier
	buffer_gl0_inv
	v_cmpx_gt_u32_e32 10, v0
	s_cbranch_execz .LBB39_55
; %bb.52:
	v_add_nc_u32_e32 v85, -1, v0
	v_add_nc_u32_e32 v86, 0x140, v83
	v_mov_b32_e32 v87, v83
	v_mov_b32_e32 v82, 0
	;; [unrolled: 1-line block ×3, first 2 shown]
	s_mov_b32 s5, 0
	.p2align	6
.LBB39_53:                              ; =>This Inner Loop Header: Depth=1
	s_clause 0x1
	buffer_load_dword v91, v87, s[0:3], 0 offen offset:4
	buffer_load_dword v92, v87, s[0:3], 0 offen
	ds_read_b64 v[89:90], v86
	v_add_nc_u32_e32 v85, 1, v85
	v_add_nc_u32_e32 v86, 8, v86
	;; [unrolled: 1-line block ×3, first 2 shown]
	v_cmp_lt_u32_e32 vcc_lo, 8, v85
	s_or_b32 s5, vcc_lo, s5
	s_waitcnt vmcnt(1) lgkmcnt(0)
	v_mul_f32_e32 v93, v90, v91
	v_mul_f32_e32 v91, v89, v91
	s_waitcnt vmcnt(0)
	v_fma_f32 v89, v89, v92, -v93
	v_fmac_f32_e32 v91, v90, v92
	v_add_f32_e32 v88, v88, v89
	v_add_f32_e32 v82, v82, v91
	s_andn2_b32 exec_lo, exec_lo, s5
	s_cbranch_execnz .LBB39_53
; %bb.54:
	s_or_b32 exec_lo, exec_lo, s5
	v_mov_b32_e32 v85, 0
	ds_read_b64 v[85:86], v85 offset:80
	s_waitcnt lgkmcnt(0)
	v_mul_f32_e32 v87, v82, v86
	v_mul_f32_e32 v86, v88, v86
	v_fma_f32 v87, v88, v85, -v87
	v_fmac_f32_e32 v86, v82, v85
	buffer_store_dword v87, off, s[0:3], 0 offset:80
	buffer_store_dword v86, off, s[0:3], 0 offset:84
.LBB39_55:
	s_or_b32 exec_lo, exec_lo, s4
	s_waitcnt_vscnt null, 0x0
	s_barrier
	buffer_gl0_inv
	s_clause 0x1
	buffer_load_dword v85, off, s[0:3], 0 offset:88
	buffer_load_dword v86, off, s[0:3], 0 offset:92
	s_mov_b32 s4, exec_lo
	s_waitcnt vmcnt(0)
	ds_write_b64 v84, v[85:86]
	s_waitcnt lgkmcnt(0)
	s_barrier
	buffer_gl0_inv
	v_cmpx_gt_u32_e32 11, v0
	s_cbranch_execz .LBB39_59
; %bb.56:
	v_add_nc_u32_e32 v85, -1, v0
	v_add_nc_u32_e32 v86, 0x140, v83
	v_mov_b32_e32 v87, v83
	v_mov_b32_e32 v82, 0
	v_mov_b32_e32 v88, 0
	s_mov_b32 s5, 0
	.p2align	6
.LBB39_57:                              ; =>This Inner Loop Header: Depth=1
	s_clause 0x1
	buffer_load_dword v91, v87, s[0:3], 0 offen offset:4
	buffer_load_dword v92, v87, s[0:3], 0 offen
	ds_read_b64 v[89:90], v86
	v_add_nc_u32_e32 v85, 1, v85
	v_add_nc_u32_e32 v86, 8, v86
	;; [unrolled: 1-line block ×3, first 2 shown]
	v_cmp_lt_u32_e32 vcc_lo, 9, v85
	s_or_b32 s5, vcc_lo, s5
	s_waitcnt vmcnt(1) lgkmcnt(0)
	v_mul_f32_e32 v93, v90, v91
	v_mul_f32_e32 v91, v89, v91
	s_waitcnt vmcnt(0)
	v_fma_f32 v89, v89, v92, -v93
	v_fmac_f32_e32 v91, v90, v92
	v_add_f32_e32 v88, v88, v89
	v_add_f32_e32 v82, v82, v91
	s_andn2_b32 exec_lo, exec_lo, s5
	s_cbranch_execnz .LBB39_57
; %bb.58:
	s_or_b32 exec_lo, exec_lo, s5
	v_mov_b32_e32 v85, 0
	ds_read_b64 v[85:86], v85 offset:88
	s_waitcnt lgkmcnt(0)
	v_mul_f32_e32 v87, v82, v86
	v_mul_f32_e32 v86, v88, v86
	v_fma_f32 v87, v88, v85, -v87
	v_fmac_f32_e32 v86, v82, v85
	buffer_store_dword v87, off, s[0:3], 0 offset:88
	buffer_store_dword v86, off, s[0:3], 0 offset:92
.LBB39_59:
	s_or_b32 exec_lo, exec_lo, s4
	s_waitcnt_vscnt null, 0x0
	s_barrier
	buffer_gl0_inv
	s_clause 0x1
	buffer_load_dword v85, off, s[0:3], 0 offset:96
	buffer_load_dword v86, off, s[0:3], 0 offset:100
	s_mov_b32 s4, exec_lo
	s_waitcnt vmcnt(0)
	ds_write_b64 v84, v[85:86]
	s_waitcnt lgkmcnt(0)
	s_barrier
	buffer_gl0_inv
	v_cmpx_gt_u32_e32 12, v0
	s_cbranch_execz .LBB39_63
; %bb.60:
	v_add_nc_u32_e32 v85, -1, v0
	v_add_nc_u32_e32 v86, 0x140, v83
	v_mov_b32_e32 v87, v83
	v_mov_b32_e32 v82, 0
	;; [unrolled: 1-line block ×3, first 2 shown]
	s_mov_b32 s5, 0
	.p2align	6
.LBB39_61:                              ; =>This Inner Loop Header: Depth=1
	s_clause 0x1
	buffer_load_dword v91, v87, s[0:3], 0 offen offset:4
	buffer_load_dword v92, v87, s[0:3], 0 offen
	ds_read_b64 v[89:90], v86
	v_add_nc_u32_e32 v85, 1, v85
	v_add_nc_u32_e32 v86, 8, v86
	;; [unrolled: 1-line block ×3, first 2 shown]
	v_cmp_lt_u32_e32 vcc_lo, 10, v85
	s_or_b32 s5, vcc_lo, s5
	s_waitcnt vmcnt(1) lgkmcnt(0)
	v_mul_f32_e32 v93, v90, v91
	v_mul_f32_e32 v91, v89, v91
	s_waitcnt vmcnt(0)
	v_fma_f32 v89, v89, v92, -v93
	v_fmac_f32_e32 v91, v90, v92
	v_add_f32_e32 v88, v88, v89
	v_add_f32_e32 v82, v82, v91
	s_andn2_b32 exec_lo, exec_lo, s5
	s_cbranch_execnz .LBB39_61
; %bb.62:
	s_or_b32 exec_lo, exec_lo, s5
	v_mov_b32_e32 v85, 0
	ds_read_b64 v[85:86], v85 offset:96
	s_waitcnt lgkmcnt(0)
	v_mul_f32_e32 v87, v82, v86
	v_mul_f32_e32 v86, v88, v86
	v_fma_f32 v87, v88, v85, -v87
	v_fmac_f32_e32 v86, v82, v85
	buffer_store_dword v87, off, s[0:3], 0 offset:96
	buffer_store_dword v86, off, s[0:3], 0 offset:100
.LBB39_63:
	s_or_b32 exec_lo, exec_lo, s4
	s_waitcnt_vscnt null, 0x0
	s_barrier
	buffer_gl0_inv
	s_clause 0x1
	buffer_load_dword v85, off, s[0:3], 0 offset:104
	buffer_load_dword v86, off, s[0:3], 0 offset:108
	s_mov_b32 s4, exec_lo
	s_waitcnt vmcnt(0)
	ds_write_b64 v84, v[85:86]
	s_waitcnt lgkmcnt(0)
	s_barrier
	buffer_gl0_inv
	v_cmpx_gt_u32_e32 13, v0
	s_cbranch_execz .LBB39_67
; %bb.64:
	v_add_nc_u32_e32 v85, -1, v0
	v_add_nc_u32_e32 v86, 0x140, v83
	v_mov_b32_e32 v87, v83
	v_mov_b32_e32 v82, 0
	;; [unrolled: 1-line block ×3, first 2 shown]
	s_mov_b32 s5, 0
	.p2align	6
.LBB39_65:                              ; =>This Inner Loop Header: Depth=1
	s_clause 0x1
	buffer_load_dword v91, v87, s[0:3], 0 offen offset:4
	buffer_load_dword v92, v87, s[0:3], 0 offen
	ds_read_b64 v[89:90], v86
	v_add_nc_u32_e32 v85, 1, v85
	v_add_nc_u32_e32 v86, 8, v86
	;; [unrolled: 1-line block ×3, first 2 shown]
	v_cmp_lt_u32_e32 vcc_lo, 11, v85
	s_or_b32 s5, vcc_lo, s5
	s_waitcnt vmcnt(1) lgkmcnt(0)
	v_mul_f32_e32 v93, v90, v91
	v_mul_f32_e32 v91, v89, v91
	s_waitcnt vmcnt(0)
	v_fma_f32 v89, v89, v92, -v93
	v_fmac_f32_e32 v91, v90, v92
	v_add_f32_e32 v88, v88, v89
	v_add_f32_e32 v82, v82, v91
	s_andn2_b32 exec_lo, exec_lo, s5
	s_cbranch_execnz .LBB39_65
; %bb.66:
	s_or_b32 exec_lo, exec_lo, s5
	v_mov_b32_e32 v85, 0
	ds_read_b64 v[85:86], v85 offset:104
	s_waitcnt lgkmcnt(0)
	v_mul_f32_e32 v87, v82, v86
	v_mul_f32_e32 v86, v88, v86
	v_fma_f32 v87, v88, v85, -v87
	v_fmac_f32_e32 v86, v82, v85
	buffer_store_dword v87, off, s[0:3], 0 offset:104
	buffer_store_dword v86, off, s[0:3], 0 offset:108
.LBB39_67:
	s_or_b32 exec_lo, exec_lo, s4
	s_waitcnt_vscnt null, 0x0
	s_barrier
	buffer_gl0_inv
	s_clause 0x1
	buffer_load_dword v85, off, s[0:3], 0 offset:112
	buffer_load_dword v86, off, s[0:3], 0 offset:116
	s_mov_b32 s4, exec_lo
	s_waitcnt vmcnt(0)
	ds_write_b64 v84, v[85:86]
	s_waitcnt lgkmcnt(0)
	s_barrier
	buffer_gl0_inv
	v_cmpx_gt_u32_e32 14, v0
	s_cbranch_execz .LBB39_71
; %bb.68:
	v_add_nc_u32_e32 v85, -1, v0
	v_add_nc_u32_e32 v86, 0x140, v83
	v_mov_b32_e32 v87, v83
	v_mov_b32_e32 v82, 0
	;; [unrolled: 1-line block ×3, first 2 shown]
	s_mov_b32 s5, 0
	.p2align	6
.LBB39_69:                              ; =>This Inner Loop Header: Depth=1
	s_clause 0x1
	buffer_load_dword v91, v87, s[0:3], 0 offen offset:4
	buffer_load_dword v92, v87, s[0:3], 0 offen
	ds_read_b64 v[89:90], v86
	v_add_nc_u32_e32 v85, 1, v85
	v_add_nc_u32_e32 v86, 8, v86
	;; [unrolled: 1-line block ×3, first 2 shown]
	v_cmp_lt_u32_e32 vcc_lo, 12, v85
	s_or_b32 s5, vcc_lo, s5
	s_waitcnt vmcnt(1) lgkmcnt(0)
	v_mul_f32_e32 v93, v90, v91
	v_mul_f32_e32 v91, v89, v91
	s_waitcnt vmcnt(0)
	v_fma_f32 v89, v89, v92, -v93
	v_fmac_f32_e32 v91, v90, v92
	v_add_f32_e32 v88, v88, v89
	v_add_f32_e32 v82, v82, v91
	s_andn2_b32 exec_lo, exec_lo, s5
	s_cbranch_execnz .LBB39_69
; %bb.70:
	s_or_b32 exec_lo, exec_lo, s5
	v_mov_b32_e32 v85, 0
	ds_read_b64 v[85:86], v85 offset:112
	s_waitcnt lgkmcnt(0)
	v_mul_f32_e32 v87, v82, v86
	v_mul_f32_e32 v86, v88, v86
	v_fma_f32 v87, v88, v85, -v87
	v_fmac_f32_e32 v86, v82, v85
	buffer_store_dword v87, off, s[0:3], 0 offset:112
	buffer_store_dword v86, off, s[0:3], 0 offset:116
.LBB39_71:
	s_or_b32 exec_lo, exec_lo, s4
	s_waitcnt_vscnt null, 0x0
	s_barrier
	buffer_gl0_inv
	s_clause 0x1
	buffer_load_dword v85, off, s[0:3], 0 offset:120
	buffer_load_dword v86, off, s[0:3], 0 offset:124
	s_mov_b32 s4, exec_lo
	s_waitcnt vmcnt(0)
	ds_write_b64 v84, v[85:86]
	s_waitcnt lgkmcnt(0)
	s_barrier
	buffer_gl0_inv
	v_cmpx_gt_u32_e32 15, v0
	s_cbranch_execz .LBB39_75
; %bb.72:
	v_add_nc_u32_e32 v85, -1, v0
	v_add_nc_u32_e32 v86, 0x140, v83
	v_mov_b32_e32 v87, v83
	v_mov_b32_e32 v82, 0
	v_mov_b32_e32 v88, 0
	s_mov_b32 s5, 0
	.p2align	6
.LBB39_73:                              ; =>This Inner Loop Header: Depth=1
	s_clause 0x1
	buffer_load_dword v91, v87, s[0:3], 0 offen offset:4
	buffer_load_dword v92, v87, s[0:3], 0 offen
	ds_read_b64 v[89:90], v86
	v_add_nc_u32_e32 v85, 1, v85
	v_add_nc_u32_e32 v86, 8, v86
	;; [unrolled: 1-line block ×3, first 2 shown]
	v_cmp_lt_u32_e32 vcc_lo, 13, v85
	s_or_b32 s5, vcc_lo, s5
	s_waitcnt vmcnt(1) lgkmcnt(0)
	v_mul_f32_e32 v93, v90, v91
	v_mul_f32_e32 v91, v89, v91
	s_waitcnt vmcnt(0)
	v_fma_f32 v89, v89, v92, -v93
	v_fmac_f32_e32 v91, v90, v92
	v_add_f32_e32 v88, v88, v89
	v_add_f32_e32 v82, v82, v91
	s_andn2_b32 exec_lo, exec_lo, s5
	s_cbranch_execnz .LBB39_73
; %bb.74:
	s_or_b32 exec_lo, exec_lo, s5
	v_mov_b32_e32 v85, 0
	ds_read_b64 v[85:86], v85 offset:120
	s_waitcnt lgkmcnt(0)
	v_mul_f32_e32 v87, v82, v86
	v_mul_f32_e32 v86, v88, v86
	v_fma_f32 v87, v88, v85, -v87
	v_fmac_f32_e32 v86, v82, v85
	buffer_store_dword v87, off, s[0:3], 0 offset:120
	buffer_store_dword v86, off, s[0:3], 0 offset:124
.LBB39_75:
	s_or_b32 exec_lo, exec_lo, s4
	s_waitcnt_vscnt null, 0x0
	s_barrier
	buffer_gl0_inv
	s_clause 0x1
	buffer_load_dword v85, off, s[0:3], 0 offset:128
	buffer_load_dword v86, off, s[0:3], 0 offset:132
	s_mov_b32 s4, exec_lo
	s_waitcnt vmcnt(0)
	ds_write_b64 v84, v[85:86]
	s_waitcnt lgkmcnt(0)
	s_barrier
	buffer_gl0_inv
	v_cmpx_gt_u32_e32 16, v0
	s_cbranch_execz .LBB39_79
; %bb.76:
	v_add_nc_u32_e32 v85, -1, v0
	v_add_nc_u32_e32 v86, 0x140, v83
	v_mov_b32_e32 v87, v83
	v_mov_b32_e32 v82, 0
	v_mov_b32_e32 v88, 0
	s_mov_b32 s5, 0
	.p2align	6
.LBB39_77:                              ; =>This Inner Loop Header: Depth=1
	s_clause 0x1
	buffer_load_dword v91, v87, s[0:3], 0 offen offset:4
	buffer_load_dword v92, v87, s[0:3], 0 offen
	ds_read_b64 v[89:90], v86
	v_add_nc_u32_e32 v85, 1, v85
	v_add_nc_u32_e32 v86, 8, v86
	;; [unrolled: 1-line block ×3, first 2 shown]
	v_cmp_lt_u32_e32 vcc_lo, 14, v85
	s_or_b32 s5, vcc_lo, s5
	s_waitcnt vmcnt(1) lgkmcnt(0)
	v_mul_f32_e32 v93, v90, v91
	v_mul_f32_e32 v91, v89, v91
	s_waitcnt vmcnt(0)
	v_fma_f32 v89, v89, v92, -v93
	v_fmac_f32_e32 v91, v90, v92
	v_add_f32_e32 v88, v88, v89
	v_add_f32_e32 v82, v82, v91
	s_andn2_b32 exec_lo, exec_lo, s5
	s_cbranch_execnz .LBB39_77
; %bb.78:
	s_or_b32 exec_lo, exec_lo, s5
	v_mov_b32_e32 v85, 0
	ds_read_b64 v[85:86], v85 offset:128
	s_waitcnt lgkmcnt(0)
	v_mul_f32_e32 v87, v82, v86
	v_mul_f32_e32 v86, v88, v86
	v_fma_f32 v87, v88, v85, -v87
	v_fmac_f32_e32 v86, v82, v85
	buffer_store_dword v87, off, s[0:3], 0 offset:128
	buffer_store_dword v86, off, s[0:3], 0 offset:132
.LBB39_79:
	s_or_b32 exec_lo, exec_lo, s4
	s_waitcnt_vscnt null, 0x0
	s_barrier
	buffer_gl0_inv
	s_clause 0x1
	buffer_load_dword v85, off, s[0:3], 0 offset:136
	buffer_load_dword v86, off, s[0:3], 0 offset:140
	s_mov_b32 s4, exec_lo
	s_waitcnt vmcnt(0)
	ds_write_b64 v84, v[85:86]
	s_waitcnt lgkmcnt(0)
	s_barrier
	buffer_gl0_inv
	v_cmpx_gt_u32_e32 17, v0
	s_cbranch_execz .LBB39_83
; %bb.80:
	v_add_nc_u32_e32 v85, -1, v0
	v_add_nc_u32_e32 v86, 0x140, v83
	v_mov_b32_e32 v87, v83
	v_mov_b32_e32 v82, 0
	;; [unrolled: 1-line block ×3, first 2 shown]
	s_mov_b32 s5, 0
	.p2align	6
.LBB39_81:                              ; =>This Inner Loop Header: Depth=1
	s_clause 0x1
	buffer_load_dword v91, v87, s[0:3], 0 offen offset:4
	buffer_load_dword v92, v87, s[0:3], 0 offen
	ds_read_b64 v[89:90], v86
	v_add_nc_u32_e32 v85, 1, v85
	v_add_nc_u32_e32 v86, 8, v86
	;; [unrolled: 1-line block ×3, first 2 shown]
	v_cmp_lt_u32_e32 vcc_lo, 15, v85
	s_or_b32 s5, vcc_lo, s5
	s_waitcnt vmcnt(1) lgkmcnt(0)
	v_mul_f32_e32 v93, v90, v91
	v_mul_f32_e32 v91, v89, v91
	s_waitcnt vmcnt(0)
	v_fma_f32 v89, v89, v92, -v93
	v_fmac_f32_e32 v91, v90, v92
	v_add_f32_e32 v88, v88, v89
	v_add_f32_e32 v82, v82, v91
	s_andn2_b32 exec_lo, exec_lo, s5
	s_cbranch_execnz .LBB39_81
; %bb.82:
	s_or_b32 exec_lo, exec_lo, s5
	v_mov_b32_e32 v85, 0
	ds_read_b64 v[85:86], v85 offset:136
	s_waitcnt lgkmcnt(0)
	v_mul_f32_e32 v87, v82, v86
	v_mul_f32_e32 v86, v88, v86
	v_fma_f32 v87, v88, v85, -v87
	v_fmac_f32_e32 v86, v82, v85
	buffer_store_dword v87, off, s[0:3], 0 offset:136
	buffer_store_dword v86, off, s[0:3], 0 offset:140
.LBB39_83:
	s_or_b32 exec_lo, exec_lo, s4
	s_waitcnt_vscnt null, 0x0
	s_barrier
	buffer_gl0_inv
	s_clause 0x1
	buffer_load_dword v85, off, s[0:3], 0 offset:144
	buffer_load_dword v86, off, s[0:3], 0 offset:148
	s_mov_b32 s4, exec_lo
	s_waitcnt vmcnt(0)
	ds_write_b64 v84, v[85:86]
	s_waitcnt lgkmcnt(0)
	s_barrier
	buffer_gl0_inv
	v_cmpx_gt_u32_e32 18, v0
	s_cbranch_execz .LBB39_87
; %bb.84:
	v_add_nc_u32_e32 v85, -1, v0
	v_add_nc_u32_e32 v86, 0x140, v83
	v_mov_b32_e32 v87, v83
	v_mov_b32_e32 v82, 0
	;; [unrolled: 1-line block ×3, first 2 shown]
	s_mov_b32 s5, 0
	.p2align	6
.LBB39_85:                              ; =>This Inner Loop Header: Depth=1
	s_clause 0x1
	buffer_load_dword v91, v87, s[0:3], 0 offen offset:4
	buffer_load_dword v92, v87, s[0:3], 0 offen
	ds_read_b64 v[89:90], v86
	v_add_nc_u32_e32 v85, 1, v85
	v_add_nc_u32_e32 v86, 8, v86
	;; [unrolled: 1-line block ×3, first 2 shown]
	v_cmp_lt_u32_e32 vcc_lo, 16, v85
	s_or_b32 s5, vcc_lo, s5
	s_waitcnt vmcnt(1) lgkmcnt(0)
	v_mul_f32_e32 v93, v90, v91
	v_mul_f32_e32 v91, v89, v91
	s_waitcnt vmcnt(0)
	v_fma_f32 v89, v89, v92, -v93
	v_fmac_f32_e32 v91, v90, v92
	v_add_f32_e32 v88, v88, v89
	v_add_f32_e32 v82, v82, v91
	s_andn2_b32 exec_lo, exec_lo, s5
	s_cbranch_execnz .LBB39_85
; %bb.86:
	s_or_b32 exec_lo, exec_lo, s5
	v_mov_b32_e32 v85, 0
	ds_read_b64 v[85:86], v85 offset:144
	s_waitcnt lgkmcnt(0)
	v_mul_f32_e32 v87, v82, v86
	v_mul_f32_e32 v86, v88, v86
	v_fma_f32 v87, v88, v85, -v87
	v_fmac_f32_e32 v86, v82, v85
	buffer_store_dword v87, off, s[0:3], 0 offset:144
	buffer_store_dword v86, off, s[0:3], 0 offset:148
.LBB39_87:
	s_or_b32 exec_lo, exec_lo, s4
	s_waitcnt_vscnt null, 0x0
	s_barrier
	buffer_gl0_inv
	s_clause 0x1
	buffer_load_dword v85, off, s[0:3], 0 offset:152
	buffer_load_dword v86, off, s[0:3], 0 offset:156
	s_mov_b32 s4, exec_lo
	s_waitcnt vmcnt(0)
	ds_write_b64 v84, v[85:86]
	s_waitcnt lgkmcnt(0)
	s_barrier
	buffer_gl0_inv
	v_cmpx_gt_u32_e32 19, v0
	s_cbranch_execz .LBB39_91
; %bb.88:
	v_add_nc_u32_e32 v85, -1, v0
	v_add_nc_u32_e32 v86, 0x140, v83
	v_mov_b32_e32 v87, v83
	v_mov_b32_e32 v82, 0
	;; [unrolled: 1-line block ×3, first 2 shown]
	s_mov_b32 s5, 0
	.p2align	6
.LBB39_89:                              ; =>This Inner Loop Header: Depth=1
	s_clause 0x1
	buffer_load_dword v91, v87, s[0:3], 0 offen offset:4
	buffer_load_dword v92, v87, s[0:3], 0 offen
	ds_read_b64 v[89:90], v86
	v_add_nc_u32_e32 v85, 1, v85
	v_add_nc_u32_e32 v86, 8, v86
	;; [unrolled: 1-line block ×3, first 2 shown]
	v_cmp_lt_u32_e32 vcc_lo, 17, v85
	s_or_b32 s5, vcc_lo, s5
	s_waitcnt vmcnt(1) lgkmcnt(0)
	v_mul_f32_e32 v93, v90, v91
	v_mul_f32_e32 v91, v89, v91
	s_waitcnt vmcnt(0)
	v_fma_f32 v89, v89, v92, -v93
	v_fmac_f32_e32 v91, v90, v92
	v_add_f32_e32 v88, v88, v89
	v_add_f32_e32 v82, v82, v91
	s_andn2_b32 exec_lo, exec_lo, s5
	s_cbranch_execnz .LBB39_89
; %bb.90:
	s_or_b32 exec_lo, exec_lo, s5
	v_mov_b32_e32 v85, 0
	ds_read_b64 v[85:86], v85 offset:152
	s_waitcnt lgkmcnt(0)
	v_mul_f32_e32 v87, v82, v86
	v_mul_f32_e32 v86, v88, v86
	v_fma_f32 v87, v88, v85, -v87
	v_fmac_f32_e32 v86, v82, v85
	buffer_store_dword v87, off, s[0:3], 0 offset:152
	buffer_store_dword v86, off, s[0:3], 0 offset:156
.LBB39_91:
	s_or_b32 exec_lo, exec_lo, s4
	s_waitcnt_vscnt null, 0x0
	s_barrier
	buffer_gl0_inv
	s_clause 0x1
	buffer_load_dword v85, off, s[0:3], 0 offset:160
	buffer_load_dword v86, off, s[0:3], 0 offset:164
	s_mov_b32 s4, exec_lo
	s_waitcnt vmcnt(0)
	ds_write_b64 v84, v[85:86]
	s_waitcnt lgkmcnt(0)
	s_barrier
	buffer_gl0_inv
	v_cmpx_gt_u32_e32 20, v0
	s_cbranch_execz .LBB39_95
; %bb.92:
	v_add_nc_u32_e32 v85, -1, v0
	v_add_nc_u32_e32 v86, 0x140, v83
	v_mov_b32_e32 v87, v83
	v_mov_b32_e32 v82, 0
	;; [unrolled: 1-line block ×3, first 2 shown]
	s_mov_b32 s5, 0
	.p2align	6
.LBB39_93:                              ; =>This Inner Loop Header: Depth=1
	s_clause 0x1
	buffer_load_dword v91, v87, s[0:3], 0 offen offset:4
	buffer_load_dword v92, v87, s[0:3], 0 offen
	ds_read_b64 v[89:90], v86
	v_add_nc_u32_e32 v85, 1, v85
	v_add_nc_u32_e32 v86, 8, v86
	;; [unrolled: 1-line block ×3, first 2 shown]
	v_cmp_lt_u32_e32 vcc_lo, 18, v85
	s_or_b32 s5, vcc_lo, s5
	s_waitcnt vmcnt(1) lgkmcnt(0)
	v_mul_f32_e32 v93, v90, v91
	v_mul_f32_e32 v91, v89, v91
	s_waitcnt vmcnt(0)
	v_fma_f32 v89, v89, v92, -v93
	v_fmac_f32_e32 v91, v90, v92
	v_add_f32_e32 v88, v88, v89
	v_add_f32_e32 v82, v82, v91
	s_andn2_b32 exec_lo, exec_lo, s5
	s_cbranch_execnz .LBB39_93
; %bb.94:
	s_or_b32 exec_lo, exec_lo, s5
	v_mov_b32_e32 v85, 0
	ds_read_b64 v[85:86], v85 offset:160
	s_waitcnt lgkmcnt(0)
	v_mul_f32_e32 v87, v82, v86
	v_mul_f32_e32 v86, v88, v86
	v_fma_f32 v87, v88, v85, -v87
	v_fmac_f32_e32 v86, v82, v85
	buffer_store_dword v87, off, s[0:3], 0 offset:160
	buffer_store_dword v86, off, s[0:3], 0 offset:164
.LBB39_95:
	s_or_b32 exec_lo, exec_lo, s4
	s_waitcnt_vscnt null, 0x0
	s_barrier
	buffer_gl0_inv
	s_clause 0x1
	buffer_load_dword v85, off, s[0:3], 0 offset:168
	buffer_load_dword v86, off, s[0:3], 0 offset:172
	s_mov_b32 s4, exec_lo
	s_waitcnt vmcnt(0)
	ds_write_b64 v84, v[85:86]
	s_waitcnt lgkmcnt(0)
	s_barrier
	buffer_gl0_inv
	v_cmpx_gt_u32_e32 21, v0
	s_cbranch_execz .LBB39_99
; %bb.96:
	v_add_nc_u32_e32 v85, -1, v0
	v_add_nc_u32_e32 v86, 0x140, v83
	v_mov_b32_e32 v87, v83
	v_mov_b32_e32 v82, 0
	;; [unrolled: 1-line block ×3, first 2 shown]
	s_mov_b32 s5, 0
	.p2align	6
.LBB39_97:                              ; =>This Inner Loop Header: Depth=1
	s_clause 0x1
	buffer_load_dword v91, v87, s[0:3], 0 offen offset:4
	buffer_load_dword v92, v87, s[0:3], 0 offen
	ds_read_b64 v[89:90], v86
	v_add_nc_u32_e32 v85, 1, v85
	v_add_nc_u32_e32 v86, 8, v86
	;; [unrolled: 1-line block ×3, first 2 shown]
	v_cmp_lt_u32_e32 vcc_lo, 19, v85
	s_or_b32 s5, vcc_lo, s5
	s_waitcnt vmcnt(1) lgkmcnt(0)
	v_mul_f32_e32 v93, v90, v91
	v_mul_f32_e32 v91, v89, v91
	s_waitcnt vmcnt(0)
	v_fma_f32 v89, v89, v92, -v93
	v_fmac_f32_e32 v91, v90, v92
	v_add_f32_e32 v88, v88, v89
	v_add_f32_e32 v82, v82, v91
	s_andn2_b32 exec_lo, exec_lo, s5
	s_cbranch_execnz .LBB39_97
; %bb.98:
	s_or_b32 exec_lo, exec_lo, s5
	v_mov_b32_e32 v85, 0
	ds_read_b64 v[85:86], v85 offset:168
	s_waitcnt lgkmcnt(0)
	v_mul_f32_e32 v87, v82, v86
	v_mul_f32_e32 v86, v88, v86
	v_fma_f32 v87, v88, v85, -v87
	v_fmac_f32_e32 v86, v82, v85
	buffer_store_dword v87, off, s[0:3], 0 offset:168
	buffer_store_dword v86, off, s[0:3], 0 offset:172
.LBB39_99:
	s_or_b32 exec_lo, exec_lo, s4
	s_waitcnt_vscnt null, 0x0
	s_barrier
	buffer_gl0_inv
	s_clause 0x1
	buffer_load_dword v85, off, s[0:3], 0 offset:176
	buffer_load_dword v86, off, s[0:3], 0 offset:180
	s_mov_b32 s4, exec_lo
	s_waitcnt vmcnt(0)
	ds_write_b64 v84, v[85:86]
	s_waitcnt lgkmcnt(0)
	s_barrier
	buffer_gl0_inv
	v_cmpx_gt_u32_e32 22, v0
	s_cbranch_execz .LBB39_103
; %bb.100:
	v_add_nc_u32_e32 v85, -1, v0
	v_add_nc_u32_e32 v86, 0x140, v83
	v_mov_b32_e32 v87, v83
	v_mov_b32_e32 v82, 0
	v_mov_b32_e32 v88, 0
	s_mov_b32 s5, 0
	.p2align	6
.LBB39_101:                             ; =>This Inner Loop Header: Depth=1
	s_clause 0x1
	buffer_load_dword v91, v87, s[0:3], 0 offen offset:4
	buffer_load_dword v92, v87, s[0:3], 0 offen
	ds_read_b64 v[89:90], v86
	v_add_nc_u32_e32 v85, 1, v85
	v_add_nc_u32_e32 v86, 8, v86
	;; [unrolled: 1-line block ×3, first 2 shown]
	v_cmp_lt_u32_e32 vcc_lo, 20, v85
	s_or_b32 s5, vcc_lo, s5
	s_waitcnt vmcnt(1) lgkmcnt(0)
	v_mul_f32_e32 v93, v90, v91
	v_mul_f32_e32 v91, v89, v91
	s_waitcnt vmcnt(0)
	v_fma_f32 v89, v89, v92, -v93
	v_fmac_f32_e32 v91, v90, v92
	v_add_f32_e32 v88, v88, v89
	v_add_f32_e32 v82, v82, v91
	s_andn2_b32 exec_lo, exec_lo, s5
	s_cbranch_execnz .LBB39_101
; %bb.102:
	s_or_b32 exec_lo, exec_lo, s5
	v_mov_b32_e32 v85, 0
	ds_read_b64 v[85:86], v85 offset:176
	s_waitcnt lgkmcnt(0)
	v_mul_f32_e32 v87, v82, v86
	v_mul_f32_e32 v86, v88, v86
	v_fma_f32 v87, v88, v85, -v87
	v_fmac_f32_e32 v86, v82, v85
	buffer_store_dword v87, off, s[0:3], 0 offset:176
	buffer_store_dword v86, off, s[0:3], 0 offset:180
.LBB39_103:
	s_or_b32 exec_lo, exec_lo, s4
	s_waitcnt_vscnt null, 0x0
	s_barrier
	buffer_gl0_inv
	s_clause 0x1
	buffer_load_dword v85, off, s[0:3], 0 offset:184
	buffer_load_dword v86, off, s[0:3], 0 offset:188
	s_mov_b32 s4, exec_lo
	s_waitcnt vmcnt(0)
	ds_write_b64 v84, v[85:86]
	s_waitcnt lgkmcnt(0)
	s_barrier
	buffer_gl0_inv
	v_cmpx_gt_u32_e32 23, v0
	s_cbranch_execz .LBB39_107
; %bb.104:
	v_add_nc_u32_e32 v85, -1, v0
	v_add_nc_u32_e32 v86, 0x140, v83
	v_mov_b32_e32 v87, v83
	v_mov_b32_e32 v82, 0
	;; [unrolled: 1-line block ×3, first 2 shown]
	s_mov_b32 s5, 0
	.p2align	6
.LBB39_105:                             ; =>This Inner Loop Header: Depth=1
	s_clause 0x1
	buffer_load_dword v91, v87, s[0:3], 0 offen offset:4
	buffer_load_dword v92, v87, s[0:3], 0 offen
	ds_read_b64 v[89:90], v86
	v_add_nc_u32_e32 v85, 1, v85
	v_add_nc_u32_e32 v86, 8, v86
	v_add_nc_u32_e32 v87, 8, v87
	v_cmp_lt_u32_e32 vcc_lo, 21, v85
	s_or_b32 s5, vcc_lo, s5
	s_waitcnt vmcnt(1) lgkmcnt(0)
	v_mul_f32_e32 v93, v90, v91
	v_mul_f32_e32 v91, v89, v91
	s_waitcnt vmcnt(0)
	v_fma_f32 v89, v89, v92, -v93
	v_fmac_f32_e32 v91, v90, v92
	v_add_f32_e32 v88, v88, v89
	v_add_f32_e32 v82, v82, v91
	s_andn2_b32 exec_lo, exec_lo, s5
	s_cbranch_execnz .LBB39_105
; %bb.106:
	s_or_b32 exec_lo, exec_lo, s5
	v_mov_b32_e32 v85, 0
	ds_read_b64 v[85:86], v85 offset:184
	s_waitcnt lgkmcnt(0)
	v_mul_f32_e32 v87, v82, v86
	v_mul_f32_e32 v86, v88, v86
	v_fma_f32 v87, v88, v85, -v87
	v_fmac_f32_e32 v86, v82, v85
	buffer_store_dword v87, off, s[0:3], 0 offset:184
	buffer_store_dword v86, off, s[0:3], 0 offset:188
.LBB39_107:
	s_or_b32 exec_lo, exec_lo, s4
	s_waitcnt_vscnt null, 0x0
	s_barrier
	buffer_gl0_inv
	s_clause 0x1
	buffer_load_dword v85, off, s[0:3], 0 offset:192
	buffer_load_dword v86, off, s[0:3], 0 offset:196
	s_mov_b32 s4, exec_lo
	s_waitcnt vmcnt(0)
	ds_write_b64 v84, v[85:86]
	s_waitcnt lgkmcnt(0)
	s_barrier
	buffer_gl0_inv
	v_cmpx_gt_u32_e32 24, v0
	s_cbranch_execz .LBB39_111
; %bb.108:
	v_add_nc_u32_e32 v85, -1, v0
	v_add_nc_u32_e32 v86, 0x140, v83
	v_mov_b32_e32 v87, v83
	v_mov_b32_e32 v82, 0
	;; [unrolled: 1-line block ×3, first 2 shown]
	s_mov_b32 s5, 0
	.p2align	6
.LBB39_109:                             ; =>This Inner Loop Header: Depth=1
	s_clause 0x1
	buffer_load_dword v91, v87, s[0:3], 0 offen offset:4
	buffer_load_dword v92, v87, s[0:3], 0 offen
	ds_read_b64 v[89:90], v86
	v_add_nc_u32_e32 v85, 1, v85
	v_add_nc_u32_e32 v86, 8, v86
	;; [unrolled: 1-line block ×3, first 2 shown]
	v_cmp_lt_u32_e32 vcc_lo, 22, v85
	s_or_b32 s5, vcc_lo, s5
	s_waitcnt vmcnt(1) lgkmcnt(0)
	v_mul_f32_e32 v93, v90, v91
	v_mul_f32_e32 v91, v89, v91
	s_waitcnt vmcnt(0)
	v_fma_f32 v89, v89, v92, -v93
	v_fmac_f32_e32 v91, v90, v92
	v_add_f32_e32 v88, v88, v89
	v_add_f32_e32 v82, v82, v91
	s_andn2_b32 exec_lo, exec_lo, s5
	s_cbranch_execnz .LBB39_109
; %bb.110:
	s_or_b32 exec_lo, exec_lo, s5
	v_mov_b32_e32 v85, 0
	ds_read_b64 v[85:86], v85 offset:192
	s_waitcnt lgkmcnt(0)
	v_mul_f32_e32 v87, v82, v86
	v_mul_f32_e32 v86, v88, v86
	v_fma_f32 v87, v88, v85, -v87
	v_fmac_f32_e32 v86, v82, v85
	buffer_store_dword v87, off, s[0:3], 0 offset:192
	buffer_store_dword v86, off, s[0:3], 0 offset:196
.LBB39_111:
	s_or_b32 exec_lo, exec_lo, s4
	s_waitcnt_vscnt null, 0x0
	s_barrier
	buffer_gl0_inv
	s_clause 0x1
	buffer_load_dword v85, off, s[0:3], 0 offset:200
	buffer_load_dword v86, off, s[0:3], 0 offset:204
	s_mov_b32 s4, exec_lo
	s_waitcnt vmcnt(0)
	ds_write_b64 v84, v[85:86]
	s_waitcnt lgkmcnt(0)
	s_barrier
	buffer_gl0_inv
	v_cmpx_gt_u32_e32 25, v0
	s_cbranch_execz .LBB39_115
; %bb.112:
	v_add_nc_u32_e32 v85, -1, v0
	v_add_nc_u32_e32 v86, 0x140, v83
	v_mov_b32_e32 v87, v83
	v_mov_b32_e32 v82, 0
	;; [unrolled: 1-line block ×3, first 2 shown]
	s_mov_b32 s5, 0
	.p2align	6
.LBB39_113:                             ; =>This Inner Loop Header: Depth=1
	s_clause 0x1
	buffer_load_dword v91, v87, s[0:3], 0 offen offset:4
	buffer_load_dword v92, v87, s[0:3], 0 offen
	ds_read_b64 v[89:90], v86
	v_add_nc_u32_e32 v85, 1, v85
	v_add_nc_u32_e32 v86, 8, v86
	v_add_nc_u32_e32 v87, 8, v87
	v_cmp_lt_u32_e32 vcc_lo, 23, v85
	s_or_b32 s5, vcc_lo, s5
	s_waitcnt vmcnt(1) lgkmcnt(0)
	v_mul_f32_e32 v93, v90, v91
	v_mul_f32_e32 v91, v89, v91
	s_waitcnt vmcnt(0)
	v_fma_f32 v89, v89, v92, -v93
	v_fmac_f32_e32 v91, v90, v92
	v_add_f32_e32 v88, v88, v89
	v_add_f32_e32 v82, v82, v91
	s_andn2_b32 exec_lo, exec_lo, s5
	s_cbranch_execnz .LBB39_113
; %bb.114:
	s_or_b32 exec_lo, exec_lo, s5
	v_mov_b32_e32 v85, 0
	ds_read_b64 v[85:86], v85 offset:200
	s_waitcnt lgkmcnt(0)
	v_mul_f32_e32 v87, v82, v86
	v_mul_f32_e32 v86, v88, v86
	v_fma_f32 v87, v88, v85, -v87
	v_fmac_f32_e32 v86, v82, v85
	buffer_store_dword v87, off, s[0:3], 0 offset:200
	buffer_store_dword v86, off, s[0:3], 0 offset:204
.LBB39_115:
	s_or_b32 exec_lo, exec_lo, s4
	s_waitcnt_vscnt null, 0x0
	s_barrier
	buffer_gl0_inv
	s_clause 0x1
	buffer_load_dword v85, off, s[0:3], 0 offset:208
	buffer_load_dword v86, off, s[0:3], 0 offset:212
	s_mov_b32 s4, exec_lo
	s_waitcnt vmcnt(0)
	ds_write_b64 v84, v[85:86]
	s_waitcnt lgkmcnt(0)
	s_barrier
	buffer_gl0_inv
	v_cmpx_gt_u32_e32 26, v0
	s_cbranch_execz .LBB39_119
; %bb.116:
	v_add_nc_u32_e32 v85, -1, v0
	v_add_nc_u32_e32 v86, 0x140, v83
	v_mov_b32_e32 v87, v83
	v_mov_b32_e32 v82, 0
	;; [unrolled: 1-line block ×3, first 2 shown]
	s_mov_b32 s5, 0
	.p2align	6
.LBB39_117:                             ; =>This Inner Loop Header: Depth=1
	s_clause 0x1
	buffer_load_dword v91, v87, s[0:3], 0 offen offset:4
	buffer_load_dword v92, v87, s[0:3], 0 offen
	ds_read_b64 v[89:90], v86
	v_add_nc_u32_e32 v85, 1, v85
	v_add_nc_u32_e32 v86, 8, v86
	;; [unrolled: 1-line block ×3, first 2 shown]
	v_cmp_lt_u32_e32 vcc_lo, 24, v85
	s_or_b32 s5, vcc_lo, s5
	s_waitcnt vmcnt(1) lgkmcnt(0)
	v_mul_f32_e32 v93, v90, v91
	v_mul_f32_e32 v91, v89, v91
	s_waitcnt vmcnt(0)
	v_fma_f32 v89, v89, v92, -v93
	v_fmac_f32_e32 v91, v90, v92
	v_add_f32_e32 v88, v88, v89
	v_add_f32_e32 v82, v82, v91
	s_andn2_b32 exec_lo, exec_lo, s5
	s_cbranch_execnz .LBB39_117
; %bb.118:
	s_or_b32 exec_lo, exec_lo, s5
	v_mov_b32_e32 v85, 0
	ds_read_b64 v[85:86], v85 offset:208
	s_waitcnt lgkmcnt(0)
	v_mul_f32_e32 v87, v82, v86
	v_mul_f32_e32 v86, v88, v86
	v_fma_f32 v87, v88, v85, -v87
	v_fmac_f32_e32 v86, v82, v85
	buffer_store_dword v87, off, s[0:3], 0 offset:208
	buffer_store_dword v86, off, s[0:3], 0 offset:212
.LBB39_119:
	s_or_b32 exec_lo, exec_lo, s4
	s_waitcnt_vscnt null, 0x0
	s_barrier
	buffer_gl0_inv
	s_clause 0x1
	buffer_load_dword v85, off, s[0:3], 0 offset:216
	buffer_load_dword v86, off, s[0:3], 0 offset:220
	s_mov_b32 s4, exec_lo
	s_waitcnt vmcnt(0)
	ds_write_b64 v84, v[85:86]
	s_waitcnt lgkmcnt(0)
	s_barrier
	buffer_gl0_inv
	v_cmpx_gt_u32_e32 27, v0
	s_cbranch_execz .LBB39_123
; %bb.120:
	v_add_nc_u32_e32 v85, -1, v0
	v_add_nc_u32_e32 v86, 0x140, v83
	v_mov_b32_e32 v87, v83
	v_mov_b32_e32 v82, 0
	;; [unrolled: 1-line block ×3, first 2 shown]
	s_mov_b32 s5, 0
	.p2align	6
.LBB39_121:                             ; =>This Inner Loop Header: Depth=1
	s_clause 0x1
	buffer_load_dword v91, v87, s[0:3], 0 offen offset:4
	buffer_load_dword v92, v87, s[0:3], 0 offen
	ds_read_b64 v[89:90], v86
	v_add_nc_u32_e32 v85, 1, v85
	v_add_nc_u32_e32 v86, 8, v86
	;; [unrolled: 1-line block ×3, first 2 shown]
	v_cmp_lt_u32_e32 vcc_lo, 25, v85
	s_or_b32 s5, vcc_lo, s5
	s_waitcnt vmcnt(1) lgkmcnt(0)
	v_mul_f32_e32 v93, v90, v91
	v_mul_f32_e32 v91, v89, v91
	s_waitcnt vmcnt(0)
	v_fma_f32 v89, v89, v92, -v93
	v_fmac_f32_e32 v91, v90, v92
	v_add_f32_e32 v88, v88, v89
	v_add_f32_e32 v82, v82, v91
	s_andn2_b32 exec_lo, exec_lo, s5
	s_cbranch_execnz .LBB39_121
; %bb.122:
	s_or_b32 exec_lo, exec_lo, s5
	v_mov_b32_e32 v85, 0
	ds_read_b64 v[85:86], v85 offset:216
	s_waitcnt lgkmcnt(0)
	v_mul_f32_e32 v87, v82, v86
	v_mul_f32_e32 v86, v88, v86
	v_fma_f32 v87, v88, v85, -v87
	v_fmac_f32_e32 v86, v82, v85
	buffer_store_dword v87, off, s[0:3], 0 offset:216
	buffer_store_dword v86, off, s[0:3], 0 offset:220
.LBB39_123:
	s_or_b32 exec_lo, exec_lo, s4
	s_waitcnt_vscnt null, 0x0
	s_barrier
	buffer_gl0_inv
	s_clause 0x1
	buffer_load_dword v85, off, s[0:3], 0 offset:224
	buffer_load_dword v86, off, s[0:3], 0 offset:228
	s_mov_b32 s4, exec_lo
	s_waitcnt vmcnt(0)
	ds_write_b64 v84, v[85:86]
	s_waitcnt lgkmcnt(0)
	s_barrier
	buffer_gl0_inv
	v_cmpx_gt_u32_e32 28, v0
	s_cbranch_execz .LBB39_127
; %bb.124:
	v_add_nc_u32_e32 v85, -1, v0
	v_add_nc_u32_e32 v86, 0x140, v83
	v_mov_b32_e32 v87, v83
	v_mov_b32_e32 v82, 0
	;; [unrolled: 1-line block ×3, first 2 shown]
	s_mov_b32 s5, 0
	.p2align	6
.LBB39_125:                             ; =>This Inner Loop Header: Depth=1
	s_clause 0x1
	buffer_load_dword v91, v87, s[0:3], 0 offen offset:4
	buffer_load_dword v92, v87, s[0:3], 0 offen
	ds_read_b64 v[89:90], v86
	v_add_nc_u32_e32 v85, 1, v85
	v_add_nc_u32_e32 v86, 8, v86
	;; [unrolled: 1-line block ×3, first 2 shown]
	v_cmp_lt_u32_e32 vcc_lo, 26, v85
	s_or_b32 s5, vcc_lo, s5
	s_waitcnt vmcnt(1) lgkmcnt(0)
	v_mul_f32_e32 v93, v90, v91
	v_mul_f32_e32 v91, v89, v91
	s_waitcnt vmcnt(0)
	v_fma_f32 v89, v89, v92, -v93
	v_fmac_f32_e32 v91, v90, v92
	v_add_f32_e32 v88, v88, v89
	v_add_f32_e32 v82, v82, v91
	s_andn2_b32 exec_lo, exec_lo, s5
	s_cbranch_execnz .LBB39_125
; %bb.126:
	s_or_b32 exec_lo, exec_lo, s5
	v_mov_b32_e32 v85, 0
	ds_read_b64 v[85:86], v85 offset:224
	s_waitcnt lgkmcnt(0)
	v_mul_f32_e32 v87, v82, v86
	v_mul_f32_e32 v86, v88, v86
	v_fma_f32 v87, v88, v85, -v87
	v_fmac_f32_e32 v86, v82, v85
	buffer_store_dword v87, off, s[0:3], 0 offset:224
	buffer_store_dword v86, off, s[0:3], 0 offset:228
.LBB39_127:
	s_or_b32 exec_lo, exec_lo, s4
	s_waitcnt_vscnt null, 0x0
	s_barrier
	buffer_gl0_inv
	s_clause 0x1
	buffer_load_dword v85, off, s[0:3], 0 offset:232
	buffer_load_dword v86, off, s[0:3], 0 offset:236
	s_mov_b32 s4, exec_lo
	s_waitcnt vmcnt(0)
	ds_write_b64 v84, v[85:86]
	s_waitcnt lgkmcnt(0)
	s_barrier
	buffer_gl0_inv
	v_cmpx_gt_u32_e32 29, v0
	s_cbranch_execz .LBB39_131
; %bb.128:
	v_add_nc_u32_e32 v85, -1, v0
	v_add_nc_u32_e32 v86, 0x140, v83
	v_mov_b32_e32 v87, v83
	v_mov_b32_e32 v82, 0
	;; [unrolled: 1-line block ×3, first 2 shown]
	s_mov_b32 s5, 0
	.p2align	6
.LBB39_129:                             ; =>This Inner Loop Header: Depth=1
	s_clause 0x1
	buffer_load_dword v91, v87, s[0:3], 0 offen offset:4
	buffer_load_dword v92, v87, s[0:3], 0 offen
	ds_read_b64 v[89:90], v86
	v_add_nc_u32_e32 v85, 1, v85
	v_add_nc_u32_e32 v86, 8, v86
	;; [unrolled: 1-line block ×3, first 2 shown]
	v_cmp_lt_u32_e32 vcc_lo, 27, v85
	s_or_b32 s5, vcc_lo, s5
	s_waitcnt vmcnt(1) lgkmcnt(0)
	v_mul_f32_e32 v93, v90, v91
	v_mul_f32_e32 v91, v89, v91
	s_waitcnt vmcnt(0)
	v_fma_f32 v89, v89, v92, -v93
	v_fmac_f32_e32 v91, v90, v92
	v_add_f32_e32 v88, v88, v89
	v_add_f32_e32 v82, v82, v91
	s_andn2_b32 exec_lo, exec_lo, s5
	s_cbranch_execnz .LBB39_129
; %bb.130:
	s_or_b32 exec_lo, exec_lo, s5
	v_mov_b32_e32 v85, 0
	ds_read_b64 v[85:86], v85 offset:232
	s_waitcnt lgkmcnt(0)
	v_mul_f32_e32 v87, v82, v86
	v_mul_f32_e32 v86, v88, v86
	v_fma_f32 v87, v88, v85, -v87
	v_fmac_f32_e32 v86, v82, v85
	buffer_store_dword v87, off, s[0:3], 0 offset:232
	buffer_store_dword v86, off, s[0:3], 0 offset:236
.LBB39_131:
	s_or_b32 exec_lo, exec_lo, s4
	s_waitcnt_vscnt null, 0x0
	s_barrier
	buffer_gl0_inv
	s_clause 0x1
	buffer_load_dword v85, off, s[0:3], 0 offset:240
	buffer_load_dword v86, off, s[0:3], 0 offset:244
	s_mov_b32 s4, exec_lo
	s_waitcnt vmcnt(0)
	ds_write_b64 v84, v[85:86]
	s_waitcnt lgkmcnt(0)
	s_barrier
	buffer_gl0_inv
	v_cmpx_gt_u32_e32 30, v0
	s_cbranch_execz .LBB39_135
; %bb.132:
	v_add_nc_u32_e32 v85, -1, v0
	v_add_nc_u32_e32 v86, 0x140, v83
	v_mov_b32_e32 v87, v83
	v_mov_b32_e32 v82, 0
	v_mov_b32_e32 v88, 0
	s_mov_b32 s5, 0
	.p2align	6
.LBB39_133:                             ; =>This Inner Loop Header: Depth=1
	s_clause 0x1
	buffer_load_dword v91, v87, s[0:3], 0 offen offset:4
	buffer_load_dword v92, v87, s[0:3], 0 offen
	ds_read_b64 v[89:90], v86
	v_add_nc_u32_e32 v85, 1, v85
	v_add_nc_u32_e32 v86, 8, v86
	v_add_nc_u32_e32 v87, 8, v87
	v_cmp_lt_u32_e32 vcc_lo, 28, v85
	s_or_b32 s5, vcc_lo, s5
	s_waitcnt vmcnt(1) lgkmcnt(0)
	v_mul_f32_e32 v93, v90, v91
	v_mul_f32_e32 v91, v89, v91
	s_waitcnt vmcnt(0)
	v_fma_f32 v89, v89, v92, -v93
	v_fmac_f32_e32 v91, v90, v92
	v_add_f32_e32 v88, v88, v89
	v_add_f32_e32 v82, v82, v91
	s_andn2_b32 exec_lo, exec_lo, s5
	s_cbranch_execnz .LBB39_133
; %bb.134:
	s_or_b32 exec_lo, exec_lo, s5
	v_mov_b32_e32 v85, 0
	ds_read_b64 v[85:86], v85 offset:240
	s_waitcnt lgkmcnt(0)
	v_mul_f32_e32 v87, v82, v86
	v_mul_f32_e32 v86, v88, v86
	v_fma_f32 v87, v88, v85, -v87
	v_fmac_f32_e32 v86, v82, v85
	buffer_store_dword v87, off, s[0:3], 0 offset:240
	buffer_store_dword v86, off, s[0:3], 0 offset:244
.LBB39_135:
	s_or_b32 exec_lo, exec_lo, s4
	s_waitcnt_vscnt null, 0x0
	s_barrier
	buffer_gl0_inv
	s_clause 0x1
	buffer_load_dword v85, off, s[0:3], 0 offset:248
	buffer_load_dword v86, off, s[0:3], 0 offset:252
	s_mov_b32 s4, exec_lo
	s_waitcnt vmcnt(0)
	ds_write_b64 v84, v[85:86]
	s_waitcnt lgkmcnt(0)
	s_barrier
	buffer_gl0_inv
	v_cmpx_gt_u32_e32 31, v0
	s_cbranch_execz .LBB39_139
; %bb.136:
	v_add_nc_u32_e32 v85, -1, v0
	v_add_nc_u32_e32 v86, 0x140, v83
	v_mov_b32_e32 v87, v83
	v_mov_b32_e32 v82, 0
	;; [unrolled: 1-line block ×3, first 2 shown]
	s_mov_b32 s5, 0
	.p2align	6
.LBB39_137:                             ; =>This Inner Loop Header: Depth=1
	s_clause 0x1
	buffer_load_dword v91, v87, s[0:3], 0 offen offset:4
	buffer_load_dword v92, v87, s[0:3], 0 offen
	ds_read_b64 v[89:90], v86
	v_add_nc_u32_e32 v85, 1, v85
	v_add_nc_u32_e32 v86, 8, v86
	;; [unrolled: 1-line block ×3, first 2 shown]
	v_cmp_lt_u32_e32 vcc_lo, 29, v85
	s_or_b32 s5, vcc_lo, s5
	s_waitcnt vmcnt(1) lgkmcnt(0)
	v_mul_f32_e32 v93, v90, v91
	v_mul_f32_e32 v91, v89, v91
	s_waitcnt vmcnt(0)
	v_fma_f32 v89, v89, v92, -v93
	v_fmac_f32_e32 v91, v90, v92
	v_add_f32_e32 v88, v88, v89
	v_add_f32_e32 v82, v82, v91
	s_andn2_b32 exec_lo, exec_lo, s5
	s_cbranch_execnz .LBB39_137
; %bb.138:
	s_or_b32 exec_lo, exec_lo, s5
	v_mov_b32_e32 v85, 0
	ds_read_b64 v[85:86], v85 offset:248
	s_waitcnt lgkmcnt(0)
	v_mul_f32_e32 v87, v82, v86
	v_mul_f32_e32 v86, v88, v86
	v_fma_f32 v87, v88, v85, -v87
	v_fmac_f32_e32 v86, v82, v85
	buffer_store_dword v87, off, s[0:3], 0 offset:248
	buffer_store_dword v86, off, s[0:3], 0 offset:252
.LBB39_139:
	s_or_b32 exec_lo, exec_lo, s4
	s_waitcnt_vscnt null, 0x0
	s_barrier
	buffer_gl0_inv
	s_clause 0x1
	buffer_load_dword v85, off, s[0:3], 0 offset:256
	buffer_load_dword v86, off, s[0:3], 0 offset:260
	s_mov_b32 s4, exec_lo
	s_waitcnt vmcnt(0)
	ds_write_b64 v84, v[85:86]
	s_waitcnt lgkmcnt(0)
	s_barrier
	buffer_gl0_inv
	v_cmpx_gt_u32_e32 32, v0
	s_cbranch_execz .LBB39_143
; %bb.140:
	v_add_nc_u32_e32 v85, -1, v0
	v_add_nc_u32_e32 v86, 0x140, v83
	v_mov_b32_e32 v87, v83
	v_mov_b32_e32 v82, 0
	;; [unrolled: 1-line block ×3, first 2 shown]
	s_mov_b32 s5, 0
	.p2align	6
.LBB39_141:                             ; =>This Inner Loop Header: Depth=1
	s_clause 0x1
	buffer_load_dword v91, v87, s[0:3], 0 offen offset:4
	buffer_load_dword v92, v87, s[0:3], 0 offen
	ds_read_b64 v[89:90], v86
	v_add_nc_u32_e32 v85, 1, v85
	v_add_nc_u32_e32 v86, 8, v86
	;; [unrolled: 1-line block ×3, first 2 shown]
	v_cmp_lt_u32_e32 vcc_lo, 30, v85
	s_or_b32 s5, vcc_lo, s5
	s_waitcnt vmcnt(1) lgkmcnt(0)
	v_mul_f32_e32 v93, v90, v91
	v_mul_f32_e32 v91, v89, v91
	s_waitcnt vmcnt(0)
	v_fma_f32 v89, v89, v92, -v93
	v_fmac_f32_e32 v91, v90, v92
	v_add_f32_e32 v88, v88, v89
	v_add_f32_e32 v82, v82, v91
	s_andn2_b32 exec_lo, exec_lo, s5
	s_cbranch_execnz .LBB39_141
; %bb.142:
	s_or_b32 exec_lo, exec_lo, s5
	v_mov_b32_e32 v85, 0
	ds_read_b64 v[85:86], v85 offset:256
	s_waitcnt lgkmcnt(0)
	v_mul_f32_e32 v87, v82, v86
	v_mul_f32_e32 v86, v88, v86
	v_fma_f32 v87, v88, v85, -v87
	v_fmac_f32_e32 v86, v82, v85
	buffer_store_dword v87, off, s[0:3], 0 offset:256
	buffer_store_dword v86, off, s[0:3], 0 offset:260
.LBB39_143:
	s_or_b32 exec_lo, exec_lo, s4
	s_waitcnt_vscnt null, 0x0
	s_barrier
	buffer_gl0_inv
	s_clause 0x1
	buffer_load_dword v85, off, s[0:3], 0 offset:264
	buffer_load_dword v86, off, s[0:3], 0 offset:268
	s_mov_b32 s4, exec_lo
	s_waitcnt vmcnt(0)
	ds_write_b64 v84, v[85:86]
	s_waitcnt lgkmcnt(0)
	s_barrier
	buffer_gl0_inv
	v_cmpx_gt_u32_e32 33, v0
	s_cbranch_execz .LBB39_147
; %bb.144:
	v_add_nc_u32_e32 v85, -1, v0
	v_add_nc_u32_e32 v86, 0x140, v83
	v_mov_b32_e32 v87, v83
	v_mov_b32_e32 v82, 0
	;; [unrolled: 1-line block ×3, first 2 shown]
	s_mov_b32 s5, 0
	.p2align	6
.LBB39_145:                             ; =>This Inner Loop Header: Depth=1
	s_clause 0x1
	buffer_load_dword v91, v87, s[0:3], 0 offen offset:4
	buffer_load_dword v92, v87, s[0:3], 0 offen
	ds_read_b64 v[89:90], v86
	v_add_nc_u32_e32 v85, 1, v85
	v_add_nc_u32_e32 v86, 8, v86
	;; [unrolled: 1-line block ×3, first 2 shown]
	v_cmp_lt_u32_e32 vcc_lo, 31, v85
	s_or_b32 s5, vcc_lo, s5
	s_waitcnt vmcnt(1) lgkmcnt(0)
	v_mul_f32_e32 v93, v90, v91
	v_mul_f32_e32 v91, v89, v91
	s_waitcnt vmcnt(0)
	v_fma_f32 v89, v89, v92, -v93
	v_fmac_f32_e32 v91, v90, v92
	v_add_f32_e32 v88, v88, v89
	v_add_f32_e32 v82, v82, v91
	s_andn2_b32 exec_lo, exec_lo, s5
	s_cbranch_execnz .LBB39_145
; %bb.146:
	s_or_b32 exec_lo, exec_lo, s5
	v_mov_b32_e32 v85, 0
	ds_read_b64 v[85:86], v85 offset:264
	s_waitcnt lgkmcnt(0)
	v_mul_f32_e32 v87, v82, v86
	v_mul_f32_e32 v86, v88, v86
	v_fma_f32 v87, v88, v85, -v87
	v_fmac_f32_e32 v86, v82, v85
	buffer_store_dword v87, off, s[0:3], 0 offset:264
	buffer_store_dword v86, off, s[0:3], 0 offset:268
.LBB39_147:
	s_or_b32 exec_lo, exec_lo, s4
	s_waitcnt_vscnt null, 0x0
	s_barrier
	buffer_gl0_inv
	s_clause 0x1
	buffer_load_dword v85, off, s[0:3], 0 offset:272
	buffer_load_dword v86, off, s[0:3], 0 offset:276
	s_mov_b32 s4, exec_lo
	s_waitcnt vmcnt(0)
	ds_write_b64 v84, v[85:86]
	s_waitcnt lgkmcnt(0)
	s_barrier
	buffer_gl0_inv
	v_cmpx_gt_u32_e32 34, v0
	s_cbranch_execz .LBB39_151
; %bb.148:
	v_add_nc_u32_e32 v85, -1, v0
	v_add_nc_u32_e32 v86, 0x140, v83
	v_mov_b32_e32 v87, v83
	v_mov_b32_e32 v82, 0
	;; [unrolled: 1-line block ×3, first 2 shown]
	s_mov_b32 s5, 0
	.p2align	6
.LBB39_149:                             ; =>This Inner Loop Header: Depth=1
	s_clause 0x1
	buffer_load_dword v91, v87, s[0:3], 0 offen offset:4
	buffer_load_dword v92, v87, s[0:3], 0 offen
	ds_read_b64 v[89:90], v86
	v_add_nc_u32_e32 v85, 1, v85
	v_add_nc_u32_e32 v86, 8, v86
	;; [unrolled: 1-line block ×3, first 2 shown]
	v_cmp_lt_u32_e32 vcc_lo, 32, v85
	s_or_b32 s5, vcc_lo, s5
	s_waitcnt vmcnt(1) lgkmcnt(0)
	v_mul_f32_e32 v93, v90, v91
	v_mul_f32_e32 v91, v89, v91
	s_waitcnt vmcnt(0)
	v_fma_f32 v89, v89, v92, -v93
	v_fmac_f32_e32 v91, v90, v92
	v_add_f32_e32 v88, v88, v89
	v_add_f32_e32 v82, v82, v91
	s_andn2_b32 exec_lo, exec_lo, s5
	s_cbranch_execnz .LBB39_149
; %bb.150:
	s_or_b32 exec_lo, exec_lo, s5
	v_mov_b32_e32 v85, 0
	ds_read_b64 v[85:86], v85 offset:272
	s_waitcnt lgkmcnt(0)
	v_mul_f32_e32 v87, v82, v86
	v_mul_f32_e32 v86, v88, v86
	v_fma_f32 v87, v88, v85, -v87
	v_fmac_f32_e32 v86, v82, v85
	buffer_store_dword v87, off, s[0:3], 0 offset:272
	buffer_store_dword v86, off, s[0:3], 0 offset:276
.LBB39_151:
	s_or_b32 exec_lo, exec_lo, s4
	s_waitcnt_vscnt null, 0x0
	s_barrier
	buffer_gl0_inv
	s_clause 0x1
	buffer_load_dword v85, off, s[0:3], 0 offset:280
	buffer_load_dword v86, off, s[0:3], 0 offset:284
	s_mov_b32 s4, exec_lo
	s_waitcnt vmcnt(0)
	ds_write_b64 v84, v[85:86]
	s_waitcnt lgkmcnt(0)
	s_barrier
	buffer_gl0_inv
	v_cmpx_gt_u32_e32 35, v0
	s_cbranch_execz .LBB39_155
; %bb.152:
	v_add_nc_u32_e32 v85, -1, v0
	v_add_nc_u32_e32 v86, 0x140, v83
	v_mov_b32_e32 v87, v83
	v_mov_b32_e32 v82, 0
	;; [unrolled: 1-line block ×3, first 2 shown]
	s_mov_b32 s5, 0
	.p2align	6
.LBB39_153:                             ; =>This Inner Loop Header: Depth=1
	s_clause 0x1
	buffer_load_dword v91, v87, s[0:3], 0 offen offset:4
	buffer_load_dword v92, v87, s[0:3], 0 offen
	ds_read_b64 v[89:90], v86
	v_add_nc_u32_e32 v85, 1, v85
	v_add_nc_u32_e32 v86, 8, v86
	;; [unrolled: 1-line block ×3, first 2 shown]
	v_cmp_lt_u32_e32 vcc_lo, 33, v85
	s_or_b32 s5, vcc_lo, s5
	s_waitcnt vmcnt(1) lgkmcnt(0)
	v_mul_f32_e32 v93, v90, v91
	v_mul_f32_e32 v91, v89, v91
	s_waitcnt vmcnt(0)
	v_fma_f32 v89, v89, v92, -v93
	v_fmac_f32_e32 v91, v90, v92
	v_add_f32_e32 v88, v88, v89
	v_add_f32_e32 v82, v82, v91
	s_andn2_b32 exec_lo, exec_lo, s5
	s_cbranch_execnz .LBB39_153
; %bb.154:
	s_or_b32 exec_lo, exec_lo, s5
	v_mov_b32_e32 v85, 0
	ds_read_b64 v[85:86], v85 offset:280
	s_waitcnt lgkmcnt(0)
	v_mul_f32_e32 v87, v82, v86
	v_mul_f32_e32 v86, v88, v86
	v_fma_f32 v87, v88, v85, -v87
	v_fmac_f32_e32 v86, v82, v85
	buffer_store_dword v87, off, s[0:3], 0 offset:280
	buffer_store_dword v86, off, s[0:3], 0 offset:284
.LBB39_155:
	s_or_b32 exec_lo, exec_lo, s4
	s_waitcnt_vscnt null, 0x0
	s_barrier
	buffer_gl0_inv
	s_clause 0x1
	buffer_load_dword v85, off, s[0:3], 0 offset:288
	buffer_load_dword v86, off, s[0:3], 0 offset:292
	s_mov_b32 s4, exec_lo
	s_waitcnt vmcnt(0)
	ds_write_b64 v84, v[85:86]
	s_waitcnt lgkmcnt(0)
	s_barrier
	buffer_gl0_inv
	v_cmpx_gt_u32_e32 36, v0
	s_cbranch_execz .LBB39_159
; %bb.156:
	v_add_nc_u32_e32 v85, -1, v0
	v_add_nc_u32_e32 v86, 0x140, v83
	v_mov_b32_e32 v87, v83
	v_mov_b32_e32 v82, 0
	;; [unrolled: 1-line block ×3, first 2 shown]
	s_mov_b32 s5, 0
	.p2align	6
.LBB39_157:                             ; =>This Inner Loop Header: Depth=1
	s_clause 0x1
	buffer_load_dword v91, v87, s[0:3], 0 offen offset:4
	buffer_load_dword v92, v87, s[0:3], 0 offen
	ds_read_b64 v[89:90], v86
	v_add_nc_u32_e32 v85, 1, v85
	v_add_nc_u32_e32 v86, 8, v86
	;; [unrolled: 1-line block ×3, first 2 shown]
	v_cmp_lt_u32_e32 vcc_lo, 34, v85
	s_or_b32 s5, vcc_lo, s5
	s_waitcnt vmcnt(1) lgkmcnt(0)
	v_mul_f32_e32 v93, v90, v91
	v_mul_f32_e32 v91, v89, v91
	s_waitcnt vmcnt(0)
	v_fma_f32 v89, v89, v92, -v93
	v_fmac_f32_e32 v91, v90, v92
	v_add_f32_e32 v88, v88, v89
	v_add_f32_e32 v82, v82, v91
	s_andn2_b32 exec_lo, exec_lo, s5
	s_cbranch_execnz .LBB39_157
; %bb.158:
	s_or_b32 exec_lo, exec_lo, s5
	v_mov_b32_e32 v85, 0
	ds_read_b64 v[85:86], v85 offset:288
	s_waitcnt lgkmcnt(0)
	v_mul_f32_e32 v87, v82, v86
	v_mul_f32_e32 v86, v88, v86
	v_fma_f32 v87, v88, v85, -v87
	v_fmac_f32_e32 v86, v82, v85
	buffer_store_dword v87, off, s[0:3], 0 offset:288
	buffer_store_dword v86, off, s[0:3], 0 offset:292
.LBB39_159:
	s_or_b32 exec_lo, exec_lo, s4
	s_waitcnt_vscnt null, 0x0
	s_barrier
	buffer_gl0_inv
	s_clause 0x1
	buffer_load_dword v85, off, s[0:3], 0 offset:296
	buffer_load_dword v86, off, s[0:3], 0 offset:300
	s_mov_b32 s4, exec_lo
	s_waitcnt vmcnt(0)
	ds_write_b64 v84, v[85:86]
	s_waitcnt lgkmcnt(0)
	s_barrier
	buffer_gl0_inv
	v_cmpx_gt_u32_e32 37, v0
	s_cbranch_execz .LBB39_163
; %bb.160:
	v_add_nc_u32_e32 v85, -1, v0
	v_add_nc_u32_e32 v86, 0x140, v83
	v_mov_b32_e32 v87, v83
	v_mov_b32_e32 v82, 0
	;; [unrolled: 1-line block ×3, first 2 shown]
	s_mov_b32 s5, 0
	.p2align	6
.LBB39_161:                             ; =>This Inner Loop Header: Depth=1
	s_clause 0x1
	buffer_load_dword v91, v87, s[0:3], 0 offen offset:4
	buffer_load_dword v92, v87, s[0:3], 0 offen
	ds_read_b64 v[89:90], v86
	v_add_nc_u32_e32 v85, 1, v85
	v_add_nc_u32_e32 v86, 8, v86
	;; [unrolled: 1-line block ×3, first 2 shown]
	v_cmp_lt_u32_e32 vcc_lo, 35, v85
	s_or_b32 s5, vcc_lo, s5
	s_waitcnt vmcnt(1) lgkmcnt(0)
	v_mul_f32_e32 v93, v90, v91
	v_mul_f32_e32 v91, v89, v91
	s_waitcnt vmcnt(0)
	v_fma_f32 v89, v89, v92, -v93
	v_fmac_f32_e32 v91, v90, v92
	v_add_f32_e32 v88, v88, v89
	v_add_f32_e32 v82, v82, v91
	s_andn2_b32 exec_lo, exec_lo, s5
	s_cbranch_execnz .LBB39_161
; %bb.162:
	s_or_b32 exec_lo, exec_lo, s5
	v_mov_b32_e32 v85, 0
	ds_read_b64 v[85:86], v85 offset:296
	s_waitcnt lgkmcnt(0)
	v_mul_f32_e32 v87, v82, v86
	v_mul_f32_e32 v86, v88, v86
	v_fma_f32 v87, v88, v85, -v87
	v_fmac_f32_e32 v86, v82, v85
	buffer_store_dword v87, off, s[0:3], 0 offset:296
	buffer_store_dword v86, off, s[0:3], 0 offset:300
.LBB39_163:
	s_or_b32 exec_lo, exec_lo, s4
	s_waitcnt_vscnt null, 0x0
	s_barrier
	buffer_gl0_inv
	s_clause 0x1
	buffer_load_dword v85, off, s[0:3], 0 offset:304
	buffer_load_dword v86, off, s[0:3], 0 offset:308
	s_mov_b32 s4, exec_lo
	s_waitcnt vmcnt(0)
	ds_write_b64 v84, v[85:86]
	s_waitcnt lgkmcnt(0)
	s_barrier
	buffer_gl0_inv
	v_cmpx_gt_u32_e32 38, v0
	s_cbranch_execz .LBB39_167
; %bb.164:
	v_add_nc_u32_e32 v85, -1, v0
	v_add_nc_u32_e32 v86, 0x140, v83
	v_mov_b32_e32 v87, v83
	v_mov_b32_e32 v82, 0
	;; [unrolled: 1-line block ×3, first 2 shown]
	s_mov_b32 s5, 0
	.p2align	6
.LBB39_165:                             ; =>This Inner Loop Header: Depth=1
	s_clause 0x1
	buffer_load_dword v91, v87, s[0:3], 0 offen offset:4
	buffer_load_dword v92, v87, s[0:3], 0 offen
	ds_read_b64 v[89:90], v86
	v_add_nc_u32_e32 v85, 1, v85
	v_add_nc_u32_e32 v86, 8, v86
	;; [unrolled: 1-line block ×3, first 2 shown]
	v_cmp_lt_u32_e32 vcc_lo, 36, v85
	s_or_b32 s5, vcc_lo, s5
	s_waitcnt vmcnt(1) lgkmcnt(0)
	v_mul_f32_e32 v93, v90, v91
	v_mul_f32_e32 v91, v89, v91
	s_waitcnt vmcnt(0)
	v_fma_f32 v89, v89, v92, -v93
	v_fmac_f32_e32 v91, v90, v92
	v_add_f32_e32 v88, v88, v89
	v_add_f32_e32 v82, v82, v91
	s_andn2_b32 exec_lo, exec_lo, s5
	s_cbranch_execnz .LBB39_165
; %bb.166:
	s_or_b32 exec_lo, exec_lo, s5
	v_mov_b32_e32 v85, 0
	ds_read_b64 v[85:86], v85 offset:304
	s_waitcnt lgkmcnt(0)
	v_mul_f32_e32 v87, v82, v86
	v_mul_f32_e32 v86, v88, v86
	v_fma_f32 v87, v88, v85, -v87
	v_fmac_f32_e32 v86, v82, v85
	buffer_store_dword v87, off, s[0:3], 0 offset:304
	buffer_store_dword v86, off, s[0:3], 0 offset:308
.LBB39_167:
	s_or_b32 exec_lo, exec_lo, s4
	s_waitcnt_vscnt null, 0x0
	s_barrier
	buffer_gl0_inv
	s_clause 0x1
	buffer_load_dword v85, off, s[0:3], 0 offset:312
	buffer_load_dword v86, off, s[0:3], 0 offset:316
	s_mov_b32 s4, exec_lo
	s_waitcnt vmcnt(0)
	ds_write_b64 v84, v[85:86]
	s_waitcnt lgkmcnt(0)
	s_barrier
	buffer_gl0_inv
	v_cmpx_ne_u32_e32 39, v0
	s_cbranch_execz .LBB39_171
; %bb.168:
	v_mov_b32_e32 v82, 0
	v_mov_b32_e32 v85, 0
	s_mov_b32 s5, 0
	.p2align	6
.LBB39_169:                             ; =>This Inner Loop Header: Depth=1
	s_clause 0x1
	buffer_load_dword v88, v83, s[0:3], 0 offen offset:4
	buffer_load_dword v89, v83, s[0:3], 0 offen
	ds_read_b64 v[86:87], v84
	v_add_nc_u32_e32 v81, 1, v81
	v_add_nc_u32_e32 v84, 8, v84
	;; [unrolled: 1-line block ×3, first 2 shown]
	v_cmp_lt_u32_e32 vcc_lo, 37, v81
	s_or_b32 s5, vcc_lo, s5
	s_waitcnt vmcnt(1) lgkmcnt(0)
	v_mul_f32_e32 v90, v87, v88
	v_mul_f32_e32 v88, v86, v88
	s_waitcnt vmcnt(0)
	v_fma_f32 v86, v86, v89, -v90
	v_fmac_f32_e32 v88, v87, v89
	v_add_f32_e32 v85, v85, v86
	v_add_f32_e32 v82, v82, v88
	s_andn2_b32 exec_lo, exec_lo, s5
	s_cbranch_execnz .LBB39_169
; %bb.170:
	s_or_b32 exec_lo, exec_lo, s5
	v_mov_b32_e32 v81, 0
	ds_read_b64 v[83:84], v81 offset:312
	s_waitcnt lgkmcnt(0)
	v_mul_f32_e32 v81, v82, v84
	v_mul_f32_e32 v84, v85, v84
	v_fma_f32 v81, v85, v83, -v81
	v_fmac_f32_e32 v84, v82, v83
	buffer_store_dword v81, off, s[0:3], 0 offset:312
	buffer_store_dword v84, off, s[0:3], 0 offset:316
.LBB39_171:
	s_or_b32 exec_lo, exec_lo, s4
	s_mov_b32 s5, -1
	s_waitcnt_vscnt null, 0x0
	s_barrier
	buffer_gl0_inv
.LBB39_172:
	s_and_b32 vcc_lo, exec_lo, s5
	s_cbranch_vccz .LBB39_174
; %bb.173:
	s_lshl_b64 s[4:5], s[6:7], 2
	v_mov_b32_e32 v81, 0
	s_add_u32 s4, s10, s4
	s_addc_u32 s5, s11, s5
	global_load_dword v81, v81, s[4:5]
	s_waitcnt vmcnt(0)
	v_cmp_ne_u32_e32 vcc_lo, 0, v81
	s_cbranch_vccz .LBB39_175
.LBB39_174:
	s_endpgm
.LBB39_175:
	v_lshl_add_u32 v81, v0, 3, 0x140
	s_mov_b32 s4, exec_lo
	v_cmpx_eq_u32_e32 39, v0
	s_cbranch_execz .LBB39_177
; %bb.176:
	s_clause 0x1
	buffer_load_dword v82, off, s[0:3], 0 offset:304
	buffer_load_dword v83, off, s[0:3], 0 offset:308
	v_mov_b32_e32 v84, 0
	buffer_store_dword v84, off, s[0:3], 0 offset:304
	buffer_store_dword v84, off, s[0:3], 0 offset:308
	s_waitcnt vmcnt(0)
	ds_write_b64 v81, v[82:83]
.LBB39_177:
	s_or_b32 exec_lo, exec_lo, s4
	s_waitcnt lgkmcnt(0)
	s_waitcnt_vscnt null, 0x0
	s_barrier
	buffer_gl0_inv
	s_clause 0x3
	buffer_load_dword v85, off, s[0:3], 0 offset:316
	buffer_load_dword v86, off, s[0:3], 0 offset:312
	;; [unrolled: 1-line block ×4, first 2 shown]
	v_mov_b32_e32 v82, 0
	s_mov_b32 s4, exec_lo
	ds_read_b64 v[83:84], v82 offset:632
	s_waitcnt vmcnt(3) lgkmcnt(0)
	v_mul_f32_e32 v89, v84, v85
	v_mul_f32_e32 v85, v83, v85
	s_waitcnt vmcnt(2)
	v_fma_f32 v83, v83, v86, -v89
	v_fmac_f32_e32 v85, v84, v86
	v_add_f32_e32 v83, 0, v83
	v_add_f32_e32 v84, 0, v85
	s_waitcnt vmcnt(1)
	v_sub_f32_e32 v83, v87, v83
	s_waitcnt vmcnt(0)
	v_sub_f32_e32 v84, v88, v84
	buffer_store_dword v83, off, s[0:3], 0 offset:304
	buffer_store_dword v84, off, s[0:3], 0 offset:308
	v_cmpx_lt_u32_e32 37, v0
	s_cbranch_execz .LBB39_179
; %bb.178:
	s_clause 0x1
	buffer_load_dword v83, off, s[0:3], 0 offset:296
	buffer_load_dword v84, off, s[0:3], 0 offset:300
	buffer_store_dword v82, off, s[0:3], 0 offset:296
	buffer_store_dword v82, off, s[0:3], 0 offset:300
	s_waitcnt vmcnt(0)
	ds_write_b64 v81, v[83:84]
.LBB39_179:
	s_or_b32 exec_lo, exec_lo, s4
	s_waitcnt lgkmcnt(0)
	s_waitcnt_vscnt null, 0x0
	s_barrier
	buffer_gl0_inv
	s_clause 0x5
	buffer_load_dword v86, off, s[0:3], 0 offset:308
	buffer_load_dword v87, off, s[0:3], 0 offset:316
	buffer_load_dword v88, off, s[0:3], 0 offset:304
	buffer_load_dword v89, off, s[0:3], 0 offset:312
	buffer_load_dword v90, off, s[0:3], 0 offset:296
	buffer_load_dword v91, off, s[0:3], 0 offset:300
	ds_read_b128 v[82:85], v82 offset:624
	s_mov_b32 s4, exec_lo
	s_waitcnt vmcnt(5) lgkmcnt(0)
	v_mul_f32_e32 v92, v83, v86
	v_mul_f32_e32 v86, v82, v86
	s_waitcnt vmcnt(4)
	v_mul_f32_e32 v93, v84, v87
	v_mul_f32_e32 v87, v85, v87
	s_waitcnt vmcnt(3)
	v_fma_f32 v82, v82, v88, -v92
	v_fmac_f32_e32 v86, v83, v88
	s_waitcnt vmcnt(2)
	v_fmac_f32_e32 v93, v85, v89
	v_fma_f32 v83, v84, v89, -v87
	v_add_f32_e32 v82, 0, v82
	v_add_f32_e32 v84, 0, v86
	;; [unrolled: 1-line block ×4, first 2 shown]
	s_waitcnt vmcnt(1)
	v_sub_f32_e32 v82, v90, v82
	s_waitcnt vmcnt(0)
	v_sub_f32_e32 v83, v91, v83
	buffer_store_dword v82, off, s[0:3], 0 offset:296
	buffer_store_dword v83, off, s[0:3], 0 offset:300
	v_cmpx_lt_u32_e32 36, v0
	s_cbranch_execz .LBB39_181
; %bb.180:
	s_clause 0x1
	buffer_load_dword v82, off, s[0:3], 0 offset:288
	buffer_load_dword v83, off, s[0:3], 0 offset:292
	v_mov_b32_e32 v84, 0
	buffer_store_dword v84, off, s[0:3], 0 offset:288
	buffer_store_dword v84, off, s[0:3], 0 offset:292
	s_waitcnt vmcnt(0)
	ds_write_b64 v81, v[82:83]
.LBB39_181:
	s_or_b32 exec_lo, exec_lo, s4
	s_waitcnt lgkmcnt(0)
	s_waitcnt_vscnt null, 0x0
	s_barrier
	buffer_gl0_inv
	s_clause 0x7
	buffer_load_dword v89, off, s[0:3], 0 offset:300
	buffer_load_dword v90, off, s[0:3], 0 offset:308
	;; [unrolled: 1-line block ×8, first 2 shown]
	v_mov_b32_e32 v82, 0
	ds_read2_b64 v[83:86], v82 offset0:77 offset1:78
	ds_read_b64 v[87:88], v82 offset:632
	s_mov_b32 s4, exec_lo
	s_waitcnt vmcnt(7) lgkmcnt(1)
	v_mul_f32_e32 v97, v84, v89
	v_mul_f32_e32 v89, v83, v89
	s_waitcnt vmcnt(6)
	v_mul_f32_e32 v98, v85, v90
	v_mul_f32_e32 v90, v86, v90
	s_waitcnt vmcnt(5) lgkmcnt(0)
	v_mul_f32_e32 v99, v87, v91
	s_waitcnt vmcnt(4)
	v_fma_f32 v83, v83, v92, -v97
	v_fmac_f32_e32 v89, v84, v92
	v_mul_f32_e32 v84, v88, v91
	s_waitcnt vmcnt(3)
	v_fma_f32 v85, v85, v93, -v90
	v_fmac_f32_e32 v98, v86, v93
	v_add_f32_e32 v83, 0, v83
	v_add_f32_e32 v86, 0, v89
	s_waitcnt vmcnt(2)
	v_fma_f32 v84, v87, v94, -v84
	v_fmac_f32_e32 v99, v88, v94
	v_add_f32_e32 v83, v83, v85
	v_add_f32_e32 v85, v86, v98
	;; [unrolled: 1-line block ×4, first 2 shown]
	s_waitcnt vmcnt(1)
	v_sub_f32_e32 v83, v95, v83
	s_waitcnt vmcnt(0)
	v_sub_f32_e32 v84, v96, v84
	buffer_store_dword v83, off, s[0:3], 0 offset:288
	buffer_store_dword v84, off, s[0:3], 0 offset:292
	v_cmpx_lt_u32_e32 35, v0
	s_cbranch_execz .LBB39_183
; %bb.182:
	s_clause 0x1
	buffer_load_dword v83, off, s[0:3], 0 offset:280
	buffer_load_dword v84, off, s[0:3], 0 offset:284
	buffer_store_dword v82, off, s[0:3], 0 offset:280
	buffer_store_dword v82, off, s[0:3], 0 offset:284
	s_waitcnt vmcnt(0)
	ds_write_b64 v81, v[83:84]
.LBB39_183:
	s_or_b32 exec_lo, exec_lo, s4
	s_waitcnt lgkmcnt(0)
	s_waitcnt_vscnt null, 0x0
	s_barrier
	buffer_gl0_inv
	s_clause 0x9
	buffer_load_dword v91, off, s[0:3], 0 offset:292
	buffer_load_dword v92, off, s[0:3], 0 offset:300
	;; [unrolled: 1-line block ×10, first 2 shown]
	ds_read_b128 v[83:86], v82 offset:608
	ds_read_b128 v[87:90], v82 offset:624
	s_mov_b32 s4, exec_lo
	s_waitcnt vmcnt(9) lgkmcnt(1)
	v_mul_f32_e32 v82, v83, v91
	v_mul_f32_e32 v91, v84, v91
	s_waitcnt vmcnt(8)
	v_mul_f32_e32 v101, v85, v92
	v_mul_f32_e32 v92, v86, v92
	s_waitcnt vmcnt(7) lgkmcnt(0)
	v_mul_f32_e32 v102, v87, v93
	s_waitcnt vmcnt(5)
	v_fmac_f32_e32 v82, v84, v95
	v_fma_f32 v83, v83, v95, -v91
	v_mul_f32_e32 v84, v88, v93
	s_waitcnt vmcnt(4)
	v_fma_f32 v85, v85, v96, -v92
	v_fmac_f32_e32 v101, v86, v96
	v_add_f32_e32 v82, 0, v82
	v_add_f32_e32 v83, 0, v83
	v_mul_f32_e32 v86, v90, v94
	s_waitcnt vmcnt(3)
	v_fma_f32 v84, v87, v97, -v84
	v_mul_f32_e32 v103, v89, v94
	v_fmac_f32_e32 v102, v88, v97
	v_add_f32_e32 v83, v83, v85
	v_add_f32_e32 v82, v82, v101
	s_waitcnt vmcnt(2)
	v_fma_f32 v85, v89, v98, -v86
	v_fmac_f32_e32 v103, v90, v98
	v_add_f32_e32 v83, v83, v84
	v_add_f32_e32 v82, v82, v102
	;; [unrolled: 1-line block ×4, first 2 shown]
	s_waitcnt vmcnt(1)
	v_sub_f32_e32 v83, v99, v83
	s_waitcnt vmcnt(0)
	v_sub_f32_e32 v82, v100, v82
	buffer_store_dword v83, off, s[0:3], 0 offset:280
	buffer_store_dword v82, off, s[0:3], 0 offset:284
	v_cmpx_lt_u32_e32 34, v0
	s_cbranch_execz .LBB39_185
; %bb.184:
	s_clause 0x1
	buffer_load_dword v82, off, s[0:3], 0 offset:272
	buffer_load_dword v83, off, s[0:3], 0 offset:276
	v_mov_b32_e32 v84, 0
	buffer_store_dword v84, off, s[0:3], 0 offset:272
	buffer_store_dword v84, off, s[0:3], 0 offset:276
	s_waitcnt vmcnt(0)
	ds_write_b64 v81, v[82:83]
.LBB39_185:
	s_or_b32 exec_lo, exec_lo, s4
	s_waitcnt lgkmcnt(0)
	s_waitcnt_vscnt null, 0x0
	s_barrier
	buffer_gl0_inv
	s_clause 0xb
	buffer_load_dword v93, off, s[0:3], 0 offset:284
	buffer_load_dword v94, off, s[0:3], 0 offset:292
	;; [unrolled: 1-line block ×12, first 2 shown]
	v_mov_b32_e32 v82, 0
	ds_read2_b64 v[83:86], v82 offset0:75 offset1:76
	ds_read2_b64 v[87:90], v82 offset0:77 offset1:78
	ds_read_b64 v[91:92], v82 offset:632
	s_mov_b32 s4, exec_lo
	s_waitcnt vmcnt(11) lgkmcnt(2)
	v_mul_f32_e32 v105, v83, v93
	v_mul_f32_e32 v93, v84, v93
	s_waitcnt vmcnt(10)
	v_mul_f32_e32 v106, v85, v94
	v_mul_f32_e32 v94, v86, v94
	s_waitcnt vmcnt(9) lgkmcnt(1)
	v_mul_f32_e32 v107, v87, v95
	s_waitcnt vmcnt(6)
	v_fmac_f32_e32 v105, v84, v98
	v_fma_f32 v83, v83, v98, -v93
	v_mul_f32_e32 v84, v88, v95
	s_waitcnt vmcnt(5)
	v_fma_f32 v85, v85, v99, -v94
	v_fmac_f32_e32 v106, v86, v99
	v_add_f32_e32 v86, 0, v105
	v_add_f32_e32 v83, 0, v83
	v_mul_f32_e32 v93, v90, v96
	s_waitcnt vmcnt(4)
	v_fma_f32 v84, v87, v100, -v84
	v_mul_f32_e32 v108, v89, v96
	v_fmac_f32_e32 v107, v88, v100
	v_add_f32_e32 v83, v83, v85
	v_add_f32_e32 v85, v86, v106
	s_waitcnt lgkmcnt(0)
	v_mul_f32_e32 v86, v92, v97
	s_waitcnt vmcnt(3)
	v_fma_f32 v87, v89, v101, -v93
	v_mul_f32_e32 v109, v91, v97
	v_add_f32_e32 v83, v83, v84
	v_fmac_f32_e32 v108, v90, v101
	v_add_f32_e32 v84, v85, v107
	s_waitcnt vmcnt(2)
	v_fma_f32 v85, v91, v102, -v86
	v_fmac_f32_e32 v109, v92, v102
	v_add_f32_e32 v83, v83, v87
	v_add_f32_e32 v84, v84, v108
	;; [unrolled: 1-line block ×4, first 2 shown]
	s_waitcnt vmcnt(1)
	v_sub_f32_e32 v83, v103, v83
	s_waitcnt vmcnt(0)
	v_sub_f32_e32 v84, v104, v84
	buffer_store_dword v83, off, s[0:3], 0 offset:272
	buffer_store_dword v84, off, s[0:3], 0 offset:276
	v_cmpx_lt_u32_e32 33, v0
	s_cbranch_execz .LBB39_187
; %bb.186:
	s_clause 0x1
	buffer_load_dword v83, off, s[0:3], 0 offset:264
	buffer_load_dword v84, off, s[0:3], 0 offset:268
	buffer_store_dword v82, off, s[0:3], 0 offset:264
	buffer_store_dword v82, off, s[0:3], 0 offset:268
	s_waitcnt vmcnt(0)
	ds_write_b64 v81, v[83:84]
.LBB39_187:
	s_or_b32 exec_lo, exec_lo, s4
	s_waitcnt lgkmcnt(0)
	s_waitcnt_vscnt null, 0x0
	s_barrier
	buffer_gl0_inv
	s_clause 0xd
	buffer_load_dword v95, off, s[0:3], 0 offset:276
	buffer_load_dword v96, off, s[0:3], 0 offset:284
	;; [unrolled: 1-line block ×14, first 2 shown]
	ds_read_b128 v[83:86], v82 offset:592
	ds_read_b128 v[87:90], v82 offset:608
	;; [unrolled: 1-line block ×3, first 2 shown]
	s_mov_b32 s4, exec_lo
	s_waitcnt vmcnt(13) lgkmcnt(2)
	v_mul_f32_e32 v82, v83, v95
	v_mul_f32_e32 v95, v84, v95
	s_waitcnt vmcnt(12)
	v_mul_f32_e32 v109, v85, v96
	v_mul_f32_e32 v96, v86, v96
	s_waitcnt vmcnt(11) lgkmcnt(1)
	v_mul_f32_e32 v110, v87, v97
	s_waitcnt vmcnt(10)
	v_mul_f32_e32 v111, v89, v98
	s_waitcnt vmcnt(7)
	v_fma_f32 v83, v83, v101, -v95
	v_fmac_f32_e32 v82, v84, v101
	v_mul_f32_e32 v84, v88, v97
	s_waitcnt vmcnt(6)
	v_fma_f32 v85, v85, v102, -v96
	v_fmac_f32_e32 v109, v86, v102
	v_add_f32_e32 v83, 0, v83
	v_add_f32_e32 v82, 0, v82
	v_mul_f32_e32 v86, v90, v98
	s_waitcnt vmcnt(5)
	v_fma_f32 v84, v87, v103, -v84
	v_fmac_f32_e32 v110, v88, v103
	v_add_f32_e32 v83, v83, v85
	v_add_f32_e32 v82, v82, v109
	s_waitcnt lgkmcnt(0)
	v_mul_f32_e32 v85, v92, v99
	s_waitcnt vmcnt(4)
	v_fma_f32 v86, v89, v104, -v86
	v_mul_f32_e32 v112, v91, v99
	v_add_f32_e32 v83, v83, v84
	v_fmac_f32_e32 v111, v90, v104
	v_add_f32_e32 v82, v82, v110
	v_mul_f32_e32 v84, v94, v100
	s_waitcnt vmcnt(3)
	v_fma_f32 v85, v91, v105, -v85
	v_add_f32_e32 v83, v83, v86
	v_mul_f32_e32 v113, v93, v100
	v_fmac_f32_e32 v112, v92, v105
	v_add_f32_e32 v82, v82, v111
	s_waitcnt vmcnt(2)
	v_fma_f32 v84, v93, v106, -v84
	v_add_f32_e32 v83, v83, v85
	v_fmac_f32_e32 v113, v94, v106
	v_add_f32_e32 v82, v82, v112
	v_add_f32_e32 v83, v83, v84
	;; [unrolled: 1-line block ×3, first 2 shown]
	s_waitcnt vmcnt(1)
	v_sub_f32_e32 v83, v107, v83
	s_waitcnt vmcnt(0)
	v_sub_f32_e32 v82, v108, v82
	buffer_store_dword v83, off, s[0:3], 0 offset:264
	buffer_store_dword v82, off, s[0:3], 0 offset:268
	v_cmpx_lt_u32_e32 32, v0
	s_cbranch_execz .LBB39_189
; %bb.188:
	s_clause 0x1
	buffer_load_dword v82, off, s[0:3], 0 offset:256
	buffer_load_dword v83, off, s[0:3], 0 offset:260
	v_mov_b32_e32 v84, 0
	buffer_store_dword v84, off, s[0:3], 0 offset:256
	buffer_store_dword v84, off, s[0:3], 0 offset:260
	s_waitcnt vmcnt(0)
	ds_write_b64 v81, v[82:83]
.LBB39_189:
	s_or_b32 exec_lo, exec_lo, s4
	s_waitcnt lgkmcnt(0)
	s_waitcnt_vscnt null, 0x0
	s_barrier
	buffer_gl0_inv
	s_clause 0xf
	buffer_load_dword v97, off, s[0:3], 0 offset:268
	buffer_load_dword v98, off, s[0:3], 0 offset:276
	;; [unrolled: 1-line block ×16, first 2 shown]
	v_mov_b32_e32 v82, 0
	ds_read2_b64 v[83:86], v82 offset0:73 offset1:74
	ds_read2_b64 v[87:90], v82 offset0:75 offset1:76
	;; [unrolled: 1-line block ×3, first 2 shown]
	ds_read_b64 v[95:96], v82 offset:632
	s_mov_b32 s4, exec_lo
	s_waitcnt vmcnt(15) lgkmcnt(3)
	v_mul_f32_e32 v113, v83, v97
	v_mul_f32_e32 v97, v84, v97
	s_waitcnt vmcnt(14)
	v_mul_f32_e32 v114, v85, v98
	v_mul_f32_e32 v98, v86, v98
	s_waitcnt vmcnt(13) lgkmcnt(2)
	v_mul_f32_e32 v115, v87, v99
	s_waitcnt vmcnt(12)
	v_mul_f32_e32 v116, v89, v100
	s_waitcnt vmcnt(11) lgkmcnt(1)
	v_mul_f32_e32 v117, v91, v101
	s_waitcnt vmcnt(8)
	v_fma_f32 v83, v83, v104, -v97
	v_fmac_f32_e32 v113, v84, v104
	v_mul_f32_e32 v84, v88, v99
	s_waitcnt vmcnt(7)
	v_fma_f32 v85, v85, v105, -v98
	v_fmac_f32_e32 v114, v86, v105
	v_add_f32_e32 v83, 0, v83
	v_add_f32_e32 v86, 0, v113
	v_mul_f32_e32 v97, v90, v100
	s_waitcnt vmcnt(6)
	v_fma_f32 v84, v87, v106, -v84
	v_fmac_f32_e32 v115, v88, v106
	v_add_f32_e32 v83, v83, v85
	v_add_f32_e32 v85, v86, v114
	;; [unrolled: 6-line block ×3, first 2 shown]
	v_mul_f32_e32 v85, v94, v102
	s_waitcnt vmcnt(4)
	v_fma_f32 v86, v91, v108, -v86
	v_mul_f32_e32 v118, v93, v102
	v_add_f32_e32 v83, v83, v87
	v_fmac_f32_e32 v117, v92, v108
	v_add_f32_e32 v84, v84, v116
	s_waitcnt lgkmcnt(0)
	v_mul_f32_e32 v87, v96, v103
	s_waitcnt vmcnt(3)
	v_fma_f32 v85, v93, v109, -v85
	v_add_f32_e32 v83, v83, v86
	v_mul_f32_e32 v119, v95, v103
	v_fmac_f32_e32 v118, v94, v109
	v_add_f32_e32 v84, v84, v117
	s_waitcnt vmcnt(2)
	v_fma_f32 v86, v95, v110, -v87
	v_add_f32_e32 v83, v83, v85
	v_fmac_f32_e32 v119, v96, v110
	v_add_f32_e32 v84, v84, v118
	v_add_f32_e32 v83, v83, v86
	;; [unrolled: 1-line block ×3, first 2 shown]
	s_waitcnt vmcnt(1)
	v_sub_f32_e32 v83, v111, v83
	s_waitcnt vmcnt(0)
	v_sub_f32_e32 v84, v112, v84
	buffer_store_dword v83, off, s[0:3], 0 offset:256
	buffer_store_dword v84, off, s[0:3], 0 offset:260
	v_cmpx_lt_u32_e32 31, v0
	s_cbranch_execz .LBB39_191
; %bb.190:
	s_clause 0x1
	buffer_load_dword v83, off, s[0:3], 0 offset:248
	buffer_load_dword v84, off, s[0:3], 0 offset:252
	buffer_store_dword v82, off, s[0:3], 0 offset:248
	buffer_store_dword v82, off, s[0:3], 0 offset:252
	s_waitcnt vmcnt(0)
	ds_write_b64 v81, v[83:84]
.LBB39_191:
	s_or_b32 exec_lo, exec_lo, s4
	s_waitcnt lgkmcnt(0)
	s_waitcnt_vscnt null, 0x0
	s_barrier
	buffer_gl0_inv
	s_clause 0x11
	buffer_load_dword v99, off, s[0:3], 0 offset:260
	buffer_load_dword v100, off, s[0:3], 0 offset:268
	;; [unrolled: 1-line block ×18, first 2 shown]
	ds_read_b128 v[83:86], v82 offset:576
	ds_read_b128 v[87:90], v82 offset:592
	;; [unrolled: 1-line block ×4, first 2 shown]
	s_mov_b32 s4, exec_lo
	s_waitcnt vmcnt(17) lgkmcnt(3)
	v_mul_f32_e32 v82, v83, v99
	v_mul_f32_e32 v99, v84, v99
	s_waitcnt vmcnt(16)
	v_mul_f32_e32 v117, v85, v100
	v_mul_f32_e32 v100, v86, v100
	s_waitcnt vmcnt(15) lgkmcnt(2)
	v_mul_f32_e32 v118, v87, v101
	s_waitcnt vmcnt(14)
	v_mul_f32_e32 v119, v89, v102
	s_waitcnt vmcnt(13) lgkmcnt(1)
	v_mul_f32_e32 v120, v91, v103
	s_waitcnt vmcnt(12)
	v_mul_f32_e32 v121, v93, v104
	s_waitcnt vmcnt(9)
	v_fma_f32 v83, v83, v107, -v99
	v_fmac_f32_e32 v82, v84, v107
	v_mul_f32_e32 v84, v88, v101
	s_waitcnt vmcnt(8)
	v_fma_f32 v85, v85, v108, -v100
	v_fmac_f32_e32 v117, v86, v108
	v_add_f32_e32 v83, 0, v83
	v_add_f32_e32 v82, 0, v82
	v_mul_f32_e32 v86, v90, v102
	s_waitcnt vmcnt(7)
	v_fma_f32 v84, v87, v109, -v84
	v_fmac_f32_e32 v118, v88, v109
	v_add_f32_e32 v83, v83, v85
	v_add_f32_e32 v82, v82, v117
	;; [unrolled: 6-line block ×4, first 2 shown]
	s_waitcnt lgkmcnt(0)
	v_mul_f32_e32 v86, v96, v105
	s_waitcnt vmcnt(4)
	v_fma_f32 v84, v93, v112, -v84
	v_mul_f32_e32 v122, v95, v105
	v_add_f32_e32 v83, v83, v85
	v_fmac_f32_e32 v121, v94, v112
	v_add_f32_e32 v82, v82, v120
	v_mul_f32_e32 v85, v98, v106
	s_waitcnt vmcnt(3)
	v_fma_f32 v86, v95, v113, -v86
	v_add_f32_e32 v83, v83, v84
	v_mul_f32_e32 v123, v97, v106
	v_fmac_f32_e32 v122, v96, v113
	v_add_f32_e32 v82, v82, v121
	s_waitcnt vmcnt(2)
	v_fma_f32 v84, v97, v114, -v85
	v_add_f32_e32 v83, v83, v86
	v_fmac_f32_e32 v123, v98, v114
	v_add_f32_e32 v82, v82, v122
	v_add_f32_e32 v83, v83, v84
	;; [unrolled: 1-line block ×3, first 2 shown]
	s_waitcnt vmcnt(1)
	v_sub_f32_e32 v83, v115, v83
	s_waitcnt vmcnt(0)
	v_sub_f32_e32 v82, v116, v82
	buffer_store_dword v83, off, s[0:3], 0 offset:248
	buffer_store_dword v82, off, s[0:3], 0 offset:252
	v_cmpx_lt_u32_e32 30, v0
	s_cbranch_execz .LBB39_193
; %bb.192:
	s_clause 0x1
	buffer_load_dword v82, off, s[0:3], 0 offset:240
	buffer_load_dword v83, off, s[0:3], 0 offset:244
	v_mov_b32_e32 v84, 0
	buffer_store_dword v84, off, s[0:3], 0 offset:240
	buffer_store_dword v84, off, s[0:3], 0 offset:244
	s_waitcnt vmcnt(0)
	ds_write_b64 v81, v[82:83]
.LBB39_193:
	s_or_b32 exec_lo, exec_lo, s4
	s_waitcnt lgkmcnt(0)
	s_waitcnt_vscnt null, 0x0
	s_barrier
	buffer_gl0_inv
	s_clause 0x13
	buffer_load_dword v101, off, s[0:3], 0 offset:252
	buffer_load_dword v102, off, s[0:3], 0 offset:260
	;; [unrolled: 1-line block ×20, first 2 shown]
	v_mov_b32_e32 v82, 0
	ds_read2_b64 v[83:86], v82 offset0:71 offset1:72
	ds_read2_b64 v[87:90], v82 offset0:73 offset1:74
	;; [unrolled: 1-line block ×4, first 2 shown]
	ds_read_b64 v[99:100], v82 offset:632
	s_mov_b32 s4, exec_lo
	s_waitcnt vmcnt(19) lgkmcnt(4)
	v_mul_f32_e32 v121, v83, v101
	v_mul_f32_e32 v101, v84, v101
	s_waitcnt vmcnt(18)
	v_mul_f32_e32 v122, v85, v102
	v_mul_f32_e32 v102, v86, v102
	s_waitcnt vmcnt(17) lgkmcnt(3)
	v_mul_f32_e32 v123, v87, v103
	s_waitcnt vmcnt(16)
	v_mul_f32_e32 v124, v89, v104
	s_waitcnt vmcnt(15) lgkmcnt(2)
	v_mul_f32_e32 v125, v91, v105
	s_waitcnt vmcnt(14)
	;; [unrolled: 4-line block ×3, first 2 shown]
	v_fma_f32 v83, v83, v110, -v101
	v_fmac_f32_e32 v121, v84, v110
	v_mul_f32_e32 v84, v88, v103
	s_waitcnt vmcnt(9)
	v_fma_f32 v85, v85, v111, -v102
	v_fmac_f32_e32 v122, v86, v111
	v_add_f32_e32 v83, 0, v83
	v_add_f32_e32 v86, 0, v121
	v_mul_f32_e32 v101, v90, v104
	s_waitcnt vmcnt(8)
	v_fma_f32 v84, v87, v112, -v84
	v_fmac_f32_e32 v123, v88, v112
	v_add_f32_e32 v83, v83, v85
	v_add_f32_e32 v85, v86, v122
	;; [unrolled: 6-line block ×5, first 2 shown]
	v_mul_f32_e32 v86, v98, v108
	s_waitcnt vmcnt(4)
	v_fma_f32 v87, v95, v116, -v87
	v_mul_f32_e32 v128, v97, v108
	v_add_f32_e32 v83, v83, v85
	v_fmac_f32_e32 v127, v96, v116
	v_add_f32_e32 v84, v84, v126
	s_waitcnt lgkmcnt(0)
	v_mul_f32_e32 v85, v100, v109
	s_waitcnt vmcnt(3)
	v_fma_f32 v86, v97, v117, -v86
	v_add_f32_e32 v83, v83, v87
	v_mul_f32_e32 v129, v99, v109
	v_fmac_f32_e32 v128, v98, v117
	v_add_f32_e32 v84, v84, v127
	s_waitcnt vmcnt(2)
	v_fma_f32 v85, v99, v118, -v85
	v_add_f32_e32 v83, v83, v86
	v_fmac_f32_e32 v129, v100, v118
	v_add_f32_e32 v84, v84, v128
	v_add_f32_e32 v83, v83, v85
	;; [unrolled: 1-line block ×3, first 2 shown]
	s_waitcnt vmcnt(1)
	v_sub_f32_e32 v83, v119, v83
	s_waitcnt vmcnt(0)
	v_sub_f32_e32 v84, v120, v84
	buffer_store_dword v83, off, s[0:3], 0 offset:240
	buffer_store_dword v84, off, s[0:3], 0 offset:244
	v_cmpx_lt_u32_e32 29, v0
	s_cbranch_execz .LBB39_195
; %bb.194:
	s_clause 0x1
	buffer_load_dword v83, off, s[0:3], 0 offset:232
	buffer_load_dword v84, off, s[0:3], 0 offset:236
	buffer_store_dword v82, off, s[0:3], 0 offset:232
	buffer_store_dword v82, off, s[0:3], 0 offset:236
	s_waitcnt vmcnt(0)
	ds_write_b64 v81, v[83:84]
.LBB39_195:
	s_or_b32 exec_lo, exec_lo, s4
	s_waitcnt lgkmcnt(0)
	s_waitcnt_vscnt null, 0x0
	s_barrier
	buffer_gl0_inv
	s_clause 0x15
	buffer_load_dword v103, off, s[0:3], 0 offset:244
	buffer_load_dword v104, off, s[0:3], 0 offset:252
	;; [unrolled: 1-line block ×22, first 2 shown]
	ds_read_b128 v[83:86], v82 offset:560
	ds_read_b128 v[87:90], v82 offset:576
	;; [unrolled: 1-line block ×5, first 2 shown]
	s_mov_b32 s4, exec_lo
	s_waitcnt vmcnt(21) lgkmcnt(4)
	v_mul_f32_e32 v82, v83, v103
	v_mul_f32_e32 v103, v84, v103
	s_waitcnt vmcnt(20)
	v_mul_f32_e32 v125, v85, v104
	v_mul_f32_e32 v104, v86, v104
	s_waitcnt vmcnt(19) lgkmcnt(3)
	v_mul_f32_e32 v126, v87, v105
	s_waitcnt vmcnt(18)
	v_mul_f32_e32 v127, v89, v106
	s_waitcnt vmcnt(17) lgkmcnt(2)
	v_mul_f32_e32 v128, v91, v107
	s_waitcnt vmcnt(16)
	;; [unrolled: 4-line block ×3, first 2 shown]
	v_mul_f32_e32 v131, v97, v110
	s_waitcnt vmcnt(11)
	v_fma_f32 v83, v83, v113, -v103
	v_fmac_f32_e32 v82, v84, v113
	v_mul_f32_e32 v84, v88, v105
	s_waitcnt vmcnt(10)
	v_fma_f32 v85, v85, v114, -v104
	v_fmac_f32_e32 v125, v86, v114
	v_add_f32_e32 v83, 0, v83
	v_add_f32_e32 v82, 0, v82
	v_mul_f32_e32 v86, v90, v106
	s_waitcnt vmcnt(9)
	v_fma_f32 v84, v87, v115, -v84
	v_fmac_f32_e32 v126, v88, v115
	v_add_f32_e32 v83, v83, v85
	v_add_f32_e32 v82, v82, v125
	;; [unrolled: 6-line block ×6, first 2 shown]
	s_waitcnt lgkmcnt(0)
	v_mul_f32_e32 v84, v100, v111
	s_waitcnt vmcnt(4)
	v_fma_f32 v85, v97, v120, -v85
	v_mul_f32_e32 v132, v99, v111
	v_add_f32_e32 v83, v83, v86
	v_fmac_f32_e32 v131, v98, v120
	v_add_f32_e32 v82, v82, v130
	v_mul_f32_e32 v86, v102, v112
	s_waitcnt vmcnt(3)
	v_fma_f32 v84, v99, v121, -v84
	v_add_f32_e32 v83, v83, v85
	v_mul_f32_e32 v133, v101, v112
	v_fmac_f32_e32 v132, v100, v121
	v_add_f32_e32 v82, v82, v131
	s_waitcnt vmcnt(2)
	v_fma_f32 v85, v101, v122, -v86
	v_add_f32_e32 v83, v83, v84
	v_fmac_f32_e32 v133, v102, v122
	v_add_f32_e32 v82, v82, v132
	v_add_f32_e32 v83, v83, v85
	;; [unrolled: 1-line block ×3, first 2 shown]
	s_waitcnt vmcnt(1)
	v_sub_f32_e32 v83, v123, v83
	s_waitcnt vmcnt(0)
	v_sub_f32_e32 v82, v124, v82
	buffer_store_dword v83, off, s[0:3], 0 offset:232
	buffer_store_dword v82, off, s[0:3], 0 offset:236
	v_cmpx_lt_u32_e32 28, v0
	s_cbranch_execz .LBB39_197
; %bb.196:
	s_clause 0x1
	buffer_load_dword v82, off, s[0:3], 0 offset:224
	buffer_load_dword v83, off, s[0:3], 0 offset:228
	v_mov_b32_e32 v84, 0
	buffer_store_dword v84, off, s[0:3], 0 offset:224
	buffer_store_dword v84, off, s[0:3], 0 offset:228
	s_waitcnt vmcnt(0)
	ds_write_b64 v81, v[82:83]
.LBB39_197:
	s_or_b32 exec_lo, exec_lo, s4
	s_waitcnt lgkmcnt(0)
	s_waitcnt_vscnt null, 0x0
	s_barrier
	buffer_gl0_inv
	s_clause 0x17
	buffer_load_dword v105, off, s[0:3], 0 offset:236
	buffer_load_dword v106, off, s[0:3], 0 offset:244
	;; [unrolled: 1-line block ×24, first 2 shown]
	v_mov_b32_e32 v82, 0
	ds_read2_b64 v[83:86], v82 offset0:69 offset1:70
	ds_read2_b64 v[87:90], v82 offset0:71 offset1:72
	;; [unrolled: 1-line block ×5, first 2 shown]
	ds_read_b64 v[103:104], v82 offset:632
	s_mov_b32 s4, exec_lo
	s_waitcnt vmcnt(23) lgkmcnt(5)
	v_mul_f32_e32 v129, v83, v105
	v_mul_f32_e32 v105, v84, v105
	s_waitcnt vmcnt(22)
	v_mul_f32_e32 v130, v85, v106
	v_mul_f32_e32 v106, v86, v106
	s_waitcnt vmcnt(21) lgkmcnt(4)
	v_mul_f32_e32 v131, v87, v107
	s_waitcnt vmcnt(20)
	v_mul_f32_e32 v132, v89, v108
	s_waitcnt vmcnt(19) lgkmcnt(3)
	v_mul_f32_e32 v133, v91, v109
	s_waitcnt vmcnt(18)
	;; [unrolled: 4-line block ×4, first 2 shown]
	v_fma_f32 v83, v83, v116, -v105
	v_fmac_f32_e32 v129, v84, v116
	v_mul_f32_e32 v84, v88, v107
	s_waitcnt vmcnt(11)
	v_fma_f32 v85, v85, v117, -v106
	v_fmac_f32_e32 v130, v86, v117
	v_add_f32_e32 v83, 0, v83
	v_add_f32_e32 v86, 0, v129
	v_mul_f32_e32 v105, v90, v108
	s_waitcnt vmcnt(10)
	v_fma_f32 v84, v87, v118, -v84
	v_fmac_f32_e32 v131, v88, v118
	v_add_f32_e32 v83, v83, v85
	v_add_f32_e32 v85, v86, v130
	;; [unrolled: 6-line block ×7, first 2 shown]
	v_mul_f32_e32 v87, v102, v114
	s_waitcnt vmcnt(4)
	v_fma_f32 v85, v99, v124, -v85
	v_mul_f32_e32 v138, v101, v114
	v_add_f32_e32 v83, v83, v86
	v_fmac_f32_e32 v137, v100, v124
	v_add_f32_e32 v84, v84, v136
	s_waitcnt lgkmcnt(0)
	v_mul_f32_e32 v86, v104, v115
	s_waitcnt vmcnt(3)
	v_fma_f32 v87, v101, v125, -v87
	v_add_f32_e32 v83, v83, v85
	v_mul_f32_e32 v139, v103, v115
	v_fmac_f32_e32 v138, v102, v125
	v_add_f32_e32 v84, v84, v137
	s_waitcnt vmcnt(2)
	v_fma_f32 v85, v103, v126, -v86
	v_add_f32_e32 v83, v83, v87
	v_fmac_f32_e32 v139, v104, v126
	v_add_f32_e32 v84, v84, v138
	v_add_f32_e32 v83, v83, v85
	;; [unrolled: 1-line block ×3, first 2 shown]
	s_waitcnt vmcnt(1)
	v_sub_f32_e32 v83, v127, v83
	s_waitcnt vmcnt(0)
	v_sub_f32_e32 v84, v128, v84
	buffer_store_dword v83, off, s[0:3], 0 offset:224
	buffer_store_dword v84, off, s[0:3], 0 offset:228
	v_cmpx_lt_u32_e32 27, v0
	s_cbranch_execz .LBB39_199
; %bb.198:
	s_clause 0x1
	buffer_load_dword v83, off, s[0:3], 0 offset:216
	buffer_load_dword v84, off, s[0:3], 0 offset:220
	buffer_store_dword v82, off, s[0:3], 0 offset:216
	buffer_store_dword v82, off, s[0:3], 0 offset:220
	s_waitcnt vmcnt(0)
	ds_write_b64 v81, v[83:84]
.LBB39_199:
	s_or_b32 exec_lo, exec_lo, s4
	s_waitcnt lgkmcnt(0)
	s_waitcnt_vscnt null, 0x0
	s_barrier
	buffer_gl0_inv
	s_clause 0x19
	buffer_load_dword v107, off, s[0:3], 0 offset:228
	buffer_load_dword v108, off, s[0:3], 0 offset:236
	;; [unrolled: 1-line block ×26, first 2 shown]
	ds_read_b128 v[83:86], v82 offset:544
	ds_read_b128 v[87:90], v82 offset:560
	;; [unrolled: 1-line block ×6, first 2 shown]
	s_mov_b32 s4, exec_lo
	s_waitcnt vmcnt(25) lgkmcnt(5)
	v_mul_f32_e32 v82, v83, v107
	v_mul_f32_e32 v107, v84, v107
	s_waitcnt vmcnt(24)
	v_mul_f32_e32 v133, v85, v108
	v_mul_f32_e32 v108, v86, v108
	s_waitcnt vmcnt(23) lgkmcnt(4)
	v_mul_f32_e32 v134, v87, v109
	s_waitcnt vmcnt(22)
	v_mul_f32_e32 v135, v89, v110
	s_waitcnt vmcnt(21) lgkmcnt(3)
	v_mul_f32_e32 v136, v91, v111
	s_waitcnt vmcnt(20)
	;; [unrolled: 4-line block ×4, first 2 shown]
	v_mul_f32_e32 v141, v101, v116
	s_waitcnt vmcnt(13)
	v_fma_f32 v83, v83, v119, -v107
	v_fmac_f32_e32 v82, v84, v119
	v_mul_f32_e32 v84, v88, v109
	s_waitcnt vmcnt(12)
	v_fma_f32 v85, v85, v120, -v108
	v_fmac_f32_e32 v133, v86, v120
	v_add_f32_e32 v83, 0, v83
	v_add_f32_e32 v82, 0, v82
	v_mul_f32_e32 v86, v90, v110
	s_waitcnt vmcnt(11)
	v_fma_f32 v84, v87, v121, -v84
	v_fmac_f32_e32 v134, v88, v121
	v_add_f32_e32 v83, v83, v85
	v_add_f32_e32 v82, v82, v133
	;; [unrolled: 6-line block ×8, first 2 shown]
	s_waitcnt lgkmcnt(0)
	v_mul_f32_e32 v85, v104, v117
	s_waitcnt vmcnt(4)
	v_fma_f32 v86, v101, v128, -v86
	v_mul_f32_e32 v142, v103, v117
	v_add_f32_e32 v83, v83, v84
	v_fmac_f32_e32 v141, v102, v128
	v_add_f32_e32 v82, v82, v140
	v_mul_f32_e32 v84, v106, v118
	s_waitcnt vmcnt(3)
	v_fma_f32 v85, v103, v129, -v85
	v_add_f32_e32 v83, v83, v86
	v_mul_f32_e32 v143, v105, v118
	v_fmac_f32_e32 v142, v104, v129
	v_add_f32_e32 v82, v82, v141
	s_waitcnt vmcnt(2)
	v_fma_f32 v84, v105, v130, -v84
	v_add_f32_e32 v83, v83, v85
	v_fmac_f32_e32 v143, v106, v130
	v_add_f32_e32 v82, v82, v142
	v_add_f32_e32 v83, v83, v84
	v_add_f32_e32 v82, v82, v143
	s_waitcnt vmcnt(1)
	v_sub_f32_e32 v83, v131, v83
	s_waitcnt vmcnt(0)
	v_sub_f32_e32 v82, v132, v82
	buffer_store_dword v83, off, s[0:3], 0 offset:216
	buffer_store_dword v82, off, s[0:3], 0 offset:220
	v_cmpx_lt_u32_e32 26, v0
	s_cbranch_execz .LBB39_201
; %bb.200:
	s_clause 0x1
	buffer_load_dword v82, off, s[0:3], 0 offset:208
	buffer_load_dword v83, off, s[0:3], 0 offset:212
	v_mov_b32_e32 v84, 0
	buffer_store_dword v84, off, s[0:3], 0 offset:208
	buffer_store_dword v84, off, s[0:3], 0 offset:212
	s_waitcnt vmcnt(0)
	ds_write_b64 v81, v[82:83]
.LBB39_201:
	s_or_b32 exec_lo, exec_lo, s4
	s_waitcnt lgkmcnt(0)
	s_waitcnt_vscnt null, 0x0
	s_barrier
	buffer_gl0_inv
	s_clause 0x1b
	buffer_load_dword v109, off, s[0:3], 0 offset:220
	buffer_load_dword v110, off, s[0:3], 0 offset:228
	;; [unrolled: 1-line block ×28, first 2 shown]
	v_mov_b32_e32 v82, 0
	ds_read2_b64 v[83:86], v82 offset0:67 offset1:68
	ds_read2_b64 v[87:90], v82 offset0:69 offset1:70
	;; [unrolled: 1-line block ×6, first 2 shown]
	ds_read_b64 v[107:108], v82 offset:632
	s_mov_b32 s4, exec_lo
	s_waitcnt vmcnt(27) lgkmcnt(6)
	v_mul_f32_e32 v137, v83, v109
	v_mul_f32_e32 v109, v84, v109
	s_waitcnt vmcnt(26)
	v_mul_f32_e32 v138, v85, v110
	v_mul_f32_e32 v110, v86, v110
	s_waitcnt vmcnt(25) lgkmcnt(5)
	v_mul_f32_e32 v139, v87, v111
	s_waitcnt vmcnt(24)
	v_mul_f32_e32 v140, v89, v112
	s_waitcnt vmcnt(23) lgkmcnt(4)
	v_mul_f32_e32 v141, v91, v113
	s_waitcnt vmcnt(22)
	;; [unrolled: 4-line block ×5, first 2 shown]
	v_fma_f32 v83, v83, v122, -v109
	v_fmac_f32_e32 v137, v84, v122
	v_mul_f32_e32 v84, v88, v111
	s_waitcnt vmcnt(13)
	v_fma_f32 v85, v85, v123, -v110
	v_fmac_f32_e32 v138, v86, v123
	v_add_f32_e32 v83, 0, v83
	v_add_f32_e32 v86, 0, v137
	v_mul_f32_e32 v109, v90, v112
	s_waitcnt vmcnt(12)
	v_fma_f32 v84, v87, v124, -v84
	v_fmac_f32_e32 v139, v88, v124
	v_add_f32_e32 v83, v83, v85
	v_add_f32_e32 v85, v86, v138
	;; [unrolled: 6-line block ×9, first 2 shown]
	v_mul_f32_e32 v85, v106, v120
	s_waitcnt vmcnt(4)
	v_fma_f32 v86, v103, v132, -v86
	v_mul_f32_e32 v148, v105, v120
	v_add_f32_e32 v83, v83, v87
	v_fmac_f32_e32 v147, v104, v132
	v_add_f32_e32 v84, v84, v146
	s_waitcnt lgkmcnt(0)
	v_mul_f32_e32 v87, v108, v121
	s_waitcnt vmcnt(3)
	v_fma_f32 v85, v105, v133, -v85
	v_add_f32_e32 v83, v83, v86
	v_mul_f32_e32 v149, v107, v121
	v_fmac_f32_e32 v148, v106, v133
	v_add_f32_e32 v84, v84, v147
	s_waitcnt vmcnt(2)
	v_fma_f32 v86, v107, v134, -v87
	v_add_f32_e32 v83, v83, v85
	v_fmac_f32_e32 v149, v108, v134
	v_add_f32_e32 v84, v84, v148
	v_add_f32_e32 v83, v83, v86
	;; [unrolled: 1-line block ×3, first 2 shown]
	s_waitcnt vmcnt(1)
	v_sub_f32_e32 v83, v135, v83
	s_waitcnt vmcnt(0)
	v_sub_f32_e32 v84, v136, v84
	buffer_store_dword v83, off, s[0:3], 0 offset:208
	buffer_store_dword v84, off, s[0:3], 0 offset:212
	v_cmpx_lt_u32_e32 25, v0
	s_cbranch_execz .LBB39_203
; %bb.202:
	s_clause 0x1
	buffer_load_dword v83, off, s[0:3], 0 offset:200
	buffer_load_dword v84, off, s[0:3], 0 offset:204
	buffer_store_dword v82, off, s[0:3], 0 offset:200
	buffer_store_dword v82, off, s[0:3], 0 offset:204
	s_waitcnt vmcnt(0)
	ds_write_b64 v81, v[83:84]
.LBB39_203:
	s_or_b32 exec_lo, exec_lo, s4
	s_waitcnt lgkmcnt(0)
	s_waitcnt_vscnt null, 0x0
	s_barrier
	buffer_gl0_inv
	s_clause 0x1d
	buffer_load_dword v111, off, s[0:3], 0 offset:212
	buffer_load_dword v112, off, s[0:3], 0 offset:220
	;; [unrolled: 1-line block ×30, first 2 shown]
	ds_read_b128 v[83:86], v82 offset:528
	ds_read_b128 v[87:90], v82 offset:544
	;; [unrolled: 1-line block ×7, first 2 shown]
	s_mov_b32 s4, exec_lo
	s_waitcnt vmcnt(29) lgkmcnt(6)
	v_mul_f32_e32 v82, v83, v111
	v_mul_f32_e32 v111, v84, v111
	s_waitcnt vmcnt(28)
	v_mul_f32_e32 v141, v85, v112
	v_mul_f32_e32 v112, v86, v112
	s_waitcnt vmcnt(27) lgkmcnt(5)
	v_mul_f32_e32 v142, v87, v113
	s_waitcnt vmcnt(26)
	v_mul_f32_e32 v143, v89, v114
	s_waitcnt vmcnt(25) lgkmcnt(4)
	v_mul_f32_e32 v144, v91, v115
	s_waitcnt vmcnt(24)
	;; [unrolled: 4-line block ×5, first 2 shown]
	v_mul_f32_e32 v151, v105, v122
	s_waitcnt vmcnt(15)
	v_fma_f32 v83, v83, v125, -v111
	v_fmac_f32_e32 v82, v84, v125
	v_mul_f32_e32 v84, v88, v113
	s_waitcnt vmcnt(14)
	v_fma_f32 v85, v85, v126, -v112
	v_fmac_f32_e32 v141, v86, v126
	v_add_f32_e32 v83, 0, v83
	v_add_f32_e32 v82, 0, v82
	v_mul_f32_e32 v86, v90, v114
	s_waitcnt vmcnt(13)
	v_fma_f32 v84, v87, v127, -v84
	v_fmac_f32_e32 v142, v88, v127
	v_add_f32_e32 v83, v83, v85
	v_add_f32_e32 v82, v82, v141
	;; [unrolled: 6-line block ×10, first 2 shown]
	s_waitcnt lgkmcnt(0)
	v_mul_f32_e32 v86, v108, v123
	s_waitcnt vmcnt(4)
	v_fma_f32 v84, v105, v136, -v84
	v_mul_f32_e32 v152, v107, v123
	v_add_f32_e32 v83, v83, v85
	v_fmac_f32_e32 v151, v106, v136
	v_add_f32_e32 v82, v82, v150
	v_mul_f32_e32 v85, v110, v124
	s_waitcnt vmcnt(3)
	v_fma_f32 v86, v107, v137, -v86
	v_add_f32_e32 v83, v83, v84
	v_mul_f32_e32 v153, v109, v124
	v_fmac_f32_e32 v152, v108, v137
	v_add_f32_e32 v82, v82, v151
	s_waitcnt vmcnt(2)
	v_fma_f32 v84, v109, v138, -v85
	v_add_f32_e32 v83, v83, v86
	v_fmac_f32_e32 v153, v110, v138
	v_add_f32_e32 v82, v82, v152
	v_add_f32_e32 v83, v83, v84
	;; [unrolled: 1-line block ×3, first 2 shown]
	s_waitcnt vmcnt(1)
	v_sub_f32_e32 v83, v139, v83
	s_waitcnt vmcnt(0)
	v_sub_f32_e32 v82, v140, v82
	buffer_store_dword v83, off, s[0:3], 0 offset:200
	buffer_store_dword v82, off, s[0:3], 0 offset:204
	v_cmpx_lt_u32_e32 24, v0
	s_cbranch_execz .LBB39_205
; %bb.204:
	s_clause 0x1
	buffer_load_dword v82, off, s[0:3], 0 offset:192
	buffer_load_dword v83, off, s[0:3], 0 offset:196
	v_mov_b32_e32 v84, 0
	buffer_store_dword v84, off, s[0:3], 0 offset:192
	buffer_store_dword v84, off, s[0:3], 0 offset:196
	s_waitcnt vmcnt(0)
	ds_write_b64 v81, v[82:83]
.LBB39_205:
	s_or_b32 exec_lo, exec_lo, s4
	s_waitcnt lgkmcnt(0)
	s_waitcnt_vscnt null, 0x0
	s_barrier
	buffer_gl0_inv
	s_clause 0x1f
	buffer_load_dword v113, off, s[0:3], 0 offset:204
	buffer_load_dword v114, off, s[0:3], 0 offset:212
	;; [unrolled: 1-line block ×32, first 2 shown]
	v_mov_b32_e32 v82, 0
	ds_read2_b64 v[83:86], v82 offset0:65 offset1:66
	ds_read2_b64 v[87:90], v82 offset0:67 offset1:68
	ds_read2_b64 v[91:94], v82 offset0:69 offset1:70
	ds_read2_b64 v[95:98], v82 offset0:71 offset1:72
	ds_read2_b64 v[99:102], v82 offset0:73 offset1:74
	ds_read2_b64 v[103:106], v82 offset0:75 offset1:76
	ds_read2_b64 v[107:110], v82 offset0:77 offset1:78
	ds_read_b64 v[111:112], v82 offset:632
	s_mov_b32 s4, exec_lo
	s_waitcnt vmcnt(31) lgkmcnt(7)
	v_mul_f32_e32 v145, v83, v113
	v_mul_f32_e32 v113, v84, v113
	s_waitcnt vmcnt(30)
	v_mul_f32_e32 v146, v85, v114
	v_mul_f32_e32 v114, v86, v114
	s_waitcnt vmcnt(29) lgkmcnt(6)
	v_mul_f32_e32 v147, v87, v115
	s_waitcnt vmcnt(28)
	v_mul_f32_e32 v148, v89, v116
	s_waitcnt vmcnt(27) lgkmcnt(5)
	v_mul_f32_e32 v149, v91, v117
	s_waitcnt vmcnt(26)
	v_mul_f32_e32 v150, v93, v118
	s_waitcnt vmcnt(25) lgkmcnt(4)
	v_mul_f32_e32 v151, v95, v119
	s_waitcnt vmcnt(24)
	v_mul_f32_e32 v152, v97, v120
	s_waitcnt vmcnt(23) lgkmcnt(3)
	v_mul_f32_e32 v153, v99, v121
	s_waitcnt vmcnt(22)
	v_mul_f32_e32 v154, v101, v122
	s_waitcnt vmcnt(21) lgkmcnt(2)
	v_mul_f32_e32 v155, v103, v123
	s_waitcnt vmcnt(20)
	v_mul_f32_e32 v156, v105, v124
	s_waitcnt vmcnt(19) lgkmcnt(1)
	v_mul_f32_e32 v157, v107, v125
	s_waitcnt vmcnt(16)
	v_fma_f32 v83, v83, v128, -v113
	v_fmac_f32_e32 v145, v84, v128
	v_mul_f32_e32 v84, v88, v115
	s_waitcnt vmcnt(15)
	v_fma_f32 v85, v85, v129, -v114
	v_fmac_f32_e32 v146, v86, v129
	v_add_f32_e32 v83, 0, v83
	v_add_f32_e32 v86, 0, v145
	v_mul_f32_e32 v113, v90, v116
	s_waitcnt vmcnt(14)
	v_fma_f32 v84, v87, v130, -v84
	v_fmac_f32_e32 v147, v88, v130
	v_add_f32_e32 v83, v83, v85
	v_add_f32_e32 v85, v86, v146
	;; [unrolled: 6-line block ×11, first 2 shown]
	v_mul_f32_e32 v86, v110, v126
	s_waitcnt vmcnt(4)
	v_fma_f32 v87, v107, v140, -v87
	v_mul_f32_e32 v158, v109, v126
	v_add_f32_e32 v83, v83, v85
	v_fmac_f32_e32 v157, v108, v140
	v_add_f32_e32 v84, v84, v156
	s_waitcnt lgkmcnt(0)
	v_mul_f32_e32 v85, v112, v127
	s_waitcnt vmcnt(3)
	v_fma_f32 v86, v109, v141, -v86
	v_add_f32_e32 v83, v83, v87
	v_mul_f32_e32 v159, v111, v127
	v_fmac_f32_e32 v158, v110, v141
	v_add_f32_e32 v84, v84, v157
	s_waitcnt vmcnt(2)
	v_fma_f32 v85, v111, v142, -v85
	v_add_f32_e32 v83, v83, v86
	v_fmac_f32_e32 v159, v112, v142
	v_add_f32_e32 v84, v84, v158
	v_add_f32_e32 v83, v83, v85
	;; [unrolled: 1-line block ×3, first 2 shown]
	s_waitcnt vmcnt(1)
	v_sub_f32_e32 v83, v143, v83
	s_waitcnt vmcnt(0)
	v_sub_f32_e32 v84, v144, v84
	buffer_store_dword v83, off, s[0:3], 0 offset:192
	buffer_store_dword v84, off, s[0:3], 0 offset:196
	v_cmpx_lt_u32_e32 23, v0
	s_cbranch_execz .LBB39_207
; %bb.206:
	s_clause 0x1
	buffer_load_dword v83, off, s[0:3], 0 offset:184
	buffer_load_dword v84, off, s[0:3], 0 offset:188
	buffer_store_dword v82, off, s[0:3], 0 offset:184
	buffer_store_dword v82, off, s[0:3], 0 offset:188
	s_waitcnt vmcnt(0)
	ds_write_b64 v81, v[83:84]
.LBB39_207:
	s_or_b32 exec_lo, exec_lo, s4
	s_waitcnt lgkmcnt(0)
	s_waitcnt_vscnt null, 0x0
	s_barrier
	buffer_gl0_inv
	s_clause 0x21
	buffer_load_dword v115, off, s[0:3], 0 offset:196
	buffer_load_dword v116, off, s[0:3], 0 offset:204
	;; [unrolled: 1-line block ×34, first 2 shown]
	ds_read_b128 v[83:86], v82 offset:512
	ds_read_b128 v[87:90], v82 offset:528
	;; [unrolled: 1-line block ×8, first 2 shown]
	s_mov_b32 s4, exec_lo
	s_waitcnt vmcnt(33) lgkmcnt(7)
	v_mul_f32_e32 v82, v83, v115
	v_mul_f32_e32 v115, v84, v115
	s_waitcnt vmcnt(32)
	v_mul_f32_e32 v149, v85, v116
	v_mul_f32_e32 v116, v86, v116
	s_waitcnt vmcnt(31) lgkmcnt(6)
	v_mul_f32_e32 v150, v87, v117
	s_waitcnt vmcnt(30)
	v_mul_f32_e32 v151, v89, v118
	s_waitcnt vmcnt(29) lgkmcnt(5)
	v_mul_f32_e32 v152, v91, v119
	s_waitcnt vmcnt(28)
	v_mul_f32_e32 v153, v93, v120
	s_waitcnt vmcnt(27) lgkmcnt(4)
	v_mul_f32_e32 v154, v95, v121
	s_waitcnt vmcnt(26)
	v_mul_f32_e32 v155, v97, v122
	s_waitcnt vmcnt(25) lgkmcnt(3)
	v_mul_f32_e32 v156, v99, v123
	s_waitcnt vmcnt(24)
	v_mul_f32_e32 v157, v101, v124
	s_waitcnt vmcnt(23) lgkmcnt(2)
	v_mul_f32_e32 v158, v103, v125
	s_waitcnt vmcnt(22)
	v_mul_f32_e32 v159, v105, v126
	s_waitcnt vmcnt(21) lgkmcnt(1)
	v_mul_f32_e32 v160, v107, v127
	s_waitcnt vmcnt(20)
	v_mul_f32_e32 v161, v109, v128
	s_waitcnt vmcnt(17)
	v_fma_f32 v83, v83, v131, -v115
	v_fmac_f32_e32 v82, v84, v131
	v_mul_f32_e32 v84, v88, v117
	s_waitcnt vmcnt(16)
	v_fma_f32 v85, v85, v132, -v116
	v_fmac_f32_e32 v149, v86, v132
	v_add_f32_e32 v83, 0, v83
	v_add_f32_e32 v82, 0, v82
	v_mul_f32_e32 v86, v90, v118
	s_waitcnt vmcnt(15)
	v_fma_f32 v84, v87, v133, -v84
	v_fmac_f32_e32 v150, v88, v133
	v_add_f32_e32 v83, v83, v85
	v_add_f32_e32 v82, v82, v149
	;; [unrolled: 6-line block ×12, first 2 shown]
	s_waitcnt lgkmcnt(0)
	v_mul_f32_e32 v84, v112, v129
	s_waitcnt vmcnt(4)
	v_fma_f32 v85, v109, v144, -v85
	v_mul_f32_e32 v162, v111, v129
	v_add_f32_e32 v83, v83, v86
	v_fmac_f32_e32 v161, v110, v144
	v_add_f32_e32 v82, v82, v160
	v_mul_f32_e32 v86, v114, v130
	s_waitcnt vmcnt(3)
	v_fma_f32 v84, v111, v145, -v84
	v_add_f32_e32 v83, v83, v85
	v_mul_f32_e32 v163, v113, v130
	v_fmac_f32_e32 v162, v112, v145
	v_add_f32_e32 v82, v82, v161
	s_waitcnt vmcnt(2)
	v_fma_f32 v85, v113, v146, -v86
	v_add_f32_e32 v83, v83, v84
	v_fmac_f32_e32 v163, v114, v146
	v_add_f32_e32 v82, v82, v162
	v_add_f32_e32 v83, v83, v85
	;; [unrolled: 1-line block ×3, first 2 shown]
	s_waitcnt vmcnt(1)
	v_sub_f32_e32 v83, v147, v83
	s_waitcnt vmcnt(0)
	v_sub_f32_e32 v82, v148, v82
	buffer_store_dword v83, off, s[0:3], 0 offset:184
	buffer_store_dword v82, off, s[0:3], 0 offset:188
	v_cmpx_lt_u32_e32 22, v0
	s_cbranch_execz .LBB39_209
; %bb.208:
	s_clause 0x1
	buffer_load_dword v82, off, s[0:3], 0 offset:176
	buffer_load_dword v83, off, s[0:3], 0 offset:180
	v_mov_b32_e32 v84, 0
	buffer_store_dword v84, off, s[0:3], 0 offset:176
	buffer_store_dword v84, off, s[0:3], 0 offset:180
	s_waitcnt vmcnt(0)
	ds_write_b64 v81, v[82:83]
.LBB39_209:
	s_or_b32 exec_lo, exec_lo, s4
	s_waitcnt lgkmcnt(0)
	s_waitcnt_vscnt null, 0x0
	s_barrier
	buffer_gl0_inv
	s_clause 0x23
	buffer_load_dword v117, off, s[0:3], 0 offset:188
	buffer_load_dword v118, off, s[0:3], 0 offset:196
	buffer_load_dword v119, off, s[0:3], 0 offset:204
	buffer_load_dword v120, off, s[0:3], 0 offset:212
	buffer_load_dword v121, off, s[0:3], 0 offset:220
	buffer_load_dword v122, off, s[0:3], 0 offset:228
	buffer_load_dword v123, off, s[0:3], 0 offset:236
	buffer_load_dword v124, off, s[0:3], 0 offset:244
	buffer_load_dword v125, off, s[0:3], 0 offset:252
	buffer_load_dword v126, off, s[0:3], 0 offset:260
	buffer_load_dword v127, off, s[0:3], 0 offset:268
	buffer_load_dword v128, off, s[0:3], 0 offset:276
	buffer_load_dword v129, off, s[0:3], 0 offset:284
	buffer_load_dword v130, off, s[0:3], 0 offset:292
	buffer_load_dword v131, off, s[0:3], 0 offset:300
	buffer_load_dword v132, off, s[0:3], 0 offset:308
	buffer_load_dword v133, off, s[0:3], 0 offset:316
	buffer_load_dword v134, off, s[0:3], 0 offset:184
	buffer_load_dword v135, off, s[0:3], 0 offset:192
	buffer_load_dword v136, off, s[0:3], 0 offset:200
	buffer_load_dword v137, off, s[0:3], 0 offset:208
	buffer_load_dword v138, off, s[0:3], 0 offset:216
	buffer_load_dword v139, off, s[0:3], 0 offset:224
	buffer_load_dword v140, off, s[0:3], 0 offset:232
	buffer_load_dword v141, off, s[0:3], 0 offset:240
	buffer_load_dword v142, off, s[0:3], 0 offset:248
	buffer_load_dword v143, off, s[0:3], 0 offset:256
	buffer_load_dword v144, off, s[0:3], 0 offset:264
	buffer_load_dword v145, off, s[0:3], 0 offset:272
	buffer_load_dword v146, off, s[0:3], 0 offset:280
	buffer_load_dword v147, off, s[0:3], 0 offset:288
	buffer_load_dword v148, off, s[0:3], 0 offset:296
	buffer_load_dword v149, off, s[0:3], 0 offset:304
	buffer_load_dword v150, off, s[0:3], 0 offset:312
	buffer_load_dword v151, off, s[0:3], 0 offset:176
	buffer_load_dword v152, off, s[0:3], 0 offset:180
	v_mov_b32_e32 v82, 0
	ds_read2_b64 v[83:86], v82 offset0:63 offset1:64
	ds_read2_b64 v[87:90], v82 offset0:65 offset1:66
	;; [unrolled: 1-line block ×8, first 2 shown]
	ds_read_b64 v[115:116], v82 offset:632
	s_mov_b32 s4, exec_lo
	s_waitcnt vmcnt(35) lgkmcnt(8)
	v_mul_f32_e32 v153, v83, v117
	v_mul_f32_e32 v117, v84, v117
	s_waitcnt vmcnt(34)
	v_mul_f32_e32 v154, v85, v118
	v_mul_f32_e32 v118, v86, v118
	s_waitcnt vmcnt(33) lgkmcnt(7)
	v_mul_f32_e32 v155, v87, v119
	s_waitcnt vmcnt(32)
	v_mul_f32_e32 v156, v89, v120
	s_waitcnt vmcnt(31) lgkmcnt(6)
	v_mul_f32_e32 v157, v91, v121
	s_waitcnt vmcnt(30)
	;; [unrolled: 4-line block ×7, first 2 shown]
	v_fma_f32 v83, v83, v134, -v117
	v_fmac_f32_e32 v153, v84, v134
	v_mul_f32_e32 v84, v88, v119
	s_waitcnt vmcnt(17)
	v_fma_f32 v85, v85, v135, -v118
	v_fmac_f32_e32 v154, v86, v135
	v_add_f32_e32 v83, 0, v83
	v_add_f32_e32 v86, 0, v153
	v_mul_f32_e32 v117, v90, v120
	s_waitcnt vmcnt(16)
	v_fma_f32 v84, v87, v136, -v84
	v_fmac_f32_e32 v155, v88, v136
	v_add_f32_e32 v83, v83, v85
	v_add_f32_e32 v85, v86, v154
	;; [unrolled: 6-line block ×13, first 2 shown]
	v_mul_f32_e32 v87, v114, v132
	s_waitcnt vmcnt(4)
	v_fma_f32 v85, v111, v148, -v85
	v_mul_f32_e32 v168, v113, v132
	v_add_f32_e32 v83, v83, v86
	v_fmac_f32_e32 v167, v112, v148
	v_add_f32_e32 v84, v84, v166
	s_waitcnt lgkmcnt(0)
	v_mul_f32_e32 v86, v116, v133
	s_waitcnt vmcnt(3)
	v_fma_f32 v87, v113, v149, -v87
	v_add_f32_e32 v83, v83, v85
	v_mul_f32_e32 v169, v115, v133
	v_fmac_f32_e32 v168, v114, v149
	v_add_f32_e32 v84, v84, v167
	s_waitcnt vmcnt(2)
	v_fma_f32 v85, v115, v150, -v86
	v_add_f32_e32 v83, v83, v87
	v_fmac_f32_e32 v169, v116, v150
	v_add_f32_e32 v84, v84, v168
	v_add_f32_e32 v83, v83, v85
	;; [unrolled: 1-line block ×3, first 2 shown]
	s_waitcnt vmcnt(1)
	v_sub_f32_e32 v83, v151, v83
	s_waitcnt vmcnt(0)
	v_sub_f32_e32 v84, v152, v84
	buffer_store_dword v83, off, s[0:3], 0 offset:176
	buffer_store_dword v84, off, s[0:3], 0 offset:180
	v_cmpx_lt_u32_e32 21, v0
	s_cbranch_execz .LBB39_211
; %bb.210:
	s_clause 0x1
	buffer_load_dword v83, off, s[0:3], 0 offset:168
	buffer_load_dword v84, off, s[0:3], 0 offset:172
	buffer_store_dword v82, off, s[0:3], 0 offset:168
	buffer_store_dword v82, off, s[0:3], 0 offset:172
	s_waitcnt vmcnt(0)
	ds_write_b64 v81, v[83:84]
.LBB39_211:
	s_or_b32 exec_lo, exec_lo, s4
	s_waitcnt lgkmcnt(0)
	s_waitcnt_vscnt null, 0x0
	s_barrier
	buffer_gl0_inv
	s_clause 0x25
	buffer_load_dword v119, off, s[0:3], 0 offset:180
	buffer_load_dword v120, off, s[0:3], 0 offset:188
	;; [unrolled: 1-line block ×38, first 2 shown]
	ds_read_b128 v[83:86], v82 offset:496
	ds_read_b128 v[87:90], v82 offset:512
	;; [unrolled: 1-line block ×9, first 2 shown]
	s_mov_b32 s4, exec_lo
	s_waitcnt vmcnt(37) lgkmcnt(8)
	v_mul_f32_e32 v82, v83, v119
	v_mul_f32_e32 v119, v84, v119
	s_waitcnt vmcnt(36)
	v_mul_f32_e32 v157, v85, v120
	v_mul_f32_e32 v120, v86, v120
	s_waitcnt vmcnt(35) lgkmcnt(7)
	v_mul_f32_e32 v158, v87, v121
	s_waitcnt vmcnt(34)
	v_mul_f32_e32 v159, v89, v122
	s_waitcnt vmcnt(33) lgkmcnt(6)
	v_mul_f32_e32 v160, v91, v123
	s_waitcnt vmcnt(32)
	;; [unrolled: 4-line block ×7, first 2 shown]
	v_mul_f32_e32 v171, v113, v134
	s_waitcnt vmcnt(19)
	v_fma_f32 v83, v83, v137, -v119
	v_fmac_f32_e32 v82, v84, v137
	v_mul_f32_e32 v84, v88, v121
	s_waitcnt vmcnt(18)
	v_fma_f32 v85, v85, v138, -v120
	v_fmac_f32_e32 v157, v86, v138
	v_add_f32_e32 v83, 0, v83
	v_add_f32_e32 v82, 0, v82
	v_mul_f32_e32 v86, v90, v122
	s_waitcnt vmcnt(17)
	v_fma_f32 v84, v87, v139, -v84
	v_fmac_f32_e32 v158, v88, v139
	v_add_f32_e32 v83, v83, v85
	v_add_f32_e32 v82, v82, v157
	;; [unrolled: 6-line block ×14, first 2 shown]
	s_waitcnt lgkmcnt(0)
	v_mul_f32_e32 v85, v116, v135
	s_waitcnt vmcnt(4)
	v_fma_f32 v86, v113, v152, -v86
	v_mul_f32_e32 v172, v115, v135
	v_add_f32_e32 v83, v83, v84
	v_fmac_f32_e32 v171, v114, v152
	v_add_f32_e32 v82, v82, v170
	v_mul_f32_e32 v84, v118, v136
	s_waitcnt vmcnt(3)
	v_fma_f32 v85, v115, v153, -v85
	v_add_f32_e32 v83, v83, v86
	v_mul_f32_e32 v173, v117, v136
	v_fmac_f32_e32 v172, v116, v153
	v_add_f32_e32 v82, v82, v171
	s_waitcnt vmcnt(2)
	v_fma_f32 v84, v117, v154, -v84
	v_add_f32_e32 v83, v83, v85
	v_fmac_f32_e32 v173, v118, v154
	v_add_f32_e32 v82, v82, v172
	v_add_f32_e32 v83, v83, v84
	;; [unrolled: 1-line block ×3, first 2 shown]
	s_waitcnt vmcnt(1)
	v_sub_f32_e32 v83, v155, v83
	s_waitcnt vmcnt(0)
	v_sub_f32_e32 v82, v156, v82
	buffer_store_dword v83, off, s[0:3], 0 offset:168
	buffer_store_dword v82, off, s[0:3], 0 offset:172
	v_cmpx_lt_u32_e32 20, v0
	s_cbranch_execz .LBB39_213
; %bb.212:
	s_clause 0x1
	buffer_load_dword v82, off, s[0:3], 0 offset:160
	buffer_load_dword v83, off, s[0:3], 0 offset:164
	v_mov_b32_e32 v84, 0
	buffer_store_dword v84, off, s[0:3], 0 offset:160
	buffer_store_dword v84, off, s[0:3], 0 offset:164
	s_waitcnt vmcnt(0)
	ds_write_b64 v81, v[82:83]
.LBB39_213:
	s_or_b32 exec_lo, exec_lo, s4
	s_waitcnt lgkmcnt(0)
	s_waitcnt_vscnt null, 0x0
	s_barrier
	buffer_gl0_inv
	s_clause 0x27
	buffer_load_dword v121, off, s[0:3], 0 offset:172
	buffer_load_dword v122, off, s[0:3], 0 offset:180
	;; [unrolled: 1-line block ×40, first 2 shown]
	v_mov_b32_e32 v82, 0
	ds_read2_b64 v[83:86], v82 offset0:61 offset1:62
	ds_read2_b64 v[87:90], v82 offset0:63 offset1:64
	;; [unrolled: 1-line block ×9, first 2 shown]
	ds_read_b64 v[119:120], v82 offset:632
	s_mov_b32 s4, exec_lo
	s_waitcnt vmcnt(39) lgkmcnt(9)
	v_mul_f32_e32 v161, v83, v121
	v_mul_f32_e32 v121, v84, v121
	s_waitcnt vmcnt(38)
	v_mul_f32_e32 v162, v85, v122
	v_mul_f32_e32 v122, v86, v122
	s_waitcnt vmcnt(37) lgkmcnt(8)
	v_mul_f32_e32 v163, v87, v123
	s_waitcnt vmcnt(36)
	v_mul_f32_e32 v164, v89, v124
	s_waitcnt vmcnt(35) lgkmcnt(7)
	v_mul_f32_e32 v165, v91, v125
	s_waitcnt vmcnt(34)
	;; [unrolled: 4-line block ×8, first 2 shown]
	v_fma_f32 v83, v83, v140, -v121
	v_fmac_f32_e32 v161, v84, v140
	v_mul_f32_e32 v84, v88, v123
	s_waitcnt vmcnt(19)
	v_fma_f32 v85, v85, v141, -v122
	v_fmac_f32_e32 v162, v86, v141
	v_add_f32_e32 v83, 0, v83
	v_add_f32_e32 v86, 0, v161
	v_mul_f32_e32 v121, v90, v124
	s_waitcnt vmcnt(18)
	v_fma_f32 v84, v87, v142, -v84
	v_fmac_f32_e32 v163, v88, v142
	v_add_f32_e32 v83, v83, v85
	v_add_f32_e32 v85, v86, v162
	;; [unrolled: 6-line block ×15, first 2 shown]
	v_mul_f32_e32 v85, v118, v138
	s_waitcnt vmcnt(4)
	v_fma_f32 v86, v115, v156, -v86
	v_mul_f32_e32 v178, v117, v138
	v_add_f32_e32 v83, v83, v87
	v_fmac_f32_e32 v177, v116, v156
	v_add_f32_e32 v84, v84, v176
	s_waitcnt lgkmcnt(0)
	v_mul_f32_e32 v87, v120, v139
	s_waitcnt vmcnt(3)
	v_fma_f32 v85, v117, v157, -v85
	v_add_f32_e32 v83, v83, v86
	v_mul_f32_e32 v179, v119, v139
	v_fmac_f32_e32 v178, v118, v157
	v_add_f32_e32 v84, v84, v177
	s_waitcnt vmcnt(2)
	v_fma_f32 v86, v119, v158, -v87
	v_add_f32_e32 v83, v83, v85
	v_fmac_f32_e32 v179, v120, v158
	v_add_f32_e32 v84, v84, v178
	v_add_f32_e32 v83, v83, v86
	v_add_f32_e32 v84, v84, v179
	s_waitcnt vmcnt(1)
	v_sub_f32_e32 v83, v159, v83
	s_waitcnt vmcnt(0)
	v_sub_f32_e32 v84, v160, v84
	buffer_store_dword v83, off, s[0:3], 0 offset:160
	buffer_store_dword v84, off, s[0:3], 0 offset:164
	v_cmpx_lt_u32_e32 19, v0
	s_cbranch_execz .LBB39_215
; %bb.214:
	s_clause 0x1
	buffer_load_dword v83, off, s[0:3], 0 offset:152
	buffer_load_dword v84, off, s[0:3], 0 offset:156
	buffer_store_dword v82, off, s[0:3], 0 offset:152
	buffer_store_dword v82, off, s[0:3], 0 offset:156
	s_waitcnt vmcnt(0)
	ds_write_b64 v81, v[83:84]
.LBB39_215:
	s_or_b32 exec_lo, exec_lo, s4
	s_waitcnt lgkmcnt(0)
	s_waitcnt_vscnt null, 0x0
	s_barrier
	buffer_gl0_inv
	s_clause 0x29
	buffer_load_dword v123, off, s[0:3], 0 offset:164
	buffer_load_dword v124, off, s[0:3], 0 offset:172
	;; [unrolled: 1-line block ×42, first 2 shown]
	ds_read_b128 v[83:86], v82 offset:480
	ds_read_b128 v[87:90], v82 offset:496
	;; [unrolled: 1-line block ×10, first 2 shown]
	s_mov_b32 s4, exec_lo
	s_waitcnt vmcnt(41) lgkmcnt(9)
	v_mul_f32_e32 v82, v83, v123
	v_mul_f32_e32 v123, v84, v123
	s_waitcnt vmcnt(40)
	v_mul_f32_e32 v165, v85, v124
	v_mul_f32_e32 v124, v86, v124
	s_waitcnt vmcnt(39) lgkmcnt(8)
	v_mul_f32_e32 v166, v87, v125
	s_waitcnt vmcnt(38)
	v_mul_f32_e32 v167, v89, v126
	s_waitcnt vmcnt(37) lgkmcnt(7)
	v_mul_f32_e32 v168, v91, v127
	s_waitcnt vmcnt(36)
	;; [unrolled: 4-line block ×8, first 2 shown]
	v_mul_f32_e32 v181, v117, v140
	s_waitcnt vmcnt(21)
	v_fma_f32 v83, v83, v143, -v123
	v_fmac_f32_e32 v82, v84, v143
	v_mul_f32_e32 v84, v88, v125
	s_waitcnt vmcnt(20)
	v_fma_f32 v85, v85, v144, -v124
	v_fmac_f32_e32 v165, v86, v144
	v_add_f32_e32 v83, 0, v83
	v_add_f32_e32 v82, 0, v82
	v_mul_f32_e32 v86, v90, v126
	s_waitcnt vmcnt(19)
	v_fma_f32 v84, v87, v145, -v84
	v_fmac_f32_e32 v166, v88, v145
	v_add_f32_e32 v83, v83, v85
	v_add_f32_e32 v82, v82, v165
	;; [unrolled: 6-line block ×16, first 2 shown]
	s_waitcnt lgkmcnt(0)
	v_mul_f32_e32 v86, v120, v141
	s_waitcnt vmcnt(4)
	v_fma_f32 v84, v117, v160, -v84
	v_mul_f32_e32 v182, v119, v141
	v_add_f32_e32 v83, v83, v85
	v_fmac_f32_e32 v181, v118, v160
	v_add_f32_e32 v82, v82, v180
	v_mul_f32_e32 v85, v122, v142
	s_waitcnt vmcnt(3)
	v_fma_f32 v86, v119, v161, -v86
	v_add_f32_e32 v83, v83, v84
	v_mul_f32_e32 v183, v121, v142
	v_fmac_f32_e32 v182, v120, v161
	v_add_f32_e32 v82, v82, v181
	s_waitcnt vmcnt(2)
	v_fma_f32 v84, v121, v162, -v85
	v_add_f32_e32 v83, v83, v86
	v_fmac_f32_e32 v183, v122, v162
	v_add_f32_e32 v82, v82, v182
	v_add_f32_e32 v83, v83, v84
	;; [unrolled: 1-line block ×3, first 2 shown]
	s_waitcnt vmcnt(1)
	v_sub_f32_e32 v83, v163, v83
	s_waitcnt vmcnt(0)
	v_sub_f32_e32 v82, v164, v82
	buffer_store_dword v83, off, s[0:3], 0 offset:152
	buffer_store_dword v82, off, s[0:3], 0 offset:156
	v_cmpx_lt_u32_e32 18, v0
	s_cbranch_execz .LBB39_217
; %bb.216:
	s_clause 0x1
	buffer_load_dword v82, off, s[0:3], 0 offset:144
	buffer_load_dword v83, off, s[0:3], 0 offset:148
	v_mov_b32_e32 v84, 0
	buffer_store_dword v84, off, s[0:3], 0 offset:144
	buffer_store_dword v84, off, s[0:3], 0 offset:148
	s_waitcnt vmcnt(0)
	ds_write_b64 v81, v[82:83]
.LBB39_217:
	s_or_b32 exec_lo, exec_lo, s4
	s_waitcnt lgkmcnt(0)
	s_waitcnt_vscnt null, 0x0
	s_barrier
	buffer_gl0_inv
	s_clause 0x2b
	buffer_load_dword v125, off, s[0:3], 0 offset:156
	buffer_load_dword v126, off, s[0:3], 0 offset:164
	;; [unrolled: 1-line block ×44, first 2 shown]
	v_mov_b32_e32 v82, 0
	ds_read2_b64 v[83:86], v82 offset0:59 offset1:60
	ds_read2_b64 v[87:90], v82 offset0:61 offset1:62
	;; [unrolled: 1-line block ×10, first 2 shown]
	ds_read_b64 v[123:124], v82 offset:632
	s_mov_b32 s4, exec_lo
	s_waitcnt vmcnt(43) lgkmcnt(10)
	v_mul_f32_e32 v169, v83, v125
	v_mul_f32_e32 v125, v84, v125
	s_waitcnt vmcnt(42)
	v_mul_f32_e32 v170, v85, v126
	v_mul_f32_e32 v126, v86, v126
	s_waitcnt vmcnt(41) lgkmcnt(9)
	v_mul_f32_e32 v171, v87, v127
	s_waitcnt vmcnt(40)
	v_mul_f32_e32 v172, v89, v128
	s_waitcnt vmcnt(39) lgkmcnt(8)
	v_mul_f32_e32 v173, v91, v129
	s_waitcnt vmcnt(38)
	;; [unrolled: 4-line block ×9, first 2 shown]
	v_fma_f32 v83, v83, v146, -v125
	v_fmac_f32_e32 v169, v84, v146
	v_mul_f32_e32 v84, v88, v127
	s_waitcnt vmcnt(21)
	v_fma_f32 v85, v85, v147, -v126
	v_fmac_f32_e32 v170, v86, v147
	v_add_f32_e32 v83, 0, v83
	v_add_f32_e32 v86, 0, v169
	v_mul_f32_e32 v125, v90, v128
	s_waitcnt vmcnt(20)
	v_fma_f32 v84, v87, v148, -v84
	v_fmac_f32_e32 v171, v88, v148
	v_add_f32_e32 v83, v83, v85
	v_add_f32_e32 v85, v86, v170
	v_mul_f32_e32 v86, v92, v129
	s_waitcnt vmcnt(19)
	v_fma_f32 v87, v89, v149, -v125
	v_fmac_f32_e32 v172, v90, v149
	v_add_f32_e32 v83, v83, v84
	v_add_f32_e32 v84, v85, v171
	v_mul_f32_e32 v85, v94, v130
	s_waitcnt vmcnt(18)
	v_fma_f32 v86, v91, v150, -v86
	v_fmac_f32_e32 v173, v92, v150
	v_add_f32_e32 v83, v83, v87
	v_add_f32_e32 v84, v84, v172
	v_mul_f32_e32 v87, v96, v131
	s_waitcnt vmcnt(17)
	v_fma_f32 v85, v93, v151, -v85
	v_fmac_f32_e32 v174, v94, v151
	v_add_f32_e32 v83, v83, v86
	v_add_f32_e32 v84, v84, v173
	v_mul_f32_e32 v86, v98, v132
	s_waitcnt vmcnt(16)
	v_fma_f32 v87, v95, v152, -v87
	v_fmac_f32_e32 v175, v96, v152
	v_add_f32_e32 v83, v83, v85
	v_add_f32_e32 v84, v84, v174
	v_mul_f32_e32 v85, v100, v133
	s_waitcnt vmcnt(15)
	v_fma_f32 v86, v97, v153, -v86
	v_fmac_f32_e32 v176, v98, v153
	v_add_f32_e32 v83, v83, v87
	v_add_f32_e32 v84, v84, v175
	v_mul_f32_e32 v87, v102, v134
	s_waitcnt vmcnt(14)
	v_fma_f32 v85, v99, v154, -v85
	v_fmac_f32_e32 v177, v100, v154
	v_add_f32_e32 v83, v83, v86
	v_add_f32_e32 v84, v84, v176
	v_mul_f32_e32 v86, v104, v135
	s_waitcnt vmcnt(13)
	v_fma_f32 v87, v101, v155, -v87
	v_fmac_f32_e32 v178, v102, v155
	v_add_f32_e32 v83, v83, v85
	v_add_f32_e32 v84, v84, v177
	v_mul_f32_e32 v85, v106, v136
	s_waitcnt vmcnt(12)
	v_fma_f32 v86, v103, v156, -v86
	v_fmac_f32_e32 v179, v104, v156
	v_add_f32_e32 v83, v83, v87
	v_add_f32_e32 v84, v84, v178
	v_mul_f32_e32 v87, v108, v137
	s_waitcnt vmcnt(11)
	v_fma_f32 v85, v105, v157, -v85
	v_fmac_f32_e32 v180, v106, v157
	v_add_f32_e32 v83, v83, v86
	v_add_f32_e32 v84, v84, v179
	v_mul_f32_e32 v86, v110, v138
	s_waitcnt vmcnt(10)
	v_fma_f32 v87, v107, v158, -v87
	v_fmac_f32_e32 v181, v108, v158
	v_add_f32_e32 v83, v83, v85
	v_add_f32_e32 v84, v84, v180
	v_mul_f32_e32 v85, v112, v139
	s_waitcnt vmcnt(9)
	v_fma_f32 v86, v109, v159, -v86
	v_fmac_f32_e32 v182, v110, v159
	v_add_f32_e32 v83, v83, v87
	v_add_f32_e32 v84, v84, v181
	v_mul_f32_e32 v87, v114, v140
	s_waitcnt vmcnt(8)
	v_fma_f32 v85, v111, v160, -v85
	v_fmac_f32_e32 v183, v112, v160
	v_add_f32_e32 v83, v83, v86
	v_add_f32_e32 v84, v84, v182
	v_mul_f32_e32 v86, v116, v141
	s_waitcnt vmcnt(7)
	v_fma_f32 v87, v113, v161, -v87
	v_fmac_f32_e32 v184, v114, v161
	v_add_f32_e32 v83, v83, v85
	v_add_f32_e32 v84, v84, v183
	v_mul_f32_e32 v85, v118, v142
	s_waitcnt vmcnt(6)
	v_fma_f32 v86, v115, v162, -v86
	v_fmac_f32_e32 v185, v116, v162
	v_add_f32_e32 v83, v83, v87
	v_add_f32_e32 v84, v84, v184
	v_mul_f32_e32 v87, v120, v143
	s_waitcnt vmcnt(5)
	v_fma_f32 v85, v117, v163, -v85
	v_fmac_f32_e32 v186, v118, v163
	v_add_f32_e32 v83, v83, v86
	v_add_f32_e32 v84, v84, v185
	v_mul_f32_e32 v86, v122, v144
	s_waitcnt vmcnt(4)
	v_fma_f32 v87, v119, v164, -v87
	v_mul_f32_e32 v188, v121, v144
	v_add_f32_e32 v83, v83, v85
	v_fmac_f32_e32 v187, v120, v164
	v_add_f32_e32 v84, v84, v186
	s_waitcnt lgkmcnt(0)
	v_mul_f32_e32 v85, v124, v145
	s_waitcnt vmcnt(3)
	v_fma_f32 v86, v121, v165, -v86
	v_add_f32_e32 v83, v83, v87
	v_mul_f32_e32 v189, v123, v145
	v_fmac_f32_e32 v188, v122, v165
	v_add_f32_e32 v84, v84, v187
	s_waitcnt vmcnt(2)
	v_fma_f32 v85, v123, v166, -v85
	v_add_f32_e32 v83, v83, v86
	v_fmac_f32_e32 v189, v124, v166
	v_add_f32_e32 v84, v84, v188
	v_add_f32_e32 v83, v83, v85
	;; [unrolled: 1-line block ×3, first 2 shown]
	s_waitcnt vmcnt(1)
	v_sub_f32_e32 v83, v167, v83
	s_waitcnt vmcnt(0)
	v_sub_f32_e32 v84, v168, v84
	buffer_store_dword v83, off, s[0:3], 0 offset:144
	buffer_store_dword v84, off, s[0:3], 0 offset:148
	v_cmpx_lt_u32_e32 17, v0
	s_cbranch_execz .LBB39_219
; %bb.218:
	s_clause 0x1
	buffer_load_dword v83, off, s[0:3], 0 offset:136
	buffer_load_dword v84, off, s[0:3], 0 offset:140
	buffer_store_dword v82, off, s[0:3], 0 offset:136
	buffer_store_dword v82, off, s[0:3], 0 offset:140
	s_waitcnt vmcnt(0)
	ds_write_b64 v81, v[83:84]
.LBB39_219:
	s_or_b32 exec_lo, exec_lo, s4
	s_waitcnt lgkmcnt(0)
	s_waitcnt_vscnt null, 0x0
	s_barrier
	buffer_gl0_inv
	s_clause 0x2d
	buffer_load_dword v127, off, s[0:3], 0 offset:148
	buffer_load_dword v128, off, s[0:3], 0 offset:156
	;; [unrolled: 1-line block ×46, first 2 shown]
	ds_read_b128 v[83:86], v82 offset:464
	ds_read_b128 v[87:90], v82 offset:480
	;; [unrolled: 1-line block ×11, first 2 shown]
	s_mov_b32 s4, exec_lo
	s_waitcnt vmcnt(45) lgkmcnt(10)
	v_mul_f32_e32 v82, v83, v127
	v_mul_f32_e32 v127, v84, v127
	s_waitcnt vmcnt(44)
	v_mul_f32_e32 v173, v85, v128
	v_mul_f32_e32 v128, v86, v128
	s_waitcnt vmcnt(43) lgkmcnt(9)
	v_mul_f32_e32 v174, v87, v129
	s_waitcnt vmcnt(42)
	v_mul_f32_e32 v175, v89, v130
	s_waitcnt vmcnt(41) lgkmcnt(8)
	v_mul_f32_e32 v176, v91, v131
	s_waitcnt vmcnt(40)
	;; [unrolled: 4-line block ×9, first 2 shown]
	v_mul_f32_e32 v191, v121, v146
	s_waitcnt vmcnt(23)
	v_fma_f32 v83, v83, v149, -v127
	v_fmac_f32_e32 v82, v84, v149
	v_mul_f32_e32 v84, v88, v129
	s_waitcnt vmcnt(22)
	v_fma_f32 v85, v85, v150, -v128
	v_fmac_f32_e32 v173, v86, v150
	v_add_f32_e32 v83, 0, v83
	v_add_f32_e32 v82, 0, v82
	v_mul_f32_e32 v86, v90, v130
	s_waitcnt vmcnt(21)
	v_fma_f32 v84, v87, v151, -v84
	v_fmac_f32_e32 v174, v88, v151
	v_add_f32_e32 v83, v83, v85
	v_add_f32_e32 v82, v82, v173
	;; [unrolled: 6-line block ×18, first 2 shown]
	s_waitcnt lgkmcnt(0)
	v_mul_f32_e32 v84, v124, v147
	s_waitcnt vmcnt(4)
	v_fma_f32 v85, v121, v168, -v85
	v_mul_f32_e32 v192, v123, v147
	v_add_f32_e32 v83, v83, v86
	v_fmac_f32_e32 v191, v122, v168
	v_add_f32_e32 v82, v82, v190
	v_mul_f32_e32 v86, v126, v148
	s_waitcnt vmcnt(3)
	v_fma_f32 v84, v123, v169, -v84
	v_add_f32_e32 v83, v83, v85
	v_mul_f32_e32 v193, v125, v148
	v_fmac_f32_e32 v192, v124, v169
	v_add_f32_e32 v82, v82, v191
	s_waitcnt vmcnt(2)
	v_fma_f32 v85, v125, v170, -v86
	v_add_f32_e32 v83, v83, v84
	v_fmac_f32_e32 v193, v126, v170
	v_add_f32_e32 v82, v82, v192
	v_add_f32_e32 v83, v83, v85
	;; [unrolled: 1-line block ×3, first 2 shown]
	s_waitcnt vmcnt(1)
	v_sub_f32_e32 v83, v171, v83
	s_waitcnt vmcnt(0)
	v_sub_f32_e32 v82, v172, v82
	buffer_store_dword v83, off, s[0:3], 0 offset:136
	buffer_store_dword v82, off, s[0:3], 0 offset:140
	v_cmpx_lt_u32_e32 16, v0
	s_cbranch_execz .LBB39_221
; %bb.220:
	s_clause 0x1
	buffer_load_dword v82, off, s[0:3], 0 offset:128
	buffer_load_dword v83, off, s[0:3], 0 offset:132
	v_mov_b32_e32 v84, 0
	buffer_store_dword v84, off, s[0:3], 0 offset:128
	buffer_store_dword v84, off, s[0:3], 0 offset:132
	s_waitcnt vmcnt(0)
	ds_write_b64 v81, v[82:83]
.LBB39_221:
	s_or_b32 exec_lo, exec_lo, s4
	s_waitcnt lgkmcnt(0)
	s_waitcnt_vscnt null, 0x0
	s_barrier
	buffer_gl0_inv
	s_clause 0x2f
	buffer_load_dword v129, off, s[0:3], 0 offset:140
	buffer_load_dword v130, off, s[0:3], 0 offset:148
	;; [unrolled: 1-line block ×48, first 2 shown]
	v_mov_b32_e32 v82, 0
	ds_read2_b64 v[83:86], v82 offset0:57 offset1:58
	ds_read2_b64 v[87:90], v82 offset0:59 offset1:60
	ds_read2_b64 v[91:94], v82 offset0:61 offset1:62
	ds_read2_b64 v[95:98], v82 offset0:63 offset1:64
	ds_read2_b64 v[99:102], v82 offset0:65 offset1:66
	ds_read2_b64 v[103:106], v82 offset0:67 offset1:68
	ds_read2_b64 v[107:110], v82 offset0:69 offset1:70
	ds_read2_b64 v[111:114], v82 offset0:71 offset1:72
	ds_read2_b64 v[115:118], v82 offset0:73 offset1:74
	ds_read2_b64 v[119:122], v82 offset0:75 offset1:76
	ds_read2_b64 v[123:126], v82 offset0:77 offset1:78
	ds_read_b64 v[127:128], v82 offset:632
	s_mov_b32 s4, exec_lo
	s_waitcnt vmcnt(47) lgkmcnt(11)
	v_mul_f32_e32 v177, v83, v129
	v_mul_f32_e32 v129, v84, v129
	s_waitcnt vmcnt(46)
	v_mul_f32_e32 v178, v85, v130
	v_mul_f32_e32 v130, v86, v130
	s_waitcnt vmcnt(45) lgkmcnt(10)
	v_mul_f32_e32 v179, v87, v131
	s_waitcnt vmcnt(44)
	v_mul_f32_e32 v180, v89, v132
	s_waitcnt vmcnt(43) lgkmcnt(9)
	v_mul_f32_e32 v181, v91, v133
	s_waitcnt vmcnt(42)
	v_mul_f32_e32 v182, v93, v134
	s_waitcnt vmcnt(41) lgkmcnt(8)
	v_mul_f32_e32 v183, v95, v135
	s_waitcnt vmcnt(40)
	v_mul_f32_e32 v184, v97, v136
	s_waitcnt vmcnt(39) lgkmcnt(7)
	v_mul_f32_e32 v185, v99, v137
	s_waitcnt vmcnt(38)
	v_mul_f32_e32 v186, v101, v138
	s_waitcnt vmcnt(37) lgkmcnt(6)
	v_mul_f32_e32 v187, v103, v139
	s_waitcnt vmcnt(36)
	v_mul_f32_e32 v188, v105, v140
	s_waitcnt vmcnt(35) lgkmcnt(5)
	v_mul_f32_e32 v189, v107, v141
	s_waitcnt vmcnt(34)
	v_mul_f32_e32 v190, v109, v142
	s_waitcnt vmcnt(33) lgkmcnt(4)
	v_mul_f32_e32 v191, v111, v143
	s_waitcnt vmcnt(32)
	v_mul_f32_e32 v192, v113, v144
	s_waitcnt vmcnt(31) lgkmcnt(3)
	v_mul_f32_e32 v193, v115, v145
	s_waitcnt vmcnt(30)
	v_mul_f32_e32 v194, v117, v146
	s_waitcnt vmcnt(29) lgkmcnt(2)
	v_mul_f32_e32 v195, v119, v147
	s_waitcnt vmcnt(28)
	v_mul_f32_e32 v196, v121, v148
	s_waitcnt vmcnt(27) lgkmcnt(1)
	v_mul_f32_e32 v197, v123, v149
	s_waitcnt vmcnt(24)
	v_fma_f32 v83, v83, v152, -v129
	v_fmac_f32_e32 v177, v84, v152
	v_mul_f32_e32 v84, v88, v131
	s_waitcnt vmcnt(23)
	v_fma_f32 v85, v85, v153, -v130
	v_fmac_f32_e32 v178, v86, v153
	v_add_f32_e32 v83, 0, v83
	v_add_f32_e32 v86, 0, v177
	v_mul_f32_e32 v129, v90, v132
	s_waitcnt vmcnt(22)
	v_fma_f32 v84, v87, v154, -v84
	v_fmac_f32_e32 v179, v88, v154
	v_add_f32_e32 v83, v83, v85
	v_add_f32_e32 v85, v86, v178
	;; [unrolled: 6-line block ×19, first 2 shown]
	v_mul_f32_e32 v87, v126, v150
	s_waitcnt vmcnt(4)
	v_fma_f32 v85, v123, v172, -v85
	v_mul_f32_e32 v198, v125, v150
	v_add_f32_e32 v83, v83, v86
	v_fmac_f32_e32 v197, v124, v172
	v_add_f32_e32 v84, v84, v196
	s_waitcnt lgkmcnt(0)
	v_mul_f32_e32 v86, v128, v151
	s_waitcnt vmcnt(3)
	v_fma_f32 v87, v125, v173, -v87
	v_add_f32_e32 v83, v83, v85
	v_mul_f32_e32 v199, v127, v151
	v_fmac_f32_e32 v198, v126, v173
	v_add_f32_e32 v84, v84, v197
	s_waitcnt vmcnt(2)
	v_fma_f32 v85, v127, v174, -v86
	v_add_f32_e32 v83, v83, v87
	v_fmac_f32_e32 v199, v128, v174
	v_add_f32_e32 v84, v84, v198
	v_add_f32_e32 v83, v83, v85
	;; [unrolled: 1-line block ×3, first 2 shown]
	s_waitcnt vmcnt(1)
	v_sub_f32_e32 v83, v175, v83
	s_waitcnt vmcnt(0)
	v_sub_f32_e32 v84, v176, v84
	buffer_store_dword v83, off, s[0:3], 0 offset:128
	buffer_store_dword v84, off, s[0:3], 0 offset:132
	v_cmpx_lt_u32_e32 15, v0
	s_cbranch_execz .LBB39_223
; %bb.222:
	s_clause 0x1
	buffer_load_dword v83, off, s[0:3], 0 offset:120
	buffer_load_dword v84, off, s[0:3], 0 offset:124
	buffer_store_dword v82, off, s[0:3], 0 offset:120
	buffer_store_dword v82, off, s[0:3], 0 offset:124
	s_waitcnt vmcnt(0)
	ds_write_b64 v81, v[83:84]
.LBB39_223:
	s_or_b32 exec_lo, exec_lo, s4
	s_waitcnt lgkmcnt(0)
	s_waitcnt_vscnt null, 0x0
	s_barrier
	buffer_gl0_inv
	s_clause 0x31
	buffer_load_dword v131, off, s[0:3], 0 offset:132
	buffer_load_dword v132, off, s[0:3], 0 offset:140
	;; [unrolled: 1-line block ×50, first 2 shown]
	ds_read_b128 v[83:86], v82 offset:448
	ds_read_b128 v[87:90], v82 offset:464
	;; [unrolled: 1-line block ×12, first 2 shown]
	s_mov_b32 s4, exec_lo
	s_waitcnt vmcnt(49) lgkmcnt(11)
	v_mul_f32_e32 v82, v83, v131
	v_mul_f32_e32 v131, v84, v131
	s_waitcnt vmcnt(48)
	v_mul_f32_e32 v181, v85, v132
	v_mul_f32_e32 v132, v86, v132
	s_waitcnt vmcnt(47) lgkmcnt(10)
	v_mul_f32_e32 v182, v87, v133
	s_waitcnt vmcnt(46)
	v_mul_f32_e32 v183, v89, v134
	s_waitcnt vmcnt(45) lgkmcnt(9)
	v_mul_f32_e32 v184, v91, v135
	s_waitcnt vmcnt(44)
	;; [unrolled: 4-line block ×10, first 2 shown]
	v_mul_f32_e32 v201, v125, v152
	s_waitcnt vmcnt(25)
	v_fma_f32 v83, v83, v155, -v131
	v_fmac_f32_e32 v82, v84, v155
	v_mul_f32_e32 v84, v88, v133
	s_waitcnt vmcnt(24)
	v_fma_f32 v85, v85, v156, -v132
	v_fmac_f32_e32 v181, v86, v156
	v_add_f32_e32 v83, 0, v83
	v_add_f32_e32 v82, 0, v82
	v_mul_f32_e32 v86, v90, v134
	s_waitcnt vmcnt(23)
	v_fma_f32 v84, v87, v157, -v84
	v_fmac_f32_e32 v182, v88, v157
	v_add_f32_e32 v83, v83, v85
	v_add_f32_e32 v82, v82, v181
	;; [unrolled: 6-line block ×20, first 2 shown]
	s_waitcnt lgkmcnt(0)
	v_mul_f32_e32 v85, v128, v153
	s_waitcnt vmcnt(4)
	v_fma_f32 v86, v125, v176, -v86
	v_mul_f32_e32 v202, v127, v153
	v_add_f32_e32 v83, v83, v84
	v_fmac_f32_e32 v201, v126, v176
	v_add_f32_e32 v82, v82, v200
	v_mul_f32_e32 v84, v130, v154
	s_waitcnt vmcnt(3)
	v_fma_f32 v85, v127, v177, -v85
	v_add_f32_e32 v83, v83, v86
	v_mul_f32_e32 v203, v129, v154
	v_fmac_f32_e32 v202, v128, v177
	v_add_f32_e32 v82, v82, v201
	s_waitcnt vmcnt(2)
	v_fma_f32 v84, v129, v178, -v84
	v_add_f32_e32 v83, v83, v85
	v_fmac_f32_e32 v203, v130, v178
	v_add_f32_e32 v82, v82, v202
	v_add_f32_e32 v83, v83, v84
	;; [unrolled: 1-line block ×3, first 2 shown]
	s_waitcnt vmcnt(1)
	v_sub_f32_e32 v83, v179, v83
	s_waitcnt vmcnt(0)
	v_sub_f32_e32 v82, v180, v82
	buffer_store_dword v83, off, s[0:3], 0 offset:120
	buffer_store_dword v82, off, s[0:3], 0 offset:124
	v_cmpx_lt_u32_e32 14, v0
	s_cbranch_execz .LBB39_225
; %bb.224:
	s_clause 0x1
	buffer_load_dword v82, off, s[0:3], 0 offset:112
	buffer_load_dword v83, off, s[0:3], 0 offset:116
	v_mov_b32_e32 v84, 0
	buffer_store_dword v84, off, s[0:3], 0 offset:112
	buffer_store_dword v84, off, s[0:3], 0 offset:116
	s_waitcnt vmcnt(0)
	ds_write_b64 v81, v[82:83]
.LBB39_225:
	s_or_b32 exec_lo, exec_lo, s4
	s_waitcnt lgkmcnt(0)
	s_waitcnt_vscnt null, 0x0
	s_barrier
	buffer_gl0_inv
	s_clause 0x33
	buffer_load_dword v133, off, s[0:3], 0 offset:124
	buffer_load_dword v134, off, s[0:3], 0 offset:132
	;; [unrolled: 1-line block ×52, first 2 shown]
	v_mov_b32_e32 v82, 0
	ds_read2_b64 v[83:86], v82 offset0:55 offset1:56
	ds_read2_b64 v[87:90], v82 offset0:57 offset1:58
	;; [unrolled: 1-line block ×12, first 2 shown]
	ds_read_b64 v[131:132], v82 offset:632
	s_mov_b32 s4, exec_lo
	s_waitcnt vmcnt(51) lgkmcnt(12)
	v_mul_f32_e32 v185, v83, v133
	v_mul_f32_e32 v133, v84, v133
	s_waitcnt vmcnt(50)
	v_mul_f32_e32 v186, v85, v134
	v_mul_f32_e32 v134, v86, v134
	s_waitcnt vmcnt(49) lgkmcnt(11)
	v_mul_f32_e32 v187, v87, v135
	s_waitcnt vmcnt(48)
	v_mul_f32_e32 v188, v89, v136
	s_waitcnt vmcnt(47) lgkmcnt(10)
	v_mul_f32_e32 v189, v91, v137
	s_waitcnt vmcnt(46)
	;; [unrolled: 4-line block ×11, first 2 shown]
	v_fma_f32 v83, v83, v158, -v133
	v_fmac_f32_e32 v185, v84, v158
	v_mul_f32_e32 v84, v88, v135
	s_waitcnt vmcnt(25)
	v_fma_f32 v85, v85, v159, -v134
	v_fmac_f32_e32 v186, v86, v159
	v_add_f32_e32 v83, 0, v83
	v_add_f32_e32 v86, 0, v185
	v_mul_f32_e32 v133, v90, v136
	s_waitcnt vmcnt(24)
	v_fma_f32 v84, v87, v160, -v84
	v_fmac_f32_e32 v187, v88, v160
	v_add_f32_e32 v83, v83, v85
	v_add_f32_e32 v85, v86, v186
	;; [unrolled: 6-line block ×21, first 2 shown]
	v_mul_f32_e32 v85, v130, v156
	s_waitcnt vmcnt(4)
	v_fma_f32 v86, v127, v180, -v86
	v_mul_f32_e32 v208, v129, v156
	v_add_f32_e32 v83, v83, v87
	v_fmac_f32_e32 v207, v128, v180
	v_add_f32_e32 v84, v84, v206
	s_waitcnt lgkmcnt(0)
	v_mul_f32_e32 v87, v132, v157
	s_waitcnt vmcnt(3)
	v_fma_f32 v85, v129, v181, -v85
	v_add_f32_e32 v83, v83, v86
	v_mul_f32_e32 v209, v131, v157
	v_fmac_f32_e32 v208, v130, v181
	v_add_f32_e32 v84, v84, v207
	s_waitcnt vmcnt(2)
	v_fma_f32 v86, v131, v182, -v87
	v_add_f32_e32 v83, v83, v85
	v_fmac_f32_e32 v209, v132, v182
	v_add_f32_e32 v84, v84, v208
	v_add_f32_e32 v83, v83, v86
	;; [unrolled: 1-line block ×3, first 2 shown]
	s_waitcnt vmcnt(1)
	v_sub_f32_e32 v83, v183, v83
	s_waitcnt vmcnt(0)
	v_sub_f32_e32 v84, v184, v84
	buffer_store_dword v83, off, s[0:3], 0 offset:112
	buffer_store_dword v84, off, s[0:3], 0 offset:116
	v_cmpx_lt_u32_e32 13, v0
	s_cbranch_execz .LBB39_227
; %bb.226:
	s_clause 0x1
	buffer_load_dword v83, off, s[0:3], 0 offset:104
	buffer_load_dword v84, off, s[0:3], 0 offset:108
	buffer_store_dword v82, off, s[0:3], 0 offset:104
	buffer_store_dword v82, off, s[0:3], 0 offset:108
	s_waitcnt vmcnt(0)
	ds_write_b64 v81, v[83:84]
.LBB39_227:
	s_or_b32 exec_lo, exec_lo, s4
	s_waitcnt lgkmcnt(0)
	s_waitcnt_vscnt null, 0x0
	s_barrier
	buffer_gl0_inv
	s_clause 0x35
	buffer_load_dword v135, off, s[0:3], 0 offset:116
	buffer_load_dword v136, off, s[0:3], 0 offset:124
	;; [unrolled: 1-line block ×54, first 2 shown]
	ds_read_b128 v[83:86], v82 offset:432
	ds_read_b128 v[87:90], v82 offset:448
	;; [unrolled: 1-line block ×13, first 2 shown]
	s_mov_b32 s4, exec_lo
	s_waitcnt vmcnt(53) lgkmcnt(12)
	v_mul_f32_e32 v82, v83, v135
	v_mul_f32_e32 v135, v84, v135
	s_waitcnt vmcnt(52)
	v_mul_f32_e32 v189, v85, v136
	v_mul_f32_e32 v136, v86, v136
	s_waitcnt vmcnt(51) lgkmcnt(11)
	v_mul_f32_e32 v190, v87, v137
	s_waitcnt vmcnt(50)
	v_mul_f32_e32 v191, v89, v138
	s_waitcnt vmcnt(49) lgkmcnt(10)
	v_mul_f32_e32 v192, v91, v139
	s_waitcnt vmcnt(48)
	;; [unrolled: 4-line block ×11, first 2 shown]
	v_mul_f32_e32 v211, v129, v158
	s_waitcnt vmcnt(27)
	v_fma_f32 v83, v83, v161, -v135
	v_fmac_f32_e32 v82, v84, v161
	v_mul_f32_e32 v84, v88, v137
	s_waitcnt vmcnt(26)
	v_fma_f32 v85, v85, v162, -v136
	v_fmac_f32_e32 v189, v86, v162
	v_add_f32_e32 v83, 0, v83
	v_add_f32_e32 v82, 0, v82
	v_mul_f32_e32 v86, v90, v138
	s_waitcnt vmcnt(25)
	v_fma_f32 v84, v87, v163, -v84
	v_fmac_f32_e32 v190, v88, v163
	v_add_f32_e32 v83, v83, v85
	v_add_f32_e32 v82, v82, v189
	v_mul_f32_e32 v85, v92, v139
	s_waitcnt vmcnt(24)
	v_fma_f32 v86, v89, v164, -v86
	v_fmac_f32_e32 v191, v90, v164
	v_add_f32_e32 v83, v83, v84
	v_add_f32_e32 v82, v82, v190
	v_mul_f32_e32 v84, v94, v140
	s_waitcnt vmcnt(23)
	v_fma_f32 v85, v91, v165, -v85
	v_fmac_f32_e32 v192, v92, v165
	v_add_f32_e32 v83, v83, v86
	v_add_f32_e32 v82, v82, v191
	v_mul_f32_e32 v86, v96, v141
	s_waitcnt vmcnt(22)
	v_fma_f32 v84, v93, v166, -v84
	v_fmac_f32_e32 v193, v94, v166
	v_add_f32_e32 v83, v83, v85
	v_add_f32_e32 v82, v82, v192
	v_mul_f32_e32 v85, v98, v142
	s_waitcnt vmcnt(21)
	v_fma_f32 v86, v95, v167, -v86
	v_fmac_f32_e32 v194, v96, v167
	v_add_f32_e32 v83, v83, v84
	v_add_f32_e32 v82, v82, v193
	v_mul_f32_e32 v84, v100, v143
	s_waitcnt vmcnt(20)
	v_fma_f32 v85, v97, v168, -v85
	v_fmac_f32_e32 v195, v98, v168
	v_add_f32_e32 v83, v83, v86
	v_add_f32_e32 v82, v82, v194
	v_mul_f32_e32 v86, v102, v144
	s_waitcnt vmcnt(19)
	v_fma_f32 v84, v99, v169, -v84
	v_fmac_f32_e32 v196, v100, v169
	v_add_f32_e32 v83, v83, v85
	v_add_f32_e32 v82, v82, v195
	v_mul_f32_e32 v85, v104, v145
	s_waitcnt vmcnt(18)
	v_fma_f32 v86, v101, v170, -v86
	v_fmac_f32_e32 v197, v102, v170
	v_add_f32_e32 v83, v83, v84
	v_add_f32_e32 v82, v82, v196
	v_mul_f32_e32 v84, v106, v146
	s_waitcnt vmcnt(17)
	v_fma_f32 v85, v103, v171, -v85
	v_fmac_f32_e32 v198, v104, v171
	v_add_f32_e32 v83, v83, v86
	v_add_f32_e32 v82, v82, v197
	v_mul_f32_e32 v86, v108, v147
	s_waitcnt vmcnt(16)
	v_fma_f32 v84, v105, v172, -v84
	v_fmac_f32_e32 v199, v106, v172
	v_add_f32_e32 v83, v83, v85
	v_add_f32_e32 v82, v82, v198
	v_mul_f32_e32 v85, v110, v148
	s_waitcnt vmcnt(15)
	v_fma_f32 v86, v107, v173, -v86
	v_fmac_f32_e32 v200, v108, v173
	v_add_f32_e32 v83, v83, v84
	v_add_f32_e32 v82, v82, v199
	v_mul_f32_e32 v84, v112, v149
	s_waitcnt vmcnt(14)
	v_fma_f32 v85, v109, v174, -v85
	v_fmac_f32_e32 v201, v110, v174
	v_add_f32_e32 v83, v83, v86
	v_add_f32_e32 v82, v82, v200
	v_mul_f32_e32 v86, v114, v150
	s_waitcnt vmcnt(13)
	v_fma_f32 v84, v111, v175, -v84
	v_fmac_f32_e32 v202, v112, v175
	v_add_f32_e32 v83, v83, v85
	v_add_f32_e32 v82, v82, v201
	v_mul_f32_e32 v85, v116, v151
	s_waitcnt vmcnt(12)
	v_fma_f32 v86, v113, v176, -v86
	v_fmac_f32_e32 v203, v114, v176
	v_add_f32_e32 v83, v83, v84
	v_add_f32_e32 v82, v82, v202
	v_mul_f32_e32 v84, v118, v152
	s_waitcnt vmcnt(11)
	v_fma_f32 v85, v115, v177, -v85
	v_fmac_f32_e32 v204, v116, v177
	v_add_f32_e32 v83, v83, v86
	v_add_f32_e32 v82, v82, v203
	v_mul_f32_e32 v86, v120, v153
	s_waitcnt vmcnt(10)
	v_fma_f32 v84, v117, v178, -v84
	v_fmac_f32_e32 v205, v118, v178
	v_add_f32_e32 v83, v83, v85
	v_add_f32_e32 v82, v82, v204
	v_mul_f32_e32 v85, v122, v154
	s_waitcnt vmcnt(9)
	v_fma_f32 v86, v119, v179, -v86
	v_fmac_f32_e32 v206, v120, v179
	v_add_f32_e32 v83, v83, v84
	v_add_f32_e32 v82, v82, v205
	v_mul_f32_e32 v84, v124, v155
	s_waitcnt vmcnt(8)
	v_fma_f32 v85, v121, v180, -v85
	v_fmac_f32_e32 v207, v122, v180
	v_add_f32_e32 v83, v83, v86
	v_add_f32_e32 v82, v82, v206
	v_mul_f32_e32 v86, v126, v156
	s_waitcnt vmcnt(7)
	v_fma_f32 v84, v123, v181, -v84
	v_fmac_f32_e32 v208, v124, v181
	v_add_f32_e32 v83, v83, v85
	v_add_f32_e32 v82, v82, v207
	v_mul_f32_e32 v85, v128, v157
	s_waitcnt vmcnt(6)
	v_fma_f32 v86, v125, v182, -v86
	v_fmac_f32_e32 v209, v126, v182
	v_add_f32_e32 v83, v83, v84
	v_add_f32_e32 v82, v82, v208
	v_mul_f32_e32 v84, v130, v158
	s_waitcnt vmcnt(5)
	v_fma_f32 v85, v127, v183, -v85
	v_fmac_f32_e32 v210, v128, v183
	v_add_f32_e32 v83, v83, v86
	v_add_f32_e32 v82, v82, v209
	s_waitcnt lgkmcnt(0)
	v_mul_f32_e32 v86, v132, v159
	s_waitcnt vmcnt(4)
	v_fma_f32 v84, v129, v184, -v84
	v_mul_f32_e32 v212, v131, v159
	v_add_f32_e32 v83, v83, v85
	v_fmac_f32_e32 v211, v130, v184
	v_add_f32_e32 v82, v82, v210
	v_mul_f32_e32 v85, v134, v160
	s_waitcnt vmcnt(3)
	v_fma_f32 v86, v131, v185, -v86
	v_add_f32_e32 v83, v83, v84
	v_mul_f32_e32 v213, v133, v160
	v_fmac_f32_e32 v212, v132, v185
	v_add_f32_e32 v82, v82, v211
	s_waitcnt vmcnt(2)
	v_fma_f32 v84, v133, v186, -v85
	v_add_f32_e32 v83, v83, v86
	v_fmac_f32_e32 v213, v134, v186
	v_add_f32_e32 v82, v82, v212
	v_add_f32_e32 v83, v83, v84
	;; [unrolled: 1-line block ×3, first 2 shown]
	s_waitcnt vmcnt(1)
	v_sub_f32_e32 v83, v187, v83
	s_waitcnt vmcnt(0)
	v_sub_f32_e32 v82, v188, v82
	buffer_store_dword v83, off, s[0:3], 0 offset:104
	buffer_store_dword v82, off, s[0:3], 0 offset:108
	v_cmpx_lt_u32_e32 12, v0
	s_cbranch_execz .LBB39_229
; %bb.228:
	s_clause 0x1
	buffer_load_dword v82, off, s[0:3], 0 offset:96
	buffer_load_dword v83, off, s[0:3], 0 offset:100
	v_mov_b32_e32 v84, 0
	buffer_store_dword v84, off, s[0:3], 0 offset:96
	buffer_store_dword v84, off, s[0:3], 0 offset:100
	s_waitcnt vmcnt(0)
	ds_write_b64 v81, v[82:83]
.LBB39_229:
	s_or_b32 exec_lo, exec_lo, s4
	s_waitcnt lgkmcnt(0)
	s_waitcnt_vscnt null, 0x0
	s_barrier
	buffer_gl0_inv
	s_clause 0x37
	buffer_load_dword v137, off, s[0:3], 0 offset:108
	buffer_load_dword v138, off, s[0:3], 0 offset:116
	;; [unrolled: 1-line block ×56, first 2 shown]
	v_mov_b32_e32 v82, 0
	ds_read2_b64 v[83:86], v82 offset0:53 offset1:54
	ds_read2_b64 v[87:90], v82 offset0:55 offset1:56
	;; [unrolled: 1-line block ×13, first 2 shown]
	ds_read_b64 v[135:136], v82 offset:632
	s_mov_b32 s4, exec_lo
	s_waitcnt vmcnt(55) lgkmcnt(13)
	v_mul_f32_e32 v193, v83, v137
	v_mul_f32_e32 v137, v84, v137
	s_waitcnt vmcnt(54)
	v_mul_f32_e32 v194, v85, v138
	v_mul_f32_e32 v138, v86, v138
	s_waitcnt vmcnt(53) lgkmcnt(12)
	v_mul_f32_e32 v195, v87, v139
	s_waitcnt vmcnt(52)
	v_mul_f32_e32 v196, v89, v140
	s_waitcnt vmcnt(51) lgkmcnt(11)
	v_mul_f32_e32 v197, v91, v141
	s_waitcnt vmcnt(50)
	;; [unrolled: 4-line block ×12, first 2 shown]
	v_fma_f32 v83, v83, v164, -v137
	v_fmac_f32_e32 v193, v84, v164
	v_mul_f32_e32 v84, v88, v139
	s_waitcnt vmcnt(27)
	v_fma_f32 v85, v85, v165, -v138
	v_fmac_f32_e32 v194, v86, v165
	v_add_f32_e32 v83, 0, v83
	v_add_f32_e32 v86, 0, v193
	v_mul_f32_e32 v137, v90, v140
	s_waitcnt vmcnt(26)
	v_fma_f32 v84, v87, v166, -v84
	v_fmac_f32_e32 v195, v88, v166
	v_add_f32_e32 v83, v83, v85
	v_add_f32_e32 v85, v86, v194
	v_mul_f32_e32 v86, v92, v141
	s_waitcnt vmcnt(25)
	v_fma_f32 v87, v89, v167, -v137
	v_fmac_f32_e32 v196, v90, v167
	v_add_f32_e32 v83, v83, v84
	v_add_f32_e32 v84, v85, v195
	v_mul_f32_e32 v85, v94, v142
	s_waitcnt vmcnt(24)
	v_fma_f32 v86, v91, v168, -v86
	v_fmac_f32_e32 v197, v92, v168
	v_add_f32_e32 v83, v83, v87
	v_add_f32_e32 v84, v84, v196
	v_mul_f32_e32 v87, v96, v143
	s_waitcnt vmcnt(23)
	v_fma_f32 v85, v93, v169, -v85
	v_fmac_f32_e32 v198, v94, v169
	v_add_f32_e32 v83, v83, v86
	v_add_f32_e32 v84, v84, v197
	v_mul_f32_e32 v86, v98, v144
	s_waitcnt vmcnt(22)
	v_fma_f32 v87, v95, v170, -v87
	v_fmac_f32_e32 v199, v96, v170
	v_add_f32_e32 v83, v83, v85
	v_add_f32_e32 v84, v84, v198
	v_mul_f32_e32 v85, v100, v145
	s_waitcnt vmcnt(21)
	v_fma_f32 v86, v97, v171, -v86
	v_fmac_f32_e32 v200, v98, v171
	v_add_f32_e32 v83, v83, v87
	v_add_f32_e32 v84, v84, v199
	v_mul_f32_e32 v87, v102, v146
	s_waitcnt vmcnt(20)
	v_fma_f32 v85, v99, v172, -v85
	v_fmac_f32_e32 v201, v100, v172
	v_add_f32_e32 v83, v83, v86
	v_add_f32_e32 v84, v84, v200
	v_mul_f32_e32 v86, v104, v147
	s_waitcnt vmcnt(19)
	v_fma_f32 v87, v101, v173, -v87
	v_fmac_f32_e32 v202, v102, v173
	v_add_f32_e32 v83, v83, v85
	v_add_f32_e32 v84, v84, v201
	v_mul_f32_e32 v85, v106, v148
	s_waitcnt vmcnt(18)
	v_fma_f32 v86, v103, v174, -v86
	v_fmac_f32_e32 v203, v104, v174
	v_add_f32_e32 v83, v83, v87
	v_add_f32_e32 v84, v84, v202
	v_mul_f32_e32 v87, v108, v149
	s_waitcnt vmcnt(17)
	v_fma_f32 v85, v105, v175, -v85
	v_fmac_f32_e32 v204, v106, v175
	v_add_f32_e32 v83, v83, v86
	v_add_f32_e32 v84, v84, v203
	v_mul_f32_e32 v86, v110, v150
	s_waitcnt vmcnt(16)
	v_fma_f32 v87, v107, v176, -v87
	v_fmac_f32_e32 v205, v108, v176
	v_add_f32_e32 v83, v83, v85
	v_add_f32_e32 v84, v84, v204
	v_mul_f32_e32 v85, v112, v151
	s_waitcnt vmcnt(15)
	v_fma_f32 v86, v109, v177, -v86
	v_fmac_f32_e32 v206, v110, v177
	v_add_f32_e32 v83, v83, v87
	v_add_f32_e32 v84, v84, v205
	v_mul_f32_e32 v87, v114, v152
	s_waitcnt vmcnt(14)
	v_fma_f32 v85, v111, v178, -v85
	v_fmac_f32_e32 v207, v112, v178
	v_add_f32_e32 v83, v83, v86
	v_add_f32_e32 v84, v84, v206
	v_mul_f32_e32 v86, v116, v153
	s_waitcnt vmcnt(13)
	v_fma_f32 v87, v113, v179, -v87
	v_fmac_f32_e32 v208, v114, v179
	v_add_f32_e32 v83, v83, v85
	v_add_f32_e32 v84, v84, v207
	v_mul_f32_e32 v85, v118, v154
	s_waitcnt vmcnt(12)
	v_fma_f32 v86, v115, v180, -v86
	v_fmac_f32_e32 v209, v116, v180
	v_add_f32_e32 v83, v83, v87
	v_add_f32_e32 v84, v84, v208
	v_mul_f32_e32 v87, v120, v155
	s_waitcnt vmcnt(11)
	v_fma_f32 v85, v117, v181, -v85
	v_fmac_f32_e32 v210, v118, v181
	v_add_f32_e32 v83, v83, v86
	v_add_f32_e32 v84, v84, v209
	v_mul_f32_e32 v86, v122, v156
	s_waitcnt vmcnt(10)
	v_fma_f32 v87, v119, v182, -v87
	v_fmac_f32_e32 v211, v120, v182
	v_add_f32_e32 v83, v83, v85
	v_add_f32_e32 v84, v84, v210
	v_mul_f32_e32 v85, v124, v157
	s_waitcnt vmcnt(9)
	v_fma_f32 v86, v121, v183, -v86
	v_fmac_f32_e32 v212, v122, v183
	v_add_f32_e32 v83, v83, v87
	v_add_f32_e32 v84, v84, v211
	v_mul_f32_e32 v87, v126, v158
	s_waitcnt vmcnt(8)
	v_fma_f32 v85, v123, v184, -v85
	v_fmac_f32_e32 v213, v124, v184
	v_add_f32_e32 v83, v83, v86
	v_add_f32_e32 v84, v84, v212
	v_mul_f32_e32 v86, v128, v159
	s_waitcnt vmcnt(7)
	v_fma_f32 v87, v125, v185, -v87
	v_fmac_f32_e32 v214, v126, v185
	v_add_f32_e32 v83, v83, v85
	v_add_f32_e32 v84, v84, v213
	v_mul_f32_e32 v85, v130, v160
	s_waitcnt vmcnt(6)
	v_fma_f32 v86, v127, v186, -v86
	v_fmac_f32_e32 v215, v128, v186
	v_add_f32_e32 v83, v83, v87
	v_add_f32_e32 v84, v84, v214
	v_mul_f32_e32 v87, v132, v161
	s_waitcnt vmcnt(5)
	v_fma_f32 v85, v129, v187, -v85
	v_fmac_f32_e32 v216, v130, v187
	v_add_f32_e32 v83, v83, v86
	v_add_f32_e32 v84, v84, v215
	v_mul_f32_e32 v86, v134, v162
	s_waitcnt vmcnt(4)
	v_fma_f32 v87, v131, v188, -v87
	v_mul_f32_e32 v218, v133, v162
	v_add_f32_e32 v83, v83, v85
	v_fmac_f32_e32 v217, v132, v188
	v_add_f32_e32 v84, v84, v216
	s_waitcnt lgkmcnt(0)
	v_mul_f32_e32 v85, v136, v163
	s_waitcnt vmcnt(3)
	v_fma_f32 v86, v133, v189, -v86
	v_add_f32_e32 v83, v83, v87
	v_mul_f32_e32 v219, v135, v163
	v_fmac_f32_e32 v218, v134, v189
	v_add_f32_e32 v84, v84, v217
	s_waitcnt vmcnt(2)
	v_fma_f32 v85, v135, v190, -v85
	v_add_f32_e32 v83, v83, v86
	v_fmac_f32_e32 v219, v136, v190
	v_add_f32_e32 v84, v84, v218
	v_add_f32_e32 v83, v83, v85
	;; [unrolled: 1-line block ×3, first 2 shown]
	s_waitcnt vmcnt(1)
	v_sub_f32_e32 v83, v191, v83
	s_waitcnt vmcnt(0)
	v_sub_f32_e32 v84, v192, v84
	buffer_store_dword v83, off, s[0:3], 0 offset:96
	buffer_store_dword v84, off, s[0:3], 0 offset:100
	v_cmpx_lt_u32_e32 11, v0
	s_cbranch_execz .LBB39_231
; %bb.230:
	s_clause 0x1
	buffer_load_dword v83, off, s[0:3], 0 offset:88
	buffer_load_dword v84, off, s[0:3], 0 offset:92
	buffer_store_dword v82, off, s[0:3], 0 offset:88
	buffer_store_dword v82, off, s[0:3], 0 offset:92
	s_waitcnt vmcnt(0)
	ds_write_b64 v81, v[83:84]
.LBB39_231:
	s_or_b32 exec_lo, exec_lo, s4
	s_waitcnt lgkmcnt(0)
	s_waitcnt_vscnt null, 0x0
	s_barrier
	buffer_gl0_inv
	s_clause 0x39
	buffer_load_dword v139, off, s[0:3], 0 offset:100
	buffer_load_dword v140, off, s[0:3], 0 offset:108
	;; [unrolled: 1-line block ×58, first 2 shown]
	ds_read_b128 v[83:86], v82 offset:416
	ds_read_b128 v[87:90], v82 offset:432
	ds_read_b128 v[91:94], v82 offset:448
	ds_read_b128 v[95:98], v82 offset:464
	ds_read_b128 v[99:102], v82 offset:480
	ds_read_b128 v[103:106], v82 offset:496
	ds_read_b128 v[107:110], v82 offset:512
	ds_read_b128 v[111:114], v82 offset:528
	ds_read_b128 v[115:118], v82 offset:544
	ds_read_b128 v[119:122], v82 offset:560
	ds_read_b128 v[123:126], v82 offset:576
	ds_read_b128 v[127:130], v82 offset:592
	ds_read_b128 v[131:134], v82 offset:608
	ds_read_b128 v[135:138], v82 offset:624
	s_mov_b32 s4, exec_lo
	s_waitcnt vmcnt(57) lgkmcnt(13)
	v_mul_f32_e32 v82, v83, v139
	v_mul_f32_e32 v139, v84, v139
	s_waitcnt vmcnt(56)
	v_mul_f32_e32 v197, v85, v140
	v_mul_f32_e32 v140, v86, v140
	s_waitcnt vmcnt(55) lgkmcnt(12)
	v_mul_f32_e32 v198, v87, v141
	s_waitcnt vmcnt(54)
	v_mul_f32_e32 v199, v89, v142
	s_waitcnt vmcnt(53) lgkmcnt(11)
	v_mul_f32_e32 v200, v91, v143
	s_waitcnt vmcnt(52)
	;; [unrolled: 4-line block ×12, first 2 shown]
	v_mul_f32_e32 v221, v133, v164
	s_waitcnt vmcnt(29)
	v_fma_f32 v83, v83, v167, -v139
	v_fmac_f32_e32 v82, v84, v167
	v_mul_f32_e32 v84, v88, v141
	s_waitcnt vmcnt(28)
	v_fma_f32 v85, v85, v168, -v140
	v_fmac_f32_e32 v197, v86, v168
	v_add_f32_e32 v83, 0, v83
	v_add_f32_e32 v82, 0, v82
	v_mul_f32_e32 v86, v90, v142
	s_waitcnt vmcnt(27)
	v_fma_f32 v84, v87, v169, -v84
	v_fmac_f32_e32 v198, v88, v169
	v_add_f32_e32 v83, v83, v85
	v_add_f32_e32 v82, v82, v197
	;; [unrolled: 6-line block ×24, first 2 shown]
	s_waitcnt lgkmcnt(0)
	v_mul_f32_e32 v84, v136, v165
	s_waitcnt vmcnt(4)
	v_fma_f32 v85, v133, v192, -v85
	v_mul_f32_e32 v222, v135, v165
	v_add_f32_e32 v83, v83, v86
	v_fmac_f32_e32 v221, v134, v192
	v_add_f32_e32 v82, v82, v220
	v_mul_f32_e32 v86, v138, v166
	s_waitcnt vmcnt(3)
	v_fma_f32 v84, v135, v193, -v84
	v_add_f32_e32 v83, v83, v85
	v_mul_f32_e32 v223, v137, v166
	v_fmac_f32_e32 v222, v136, v193
	v_add_f32_e32 v82, v82, v221
	s_waitcnt vmcnt(2)
	v_fma_f32 v85, v137, v194, -v86
	v_add_f32_e32 v83, v83, v84
	v_fmac_f32_e32 v223, v138, v194
	v_add_f32_e32 v82, v82, v222
	v_add_f32_e32 v83, v83, v85
	;; [unrolled: 1-line block ×3, first 2 shown]
	s_waitcnt vmcnt(1)
	v_sub_f32_e32 v83, v195, v83
	s_waitcnt vmcnt(0)
	v_sub_f32_e32 v82, v196, v82
	buffer_store_dword v83, off, s[0:3], 0 offset:88
	buffer_store_dword v82, off, s[0:3], 0 offset:92
	v_cmpx_lt_u32_e32 10, v0
	s_cbranch_execz .LBB39_233
; %bb.232:
	s_clause 0x1
	buffer_load_dword v82, off, s[0:3], 0 offset:80
	buffer_load_dword v83, off, s[0:3], 0 offset:84
	v_mov_b32_e32 v84, 0
	buffer_store_dword v84, off, s[0:3], 0 offset:80
	buffer_store_dword v84, off, s[0:3], 0 offset:84
	s_waitcnt vmcnt(0)
	ds_write_b64 v81, v[82:83]
.LBB39_233:
	s_or_b32 exec_lo, exec_lo, s4
	s_waitcnt lgkmcnt(0)
	s_waitcnt_vscnt null, 0x0
	s_barrier
	buffer_gl0_inv
	s_clause 0x3b
	buffer_load_dword v141, off, s[0:3], 0 offset:92
	buffer_load_dword v142, off, s[0:3], 0 offset:100
	;; [unrolled: 1-line block ×60, first 2 shown]
	v_mov_b32_e32 v82, 0
	ds_read2_b64 v[83:86], v82 offset0:51 offset1:52
	ds_read2_b64 v[87:90], v82 offset0:53 offset1:54
	;; [unrolled: 1-line block ×14, first 2 shown]
	ds_read_b64 v[139:140], v82 offset:632
	s_mov_b32 s4, exec_lo
	s_waitcnt vmcnt(59) lgkmcnt(14)
	v_mul_f32_e32 v201, v83, v141
	v_mul_f32_e32 v141, v84, v141
	s_waitcnt vmcnt(58)
	v_mul_f32_e32 v202, v85, v142
	v_mul_f32_e32 v142, v86, v142
	s_waitcnt vmcnt(57) lgkmcnt(13)
	v_mul_f32_e32 v203, v87, v143
	s_waitcnt vmcnt(56)
	v_mul_f32_e32 v204, v89, v144
	s_waitcnt vmcnt(55) lgkmcnt(12)
	v_mul_f32_e32 v205, v91, v145
	s_waitcnt vmcnt(54)
	v_mul_f32_e32 v206, v93, v146
	s_waitcnt vmcnt(53) lgkmcnt(11)
	v_mul_f32_e32 v207, v95, v147
	s_waitcnt vmcnt(52)
	v_mul_f32_e32 v208, v97, v148
	s_waitcnt vmcnt(51) lgkmcnt(10)
	v_mul_f32_e32 v209, v99, v149
	s_waitcnt vmcnt(50)
	v_mul_f32_e32 v210, v101, v150
	s_waitcnt vmcnt(49) lgkmcnt(9)
	v_mul_f32_e32 v211, v103, v151
	s_waitcnt vmcnt(48)
	v_mul_f32_e32 v212, v105, v152
	s_waitcnt vmcnt(47) lgkmcnt(8)
	v_mul_f32_e32 v213, v107, v153
	s_waitcnt vmcnt(46)
	v_mul_f32_e32 v214, v109, v154
	s_waitcnt vmcnt(45) lgkmcnt(7)
	v_mul_f32_e32 v215, v111, v155
	s_waitcnt vmcnt(44)
	v_mul_f32_e32 v216, v113, v156
	s_waitcnt vmcnt(43) lgkmcnt(6)
	v_mul_f32_e32 v217, v115, v157
	s_waitcnt vmcnt(42)
	v_mul_f32_e32 v218, v117, v158
	s_waitcnt vmcnt(41) lgkmcnt(5)
	v_mul_f32_e32 v219, v119, v159
	s_waitcnt vmcnt(40)
	v_mul_f32_e32 v220, v121, v160
	s_waitcnt vmcnt(39) lgkmcnt(4)
	v_mul_f32_e32 v221, v123, v161
	s_waitcnt vmcnt(38)
	v_mul_f32_e32 v222, v125, v162
	s_waitcnt vmcnt(37) lgkmcnt(3)
	v_mul_f32_e32 v223, v127, v163
	s_waitcnt vmcnt(36)
	v_mul_f32_e32 v224, v129, v164
	s_waitcnt vmcnt(35) lgkmcnt(2)
	v_mul_f32_e32 v225, v131, v165
	s_waitcnt vmcnt(34)
	v_mul_f32_e32 v226, v133, v166
	s_waitcnt vmcnt(33) lgkmcnt(1)
	v_mul_f32_e32 v227, v135, v167
	s_waitcnt vmcnt(30)
	v_fma_f32 v83, v83, v170, -v141
	v_fmac_f32_e32 v201, v84, v170
	v_mul_f32_e32 v84, v88, v143
	s_waitcnt vmcnt(29)
	v_fma_f32 v85, v85, v171, -v142
	v_fmac_f32_e32 v202, v86, v171
	v_add_f32_e32 v83, 0, v83
	v_add_f32_e32 v86, 0, v201
	v_mul_f32_e32 v141, v90, v144
	s_waitcnt vmcnt(28)
	v_fma_f32 v84, v87, v172, -v84
	v_fmac_f32_e32 v203, v88, v172
	v_add_f32_e32 v83, v83, v85
	v_add_f32_e32 v85, v86, v202
	;; [unrolled: 6-line block ×25, first 2 shown]
	v_mul_f32_e32 v87, v138, v168
	s_waitcnt vmcnt(4)
	v_fma_f32 v85, v135, v196, -v85
	v_mul_f32_e32 v228, v137, v168
	v_add_f32_e32 v83, v83, v86
	v_fmac_f32_e32 v227, v136, v196
	v_add_f32_e32 v84, v84, v226
	s_waitcnt lgkmcnt(0)
	v_mul_f32_e32 v86, v140, v169
	s_waitcnt vmcnt(3)
	v_fma_f32 v87, v137, v197, -v87
	v_add_f32_e32 v83, v83, v85
	v_mul_f32_e32 v229, v139, v169
	v_fmac_f32_e32 v228, v138, v197
	v_add_f32_e32 v84, v84, v227
	s_waitcnt vmcnt(2)
	v_fma_f32 v85, v139, v198, -v86
	v_add_f32_e32 v83, v83, v87
	v_fmac_f32_e32 v229, v140, v198
	v_add_f32_e32 v84, v84, v228
	v_add_f32_e32 v83, v83, v85
	;; [unrolled: 1-line block ×3, first 2 shown]
	s_waitcnt vmcnt(1)
	v_sub_f32_e32 v83, v199, v83
	s_waitcnt vmcnt(0)
	v_sub_f32_e32 v84, v200, v84
	buffer_store_dword v83, off, s[0:3], 0 offset:80
	buffer_store_dword v84, off, s[0:3], 0 offset:84
	v_cmpx_lt_u32_e32 9, v0
	s_cbranch_execz .LBB39_235
; %bb.234:
	s_clause 0x1
	buffer_load_dword v83, off, s[0:3], 0 offset:72
	buffer_load_dword v84, off, s[0:3], 0 offset:76
	buffer_store_dword v82, off, s[0:3], 0 offset:72
	buffer_store_dword v82, off, s[0:3], 0 offset:76
	s_waitcnt vmcnt(0)
	ds_write_b64 v81, v[83:84]
.LBB39_235:
	s_or_b32 exec_lo, exec_lo, s4
	s_waitcnt lgkmcnt(0)
	s_waitcnt_vscnt null, 0x0
	s_barrier
	buffer_gl0_inv
	s_clause 0x3d
	buffer_load_dword v143, off, s[0:3], 0 offset:84
	buffer_load_dword v144, off, s[0:3], 0 offset:92
	;; [unrolled: 1-line block ×62, first 2 shown]
	ds_read_b128 v[83:86], v82 offset:400
	ds_read_b128 v[87:90], v82 offset:416
	;; [unrolled: 1-line block ×15, first 2 shown]
	s_mov_b32 s4, exec_lo
	s_waitcnt vmcnt(61) lgkmcnt(14)
	v_mul_f32_e32 v82, v83, v143
	v_mul_f32_e32 v143, v84, v143
	s_waitcnt vmcnt(60)
	v_mul_f32_e32 v205, v85, v144
	v_mul_f32_e32 v144, v86, v144
	s_waitcnt vmcnt(59) lgkmcnt(13)
	v_mul_f32_e32 v206, v87, v145
	s_waitcnt vmcnt(58)
	v_mul_f32_e32 v207, v89, v146
	s_waitcnt vmcnt(57) lgkmcnt(12)
	v_mul_f32_e32 v208, v91, v147
	s_waitcnt vmcnt(56)
	;; [unrolled: 4-line block ×13, first 2 shown]
	v_mul_f32_e32 v231, v137, v170
	s_waitcnt vmcnt(31)
	v_fma_f32 v83, v83, v173, -v143
	v_fmac_f32_e32 v82, v84, v173
	v_mul_f32_e32 v84, v88, v145
	s_waitcnt vmcnt(30)
	v_fma_f32 v85, v85, v174, -v144
	v_fmac_f32_e32 v205, v86, v174
	v_add_f32_e32 v83, 0, v83
	v_add_f32_e32 v82, 0, v82
	v_mul_f32_e32 v86, v90, v146
	s_waitcnt vmcnt(29)
	v_fma_f32 v84, v87, v175, -v84
	v_fmac_f32_e32 v206, v88, v175
	v_add_f32_e32 v83, v83, v85
	v_add_f32_e32 v82, v82, v205
	;; [unrolled: 6-line block ×26, first 2 shown]
	s_waitcnt lgkmcnt(0)
	v_mul_f32_e32 v85, v140, v171
	s_waitcnt vmcnt(4)
	v_fma_f32 v86, v137, v200, -v86
	v_mul_f32_e32 v232, v139, v171
	v_add_f32_e32 v83, v83, v84
	v_fmac_f32_e32 v231, v138, v200
	v_add_f32_e32 v82, v82, v230
	v_mul_f32_e32 v84, v142, v172
	s_waitcnt vmcnt(3)
	v_fma_f32 v85, v139, v201, -v85
	v_add_f32_e32 v83, v83, v86
	v_mul_f32_e32 v233, v141, v172
	v_fmac_f32_e32 v232, v140, v201
	v_add_f32_e32 v82, v82, v231
	s_waitcnt vmcnt(2)
	v_fma_f32 v84, v141, v202, -v84
	v_add_f32_e32 v83, v83, v85
	v_fmac_f32_e32 v233, v142, v202
	v_add_f32_e32 v82, v82, v232
	v_add_f32_e32 v83, v83, v84
	;; [unrolled: 1-line block ×3, first 2 shown]
	s_waitcnt vmcnt(1)
	v_sub_f32_e32 v83, v203, v83
	s_waitcnt vmcnt(0)
	v_sub_f32_e32 v82, v204, v82
	buffer_store_dword v83, off, s[0:3], 0 offset:72
	buffer_store_dword v82, off, s[0:3], 0 offset:76
	v_cmpx_lt_u32_e32 8, v0
	s_cbranch_execz .LBB39_237
; %bb.236:
	s_clause 0x1
	buffer_load_dword v82, off, s[0:3], 0 offset:64
	buffer_load_dword v83, off, s[0:3], 0 offset:68
	v_mov_b32_e32 v84, 0
	buffer_store_dword v84, off, s[0:3], 0 offset:64
	buffer_store_dword v84, off, s[0:3], 0 offset:68
	s_waitcnt vmcnt(0)
	ds_write_b64 v81, v[82:83]
.LBB39_237:
	s_or_b32 exec_lo, exec_lo, s4
	s_waitcnt lgkmcnt(0)
	s_waitcnt_vscnt null, 0x0
	s_barrier
	buffer_gl0_inv
	s_clause 0x3e
	buffer_load_dword v145, off, s[0:3], 0 offset:76
	buffer_load_dword v146, off, s[0:3], 0 offset:84
	;; [unrolled: 1-line block ×64, first 2 shown]
	v_mov_b32_e32 v82, 0
	ds_read2_b64 v[83:86], v82 offset0:49 offset1:50
	ds_read2_b64 v[87:90], v82 offset0:51 offset1:52
	;; [unrolled: 1-line block ×15, first 2 shown]
	ds_read_b64 v[143:144], v82 offset:632
	s_mov_b32 s4, exec_lo
	s_waitcnt vmcnt(62) lgkmcnt(15)
	v_mul_f32_e32 v209, v83, v145
	v_mul_f32_e32 v145, v84, v145
	;; [unrolled: 1-line block ×4, first 2 shown]
	s_waitcnt vmcnt(61) lgkmcnt(14)
	v_mul_f32_e32 v211, v87, v147
	s_waitcnt vmcnt(60)
	v_mul_f32_e32 v212, v89, v148
	s_waitcnt vmcnt(59) lgkmcnt(13)
	v_mul_f32_e32 v213, v91, v149
	s_waitcnt vmcnt(58)
	v_mul_f32_e32 v214, v93, v150
	;; [unrolled: 4-line block ×13, first 2 shown]
	s_waitcnt vmcnt(35) lgkmcnt(1)
	v_mul_f32_e32 v237, v139, v173
	s_waitcnt vmcnt(32)
	v_fma_f32 v83, v83, v176, -v145
	v_fmac_f32_e32 v209, v84, v176
	v_mul_f32_e32 v84, v88, v147
	s_waitcnt vmcnt(31)
	v_fma_f32 v85, v85, v177, -v146
	v_fmac_f32_e32 v210, v86, v177
	v_add_f32_e32 v83, 0, v83
	v_add_f32_e32 v86, 0, v209
	v_mul_f32_e32 v145, v90, v148
	s_waitcnt vmcnt(30)
	v_fma_f32 v84, v87, v178, -v84
	v_fmac_f32_e32 v211, v88, v178
	v_add_f32_e32 v83, v83, v85
	v_add_f32_e32 v85, v86, v210
	;; [unrolled: 6-line block ×27, first 2 shown]
	v_mul_f32_e32 v85, v142, v174
	s_waitcnt vmcnt(4)
	v_fma_f32 v86, v139, v204, -v86
	v_mul_f32_e32 v238, v141, v174
	v_add_f32_e32 v83, v83, v87
	v_fmac_f32_e32 v237, v140, v204
	v_add_f32_e32 v84, v84, v236
	s_waitcnt lgkmcnt(0)
	v_mul_f32_e32 v87, v144, v175
	s_waitcnt vmcnt(3)
	v_fma_f32 v85, v141, v205, -v85
	v_add_f32_e32 v83, v83, v86
	v_mul_f32_e32 v239, v143, v175
	v_fmac_f32_e32 v238, v142, v205
	v_add_f32_e32 v84, v84, v237
	s_waitcnt vmcnt(2)
	v_fma_f32 v86, v143, v206, -v87
	v_add_f32_e32 v83, v83, v85
	v_fmac_f32_e32 v239, v144, v206
	v_add_f32_e32 v84, v84, v238
	v_add_f32_e32 v83, v83, v86
	;; [unrolled: 1-line block ×3, first 2 shown]
	s_waitcnt vmcnt(1)
	v_sub_f32_e32 v83, v207, v83
	s_waitcnt vmcnt(0)
	v_sub_f32_e32 v84, v208, v84
	buffer_store_dword v83, off, s[0:3], 0 offset:64
	buffer_store_dword v84, off, s[0:3], 0 offset:68
	v_cmpx_lt_u32_e32 7, v0
	s_cbranch_execz .LBB39_239
; %bb.238:
	s_clause 0x1
	buffer_load_dword v83, off, s[0:3], 0 offset:56
	buffer_load_dword v84, off, s[0:3], 0 offset:60
	buffer_store_dword v82, off, s[0:3], 0 offset:56
	buffer_store_dword v82, off, s[0:3], 0 offset:60
	s_waitcnt vmcnt(0)
	ds_write_b64 v81, v[83:84]
.LBB39_239:
	s_or_b32 exec_lo, exec_lo, s4
	s_waitcnt lgkmcnt(0)
	s_waitcnt_vscnt null, 0x0
	s_barrier
	buffer_gl0_inv
	s_clause 0x3e
	buffer_load_dword v147, off, s[0:3], 0 offset:68
	buffer_load_dword v148, off, s[0:3], 0 offset:76
	;; [unrolled: 1-line block ×63, first 2 shown]
	s_clause 0x2
	buffer_load_dword v210, off, s[0:3], 0 offset:312
	buffer_load_dword v211, off, s[0:3], 0 offset:56
	buffer_load_dword v212, off, s[0:3], 0 offset:60
	ds_read_b128 v[83:86], v82 offset:384
	ds_read_b128 v[87:90], v82 offset:400
	;; [unrolled: 1-line block ×16, first 2 shown]
	s_mov_b32 s4, exec_lo
	s_waitcnt vmcnt(62) lgkmcnt(15)
	v_mul_f32_e32 v82, v83, v147
	v_mul_f32_e32 v147, v84, v147
	;; [unrolled: 1-line block ×4, first 2 shown]
	s_waitcnt lgkmcnt(14)
	v_mul_f32_e32 v214, v87, v149
	v_mul_f32_e32 v215, v89, v150
	s_waitcnt vmcnt(61) lgkmcnt(13)
	v_mul_f32_e32 v216, v91, v151
	s_waitcnt vmcnt(60)
	v_mul_f32_e32 v217, v93, v152
	s_waitcnt vmcnt(59) lgkmcnt(12)
	v_mul_f32_e32 v218, v95, v153
	s_waitcnt vmcnt(58)
	;; [unrolled: 4-line block ×13, first 2 shown]
	v_mul_f32_e32 v241, v141, v176
	s_waitcnt vmcnt(33)
	v_fma_f32 v83, v83, v179, -v147
	v_fmac_f32_e32 v82, v84, v179
	v_mul_f32_e32 v84, v88, v149
	s_waitcnt vmcnt(32)
	v_fma_f32 v85, v85, v180, -v148
	v_fmac_f32_e32 v213, v86, v180
	v_add_f32_e32 v83, 0, v83
	v_add_f32_e32 v82, 0, v82
	v_mul_f32_e32 v86, v90, v150
	s_waitcnt vmcnt(31)
	v_fma_f32 v84, v87, v181, -v84
	v_fmac_f32_e32 v214, v88, v181
	v_add_f32_e32 v83, v83, v85
	v_add_f32_e32 v82, v82, v213
	;; [unrolled: 6-line block ×28, first 2 shown]
	s_waitcnt lgkmcnt(0)
	v_mul_f32_e32 v86, v144, v177
	s_waitcnt vmcnt(4)
	v_fma_f32 v84, v141, v208, -v84
	v_mul_f32_e32 v242, v143, v177
	v_add_f32_e32 v83, v83, v85
	v_fmac_f32_e32 v241, v142, v208
	v_add_f32_e32 v82, v82, v240
	v_mul_f32_e32 v85, v146, v178
	s_waitcnt vmcnt(3)
	v_fma_f32 v86, v143, v209, -v86
	v_add_f32_e32 v83, v83, v84
	v_mul_f32_e32 v243, v145, v178
	v_fmac_f32_e32 v242, v144, v209
	v_add_f32_e32 v82, v82, v241
	s_waitcnt vmcnt(2)
	v_fma_f32 v84, v145, v210, -v85
	v_add_f32_e32 v83, v83, v86
	v_fmac_f32_e32 v243, v146, v210
	v_add_f32_e32 v82, v82, v242
	v_add_f32_e32 v83, v83, v84
	;; [unrolled: 1-line block ×3, first 2 shown]
	s_waitcnt vmcnt(1)
	v_sub_f32_e32 v83, v211, v83
	s_waitcnt vmcnt(0)
	v_sub_f32_e32 v82, v212, v82
	buffer_store_dword v83, off, s[0:3], 0 offset:56
	buffer_store_dword v82, off, s[0:3], 0 offset:60
	v_cmpx_lt_u32_e32 6, v0
	s_cbranch_execz .LBB39_241
; %bb.240:
	s_clause 0x1
	buffer_load_dword v82, off, s[0:3], 0 offset:48
	buffer_load_dword v83, off, s[0:3], 0 offset:52
	v_mov_b32_e32 v84, 0
	buffer_store_dword v84, off, s[0:3], 0 offset:48
	buffer_store_dword v84, off, s[0:3], 0 offset:52
	s_waitcnt vmcnt(0)
	ds_write_b64 v81, v[82:83]
.LBB39_241:
	s_or_b32 exec_lo, exec_lo, s4
	s_waitcnt lgkmcnt(0)
	s_waitcnt_vscnt null, 0x0
	s_barrier
	buffer_gl0_inv
	s_clause 0x3e
	buffer_load_dword v149, off, s[0:3], 0 offset:60
	buffer_load_dword v150, off, s[0:3], 0 offset:68
	buffer_load_dword v151, off, s[0:3], 0 offset:76
	buffer_load_dword v152, off, s[0:3], 0 offset:84
	buffer_load_dword v153, off, s[0:3], 0 offset:92
	buffer_load_dword v154, off, s[0:3], 0 offset:100
	buffer_load_dword v155, off, s[0:3], 0 offset:108
	buffer_load_dword v156, off, s[0:3], 0 offset:116
	buffer_load_dword v157, off, s[0:3], 0 offset:124
	buffer_load_dword v158, off, s[0:3], 0 offset:132
	buffer_load_dword v159, off, s[0:3], 0 offset:140
	buffer_load_dword v160, off, s[0:3], 0 offset:148
	buffer_load_dword v161, off, s[0:3], 0 offset:156
	buffer_load_dword v162, off, s[0:3], 0 offset:164
	buffer_load_dword v163, off, s[0:3], 0 offset:172
	buffer_load_dword v164, off, s[0:3], 0 offset:180
	buffer_load_dword v165, off, s[0:3], 0 offset:188
	buffer_load_dword v166, off, s[0:3], 0 offset:196
	buffer_load_dword v167, off, s[0:3], 0 offset:204
	buffer_load_dword v168, off, s[0:3], 0 offset:212
	buffer_load_dword v169, off, s[0:3], 0 offset:220
	buffer_load_dword v170, off, s[0:3], 0 offset:228
	buffer_load_dword v171, off, s[0:3], 0 offset:236
	buffer_load_dword v172, off, s[0:3], 0 offset:244
	buffer_load_dword v173, off, s[0:3], 0 offset:252
	buffer_load_dword v174, off, s[0:3], 0 offset:260
	buffer_load_dword v175, off, s[0:3], 0 offset:268
	buffer_load_dword v176, off, s[0:3], 0 offset:276
	buffer_load_dword v177, off, s[0:3], 0 offset:284
	buffer_load_dword v178, off, s[0:3], 0 offset:292
	buffer_load_dword v179, off, s[0:3], 0 offset:300
	buffer_load_dword v180, off, s[0:3], 0 offset:308
	buffer_load_dword v181, off, s[0:3], 0 offset:316
	buffer_load_dword v182, off, s[0:3], 0 offset:56
	buffer_load_dword v183, off, s[0:3], 0 offset:64
	buffer_load_dword v184, off, s[0:3], 0 offset:72
	buffer_load_dword v185, off, s[0:3], 0 offset:80
	buffer_load_dword v186, off, s[0:3], 0 offset:88
	buffer_load_dword v187, off, s[0:3], 0 offset:96
	buffer_load_dword v188, off, s[0:3], 0 offset:104
	buffer_load_dword v189, off, s[0:3], 0 offset:112
	buffer_load_dword v190, off, s[0:3], 0 offset:120
	buffer_load_dword v191, off, s[0:3], 0 offset:128
	buffer_load_dword v192, off, s[0:3], 0 offset:136
	buffer_load_dword v193, off, s[0:3], 0 offset:144
	buffer_load_dword v194, off, s[0:3], 0 offset:152
	buffer_load_dword v195, off, s[0:3], 0 offset:160
	buffer_load_dword v196, off, s[0:3], 0 offset:168
	buffer_load_dword v197, off, s[0:3], 0 offset:176
	buffer_load_dword v198, off, s[0:3], 0 offset:184
	buffer_load_dword v199, off, s[0:3], 0 offset:192
	buffer_load_dword v200, off, s[0:3], 0 offset:200
	buffer_load_dword v201, off, s[0:3], 0 offset:208
	buffer_load_dword v202, off, s[0:3], 0 offset:216
	buffer_load_dword v203, off, s[0:3], 0 offset:224
	buffer_load_dword v204, off, s[0:3], 0 offset:232
	buffer_load_dword v205, off, s[0:3], 0 offset:240
	buffer_load_dword v206, off, s[0:3], 0 offset:248
	buffer_load_dword v207, off, s[0:3], 0 offset:256
	buffer_load_dword v208, off, s[0:3], 0 offset:264
	buffer_load_dword v209, off, s[0:3], 0 offset:272
	buffer_load_dword v210, off, s[0:3], 0 offset:280
	buffer_load_dword v211, off, s[0:3], 0 offset:288
	s_clause 0x4
	buffer_load_dword v212, off, s[0:3], 0 offset:296
	buffer_load_dword v213, off, s[0:3], 0 offset:304
	;; [unrolled: 1-line block ×5, first 2 shown]
	v_mov_b32_e32 v82, 0
	ds_read2_b64 v[83:86], v82 offset0:47 offset1:48
	ds_read2_b64 v[87:90], v82 offset0:49 offset1:50
	;; [unrolled: 1-line block ×16, first 2 shown]
	ds_read_b64 v[147:148], v82 offset:632
	s_mov_b32 s4, exec_lo
	s_waitcnt vmcnt(62) lgkmcnt(16)
	v_mul_f32_e32 v217, v83, v149
	v_mul_f32_e32 v149, v84, v149
	;; [unrolled: 1-line block ×4, first 2 shown]
	s_waitcnt lgkmcnt(15)
	v_mul_f32_e32 v219, v87, v151
	v_mul_f32_e32 v220, v89, v152
	s_waitcnt lgkmcnt(14)
	v_mul_f32_e32 v221, v91, v153
	v_mul_f32_e32 v222, v93, v154
	s_waitcnt vmcnt(61) lgkmcnt(13)
	v_mul_f32_e32 v223, v95, v155
	s_waitcnt vmcnt(60)
	v_mul_f32_e32 v224, v97, v156
	s_waitcnt vmcnt(59) lgkmcnt(12)
	v_mul_f32_e32 v225, v99, v157
	s_waitcnt vmcnt(58)
	;; [unrolled: 4-line block ×13, first 2 shown]
	v_fma_f32 v83, v83, v182, -v149
	v_fmac_f32_e32 v217, v84, v182
	v_mul_f32_e32 v84, v88, v151
	s_waitcnt vmcnt(33)
	v_fma_f32 v85, v85, v183, -v150
	v_fmac_f32_e32 v218, v86, v183
	v_add_f32_e32 v83, 0, v83
	v_add_f32_e32 v86, 0, v217
	v_mul_f32_e32 v149, v90, v152
	s_waitcnt vmcnt(32)
	v_fma_f32 v84, v87, v184, -v84
	v_fmac_f32_e32 v219, v88, v184
	v_add_f32_e32 v83, v83, v85
	v_add_f32_e32 v85, v86, v218
	;; [unrolled: 6-line block ×29, first 2 shown]
	v_mul_f32_e32 v86, v146, v180
	s_waitcnt vmcnt(4)
	v_fma_f32 v87, v143, v212, -v87
	v_mul_f32_e32 v248, v145, v180
	v_add_f32_e32 v83, v83, v85
	v_fmac_f32_e32 v247, v144, v212
	v_add_f32_e32 v84, v84, v246
	s_waitcnt lgkmcnt(0)
	v_mul_f32_e32 v85, v148, v181
	s_waitcnt vmcnt(3)
	v_fma_f32 v86, v145, v213, -v86
	v_add_f32_e32 v83, v83, v87
	v_mul_f32_e32 v249, v147, v181
	v_fmac_f32_e32 v248, v146, v213
	v_add_f32_e32 v84, v84, v247
	s_waitcnt vmcnt(2)
	v_fma_f32 v85, v147, v214, -v85
	v_add_f32_e32 v83, v83, v86
	v_fmac_f32_e32 v249, v148, v214
	v_add_f32_e32 v84, v84, v248
	v_add_f32_e32 v83, v83, v85
	;; [unrolled: 1-line block ×3, first 2 shown]
	s_waitcnt vmcnt(1)
	v_sub_f32_e32 v83, v215, v83
	s_waitcnt vmcnt(0)
	v_sub_f32_e32 v84, v216, v84
	buffer_store_dword v83, off, s[0:3], 0 offset:48
	buffer_store_dword v84, off, s[0:3], 0 offset:52
	v_cmpx_lt_u32_e32 5, v0
	s_cbranch_execz .LBB39_243
; %bb.242:
	s_clause 0x1
	buffer_load_dword v83, off, s[0:3], 0 offset:40
	buffer_load_dword v84, off, s[0:3], 0 offset:44
	buffer_store_dword v82, off, s[0:3], 0 offset:40
	buffer_store_dword v82, off, s[0:3], 0 offset:44
	s_waitcnt vmcnt(0)
	ds_write_b64 v81, v[83:84]
.LBB39_243:
	s_or_b32 exec_lo, exec_lo, s4
	s_waitcnt lgkmcnt(0)
	s_waitcnt_vscnt null, 0x0
	s_barrier
	buffer_gl0_inv
	s_clause 0x3e
	buffer_load_dword v151, off, s[0:3], 0 offset:52
	buffer_load_dword v152, off, s[0:3], 0 offset:60
	;; [unrolled: 1-line block ×63, first 2 shown]
	s_clause 0x6
	buffer_load_dword v214, off, s[0:3], 0 offset:280
	buffer_load_dword v215, off, s[0:3], 0 offset:288
	buffer_load_dword v216, off, s[0:3], 0 offset:296
	buffer_load_dword v217, off, s[0:3], 0 offset:304
	buffer_load_dword v218, off, s[0:3], 0 offset:312
	buffer_load_dword v219, off, s[0:3], 0 offset:40
	buffer_load_dword v220, off, s[0:3], 0 offset:44
	ds_read_b128 v[83:86], v82 offset:368
	ds_read_b128 v[87:90], v82 offset:384
	;; [unrolled: 1-line block ×17, first 2 shown]
	s_mov_b32 s4, exec_lo
	s_waitcnt vmcnt(62) lgkmcnt(16)
	v_mul_f32_e32 v82, v83, v151
	v_mul_f32_e32 v151, v84, v151
	v_mul_f32_e32 v221, v85, v152
	v_mul_f32_e32 v152, v86, v152
	s_waitcnt lgkmcnt(15)
	v_mul_f32_e32 v222, v87, v153
	v_mul_f32_e32 v223, v89, v154
	s_waitcnt lgkmcnt(14)
	v_mul_f32_e32 v224, v91, v155
	v_mul_f32_e32 v225, v93, v156
	;; [unrolled: 3-line block ×3, first 2 shown]
	s_waitcnt vmcnt(61) lgkmcnt(12)
	v_mul_f32_e32 v228, v99, v159
	s_waitcnt vmcnt(60)
	v_mul_f32_e32 v229, v101, v160
	s_waitcnt vmcnt(59) lgkmcnt(11)
	v_mul_f32_e32 v230, v103, v161
	s_waitcnt vmcnt(58)
	v_mul_f32_e32 v231, v105, v162
	;; [unrolled: 4-line block ×12, first 2 shown]
	s_waitcnt vmcnt(35)
	v_fma_f32 v83, v83, v185, -v151
	v_fmac_f32_e32 v82, v84, v185
	v_mul_f32_e32 v84, v88, v153
	s_waitcnt vmcnt(34)
	v_fma_f32 v85, v85, v186, -v152
	v_fmac_f32_e32 v221, v86, v186
	v_add_f32_e32 v83, 0, v83
	v_add_f32_e32 v82, 0, v82
	v_mul_f32_e32 v86, v90, v154
	s_waitcnt vmcnt(33)
	v_fma_f32 v84, v87, v187, -v84
	v_fmac_f32_e32 v222, v88, v187
	v_add_f32_e32 v83, v83, v85
	v_add_f32_e32 v82, v82, v221
	;; [unrolled: 6-line block ×30, first 2 shown]
	s_waitcnt lgkmcnt(0)
	v_mul_f32_e32 v84, v148, v183
	s_waitcnt vmcnt(4)
	v_fma_f32 v85, v145, v216, -v85
	v_mul_f32_e32 v252, v147, v183
	v_add_f32_e32 v83, v83, v86
	v_fmac_f32_e32 v251, v146, v216
	v_add_f32_e32 v82, v82, v250
	v_mul_f32_e32 v86, v150, v184
	s_waitcnt vmcnt(3)
	v_fma_f32 v84, v147, v217, -v84
	v_add_f32_e32 v83, v83, v85
	v_mul_f32_e32 v253, v149, v184
	v_fmac_f32_e32 v252, v148, v217
	v_add_f32_e32 v82, v82, v251
	s_waitcnt vmcnt(2)
	v_fma_f32 v85, v149, v218, -v86
	v_add_f32_e32 v83, v83, v84
	v_fmac_f32_e32 v253, v150, v218
	v_add_f32_e32 v82, v82, v252
	v_add_f32_e32 v83, v83, v85
	;; [unrolled: 1-line block ×3, first 2 shown]
	s_waitcnt vmcnt(1)
	v_sub_f32_e32 v83, v219, v83
	s_waitcnt vmcnt(0)
	v_sub_f32_e32 v82, v220, v82
	buffer_store_dword v83, off, s[0:3], 0 offset:40
	buffer_store_dword v82, off, s[0:3], 0 offset:44
	v_cmpx_lt_u32_e32 4, v0
	s_cbranch_execz .LBB39_245
; %bb.244:
	s_clause 0x1
	buffer_load_dword v82, off, s[0:3], 0 offset:32
	buffer_load_dword v83, off, s[0:3], 0 offset:36
	v_mov_b32_e32 v84, 0
	buffer_store_dword v84, off, s[0:3], 0 offset:32
	buffer_store_dword v84, off, s[0:3], 0 offset:36
	s_waitcnt vmcnt(0)
	ds_write_b64 v81, v[82:83]
.LBB39_245:
	s_or_b32 exec_lo, exec_lo, s4
	s_waitcnt lgkmcnt(0)
	s_waitcnt_vscnt null, 0x0
	s_barrier
	buffer_gl0_inv
	s_clause 0x2a
	buffer_load_dword v88, off, s[0:3], 0 offset:44
	buffer_load_dword v89, off, s[0:3], 0 offset:52
	;; [unrolled: 1-line block ×43, first 2 shown]
	v_mov_b32_e32 v82, 0
	ds_read2_b64 v[122:125], v82 offset0:45 offset1:46
	ds_read2_b64 v[126:129], v82 offset0:47 offset1:48
	;; [unrolled: 1-line block ×3, first 2 shown]
	buffer_load_dword v140, off, s[0:3], 0 offset:36
	s_mov_b32 s4, exec_lo
	s_waitcnt vmcnt(43) lgkmcnt(2)
	v_mul_f32_e32 v138, v122, v88
	s_waitcnt vmcnt(42)
	v_mul_f32_e32 v139, v124, v89
	v_mul_f32_e32 v88, v123, v88
	;; [unrolled: 1-line block ×3, first 2 shown]
	s_waitcnt vmcnt(39)
	v_fmac_f32_e32 v138, v123, v87
	v_fmac_f32_e32 v139, v125, v86
	v_fma_f32 v141, v122, v87, -v88
	v_fma_f32 v142, v124, v86, -v89
	ds_read2_b64 v[86:89], v82 offset0:51 offset1:52
	ds_read2_b64 v[122:125], v82 offset0:53 offset1:54
	s_waitcnt vmcnt(38) lgkmcnt(3)
	v_mul_f32_e32 v143, v126, v84
	v_mul_f32_e32 v84, v127, v84
	s_waitcnt vmcnt(37)
	v_mul_f32_e32 v144, v128, v85
	v_mul_f32_e32 v85, v129, v85
	s_waitcnt vmcnt(32) lgkmcnt(2)
	v_mul_f32_e32 v146, v130, v97
	v_fmac_f32_e32 v143, v127, v83
	v_fma_f32 v145, v126, v83, -v84
	v_mul_f32_e32 v83, v131, v97
	s_waitcnt vmcnt(31)
	v_mul_f32_e32 v84, v133, v96
	v_fmac_f32_e32 v144, v129, v98
	v_fma_f32 v98, v128, v98, -v85
	ds_read2_b64 v[126:129], v82 offset0:55 offset1:56
	v_mul_f32_e32 v97, v132, v96
	v_fmac_f32_e32 v146, v131, v93
	v_fma_f32 v96, v130, v93, -v83
	v_fma_f32 v131, v132, v91, -v84
	v_fmac_f32_e32 v97, v133, v91
	s_waitcnt vmcnt(30) lgkmcnt(2)
	v_mul_f32_e32 v130, v86, v94
	v_mul_f32_e32 v83, v87, v94
	s_waitcnt vmcnt(29)
	v_mul_f32_e32 v132, v88, v92
	v_mul_f32_e32 v84, v89, v92
	s_waitcnt vmcnt(23) lgkmcnt(1)
	v_mul_f32_e32 v148, v124, v104
	v_fmac_f32_e32 v130, v87, v90
	v_fma_f32 v133, v86, v90, -v83
	v_fmac_f32_e32 v132, v89, v105
	v_fma_f32 v105, v88, v105, -v84
	v_mul_f32_e32 v87, v123, v95
	v_mul_f32_e32 v88, v125, v104
	ds_read2_b64 v[83:86], v82 offset0:57 offset1:58
	v_mul_f32_e32 v147, v122, v95
	v_fmac_f32_e32 v148, v125, v100
	v_fma_f32 v95, v122, v103, -v87
	v_fma_f32 v100, v124, v100, -v88
	ds_read2_b64 v[87:90], v82 offset0:59 offset1:60
	v_fmac_f32_e32 v147, v123, v103
	s_waitcnt vmcnt(22) lgkmcnt(2)
	v_mul_f32_e32 v103, v126, v102
	v_mul_f32_e32 v91, v127, v102
	s_waitcnt vmcnt(21)
	v_mul_f32_e32 v102, v128, v101
	v_mul_f32_e32 v92, v129, v101
	buffer_load_dword v101, off, s[0:3], 0 offset:204
	v_fmac_f32_e32 v103, v127, v99
	v_fma_f32 v99, v126, v99, -v91
	s_waitcnt vmcnt(18)
	v_fmac_f32_e32 v102, v129, v113
	v_fma_f32 v104, v128, v113, -v92
	s_waitcnt vmcnt(17) lgkmcnt(1)
	v_mul_f32_e32 v113, v83, v111
	s_waitcnt vmcnt(16)
	v_mul_f32_e32 v122, v85, v112
	v_mul_f32_e32 v91, v84, v111
	;; [unrolled: 1-line block ×3, first 2 shown]
	v_fmac_f32_e32 v113, v84, v108
	v_fmac_f32_e32 v122, v86, v107
	v_fma_f32 v108, v83, v108, -v91
	v_fma_f32 v107, v85, v107, -v92
	ds_read2_b64 v[83:86], v82 offset0:61 offset1:62
	s_waitcnt vmcnt(15) lgkmcnt(1)
	v_mul_f32_e32 v111, v87, v110
	v_mul_f32_e32 v93, v88, v110
	s_waitcnt vmcnt(14)
	v_mul_f32_e32 v110, v89, v109
	v_mul_f32_e32 v109, v90, v109
	v_fmac_f32_e32 v111, v88, v106
	v_fma_f32 v106, v87, v106, -v93
	ds_read2_b64 v[91:94], v82 offset0:63 offset1:64
	s_waitcnt vmcnt(10)
	v_fmac_f32_e32 v110, v90, v121
	v_fma_f32 v109, v89, v121, -v109
	s_clause 0x1
	buffer_load_dword v112, off, s[0:3], 0 offset:212
	buffer_load_dword v121, off, s[0:3], 0 offset:220
	s_waitcnt vmcnt(11) lgkmcnt(1)
	v_mul_f32_e32 v123, v83, v120
	v_mul_f32_e32 v87, v84, v120
	buffer_load_dword v120, off, s[0:3], 0 offset:228
	s_waitcnt vmcnt(11)
	v_mul_f32_e32 v124, v85, v119
	v_mul_f32_e32 v88, v86, v119
	v_fmac_f32_e32 v123, v84, v117
	v_fma_f32 v117, v83, v117, -v87
	s_waitcnt vmcnt(10) lgkmcnt(0)
	v_mul_f32_e32 v119, v91, v118
	v_mul_f32_e32 v83, v92, v118
	s_clause 0x3
	buffer_load_dword v118, off, s[0:3], 0 offset:248
	buffer_load_dword v125, off, s[0:3], 0 offset:240
	;; [unrolled: 1-line block ×4, first 2 shown]
	s_waitcnt vmcnt(13)
	v_mul_f32_e32 v128, v93, v116
	v_mul_f32_e32 v84, v94, v116
	v_fmac_f32_e32 v119, v92, v114
	v_fma_f32 v114, v91, v114, -v83
	buffer_load_dword v116, off, s[0:3], 0 offset:236
	v_add_f32_e32 v83, 0, v138
	s_waitcnt vmcnt(10)
	v_fmac_f32_e32 v128, v94, v137
	v_fma_f32 v129, v93, v137, -v84
	s_clause 0x1
	buffer_load_dword v137, off, s[0:3], 0 offset:244
	buffer_load_dword v138, off, s[0:3], 0 offset:252
	v_add_f32_e32 v83, v83, v139
	v_add_f32_e32 v84, 0, v141
	s_clause 0x3
	buffer_load_dword v139, off, s[0:3], 0 offset:260
	buffer_load_dword v141, off, s[0:3], 0 offset:268
	buffer_load_dword v149, off, s[0:3], 0 offset:276
	buffer_load_dword v150, off, s[0:3], 0 offset:284
	v_fmac_f32_e32 v124, v86, v115
	v_fma_f32 v115, v85, v115, -v88
	v_add_f32_e32 v83, v83, v143
	v_add_f32_e32 v84, v84, v142
	s_clause 0x1
	buffer_load_dword v142, off, s[0:3], 0 offset:292
	buffer_load_dword v143, off, s[0:3], 0 offset:300
	v_add_f32_e32 v83, v83, v144
	v_add_f32_e32 v84, v84, v145
	s_clause 0x1
	buffer_load_dword v144, off, s[0:3], 0 offset:308
	buffer_load_dword v145, off, s[0:3], 0 offset:316
	v_add_f32_e32 v83, v83, v146
	s_clause 0x3
	buffer_load_dword v146, off, s[0:3], 0 offset:280
	buffer_load_dword v151, off, s[0:3], 0 offset:272
	;; [unrolled: 1-line block ×4, first 2 shown]
	v_add_f32_e32 v84, v84, v98
	v_add_f32_e32 v83, v83, v97
	;; [unrolled: 1-line block ×7, first 2 shown]
	s_clause 0x3
	buffer_load_dword v130, off, s[0:3], 0 offset:312
	buffer_load_dword v131, off, s[0:3], 0 offset:304
	;; [unrolled: 1-line block ×4, first 2 shown]
	v_add_f32_e32 v83, v83, v147
	v_add_f32_e32 v84, v84, v105
	buffer_load_dword v105, off, s[0:3], 0 offset:32
	v_add_f32_e32 v87, v83, v148
	v_add_f32_e32 v84, v84, v95
	;; [unrolled: 1-line block ×4, first 2 shown]
	ds_read2_b64 v[83:86], v82 offset0:65 offset1:66
	v_add_f32_e32 v91, v87, v102
	v_add_f32_e32 v88, v88, v99
	;; [unrolled: 1-line block ×6, first 2 shown]
	ds_read2_b64 v[87:90], v82 offset0:67 offset1:68
	v_add_f32_e32 v95, v91, v111
	v_add_f32_e32 v92, v92, v107
	;; [unrolled: 1-line block ×4, first 2 shown]
	s_waitcnt vmcnt(27) lgkmcnt(1)
	v_mul_f32_e32 v108, v83, v101
	v_mul_f32_e32 v93, v84, v101
	v_fmac_f32_e32 v108, v84, v136
	v_add_f32_e32 v84, v92, v106
	v_fma_f32 v106, v83, v136, -v93
	v_add_f32_e32 v99, v84, v109
	v_add_f32_e32 v99, v99, v117
	;; [unrolled: 1-line block ×3, first 2 shown]
	s_waitcnt vmcnt(26)
	v_mul_f32_e32 v107, v85, v112
	s_waitcnt vmcnt(25) lgkmcnt(0)
	v_mul_f32_e32 v101, v88, v121
	v_mul_f32_e32 v109, v87, v121
	;; [unrolled: 1-line block ×3, first 2 shown]
	v_fmac_f32_e32 v107, v86, v135
	v_fma_f32 v112, v87, v134, -v101
	v_add_f32_e32 v87, v100, v124
	v_fmac_f32_e32 v109, v88, v134
	v_add_f32_e32 v88, v99, v114
	v_fma_f32 v111, v85, v135, -v94
	ds_read2_b64 v[83:86], v82 offset0:69 offset1:70
	ds_read2_b64 v[91:94], v82 offset0:71 offset1:72
	v_add_f32_e32 v114, v87, v119
	s_waitcnt vmcnt(24)
	v_mul_f32_e32 v103, v90, v120
	v_add_f32_e32 v115, v88, v129
	v_mul_f32_e32 v110, v89, v120
	ds_read2_b64 v[95:98], v82 offset0:73 offset1:74
	ds_read2_b64 v[99:102], v82 offset0:75 offset1:76
	v_add_f32_e32 v114, v114, v128
	v_add_f32_e32 v106, v115, v106
	s_waitcnt vmcnt(20)
	v_fma_f32 v113, v89, v127, -v103
	v_fmac_f32_e32 v110, v90, v127
	ds_read2_b64 v[87:90], v82 offset0:77 offset1:78
	ds_read_b64 v[103:104], v82 offset:632
	v_add_f32_e32 v108, v114, v108
	v_add_f32_e32 v106, v106, v111
	;; [unrolled: 1-line block ×4, first 2 shown]
	s_waitcnt vmcnt(19) lgkmcnt(5)
	v_mul_f32_e32 v115, v84, v116
	v_mul_f32_e32 v117, v83, v116
	s_waitcnt vmcnt(18)
	v_mul_f32_e32 v116, v86, v137
	v_add_f32_e32 v107, v107, v109
	v_add_f32_e32 v106, v106, v113
	v_fma_f32 v83, v83, v126, -v115
	v_mul_f32_e32 v119, v85, v137
	v_fmac_f32_e32 v117, v84, v126
	v_add_f32_e32 v107, v107, v110
	s_waitcnt vmcnt(17) lgkmcnt(4)
	v_mul_f32_e32 v115, v92, v138
	v_fma_f32 v85, v85, v125, -v116
	v_add_f32_e32 v83, v106, v83
	v_mul_f32_e32 v114, v91, v138
	v_fmac_f32_e32 v119, v86, v125
	v_add_f32_e32 v86, v107, v117
	s_waitcnt vmcnt(16)
	v_mul_f32_e32 v106, v94, v139
	v_fma_f32 v91, v91, v118, -v115
	v_add_f32_e32 v83, v83, v85
	v_mul_f32_e32 v111, v93, v139
	v_fmac_f32_e32 v114, v92, v118
	v_add_f32_e32 v85, v86, v119
	s_waitcnt vmcnt(15) lgkmcnt(3)
	v_mul_f32_e32 v86, v96, v141
	s_waitcnt vmcnt(5)
	v_fma_f32 v92, v93, v153, -v106
	v_add_f32_e32 v83, v83, v91
	v_mul_f32_e32 v120, v95, v141
	v_fmac_f32_e32 v111, v94, v153
	v_add_f32_e32 v85, v85, v114
	v_mul_f32_e32 v91, v98, v149
	v_fma_f32 v86, v95, v152, -v86
	v_add_f32_e32 v83, v83, v92
	v_mul_f32_e32 v108, v97, v149
	v_fmac_f32_e32 v120, v96, v152
	v_add_f32_e32 v85, v85, v111
	s_waitcnt lgkmcnt(2)
	v_mul_f32_e32 v92, v100, v150
	v_fma_f32 v91, v97, v151, -v91
	v_add_f32_e32 v83, v83, v86
	v_mul_f32_e32 v112, v99, v150
	v_fmac_f32_e32 v108, v98, v151
	v_add_f32_e32 v85, v85, v120
	v_mul_f32_e32 v86, v102, v142
	v_fma_f32 v92, v99, v146, -v92
	v_add_f32_e32 v83, v83, v91
	v_mul_f32_e32 v84, v101, v142
	v_fmac_f32_e32 v112, v100, v146
	v_add_f32_e32 v85, v85, v108
	s_waitcnt lgkmcnt(1)
	v_mul_f32_e32 v91, v88, v143
	s_waitcnt vmcnt(1)
	v_fma_f32 v86, v101, v133, -v86
	v_add_f32_e32 v83, v83, v92
	v_mul_f32_e32 v109, v87, v143
	v_fmac_f32_e32 v84, v102, v133
	v_add_f32_e32 v85, v85, v112
	v_mul_f32_e32 v92, v90, v144
	v_fma_f32 v87, v87, v132, -v91
	v_add_f32_e32 v83, v83, v86
	v_mul_f32_e32 v113, v89, v144
	v_fmac_f32_e32 v109, v88, v132
	v_add_f32_e32 v84, v85, v84
	s_waitcnt lgkmcnt(0)
	v_mul_f32_e32 v85, v104, v145
	v_fma_f32 v86, v89, v131, -v92
	v_add_f32_e32 v83, v83, v87
	v_mul_f32_e32 v110, v103, v145
	v_fmac_f32_e32 v113, v90, v131
	v_add_f32_e32 v84, v84, v109
	v_fma_f32 v85, v103, v130, -v85
	v_add_f32_e32 v83, v83, v86
	v_fmac_f32_e32 v110, v104, v130
	v_add_f32_e32 v84, v84, v113
	v_add_f32_e32 v83, v83, v85
	v_add_f32_e32 v84, v84, v110
	s_waitcnt vmcnt(0)
	v_sub_f32_e32 v83, v105, v83
	v_sub_f32_e32 v84, v140, v84
	buffer_store_dword v83, off, s[0:3], 0 offset:32
	buffer_store_dword v84, off, s[0:3], 0 offset:36
	v_cmpx_lt_u32_e32 3, v0
	s_cbranch_execz .LBB39_247
; %bb.246:
	s_clause 0x1
	buffer_load_dword v83, off, s[0:3], 0 offset:24
	buffer_load_dword v84, off, s[0:3], 0 offset:28
	buffer_store_dword v82, off, s[0:3], 0 offset:24
	buffer_store_dword v82, off, s[0:3], 0 offset:28
	s_waitcnt vmcnt(0)
	ds_write_b64 v81, v[83:84]
.LBB39_247:
	s_or_b32 exec_lo, exec_lo, s4
	s_waitcnt lgkmcnt(0)
	s_waitcnt_vscnt null, 0x0
	s_barrier
	buffer_gl0_inv
	s_clause 0x2a
	buffer_load_dword v89, off, s[0:3], 0 offset:36
	buffer_load_dword v90, off, s[0:3], 0 offset:44
	;; [unrolled: 1-line block ×43, first 2 shown]
	ds_read_b128 v[122:125], v82 offset:352
	ds_read_b128 v[126:129], v82 offset:368
	ds_read_b128 v[130:133], v82 offset:384
	buffer_load_dword v140, off, s[0:3], 0 offset:28
	s_mov_b32 s4, exec_lo
	s_waitcnt vmcnt(43) lgkmcnt(2)
	v_mul_f32_e32 v138, v122, v89
	s_waitcnt vmcnt(42)
	v_mul_f32_e32 v139, v124, v90
	v_mul_f32_e32 v89, v123, v89
	v_mul_f32_e32 v90, v125, v90
	s_waitcnt vmcnt(39)
	v_fmac_f32_e32 v138, v123, v87
	v_fmac_f32_e32 v139, v125, v86
	v_fma_f32 v141, v122, v87, -v89
	v_fma_f32 v142, v124, v86, -v90
	ds_read_b128 v[122:125], v82 offset:400
	s_waitcnt vmcnt(38) lgkmcnt(2)
	v_mul_f32_e32 v143, v126, v84
	s_waitcnt vmcnt(37)
	v_mul_f32_e32 v144, v128, v85
	v_mul_f32_e32 v84, v127, v84
	;; [unrolled: 1-line block ×3, first 2 shown]
	s_waitcnt vmcnt(32) lgkmcnt(1)
	v_mul_f32_e32 v87, v131, v95
	v_fmac_f32_e32 v143, v127, v83
	v_fmac_f32_e32 v144, v129, v97
	v_fma_f32 v126, v126, v83, -v84
	v_fma_f32 v127, v128, v97, -v85
	ds_read_b128 v[83:86], v82 offset:416
	v_mul_f32_e32 v128, v130, v95
	s_waitcnt vmcnt(31)
	v_mul_f32_e32 v129, v132, v96
	v_mul_f32_e32 v89, v133, v96
	v_fma_f32 v130, v130, v94, -v87
	v_fmac_f32_e32 v128, v131, v94
	v_fmac_f32_e32 v129, v133, v91
	v_fma_f32 v131, v132, v91, -v89
	ds_read_b128 v[94:97], v82 offset:432
	s_waitcnt vmcnt(30) lgkmcnt(2)
	v_mul_f32_e32 v132, v122, v92
	s_waitcnt vmcnt(29)
	v_mul_f32_e32 v133, v124, v93
	v_mul_f32_e32 v87, v123, v92
	;; [unrolled: 1-line block ×3, first 2 shown]
	v_fmac_f32_e32 v132, v123, v88
	s_waitcnt vmcnt(25)
	v_fmac_f32_e32 v133, v125, v105
	v_fma_f32 v122, v122, v88, -v87
	v_fma_f32 v105, v124, v105, -v89
	ds_read_b128 v[87:90], v82 offset:448
	s_waitcnt vmcnt(24) lgkmcnt(2)
	v_mul_f32_e32 v123, v83, v103
	s_waitcnt vmcnt(23)
	v_mul_f32_e32 v124, v85, v104
	v_mul_f32_e32 v91, v84, v103
	v_mul_f32_e32 v92, v86, v104
	v_fmac_f32_e32 v123, v84, v102
	v_fmac_f32_e32 v124, v86, v99
	v_fma_f32 v102, v83, v102, -v91
	v_fma_f32 v99, v85, v99, -v92
	ds_read_b128 v[83:86], v82 offset:464
	s_waitcnt vmcnt(22) lgkmcnt(2)
	v_mul_f32_e32 v103, v94, v100
	v_mul_f32_e32 v91, v95, v100
	s_waitcnt vmcnt(21)
	v_mul_f32_e32 v104, v96, v101
	v_mul_f32_e32 v92, v97, v101
	v_fmac_f32_e32 v103, v95, v98
	v_fma_f32 v95, v94, v98, -v91
	s_waitcnt vmcnt(17)
	v_fmac_f32_e32 v104, v97, v113
	v_fma_f32 v96, v96, v113, -v92
	s_waitcnt vmcnt(15) lgkmcnt(1)
	v_mul_f32_e32 v98, v89, v112
	v_mul_f32_e32 v100, v88, v111
	;; [unrolled: 1-line block ×3, first 2 shown]
	ds_read_b128 v[91:94], v82 offset:480
	v_mul_f32_e32 v97, v87, v111
	v_fmac_f32_e32 v98, v90, v107
	v_fma_f32 v87, v87, v110, -v100
	v_fma_f32 v100, v89, v107, -v101
	s_clause 0x1
	buffer_load_dword v101, off, s[0:3], 0 offset:196
	buffer_load_dword v107, off, s[0:3], 0 offset:204
	v_fmac_f32_e32 v97, v88, v110
	s_waitcnt vmcnt(16) lgkmcnt(1)
	v_mul_f32_e32 v110, v83, v108
	s_waitcnt vmcnt(15)
	v_mul_f32_e32 v111, v85, v109
	v_mul_f32_e32 v88, v84, v108
	;; [unrolled: 1-line block ×3, first 2 shown]
	buffer_load_dword v109, off, s[0:3], 0 offset:212
	v_fmac_f32_e32 v110, v84, v106
	s_waitcnt vmcnt(12)
	v_fmac_f32_e32 v111, v86, v121
	v_fma_f32 v106, v83, v106, -v88
	v_fma_f32 v108, v85, v121, -v89
	ds_read_b128 v[83:86], v82 offset:496
	s_waitcnt vmcnt(11) lgkmcnt(1)
	v_mul_f32_e32 v112, v91, v119
	s_waitcnt vmcnt(10)
	v_mul_f32_e32 v113, v93, v120
	v_mul_f32_e32 v88, v92, v119
	;; [unrolled: 1-line block ×3, first 2 shown]
	s_clause 0x5
	buffer_load_dword v119, off, s[0:3], 0 offset:220
	buffer_load_dword v120, off, s[0:3], 0 offset:240
	;; [unrolled: 1-line block ×6, first 2 shown]
	v_fmac_f32_e32 v112, v92, v118
	v_fma_f32 v118, v91, v118, -v88
	v_fmac_f32_e32 v113, v94, v117
	v_fma_f32 v117, v93, v117, -v89
	s_waitcnt vmcnt(15) lgkmcnt(0)
	v_mul_f32_e32 v146, v83, v116
	v_mul_f32_e32 v88, v84, v116
	s_waitcnt vmcnt(14)
	v_mul_f32_e32 v116, v85, v115
	v_fmac_f32_e32 v146, v84, v114
	v_add_f32_e32 v84, 0, v138
	v_fma_f32 v114, v83, v114, -v88
	v_add_f32_e32 v83, 0, v141
	v_mul_f32_e32 v88, v86, v115
	s_clause 0x1
	buffer_load_dword v115, off, s[0:3], 0 offset:236
	buffer_load_dword v138, off, s[0:3], 0 offset:244
	v_add_f32_e32 v84, v84, v139
	v_add_f32_e32 v83, v83, v142
	buffer_load_dword v139, off, s[0:3], 0 offset:252
	s_waitcnt vmcnt(13)
	v_fmac_f32_e32 v116, v86, v137
	v_fma_f32 v137, v85, v137, -v88
	v_add_f32_e32 v84, v84, v143
	v_add_f32_e32 v83, v83, v126
	s_clause 0x2
	buffer_load_dword v126, off, s[0:3], 0 offset:260
	buffer_load_dword v141, off, s[0:3], 0 offset:268
	;; [unrolled: 1-line block ×3, first 2 shown]
	v_add_f32_e32 v84, v84, v144
	v_add_f32_e32 v83, v83, v127
	s_clause 0x3
	buffer_load_dword v127, off, s[0:3], 0 offset:284
	buffer_load_dword v143, off, s[0:3], 0 offset:292
	;; [unrolled: 1-line block ×4, first 2 shown]
	v_add_f32_e32 v84, v84, v128
	v_add_f32_e32 v83, v83, v130
	buffer_load_dword v128, off, s[0:3], 0 offset:316
	v_add_f32_e32 v84, v84, v129
	v_add_f32_e32 v83, v83, v131
	s_clause 0x3
	buffer_load_dword v129, off, s[0:3], 0 offset:272
	buffer_load_dword v130, off, s[0:3], 0 offset:264
	;; [unrolled: 1-line block ×4, first 2 shown]
	v_add_f32_e32 v84, v84, v132
	v_add_f32_e32 v83, v83, v122
	;; [unrolled: 1-line block ×3, first 2 shown]
	s_clause 0x4
	buffer_load_dword v122, off, s[0:3], 0 offset:304
	buffer_load_dword v132, off, s[0:3], 0 offset:296
	;; [unrolled: 1-line block ×5, first 2 shown]
	v_add_f32_e32 v83, v83, v105
	v_add_f32_e32 v84, v84, v123
	buffer_load_dword v123, off, s[0:3], 0 offset:312
	v_add_f32_e32 v83, v83, v102
	v_add_f32_e32 v84, v84, v124
	;; [unrolled: 1-line block ×5, first 2 shown]
	ds_read_b128 v[83:86], v82 offset:512
	v_add_f32_e32 v88, v88, v104
	v_add_f32_e32 v89, v89, v96
	;; [unrolled: 1-line block ×4, first 2 shown]
	ds_read_b128 v[87:90], v82 offset:528
	v_add_f32_e32 v91, v91, v98
	v_add_f32_e32 v92, v92, v100
	;; [unrolled: 1-line block ×11, first 2 shown]
	s_waitcnt vmcnt(29) lgkmcnt(1)
	v_mul_f32_e32 v103, v83, v101
	v_mul_f32_e32 v93, v84, v101
	s_waitcnt vmcnt(28)
	v_mul_f32_e32 v124, v85, v107
	v_mul_f32_e32 v94, v86, v107
	v_fmac_f32_e32 v103, v84, v136
	v_fma_f32 v107, v83, v136, -v93
	v_fmac_f32_e32 v124, v86, v135
	v_fma_f32 v110, v85, v135, -v94
	ds_read_b128 v[83:86], v82 offset:544
	ds_read_b128 v[91:94], v82 offset:560
	s_waitcnt vmcnt(27) lgkmcnt(2)
	v_mul_f32_e32 v111, v87, v109
	v_mul_f32_e32 v97, v88, v109
	v_fmac_f32_e32 v111, v88, v134
	v_add_f32_e32 v88, v96, v113
	v_fma_f32 v109, v87, v134, -v97
	s_waitcnt vmcnt(26)
	v_mul_f32_e32 v108, v89, v119
	v_mul_f32_e32 v98, v90, v119
	v_add_f32_e32 v100, v88, v146
	s_waitcnt vmcnt(22)
	v_fmac_f32_e32 v108, v90, v145
	v_fma_f32 v112, v89, v145, -v98
	v_add_f32_e32 v106, v100, v116
	ds_read_b128 v[87:90], v82 offset:576
	ds_read_b128 v[95:98], v82 offset:592
	s_waitcnt vmcnt(21) lgkmcnt(3)
	v_mul_f32_e32 v113, v83, v147
	v_mul_f32_e32 v105, v84, v147
	ds_read_b128 v[99:102], v82 offset:608
	v_fmac_f32_e32 v113, v84, v125
	v_fma_f32 v83, v83, v125, -v105
	v_add_f32_e32 v84, v106, v103
	ds_read_b128 v[103:106], v82 offset:624
	v_add_f32_e32 v82, v114, v107
	v_add_f32_e32 v84, v84, v124
	s_waitcnt vmcnt(20)
	v_mul_f32_e32 v114, v86, v115
	v_add_f32_e32 v82, v82, v110
	v_mul_f32_e32 v107, v85, v115
	s_waitcnt vmcnt(19) lgkmcnt(4)
	v_mul_f32_e32 v116, v92, v138
	v_add_f32_e32 v84, v84, v111
	v_fma_f32 v85, v85, v121, -v114
	v_add_f32_e32 v82, v82, v109
	v_mul_f32_e32 v115, v91, v138
	v_fmac_f32_e32 v107, v86, v121
	v_add_f32_e32 v84, v84, v108
	s_waitcnt vmcnt(18)
	v_mul_f32_e32 v108, v94, v139
	v_add_f32_e32 v82, v82, v112
	v_fma_f32 v91, v91, v120, -v116
	v_mul_f32_e32 v110, v93, v139
	v_fmac_f32_e32 v115, v92, v120
	s_waitcnt vmcnt(17) lgkmcnt(3)
	v_mul_f32_e32 v86, v87, v126
	v_add_f32_e32 v82, v82, v83
	v_add_f32_e32 v83, v84, v113
	s_waitcnt vmcnt(16)
	v_mul_f32_e32 v114, v89, v141
	s_waitcnt vmcnt(15) lgkmcnt(2)
	v_mul_f32_e32 v109, v95, v142
	s_waitcnt vmcnt(14)
	v_mul_f32_e32 v111, v97, v127
	v_add_f32_e32 v82, v82, v85
	v_add_f32_e32 v83, v83, v107
	v_mul_f32_e32 v85, v88, v126
	s_waitcnt vmcnt(6)
	v_fma_f32 v92, v93, v149, -v108
	v_fmac_f32_e32 v110, v94, v149
	v_add_f32_e32 v82, v82, v91
	v_add_f32_e32 v83, v83, v115
	v_mul_f32_e32 v91, v90, v141
	v_fma_f32 v85, v87, v131, -v85
	v_fmac_f32_e32 v86, v88, v131
	v_add_f32_e32 v82, v82, v92
	v_add_f32_e32 v83, v83, v110
	v_mul_f32_e32 v87, v96, v142
	;; [unrolled: 5-line block ×3, first 2 shown]
	v_fma_f32 v86, v95, v129, -v87
	v_fmac_f32_e32 v109, v96, v129
	v_add_f32_e32 v82, v82, v88
	v_add_f32_e32 v83, v83, v114
	s_waitcnt lgkmcnt(1)
	v_mul_f32_e32 v87, v100, v143
	s_waitcnt vmcnt(2)
	v_fma_f32 v85, v97, v150, -v85
	v_mul_f32_e32 v117, v99, v143
	v_add_f32_e32 v82, v82, v86
	v_fmac_f32_e32 v111, v98, v150
	v_add_f32_e32 v83, v83, v109
	v_mul_f32_e32 v86, v102, v144
	v_fma_f32 v87, v99, v133, -v87
	v_add_f32_e32 v82, v82, v85
	v_mul_f32_e32 v112, v101, v144
	v_fmac_f32_e32 v117, v100, v133
	v_add_f32_e32 v83, v83, v111
	s_waitcnt lgkmcnt(0)
	v_mul_f32_e32 v85, v104, v148
	v_fma_f32 v86, v101, v132, -v86
	v_add_f32_e32 v82, v82, v87
	v_mul_f32_e32 v118, v103, v148
	v_fmac_f32_e32 v112, v102, v132
	v_add_f32_e32 v83, v83, v117
	v_mul_f32_e32 v87, v106, v128
	v_fma_f32 v85, v103, v122, -v85
	v_add_f32_e32 v82, v82, v86
	v_mul_f32_e32 v84, v105, v128
	v_fmac_f32_e32 v118, v104, v122
	v_add_f32_e32 v83, v83, v112
	s_waitcnt vmcnt(0)
	v_fma_f32 v86, v105, v123, -v87
	v_add_f32_e32 v82, v82, v85
	v_fmac_f32_e32 v84, v106, v123
	v_add_f32_e32 v83, v83, v118
	v_add_f32_e32 v82, v82, v86
	;; [unrolled: 1-line block ×3, first 2 shown]
	v_sub_f32_e32 v82, v151, v82
	v_sub_f32_e32 v83, v140, v83
	buffer_store_dword v82, off, s[0:3], 0 offset:24
	buffer_store_dword v83, off, s[0:3], 0 offset:28
	v_cmpx_lt_u32_e32 2, v0
	s_cbranch_execz .LBB39_249
; %bb.248:
	s_clause 0x1
	buffer_load_dword v82, off, s[0:3], 0 offset:16
	buffer_load_dword v83, off, s[0:3], 0 offset:20
	v_mov_b32_e32 v84, 0
	buffer_store_dword v84, off, s[0:3], 0 offset:16
	buffer_store_dword v84, off, s[0:3], 0 offset:20
	s_waitcnt vmcnt(0)
	ds_write_b64 v81, v[82:83]
.LBB39_249:
	s_or_b32 exec_lo, exec_lo, s4
	s_waitcnt lgkmcnt(0)
	s_waitcnt_vscnt null, 0x0
	s_barrier
	buffer_gl0_inv
	s_clause 0x2b
	buffer_load_dword v121, off, s[0:3], 0 offset:28
	buffer_load_dword v83, off, s[0:3], 0 offset:40
	;; [unrolled: 1-line block ×44, first 2 shown]
	v_mov_b32_e32 v82, 0
	ds_read2_b64 v[122:125], v82 offset0:43 offset1:44
	ds_read2_b64 v[126:129], v82 offset0:45 offset1:46
	;; [unrolled: 1-line block ×3, first 2 shown]
	buffer_load_dword v140, off, s[0:3], 0 offset:20
	s_mov_b32 s4, exec_lo
	s_waitcnt vmcnt(44) lgkmcnt(2)
	v_mul_f32_e32 v139, v122, v121
	v_mul_f32_e32 v121, v123, v121
	s_waitcnt vmcnt(40)
	v_mul_f32_e32 v142, v124, v90
	v_mul_f32_e32 v90, v125, v90
	v_fmac_f32_e32 v139, v123, v91
	v_fma_f32 v141, v122, v91, -v121
	s_waitcnt vmcnt(39) lgkmcnt(1)
	v_mul_f32_e32 v144, v126, v88
	v_fmac_f32_e32 v142, v125, v86
	v_fma_f32 v143, v124, v86, -v90
	v_mul_f32_e32 v86, v127, v88
	ds_read2_b64 v[121:124], v82 offset0:49 offset1:50
	v_fmac_f32_e32 v144, v127, v83
	s_waitcnt vmcnt(38)
	v_mul_f32_e32 v146, v128, v85
	s_waitcnt vmcnt(33) lgkmcnt(1)
	v_mul_f32_e32 v147, v130, v94
	v_fma_f32 v145, v126, v83, -v86
	v_mul_f32_e32 v83, v129, v85
	v_fmac_f32_e32 v146, v129, v95
	v_fmac_f32_e32 v147, v131, v92
	v_fma_f32 v129, v128, v95, -v83
	v_mul_f32_e32 v83, v131, v94
	ds_read2_b64 v[125:128], v82 offset0:51 offset1:52
	s_waitcnt vmcnt(32)
	v_mul_f32_e32 v131, v132, v93
	v_fma_f32 v130, v130, v92, -v83
	v_mul_f32_e32 v83, v133, v93
	v_fmac_f32_e32 v131, v133, v87
	s_waitcnt vmcnt(31) lgkmcnt(1)
	v_mul_f32_e32 v133, v121, v89
	v_fma_f32 v132, v132, v87, -v83
	v_mul_f32_e32 v83, v122, v89
	ds_read2_b64 v[85:88], v82 offset0:53 offset1:54
	v_fmac_f32_e32 v133, v122, v84
	s_waitcnt vmcnt(30)
	v_mul_f32_e32 v122, v123, v96
	ds_read2_b64 v[89:92], v82 offset0:55 offset1:56
	v_fma_f32 v121, v121, v84, -v83
	v_mul_f32_e32 v83, v124, v96
	ds_read2_b64 v[93:96], v82 offset0:57 offset1:58
	s_waitcnt vmcnt(26)
	v_fmac_f32_e32 v122, v124, v104
	v_fma_f32 v104, v123, v104, -v83
	s_waitcnt vmcnt(25) lgkmcnt(3)
	v_mul_f32_e32 v123, v125, v103
	v_mul_f32_e32 v83, v126, v103
	s_waitcnt vmcnt(24)
	v_mul_f32_e32 v103, v127, v101
	v_fmac_f32_e32 v123, v126, v100
	v_fma_f32 v100, v125, v100, -v83
	v_mul_f32_e32 v83, v128, v101
	v_fmac_f32_e32 v103, v128, v98
	s_waitcnt vmcnt(23) lgkmcnt(2)
	v_mul_f32_e32 v101, v85, v99
	v_fma_f32 v98, v127, v98, -v83
	v_mul_f32_e32 v83, v86, v99
	v_fmac_f32_e32 v101, v86, v97
	s_waitcnt vmcnt(22)
	v_mul_f32_e32 v99, v87, v102
	v_fma_f32 v97, v85, v97, -v83
	v_mul_f32_e32 v83, v88, v102
	s_waitcnt vmcnt(18)
	v_fmac_f32_e32 v99, v88, v113
	s_waitcnt vmcnt(14) lgkmcnt(0)
	v_mul_f32_e32 v88, v96, v110
	v_fma_f32 v102, v87, v113, -v83
	v_mul_f32_e32 v113, v89, v112
	v_mul_f32_e32 v83, v90, v112
	;; [unrolled: 1-line block ×5, first 2 shown]
	v_fmac_f32_e32 v113, v90, v109
	v_fma_f32 v109, v89, v109, -v83
	ds_read2_b64 v[83:86], v82 offset0:59 offset1:60
	v_fmac_f32_e32 v112, v92, v106
	v_fma_f32 v91, v91, v106, -v87
	s_clause 0x2
	buffer_load_dword v92, off, s[0:3], 0 offset:196
	buffer_load_dword v106, off, s[0:3], 0 offset:204
	;; [unrolled: 1-line block ×3, first 2 shown]
	v_mul_f32_e32 v87, v94, v107
	v_mul_f32_e32 v107, v95, v110
	v_add_f32_e32 v89, 0, v139
	v_fmac_f32_e32 v111, v94, v105
	s_waitcnt vmcnt(13)
	v_fma_f32 v94, v95, v120, -v88
	v_fma_f32 v93, v93, v105, -v87
	v_fmac_f32_e32 v107, v96, v120
	v_add_f32_e32 v96, v89, v142
	ds_read2_b64 v[87:90], v82 offset0:61 offset1:62
	v_add_f32_e32 v95, 0, v141
	v_add_f32_e32 v96, v96, v144
	;; [unrolled: 1-line block ×3, first 2 shown]
	s_waitcnt vmcnt(12) lgkmcnt(1)
	v_mul_f32_e32 v105, v83, v119
	v_mul_f32_e32 v110, v84, v119
	s_clause 0x3
	buffer_load_dword v119, off, s[0:3], 0 offset:232
	buffer_load_dword v120, off, s[0:3], 0 offset:224
	;; [unrolled: 1-line block ×4, first 2 shown]
	v_fmac_f32_e32 v105, v84, v118
	v_fma_f32 v110, v83, v118, -v110
	s_clause 0x1
	buffer_load_dword v118, off, s[0:3], 0 offset:220
	buffer_load_dword v127, off, s[0:3], 0 offset:228
	v_add_f32_e32 v83, v95, v145
	v_add_f32_e32 v84, v96, v146
	s_waitcnt vmcnt(17)
	v_mul_f32_e32 v95, v85, v117
	v_mul_f32_e32 v96, v86, v117
	buffer_load_dword v117, off, s[0:3], 0 offset:236
	v_add_f32_e32 v83, v83, v129
	v_add_f32_e32 v84, v84, v147
	v_fmac_f32_e32 v95, v86, v115
	v_fma_f32 v96, v85, v115, -v96
	v_add_f32_e32 v115, v83, v130
	v_add_f32_e32 v131, v84, v131
	s_clause 0x3
	buffer_load_dword v128, off, s[0:3], 0 offset:244
	buffer_load_dword v129, off, s[0:3], 0 offset:252
	;; [unrolled: 1-line block ×4, first 2 shown]
	ds_read2_b64 v[83:86], v82 offset0:63 offset1:64
	v_add_f32_e32 v115, v115, v132
	s_waitcnt vmcnt(21) lgkmcnt(1)
	v_mul_f32_e32 v132, v87, v114
	v_mul_f32_e32 v114, v88, v114
	v_add_f32_e32 v131, v131, v133
	s_waitcnt vmcnt(20)
	v_mul_f32_e32 v133, v89, v116
	v_add_f32_e32 v115, v115, v121
	v_fmac_f32_e32 v132, v88, v108
	v_fma_f32 v108, v87, v108, -v114
	v_add_f32_e32 v87, v131, v122
	v_mul_f32_e32 v116, v90, v116
	v_add_f32_e32 v88, v115, v104
	s_clause 0x3
	buffer_load_dword v114, off, s[0:3], 0 offset:276
	buffer_load_dword v115, off, s[0:3], 0 offset:284
	;; [unrolled: 1-line block ×4, first 2 shown]
	s_waitcnt vmcnt(20)
	v_fmac_f32_e32 v133, v90, v137
	v_add_f32_e32 v87, v87, v123
	v_fma_f32 v104, v89, v137, -v116
	s_clause 0x5
	buffer_load_dword v116, off, s[0:3], 0 offset:308
	buffer_load_dword v123, off, s[0:3], 0 offset:264
	;; [unrolled: 1-line block ×6, first 2 shown]
	v_add_f32_e32 v88, v88, v100
	v_add_f32_e32 v87, v87, v103
	s_waitcnt vmcnt(25) lgkmcnt(0)
	v_mul_f32_e32 v103, v83, v138
	v_add_f32_e32 v98, v88, v98
	v_add_f32_e32 v100, v87, v101
	ds_read2_b64 v[87:90], v82 offset0:65 offset1:66
	v_fmac_f32_e32 v103, v84, v136
	v_add_f32_e32 v97, v98, v97
	v_mul_f32_e32 v98, v84, v138
	v_add_f32_e32 v99, v100, v99
	v_fma_f32 v100, v83, v136, -v98
	v_add_f32_e32 v84, v99, v113
	s_clause 0x3
	buffer_load_dword v113, off, s[0:3], 0 offset:296
	buffer_load_dword v136, off, s[0:3], 0 offset:288
	;; [unrolled: 1-line block ×4, first 2 shown]
	v_add_f32_e32 v83, v97, v102
	v_add_f32_e32 v84, v84, v112
	;; [unrolled: 1-line block ×3, first 2 shown]
	s_clause 0x2
	buffer_load_dword v109, off, s[0:3], 0 offset:312
	buffer_load_dword v112, off, s[0:3], 0 offset:304
	;; [unrolled: 1-line block ×3, first 2 shown]
	v_add_f32_e32 v83, v83, v91
	v_add_f32_e32 v91, v84, v111
	;; [unrolled: 1-line block ×4, first 2 shown]
	s_waitcnt vmcnt(30)
	v_mul_f32_e32 v111, v85, v92
	v_mul_f32_e32 v84, v86, v92
	v_add_f32_e32 v92, v83, v93
	s_waitcnt vmcnt(28) lgkmcnt(0)
	v_mul_f32_e32 v101, v90, v124
	v_mul_f32_e32 v107, v87, v106
	v_fmac_f32_e32 v111, v86, v135
	v_fma_f32 v135, v85, v135, -v84
	ds_read2_b64 v[83:86], v82 offset0:67 offset1:68
	v_add_f32_e32 v92, v92, v94
	v_mul_f32_e32 v97, v88, v106
	v_mul_f32_e32 v106, v89, v124
	v_fmac_f32_e32 v107, v88, v134
	v_add_f32_e32 v99, v92, v110
	ds_read2_b64 v[91:94], v82 offset0:69 offset1:70
	v_fma_f32 v105, v87, v134, -v97
	v_add_f32_e32 v99, v99, v96
	s_waitcnt vmcnt(24)
	v_fma_f32 v110, v89, v126, -v101
	v_add_f32_e32 v101, v98, v95
	v_fmac_f32_e32 v106, v90, v126
	v_add_f32_e32 v99, v99, v108
	ds_read2_b64 v[87:90], v82 offset0:71 offset1:72
	ds_read2_b64 v[95:98], v82 offset0:73 offset1:74
	v_add_f32_e32 v101, v101, v132
	s_waitcnt vmcnt(23) lgkmcnt(3)
	v_mul_f32_e32 v102, v84, v118
	v_mul_f32_e32 v108, v83, v118
	v_add_f32_e32 v99, v99, v104
	s_waitcnt vmcnt(22)
	v_mul_f32_e32 v118, v85, v127
	v_mul_f32_e32 v104, v86, v127
	v_fma_f32 v124, v83, v125, -v102
	v_add_f32_e32 v83, v101, v133
	v_fmac_f32_e32 v108, v84, v125
	v_add_f32_e32 v125, v99, v100
	v_fmac_f32_e32 v118, v86, v120
	v_fma_f32 v120, v85, v120, -v104
	v_add_f32_e32 v126, v83, v103
	s_waitcnt vmcnt(21) lgkmcnt(2)
	v_mul_f32_e32 v127, v91, v117
	v_add_f32_e32 v125, v125, v135
	v_mul_f32_e32 v117, v92, v117
	ds_read2_b64 v[99:102], v82 offset0:75 offset1:76
	ds_read2_b64 v[83:86], v82 offset0:77 offset1:78
	v_add_f32_e32 v111, v126, v111
	v_add_f32_e32 v105, v125, v105
	s_waitcnt vmcnt(20)
	v_mul_f32_e32 v125, v94, v128
	v_fma_f32 v91, v91, v119, -v117
	v_mul_f32_e32 v126, v93, v128
	v_add_f32_e32 v107, v111, v107
	v_add_f32_e32 v105, v105, v110
	v_fmac_f32_e32 v127, v92, v119
	s_waitcnt vmcnt(19) lgkmcnt(3)
	v_mul_f32_e32 v111, v87, v129
	v_mul_f32_e32 v119, v88, v129
	v_add_f32_e32 v106, v107, v106
	v_add_f32_e32 v105, v105, v124
	s_waitcnt vmcnt(8)
	v_fma_f32 v93, v93, v141, -v125
	v_fmac_f32_e32 v126, v94, v141
	v_fmac_f32_e32 v111, v88, v137
	v_add_f32_e32 v106, v106, v108
	v_add_f32_e32 v105, v105, v120
	v_fma_f32 v87, v87, v137, -v119
	v_mul_f32_e32 v110, v89, v130
	s_waitcnt lgkmcnt(2)
	v_mul_f32_e32 v128, v95, v139
	v_add_f32_e32 v106, v106, v118
	v_add_f32_e32 v91, v105, v91
	v_mul_f32_e32 v105, v90, v130
	v_fmac_f32_e32 v110, v90, v131
	v_mul_f32_e32 v90, v98, v114
	v_add_f32_e32 v94, v106, v127
	v_add_f32_e32 v88, v91, v93
	v_mul_f32_e32 v93, v96, v139
	v_fma_f32 v89, v89, v131, -v105
	v_mul_f32_e32 v107, v97, v114
	v_add_f32_e32 v91, v94, v126
	v_add_f32_e32 v87, v88, v87
	v_fmac_f32_e32 v128, v96, v123
	ds_read_b64 v[103:104], v82 offset:632
	s_waitcnt vmcnt(3)
	v_fma_f32 v90, v97, v143, -v90
	v_add_f32_e32 v88, v91, v111
	v_fma_f32 v91, v95, v123, -v93
	v_add_f32_e32 v87, v87, v89
	s_waitcnt lgkmcnt(2)
	v_mul_f32_e32 v89, v100, v115
	v_mul_f32_e32 v124, v99, v115
	v_add_f32_e32 v88, v88, v110
	v_fmac_f32_e32 v107, v98, v143
	v_add_f32_e32 v87, v87, v91
	v_mul_f32_e32 v91, v102, v121
	v_fma_f32 v89, v99, v138, -v89
	v_add_f32_e32 v88, v88, v128
	v_mul_f32_e32 v92, v101, v121
	v_add_f32_e32 v87, v87, v90
	v_fmac_f32_e32 v124, v100, v138
	s_waitcnt lgkmcnt(1)
	v_mul_f32_e32 v108, v83, v122
	v_add_f32_e32 v88, v88, v107
	v_mul_f32_e32 v90, v84, v122
	v_fma_f32 v91, v101, v136, -v91
	v_add_f32_e32 v87, v87, v89
	v_fmac_f32_e32 v92, v102, v136
	v_add_f32_e32 v88, v88, v124
	v_mul_f32_e32 v89, v86, v116
	v_fmac_f32_e32 v108, v84, v113
	v_fma_f32 v83, v83, v113, -v90
	v_add_f32_e32 v84, v87, v91
	v_mul_f32_e32 v117, v85, v116
	v_add_f32_e32 v87, v88, v92
	s_waitcnt lgkmcnt(0)
	v_mul_f32_e32 v88, v104, v142
	s_waitcnt vmcnt(1)
	v_fma_f32 v85, v85, v112, -v89
	v_add_f32_e32 v83, v84, v83
	v_mul_f32_e32 v118, v103, v142
	v_fmac_f32_e32 v117, v86, v112
	v_add_f32_e32 v84, v87, v108
	v_fma_f32 v86, v103, v109, -v88
	v_add_f32_e32 v83, v83, v85
	v_fmac_f32_e32 v118, v104, v109
	v_add_f32_e32 v84, v84, v117
	v_add_f32_e32 v83, v83, v86
	;; [unrolled: 1-line block ×3, first 2 shown]
	s_waitcnt vmcnt(0)
	v_sub_f32_e32 v83, v144, v83
	v_sub_f32_e32 v84, v140, v84
	buffer_store_dword v83, off, s[0:3], 0 offset:16
	buffer_store_dword v84, off, s[0:3], 0 offset:20
	v_cmpx_lt_u32_e32 1, v0
	s_cbranch_execz .LBB39_251
; %bb.250:
	s_clause 0x1
	buffer_load_dword v83, off, s[0:3], 0 offset:8
	buffer_load_dword v84, off, s[0:3], 0 offset:12
	buffer_store_dword v82, off, s[0:3], 0 offset:8
	buffer_store_dword v82, off, s[0:3], 0 offset:12
	s_waitcnt vmcnt(0)
	ds_write_b64 v81, v[83:84]
.LBB39_251:
	s_or_b32 exec_lo, exec_lo, s4
	s_waitcnt lgkmcnt(0)
	s_waitcnt_vscnt null, 0x0
	s_barrier
	buffer_gl0_inv
	s_clause 0x2b
	buffer_load_dword v121, off, s[0:3], 0 offset:20
	buffer_load_dword v83, off, s[0:3], 0 offset:32
	;; [unrolled: 1-line block ×44, first 2 shown]
	ds_read_b128 v[122:125], v82 offset:336
	ds_read_b128 v[126:129], v82 offset:352
	;; [unrolled: 1-line block ×3, first 2 shown]
	buffer_load_dword v140, off, s[0:3], 0 offset:12
	s_mov_b32 s4, exec_lo
	s_waitcnt vmcnt(44) lgkmcnt(2)
	v_mul_f32_e32 v139, v122, v121
	v_mul_f32_e32 v121, v123, v121
	s_waitcnt vmcnt(40)
	v_mul_f32_e32 v142, v124, v90
	v_mul_f32_e32 v90, v125, v90
	s_waitcnt vmcnt(39) lgkmcnt(1)
	v_mul_f32_e32 v144, v126, v88
	v_fmac_f32_e32 v139, v123, v91
	v_fma_f32 v141, v122, v91, -v121
	v_fmac_f32_e32 v142, v125, v86
	v_fma_f32 v143, v124, v86, -v90
	v_mul_f32_e32 v86, v127, v88
	ds_read_b128 v[121:124], v82 offset:384
	v_fmac_f32_e32 v144, v127, v83
	s_waitcnt vmcnt(38)
	v_mul_f32_e32 v146, v128, v85
	s_waitcnt vmcnt(33) lgkmcnt(1)
	v_mul_f32_e32 v147, v130, v94
	v_fma_f32 v145, v126, v83, -v86
	v_mul_f32_e32 v83, v129, v85
	v_fmac_f32_e32 v146, v129, v95
	v_fmac_f32_e32 v147, v131, v92
	v_fma_f32 v129, v128, v95, -v83
	v_mul_f32_e32 v83, v131, v94
	ds_read_b128 v[125:128], v82 offset:400
	s_waitcnt vmcnt(32)
	v_mul_f32_e32 v131, v132, v93
	v_fma_f32 v130, v130, v92, -v83
	v_mul_f32_e32 v83, v133, v93
	v_fmac_f32_e32 v131, v133, v87
	s_waitcnt vmcnt(31) lgkmcnt(1)
	v_mul_f32_e32 v133, v121, v89
	v_fma_f32 v132, v132, v87, -v83
	ds_read_b128 v[85:88], v82 offset:416
	v_mul_f32_e32 v83, v122, v89
	v_fmac_f32_e32 v133, v122, v84
	s_waitcnt vmcnt(30)
	v_mul_f32_e32 v122, v123, v96
	ds_read_b128 v[89:92], v82 offset:432
	v_fma_f32 v121, v121, v84, -v83
	v_mul_f32_e32 v83, v124, v96
	s_waitcnt vmcnt(26)
	v_fmac_f32_e32 v122, v124, v104
	s_waitcnt vmcnt(24) lgkmcnt(2)
	v_mul_f32_e32 v84, v128, v102
	ds_read_b128 v[93:96], v82 offset:448
	v_fma_f32 v104, v123, v104, -v83
	v_mul_f32_e32 v123, v125, v103
	v_mul_f32_e32 v83, v126, v103
	;; [unrolled: 1-line block ×3, first 2 shown]
	v_fmac_f32_e32 v123, v126, v100
	v_fma_f32 v100, v125, v100, -v83
	s_waitcnt vmcnt(23) lgkmcnt(2)
	v_mul_f32_e32 v102, v85, v99
	v_mul_f32_e32 v83, v86, v99
	s_waitcnt vmcnt(22)
	v_mul_f32_e32 v99, v87, v101
	v_fmac_f32_e32 v103, v128, v98
	v_fma_f32 v98, v127, v98, -v84
	v_fmac_f32_e32 v102, v86, v97
	v_fma_f32 v97, v85, v97, -v83
	v_mul_f32_e32 v83, v88, v101
	s_waitcnt vmcnt(18)
	v_fmac_f32_e32 v99, v88, v114
	s_waitcnt vmcnt(17) lgkmcnt(1)
	v_mul_f32_e32 v125, v89, v112
	s_waitcnt vmcnt(16)
	v_mul_f32_e32 v84, v92, v111
	s_waitcnt vmcnt(14) lgkmcnt(0)
	v_mul_f32_e32 v88, v96, v115
	v_fma_f32 v101, v87, v114, -v83
	s_clause 0x1
	buffer_load_dword v114, off, s[0:3], 0 offset:188
	buffer_load_dword v124, off, s[0:3], 0 offset:196
	v_mul_f32_e32 v83, v90, v112
	v_mul_f32_e32 v112, v91, v111
	;; [unrolled: 1-line block ×5, first 2 shown]
	v_fmac_f32_e32 v125, v90, v108
	v_fma_f32 v108, v89, v108, -v83
	v_fmac_f32_e32 v112, v92, v107
	v_fma_f32 v91, v91, v107, -v84
	ds_read_b128 v[83:86], v82 offset:464
	v_fma_f32 v92, v93, v105, -v87
	s_waitcnt vmcnt(12)
	v_fma_f32 v93, v95, v120, -v88
	v_add_f32_e32 v87, 0, v139
	v_add_f32_e32 v88, 0, v141
	v_fmac_f32_e32 v111, v94, v105
	v_fmac_f32_e32 v110, v96, v120
	s_clause 0x7
	buffer_load_dword v95, off, s[0:3], 0 offset:204
	buffer_load_dword v105, off, s[0:3], 0 offset:224
	;; [unrolled: 1-line block ×8, first 2 shown]
	v_add_f32_e32 v87, v87, v142
	v_add_f32_e32 v88, v88, v143
	;; [unrolled: 1-line block ×6, first 2 shown]
	ds_read_b128 v[87:90], v82 offset:480
	s_waitcnt vmcnt(19) lgkmcnt(1)
	v_mul_f32_e32 v129, v83, v119
	v_mul_f32_e32 v119, v84, v119
	v_add_f32_e32 v94, v94, v147
	v_add_f32_e32 v128, v128, v130
	s_waitcnt vmcnt(18)
	v_mul_f32_e32 v130, v85, v118
	v_mul_f32_e32 v118, v86, v118
	v_fmac_f32_e32 v129, v84, v117
	v_add_f32_e32 v84, v94, v131
	v_add_f32_e32 v94, v128, v132
	v_fma_f32 v117, v83, v117, -v119
	v_fmac_f32_e32 v130, v86, v116
	v_fma_f32 v116, v85, v116, -v118
	v_add_f32_e32 v83, v84, v133
	v_add_f32_e32 v84, v94, v121
	s_clause 0x7
	buffer_load_dword v118, off, s[0:3], 0 offset:236
	buffer_load_dword v119, off, s[0:3], 0 offset:244
	;; [unrolled: 1-line block ×8, first 2 shown]
	v_add_f32_e32 v83, v83, v122
	v_add_f32_e32 v84, v84, v104
	s_waitcnt vmcnt(25) lgkmcnt(0)
	v_mul_f32_e32 v85, v88, v113
	v_mul_f32_e32 v141, v87, v113
	s_clause 0x3
	buffer_load_dword v113, off, s[0:3], 0 offset:268
	buffer_load_dword v122, off, s[0:3], 0 offset:276
	;; [unrolled: 1-line block ×4, first 2 shown]
	v_add_f32_e32 v83, v83, v123
	s_clause 0x1
	buffer_load_dword v123, off, s[0:3], 0 offset:300
	buffer_load_dword v144, off, s[0:3], 0 offset:308
	v_fma_f32 v104, v87, v106, -v85
	v_add_f32_e32 v87, v84, v100
	s_waitcnt vmcnt(30)
	v_mul_f32_e32 v84, v90, v109
	v_fmac_f32_e32 v141, v88, v106
	v_mul_f32_e32 v100, v89, v109
	v_add_f32_e32 v88, v83, v103
	buffer_load_dword v109, off, s[0:3], 0 offset:316
	s_waitcnt vmcnt(27)
	v_fma_f32 v103, v89, v137, -v84
	ds_read_b128 v[83:86], v82 offset:496
	v_fmac_f32_e32 v100, v90, v137
	v_add_f32_e32 v88, v88, v102
	s_clause 0x3
	buffer_load_dword v137, off, s[0:3], 0 offset:288
	buffer_load_dword v145, off, s[0:3], 0 offset:280
	;; [unrolled: 1-line block ×4, first 2 shown]
	v_add_f32_e32 v87, v87, v98
	v_add_f32_e32 v88, v88, v99
	;; [unrolled: 1-line block ×7, first 2 shown]
	s_waitcnt vmcnt(30) lgkmcnt(0)
	v_mul_f32_e32 v99, v83, v138
	ds_read_b128 v[87:90], v82 offset:512
	v_mul_f32_e32 v98, v84, v138
	v_fmac_f32_e32 v99, v84, v136
	v_add_f32_e32 v84, v94, v111
	s_clause 0x3
	buffer_load_dword v108, off, s[0:3], 0 offset:312
	buffer_load_dword v111, off, s[0:3], 0 offset:304
	;; [unrolled: 1-line block ×4, first 2 shown]
	v_fma_f32 v101, v83, v136, -v98
	v_add_f32_e32 v83, v97, v91
	v_add_f32_e32 v84, v84, v110
	;; [unrolled: 1-line block ×14, first 2 shown]
	s_waitcnt vmcnt(32)
	v_mul_f32_e32 v102, v85, v114
	v_mul_f32_e32 v91, v86, v114
	s_waitcnt vmcnt(31) lgkmcnt(0)
	v_mul_f32_e32 v110, v87, v124
	v_mul_f32_e32 v114, v88, v124
	v_fmac_f32_e32 v102, v86, v135
	v_fma_f32 v106, v85, v135, -v91
	ds_read_b128 v[83:86], v82 offset:528
	ds_read_b128 v[91:94], v82 offset:544
	v_fmac_f32_e32 v110, v88, v134
	v_fma_f32 v114, v87, v134, -v114
	s_waitcnt vmcnt(30)
	v_mul_f32_e32 v116, v89, v95
	v_mul_f32_e32 v95, v90, v95
	s_waitcnt vmcnt(26)
	v_fmac_f32_e32 v116, v90, v96
	v_fma_f32 v124, v89, v96, -v95
	ds_read_b128 v[87:90], v82 offset:560
	ds_read_b128 v[95:98], v82 offset:576
	s_waitcnt vmcnt(25) lgkmcnt(3)
	v_mul_f32_e32 v117, v83, v120
	s_waitcnt vmcnt(24)
	v_mul_f32_e32 v129, v85, v126
	v_mul_f32_e32 v104, v84, v120
	v_mul_f32_e32 v120, v86, v126
	s_waitcnt vmcnt(23) lgkmcnt(2)
	v_mul_f32_e32 v126, v91, v127
	v_mul_f32_e32 v127, v92, v127
	v_fmac_f32_e32 v117, v84, v115
	v_fmac_f32_e32 v129, v86, v107
	v_fma_f32 v115, v83, v115, -v104
	v_fma_f32 v107, v85, v107, -v120
	v_add_f32_e32 v104, v99, v102
	v_add_f32_e32 v120, v103, v106
	ds_read_b128 v[83:86], v82 offset:592
	ds_read_b128 v[99:102], v82 offset:608
	v_fmac_f32_e32 v126, v92, v105
	v_fma_f32 v91, v91, v105, -v127
	v_add_f32_e32 v92, v104, v110
	ds_read_b128 v[103:106], v82 offset:624
	v_add_f32_e32 v82, v120, v114
	s_waitcnt vmcnt(22)
	v_mul_f32_e32 v114, v94, v118
	v_mul_f32_e32 v110, v93, v118
	v_add_f32_e32 v92, v92, v116
	s_waitcnt vmcnt(21) lgkmcnt(4)
	v_mul_f32_e32 v116, v87, v119
	v_add_f32_e32 v82, v82, v124
	v_mul_f32_e32 v119, v88, v119
	s_waitcnt vmcnt(15)
	v_fma_f32 v93, v93, v139, -v114
	v_add_f32_e32 v92, v92, v117
	v_fmac_f32_e32 v110, v94, v139
	v_add_f32_e32 v82, v82, v115
	v_fma_f32 v87, v87, v133, -v119
	v_mul_f32_e32 v118, v89, v121
	v_add_f32_e32 v92, v92, v129
	v_fmac_f32_e32 v116, v88, v133
	v_add_f32_e32 v82, v82, v107
	v_mul_f32_e32 v107, v90, v121
	s_waitcnt lgkmcnt(3)
	v_mul_f32_e32 v94, v95, v128
	v_fmac_f32_e32 v118, v90, v132
	s_waitcnt vmcnt(14)
	v_mul_f32_e32 v114, v97, v113
	v_add_f32_e32 v82, v82, v91
	v_add_f32_e32 v91, v92, v126
	v_fma_f32 v89, v89, v132, -v107
	v_fmac_f32_e32 v94, v96, v131
	s_waitcnt vmcnt(13) lgkmcnt(2)
	v_mul_f32_e32 v115, v83, v122
	v_add_f32_e32 v82, v82, v93
	v_add_f32_e32 v88, v91, v110
	v_mul_f32_e32 v91, v96, v128
	s_waitcnt vmcnt(4)
	v_fmac_f32_e32 v114, v98, v147
	v_mul_f32_e32 v117, v85, v142
	v_add_f32_e32 v82, v82, v87
	v_add_f32_e32 v87, v88, v116
	v_mul_f32_e32 v88, v98, v113
	v_fma_f32 v90, v95, v131, -v91
	v_fmac_f32_e32 v115, v84, v146
	v_add_f32_e32 v82, v82, v89
	v_add_f32_e32 v87, v87, v118
	v_mul_f32_e32 v89, v84, v122
	v_fma_f32 v88, v97, v147, -v88
	s_waitcnt lgkmcnt(1)
	v_mul_f32_e32 v120, v99, v143
	v_add_f32_e32 v82, v82, v90
	v_add_f32_e32 v87, v87, v94
	v_mul_f32_e32 v90, v86, v142
	v_fma_f32 v83, v83, v146, -v89
	v_fmac_f32_e32 v117, v86, v145
	v_add_f32_e32 v82, v82, v88
	v_add_f32_e32 v84, v87, v114
	v_mul_f32_e32 v87, v100, v143
	v_fma_f32 v85, v85, v145, -v90
	v_mul_f32_e32 v121, v101, v123
	v_add_f32_e32 v82, v82, v83
	v_add_f32_e32 v83, v84, v115
	v_mul_f32_e32 v84, v102, v123
	v_fma_f32 v86, v99, v137, -v87
	v_fmac_f32_e32 v120, v100, v137
	v_add_f32_e32 v82, v82, v85
	v_add_f32_e32 v83, v83, v117
	s_waitcnt lgkmcnt(0)
	v_mul_f32_e32 v85, v104, v144
	s_waitcnt vmcnt(1)
	v_fma_f32 v84, v101, v112, -v84
	v_mul_f32_e32 v124, v103, v144
	v_add_f32_e32 v82, v82, v86
	v_fmac_f32_e32 v121, v102, v112
	v_add_f32_e32 v83, v83, v120
	v_mul_f32_e32 v86, v106, v109
	v_fma_f32 v85, v103, v111, -v85
	v_add_f32_e32 v82, v82, v84
	v_mul_f32_e32 v92, v105, v109
	v_fmac_f32_e32 v124, v104, v111
	v_add_f32_e32 v83, v83, v121
	v_fma_f32 v84, v105, v108, -v86
	v_add_f32_e32 v82, v82, v85
	v_fmac_f32_e32 v92, v106, v108
	v_add_f32_e32 v83, v83, v124
	v_add_f32_e32 v82, v82, v84
	;; [unrolled: 1-line block ×3, first 2 shown]
	s_waitcnt vmcnt(0)
	v_sub_f32_e32 v82, v125, v82
	v_sub_f32_e32 v83, v140, v83
	buffer_store_dword v82, off, s[0:3], 0 offset:8
	buffer_store_dword v83, off, s[0:3], 0 offset:12
	v_cmpx_ne_u32_e32 0, v0
	s_cbranch_execz .LBB39_253
; %bb.252:
	s_clause 0x1
	buffer_load_dword v82, off, s[0:3], 0
	buffer_load_dword v83, off, s[0:3], 0 offset:4
	v_mov_b32_e32 v0, 0
	buffer_store_dword v0, off, s[0:3], 0
	buffer_store_dword v0, off, s[0:3], 0 offset:4
	s_waitcnt vmcnt(0)
	ds_write_b64 v81, v[82:83]
.LBB39_253:
	s_or_b32 exec_lo, exec_lo, s4
	s_waitcnt lgkmcnt(0)
	s_waitcnt_vscnt null, 0x0
	s_barrier
	buffer_gl0_inv
	s_clause 0x2c
	buffer_load_dword v119, off, s[0:3], 0 offset:12
	buffer_load_dword v0, off, s[0:3], 0 offset:24
	;; [unrolled: 1-line block ×45, first 2 shown]
	v_mov_b32_e32 v118, 0
	ds_read2_b64 v[120:123], v118 offset0:41 offset1:42
	ds_read2_b64 v[124:127], v118 offset0:43 offset1:44
	;; [unrolled: 1-line block ×3, first 2 shown]
	buffer_load_dword v139, off, s[0:3], 0 offset:4
	s_and_b32 vcc_lo, exec_lo, s22
	s_waitcnt vmcnt(45) lgkmcnt(2)
	v_mul_f32_e32 v138, v120, v119
	v_mul_f32_e32 v119, v121, v119
	s_waitcnt vmcnt(41)
	v_mul_f32_e32 v141, v122, v87
	v_mul_f32_e32 v87, v123, v87
	v_fmac_f32_e32 v138, v121, v88
	v_fma_f32 v140, v120, v88, -v119
	s_waitcnt vmcnt(40) lgkmcnt(1)
	v_mul_f32_e32 v143, v124, v85
	v_fmac_f32_e32 v141, v123, v83
	v_fma_f32 v142, v122, v83, -v87
	ds_read2_b64 v[119:122], v118 offset0:47 offset1:48
	v_mul_f32_e32 v83, v125, v85
	s_waitcnt vmcnt(39)
	v_mul_f32_e32 v144, v126, v82
	v_mul_f32_e32 v82, v127, v82
	v_fmac_f32_e32 v143, v125, v0
	s_waitcnt vmcnt(34) lgkmcnt(1)
	v_mul_f32_e32 v145, v128, v91
	v_fma_f32 v0, v124, v0, -v83
	v_fmac_f32_e32 v144, v127, v92
	v_fma_f32 v127, v126, v92, -v82
	v_mul_f32_e32 v82, v129, v91
	ds_read2_b64 v[123:126], v118 offset0:49 offset1:50
	v_fmac_f32_e32 v145, v129, v89
	s_waitcnt vmcnt(33)
	v_mul_f32_e32 v129, v130, v90
	v_fma_f32 v128, v128, v89, -v82
	v_mul_f32_e32 v82, v131, v90
	v_fmac_f32_e32 v129, v131, v84
	v_fma_f32 v130, v130, v84, -v82
	s_waitcnt vmcnt(32) lgkmcnt(1)
	v_mul_f32_e32 v131, v119, v86
	v_mul_f32_e32 v86, v120, v86
	ds_read2_b64 v[82:85], v118 offset0:51 offset1:52
	v_fmac_f32_e32 v131, v120, v81
	v_fma_f32 v119, v119, v81, -v86
	s_waitcnt vmcnt(31)
	v_mul_f32_e32 v120, v121, v93
	v_mul_f32_e32 v81, v122, v93
	ds_read2_b64 v[86:89], v118 offset0:53 offset1:54
	ds_read2_b64 v[90:93], v118 offset0:55 offset1:56
	s_waitcnt vmcnt(27)
	v_fmac_f32_e32 v120, v122, v101
	v_fma_f32 v101, v121, v101, -v81
	s_waitcnt vmcnt(26) lgkmcnt(3)
	v_mul_f32_e32 v121, v123, v100
	v_mul_f32_e32 v81, v124, v100
	s_waitcnt vmcnt(25)
	v_mul_f32_e32 v100, v125, v98
	v_fmac_f32_e32 v121, v124, v97
	v_fma_f32 v97, v123, v97, -v81
	v_mul_f32_e32 v81, v126, v98
	v_fmac_f32_e32 v100, v126, v95
	s_waitcnt vmcnt(24) lgkmcnt(2)
	v_mul_f32_e32 v98, v82, v96
	v_fma_f32 v95, v125, v95, -v81
	v_mul_f32_e32 v81, v83, v96
	v_fmac_f32_e32 v98, v83, v94
	s_waitcnt vmcnt(23)
	v_mul_f32_e32 v96, v84, v99
	v_fma_f32 v94, v82, v94, -v81
	v_mul_f32_e32 v81, v85, v99
	s_waitcnt vmcnt(19)
	v_fmac_f32_e32 v96, v85, v109
	s_waitcnt vmcnt(18) lgkmcnt(1)
	v_mul_f32_e32 v85, v87, v108
	v_fma_f32 v99, v84, v109, -v81
	v_mul_f32_e32 v109, v86, v108
	ds_read2_b64 v[81:84], v118 offset0:57 offset1:58
	s_waitcnt vmcnt(17)
	v_mul_f32_e32 v108, v88, v106
	v_fmac_f32_e32 v109, v87, v105
	v_fma_f32 v105, v86, v105, -v85
	v_mul_f32_e32 v85, v89, v106
	v_fmac_f32_e32 v108, v89, v103
	s_waitcnt vmcnt(16) lgkmcnt(1)
	v_mul_f32_e32 v106, v90, v104
	v_mul_f32_e32 v89, v91, v104
	s_waitcnt vmcnt(15)
	v_mul_f32_e32 v104, v92, v107
	v_fma_f32 v103, v88, v103, -v85
	ds_read2_b64 v[85:88], v118 offset0:59 offset1:60
	v_fmac_f32_e32 v106, v91, v102
	v_fma_f32 v102, v90, v102, -v89
	v_mul_f32_e32 v89, v93, v107
	s_waitcnt vmcnt(11)
	v_fmac_f32_e32 v104, v93, v116
	v_fma_f32 v93, v92, v116, -v89
	ds_read2_b64 v[89:92], v118 offset0:61 offset1:62
	s_waitcnt vmcnt(10) lgkmcnt(2)
	v_mul_f32_e32 v107, v81, v115
	v_mul_f32_e32 v115, v82, v115
	buffer_load_dword v116, off, s[0:3], 0 offset:188
	v_fmac_f32_e32 v107, v82, v113
	v_fma_f32 v113, v81, v113, -v115
	s_waitcnt vmcnt(10)
	v_mul_f32_e32 v115, v83, v114
	v_mul_f32_e32 v81, v84, v114
	s_waitcnt vmcnt(8) lgkmcnt(1)
	v_mul_f32_e32 v82, v88, v117
	v_mul_f32_e32 v114, v85, v112
	v_fmac_f32_e32 v115, v84, v111
	v_fma_f32 v111, v83, v111, -v81
	v_mul_f32_e32 v81, v86, v112
	v_mul_f32_e32 v112, v87, v117
	s_waitcnt vmcnt(4)
	v_fma_f32 v117, v87, v135, -v82
	buffer_load_dword v87, off, s[0:3], 0 offset:196
	v_fmac_f32_e32 v114, v86, v110
	v_fma_f32 v110, v85, v110, -v81
	ds_read2_b64 v[81:84], v118 offset0:63 offset1:64
	s_waitcnt vmcnt(4) lgkmcnt(1)
	v_mul_f32_e32 v122, v89, v136
	v_mul_f32_e32 v85, v90, v136
	s_waitcnt vmcnt(3)
	v_mul_f32_e32 v123, v91, v137
	v_mul_f32_e32 v86, v92, v137
	v_fmac_f32_e32 v112, v88, v135
	v_fmac_f32_e32 v122, v90, v134
	v_fma_f32 v124, v89, v134, -v85
	v_fmac_f32_e32 v123, v92, v133
	v_fma_f32 v125, v91, v133, -v86
	s_clause 0x7
	buffer_load_dword v126, off, s[0:3], 0 offset:216
	buffer_load_dword v89, off, s[0:3], 0 offset:208
	;; [unrolled: 1-line block ×8, first 2 shown]
	s_waitcnt vmcnt(9) lgkmcnt(0)
	v_mul_f32_e32 v86, v82, v116
	v_mul_f32_e32 v133, v81, v116
	v_fma_f32 v116, v81, v132, -v86
	v_fmac_f32_e32 v133, v82, v132
	v_add_f32_e32 v82, 0, v140
	v_add_f32_e32 v82, v82, v142
	s_waitcnt vmcnt(8)
	v_mul_f32_e32 v81, v84, v87
	v_mul_f32_e32 v132, v83, v87
	v_add_f32_e32 v0, v82, v0
	v_add_f32_e32 v0, v0, v127
	s_waitcnt vmcnt(4)
	v_fma_f32 v134, v83, v85, -v81
	v_add_f32_e32 v81, 0, v138
	v_add_f32_e32 v0, v0, v128
	v_fmac_f32_e32 v132, v84, v85
	v_add_f32_e32 v81, v81, v141
	s_clause 0x4
	buffer_load_dword v137, off, s[0:3], 0 offset:248
	buffer_load_dword v138, off, s[0:3], 0 offset:240
	;; [unrolled: 1-line block ×5, first 2 shown]
	v_add_f32_e32 v0, v0, v130
	v_add_f32_e32 v81, v81, v143
	buffer_load_dword v143, off, s[0:3], 0 offset:244
	v_add_f32_e32 v0, v0, v119
	v_add_f32_e32 v81, v81, v144
	s_clause 0x1
	buffer_load_dword v127, off, s[0:3], 0 offset:252
	buffer_load_dword v144, off, s[0:3], 0 offset:260
	v_add_f32_e32 v0, v0, v101
	v_add_f32_e32 v81, v81, v145
	s_clause 0x4
	buffer_load_dword v145, off, s[0:3], 0 offset:268
	buffer_load_dword v128, off, s[0:3], 0 offset:276
	buffer_load_dword v146, off, s[0:3], 0 offset:284
	buffer_load_dword v130, off, s[0:3], 0 offset:300
	buffer_load_dword v119, off, s[0:3], 0 offset:316
	v_add_f32_e32 v81, v81, v129
	buffer_load_dword v129, off, s[0:3], 0 offset:292
	v_add_f32_e32 v0, v0, v97
	v_add_f32_e32 v81, v81, v131
	buffer_load_dword v131, off, s[0:3], 0 offset:308
	v_add_f32_e32 v0, v0, v95
	v_add_f32_e32 v81, v81, v120
	;; [unrolled: 1-line block ×4, first 2 shown]
	s_clause 0x8
	buffer_load_dword v120, off, s[0:3], 0 offset:280
	buffer_load_dword v121, off, s[0:3], 0 offset:272
	;; [unrolled: 1-line block ×8, first 2 shown]
	buffer_load_dword v153, off, s[0:3], 0
	v_add_f32_e32 v0, v0, v99
	v_add_f32_e32 v81, v81, v100
	;; [unrolled: 1-line block ×8, first 2 shown]
	ds_read2_b64 v[81:84], v118 offset0:65 offset1:66
	v_add_f32_e32 v0, v0, v93
	v_add_f32_e32 v85, v85, v108
	;; [unrolled: 1-line block ×4, first 2 shown]
	ds_read2_b64 v[85:88], v118 offset0:67 offset1:68
	v_add_f32_e32 v0, v0, v111
	v_add_f32_e32 v93, v94, v104
	;; [unrolled: 1-line block ×4, first 2 shown]
	s_waitcnt vmcnt(27) lgkmcnt(1)
	v_mul_f32_e32 v103, v81, v91
	v_mul_f32_e32 v91, v82, v91
	s_waitcnt vmcnt(26)
	v_mul_f32_e32 v104, v83, v92
	v_add_f32_e32 v0, v0, v117
	v_mul_f32_e32 v92, v84, v92
	v_fmac_f32_e32 v103, v82, v90
	v_add_f32_e32 v82, v93, v115
	v_fma_f32 v105, v81, v90, -v91
	v_add_f32_e32 v0, v0, v124
	v_fmac_f32_e32 v104, v84, v89
	s_waitcnt vmcnt(25) lgkmcnt(0)
	v_mul_f32_e32 v98, v86, v135
	v_add_f32_e32 v97, v82, v114
	v_mul_f32_e32 v107, v85, v135
	v_add_f32_e32 v0, v0, v125
	v_fma_f32 v106, v83, v89, -v92
	v_fma_f32 v109, v85, v126, -v98
	v_add_f32_e32 v97, v97, v112
	ds_read2_b64 v[81:84], v118 offset0:69 offset1:70
	ds_read2_b64 v[89:92], v118 offset0:71 offset1:72
	;; [unrolled: 1-line block ×3, first 2 shown]
	v_add_f32_e32 v0, v0, v116
	s_waitcnt vmcnt(24)
	v_mul_f32_e32 v101, v88, v136
	v_mul_f32_e32 v108, v87, v136
	v_add_f32_e32 v97, v97, v122
	v_fmac_f32_e32 v107, v86, v126
	v_add_f32_e32 v0, v0, v134
	v_add_f32_e32 v85, v97, v123
	ds_read2_b64 v[97:100], v118 offset0:75 offset1:76
	v_add_f32_e32 v0, v0, v105
	v_add_f32_e32 v111, v85, v133
	;; [unrolled: 1-line block ×8, first 2 shown]
	s_waitcnt vmcnt(20)
	v_fma_f32 v110, v87, v141, -v101
	s_waitcnt vmcnt(19) lgkmcnt(3)
	v_mul_f32_e32 v114, v82, v142
	v_fmac_f32_e32 v108, v88, v141
	v_mul_f32_e32 v112, v81, v142
	ds_read2_b64 v[85:88], v118 offset0:77 offset1:78
	ds_read_b64 v[101:102], v118 offset:632
	s_waitcnt vmcnt(18)
	v_mul_f32_e32 v105, v84, v143
	v_fma_f32 v81, v81, v140, -v114
	v_add_f32_e32 v0, v0, v110
	v_mul_f32_e32 v113, v83, v143
	v_fmac_f32_e32 v112, v82, v140
	v_add_f32_e32 v103, v103, v108
	s_waitcnt vmcnt(17) lgkmcnt(4)
	v_mul_f32_e32 v114, v90, v127
	v_fma_f32 v83, v83, v138, -v105
	v_add_f32_e32 v0, v0, v81
	v_mul_f32_e32 v111, v89, v127
	v_fmac_f32_e32 v113, v84, v138
	v_add_f32_e32 v81, v103, v112
	s_waitcnt vmcnt(16)
	v_mul_f32_e32 v84, v92, v144
	v_fma_f32 v89, v89, v137, -v114
	v_add_f32_e32 v0, v0, v83
	v_mul_f32_e32 v115, v91, v144
	v_fmac_f32_e32 v111, v90, v137
	v_add_f32_e32 v81, v81, v113
	s_waitcnt vmcnt(15) lgkmcnt(3)
	v_mul_f32_e32 v83, v94, v145
	v_add_f32_e32 v0, v0, v89
	v_mul_f32_e32 v106, v93, v145
	s_waitcnt vmcnt(14)
	v_mul_f32_e32 v89, v96, v128
	v_add_f32_e32 v81, v81, v111
	v_mul_f32_e32 v104, v95, v128
	s_waitcnt vmcnt(13) lgkmcnt(2)
	v_mul_f32_e32 v116, v97, v146
	s_waitcnt vmcnt(10)
	v_mul_f32_e32 v109, v99, v129
	s_waitcnt lgkmcnt(1)
	v_mul_f32_e32 v107, v85, v130
	s_waitcnt vmcnt(9)
	v_mul_f32_e32 v82, v87, v131
	s_waitcnt vmcnt(7)
	v_fma_f32 v89, v95, v121, -v89
	s_waitcnt vmcnt(6)
	v_fma_f32 v83, v93, v147, -v83
	;; [unrolled: 2-line block ×3, first 2 shown]
	v_fmac_f32_e32 v115, v92, v148
	v_fmac_f32_e32 v106, v94, v147
	;; [unrolled: 1-line block ×4, first 2 shown]
	v_add_f32_e32 v0, v0, v84
	v_add_f32_e32 v81, v81, v115
	v_mul_f32_e32 v84, v98, v146
	s_waitcnt vmcnt(1)
	v_fmac_f32_e32 v109, v100, v152
	v_fmac_f32_e32 v107, v86, v151
	v_add_f32_e32 v0, v0, v83
	v_add_f32_e32 v81, v81, v106
	v_mul_f32_e32 v83, v100, v129
	v_fma_f32 v84, v97, v120, -v84
	s_waitcnt lgkmcnt(0)
	v_mul_f32_e32 v108, v101, v119
	v_add_f32_e32 v0, v0, v89
	v_add_f32_e32 v81, v81, v104
	v_mul_f32_e32 v89, v86, v130
	v_fma_f32 v83, v99, v152, -v83
	v_fmac_f32_e32 v82, v88, v150
	v_add_f32_e32 v0, v0, v84
	v_add_f32_e32 v81, v81, v116
	v_mul_f32_e32 v84, v88, v131
	v_fma_f32 v85, v85, v151, -v89
	v_fmac_f32_e32 v108, v102, v149
	v_add_f32_e32 v0, v0, v83
	v_add_f32_e32 v81, v81, v109
	v_mul_f32_e32 v83, v102, v119
	v_fma_f32 v84, v87, v150, -v84
	v_add_f32_e32 v0, v0, v85
	v_add_f32_e32 v81, v81, v107
	v_fma_f32 v83, v101, v149, -v83
	v_add_f32_e32 v0, v0, v84
	v_add_f32_e32 v81, v81, v82
	;; [unrolled: 1-line block ×4, first 2 shown]
	s_waitcnt vmcnt(0)
	v_sub_f32_e32 v0, v153, v0
	v_sub_f32_e32 v81, v139, v81
	buffer_store_dword v0, off, s[0:3], 0
	buffer_store_dword v81, off, s[0:3], 0 offset:4
	s_cbranch_vccz .LBB39_332
; %bb.254:
	global_load_dword v0, v118, s[20:21] offset:152
	s_waitcnt vmcnt(0)
	v_add_nc_u32_e32 v0, -1, v0
	v_cmp_ne_u32_e32 vcc_lo, 38, v0
	s_cbranch_vccz .LBB39_256
; %bb.255:
	v_lshlrev_b32_e32 v0, 3, v0
	s_clause 0x3
	buffer_load_dword v81, v0, s[0:3], 0 offen
	buffer_load_dword v82, v0, s[0:3], 0 offen offset:4
	buffer_load_dword v83, off, s[0:3], 0 offset:308
	buffer_load_dword v84, off, s[0:3], 0 offset:304
	s_waitcnt vmcnt(3)
	buffer_store_dword v81, off, s[0:3], 0 offset:304
	s_waitcnt vmcnt(2)
	buffer_store_dword v82, off, s[0:3], 0 offset:308
	s_waitcnt vmcnt(1)
	buffer_store_dword v83, v0, s[0:3], 0 offen offset:4
	s_waitcnt vmcnt(0)
	buffer_store_dword v84, v0, s[0:3], 0 offen
.LBB39_256:
	v_mov_b32_e32 v0, 0
	global_load_dword v81, v0, s[20:21] offset:148
	s_waitcnt vmcnt(0)
	v_add_nc_u32_e32 v81, -1, v81
	v_cmp_eq_u32_e32 vcc_lo, 37, v81
	s_cbranch_vccnz .LBB39_258
; %bb.257:
	v_lshlrev_b32_e32 v81, 3, v81
	s_clause 0x3
	buffer_load_dword v82, v81, s[0:3], 0 offen
	buffer_load_dword v83, v81, s[0:3], 0 offen offset:4
	buffer_load_dword v84, off, s[0:3], 0 offset:296
	buffer_load_dword v85, off, s[0:3], 0 offset:300
	s_waitcnt vmcnt(3)
	buffer_store_dword v82, off, s[0:3], 0 offset:296
	s_waitcnt vmcnt(2)
	buffer_store_dword v83, off, s[0:3], 0 offset:300
	s_waitcnt vmcnt(1)
	buffer_store_dword v84, v81, s[0:3], 0 offen
	s_waitcnt vmcnt(0)
	buffer_store_dword v85, v81, s[0:3], 0 offen offset:4
.LBB39_258:
	global_load_dword v0, v0, s[20:21] offset:144
	s_waitcnt vmcnt(0)
	v_add_nc_u32_e32 v0, -1, v0
	v_cmp_eq_u32_e32 vcc_lo, 36, v0
	s_cbranch_vccnz .LBB39_260
; %bb.259:
	v_lshlrev_b32_e32 v0, 3, v0
	s_clause 0x3
	buffer_load_dword v81, v0, s[0:3], 0 offen
	buffer_load_dword v82, v0, s[0:3], 0 offen offset:4
	buffer_load_dword v83, off, s[0:3], 0 offset:292
	buffer_load_dword v84, off, s[0:3], 0 offset:288
	s_waitcnt vmcnt(3)
	buffer_store_dword v81, off, s[0:3], 0 offset:288
	s_waitcnt vmcnt(2)
	buffer_store_dword v82, off, s[0:3], 0 offset:292
	s_waitcnt vmcnt(1)
	buffer_store_dword v83, v0, s[0:3], 0 offen offset:4
	s_waitcnt vmcnt(0)
	buffer_store_dword v84, v0, s[0:3], 0 offen
.LBB39_260:
	v_mov_b32_e32 v0, 0
	global_load_dword v81, v0, s[20:21] offset:140
	s_waitcnt vmcnt(0)
	v_add_nc_u32_e32 v81, -1, v81
	v_cmp_eq_u32_e32 vcc_lo, 35, v81
	s_cbranch_vccnz .LBB39_262
; %bb.261:
	v_lshlrev_b32_e32 v81, 3, v81
	s_clause 0x3
	buffer_load_dword v82, v81, s[0:3], 0 offen
	buffer_load_dword v83, v81, s[0:3], 0 offen offset:4
	buffer_load_dword v84, off, s[0:3], 0 offset:280
	buffer_load_dword v85, off, s[0:3], 0 offset:284
	s_waitcnt vmcnt(3)
	buffer_store_dword v82, off, s[0:3], 0 offset:280
	s_waitcnt vmcnt(2)
	buffer_store_dword v83, off, s[0:3], 0 offset:284
	s_waitcnt vmcnt(1)
	buffer_store_dword v84, v81, s[0:3], 0 offen
	s_waitcnt vmcnt(0)
	buffer_store_dword v85, v81, s[0:3], 0 offen offset:4
.LBB39_262:
	global_load_dword v0, v0, s[20:21] offset:136
	s_waitcnt vmcnt(0)
	v_add_nc_u32_e32 v0, -1, v0
	v_cmp_eq_u32_e32 vcc_lo, 34, v0
	s_cbranch_vccnz .LBB39_264
; %bb.263:
	v_lshlrev_b32_e32 v0, 3, v0
	s_clause 0x3
	buffer_load_dword v81, v0, s[0:3], 0 offen
	buffer_load_dword v82, v0, s[0:3], 0 offen offset:4
	buffer_load_dword v83, off, s[0:3], 0 offset:276
	buffer_load_dword v84, off, s[0:3], 0 offset:272
	s_waitcnt vmcnt(3)
	buffer_store_dword v81, off, s[0:3], 0 offset:272
	s_waitcnt vmcnt(2)
	buffer_store_dword v82, off, s[0:3], 0 offset:276
	s_waitcnt vmcnt(1)
	buffer_store_dword v83, v0, s[0:3], 0 offen offset:4
	s_waitcnt vmcnt(0)
	buffer_store_dword v84, v0, s[0:3], 0 offen
.LBB39_264:
	;; [unrolled: 43-line block ×18, first 2 shown]
	v_mov_b32_e32 v0, 0
	global_load_dword v81, v0, s[20:21] offset:4
	s_waitcnt vmcnt(0)
	v_add_nc_u32_e32 v81, -1, v81
	v_cmp_eq_u32_e32 vcc_lo, 1, v81
	s_cbranch_vccnz .LBB39_330
; %bb.329:
	v_lshlrev_b32_e32 v81, 3, v81
	s_clause 0x3
	buffer_load_dword v82, v81, s[0:3], 0 offen
	buffer_load_dword v83, v81, s[0:3], 0 offen offset:4
	buffer_load_dword v84, off, s[0:3], 0 offset:8
	buffer_load_dword v85, off, s[0:3], 0 offset:12
	s_waitcnt vmcnt(3)
	buffer_store_dword v82, off, s[0:3], 0 offset:8
	s_waitcnt vmcnt(2)
	buffer_store_dword v83, off, s[0:3], 0 offset:12
	s_waitcnt vmcnt(1)
	buffer_store_dword v84, v81, s[0:3], 0 offen
	s_waitcnt vmcnt(0)
	buffer_store_dword v85, v81, s[0:3], 0 offen offset:4
.LBB39_330:
	global_load_dword v0, v0, s[20:21]
	s_waitcnt vmcnt(0)
	v_add_nc_u32_e32 v0, -1, v0
	v_cmp_eq_u32_e32 vcc_lo, 0, v0
	s_cbranch_vccnz .LBB39_332
; %bb.331:
	v_lshlrev_b32_e32 v0, 3, v0
	s_clause 0x3
	buffer_load_dword v81, v0, s[0:3], 0 offen
	buffer_load_dword v82, v0, s[0:3], 0 offen offset:4
	buffer_load_dword v83, off, s[0:3], 0 offset:4
	buffer_load_dword v84, off, s[0:3], 0
	s_waitcnt vmcnt(3)
	buffer_store_dword v81, off, s[0:3], 0
	s_waitcnt vmcnt(2)
	buffer_store_dword v82, off, s[0:3], 0 offset:4
	s_waitcnt vmcnt(1)
	buffer_store_dword v83, v0, s[0:3], 0 offen offset:4
	s_waitcnt vmcnt(0)
	buffer_store_dword v84, v0, s[0:3], 0 offen
.LBB39_332:
	s_clause 0x3e
	buffer_load_dword v81, off, s[0:3], 0
	buffer_load_dword v82, off, s[0:3], 0 offset:4
	buffer_load_dword v83, off, s[0:3], 0 offset:8
	;; [unrolled: 1-line block ×62, first 2 shown]
	s_clause 0x10
	buffer_load_dword v144, off, s[0:3], 0 offset:252
	buffer_load_dword v145, off, s[0:3], 0 offset:256
	;; [unrolled: 1-line block ×17, first 2 shown]
	s_waitcnt vmcnt(62)
	global_store_dwordx2 v[67:68], v[81:82], off
	global_store_dwordx2 v[69:70], v[83:84], off
	global_store_dwordx2 v[1:2], v[85:86], off
	global_store_dwordx2 v[3:4], v[87:88], off
	global_store_dwordx2 v[5:6], v[89:90], off
	global_store_dwordx2 v[7:8], v[91:92], off
	global_store_dwordx2 v[9:10], v[93:94], off
	global_store_dwordx2 v[11:12], v[95:96], off
	s_waitcnt vmcnt(56)
	global_store_dwordx2 v[13:14], v[97:98], off
	global_store_dwordx2 v[15:16], v[99:100], off
	;; [unrolled: 1-line block ×4, first 2 shown]
	s_waitcnt vmcnt(54)
	global_store_dwordx2 v[21:22], v[105:106], off
	s_waitcnt vmcnt(52)
	global_store_dwordx2 v[23:24], v[107:108], off
	;; [unrolled: 2-line block ×28, first 2 shown]
	s_endpgm
	.section	.rodata,"a",@progbits
	.p2align	6, 0x0
	.amdhsa_kernel _ZN9rocsolver6v33100L18getri_kernel_smallILi40E19rocblas_complex_numIfEPS3_EEvT1_iilPiilS6_bb
		.amdhsa_group_segment_fixed_size 644
		.amdhsa_private_segment_fixed_size 336
		.amdhsa_kernarg_size 60
		.amdhsa_user_sgpr_count 6
		.amdhsa_user_sgpr_private_segment_buffer 1
		.amdhsa_user_sgpr_dispatch_ptr 0
		.amdhsa_user_sgpr_queue_ptr 0
		.amdhsa_user_sgpr_kernarg_segment_ptr 1
		.amdhsa_user_sgpr_dispatch_id 0
		.amdhsa_user_sgpr_flat_scratch_init 0
		.amdhsa_user_sgpr_private_segment_size 0
		.amdhsa_wavefront_size32 1
		.amdhsa_uses_dynamic_stack 0
		.amdhsa_system_sgpr_private_segment_wavefront_offset 1
		.amdhsa_system_sgpr_workgroup_id_x 1
		.amdhsa_system_sgpr_workgroup_id_y 0
		.amdhsa_system_sgpr_workgroup_id_z 0
		.amdhsa_system_sgpr_workgroup_info 0
		.amdhsa_system_vgpr_workitem_id 0
		.amdhsa_next_free_vgpr 254
		.amdhsa_next_free_sgpr 23
		.amdhsa_reserve_vcc 1
		.amdhsa_reserve_flat_scratch 0
		.amdhsa_float_round_mode_32 0
		.amdhsa_float_round_mode_16_64 0
		.amdhsa_float_denorm_mode_32 3
		.amdhsa_float_denorm_mode_16_64 3
		.amdhsa_dx10_clamp 1
		.amdhsa_ieee_mode 1
		.amdhsa_fp16_overflow 0
		.amdhsa_workgroup_processor_mode 1
		.amdhsa_memory_ordered 1
		.amdhsa_forward_progress 1
		.amdhsa_shared_vgpr_count 0
		.amdhsa_exception_fp_ieee_invalid_op 0
		.amdhsa_exception_fp_denorm_src 0
		.amdhsa_exception_fp_ieee_div_zero 0
		.amdhsa_exception_fp_ieee_overflow 0
		.amdhsa_exception_fp_ieee_underflow 0
		.amdhsa_exception_fp_ieee_inexact 0
		.amdhsa_exception_int_div_zero 0
	.end_amdhsa_kernel
	.section	.text._ZN9rocsolver6v33100L18getri_kernel_smallILi40E19rocblas_complex_numIfEPS3_EEvT1_iilPiilS6_bb,"axG",@progbits,_ZN9rocsolver6v33100L18getri_kernel_smallILi40E19rocblas_complex_numIfEPS3_EEvT1_iilPiilS6_bb,comdat
.Lfunc_end39:
	.size	_ZN9rocsolver6v33100L18getri_kernel_smallILi40E19rocblas_complex_numIfEPS3_EEvT1_iilPiilS6_bb, .Lfunc_end39-_ZN9rocsolver6v33100L18getri_kernel_smallILi40E19rocblas_complex_numIfEPS3_EEvT1_iilPiilS6_bb
                                        ; -- End function
	.set _ZN9rocsolver6v33100L18getri_kernel_smallILi40E19rocblas_complex_numIfEPS3_EEvT1_iilPiilS6_bb.num_vgpr, 254
	.set _ZN9rocsolver6v33100L18getri_kernel_smallILi40E19rocblas_complex_numIfEPS3_EEvT1_iilPiilS6_bb.num_agpr, 0
	.set _ZN9rocsolver6v33100L18getri_kernel_smallILi40E19rocblas_complex_numIfEPS3_EEvT1_iilPiilS6_bb.numbered_sgpr, 23
	.set _ZN9rocsolver6v33100L18getri_kernel_smallILi40E19rocblas_complex_numIfEPS3_EEvT1_iilPiilS6_bb.num_named_barrier, 0
	.set _ZN9rocsolver6v33100L18getri_kernel_smallILi40E19rocblas_complex_numIfEPS3_EEvT1_iilPiilS6_bb.private_seg_size, 336
	.set _ZN9rocsolver6v33100L18getri_kernel_smallILi40E19rocblas_complex_numIfEPS3_EEvT1_iilPiilS6_bb.uses_vcc, 1
	.set _ZN9rocsolver6v33100L18getri_kernel_smallILi40E19rocblas_complex_numIfEPS3_EEvT1_iilPiilS6_bb.uses_flat_scratch, 0
	.set _ZN9rocsolver6v33100L18getri_kernel_smallILi40E19rocblas_complex_numIfEPS3_EEvT1_iilPiilS6_bb.has_dyn_sized_stack, 0
	.set _ZN9rocsolver6v33100L18getri_kernel_smallILi40E19rocblas_complex_numIfEPS3_EEvT1_iilPiilS6_bb.has_recursion, 0
	.set _ZN9rocsolver6v33100L18getri_kernel_smallILi40E19rocblas_complex_numIfEPS3_EEvT1_iilPiilS6_bb.has_indirect_call, 0
	.section	.AMDGPU.csdata,"",@progbits
; Kernel info:
; codeLenInByte = 67424
; TotalNumSgprs: 25
; NumVgprs: 254
; ScratchSize: 336
; MemoryBound: 0
; FloatMode: 240
; IeeeMode: 1
; LDSByteSize: 644 bytes/workgroup (compile time only)
; SGPRBlocks: 0
; VGPRBlocks: 31
; NumSGPRsForWavesPerEU: 25
; NumVGPRsForWavesPerEU: 254
; Occupancy: 4
; WaveLimiterHint : 1
; COMPUTE_PGM_RSRC2:SCRATCH_EN: 1
; COMPUTE_PGM_RSRC2:USER_SGPR: 6
; COMPUTE_PGM_RSRC2:TRAP_HANDLER: 0
; COMPUTE_PGM_RSRC2:TGID_X_EN: 1
; COMPUTE_PGM_RSRC2:TGID_Y_EN: 0
; COMPUTE_PGM_RSRC2:TGID_Z_EN: 0
; COMPUTE_PGM_RSRC2:TIDIG_COMP_CNT: 0
	.section	.text._ZN9rocsolver6v33100L18getri_kernel_smallILi41E19rocblas_complex_numIfEPS3_EEvT1_iilPiilS6_bb,"axG",@progbits,_ZN9rocsolver6v33100L18getri_kernel_smallILi41E19rocblas_complex_numIfEPS3_EEvT1_iilPiilS6_bb,comdat
	.globl	_ZN9rocsolver6v33100L18getri_kernel_smallILi41E19rocblas_complex_numIfEPS3_EEvT1_iilPiilS6_bb ; -- Begin function _ZN9rocsolver6v33100L18getri_kernel_smallILi41E19rocblas_complex_numIfEPS3_EEvT1_iilPiilS6_bb
	.p2align	8
	.type	_ZN9rocsolver6v33100L18getri_kernel_smallILi41E19rocblas_complex_numIfEPS3_EEvT1_iilPiilS6_bb,@function
_ZN9rocsolver6v33100L18getri_kernel_smallILi41E19rocblas_complex_numIfEPS3_EEvT1_iilPiilS6_bb: ; @_ZN9rocsolver6v33100L18getri_kernel_smallILi41E19rocblas_complex_numIfEPS3_EEvT1_iilPiilS6_bb
; %bb.0:
	s_add_u32 s0, s0, s7
	s_addc_u32 s1, s1, 0
	s_mov_b32 s7, exec_lo
	v_cmpx_gt_u32_e32 41, v0
	s_cbranch_execz .LBB40_178
; %bb.1:
	s_clause 0x2
	s_load_dword s7, s[4:5], 0x38
	s_load_dwordx4 s[16:19], s[4:5], 0x10
	s_load_dwordx4 s[8:11], s[4:5], 0x28
                                        ; implicit-def: $sgpr20_sgpr21
	s_waitcnt lgkmcnt(0)
	s_bitcmp1_b32 s7, 8
	s_cselect_b32 s22, -1, 0
	s_bfe_u32 s12, s7, 0x10008
	s_ashr_i32 s7, s6, 31
	s_cmp_eq_u32 s12, 0
	s_cbranch_scc1 .LBB40_3
; %bb.2:
	s_load_dword s12, s[4:5], 0x20
	s_mul_i32 s13, s8, s7
	s_mul_hi_u32 s14, s8, s6
	s_mul_i32 s9, s9, s6
	s_add_i32 s13, s14, s13
	s_mul_i32 s8, s8, s6
	s_add_i32 s9, s13, s9
	s_lshl_b64 s[8:9], s[8:9], 2
	s_waitcnt lgkmcnt(0)
	s_ashr_i32 s13, s12, 31
	s_add_u32 s14, s18, s8
	s_addc_u32 s15, s19, s9
	s_lshl_b64 s[8:9], s[12:13], 2
	s_add_u32 s20, s14, s8
	s_addc_u32 s21, s15, s9
.LBB40_3:
	s_clause 0x1
	s_load_dwordx4 s[12:15], s[4:5], 0x0
	s_load_dword s8, s[4:5], 0x38
	s_mul_i32 s4, s16, s7
	s_mul_hi_u32 s5, s16, s6
	s_mul_i32 s9, s17, s6
	s_add_i32 s5, s5, s4
	s_mul_i32 s4, s16, s6
	s_add_i32 s5, s5, s9
	s_lshl_b64 s[4:5], s[4:5], 3
	s_waitcnt lgkmcnt(0)
	v_add3_u32 v1, s15, s15, v0
	s_ashr_i32 s17, s14, 31
	s_mov_b32 s16, s14
	s_add_u32 s9, s12, s4
	s_addc_u32 s12, s13, s5
	v_add_nc_u32_e32 v3, s15, v1
	v_ashrrev_i32_e32 v2, 31, v1
	s_lshl_b64 s[4:5], s[16:17], 3
	s_add_u32 s4, s9, s4
	v_add_nc_u32_e32 v5, s15, v3
	v_ashrrev_i32_e32 v4, 31, v3
	v_lshlrev_b64 v[1:2], 3, v[1:2]
	s_addc_u32 s5, s12, s5
	s_mov_b32 s12, s15
	v_ashrrev_i32_e32 v6, 31, v5
	v_add_nc_u32_e32 v7, s15, v5
	v_lshlrev_b64 v[3:4], 3, v[3:4]
	v_add_co_u32 v9, vcc_lo, s4, v1
	v_add_co_ci_u32_e64 v10, null, s5, v2, vcc_lo
	v_lshlrev_b64 v[1:2], 3, v[5:6]
	v_ashrrev_i32_e32 v8, 31, v7
	v_add_nc_u32_e32 v5, s15, v7
	v_add_co_u32 v11, vcc_lo, s4, v3
	v_add_co_ci_u32_e64 v12, null, s5, v4, vcc_lo
	v_lshlrev_b64 v[3:4], 3, v[7:8]
	v_ashrrev_i32_e32 v6, 31, v5
	v_add_nc_u32_e32 v7, s15, v5
	;; [unrolled: 5-line block ×27, first 2 shown]
	v_add_co_u32 v63, vcc_lo, s4, v3
	v_add_co_ci_u32_e64 v64, null, s5, v4, vcc_lo
	v_lshlrev_b64 v[3:4], 3, v[7:8]
	v_add_nc_u32_e32 v7, s15, v5
	v_ashrrev_i32_e32 v6, 31, v5
	v_add_co_u32 v65, vcc_lo, s4, v1
	v_add_co_ci_u32_e64 v66, null, s5, v2, vcc_lo
	v_ashrrev_i32_e32 v8, 31, v7
	v_lshlrev_b64 v[1:2], 3, v[5:6]
	v_add_co_u32 v67, vcc_lo, s4, v3
	v_add_nc_u32_e32 v5, s15, v7
	v_add_co_ci_u32_e64 v68, null, s5, v4, vcc_lo
	v_lshlrev_b64 v[3:4], 3, v[7:8]
	v_add_co_u32 v69, vcc_lo, s4, v1
	v_ashrrev_i32_e32 v6, 31, v5
	v_add_nc_u32_e32 v1, s15, v5
	v_add_co_ci_u32_e64 v70, null, s5, v2, vcc_lo
	v_add_co_u32 v71, vcc_lo, s4, v3
	v_add_co_ci_u32_e64 v72, null, s5, v4, vcc_lo
	v_lshlrev_b64 v[4:5], 3, v[5:6]
	v_add_nc_u32_e32 v6, s15, v1
	v_lshlrev_b32_e32 v3, 3, v0
	v_ashrrev_i32_e32 v2, 31, v1
	s_ashr_i32 s13, s15, 31
	v_add_nc_u32_e32 v83, s15, v6
	v_add_co_u32 v77, s9, s4, v3
	v_ashrrev_i32_e32 v7, 31, v6
	v_add_co_ci_u32_e64 v78, null, s5, 0, s9
	v_add_nc_u32_e32 v85, s15, v83
	v_ashrrev_i32_e32 v84, 31, v83
	s_lshl_b64 s[12:13], s[12:13], 3
	v_lshlrev_b64 v[1:2], 3, v[1:2]
	v_add_co_u32 v79, vcc_lo, v77, s12
	v_add_nc_u32_e32 v87, s15, v85
	v_ashrrev_i32_e32 v86, 31, v85
	v_lshlrev_b64 v[6:7], 3, v[6:7]
	v_add_co_ci_u32_e64 v80, null, s13, v78, vcc_lo
	v_add_nc_u32_e32 v89, s15, v87
	v_ashrrev_i32_e32 v88, 31, v87
	v_add_co_u32 v73, vcc_lo, s4, v4
	v_lshlrev_b64 v[83:84], 3, v[83:84]
	v_ashrrev_i32_e32 v90, 31, v89
	v_add_co_ci_u32_e64 v74, null, s5, v5, vcc_lo
	v_add_co_u32 v75, vcc_lo, s4, v1
	v_lshlrev_b64 v[85:86], 3, v[85:86]
	v_add_co_ci_u32_e64 v76, null, s5, v2, vcc_lo
	v_add_co_u32 v81, vcc_lo, s4, v6
	v_lshlrev_b64 v[87:88], 3, v[87:88]
	;; [unrolled: 3-line block ×3, first 2 shown]
	v_add_co_ci_u32_e64 v84, null, s5, v84, vcc_lo
	v_add_co_u32 v85, vcc_lo, s4, v85
	v_add_co_ci_u32_e64 v86, null, s5, v86, vcc_lo
	v_add_co_u32 v87, vcc_lo, s4, v87
	;; [unrolled: 2-line block ×3, first 2 shown]
	v_add_co_ci_u32_e64 v90, null, s5, v90, vcc_lo
	s_clause 0x28
	global_load_dwordx2 v[4:5], v3, s[4:5]
	global_load_dwordx2 v[91:92], v[79:80], off
	global_load_dwordx2 v[93:94], v[9:10], off
	;; [unrolled: 1-line block ×40, first 2 shown]
	s_mov_b32 s5, -1
	s_bitcmp0_b32 s8, 0
	s_waitcnt vmcnt(40)
	buffer_store_dword v5, off, s[0:3], 0 offset:4
	buffer_store_dword v4, off, s[0:3], 0
	s_waitcnt vmcnt(39)
	buffer_store_dword v92, off, s[0:3], 0 offset:12
	buffer_store_dword v91, off, s[0:3], 0 offset:8
	s_waitcnt vmcnt(38)
	buffer_store_dword v94, off, s[0:3], 0 offset:20
	buffer_store_dword v93, off, s[0:3], 0 offset:16
	;; [unrolled: 3-line block ×40, first 2 shown]
	s_cbranch_scc1 .LBB40_176
; %bb.4:
	v_cmp_eq_u32_e64 s4, 0, v0
	s_and_saveexec_b32 s5, s4
; %bb.5:
	v_mov_b32_e32 v1, 0
	ds_write_b32 v1, v1 offset:328
; %bb.6:
	s_or_b32 exec_lo, exec_lo, s5
	v_lshl_add_u32 v5, v0, 3, 0
	s_waitcnt lgkmcnt(0)
	s_waitcnt_vscnt null, 0x0
	s_barrier
	buffer_gl0_inv
	s_clause 0x1
	buffer_load_dword v1, v5, s[0:3], 0 offen
	buffer_load_dword v2, v5, s[0:3], 0 offen offset:4
	s_waitcnt vmcnt(1)
	v_cmp_eq_f32_e32 vcc_lo, 0, v1
	s_waitcnt vmcnt(0)
	v_cmp_eq_f32_e64 s5, 0, v2
	s_and_b32 s5, vcc_lo, s5
	s_and_saveexec_b32 s8, s5
	s_cbranch_execz .LBB40_10
; %bb.7:
	v_mov_b32_e32 v1, 0
	s_mov_b32 s9, 0
	ds_read_b32 v2, v1 offset:328
	s_waitcnt lgkmcnt(0)
	v_readfirstlane_b32 s5, v2
	v_add_nc_u32_e32 v2, 1, v0
	s_cmp_eq_u32 s5, 0
	v_cmp_gt_i32_e32 vcc_lo, s5, v2
	s_cselect_b32 s12, -1, 0
	s_or_b32 s12, s12, vcc_lo
	s_and_b32 exec_lo, exec_lo, s12
	s_cbranch_execz .LBB40_10
; %bb.8:
	v_mov_b32_e32 v4, s5
.LBB40_9:                               ; =>This Inner Loop Header: Depth=1
	ds_cmpst_rtn_b32 v4, v1, v4, v2 offset:328
	s_waitcnt lgkmcnt(0)
	v_cmp_ne_u32_e32 vcc_lo, 0, v4
	v_cmp_le_i32_e64 s5, v4, v2
	s_and_b32 s5, vcc_lo, s5
	s_and_b32 s5, exec_lo, s5
	s_or_b32 s9, s5, s9
	s_andn2_b32 exec_lo, exec_lo, s9
	s_cbranch_execnz .LBB40_9
.LBB40_10:
	s_or_b32 exec_lo, exec_lo, s8
	v_mov_b32_e32 v1, 0
	s_barrier
	buffer_gl0_inv
	ds_read_b32 v2, v1 offset:328
	s_and_saveexec_b32 s5, s4
	s_cbranch_execz .LBB40_12
; %bb.11:
	s_lshl_b64 s[8:9], s[6:7], 2
	s_add_u32 s8, s10, s8
	s_addc_u32 s9, s11, s9
	s_waitcnt lgkmcnt(0)
	global_store_dword v1, v2, s[8:9]
.LBB40_12:
	s_or_b32 exec_lo, exec_lo, s5
	s_waitcnt lgkmcnt(0)
	v_cmp_ne_u32_e32 vcc_lo, 0, v2
	s_mov_b32 s5, 0
	s_cbranch_vccnz .LBB40_176
; %bb.13:
	s_clause 0x1
	buffer_load_dword v2, v5, s[0:3], 0 offen
	buffer_load_dword v4, v5, s[0:3], 0 offen offset:4
                                        ; implicit-def: $vgpr7
                                        ; implicit-def: $vgpr6
                                        ; implicit-def: $vgpr1
	s_waitcnt vmcnt(0)
	v_cmp_ngt_f32_e64 s5, |v2|, |v4|
	s_and_saveexec_b32 s8, s5
	s_xor_b32 s5, exec_lo, s8
	s_cbranch_execz .LBB40_15
; %bb.14:
	v_div_scale_f32 v1, null, v4, v4, v2
	v_div_scale_f32 v8, vcc_lo, v2, v4, v2
	v_rcp_f32_e32 v6, v1
	v_fma_f32 v7, -v1, v6, 1.0
	v_fmac_f32_e32 v6, v7, v6
	v_mul_f32_e32 v7, v8, v6
	v_fma_f32 v91, -v1, v7, v8
	v_fmac_f32_e32 v7, v91, v6
	v_fma_f32 v1, -v1, v7, v8
	v_div_fmas_f32 v1, v1, v6, v7
	v_div_fixup_f32 v1, v1, v4, v2
	v_fmac_f32_e32 v4, v2, v1
	v_div_scale_f32 v2, null, v4, v4, 1.0
	v_rcp_f32_e32 v6, v2
	v_fma_f32 v7, -v2, v6, 1.0
	v_fmac_f32_e32 v6, v7, v6
	v_div_scale_f32 v7, vcc_lo, 1.0, v4, 1.0
	v_mul_f32_e32 v8, v7, v6
	v_fma_f32 v91, -v2, v8, v7
	v_fmac_f32_e32 v8, v91, v6
	v_fma_f32 v2, -v2, v8, v7
	v_div_fmas_f32 v2, v2, v6, v8
	v_div_fixup_f32 v2, v2, v4, 1.0
                                        ; implicit-def: $vgpr4
	v_mul_f32_e32 v7, v1, v2
	v_xor_b32_e32 v6, 0x80000000, v2
                                        ; implicit-def: $vgpr2
	v_xor_b32_e32 v1, 0x80000000, v7
.LBB40_15:
	s_andn2_saveexec_b32 s5, s5
	s_cbranch_execz .LBB40_17
; %bb.16:
	v_div_scale_f32 v1, null, v2, v2, v4
	v_div_scale_f32 v8, vcc_lo, v4, v2, v4
	v_rcp_f32_e32 v6, v1
	v_fma_f32 v7, -v1, v6, 1.0
	v_fmac_f32_e32 v6, v7, v6
	v_mul_f32_e32 v7, v8, v6
	v_fma_f32 v91, -v1, v7, v8
	v_fmac_f32_e32 v7, v91, v6
	v_fma_f32 v1, -v1, v7, v8
	v_div_fmas_f32 v1, v1, v6, v7
	v_div_fixup_f32 v6, v1, v2, v4
	v_fmac_f32_e32 v2, v4, v6
	v_div_scale_f32 v1, null, v2, v2, 1.0
	v_div_scale_f32 v8, vcc_lo, 1.0, v2, 1.0
	v_rcp_f32_e32 v4, v1
	v_fma_f32 v7, -v1, v4, 1.0
	v_fmac_f32_e32 v4, v7, v4
	v_mul_f32_e32 v7, v8, v4
	v_fma_f32 v91, -v1, v7, v8
	v_fmac_f32_e32 v7, v91, v4
	v_fma_f32 v1, -v1, v7, v8
	v_div_fmas_f32 v1, v1, v4, v7
	v_div_fixup_f32 v7, v1, v2, 1.0
	v_xor_b32_e32 v1, 0x80000000, v7
	v_mul_f32_e64 v6, v6, -v7
.LBB40_17:
	s_or_b32 exec_lo, exec_lo, s5
	buffer_store_dword v7, v5, s[0:3], 0 offen
	buffer_store_dword v6, v5, s[0:3], 0 offen offset:4
	s_clause 0x1
	buffer_load_dword v8, off, s[0:3], 0 offset:12
	buffer_load_dword v7, off, s[0:3], 0 offset:8
	v_xor_b32_e32 v2, 0x80000000, v6
	v_add_nc_u32_e32 v4, 0x150, v3
	s_waitcnt vmcnt(0)
	ds_write2_b64 v3, v[1:2], v[7:8] offset1:42
	s_waitcnt lgkmcnt(0)
	s_waitcnt_vscnt null, 0x0
	s_barrier
	buffer_gl0_inv
	s_and_saveexec_b32 s5, s4
	s_cbranch_execz .LBB40_19
; %bb.18:
	s_clause 0x1
	buffer_load_dword v8, v5, s[0:3], 0 offen offset:4
	buffer_load_dword v91, v5, s[0:3], 0 offen
	ds_read_b64 v[1:2], v4
	v_mov_b32_e32 v6, 0
	ds_read_b64 v[6:7], v6 offset:8
	s_waitcnt vmcnt(1) lgkmcnt(1)
	v_mul_f32_e32 v92, v1, v8
	v_mul_f32_e32 v8, v2, v8
	s_waitcnt vmcnt(0)
	v_fmac_f32_e32 v92, v2, v91
	v_fma_f32 v1, v1, v91, -v8
	v_add_f32_e32 v2, 0, v92
	v_add_f32_e32 v1, 0, v1
	s_waitcnt lgkmcnt(0)
	v_mul_f32_e32 v8, v2, v7
	v_mul_f32_e32 v7, v1, v7
	v_fma_f32 v1, v1, v6, -v8
	v_fmac_f32_e32 v7, v2, v6
	buffer_store_dword v1, off, s[0:3], 0 offset:8
	buffer_store_dword v7, off, s[0:3], 0 offset:12
.LBB40_19:
	s_or_b32 exec_lo, exec_lo, s5
	s_waitcnt_vscnt null, 0x0
	s_barrier
	buffer_gl0_inv
	s_clause 0x1
	buffer_load_dword v1, off, s[0:3], 0 offset:16
	buffer_load_dword v2, off, s[0:3], 0 offset:20
	s_mov_b32 s5, exec_lo
	s_waitcnt vmcnt(0)
	ds_write_b64 v4, v[1:2]
	s_waitcnt lgkmcnt(0)
	s_barrier
	buffer_gl0_inv
	v_cmpx_gt_u32_e32 2, v0
	s_cbranch_execz .LBB40_23
; %bb.20:
	s_clause 0x1
	buffer_load_dword v6, v5, s[0:3], 0 offen offset:4
	buffer_load_dword v5, v5, s[0:3], 0 offen
	ds_read_b64 v[1:2], v4
	s_waitcnt vmcnt(1) lgkmcnt(0)
	v_mul_f32_e32 v7, v2, v6
	v_mul_f32_e32 v6, v1, v6
	s_waitcnt vmcnt(0)
	v_fma_f32 v1, v1, v5, -v7
	v_fmac_f32_e32 v6, v2, v5
	v_add_f32_e32 v2, 0, v1
	v_add_f32_e32 v1, 0, v6
	s_and_saveexec_b32 s8, s4
	s_cbranch_execz .LBB40_22
; %bb.21:
	s_clause 0x1
	buffer_load_dword v7, off, s[0:3], 0 offset:12
	buffer_load_dword v8, off, s[0:3], 0 offset:8
	v_mov_b32_e32 v5, 0
	ds_read_b64 v[5:6], v5 offset:344
	s_waitcnt vmcnt(1) lgkmcnt(0)
	v_mul_f32_e32 v91, v5, v7
	v_mul_f32_e32 v7, v6, v7
	s_waitcnt vmcnt(0)
	v_fmac_f32_e32 v91, v6, v8
	v_fma_f32 v5, v5, v8, -v7
	v_add_f32_e32 v1, v1, v91
	v_add_f32_e32 v2, v2, v5
.LBB40_22:
	s_or_b32 exec_lo, exec_lo, s8
	v_mov_b32_e32 v5, 0
	ds_read_b64 v[5:6], v5 offset:16
	s_waitcnt lgkmcnt(0)
	v_mul_f32_e32 v7, v1, v6
	v_mul_f32_e32 v6, v2, v6
	v_fma_f32 v2, v2, v5, -v7
	v_fmac_f32_e32 v6, v1, v5
	buffer_store_dword v2, off, s[0:3], 0 offset:16
	buffer_store_dword v6, off, s[0:3], 0 offset:20
.LBB40_23:
	s_or_b32 exec_lo, exec_lo, s5
	s_waitcnt_vscnt null, 0x0
	s_barrier
	buffer_gl0_inv
	s_clause 0x1
	buffer_load_dword v5, off, s[0:3], 0 offset:24
	buffer_load_dword v6, off, s[0:3], 0 offset:28
	v_add_nc_u32_e32 v1, -1, v0
	s_mov_b32 s4, exec_lo
	s_waitcnt vmcnt(0)
	ds_write_b64 v4, v[5:6]
	s_waitcnt lgkmcnt(0)
	s_barrier
	buffer_gl0_inv
	v_cmpx_gt_u32_e32 3, v0
	s_cbranch_execz .LBB40_27
; %bb.24:
	v_add_nc_u32_e32 v5, -1, v0
	v_add_nc_u32_e32 v6, 0x150, v3
	v_mov_b32_e32 v7, v3
	v_mov_b32_e32 v2, 0
	;; [unrolled: 1-line block ×3, first 2 shown]
	s_mov_b32 s5, 0
	.p2align	6
.LBB40_25:                              ; =>This Inner Loop Header: Depth=1
	s_clause 0x1
	buffer_load_dword v93, v7, s[0:3], 0 offen offset:4
	buffer_load_dword v94, v7, s[0:3], 0 offen
	ds_read_b64 v[91:92], v6
	v_add_nc_u32_e32 v5, 1, v5
	v_add_nc_u32_e32 v6, 8, v6
	;; [unrolled: 1-line block ×3, first 2 shown]
	v_cmp_lt_u32_e32 vcc_lo, 1, v5
	s_or_b32 s5, vcc_lo, s5
	s_waitcnt vmcnt(1) lgkmcnt(0)
	v_mul_f32_e32 v95, v92, v93
	v_mul_f32_e32 v93, v91, v93
	s_waitcnt vmcnt(0)
	v_fma_f32 v91, v91, v94, -v95
	v_fmac_f32_e32 v93, v92, v94
	v_add_f32_e32 v8, v8, v91
	v_add_f32_e32 v2, v2, v93
	s_andn2_b32 exec_lo, exec_lo, s5
	s_cbranch_execnz .LBB40_25
; %bb.26:
	s_or_b32 exec_lo, exec_lo, s5
	v_mov_b32_e32 v5, 0
	ds_read_b64 v[5:6], v5 offset:24
	s_waitcnt lgkmcnt(0)
	v_mul_f32_e32 v7, v2, v6
	v_mul_f32_e32 v6, v8, v6
	v_fma_f32 v7, v8, v5, -v7
	v_fmac_f32_e32 v6, v2, v5
	buffer_store_dword v7, off, s[0:3], 0 offset:24
	buffer_store_dword v6, off, s[0:3], 0 offset:28
.LBB40_27:
	s_or_b32 exec_lo, exec_lo, s4
	s_waitcnt_vscnt null, 0x0
	s_barrier
	buffer_gl0_inv
	s_clause 0x1
	buffer_load_dword v5, off, s[0:3], 0 offset:32
	buffer_load_dword v6, off, s[0:3], 0 offset:36
	s_mov_b32 s4, exec_lo
	s_waitcnt vmcnt(0)
	ds_write_b64 v4, v[5:6]
	s_waitcnt lgkmcnt(0)
	s_barrier
	buffer_gl0_inv
	v_cmpx_gt_u32_e32 4, v0
	s_cbranch_execz .LBB40_31
; %bb.28:
	v_add_nc_u32_e32 v5, -1, v0
	v_add_nc_u32_e32 v6, 0x150, v3
	v_mov_b32_e32 v7, v3
	v_mov_b32_e32 v2, 0
	;; [unrolled: 1-line block ×3, first 2 shown]
	s_mov_b32 s5, 0
	.p2align	6
.LBB40_29:                              ; =>This Inner Loop Header: Depth=1
	s_clause 0x1
	buffer_load_dword v93, v7, s[0:3], 0 offen offset:4
	buffer_load_dword v94, v7, s[0:3], 0 offen
	ds_read_b64 v[91:92], v6
	v_add_nc_u32_e32 v5, 1, v5
	v_add_nc_u32_e32 v6, 8, v6
	v_add_nc_u32_e32 v7, 8, v7
	v_cmp_lt_u32_e32 vcc_lo, 2, v5
	s_or_b32 s5, vcc_lo, s5
	s_waitcnt vmcnt(1) lgkmcnt(0)
	v_mul_f32_e32 v95, v92, v93
	v_mul_f32_e32 v93, v91, v93
	s_waitcnt vmcnt(0)
	v_fma_f32 v91, v91, v94, -v95
	v_fmac_f32_e32 v93, v92, v94
	v_add_f32_e32 v8, v8, v91
	v_add_f32_e32 v2, v2, v93
	s_andn2_b32 exec_lo, exec_lo, s5
	s_cbranch_execnz .LBB40_29
; %bb.30:
	s_or_b32 exec_lo, exec_lo, s5
	v_mov_b32_e32 v5, 0
	ds_read_b64 v[5:6], v5 offset:32
	s_waitcnt lgkmcnt(0)
	v_mul_f32_e32 v7, v2, v6
	v_mul_f32_e32 v6, v8, v6
	v_fma_f32 v7, v8, v5, -v7
	v_fmac_f32_e32 v6, v2, v5
	buffer_store_dword v7, off, s[0:3], 0 offset:32
	buffer_store_dword v6, off, s[0:3], 0 offset:36
.LBB40_31:
	s_or_b32 exec_lo, exec_lo, s4
	s_waitcnt_vscnt null, 0x0
	s_barrier
	buffer_gl0_inv
	s_clause 0x1
	buffer_load_dword v5, off, s[0:3], 0 offset:40
	buffer_load_dword v6, off, s[0:3], 0 offset:44
	s_mov_b32 s4, exec_lo
	s_waitcnt vmcnt(0)
	ds_write_b64 v4, v[5:6]
	s_waitcnt lgkmcnt(0)
	s_barrier
	buffer_gl0_inv
	v_cmpx_gt_u32_e32 5, v0
	s_cbranch_execz .LBB40_35
; %bb.32:
	v_add_nc_u32_e32 v5, -1, v0
	v_add_nc_u32_e32 v6, 0x150, v3
	v_mov_b32_e32 v7, v3
	v_mov_b32_e32 v2, 0
	;; [unrolled: 1-line block ×3, first 2 shown]
	s_mov_b32 s5, 0
	.p2align	6
.LBB40_33:                              ; =>This Inner Loop Header: Depth=1
	s_clause 0x1
	buffer_load_dword v93, v7, s[0:3], 0 offen offset:4
	buffer_load_dword v94, v7, s[0:3], 0 offen
	ds_read_b64 v[91:92], v6
	v_add_nc_u32_e32 v5, 1, v5
	v_add_nc_u32_e32 v6, 8, v6
	;; [unrolled: 1-line block ×3, first 2 shown]
	v_cmp_lt_u32_e32 vcc_lo, 3, v5
	s_or_b32 s5, vcc_lo, s5
	s_waitcnt vmcnt(1) lgkmcnt(0)
	v_mul_f32_e32 v95, v92, v93
	v_mul_f32_e32 v93, v91, v93
	s_waitcnt vmcnt(0)
	v_fma_f32 v91, v91, v94, -v95
	v_fmac_f32_e32 v93, v92, v94
	v_add_f32_e32 v8, v8, v91
	v_add_f32_e32 v2, v2, v93
	s_andn2_b32 exec_lo, exec_lo, s5
	s_cbranch_execnz .LBB40_33
; %bb.34:
	s_or_b32 exec_lo, exec_lo, s5
	v_mov_b32_e32 v5, 0
	ds_read_b64 v[5:6], v5 offset:40
	s_waitcnt lgkmcnt(0)
	v_mul_f32_e32 v7, v2, v6
	v_mul_f32_e32 v6, v8, v6
	v_fma_f32 v7, v8, v5, -v7
	v_fmac_f32_e32 v6, v2, v5
	buffer_store_dword v7, off, s[0:3], 0 offset:40
	buffer_store_dword v6, off, s[0:3], 0 offset:44
.LBB40_35:
	s_or_b32 exec_lo, exec_lo, s4
	s_waitcnt_vscnt null, 0x0
	s_barrier
	buffer_gl0_inv
	s_clause 0x1
	buffer_load_dword v5, off, s[0:3], 0 offset:48
	buffer_load_dword v6, off, s[0:3], 0 offset:52
	s_mov_b32 s4, exec_lo
	s_waitcnt vmcnt(0)
	ds_write_b64 v4, v[5:6]
	s_waitcnt lgkmcnt(0)
	s_barrier
	buffer_gl0_inv
	v_cmpx_gt_u32_e32 6, v0
	s_cbranch_execz .LBB40_39
; %bb.36:
	v_add_nc_u32_e32 v5, -1, v0
	v_add_nc_u32_e32 v6, 0x150, v3
	v_mov_b32_e32 v7, v3
	v_mov_b32_e32 v2, 0
	;; [unrolled: 1-line block ×3, first 2 shown]
	s_mov_b32 s5, 0
	.p2align	6
.LBB40_37:                              ; =>This Inner Loop Header: Depth=1
	s_clause 0x1
	buffer_load_dword v93, v7, s[0:3], 0 offen offset:4
	buffer_load_dword v94, v7, s[0:3], 0 offen
	ds_read_b64 v[91:92], v6
	v_add_nc_u32_e32 v5, 1, v5
	v_add_nc_u32_e32 v6, 8, v6
	;; [unrolled: 1-line block ×3, first 2 shown]
	v_cmp_lt_u32_e32 vcc_lo, 4, v5
	s_or_b32 s5, vcc_lo, s5
	s_waitcnt vmcnt(1) lgkmcnt(0)
	v_mul_f32_e32 v95, v92, v93
	v_mul_f32_e32 v93, v91, v93
	s_waitcnt vmcnt(0)
	v_fma_f32 v91, v91, v94, -v95
	v_fmac_f32_e32 v93, v92, v94
	v_add_f32_e32 v8, v8, v91
	v_add_f32_e32 v2, v2, v93
	s_andn2_b32 exec_lo, exec_lo, s5
	s_cbranch_execnz .LBB40_37
; %bb.38:
	s_or_b32 exec_lo, exec_lo, s5
	v_mov_b32_e32 v5, 0
	ds_read_b64 v[5:6], v5 offset:48
	s_waitcnt lgkmcnt(0)
	v_mul_f32_e32 v7, v2, v6
	v_mul_f32_e32 v6, v8, v6
	v_fma_f32 v7, v8, v5, -v7
	v_fmac_f32_e32 v6, v2, v5
	buffer_store_dword v7, off, s[0:3], 0 offset:48
	buffer_store_dword v6, off, s[0:3], 0 offset:52
.LBB40_39:
	s_or_b32 exec_lo, exec_lo, s4
	s_waitcnt_vscnt null, 0x0
	s_barrier
	buffer_gl0_inv
	s_clause 0x1
	buffer_load_dword v5, off, s[0:3], 0 offset:56
	buffer_load_dword v6, off, s[0:3], 0 offset:60
	s_mov_b32 s4, exec_lo
	s_waitcnt vmcnt(0)
	ds_write_b64 v4, v[5:6]
	s_waitcnt lgkmcnt(0)
	s_barrier
	buffer_gl0_inv
	v_cmpx_gt_u32_e32 7, v0
	s_cbranch_execz .LBB40_43
; %bb.40:
	v_add_nc_u32_e32 v5, -1, v0
	v_add_nc_u32_e32 v6, 0x150, v3
	v_mov_b32_e32 v7, v3
	v_mov_b32_e32 v2, 0
	;; [unrolled: 1-line block ×3, first 2 shown]
	s_mov_b32 s5, 0
	.p2align	6
.LBB40_41:                              ; =>This Inner Loop Header: Depth=1
	s_clause 0x1
	buffer_load_dword v93, v7, s[0:3], 0 offen offset:4
	buffer_load_dword v94, v7, s[0:3], 0 offen
	ds_read_b64 v[91:92], v6
	v_add_nc_u32_e32 v5, 1, v5
	v_add_nc_u32_e32 v6, 8, v6
	;; [unrolled: 1-line block ×3, first 2 shown]
	v_cmp_lt_u32_e32 vcc_lo, 5, v5
	s_or_b32 s5, vcc_lo, s5
	s_waitcnt vmcnt(1) lgkmcnt(0)
	v_mul_f32_e32 v95, v92, v93
	v_mul_f32_e32 v93, v91, v93
	s_waitcnt vmcnt(0)
	v_fma_f32 v91, v91, v94, -v95
	v_fmac_f32_e32 v93, v92, v94
	v_add_f32_e32 v8, v8, v91
	v_add_f32_e32 v2, v2, v93
	s_andn2_b32 exec_lo, exec_lo, s5
	s_cbranch_execnz .LBB40_41
; %bb.42:
	s_or_b32 exec_lo, exec_lo, s5
	v_mov_b32_e32 v5, 0
	ds_read_b64 v[5:6], v5 offset:56
	s_waitcnt lgkmcnt(0)
	v_mul_f32_e32 v7, v2, v6
	v_mul_f32_e32 v6, v8, v6
	v_fma_f32 v7, v8, v5, -v7
	v_fmac_f32_e32 v6, v2, v5
	buffer_store_dword v7, off, s[0:3], 0 offset:56
	buffer_store_dword v6, off, s[0:3], 0 offset:60
.LBB40_43:
	s_or_b32 exec_lo, exec_lo, s4
	s_waitcnt_vscnt null, 0x0
	s_barrier
	buffer_gl0_inv
	s_clause 0x1
	buffer_load_dword v5, off, s[0:3], 0 offset:64
	buffer_load_dword v6, off, s[0:3], 0 offset:68
	s_mov_b32 s4, exec_lo
	s_waitcnt vmcnt(0)
	ds_write_b64 v4, v[5:6]
	s_waitcnt lgkmcnt(0)
	s_barrier
	buffer_gl0_inv
	v_cmpx_gt_u32_e32 8, v0
	s_cbranch_execz .LBB40_47
; %bb.44:
	v_add_nc_u32_e32 v5, -1, v0
	v_add_nc_u32_e32 v6, 0x150, v3
	v_mov_b32_e32 v7, v3
	v_mov_b32_e32 v2, 0
	v_mov_b32_e32 v8, 0
	s_mov_b32 s5, 0
	.p2align	6
.LBB40_45:                              ; =>This Inner Loop Header: Depth=1
	s_clause 0x1
	buffer_load_dword v93, v7, s[0:3], 0 offen offset:4
	buffer_load_dword v94, v7, s[0:3], 0 offen
	ds_read_b64 v[91:92], v6
	v_add_nc_u32_e32 v5, 1, v5
	v_add_nc_u32_e32 v6, 8, v6
	;; [unrolled: 1-line block ×3, first 2 shown]
	v_cmp_lt_u32_e32 vcc_lo, 6, v5
	s_or_b32 s5, vcc_lo, s5
	s_waitcnt vmcnt(1) lgkmcnt(0)
	v_mul_f32_e32 v95, v92, v93
	v_mul_f32_e32 v93, v91, v93
	s_waitcnt vmcnt(0)
	v_fma_f32 v91, v91, v94, -v95
	v_fmac_f32_e32 v93, v92, v94
	v_add_f32_e32 v8, v8, v91
	v_add_f32_e32 v2, v2, v93
	s_andn2_b32 exec_lo, exec_lo, s5
	s_cbranch_execnz .LBB40_45
; %bb.46:
	s_or_b32 exec_lo, exec_lo, s5
	v_mov_b32_e32 v5, 0
	ds_read_b64 v[5:6], v5 offset:64
	s_waitcnt lgkmcnt(0)
	v_mul_f32_e32 v7, v2, v6
	v_mul_f32_e32 v6, v8, v6
	v_fma_f32 v7, v8, v5, -v7
	v_fmac_f32_e32 v6, v2, v5
	buffer_store_dword v7, off, s[0:3], 0 offset:64
	buffer_store_dword v6, off, s[0:3], 0 offset:68
.LBB40_47:
	s_or_b32 exec_lo, exec_lo, s4
	s_waitcnt_vscnt null, 0x0
	s_barrier
	buffer_gl0_inv
	s_clause 0x1
	buffer_load_dword v5, off, s[0:3], 0 offset:72
	buffer_load_dword v6, off, s[0:3], 0 offset:76
	s_mov_b32 s4, exec_lo
	s_waitcnt vmcnt(0)
	ds_write_b64 v4, v[5:6]
	s_waitcnt lgkmcnt(0)
	s_barrier
	buffer_gl0_inv
	v_cmpx_gt_u32_e32 9, v0
	s_cbranch_execz .LBB40_51
; %bb.48:
	v_add_nc_u32_e32 v5, -1, v0
	v_add_nc_u32_e32 v6, 0x150, v3
	v_mov_b32_e32 v7, v3
	v_mov_b32_e32 v2, 0
	;; [unrolled: 1-line block ×3, first 2 shown]
	s_mov_b32 s5, 0
	.p2align	6
.LBB40_49:                              ; =>This Inner Loop Header: Depth=1
	s_clause 0x1
	buffer_load_dword v93, v7, s[0:3], 0 offen offset:4
	buffer_load_dword v94, v7, s[0:3], 0 offen
	ds_read_b64 v[91:92], v6
	v_add_nc_u32_e32 v5, 1, v5
	v_add_nc_u32_e32 v6, 8, v6
	;; [unrolled: 1-line block ×3, first 2 shown]
	v_cmp_lt_u32_e32 vcc_lo, 7, v5
	s_or_b32 s5, vcc_lo, s5
	s_waitcnt vmcnt(1) lgkmcnt(0)
	v_mul_f32_e32 v95, v92, v93
	v_mul_f32_e32 v93, v91, v93
	s_waitcnt vmcnt(0)
	v_fma_f32 v91, v91, v94, -v95
	v_fmac_f32_e32 v93, v92, v94
	v_add_f32_e32 v8, v8, v91
	v_add_f32_e32 v2, v2, v93
	s_andn2_b32 exec_lo, exec_lo, s5
	s_cbranch_execnz .LBB40_49
; %bb.50:
	s_or_b32 exec_lo, exec_lo, s5
	v_mov_b32_e32 v5, 0
	ds_read_b64 v[5:6], v5 offset:72
	s_waitcnt lgkmcnt(0)
	v_mul_f32_e32 v7, v2, v6
	v_mul_f32_e32 v6, v8, v6
	v_fma_f32 v7, v8, v5, -v7
	v_fmac_f32_e32 v6, v2, v5
	buffer_store_dword v7, off, s[0:3], 0 offset:72
	buffer_store_dword v6, off, s[0:3], 0 offset:76
.LBB40_51:
	s_or_b32 exec_lo, exec_lo, s4
	s_waitcnt_vscnt null, 0x0
	s_barrier
	buffer_gl0_inv
	s_clause 0x1
	buffer_load_dword v5, off, s[0:3], 0 offset:80
	buffer_load_dword v6, off, s[0:3], 0 offset:84
	s_mov_b32 s4, exec_lo
	s_waitcnt vmcnt(0)
	ds_write_b64 v4, v[5:6]
	s_waitcnt lgkmcnt(0)
	s_barrier
	buffer_gl0_inv
	v_cmpx_gt_u32_e32 10, v0
	s_cbranch_execz .LBB40_55
; %bb.52:
	v_add_nc_u32_e32 v5, -1, v0
	v_add_nc_u32_e32 v6, 0x150, v3
	v_mov_b32_e32 v7, v3
	v_mov_b32_e32 v2, 0
	;; [unrolled: 1-line block ×3, first 2 shown]
	s_mov_b32 s5, 0
	.p2align	6
.LBB40_53:                              ; =>This Inner Loop Header: Depth=1
	s_clause 0x1
	buffer_load_dword v93, v7, s[0:3], 0 offen offset:4
	buffer_load_dword v94, v7, s[0:3], 0 offen
	ds_read_b64 v[91:92], v6
	v_add_nc_u32_e32 v5, 1, v5
	v_add_nc_u32_e32 v6, 8, v6
	;; [unrolled: 1-line block ×3, first 2 shown]
	v_cmp_lt_u32_e32 vcc_lo, 8, v5
	s_or_b32 s5, vcc_lo, s5
	s_waitcnt vmcnt(1) lgkmcnt(0)
	v_mul_f32_e32 v95, v92, v93
	v_mul_f32_e32 v93, v91, v93
	s_waitcnt vmcnt(0)
	v_fma_f32 v91, v91, v94, -v95
	v_fmac_f32_e32 v93, v92, v94
	v_add_f32_e32 v8, v8, v91
	v_add_f32_e32 v2, v2, v93
	s_andn2_b32 exec_lo, exec_lo, s5
	s_cbranch_execnz .LBB40_53
; %bb.54:
	s_or_b32 exec_lo, exec_lo, s5
	v_mov_b32_e32 v5, 0
	ds_read_b64 v[5:6], v5 offset:80
	s_waitcnt lgkmcnt(0)
	v_mul_f32_e32 v7, v2, v6
	v_mul_f32_e32 v6, v8, v6
	v_fma_f32 v7, v8, v5, -v7
	v_fmac_f32_e32 v6, v2, v5
	buffer_store_dword v7, off, s[0:3], 0 offset:80
	buffer_store_dword v6, off, s[0:3], 0 offset:84
.LBB40_55:
	s_or_b32 exec_lo, exec_lo, s4
	s_waitcnt_vscnt null, 0x0
	s_barrier
	buffer_gl0_inv
	s_clause 0x1
	buffer_load_dword v5, off, s[0:3], 0 offset:88
	buffer_load_dword v6, off, s[0:3], 0 offset:92
	s_mov_b32 s4, exec_lo
	s_waitcnt vmcnt(0)
	ds_write_b64 v4, v[5:6]
	s_waitcnt lgkmcnt(0)
	s_barrier
	buffer_gl0_inv
	v_cmpx_gt_u32_e32 11, v0
	s_cbranch_execz .LBB40_59
; %bb.56:
	v_add_nc_u32_e32 v5, -1, v0
	v_add_nc_u32_e32 v6, 0x150, v3
	v_mov_b32_e32 v7, v3
	v_mov_b32_e32 v2, 0
	v_mov_b32_e32 v8, 0
	s_mov_b32 s5, 0
	.p2align	6
.LBB40_57:                              ; =>This Inner Loop Header: Depth=1
	s_clause 0x1
	buffer_load_dword v93, v7, s[0:3], 0 offen offset:4
	buffer_load_dword v94, v7, s[0:3], 0 offen
	ds_read_b64 v[91:92], v6
	v_add_nc_u32_e32 v5, 1, v5
	v_add_nc_u32_e32 v6, 8, v6
	;; [unrolled: 1-line block ×3, first 2 shown]
	v_cmp_lt_u32_e32 vcc_lo, 9, v5
	s_or_b32 s5, vcc_lo, s5
	s_waitcnt vmcnt(1) lgkmcnt(0)
	v_mul_f32_e32 v95, v92, v93
	v_mul_f32_e32 v93, v91, v93
	s_waitcnt vmcnt(0)
	v_fma_f32 v91, v91, v94, -v95
	v_fmac_f32_e32 v93, v92, v94
	v_add_f32_e32 v8, v8, v91
	v_add_f32_e32 v2, v2, v93
	s_andn2_b32 exec_lo, exec_lo, s5
	s_cbranch_execnz .LBB40_57
; %bb.58:
	s_or_b32 exec_lo, exec_lo, s5
	v_mov_b32_e32 v5, 0
	ds_read_b64 v[5:6], v5 offset:88
	s_waitcnt lgkmcnt(0)
	v_mul_f32_e32 v7, v2, v6
	v_mul_f32_e32 v6, v8, v6
	v_fma_f32 v7, v8, v5, -v7
	v_fmac_f32_e32 v6, v2, v5
	buffer_store_dword v7, off, s[0:3], 0 offset:88
	buffer_store_dword v6, off, s[0:3], 0 offset:92
.LBB40_59:
	s_or_b32 exec_lo, exec_lo, s4
	s_waitcnt_vscnt null, 0x0
	s_barrier
	buffer_gl0_inv
	s_clause 0x1
	buffer_load_dword v5, off, s[0:3], 0 offset:96
	buffer_load_dword v6, off, s[0:3], 0 offset:100
	s_mov_b32 s4, exec_lo
	s_waitcnt vmcnt(0)
	ds_write_b64 v4, v[5:6]
	s_waitcnt lgkmcnt(0)
	s_barrier
	buffer_gl0_inv
	v_cmpx_gt_u32_e32 12, v0
	s_cbranch_execz .LBB40_63
; %bb.60:
	v_add_nc_u32_e32 v5, -1, v0
	v_add_nc_u32_e32 v6, 0x150, v3
	v_mov_b32_e32 v7, v3
	v_mov_b32_e32 v2, 0
	;; [unrolled: 1-line block ×3, first 2 shown]
	s_mov_b32 s5, 0
	.p2align	6
.LBB40_61:                              ; =>This Inner Loop Header: Depth=1
	s_clause 0x1
	buffer_load_dword v93, v7, s[0:3], 0 offen offset:4
	buffer_load_dword v94, v7, s[0:3], 0 offen
	ds_read_b64 v[91:92], v6
	v_add_nc_u32_e32 v5, 1, v5
	v_add_nc_u32_e32 v6, 8, v6
	;; [unrolled: 1-line block ×3, first 2 shown]
	v_cmp_lt_u32_e32 vcc_lo, 10, v5
	s_or_b32 s5, vcc_lo, s5
	s_waitcnt vmcnt(1) lgkmcnt(0)
	v_mul_f32_e32 v95, v92, v93
	v_mul_f32_e32 v93, v91, v93
	s_waitcnt vmcnt(0)
	v_fma_f32 v91, v91, v94, -v95
	v_fmac_f32_e32 v93, v92, v94
	v_add_f32_e32 v8, v8, v91
	v_add_f32_e32 v2, v2, v93
	s_andn2_b32 exec_lo, exec_lo, s5
	s_cbranch_execnz .LBB40_61
; %bb.62:
	s_or_b32 exec_lo, exec_lo, s5
	v_mov_b32_e32 v5, 0
	ds_read_b64 v[5:6], v5 offset:96
	s_waitcnt lgkmcnt(0)
	v_mul_f32_e32 v7, v2, v6
	v_mul_f32_e32 v6, v8, v6
	v_fma_f32 v7, v8, v5, -v7
	v_fmac_f32_e32 v6, v2, v5
	buffer_store_dword v7, off, s[0:3], 0 offset:96
	buffer_store_dword v6, off, s[0:3], 0 offset:100
.LBB40_63:
	s_or_b32 exec_lo, exec_lo, s4
	s_waitcnt_vscnt null, 0x0
	s_barrier
	buffer_gl0_inv
	s_clause 0x1
	buffer_load_dword v5, off, s[0:3], 0 offset:104
	buffer_load_dword v6, off, s[0:3], 0 offset:108
	s_mov_b32 s4, exec_lo
	s_waitcnt vmcnt(0)
	ds_write_b64 v4, v[5:6]
	s_waitcnt lgkmcnt(0)
	s_barrier
	buffer_gl0_inv
	v_cmpx_gt_u32_e32 13, v0
	s_cbranch_execz .LBB40_67
; %bb.64:
	v_add_nc_u32_e32 v5, -1, v0
	v_add_nc_u32_e32 v6, 0x150, v3
	v_mov_b32_e32 v7, v3
	v_mov_b32_e32 v2, 0
	;; [unrolled: 1-line block ×3, first 2 shown]
	s_mov_b32 s5, 0
	.p2align	6
.LBB40_65:                              ; =>This Inner Loop Header: Depth=1
	s_clause 0x1
	buffer_load_dword v93, v7, s[0:3], 0 offen offset:4
	buffer_load_dword v94, v7, s[0:3], 0 offen
	ds_read_b64 v[91:92], v6
	v_add_nc_u32_e32 v5, 1, v5
	v_add_nc_u32_e32 v6, 8, v6
	;; [unrolled: 1-line block ×3, first 2 shown]
	v_cmp_lt_u32_e32 vcc_lo, 11, v5
	s_or_b32 s5, vcc_lo, s5
	s_waitcnt vmcnt(1) lgkmcnt(0)
	v_mul_f32_e32 v95, v92, v93
	v_mul_f32_e32 v93, v91, v93
	s_waitcnt vmcnt(0)
	v_fma_f32 v91, v91, v94, -v95
	v_fmac_f32_e32 v93, v92, v94
	v_add_f32_e32 v8, v8, v91
	v_add_f32_e32 v2, v2, v93
	s_andn2_b32 exec_lo, exec_lo, s5
	s_cbranch_execnz .LBB40_65
; %bb.66:
	s_or_b32 exec_lo, exec_lo, s5
	v_mov_b32_e32 v5, 0
	ds_read_b64 v[5:6], v5 offset:104
	s_waitcnt lgkmcnt(0)
	v_mul_f32_e32 v7, v2, v6
	v_mul_f32_e32 v6, v8, v6
	v_fma_f32 v7, v8, v5, -v7
	v_fmac_f32_e32 v6, v2, v5
	buffer_store_dword v7, off, s[0:3], 0 offset:104
	buffer_store_dword v6, off, s[0:3], 0 offset:108
.LBB40_67:
	s_or_b32 exec_lo, exec_lo, s4
	s_waitcnt_vscnt null, 0x0
	s_barrier
	buffer_gl0_inv
	s_clause 0x1
	buffer_load_dword v5, off, s[0:3], 0 offset:112
	buffer_load_dword v6, off, s[0:3], 0 offset:116
	s_mov_b32 s4, exec_lo
	s_waitcnt vmcnt(0)
	ds_write_b64 v4, v[5:6]
	s_waitcnt lgkmcnt(0)
	s_barrier
	buffer_gl0_inv
	v_cmpx_gt_u32_e32 14, v0
	s_cbranch_execz .LBB40_71
; %bb.68:
	v_add_nc_u32_e32 v5, -1, v0
	v_add_nc_u32_e32 v6, 0x150, v3
	v_mov_b32_e32 v7, v3
	v_mov_b32_e32 v2, 0
	;; [unrolled: 1-line block ×3, first 2 shown]
	s_mov_b32 s5, 0
	.p2align	6
.LBB40_69:                              ; =>This Inner Loop Header: Depth=1
	s_clause 0x1
	buffer_load_dword v93, v7, s[0:3], 0 offen offset:4
	buffer_load_dword v94, v7, s[0:3], 0 offen
	ds_read_b64 v[91:92], v6
	v_add_nc_u32_e32 v5, 1, v5
	v_add_nc_u32_e32 v6, 8, v6
	;; [unrolled: 1-line block ×3, first 2 shown]
	v_cmp_lt_u32_e32 vcc_lo, 12, v5
	s_or_b32 s5, vcc_lo, s5
	s_waitcnt vmcnt(1) lgkmcnt(0)
	v_mul_f32_e32 v95, v92, v93
	v_mul_f32_e32 v93, v91, v93
	s_waitcnt vmcnt(0)
	v_fma_f32 v91, v91, v94, -v95
	v_fmac_f32_e32 v93, v92, v94
	v_add_f32_e32 v8, v8, v91
	v_add_f32_e32 v2, v2, v93
	s_andn2_b32 exec_lo, exec_lo, s5
	s_cbranch_execnz .LBB40_69
; %bb.70:
	s_or_b32 exec_lo, exec_lo, s5
	v_mov_b32_e32 v5, 0
	ds_read_b64 v[5:6], v5 offset:112
	s_waitcnt lgkmcnt(0)
	v_mul_f32_e32 v7, v2, v6
	v_mul_f32_e32 v6, v8, v6
	v_fma_f32 v7, v8, v5, -v7
	v_fmac_f32_e32 v6, v2, v5
	buffer_store_dword v7, off, s[0:3], 0 offset:112
	buffer_store_dword v6, off, s[0:3], 0 offset:116
.LBB40_71:
	s_or_b32 exec_lo, exec_lo, s4
	s_waitcnt_vscnt null, 0x0
	s_barrier
	buffer_gl0_inv
	s_clause 0x1
	buffer_load_dword v5, off, s[0:3], 0 offset:120
	buffer_load_dword v6, off, s[0:3], 0 offset:124
	s_mov_b32 s4, exec_lo
	s_waitcnt vmcnt(0)
	ds_write_b64 v4, v[5:6]
	s_waitcnt lgkmcnt(0)
	s_barrier
	buffer_gl0_inv
	v_cmpx_gt_u32_e32 15, v0
	s_cbranch_execz .LBB40_75
; %bb.72:
	v_add_nc_u32_e32 v5, -1, v0
	v_add_nc_u32_e32 v6, 0x150, v3
	v_mov_b32_e32 v7, v3
	v_mov_b32_e32 v2, 0
	;; [unrolled: 1-line block ×3, first 2 shown]
	s_mov_b32 s5, 0
	.p2align	6
.LBB40_73:                              ; =>This Inner Loop Header: Depth=1
	s_clause 0x1
	buffer_load_dword v93, v7, s[0:3], 0 offen offset:4
	buffer_load_dword v94, v7, s[0:3], 0 offen
	ds_read_b64 v[91:92], v6
	v_add_nc_u32_e32 v5, 1, v5
	v_add_nc_u32_e32 v6, 8, v6
	;; [unrolled: 1-line block ×3, first 2 shown]
	v_cmp_lt_u32_e32 vcc_lo, 13, v5
	s_or_b32 s5, vcc_lo, s5
	s_waitcnt vmcnt(1) lgkmcnt(0)
	v_mul_f32_e32 v95, v92, v93
	v_mul_f32_e32 v93, v91, v93
	s_waitcnt vmcnt(0)
	v_fma_f32 v91, v91, v94, -v95
	v_fmac_f32_e32 v93, v92, v94
	v_add_f32_e32 v8, v8, v91
	v_add_f32_e32 v2, v2, v93
	s_andn2_b32 exec_lo, exec_lo, s5
	s_cbranch_execnz .LBB40_73
; %bb.74:
	s_or_b32 exec_lo, exec_lo, s5
	v_mov_b32_e32 v5, 0
	ds_read_b64 v[5:6], v5 offset:120
	s_waitcnt lgkmcnt(0)
	v_mul_f32_e32 v7, v2, v6
	v_mul_f32_e32 v6, v8, v6
	v_fma_f32 v7, v8, v5, -v7
	v_fmac_f32_e32 v6, v2, v5
	buffer_store_dword v7, off, s[0:3], 0 offset:120
	buffer_store_dword v6, off, s[0:3], 0 offset:124
.LBB40_75:
	s_or_b32 exec_lo, exec_lo, s4
	s_waitcnt_vscnt null, 0x0
	s_barrier
	buffer_gl0_inv
	s_clause 0x1
	buffer_load_dword v5, off, s[0:3], 0 offset:128
	buffer_load_dword v6, off, s[0:3], 0 offset:132
	s_mov_b32 s4, exec_lo
	s_waitcnt vmcnt(0)
	ds_write_b64 v4, v[5:6]
	s_waitcnt lgkmcnt(0)
	s_barrier
	buffer_gl0_inv
	v_cmpx_gt_u32_e32 16, v0
	s_cbranch_execz .LBB40_79
; %bb.76:
	v_add_nc_u32_e32 v5, -1, v0
	v_add_nc_u32_e32 v6, 0x150, v3
	v_mov_b32_e32 v7, v3
	v_mov_b32_e32 v2, 0
	;; [unrolled: 1-line block ×3, first 2 shown]
	s_mov_b32 s5, 0
	.p2align	6
.LBB40_77:                              ; =>This Inner Loop Header: Depth=1
	s_clause 0x1
	buffer_load_dword v93, v7, s[0:3], 0 offen offset:4
	buffer_load_dword v94, v7, s[0:3], 0 offen
	ds_read_b64 v[91:92], v6
	v_add_nc_u32_e32 v5, 1, v5
	v_add_nc_u32_e32 v6, 8, v6
	;; [unrolled: 1-line block ×3, first 2 shown]
	v_cmp_lt_u32_e32 vcc_lo, 14, v5
	s_or_b32 s5, vcc_lo, s5
	s_waitcnt vmcnt(1) lgkmcnt(0)
	v_mul_f32_e32 v95, v92, v93
	v_mul_f32_e32 v93, v91, v93
	s_waitcnt vmcnt(0)
	v_fma_f32 v91, v91, v94, -v95
	v_fmac_f32_e32 v93, v92, v94
	v_add_f32_e32 v8, v8, v91
	v_add_f32_e32 v2, v2, v93
	s_andn2_b32 exec_lo, exec_lo, s5
	s_cbranch_execnz .LBB40_77
; %bb.78:
	s_or_b32 exec_lo, exec_lo, s5
	v_mov_b32_e32 v5, 0
	ds_read_b64 v[5:6], v5 offset:128
	s_waitcnt lgkmcnt(0)
	v_mul_f32_e32 v7, v2, v6
	v_mul_f32_e32 v6, v8, v6
	v_fma_f32 v7, v8, v5, -v7
	v_fmac_f32_e32 v6, v2, v5
	buffer_store_dword v7, off, s[0:3], 0 offset:128
	buffer_store_dword v6, off, s[0:3], 0 offset:132
.LBB40_79:
	s_or_b32 exec_lo, exec_lo, s4
	s_waitcnt_vscnt null, 0x0
	s_barrier
	buffer_gl0_inv
	s_clause 0x1
	buffer_load_dword v5, off, s[0:3], 0 offset:136
	buffer_load_dword v6, off, s[0:3], 0 offset:140
	s_mov_b32 s4, exec_lo
	s_waitcnt vmcnt(0)
	ds_write_b64 v4, v[5:6]
	s_waitcnt lgkmcnt(0)
	s_barrier
	buffer_gl0_inv
	v_cmpx_gt_u32_e32 17, v0
	s_cbranch_execz .LBB40_83
; %bb.80:
	v_add_nc_u32_e32 v5, -1, v0
	v_add_nc_u32_e32 v6, 0x150, v3
	v_mov_b32_e32 v7, v3
	v_mov_b32_e32 v2, 0
	;; [unrolled: 1-line block ×3, first 2 shown]
	s_mov_b32 s5, 0
	.p2align	6
.LBB40_81:                              ; =>This Inner Loop Header: Depth=1
	s_clause 0x1
	buffer_load_dword v93, v7, s[0:3], 0 offen offset:4
	buffer_load_dword v94, v7, s[0:3], 0 offen
	ds_read_b64 v[91:92], v6
	v_add_nc_u32_e32 v5, 1, v5
	v_add_nc_u32_e32 v6, 8, v6
	;; [unrolled: 1-line block ×3, first 2 shown]
	v_cmp_lt_u32_e32 vcc_lo, 15, v5
	s_or_b32 s5, vcc_lo, s5
	s_waitcnt vmcnt(1) lgkmcnt(0)
	v_mul_f32_e32 v95, v92, v93
	v_mul_f32_e32 v93, v91, v93
	s_waitcnt vmcnt(0)
	v_fma_f32 v91, v91, v94, -v95
	v_fmac_f32_e32 v93, v92, v94
	v_add_f32_e32 v8, v8, v91
	v_add_f32_e32 v2, v2, v93
	s_andn2_b32 exec_lo, exec_lo, s5
	s_cbranch_execnz .LBB40_81
; %bb.82:
	s_or_b32 exec_lo, exec_lo, s5
	v_mov_b32_e32 v5, 0
	ds_read_b64 v[5:6], v5 offset:136
	s_waitcnt lgkmcnt(0)
	v_mul_f32_e32 v7, v2, v6
	v_mul_f32_e32 v6, v8, v6
	v_fma_f32 v7, v8, v5, -v7
	v_fmac_f32_e32 v6, v2, v5
	buffer_store_dword v7, off, s[0:3], 0 offset:136
	buffer_store_dword v6, off, s[0:3], 0 offset:140
.LBB40_83:
	s_or_b32 exec_lo, exec_lo, s4
	s_waitcnt_vscnt null, 0x0
	s_barrier
	buffer_gl0_inv
	s_clause 0x1
	buffer_load_dword v5, off, s[0:3], 0 offset:144
	buffer_load_dword v6, off, s[0:3], 0 offset:148
	s_mov_b32 s4, exec_lo
	s_waitcnt vmcnt(0)
	ds_write_b64 v4, v[5:6]
	s_waitcnt lgkmcnt(0)
	s_barrier
	buffer_gl0_inv
	v_cmpx_gt_u32_e32 18, v0
	s_cbranch_execz .LBB40_87
; %bb.84:
	v_add_nc_u32_e32 v5, -1, v0
	v_add_nc_u32_e32 v6, 0x150, v3
	v_mov_b32_e32 v7, v3
	v_mov_b32_e32 v2, 0
	;; [unrolled: 1-line block ×3, first 2 shown]
	s_mov_b32 s5, 0
	.p2align	6
.LBB40_85:                              ; =>This Inner Loop Header: Depth=1
	s_clause 0x1
	buffer_load_dword v93, v7, s[0:3], 0 offen offset:4
	buffer_load_dword v94, v7, s[0:3], 0 offen
	ds_read_b64 v[91:92], v6
	v_add_nc_u32_e32 v5, 1, v5
	v_add_nc_u32_e32 v6, 8, v6
	;; [unrolled: 1-line block ×3, first 2 shown]
	v_cmp_lt_u32_e32 vcc_lo, 16, v5
	s_or_b32 s5, vcc_lo, s5
	s_waitcnt vmcnt(1) lgkmcnt(0)
	v_mul_f32_e32 v95, v92, v93
	v_mul_f32_e32 v93, v91, v93
	s_waitcnt vmcnt(0)
	v_fma_f32 v91, v91, v94, -v95
	v_fmac_f32_e32 v93, v92, v94
	v_add_f32_e32 v8, v8, v91
	v_add_f32_e32 v2, v2, v93
	s_andn2_b32 exec_lo, exec_lo, s5
	s_cbranch_execnz .LBB40_85
; %bb.86:
	s_or_b32 exec_lo, exec_lo, s5
	v_mov_b32_e32 v5, 0
	ds_read_b64 v[5:6], v5 offset:144
	s_waitcnt lgkmcnt(0)
	v_mul_f32_e32 v7, v2, v6
	v_mul_f32_e32 v6, v8, v6
	v_fma_f32 v7, v8, v5, -v7
	v_fmac_f32_e32 v6, v2, v5
	buffer_store_dword v7, off, s[0:3], 0 offset:144
	buffer_store_dword v6, off, s[0:3], 0 offset:148
.LBB40_87:
	s_or_b32 exec_lo, exec_lo, s4
	s_waitcnt_vscnt null, 0x0
	s_barrier
	buffer_gl0_inv
	s_clause 0x1
	buffer_load_dword v5, off, s[0:3], 0 offset:152
	buffer_load_dword v6, off, s[0:3], 0 offset:156
	s_mov_b32 s4, exec_lo
	s_waitcnt vmcnt(0)
	ds_write_b64 v4, v[5:6]
	s_waitcnt lgkmcnt(0)
	s_barrier
	buffer_gl0_inv
	v_cmpx_gt_u32_e32 19, v0
	s_cbranch_execz .LBB40_91
; %bb.88:
	v_add_nc_u32_e32 v5, -1, v0
	v_add_nc_u32_e32 v6, 0x150, v3
	v_mov_b32_e32 v7, v3
	v_mov_b32_e32 v2, 0
	;; [unrolled: 1-line block ×3, first 2 shown]
	s_mov_b32 s5, 0
	.p2align	6
.LBB40_89:                              ; =>This Inner Loop Header: Depth=1
	s_clause 0x1
	buffer_load_dword v93, v7, s[0:3], 0 offen offset:4
	buffer_load_dword v94, v7, s[0:3], 0 offen
	ds_read_b64 v[91:92], v6
	v_add_nc_u32_e32 v5, 1, v5
	v_add_nc_u32_e32 v6, 8, v6
	v_add_nc_u32_e32 v7, 8, v7
	v_cmp_lt_u32_e32 vcc_lo, 17, v5
	s_or_b32 s5, vcc_lo, s5
	s_waitcnt vmcnt(1) lgkmcnt(0)
	v_mul_f32_e32 v95, v92, v93
	v_mul_f32_e32 v93, v91, v93
	s_waitcnt vmcnt(0)
	v_fma_f32 v91, v91, v94, -v95
	v_fmac_f32_e32 v93, v92, v94
	v_add_f32_e32 v8, v8, v91
	v_add_f32_e32 v2, v2, v93
	s_andn2_b32 exec_lo, exec_lo, s5
	s_cbranch_execnz .LBB40_89
; %bb.90:
	s_or_b32 exec_lo, exec_lo, s5
	v_mov_b32_e32 v5, 0
	ds_read_b64 v[5:6], v5 offset:152
	s_waitcnt lgkmcnt(0)
	v_mul_f32_e32 v7, v2, v6
	v_mul_f32_e32 v6, v8, v6
	v_fma_f32 v7, v8, v5, -v7
	v_fmac_f32_e32 v6, v2, v5
	buffer_store_dword v7, off, s[0:3], 0 offset:152
	buffer_store_dword v6, off, s[0:3], 0 offset:156
.LBB40_91:
	s_or_b32 exec_lo, exec_lo, s4
	s_waitcnt_vscnt null, 0x0
	s_barrier
	buffer_gl0_inv
	s_clause 0x1
	buffer_load_dword v5, off, s[0:3], 0 offset:160
	buffer_load_dword v6, off, s[0:3], 0 offset:164
	s_mov_b32 s4, exec_lo
	s_waitcnt vmcnt(0)
	ds_write_b64 v4, v[5:6]
	s_waitcnt lgkmcnt(0)
	s_barrier
	buffer_gl0_inv
	v_cmpx_gt_u32_e32 20, v0
	s_cbranch_execz .LBB40_95
; %bb.92:
	v_add_nc_u32_e32 v5, -1, v0
	v_add_nc_u32_e32 v6, 0x150, v3
	v_mov_b32_e32 v7, v3
	v_mov_b32_e32 v2, 0
	;; [unrolled: 1-line block ×3, first 2 shown]
	s_mov_b32 s5, 0
	.p2align	6
.LBB40_93:                              ; =>This Inner Loop Header: Depth=1
	s_clause 0x1
	buffer_load_dword v93, v7, s[0:3], 0 offen offset:4
	buffer_load_dword v94, v7, s[0:3], 0 offen
	ds_read_b64 v[91:92], v6
	v_add_nc_u32_e32 v5, 1, v5
	v_add_nc_u32_e32 v6, 8, v6
	;; [unrolled: 1-line block ×3, first 2 shown]
	v_cmp_lt_u32_e32 vcc_lo, 18, v5
	s_or_b32 s5, vcc_lo, s5
	s_waitcnt vmcnt(1) lgkmcnt(0)
	v_mul_f32_e32 v95, v92, v93
	v_mul_f32_e32 v93, v91, v93
	s_waitcnt vmcnt(0)
	v_fma_f32 v91, v91, v94, -v95
	v_fmac_f32_e32 v93, v92, v94
	v_add_f32_e32 v8, v8, v91
	v_add_f32_e32 v2, v2, v93
	s_andn2_b32 exec_lo, exec_lo, s5
	s_cbranch_execnz .LBB40_93
; %bb.94:
	s_or_b32 exec_lo, exec_lo, s5
	v_mov_b32_e32 v5, 0
	ds_read_b64 v[5:6], v5 offset:160
	s_waitcnt lgkmcnt(0)
	v_mul_f32_e32 v7, v2, v6
	v_mul_f32_e32 v6, v8, v6
	v_fma_f32 v7, v8, v5, -v7
	v_fmac_f32_e32 v6, v2, v5
	buffer_store_dword v7, off, s[0:3], 0 offset:160
	buffer_store_dword v6, off, s[0:3], 0 offset:164
.LBB40_95:
	s_or_b32 exec_lo, exec_lo, s4
	s_waitcnt_vscnt null, 0x0
	s_barrier
	buffer_gl0_inv
	s_clause 0x1
	buffer_load_dword v5, off, s[0:3], 0 offset:168
	buffer_load_dword v6, off, s[0:3], 0 offset:172
	s_mov_b32 s4, exec_lo
	s_waitcnt vmcnt(0)
	ds_write_b64 v4, v[5:6]
	s_waitcnt lgkmcnt(0)
	s_barrier
	buffer_gl0_inv
	v_cmpx_gt_u32_e32 21, v0
	s_cbranch_execz .LBB40_99
; %bb.96:
	v_add_nc_u32_e32 v5, -1, v0
	v_add_nc_u32_e32 v6, 0x150, v3
	v_mov_b32_e32 v7, v3
	v_mov_b32_e32 v2, 0
	;; [unrolled: 1-line block ×3, first 2 shown]
	s_mov_b32 s5, 0
	.p2align	6
.LBB40_97:                              ; =>This Inner Loop Header: Depth=1
	s_clause 0x1
	buffer_load_dword v93, v7, s[0:3], 0 offen offset:4
	buffer_load_dword v94, v7, s[0:3], 0 offen
	ds_read_b64 v[91:92], v6
	v_add_nc_u32_e32 v5, 1, v5
	v_add_nc_u32_e32 v6, 8, v6
	;; [unrolled: 1-line block ×3, first 2 shown]
	v_cmp_lt_u32_e32 vcc_lo, 19, v5
	s_or_b32 s5, vcc_lo, s5
	s_waitcnt vmcnt(1) lgkmcnt(0)
	v_mul_f32_e32 v95, v92, v93
	v_mul_f32_e32 v93, v91, v93
	s_waitcnt vmcnt(0)
	v_fma_f32 v91, v91, v94, -v95
	v_fmac_f32_e32 v93, v92, v94
	v_add_f32_e32 v8, v8, v91
	v_add_f32_e32 v2, v2, v93
	s_andn2_b32 exec_lo, exec_lo, s5
	s_cbranch_execnz .LBB40_97
; %bb.98:
	s_or_b32 exec_lo, exec_lo, s5
	v_mov_b32_e32 v5, 0
	ds_read_b64 v[5:6], v5 offset:168
	s_waitcnt lgkmcnt(0)
	v_mul_f32_e32 v7, v2, v6
	v_mul_f32_e32 v6, v8, v6
	v_fma_f32 v7, v8, v5, -v7
	v_fmac_f32_e32 v6, v2, v5
	buffer_store_dword v7, off, s[0:3], 0 offset:168
	buffer_store_dword v6, off, s[0:3], 0 offset:172
.LBB40_99:
	s_or_b32 exec_lo, exec_lo, s4
	s_waitcnt_vscnt null, 0x0
	s_barrier
	buffer_gl0_inv
	s_clause 0x1
	buffer_load_dword v5, off, s[0:3], 0 offset:176
	buffer_load_dword v6, off, s[0:3], 0 offset:180
	s_mov_b32 s4, exec_lo
	s_waitcnt vmcnt(0)
	ds_write_b64 v4, v[5:6]
	s_waitcnt lgkmcnt(0)
	s_barrier
	buffer_gl0_inv
	v_cmpx_gt_u32_e32 22, v0
	s_cbranch_execz .LBB40_103
; %bb.100:
	v_add_nc_u32_e32 v5, -1, v0
	v_add_nc_u32_e32 v6, 0x150, v3
	v_mov_b32_e32 v7, v3
	v_mov_b32_e32 v2, 0
	;; [unrolled: 1-line block ×3, first 2 shown]
	s_mov_b32 s5, 0
	.p2align	6
.LBB40_101:                             ; =>This Inner Loop Header: Depth=1
	s_clause 0x1
	buffer_load_dword v93, v7, s[0:3], 0 offen offset:4
	buffer_load_dword v94, v7, s[0:3], 0 offen
	ds_read_b64 v[91:92], v6
	v_add_nc_u32_e32 v5, 1, v5
	v_add_nc_u32_e32 v6, 8, v6
	;; [unrolled: 1-line block ×3, first 2 shown]
	v_cmp_lt_u32_e32 vcc_lo, 20, v5
	s_or_b32 s5, vcc_lo, s5
	s_waitcnt vmcnt(1) lgkmcnt(0)
	v_mul_f32_e32 v95, v92, v93
	v_mul_f32_e32 v93, v91, v93
	s_waitcnt vmcnt(0)
	v_fma_f32 v91, v91, v94, -v95
	v_fmac_f32_e32 v93, v92, v94
	v_add_f32_e32 v8, v8, v91
	v_add_f32_e32 v2, v2, v93
	s_andn2_b32 exec_lo, exec_lo, s5
	s_cbranch_execnz .LBB40_101
; %bb.102:
	s_or_b32 exec_lo, exec_lo, s5
	v_mov_b32_e32 v5, 0
	ds_read_b64 v[5:6], v5 offset:176
	s_waitcnt lgkmcnt(0)
	v_mul_f32_e32 v7, v2, v6
	v_mul_f32_e32 v6, v8, v6
	v_fma_f32 v7, v8, v5, -v7
	v_fmac_f32_e32 v6, v2, v5
	buffer_store_dword v7, off, s[0:3], 0 offset:176
	buffer_store_dword v6, off, s[0:3], 0 offset:180
.LBB40_103:
	s_or_b32 exec_lo, exec_lo, s4
	s_waitcnt_vscnt null, 0x0
	s_barrier
	buffer_gl0_inv
	s_clause 0x1
	buffer_load_dword v5, off, s[0:3], 0 offset:184
	buffer_load_dword v6, off, s[0:3], 0 offset:188
	s_mov_b32 s4, exec_lo
	s_waitcnt vmcnt(0)
	ds_write_b64 v4, v[5:6]
	s_waitcnt lgkmcnt(0)
	s_barrier
	buffer_gl0_inv
	v_cmpx_gt_u32_e32 23, v0
	s_cbranch_execz .LBB40_107
; %bb.104:
	v_add_nc_u32_e32 v5, -1, v0
	v_add_nc_u32_e32 v6, 0x150, v3
	v_mov_b32_e32 v7, v3
	v_mov_b32_e32 v2, 0
	;; [unrolled: 1-line block ×3, first 2 shown]
	s_mov_b32 s5, 0
	.p2align	6
.LBB40_105:                             ; =>This Inner Loop Header: Depth=1
	s_clause 0x1
	buffer_load_dword v93, v7, s[0:3], 0 offen offset:4
	buffer_load_dword v94, v7, s[0:3], 0 offen
	ds_read_b64 v[91:92], v6
	v_add_nc_u32_e32 v5, 1, v5
	v_add_nc_u32_e32 v6, 8, v6
	;; [unrolled: 1-line block ×3, first 2 shown]
	v_cmp_lt_u32_e32 vcc_lo, 21, v5
	s_or_b32 s5, vcc_lo, s5
	s_waitcnt vmcnt(1) lgkmcnt(0)
	v_mul_f32_e32 v95, v92, v93
	v_mul_f32_e32 v93, v91, v93
	s_waitcnt vmcnt(0)
	v_fma_f32 v91, v91, v94, -v95
	v_fmac_f32_e32 v93, v92, v94
	v_add_f32_e32 v8, v8, v91
	v_add_f32_e32 v2, v2, v93
	s_andn2_b32 exec_lo, exec_lo, s5
	s_cbranch_execnz .LBB40_105
; %bb.106:
	s_or_b32 exec_lo, exec_lo, s5
	v_mov_b32_e32 v5, 0
	ds_read_b64 v[5:6], v5 offset:184
	s_waitcnt lgkmcnt(0)
	v_mul_f32_e32 v7, v2, v6
	v_mul_f32_e32 v6, v8, v6
	v_fma_f32 v7, v8, v5, -v7
	v_fmac_f32_e32 v6, v2, v5
	buffer_store_dword v7, off, s[0:3], 0 offset:184
	buffer_store_dword v6, off, s[0:3], 0 offset:188
.LBB40_107:
	s_or_b32 exec_lo, exec_lo, s4
	s_waitcnt_vscnt null, 0x0
	s_barrier
	buffer_gl0_inv
	s_clause 0x1
	buffer_load_dword v5, off, s[0:3], 0 offset:192
	buffer_load_dword v6, off, s[0:3], 0 offset:196
	s_mov_b32 s4, exec_lo
	s_waitcnt vmcnt(0)
	ds_write_b64 v4, v[5:6]
	s_waitcnt lgkmcnt(0)
	s_barrier
	buffer_gl0_inv
	v_cmpx_gt_u32_e32 24, v0
	s_cbranch_execz .LBB40_111
; %bb.108:
	v_add_nc_u32_e32 v5, -1, v0
	v_add_nc_u32_e32 v6, 0x150, v3
	v_mov_b32_e32 v7, v3
	v_mov_b32_e32 v2, 0
	v_mov_b32_e32 v8, 0
	s_mov_b32 s5, 0
	.p2align	6
.LBB40_109:                             ; =>This Inner Loop Header: Depth=1
	s_clause 0x1
	buffer_load_dword v93, v7, s[0:3], 0 offen offset:4
	buffer_load_dword v94, v7, s[0:3], 0 offen
	ds_read_b64 v[91:92], v6
	v_add_nc_u32_e32 v5, 1, v5
	v_add_nc_u32_e32 v6, 8, v6
	;; [unrolled: 1-line block ×3, first 2 shown]
	v_cmp_lt_u32_e32 vcc_lo, 22, v5
	s_or_b32 s5, vcc_lo, s5
	s_waitcnt vmcnt(1) lgkmcnt(0)
	v_mul_f32_e32 v95, v92, v93
	v_mul_f32_e32 v93, v91, v93
	s_waitcnt vmcnt(0)
	v_fma_f32 v91, v91, v94, -v95
	v_fmac_f32_e32 v93, v92, v94
	v_add_f32_e32 v8, v8, v91
	v_add_f32_e32 v2, v2, v93
	s_andn2_b32 exec_lo, exec_lo, s5
	s_cbranch_execnz .LBB40_109
; %bb.110:
	s_or_b32 exec_lo, exec_lo, s5
	v_mov_b32_e32 v5, 0
	ds_read_b64 v[5:6], v5 offset:192
	s_waitcnt lgkmcnt(0)
	v_mul_f32_e32 v7, v2, v6
	v_mul_f32_e32 v6, v8, v6
	v_fma_f32 v7, v8, v5, -v7
	v_fmac_f32_e32 v6, v2, v5
	buffer_store_dword v7, off, s[0:3], 0 offset:192
	buffer_store_dword v6, off, s[0:3], 0 offset:196
.LBB40_111:
	s_or_b32 exec_lo, exec_lo, s4
	s_waitcnt_vscnt null, 0x0
	s_barrier
	buffer_gl0_inv
	s_clause 0x1
	buffer_load_dword v5, off, s[0:3], 0 offset:200
	buffer_load_dword v6, off, s[0:3], 0 offset:204
	s_mov_b32 s4, exec_lo
	s_waitcnt vmcnt(0)
	ds_write_b64 v4, v[5:6]
	s_waitcnt lgkmcnt(0)
	s_barrier
	buffer_gl0_inv
	v_cmpx_gt_u32_e32 25, v0
	s_cbranch_execz .LBB40_115
; %bb.112:
	v_add_nc_u32_e32 v5, -1, v0
	v_add_nc_u32_e32 v6, 0x150, v3
	v_mov_b32_e32 v7, v3
	v_mov_b32_e32 v2, 0
	;; [unrolled: 1-line block ×3, first 2 shown]
	s_mov_b32 s5, 0
	.p2align	6
.LBB40_113:                             ; =>This Inner Loop Header: Depth=1
	s_clause 0x1
	buffer_load_dword v93, v7, s[0:3], 0 offen offset:4
	buffer_load_dword v94, v7, s[0:3], 0 offen
	ds_read_b64 v[91:92], v6
	v_add_nc_u32_e32 v5, 1, v5
	v_add_nc_u32_e32 v6, 8, v6
	;; [unrolled: 1-line block ×3, first 2 shown]
	v_cmp_lt_u32_e32 vcc_lo, 23, v5
	s_or_b32 s5, vcc_lo, s5
	s_waitcnt vmcnt(1) lgkmcnt(0)
	v_mul_f32_e32 v95, v92, v93
	v_mul_f32_e32 v93, v91, v93
	s_waitcnt vmcnt(0)
	v_fma_f32 v91, v91, v94, -v95
	v_fmac_f32_e32 v93, v92, v94
	v_add_f32_e32 v8, v8, v91
	v_add_f32_e32 v2, v2, v93
	s_andn2_b32 exec_lo, exec_lo, s5
	s_cbranch_execnz .LBB40_113
; %bb.114:
	s_or_b32 exec_lo, exec_lo, s5
	v_mov_b32_e32 v5, 0
	ds_read_b64 v[5:6], v5 offset:200
	s_waitcnt lgkmcnt(0)
	v_mul_f32_e32 v7, v2, v6
	v_mul_f32_e32 v6, v8, v6
	v_fma_f32 v7, v8, v5, -v7
	v_fmac_f32_e32 v6, v2, v5
	buffer_store_dword v7, off, s[0:3], 0 offset:200
	buffer_store_dword v6, off, s[0:3], 0 offset:204
.LBB40_115:
	s_or_b32 exec_lo, exec_lo, s4
	s_waitcnt_vscnt null, 0x0
	s_barrier
	buffer_gl0_inv
	s_clause 0x1
	buffer_load_dword v5, off, s[0:3], 0 offset:208
	buffer_load_dword v6, off, s[0:3], 0 offset:212
	s_mov_b32 s4, exec_lo
	s_waitcnt vmcnt(0)
	ds_write_b64 v4, v[5:6]
	s_waitcnt lgkmcnt(0)
	s_barrier
	buffer_gl0_inv
	v_cmpx_gt_u32_e32 26, v0
	s_cbranch_execz .LBB40_119
; %bb.116:
	v_add_nc_u32_e32 v5, -1, v0
	v_add_nc_u32_e32 v6, 0x150, v3
	v_mov_b32_e32 v7, v3
	v_mov_b32_e32 v2, 0
	v_mov_b32_e32 v8, 0
	s_mov_b32 s5, 0
	.p2align	6
.LBB40_117:                             ; =>This Inner Loop Header: Depth=1
	s_clause 0x1
	buffer_load_dword v93, v7, s[0:3], 0 offen offset:4
	buffer_load_dword v94, v7, s[0:3], 0 offen
	ds_read_b64 v[91:92], v6
	v_add_nc_u32_e32 v5, 1, v5
	v_add_nc_u32_e32 v6, 8, v6
	v_add_nc_u32_e32 v7, 8, v7
	v_cmp_lt_u32_e32 vcc_lo, 24, v5
	s_or_b32 s5, vcc_lo, s5
	s_waitcnt vmcnt(1) lgkmcnt(0)
	v_mul_f32_e32 v95, v92, v93
	v_mul_f32_e32 v93, v91, v93
	s_waitcnt vmcnt(0)
	v_fma_f32 v91, v91, v94, -v95
	v_fmac_f32_e32 v93, v92, v94
	v_add_f32_e32 v8, v8, v91
	v_add_f32_e32 v2, v2, v93
	s_andn2_b32 exec_lo, exec_lo, s5
	s_cbranch_execnz .LBB40_117
; %bb.118:
	s_or_b32 exec_lo, exec_lo, s5
	v_mov_b32_e32 v5, 0
	ds_read_b64 v[5:6], v5 offset:208
	s_waitcnt lgkmcnt(0)
	v_mul_f32_e32 v7, v2, v6
	v_mul_f32_e32 v6, v8, v6
	v_fma_f32 v7, v8, v5, -v7
	v_fmac_f32_e32 v6, v2, v5
	buffer_store_dword v7, off, s[0:3], 0 offset:208
	buffer_store_dword v6, off, s[0:3], 0 offset:212
.LBB40_119:
	s_or_b32 exec_lo, exec_lo, s4
	s_waitcnt_vscnt null, 0x0
	s_barrier
	buffer_gl0_inv
	s_clause 0x1
	buffer_load_dword v5, off, s[0:3], 0 offset:216
	buffer_load_dword v6, off, s[0:3], 0 offset:220
	s_mov_b32 s4, exec_lo
	s_waitcnt vmcnt(0)
	ds_write_b64 v4, v[5:6]
	s_waitcnt lgkmcnt(0)
	s_barrier
	buffer_gl0_inv
	v_cmpx_gt_u32_e32 27, v0
	s_cbranch_execz .LBB40_123
; %bb.120:
	v_add_nc_u32_e32 v5, -1, v0
	v_add_nc_u32_e32 v6, 0x150, v3
	v_mov_b32_e32 v7, v3
	v_mov_b32_e32 v2, 0
	;; [unrolled: 1-line block ×3, first 2 shown]
	s_mov_b32 s5, 0
	.p2align	6
.LBB40_121:                             ; =>This Inner Loop Header: Depth=1
	s_clause 0x1
	buffer_load_dword v93, v7, s[0:3], 0 offen offset:4
	buffer_load_dword v94, v7, s[0:3], 0 offen
	ds_read_b64 v[91:92], v6
	v_add_nc_u32_e32 v5, 1, v5
	v_add_nc_u32_e32 v6, 8, v6
	;; [unrolled: 1-line block ×3, first 2 shown]
	v_cmp_lt_u32_e32 vcc_lo, 25, v5
	s_or_b32 s5, vcc_lo, s5
	s_waitcnt vmcnt(1) lgkmcnt(0)
	v_mul_f32_e32 v95, v92, v93
	v_mul_f32_e32 v93, v91, v93
	s_waitcnt vmcnt(0)
	v_fma_f32 v91, v91, v94, -v95
	v_fmac_f32_e32 v93, v92, v94
	v_add_f32_e32 v8, v8, v91
	v_add_f32_e32 v2, v2, v93
	s_andn2_b32 exec_lo, exec_lo, s5
	s_cbranch_execnz .LBB40_121
; %bb.122:
	s_or_b32 exec_lo, exec_lo, s5
	v_mov_b32_e32 v5, 0
	ds_read_b64 v[5:6], v5 offset:216
	s_waitcnt lgkmcnt(0)
	v_mul_f32_e32 v7, v2, v6
	v_mul_f32_e32 v6, v8, v6
	v_fma_f32 v7, v8, v5, -v7
	v_fmac_f32_e32 v6, v2, v5
	buffer_store_dword v7, off, s[0:3], 0 offset:216
	buffer_store_dword v6, off, s[0:3], 0 offset:220
.LBB40_123:
	s_or_b32 exec_lo, exec_lo, s4
	s_waitcnt_vscnt null, 0x0
	s_barrier
	buffer_gl0_inv
	s_clause 0x1
	buffer_load_dword v5, off, s[0:3], 0 offset:224
	buffer_load_dword v6, off, s[0:3], 0 offset:228
	s_mov_b32 s4, exec_lo
	s_waitcnt vmcnt(0)
	ds_write_b64 v4, v[5:6]
	s_waitcnt lgkmcnt(0)
	s_barrier
	buffer_gl0_inv
	v_cmpx_gt_u32_e32 28, v0
	s_cbranch_execz .LBB40_127
; %bb.124:
	v_add_nc_u32_e32 v5, -1, v0
	v_add_nc_u32_e32 v6, 0x150, v3
	v_mov_b32_e32 v7, v3
	v_mov_b32_e32 v2, 0
	;; [unrolled: 1-line block ×3, first 2 shown]
	s_mov_b32 s5, 0
	.p2align	6
.LBB40_125:                             ; =>This Inner Loop Header: Depth=1
	s_clause 0x1
	buffer_load_dword v93, v7, s[0:3], 0 offen offset:4
	buffer_load_dword v94, v7, s[0:3], 0 offen
	ds_read_b64 v[91:92], v6
	v_add_nc_u32_e32 v5, 1, v5
	v_add_nc_u32_e32 v6, 8, v6
	;; [unrolled: 1-line block ×3, first 2 shown]
	v_cmp_lt_u32_e32 vcc_lo, 26, v5
	s_or_b32 s5, vcc_lo, s5
	s_waitcnt vmcnt(1) lgkmcnt(0)
	v_mul_f32_e32 v95, v92, v93
	v_mul_f32_e32 v93, v91, v93
	s_waitcnt vmcnt(0)
	v_fma_f32 v91, v91, v94, -v95
	v_fmac_f32_e32 v93, v92, v94
	v_add_f32_e32 v8, v8, v91
	v_add_f32_e32 v2, v2, v93
	s_andn2_b32 exec_lo, exec_lo, s5
	s_cbranch_execnz .LBB40_125
; %bb.126:
	s_or_b32 exec_lo, exec_lo, s5
	v_mov_b32_e32 v5, 0
	ds_read_b64 v[5:6], v5 offset:224
	s_waitcnt lgkmcnt(0)
	v_mul_f32_e32 v7, v2, v6
	v_mul_f32_e32 v6, v8, v6
	v_fma_f32 v7, v8, v5, -v7
	v_fmac_f32_e32 v6, v2, v5
	buffer_store_dword v7, off, s[0:3], 0 offset:224
	buffer_store_dword v6, off, s[0:3], 0 offset:228
.LBB40_127:
	s_or_b32 exec_lo, exec_lo, s4
	s_waitcnt_vscnt null, 0x0
	s_barrier
	buffer_gl0_inv
	s_clause 0x1
	buffer_load_dword v5, off, s[0:3], 0 offset:232
	buffer_load_dword v6, off, s[0:3], 0 offset:236
	s_mov_b32 s4, exec_lo
	s_waitcnt vmcnt(0)
	ds_write_b64 v4, v[5:6]
	s_waitcnt lgkmcnt(0)
	s_barrier
	buffer_gl0_inv
	v_cmpx_gt_u32_e32 29, v0
	s_cbranch_execz .LBB40_131
; %bb.128:
	v_add_nc_u32_e32 v5, -1, v0
	v_add_nc_u32_e32 v6, 0x150, v3
	v_mov_b32_e32 v7, v3
	v_mov_b32_e32 v2, 0
	;; [unrolled: 1-line block ×3, first 2 shown]
	s_mov_b32 s5, 0
	.p2align	6
.LBB40_129:                             ; =>This Inner Loop Header: Depth=1
	s_clause 0x1
	buffer_load_dword v93, v7, s[0:3], 0 offen offset:4
	buffer_load_dword v94, v7, s[0:3], 0 offen
	ds_read_b64 v[91:92], v6
	v_add_nc_u32_e32 v5, 1, v5
	v_add_nc_u32_e32 v6, 8, v6
	;; [unrolled: 1-line block ×3, first 2 shown]
	v_cmp_lt_u32_e32 vcc_lo, 27, v5
	s_or_b32 s5, vcc_lo, s5
	s_waitcnt vmcnt(1) lgkmcnt(0)
	v_mul_f32_e32 v95, v92, v93
	v_mul_f32_e32 v93, v91, v93
	s_waitcnt vmcnt(0)
	v_fma_f32 v91, v91, v94, -v95
	v_fmac_f32_e32 v93, v92, v94
	v_add_f32_e32 v8, v8, v91
	v_add_f32_e32 v2, v2, v93
	s_andn2_b32 exec_lo, exec_lo, s5
	s_cbranch_execnz .LBB40_129
; %bb.130:
	s_or_b32 exec_lo, exec_lo, s5
	v_mov_b32_e32 v5, 0
	ds_read_b64 v[5:6], v5 offset:232
	s_waitcnt lgkmcnt(0)
	v_mul_f32_e32 v7, v2, v6
	v_mul_f32_e32 v6, v8, v6
	v_fma_f32 v7, v8, v5, -v7
	v_fmac_f32_e32 v6, v2, v5
	buffer_store_dword v7, off, s[0:3], 0 offset:232
	buffer_store_dword v6, off, s[0:3], 0 offset:236
.LBB40_131:
	s_or_b32 exec_lo, exec_lo, s4
	s_waitcnt_vscnt null, 0x0
	s_barrier
	buffer_gl0_inv
	s_clause 0x1
	buffer_load_dword v5, off, s[0:3], 0 offset:240
	buffer_load_dword v6, off, s[0:3], 0 offset:244
	s_mov_b32 s4, exec_lo
	s_waitcnt vmcnt(0)
	ds_write_b64 v4, v[5:6]
	s_waitcnt lgkmcnt(0)
	s_barrier
	buffer_gl0_inv
	v_cmpx_gt_u32_e32 30, v0
	s_cbranch_execz .LBB40_135
; %bb.132:
	v_add_nc_u32_e32 v5, -1, v0
	v_add_nc_u32_e32 v6, 0x150, v3
	v_mov_b32_e32 v7, v3
	v_mov_b32_e32 v2, 0
	;; [unrolled: 1-line block ×3, first 2 shown]
	s_mov_b32 s5, 0
	.p2align	6
.LBB40_133:                             ; =>This Inner Loop Header: Depth=1
	s_clause 0x1
	buffer_load_dword v93, v7, s[0:3], 0 offen offset:4
	buffer_load_dword v94, v7, s[0:3], 0 offen
	ds_read_b64 v[91:92], v6
	v_add_nc_u32_e32 v5, 1, v5
	v_add_nc_u32_e32 v6, 8, v6
	;; [unrolled: 1-line block ×3, first 2 shown]
	v_cmp_lt_u32_e32 vcc_lo, 28, v5
	s_or_b32 s5, vcc_lo, s5
	s_waitcnt vmcnt(1) lgkmcnt(0)
	v_mul_f32_e32 v95, v92, v93
	v_mul_f32_e32 v93, v91, v93
	s_waitcnt vmcnt(0)
	v_fma_f32 v91, v91, v94, -v95
	v_fmac_f32_e32 v93, v92, v94
	v_add_f32_e32 v8, v8, v91
	v_add_f32_e32 v2, v2, v93
	s_andn2_b32 exec_lo, exec_lo, s5
	s_cbranch_execnz .LBB40_133
; %bb.134:
	s_or_b32 exec_lo, exec_lo, s5
	v_mov_b32_e32 v5, 0
	ds_read_b64 v[5:6], v5 offset:240
	s_waitcnt lgkmcnt(0)
	v_mul_f32_e32 v7, v2, v6
	v_mul_f32_e32 v6, v8, v6
	v_fma_f32 v7, v8, v5, -v7
	v_fmac_f32_e32 v6, v2, v5
	buffer_store_dword v7, off, s[0:3], 0 offset:240
	buffer_store_dword v6, off, s[0:3], 0 offset:244
.LBB40_135:
	s_or_b32 exec_lo, exec_lo, s4
	s_waitcnt_vscnt null, 0x0
	s_barrier
	buffer_gl0_inv
	s_clause 0x1
	buffer_load_dword v5, off, s[0:3], 0 offset:248
	buffer_load_dword v6, off, s[0:3], 0 offset:252
	s_mov_b32 s4, exec_lo
	s_waitcnt vmcnt(0)
	ds_write_b64 v4, v[5:6]
	s_waitcnt lgkmcnt(0)
	s_barrier
	buffer_gl0_inv
	v_cmpx_gt_u32_e32 31, v0
	s_cbranch_execz .LBB40_139
; %bb.136:
	v_add_nc_u32_e32 v5, -1, v0
	v_add_nc_u32_e32 v6, 0x150, v3
	v_mov_b32_e32 v7, v3
	v_mov_b32_e32 v2, 0
	v_mov_b32_e32 v8, 0
	s_mov_b32 s5, 0
	.p2align	6
.LBB40_137:                             ; =>This Inner Loop Header: Depth=1
	s_clause 0x1
	buffer_load_dword v93, v7, s[0:3], 0 offen offset:4
	buffer_load_dword v94, v7, s[0:3], 0 offen
	ds_read_b64 v[91:92], v6
	v_add_nc_u32_e32 v5, 1, v5
	v_add_nc_u32_e32 v6, 8, v6
	;; [unrolled: 1-line block ×3, first 2 shown]
	v_cmp_lt_u32_e32 vcc_lo, 29, v5
	s_or_b32 s5, vcc_lo, s5
	s_waitcnt vmcnt(1) lgkmcnt(0)
	v_mul_f32_e32 v95, v92, v93
	v_mul_f32_e32 v93, v91, v93
	s_waitcnt vmcnt(0)
	v_fma_f32 v91, v91, v94, -v95
	v_fmac_f32_e32 v93, v92, v94
	v_add_f32_e32 v8, v8, v91
	v_add_f32_e32 v2, v2, v93
	s_andn2_b32 exec_lo, exec_lo, s5
	s_cbranch_execnz .LBB40_137
; %bb.138:
	s_or_b32 exec_lo, exec_lo, s5
	v_mov_b32_e32 v5, 0
	ds_read_b64 v[5:6], v5 offset:248
	s_waitcnt lgkmcnt(0)
	v_mul_f32_e32 v7, v2, v6
	v_mul_f32_e32 v6, v8, v6
	v_fma_f32 v7, v8, v5, -v7
	v_fmac_f32_e32 v6, v2, v5
	buffer_store_dword v7, off, s[0:3], 0 offset:248
	buffer_store_dword v6, off, s[0:3], 0 offset:252
.LBB40_139:
	s_or_b32 exec_lo, exec_lo, s4
	s_waitcnt_vscnt null, 0x0
	s_barrier
	buffer_gl0_inv
	s_clause 0x1
	buffer_load_dword v5, off, s[0:3], 0 offset:256
	buffer_load_dword v6, off, s[0:3], 0 offset:260
	s_mov_b32 s4, exec_lo
	s_waitcnt vmcnt(0)
	ds_write_b64 v4, v[5:6]
	s_waitcnt lgkmcnt(0)
	s_barrier
	buffer_gl0_inv
	v_cmpx_gt_u32_e32 32, v0
	s_cbranch_execz .LBB40_143
; %bb.140:
	v_add_nc_u32_e32 v5, -1, v0
	v_add_nc_u32_e32 v6, 0x150, v3
	v_mov_b32_e32 v7, v3
	v_mov_b32_e32 v2, 0
	v_mov_b32_e32 v8, 0
	s_mov_b32 s5, 0
	.p2align	6
.LBB40_141:                             ; =>This Inner Loop Header: Depth=1
	s_clause 0x1
	buffer_load_dword v93, v7, s[0:3], 0 offen offset:4
	buffer_load_dword v94, v7, s[0:3], 0 offen
	ds_read_b64 v[91:92], v6
	v_add_nc_u32_e32 v5, 1, v5
	v_add_nc_u32_e32 v6, 8, v6
	;; [unrolled: 1-line block ×3, first 2 shown]
	v_cmp_lt_u32_e32 vcc_lo, 30, v5
	s_or_b32 s5, vcc_lo, s5
	s_waitcnt vmcnt(1) lgkmcnt(0)
	v_mul_f32_e32 v95, v92, v93
	v_mul_f32_e32 v93, v91, v93
	s_waitcnt vmcnt(0)
	v_fma_f32 v91, v91, v94, -v95
	v_fmac_f32_e32 v93, v92, v94
	v_add_f32_e32 v8, v8, v91
	v_add_f32_e32 v2, v2, v93
	s_andn2_b32 exec_lo, exec_lo, s5
	s_cbranch_execnz .LBB40_141
; %bb.142:
	s_or_b32 exec_lo, exec_lo, s5
	v_mov_b32_e32 v5, 0
	ds_read_b64 v[5:6], v5 offset:256
	s_waitcnt lgkmcnt(0)
	v_mul_f32_e32 v7, v2, v6
	v_mul_f32_e32 v6, v8, v6
	v_fma_f32 v7, v8, v5, -v7
	v_fmac_f32_e32 v6, v2, v5
	buffer_store_dword v7, off, s[0:3], 0 offset:256
	buffer_store_dword v6, off, s[0:3], 0 offset:260
.LBB40_143:
	s_or_b32 exec_lo, exec_lo, s4
	s_waitcnt_vscnt null, 0x0
	s_barrier
	buffer_gl0_inv
	s_clause 0x1
	buffer_load_dword v5, off, s[0:3], 0 offset:264
	buffer_load_dword v6, off, s[0:3], 0 offset:268
	s_mov_b32 s4, exec_lo
	s_waitcnt vmcnt(0)
	ds_write_b64 v4, v[5:6]
	s_waitcnt lgkmcnt(0)
	s_barrier
	buffer_gl0_inv
	v_cmpx_gt_u32_e32 33, v0
	s_cbranch_execz .LBB40_147
; %bb.144:
	v_add_nc_u32_e32 v5, -1, v0
	v_add_nc_u32_e32 v6, 0x150, v3
	v_mov_b32_e32 v7, v3
	v_mov_b32_e32 v2, 0
	;; [unrolled: 1-line block ×3, first 2 shown]
	s_mov_b32 s5, 0
	.p2align	6
.LBB40_145:                             ; =>This Inner Loop Header: Depth=1
	s_clause 0x1
	buffer_load_dword v93, v7, s[0:3], 0 offen offset:4
	buffer_load_dword v94, v7, s[0:3], 0 offen
	ds_read_b64 v[91:92], v6
	v_add_nc_u32_e32 v5, 1, v5
	v_add_nc_u32_e32 v6, 8, v6
	;; [unrolled: 1-line block ×3, first 2 shown]
	v_cmp_lt_u32_e32 vcc_lo, 31, v5
	s_or_b32 s5, vcc_lo, s5
	s_waitcnt vmcnt(1) lgkmcnt(0)
	v_mul_f32_e32 v95, v92, v93
	v_mul_f32_e32 v93, v91, v93
	s_waitcnt vmcnt(0)
	v_fma_f32 v91, v91, v94, -v95
	v_fmac_f32_e32 v93, v92, v94
	v_add_f32_e32 v8, v8, v91
	v_add_f32_e32 v2, v2, v93
	s_andn2_b32 exec_lo, exec_lo, s5
	s_cbranch_execnz .LBB40_145
; %bb.146:
	s_or_b32 exec_lo, exec_lo, s5
	v_mov_b32_e32 v5, 0
	ds_read_b64 v[5:6], v5 offset:264
	s_waitcnt lgkmcnt(0)
	v_mul_f32_e32 v7, v2, v6
	v_mul_f32_e32 v6, v8, v6
	v_fma_f32 v7, v8, v5, -v7
	v_fmac_f32_e32 v6, v2, v5
	buffer_store_dword v7, off, s[0:3], 0 offset:264
	buffer_store_dword v6, off, s[0:3], 0 offset:268
.LBB40_147:
	s_or_b32 exec_lo, exec_lo, s4
	s_waitcnt_vscnt null, 0x0
	s_barrier
	buffer_gl0_inv
	s_clause 0x1
	buffer_load_dword v5, off, s[0:3], 0 offset:272
	buffer_load_dword v6, off, s[0:3], 0 offset:276
	s_mov_b32 s4, exec_lo
	s_waitcnt vmcnt(0)
	ds_write_b64 v4, v[5:6]
	s_waitcnt lgkmcnt(0)
	s_barrier
	buffer_gl0_inv
	v_cmpx_gt_u32_e32 34, v0
	s_cbranch_execz .LBB40_151
; %bb.148:
	v_add_nc_u32_e32 v5, -1, v0
	v_add_nc_u32_e32 v6, 0x150, v3
	v_mov_b32_e32 v7, v3
	v_mov_b32_e32 v2, 0
	;; [unrolled: 1-line block ×3, first 2 shown]
	s_mov_b32 s5, 0
	.p2align	6
.LBB40_149:                             ; =>This Inner Loop Header: Depth=1
	s_clause 0x1
	buffer_load_dword v93, v7, s[0:3], 0 offen offset:4
	buffer_load_dword v94, v7, s[0:3], 0 offen
	ds_read_b64 v[91:92], v6
	v_add_nc_u32_e32 v5, 1, v5
	v_add_nc_u32_e32 v6, 8, v6
	;; [unrolled: 1-line block ×3, first 2 shown]
	v_cmp_lt_u32_e32 vcc_lo, 32, v5
	s_or_b32 s5, vcc_lo, s5
	s_waitcnt vmcnt(1) lgkmcnt(0)
	v_mul_f32_e32 v95, v92, v93
	v_mul_f32_e32 v93, v91, v93
	s_waitcnt vmcnt(0)
	v_fma_f32 v91, v91, v94, -v95
	v_fmac_f32_e32 v93, v92, v94
	v_add_f32_e32 v8, v8, v91
	v_add_f32_e32 v2, v2, v93
	s_andn2_b32 exec_lo, exec_lo, s5
	s_cbranch_execnz .LBB40_149
; %bb.150:
	s_or_b32 exec_lo, exec_lo, s5
	v_mov_b32_e32 v5, 0
	ds_read_b64 v[5:6], v5 offset:272
	s_waitcnt lgkmcnt(0)
	v_mul_f32_e32 v7, v2, v6
	v_mul_f32_e32 v6, v8, v6
	v_fma_f32 v7, v8, v5, -v7
	v_fmac_f32_e32 v6, v2, v5
	buffer_store_dword v7, off, s[0:3], 0 offset:272
	buffer_store_dword v6, off, s[0:3], 0 offset:276
.LBB40_151:
	s_or_b32 exec_lo, exec_lo, s4
	s_waitcnt_vscnt null, 0x0
	s_barrier
	buffer_gl0_inv
	s_clause 0x1
	buffer_load_dword v5, off, s[0:3], 0 offset:280
	buffer_load_dword v6, off, s[0:3], 0 offset:284
	s_mov_b32 s4, exec_lo
	s_waitcnt vmcnt(0)
	ds_write_b64 v4, v[5:6]
	s_waitcnt lgkmcnt(0)
	s_barrier
	buffer_gl0_inv
	v_cmpx_gt_u32_e32 35, v0
	s_cbranch_execz .LBB40_155
; %bb.152:
	v_add_nc_u32_e32 v5, -1, v0
	v_add_nc_u32_e32 v6, 0x150, v3
	v_mov_b32_e32 v7, v3
	v_mov_b32_e32 v2, 0
	;; [unrolled: 1-line block ×3, first 2 shown]
	s_mov_b32 s5, 0
	.p2align	6
.LBB40_153:                             ; =>This Inner Loop Header: Depth=1
	s_clause 0x1
	buffer_load_dword v93, v7, s[0:3], 0 offen offset:4
	buffer_load_dword v94, v7, s[0:3], 0 offen
	ds_read_b64 v[91:92], v6
	v_add_nc_u32_e32 v5, 1, v5
	v_add_nc_u32_e32 v6, 8, v6
	;; [unrolled: 1-line block ×3, first 2 shown]
	v_cmp_lt_u32_e32 vcc_lo, 33, v5
	s_or_b32 s5, vcc_lo, s5
	s_waitcnt vmcnt(1) lgkmcnt(0)
	v_mul_f32_e32 v95, v92, v93
	v_mul_f32_e32 v93, v91, v93
	s_waitcnt vmcnt(0)
	v_fma_f32 v91, v91, v94, -v95
	v_fmac_f32_e32 v93, v92, v94
	v_add_f32_e32 v8, v8, v91
	v_add_f32_e32 v2, v2, v93
	s_andn2_b32 exec_lo, exec_lo, s5
	s_cbranch_execnz .LBB40_153
; %bb.154:
	s_or_b32 exec_lo, exec_lo, s5
	v_mov_b32_e32 v5, 0
	ds_read_b64 v[5:6], v5 offset:280
	s_waitcnt lgkmcnt(0)
	v_mul_f32_e32 v7, v2, v6
	v_mul_f32_e32 v6, v8, v6
	v_fma_f32 v7, v8, v5, -v7
	v_fmac_f32_e32 v6, v2, v5
	buffer_store_dword v7, off, s[0:3], 0 offset:280
	buffer_store_dword v6, off, s[0:3], 0 offset:284
.LBB40_155:
	s_or_b32 exec_lo, exec_lo, s4
	s_waitcnt_vscnt null, 0x0
	s_barrier
	buffer_gl0_inv
	s_clause 0x1
	buffer_load_dword v5, off, s[0:3], 0 offset:288
	buffer_load_dword v6, off, s[0:3], 0 offset:292
	s_mov_b32 s4, exec_lo
	s_waitcnt vmcnt(0)
	ds_write_b64 v4, v[5:6]
	s_waitcnt lgkmcnt(0)
	s_barrier
	buffer_gl0_inv
	v_cmpx_gt_u32_e32 36, v0
	s_cbranch_execz .LBB40_159
; %bb.156:
	v_add_nc_u32_e32 v5, -1, v0
	v_add_nc_u32_e32 v6, 0x150, v3
	v_mov_b32_e32 v7, v3
	v_mov_b32_e32 v2, 0
	;; [unrolled: 1-line block ×3, first 2 shown]
	s_mov_b32 s5, 0
	.p2align	6
.LBB40_157:                             ; =>This Inner Loop Header: Depth=1
	s_clause 0x1
	buffer_load_dword v93, v7, s[0:3], 0 offen offset:4
	buffer_load_dword v94, v7, s[0:3], 0 offen
	ds_read_b64 v[91:92], v6
	v_add_nc_u32_e32 v5, 1, v5
	v_add_nc_u32_e32 v6, 8, v6
	;; [unrolled: 1-line block ×3, first 2 shown]
	v_cmp_lt_u32_e32 vcc_lo, 34, v5
	s_or_b32 s5, vcc_lo, s5
	s_waitcnt vmcnt(1) lgkmcnt(0)
	v_mul_f32_e32 v95, v92, v93
	v_mul_f32_e32 v93, v91, v93
	s_waitcnt vmcnt(0)
	v_fma_f32 v91, v91, v94, -v95
	v_fmac_f32_e32 v93, v92, v94
	v_add_f32_e32 v8, v8, v91
	v_add_f32_e32 v2, v2, v93
	s_andn2_b32 exec_lo, exec_lo, s5
	s_cbranch_execnz .LBB40_157
; %bb.158:
	s_or_b32 exec_lo, exec_lo, s5
	v_mov_b32_e32 v5, 0
	ds_read_b64 v[5:6], v5 offset:288
	s_waitcnt lgkmcnt(0)
	v_mul_f32_e32 v7, v2, v6
	v_mul_f32_e32 v6, v8, v6
	v_fma_f32 v7, v8, v5, -v7
	v_fmac_f32_e32 v6, v2, v5
	buffer_store_dword v7, off, s[0:3], 0 offset:288
	buffer_store_dword v6, off, s[0:3], 0 offset:292
.LBB40_159:
	s_or_b32 exec_lo, exec_lo, s4
	s_waitcnt_vscnt null, 0x0
	s_barrier
	buffer_gl0_inv
	s_clause 0x1
	buffer_load_dword v5, off, s[0:3], 0 offset:296
	buffer_load_dword v6, off, s[0:3], 0 offset:300
	s_mov_b32 s4, exec_lo
	s_waitcnt vmcnt(0)
	ds_write_b64 v4, v[5:6]
	s_waitcnt lgkmcnt(0)
	s_barrier
	buffer_gl0_inv
	v_cmpx_gt_u32_e32 37, v0
	s_cbranch_execz .LBB40_163
; %bb.160:
	v_add_nc_u32_e32 v5, -1, v0
	v_add_nc_u32_e32 v6, 0x150, v3
	v_mov_b32_e32 v7, v3
	v_mov_b32_e32 v2, 0
	;; [unrolled: 1-line block ×3, first 2 shown]
	s_mov_b32 s5, 0
	.p2align	6
.LBB40_161:                             ; =>This Inner Loop Header: Depth=1
	s_clause 0x1
	buffer_load_dword v93, v7, s[0:3], 0 offen offset:4
	buffer_load_dword v94, v7, s[0:3], 0 offen
	ds_read_b64 v[91:92], v6
	v_add_nc_u32_e32 v5, 1, v5
	v_add_nc_u32_e32 v6, 8, v6
	;; [unrolled: 1-line block ×3, first 2 shown]
	v_cmp_lt_u32_e32 vcc_lo, 35, v5
	s_or_b32 s5, vcc_lo, s5
	s_waitcnt vmcnt(1) lgkmcnt(0)
	v_mul_f32_e32 v95, v92, v93
	v_mul_f32_e32 v93, v91, v93
	s_waitcnt vmcnt(0)
	v_fma_f32 v91, v91, v94, -v95
	v_fmac_f32_e32 v93, v92, v94
	v_add_f32_e32 v8, v8, v91
	v_add_f32_e32 v2, v2, v93
	s_andn2_b32 exec_lo, exec_lo, s5
	s_cbranch_execnz .LBB40_161
; %bb.162:
	s_or_b32 exec_lo, exec_lo, s5
	v_mov_b32_e32 v5, 0
	ds_read_b64 v[5:6], v5 offset:296
	s_waitcnt lgkmcnt(0)
	v_mul_f32_e32 v7, v2, v6
	v_mul_f32_e32 v6, v8, v6
	v_fma_f32 v7, v8, v5, -v7
	v_fmac_f32_e32 v6, v2, v5
	buffer_store_dword v7, off, s[0:3], 0 offset:296
	buffer_store_dword v6, off, s[0:3], 0 offset:300
.LBB40_163:
	s_or_b32 exec_lo, exec_lo, s4
	s_waitcnt_vscnt null, 0x0
	s_barrier
	buffer_gl0_inv
	s_clause 0x1
	buffer_load_dword v5, off, s[0:3], 0 offset:304
	buffer_load_dword v6, off, s[0:3], 0 offset:308
	s_mov_b32 s4, exec_lo
	s_waitcnt vmcnt(0)
	ds_write_b64 v4, v[5:6]
	s_waitcnt lgkmcnt(0)
	s_barrier
	buffer_gl0_inv
	v_cmpx_gt_u32_e32 38, v0
	s_cbranch_execz .LBB40_167
; %bb.164:
	v_add_nc_u32_e32 v5, -1, v0
	v_add_nc_u32_e32 v6, 0x150, v3
	v_mov_b32_e32 v7, v3
	v_mov_b32_e32 v2, 0
	;; [unrolled: 1-line block ×3, first 2 shown]
	s_mov_b32 s5, 0
	.p2align	6
.LBB40_165:                             ; =>This Inner Loop Header: Depth=1
	s_clause 0x1
	buffer_load_dword v93, v7, s[0:3], 0 offen offset:4
	buffer_load_dword v94, v7, s[0:3], 0 offen
	ds_read_b64 v[91:92], v6
	v_add_nc_u32_e32 v5, 1, v5
	v_add_nc_u32_e32 v6, 8, v6
	;; [unrolled: 1-line block ×3, first 2 shown]
	v_cmp_lt_u32_e32 vcc_lo, 36, v5
	s_or_b32 s5, vcc_lo, s5
	s_waitcnt vmcnt(1) lgkmcnt(0)
	v_mul_f32_e32 v95, v92, v93
	v_mul_f32_e32 v93, v91, v93
	s_waitcnt vmcnt(0)
	v_fma_f32 v91, v91, v94, -v95
	v_fmac_f32_e32 v93, v92, v94
	v_add_f32_e32 v8, v8, v91
	v_add_f32_e32 v2, v2, v93
	s_andn2_b32 exec_lo, exec_lo, s5
	s_cbranch_execnz .LBB40_165
; %bb.166:
	s_or_b32 exec_lo, exec_lo, s5
	v_mov_b32_e32 v5, 0
	ds_read_b64 v[5:6], v5 offset:304
	s_waitcnt lgkmcnt(0)
	v_mul_f32_e32 v7, v2, v6
	v_mul_f32_e32 v6, v8, v6
	v_fma_f32 v7, v8, v5, -v7
	v_fmac_f32_e32 v6, v2, v5
	buffer_store_dword v7, off, s[0:3], 0 offset:304
	buffer_store_dword v6, off, s[0:3], 0 offset:308
.LBB40_167:
	s_or_b32 exec_lo, exec_lo, s4
	s_waitcnt_vscnt null, 0x0
	s_barrier
	buffer_gl0_inv
	s_clause 0x1
	buffer_load_dword v5, off, s[0:3], 0 offset:312
	buffer_load_dword v6, off, s[0:3], 0 offset:316
	s_mov_b32 s4, exec_lo
	s_waitcnt vmcnt(0)
	ds_write_b64 v4, v[5:6]
	s_waitcnt lgkmcnt(0)
	s_barrier
	buffer_gl0_inv
	v_cmpx_gt_u32_e32 39, v0
	s_cbranch_execz .LBB40_171
; %bb.168:
	v_add_nc_u32_e32 v5, -1, v0
	v_add_nc_u32_e32 v6, 0x150, v3
	v_mov_b32_e32 v7, v3
	v_mov_b32_e32 v2, 0
	;; [unrolled: 1-line block ×3, first 2 shown]
	s_mov_b32 s5, 0
	.p2align	6
.LBB40_169:                             ; =>This Inner Loop Header: Depth=1
	s_clause 0x1
	buffer_load_dword v93, v7, s[0:3], 0 offen offset:4
	buffer_load_dword v94, v7, s[0:3], 0 offen
	ds_read_b64 v[91:92], v6
	v_add_nc_u32_e32 v5, 1, v5
	v_add_nc_u32_e32 v6, 8, v6
	;; [unrolled: 1-line block ×3, first 2 shown]
	v_cmp_lt_u32_e32 vcc_lo, 37, v5
	s_or_b32 s5, vcc_lo, s5
	s_waitcnt vmcnt(1) lgkmcnt(0)
	v_mul_f32_e32 v95, v92, v93
	v_mul_f32_e32 v93, v91, v93
	s_waitcnt vmcnt(0)
	v_fma_f32 v91, v91, v94, -v95
	v_fmac_f32_e32 v93, v92, v94
	v_add_f32_e32 v8, v8, v91
	v_add_f32_e32 v2, v2, v93
	s_andn2_b32 exec_lo, exec_lo, s5
	s_cbranch_execnz .LBB40_169
; %bb.170:
	s_or_b32 exec_lo, exec_lo, s5
	v_mov_b32_e32 v5, 0
	ds_read_b64 v[5:6], v5 offset:312
	s_waitcnt lgkmcnt(0)
	v_mul_f32_e32 v7, v2, v6
	v_mul_f32_e32 v6, v8, v6
	v_fma_f32 v7, v8, v5, -v7
	v_fmac_f32_e32 v6, v2, v5
	buffer_store_dword v7, off, s[0:3], 0 offset:312
	buffer_store_dword v6, off, s[0:3], 0 offset:316
.LBB40_171:
	s_or_b32 exec_lo, exec_lo, s4
	s_waitcnt_vscnt null, 0x0
	s_barrier
	buffer_gl0_inv
	s_clause 0x1
	buffer_load_dword v5, off, s[0:3], 0 offset:320
	buffer_load_dword v6, off, s[0:3], 0 offset:324
	s_mov_b32 s4, exec_lo
	s_waitcnt vmcnt(0)
	ds_write_b64 v4, v[5:6]
	s_waitcnt lgkmcnt(0)
	s_barrier
	buffer_gl0_inv
	v_cmpx_ne_u32_e32 40, v0
	s_cbranch_execz .LBB40_175
; %bb.172:
	v_mov_b32_e32 v2, 0
	v_mov_b32_e32 v5, 0
	s_mov_b32 s5, 0
	.p2align	6
.LBB40_173:                             ; =>This Inner Loop Header: Depth=1
	s_clause 0x1
	buffer_load_dword v8, v3, s[0:3], 0 offen offset:4
	buffer_load_dword v91, v3, s[0:3], 0 offen
	ds_read_b64 v[6:7], v4
	v_add_nc_u32_e32 v1, 1, v1
	v_add_nc_u32_e32 v4, 8, v4
	v_add_nc_u32_e32 v3, 8, v3
	v_cmp_lt_u32_e32 vcc_lo, 38, v1
	s_or_b32 s5, vcc_lo, s5
	s_waitcnt vmcnt(1) lgkmcnt(0)
	v_mul_f32_e32 v92, v7, v8
	v_mul_f32_e32 v8, v6, v8
	s_waitcnt vmcnt(0)
	v_fma_f32 v6, v6, v91, -v92
	v_fmac_f32_e32 v8, v7, v91
	v_add_f32_e32 v5, v5, v6
	v_add_f32_e32 v2, v2, v8
	s_andn2_b32 exec_lo, exec_lo, s5
	s_cbranch_execnz .LBB40_173
; %bb.174:
	s_or_b32 exec_lo, exec_lo, s5
	v_mov_b32_e32 v1, 0
	ds_read_b64 v[3:4], v1 offset:320
	s_waitcnt lgkmcnt(0)
	v_mul_f32_e32 v1, v2, v4
	v_mul_f32_e32 v4, v5, v4
	v_fma_f32 v1, v5, v3, -v1
	v_fmac_f32_e32 v4, v2, v3
	buffer_store_dword v1, off, s[0:3], 0 offset:320
	buffer_store_dword v4, off, s[0:3], 0 offset:324
.LBB40_175:
	s_or_b32 exec_lo, exec_lo, s4
	s_mov_b32 s5, -1
	s_waitcnt_vscnt null, 0x0
	s_barrier
	buffer_gl0_inv
.LBB40_176:
	s_and_b32 vcc_lo, exec_lo, s5
	s_cbranch_vccz .LBB40_178
; %bb.177:
	s_lshl_b64 s[4:5], s[6:7], 2
	v_mov_b32_e32 v1, 0
	s_add_u32 s4, s10, s4
	s_addc_u32 s5, s11, s5
	global_load_dword v1, v1, s[4:5]
	s_waitcnt vmcnt(0)
	v_cmp_ne_u32_e32 vcc_lo, 0, v1
	s_cbranch_vccz .LBB40_179
.LBB40_178:
	s_endpgm
.LBB40_179:
	v_lshl_add_u32 v91, v0, 3, 0x150
	s_mov_b32 s4, exec_lo
	v_cmpx_eq_u32_e32 40, v0
	s_cbranch_execz .LBB40_181
; %bb.180:
	s_clause 0x1
	buffer_load_dword v1, off, s[0:3], 0 offset:312
	buffer_load_dword v2, off, s[0:3], 0 offset:316
	v_mov_b32_e32 v3, 0
	buffer_store_dword v3, off, s[0:3], 0 offset:312
	buffer_store_dword v3, off, s[0:3], 0 offset:316
	s_waitcnt vmcnt(0)
	ds_write_b64 v91, v[1:2]
.LBB40_181:
	s_or_b32 exec_lo, exec_lo, s4
	s_waitcnt lgkmcnt(0)
	s_waitcnt_vscnt null, 0x0
	s_barrier
	buffer_gl0_inv
	s_clause 0x3
	buffer_load_dword v4, off, s[0:3], 0 offset:324
	buffer_load_dword v5, off, s[0:3], 0 offset:320
	;; [unrolled: 1-line block ×4, first 2 shown]
	v_mov_b32_e32 v1, 0
	s_mov_b32 s4, exec_lo
	ds_read_b64 v[2:3], v1 offset:656
	s_waitcnt vmcnt(3) lgkmcnt(0)
	v_mul_f32_e32 v8, v3, v4
	v_mul_f32_e32 v4, v2, v4
	s_waitcnt vmcnt(2)
	v_fma_f32 v2, v2, v5, -v8
	v_fmac_f32_e32 v4, v3, v5
	v_add_f32_e32 v2, 0, v2
	v_add_f32_e32 v3, 0, v4
	s_waitcnt vmcnt(1)
	v_sub_f32_e32 v2, v6, v2
	s_waitcnt vmcnt(0)
	v_sub_f32_e32 v3, v7, v3
	buffer_store_dword v2, off, s[0:3], 0 offset:312
	buffer_store_dword v3, off, s[0:3], 0 offset:316
	v_cmpx_lt_u32_e32 38, v0
	s_cbranch_execz .LBB40_183
; %bb.182:
	s_clause 0x1
	buffer_load_dword v2, off, s[0:3], 0 offset:304
	buffer_load_dword v3, off, s[0:3], 0 offset:308
	buffer_store_dword v1, off, s[0:3], 0 offset:304
	buffer_store_dword v1, off, s[0:3], 0 offset:308
	s_waitcnt vmcnt(0)
	ds_write_b64 v91, v[2:3]
.LBB40_183:
	s_or_b32 exec_lo, exec_lo, s4
	s_waitcnt lgkmcnt(0)
	s_waitcnt_vscnt null, 0x0
	s_barrier
	buffer_gl0_inv
	s_clause 0x5
	buffer_load_dword v5, off, s[0:3], 0 offset:316
	buffer_load_dword v6, off, s[0:3], 0 offset:324
	;; [unrolled: 1-line block ×6, first 2 shown]
	ds_read2_b64 v[1:4], v1 offset0:81 offset1:82
	s_mov_b32 s4, exec_lo
	s_waitcnt vmcnt(5) lgkmcnt(0)
	v_mul_f32_e32 v94, v2, v5
	v_mul_f32_e32 v5, v1, v5
	s_waitcnt vmcnt(4)
	v_mul_f32_e32 v95, v3, v6
	v_mul_f32_e32 v6, v4, v6
	s_waitcnt vmcnt(3)
	v_fma_f32 v1, v1, v7, -v94
	v_fmac_f32_e32 v5, v2, v7
	s_waitcnt vmcnt(2)
	v_fmac_f32_e32 v95, v4, v8
	v_fma_f32 v2, v3, v8, -v6
	v_add_f32_e32 v1, 0, v1
	v_add_f32_e32 v3, 0, v5
	;; [unrolled: 1-line block ×4, first 2 shown]
	s_waitcnt vmcnt(1)
	v_sub_f32_e32 v1, v92, v1
	s_waitcnt vmcnt(0)
	v_sub_f32_e32 v2, v93, v2
	buffer_store_dword v1, off, s[0:3], 0 offset:304
	buffer_store_dword v2, off, s[0:3], 0 offset:308
	v_cmpx_lt_u32_e32 37, v0
	s_cbranch_execz .LBB40_185
; %bb.184:
	s_clause 0x1
	buffer_load_dword v1, off, s[0:3], 0 offset:296
	buffer_load_dword v2, off, s[0:3], 0 offset:300
	v_mov_b32_e32 v3, 0
	buffer_store_dword v3, off, s[0:3], 0 offset:296
	buffer_store_dword v3, off, s[0:3], 0 offset:300
	s_waitcnt vmcnt(0)
	ds_write_b64 v91, v[1:2]
.LBB40_185:
	s_or_b32 exec_lo, exec_lo, s4
	s_waitcnt lgkmcnt(0)
	s_waitcnt_vscnt null, 0x0
	s_barrier
	buffer_gl0_inv
	s_clause 0x7
	buffer_load_dword v8, off, s[0:3], 0 offset:308
	buffer_load_dword v92, off, s[0:3], 0 offset:316
	;; [unrolled: 1-line block ×8, first 2 shown]
	v_mov_b32_e32 v1, 0
	ds_read_b128 v[2:5], v1 offset:640
	ds_read_b64 v[6:7], v1 offset:656
	s_mov_b32 s4, exec_lo
	s_waitcnt vmcnt(7) lgkmcnt(1)
	v_mul_f32_e32 v99, v3, v8
	v_mul_f32_e32 v8, v2, v8
	s_waitcnt vmcnt(6)
	v_mul_f32_e32 v100, v4, v92
	v_mul_f32_e32 v92, v5, v92
	s_waitcnt vmcnt(5) lgkmcnt(0)
	v_mul_f32_e32 v101, v6, v93
	s_waitcnt vmcnt(4)
	v_fma_f32 v2, v2, v94, -v99
	v_fmac_f32_e32 v8, v3, v94
	v_mul_f32_e32 v3, v7, v93
	s_waitcnt vmcnt(3)
	v_fma_f32 v4, v4, v95, -v92
	v_fmac_f32_e32 v100, v5, v95
	v_add_f32_e32 v2, 0, v2
	v_add_f32_e32 v5, 0, v8
	s_waitcnt vmcnt(2)
	v_fma_f32 v3, v6, v96, -v3
	v_fmac_f32_e32 v101, v7, v96
	v_add_f32_e32 v2, v2, v4
	v_add_f32_e32 v4, v5, v100
	;; [unrolled: 1-line block ×4, first 2 shown]
	s_waitcnt vmcnt(1)
	v_sub_f32_e32 v2, v97, v2
	s_waitcnt vmcnt(0)
	v_sub_f32_e32 v3, v98, v3
	buffer_store_dword v2, off, s[0:3], 0 offset:296
	buffer_store_dword v3, off, s[0:3], 0 offset:300
	v_cmpx_lt_u32_e32 36, v0
	s_cbranch_execz .LBB40_187
; %bb.186:
	s_clause 0x1
	buffer_load_dword v2, off, s[0:3], 0 offset:288
	buffer_load_dword v3, off, s[0:3], 0 offset:292
	buffer_store_dword v1, off, s[0:3], 0 offset:288
	buffer_store_dword v1, off, s[0:3], 0 offset:292
	s_waitcnt vmcnt(0)
	ds_write_b64 v91, v[2:3]
.LBB40_187:
	s_or_b32 exec_lo, exec_lo, s4
	s_waitcnt lgkmcnt(0)
	s_waitcnt_vscnt null, 0x0
	s_barrier
	buffer_gl0_inv
	s_clause 0x9
	buffer_load_dword v6, off, s[0:3], 0 offset:300
	buffer_load_dword v7, off, s[0:3], 0 offset:308
	;; [unrolled: 1-line block ×10, first 2 shown]
	ds_read2_b64 v[2:5], v1 offset0:79 offset1:80
	ds_read2_b64 v[92:95], v1 offset0:81 offset1:82
	s_mov_b32 s4, exec_lo
	s_waitcnt vmcnt(9) lgkmcnt(1)
	v_mul_f32_e32 v1, v2, v6
	v_mul_f32_e32 v6, v3, v6
	s_waitcnt vmcnt(8)
	v_mul_f32_e32 v103, v4, v7
	v_mul_f32_e32 v7, v5, v7
	s_waitcnt vmcnt(7) lgkmcnt(0)
	v_mul_f32_e32 v104, v92, v8
	s_waitcnt vmcnt(5)
	v_fmac_f32_e32 v1, v3, v97
	v_fma_f32 v2, v2, v97, -v6
	v_mul_f32_e32 v3, v93, v8
	s_waitcnt vmcnt(4)
	v_fma_f32 v4, v4, v98, -v7
	v_fmac_f32_e32 v103, v5, v98
	v_add_f32_e32 v1, 0, v1
	v_add_f32_e32 v2, 0, v2
	v_mul_f32_e32 v5, v95, v96
	s_waitcnt vmcnt(3)
	v_fma_f32 v3, v92, v99, -v3
	v_mul_f32_e32 v105, v94, v96
	v_fmac_f32_e32 v104, v93, v99
	v_add_f32_e32 v2, v2, v4
	v_add_f32_e32 v1, v1, v103
	s_waitcnt vmcnt(2)
	v_fma_f32 v4, v94, v100, -v5
	v_fmac_f32_e32 v105, v95, v100
	v_add_f32_e32 v2, v2, v3
	v_add_f32_e32 v1, v1, v104
	v_add_f32_e32 v2, v2, v4
	v_add_f32_e32 v1, v1, v105
	s_waitcnt vmcnt(1)
	v_sub_f32_e32 v2, v101, v2
	s_waitcnt vmcnt(0)
	v_sub_f32_e32 v1, v102, v1
	buffer_store_dword v2, off, s[0:3], 0 offset:288
	buffer_store_dword v1, off, s[0:3], 0 offset:292
	v_cmpx_lt_u32_e32 35, v0
	s_cbranch_execz .LBB40_189
; %bb.188:
	s_clause 0x1
	buffer_load_dword v1, off, s[0:3], 0 offset:280
	buffer_load_dword v2, off, s[0:3], 0 offset:284
	v_mov_b32_e32 v3, 0
	buffer_store_dword v3, off, s[0:3], 0 offset:280
	buffer_store_dword v3, off, s[0:3], 0 offset:284
	s_waitcnt vmcnt(0)
	ds_write_b64 v91, v[1:2]
.LBB40_189:
	s_or_b32 exec_lo, exec_lo, s4
	s_waitcnt lgkmcnt(0)
	s_waitcnt_vscnt null, 0x0
	s_barrier
	buffer_gl0_inv
	s_clause 0xb
	buffer_load_dword v8, off, s[0:3], 0 offset:292
	buffer_load_dword v96, off, s[0:3], 0 offset:300
	buffer_load_dword v97, off, s[0:3], 0 offset:308
	buffer_load_dword v98, off, s[0:3], 0 offset:316
	buffer_load_dword v99, off, s[0:3], 0 offset:324
	buffer_load_dword v100, off, s[0:3], 0 offset:288
	buffer_load_dword v101, off, s[0:3], 0 offset:296
	buffer_load_dword v102, off, s[0:3], 0 offset:304
	buffer_load_dword v103, off, s[0:3], 0 offset:312
	buffer_load_dword v104, off, s[0:3], 0 offset:320
	buffer_load_dword v105, off, s[0:3], 0 offset:280
	buffer_load_dword v106, off, s[0:3], 0 offset:284
	v_mov_b32_e32 v1, 0
	ds_read_b128 v[2:5], v1 offset:624
	ds_read_b128 v[92:95], v1 offset:640
	ds_read_b64 v[6:7], v1 offset:656
	s_mov_b32 s4, exec_lo
	s_waitcnt vmcnt(11) lgkmcnt(2)
	v_mul_f32_e32 v107, v2, v8
	v_mul_f32_e32 v8, v3, v8
	s_waitcnt vmcnt(10)
	v_mul_f32_e32 v108, v4, v96
	v_mul_f32_e32 v96, v5, v96
	s_waitcnt vmcnt(9) lgkmcnt(1)
	v_mul_f32_e32 v109, v92, v97
	s_waitcnt vmcnt(6)
	v_fmac_f32_e32 v107, v3, v100
	v_fma_f32 v2, v2, v100, -v8
	v_mul_f32_e32 v3, v93, v97
	s_waitcnt vmcnt(5)
	v_fma_f32 v4, v4, v101, -v96
	v_fmac_f32_e32 v108, v5, v101
	v_add_f32_e32 v5, 0, v107
	v_add_f32_e32 v2, 0, v2
	v_mul_f32_e32 v8, v95, v98
	s_waitcnt vmcnt(4)
	v_fma_f32 v3, v92, v102, -v3
	v_mul_f32_e32 v110, v94, v98
	v_fmac_f32_e32 v109, v93, v102
	v_add_f32_e32 v2, v2, v4
	v_add_f32_e32 v4, v5, v108
	s_waitcnt lgkmcnt(0)
	v_mul_f32_e32 v5, v7, v99
	s_waitcnt vmcnt(3)
	v_fma_f32 v8, v94, v103, -v8
	v_mul_f32_e32 v111, v6, v99
	v_add_f32_e32 v2, v2, v3
	v_fmac_f32_e32 v110, v95, v103
	v_add_f32_e32 v3, v4, v109
	s_waitcnt vmcnt(2)
	v_fma_f32 v4, v6, v104, -v5
	v_fmac_f32_e32 v111, v7, v104
	v_add_f32_e32 v2, v2, v8
	v_add_f32_e32 v3, v3, v110
	;; [unrolled: 1-line block ×4, first 2 shown]
	s_waitcnt vmcnt(1)
	v_sub_f32_e32 v2, v105, v2
	s_waitcnt vmcnt(0)
	v_sub_f32_e32 v3, v106, v3
	buffer_store_dword v2, off, s[0:3], 0 offset:280
	buffer_store_dword v3, off, s[0:3], 0 offset:284
	v_cmpx_lt_u32_e32 34, v0
	s_cbranch_execz .LBB40_191
; %bb.190:
	s_clause 0x1
	buffer_load_dword v2, off, s[0:3], 0 offset:272
	buffer_load_dword v3, off, s[0:3], 0 offset:276
	buffer_store_dword v1, off, s[0:3], 0 offset:272
	buffer_store_dword v1, off, s[0:3], 0 offset:276
	s_waitcnt vmcnt(0)
	ds_write_b64 v91, v[2:3]
.LBB40_191:
	s_or_b32 exec_lo, exec_lo, s4
	s_waitcnt lgkmcnt(0)
	s_waitcnt_vscnt null, 0x0
	s_barrier
	buffer_gl0_inv
	s_clause 0xd
	buffer_load_dword v6, off, s[0:3], 0 offset:284
	buffer_load_dword v7, off, s[0:3], 0 offset:292
	;; [unrolled: 1-line block ×14, first 2 shown]
	ds_read2_b64 v[2:5], v1 offset0:77 offset1:78
	ds_read2_b64 v[92:95], v1 offset0:79 offset1:80
	;; [unrolled: 1-line block ×3, first 2 shown]
	s_mov_b32 s4, exec_lo
	s_waitcnt vmcnt(13) lgkmcnt(2)
	v_mul_f32_e32 v1, v2, v6
	v_mul_f32_e32 v6, v3, v6
	s_waitcnt vmcnt(12)
	v_mul_f32_e32 v111, v4, v7
	v_mul_f32_e32 v7, v5, v7
	s_waitcnt vmcnt(11) lgkmcnt(1)
	v_mul_f32_e32 v112, v92, v8
	s_waitcnt vmcnt(10)
	v_mul_f32_e32 v113, v94, v100
	s_waitcnt vmcnt(7)
	v_fma_f32 v2, v2, v103, -v6
	v_fmac_f32_e32 v1, v3, v103
	v_mul_f32_e32 v3, v93, v8
	s_waitcnt vmcnt(6)
	v_fma_f32 v4, v4, v104, -v7
	v_fmac_f32_e32 v111, v5, v104
	v_add_f32_e32 v2, 0, v2
	v_add_f32_e32 v1, 0, v1
	v_mul_f32_e32 v5, v95, v100
	s_waitcnt vmcnt(5)
	v_fma_f32 v3, v92, v105, -v3
	v_fmac_f32_e32 v112, v93, v105
	v_add_f32_e32 v2, v2, v4
	v_add_f32_e32 v1, v1, v111
	s_waitcnt lgkmcnt(0)
	v_mul_f32_e32 v4, v97, v101
	s_waitcnt vmcnt(4)
	v_fma_f32 v5, v94, v106, -v5
	v_mul_f32_e32 v114, v96, v101
	v_add_f32_e32 v2, v2, v3
	v_fmac_f32_e32 v113, v95, v106
	v_add_f32_e32 v1, v1, v112
	v_mul_f32_e32 v3, v99, v102
	s_waitcnt vmcnt(3)
	v_fma_f32 v4, v96, v107, -v4
	v_add_f32_e32 v2, v2, v5
	v_mul_f32_e32 v115, v98, v102
	v_fmac_f32_e32 v114, v97, v107
	v_add_f32_e32 v1, v1, v113
	s_waitcnt vmcnt(2)
	v_fma_f32 v3, v98, v108, -v3
	v_add_f32_e32 v2, v2, v4
	v_fmac_f32_e32 v115, v99, v108
	v_add_f32_e32 v1, v1, v114
	v_add_f32_e32 v2, v2, v3
	;; [unrolled: 1-line block ×3, first 2 shown]
	s_waitcnt vmcnt(1)
	v_sub_f32_e32 v2, v109, v2
	s_waitcnt vmcnt(0)
	v_sub_f32_e32 v1, v110, v1
	buffer_store_dword v2, off, s[0:3], 0 offset:272
	buffer_store_dword v1, off, s[0:3], 0 offset:276
	v_cmpx_lt_u32_e32 33, v0
	s_cbranch_execz .LBB40_193
; %bb.192:
	s_clause 0x1
	buffer_load_dword v1, off, s[0:3], 0 offset:264
	buffer_load_dword v2, off, s[0:3], 0 offset:268
	v_mov_b32_e32 v3, 0
	buffer_store_dword v3, off, s[0:3], 0 offset:264
	buffer_store_dword v3, off, s[0:3], 0 offset:268
	s_waitcnt vmcnt(0)
	ds_write_b64 v91, v[1:2]
.LBB40_193:
	s_or_b32 exec_lo, exec_lo, s4
	s_waitcnt lgkmcnt(0)
	s_waitcnt_vscnt null, 0x0
	s_barrier
	buffer_gl0_inv
	s_clause 0xf
	buffer_load_dword v8, off, s[0:3], 0 offset:276
	buffer_load_dword v100, off, s[0:3], 0 offset:284
	;; [unrolled: 1-line block ×16, first 2 shown]
	v_mov_b32_e32 v1, 0
	ds_read_b128 v[2:5], v1 offset:608
	ds_read_b128 v[92:95], v1 offset:624
	ds_read_b128 v[96:99], v1 offset:640
	ds_read_b64 v[6:7], v1 offset:656
	s_mov_b32 s4, exec_lo
	s_waitcnt vmcnt(15) lgkmcnt(3)
	v_mul_f32_e32 v115, v2, v8
	v_mul_f32_e32 v8, v3, v8
	s_waitcnt vmcnt(14)
	v_mul_f32_e32 v116, v4, v100
	v_mul_f32_e32 v100, v5, v100
	s_waitcnt vmcnt(13) lgkmcnt(2)
	v_mul_f32_e32 v117, v92, v101
	s_waitcnt vmcnt(12)
	v_mul_f32_e32 v118, v94, v102
	s_waitcnt vmcnt(11) lgkmcnt(1)
	v_mul_f32_e32 v119, v96, v103
	s_waitcnt vmcnt(8)
	v_fma_f32 v2, v2, v106, -v8
	v_fmac_f32_e32 v115, v3, v106
	v_mul_f32_e32 v3, v93, v101
	s_waitcnt vmcnt(7)
	v_fma_f32 v4, v4, v107, -v100
	v_fmac_f32_e32 v116, v5, v107
	v_add_f32_e32 v2, 0, v2
	v_add_f32_e32 v5, 0, v115
	v_mul_f32_e32 v8, v95, v102
	s_waitcnt vmcnt(6)
	v_fma_f32 v3, v92, v108, -v3
	v_fmac_f32_e32 v117, v93, v108
	v_add_f32_e32 v2, v2, v4
	v_add_f32_e32 v4, v5, v116
	;; [unrolled: 6-line block ×3, first 2 shown]
	v_mul_f32_e32 v4, v99, v104
	s_waitcnt vmcnt(4)
	v_fma_f32 v5, v96, v110, -v5
	v_mul_f32_e32 v120, v98, v104
	v_add_f32_e32 v2, v2, v8
	v_fmac_f32_e32 v119, v97, v110
	v_add_f32_e32 v3, v3, v118
	s_waitcnt lgkmcnt(0)
	v_mul_f32_e32 v8, v7, v105
	s_waitcnt vmcnt(3)
	v_fma_f32 v4, v98, v111, -v4
	v_add_f32_e32 v2, v2, v5
	v_mul_f32_e32 v121, v6, v105
	v_fmac_f32_e32 v120, v99, v111
	v_add_f32_e32 v3, v3, v119
	s_waitcnt vmcnt(2)
	v_fma_f32 v5, v6, v112, -v8
	v_add_f32_e32 v2, v2, v4
	v_fmac_f32_e32 v121, v7, v112
	v_add_f32_e32 v3, v3, v120
	v_add_f32_e32 v2, v2, v5
	;; [unrolled: 1-line block ×3, first 2 shown]
	s_waitcnt vmcnt(1)
	v_sub_f32_e32 v2, v113, v2
	s_waitcnt vmcnt(0)
	v_sub_f32_e32 v3, v114, v3
	buffer_store_dword v2, off, s[0:3], 0 offset:264
	buffer_store_dword v3, off, s[0:3], 0 offset:268
	v_cmpx_lt_u32_e32 32, v0
	s_cbranch_execz .LBB40_195
; %bb.194:
	s_clause 0x1
	buffer_load_dword v2, off, s[0:3], 0 offset:256
	buffer_load_dword v3, off, s[0:3], 0 offset:260
	buffer_store_dword v1, off, s[0:3], 0 offset:256
	buffer_store_dword v1, off, s[0:3], 0 offset:260
	s_waitcnt vmcnt(0)
	ds_write_b64 v91, v[2:3]
.LBB40_195:
	s_or_b32 exec_lo, exec_lo, s4
	s_waitcnt lgkmcnt(0)
	s_waitcnt_vscnt null, 0x0
	s_barrier
	buffer_gl0_inv
	s_clause 0x11
	buffer_load_dword v6, off, s[0:3], 0 offset:268
	buffer_load_dword v7, off, s[0:3], 0 offset:276
	;; [unrolled: 1-line block ×18, first 2 shown]
	ds_read2_b64 v[2:5], v1 offset0:75 offset1:76
	ds_read2_b64 v[92:95], v1 offset0:77 offset1:78
	;; [unrolled: 1-line block ×4, first 2 shown]
	s_mov_b32 s4, exec_lo
	s_waitcnt vmcnt(17) lgkmcnt(3)
	v_mul_f32_e32 v1, v2, v6
	v_mul_f32_e32 v6, v3, v6
	s_waitcnt vmcnt(16)
	v_mul_f32_e32 v119, v4, v7
	v_mul_f32_e32 v7, v5, v7
	s_waitcnt vmcnt(15) lgkmcnt(2)
	v_mul_f32_e32 v120, v92, v8
	s_waitcnt vmcnt(14)
	v_mul_f32_e32 v121, v94, v104
	s_waitcnt vmcnt(13) lgkmcnt(1)
	v_mul_f32_e32 v122, v96, v105
	s_waitcnt vmcnt(12)
	v_mul_f32_e32 v123, v98, v106
	s_waitcnt vmcnt(9)
	v_fma_f32 v2, v2, v109, -v6
	v_fmac_f32_e32 v1, v3, v109
	v_mul_f32_e32 v3, v93, v8
	s_waitcnt vmcnt(8)
	v_fma_f32 v4, v4, v110, -v7
	v_fmac_f32_e32 v119, v5, v110
	v_add_f32_e32 v2, 0, v2
	v_add_f32_e32 v1, 0, v1
	v_mul_f32_e32 v5, v95, v104
	s_waitcnt vmcnt(7)
	v_fma_f32 v3, v92, v111, -v3
	v_fmac_f32_e32 v120, v93, v111
	v_add_f32_e32 v2, v2, v4
	v_add_f32_e32 v1, v1, v119
	;; [unrolled: 6-line block ×4, first 2 shown]
	s_waitcnt lgkmcnt(0)
	v_mul_f32_e32 v5, v101, v107
	s_waitcnt vmcnt(4)
	v_fma_f32 v3, v98, v114, -v3
	v_mul_f32_e32 v124, v100, v107
	v_add_f32_e32 v2, v2, v4
	v_fmac_f32_e32 v123, v99, v114
	v_add_f32_e32 v1, v1, v122
	v_mul_f32_e32 v4, v103, v108
	s_waitcnt vmcnt(3)
	v_fma_f32 v5, v100, v115, -v5
	v_add_f32_e32 v2, v2, v3
	v_mul_f32_e32 v125, v102, v108
	v_fmac_f32_e32 v124, v101, v115
	v_add_f32_e32 v1, v1, v123
	s_waitcnt vmcnt(2)
	v_fma_f32 v3, v102, v116, -v4
	v_add_f32_e32 v2, v2, v5
	v_fmac_f32_e32 v125, v103, v116
	v_add_f32_e32 v1, v1, v124
	v_add_f32_e32 v2, v2, v3
	;; [unrolled: 1-line block ×3, first 2 shown]
	s_waitcnt vmcnt(1)
	v_sub_f32_e32 v2, v117, v2
	s_waitcnt vmcnt(0)
	v_sub_f32_e32 v1, v118, v1
	buffer_store_dword v2, off, s[0:3], 0 offset:256
	buffer_store_dword v1, off, s[0:3], 0 offset:260
	v_cmpx_lt_u32_e32 31, v0
	s_cbranch_execz .LBB40_197
; %bb.196:
	s_clause 0x1
	buffer_load_dword v1, off, s[0:3], 0 offset:248
	buffer_load_dword v2, off, s[0:3], 0 offset:252
	v_mov_b32_e32 v3, 0
	buffer_store_dword v3, off, s[0:3], 0 offset:248
	buffer_store_dword v3, off, s[0:3], 0 offset:252
	s_waitcnt vmcnt(0)
	ds_write_b64 v91, v[1:2]
.LBB40_197:
	s_or_b32 exec_lo, exec_lo, s4
	s_waitcnt lgkmcnt(0)
	s_waitcnt_vscnt null, 0x0
	s_barrier
	buffer_gl0_inv
	s_clause 0x13
	buffer_load_dword v8, off, s[0:3], 0 offset:260
	buffer_load_dword v104, off, s[0:3], 0 offset:268
	;; [unrolled: 1-line block ×20, first 2 shown]
	v_mov_b32_e32 v1, 0
	ds_read_b128 v[2:5], v1 offset:592
	ds_read_b128 v[92:95], v1 offset:608
	;; [unrolled: 1-line block ×4, first 2 shown]
	ds_read_b64 v[6:7], v1 offset:656
	s_mov_b32 s4, exec_lo
	s_waitcnt vmcnt(19) lgkmcnt(4)
	v_mul_f32_e32 v123, v2, v8
	v_mul_f32_e32 v8, v3, v8
	s_waitcnt vmcnt(18)
	v_mul_f32_e32 v124, v4, v104
	v_mul_f32_e32 v104, v5, v104
	s_waitcnt vmcnt(17) lgkmcnt(3)
	v_mul_f32_e32 v125, v92, v105
	s_waitcnt vmcnt(16)
	v_mul_f32_e32 v126, v94, v106
	s_waitcnt vmcnt(15) lgkmcnt(2)
	v_mul_f32_e32 v127, v96, v107
	s_waitcnt vmcnt(14)
	;; [unrolled: 4-line block ×3, first 2 shown]
	v_fma_f32 v2, v2, v112, -v8
	v_fmac_f32_e32 v123, v3, v112
	v_mul_f32_e32 v3, v93, v105
	s_waitcnt vmcnt(9)
	v_fma_f32 v4, v4, v113, -v104
	v_fmac_f32_e32 v124, v5, v113
	v_add_f32_e32 v2, 0, v2
	v_add_f32_e32 v5, 0, v123
	v_mul_f32_e32 v8, v95, v106
	s_waitcnt vmcnt(8)
	v_fma_f32 v3, v92, v114, -v3
	v_fmac_f32_e32 v125, v93, v114
	v_add_f32_e32 v2, v2, v4
	v_add_f32_e32 v4, v5, v124
	v_mul_f32_e32 v5, v97, v107
	s_waitcnt vmcnt(7)
	v_fma_f32 v8, v94, v115, -v8
	v_fmac_f32_e32 v126, v95, v115
	v_add_f32_e32 v2, v2, v3
	v_add_f32_e32 v3, v4, v125
	v_mul_f32_e32 v4, v99, v108
	s_waitcnt vmcnt(6)
	v_fma_f32 v5, v96, v116, -v5
	v_fmac_f32_e32 v127, v97, v116
	v_add_f32_e32 v2, v2, v8
	v_add_f32_e32 v3, v3, v126
	v_mul_f32_e32 v8, v101, v109
	s_waitcnt vmcnt(5)
	v_fma_f32 v4, v98, v117, -v4
	v_fmac_f32_e32 v128, v99, v117
	v_add_f32_e32 v2, v2, v5
	v_add_f32_e32 v3, v3, v127
	v_mul_f32_e32 v5, v103, v110
	s_waitcnt vmcnt(4)
	v_fma_f32 v8, v100, v118, -v8
	v_mul_f32_e32 v130, v102, v110
	v_add_f32_e32 v2, v2, v4
	v_fmac_f32_e32 v129, v101, v118
	v_add_f32_e32 v3, v3, v128
	s_waitcnt lgkmcnt(0)
	v_mul_f32_e32 v4, v7, v111
	s_waitcnt vmcnt(3)
	v_fma_f32 v5, v102, v119, -v5
	v_add_f32_e32 v2, v2, v8
	v_mul_f32_e32 v131, v6, v111
	v_fmac_f32_e32 v130, v103, v119
	v_add_f32_e32 v3, v3, v129
	s_waitcnt vmcnt(2)
	v_fma_f32 v4, v6, v120, -v4
	v_add_f32_e32 v2, v2, v5
	v_fmac_f32_e32 v131, v7, v120
	v_add_f32_e32 v3, v3, v130
	v_add_f32_e32 v2, v2, v4
	;; [unrolled: 1-line block ×3, first 2 shown]
	s_waitcnt vmcnt(1)
	v_sub_f32_e32 v2, v121, v2
	s_waitcnt vmcnt(0)
	v_sub_f32_e32 v3, v122, v3
	buffer_store_dword v2, off, s[0:3], 0 offset:248
	buffer_store_dword v3, off, s[0:3], 0 offset:252
	v_cmpx_lt_u32_e32 30, v0
	s_cbranch_execz .LBB40_199
; %bb.198:
	s_clause 0x1
	buffer_load_dword v2, off, s[0:3], 0 offset:240
	buffer_load_dword v3, off, s[0:3], 0 offset:244
	buffer_store_dword v1, off, s[0:3], 0 offset:240
	buffer_store_dword v1, off, s[0:3], 0 offset:244
	s_waitcnt vmcnt(0)
	ds_write_b64 v91, v[2:3]
.LBB40_199:
	s_or_b32 exec_lo, exec_lo, s4
	s_waitcnt lgkmcnt(0)
	s_waitcnt_vscnt null, 0x0
	s_barrier
	buffer_gl0_inv
	s_clause 0x15
	buffer_load_dword v6, off, s[0:3], 0 offset:252
	buffer_load_dword v7, off, s[0:3], 0 offset:260
	buffer_load_dword v8, off, s[0:3], 0 offset:268
	buffer_load_dword v108, off, s[0:3], 0 offset:276
	buffer_load_dword v109, off, s[0:3], 0 offset:284
	buffer_load_dword v110, off, s[0:3], 0 offset:292
	buffer_load_dword v111, off, s[0:3], 0 offset:300
	buffer_load_dword v112, off, s[0:3], 0 offset:308
	buffer_load_dword v113, off, s[0:3], 0 offset:316
	buffer_load_dword v114, off, s[0:3], 0 offset:324
	buffer_load_dword v115, off, s[0:3], 0 offset:248
	buffer_load_dword v116, off, s[0:3], 0 offset:256
	buffer_load_dword v117, off, s[0:3], 0 offset:264
	buffer_load_dword v118, off, s[0:3], 0 offset:272
	buffer_load_dword v119, off, s[0:3], 0 offset:280
	buffer_load_dword v120, off, s[0:3], 0 offset:288
	buffer_load_dword v121, off, s[0:3], 0 offset:296
	buffer_load_dword v122, off, s[0:3], 0 offset:304
	buffer_load_dword v123, off, s[0:3], 0 offset:312
	buffer_load_dword v124, off, s[0:3], 0 offset:320
	buffer_load_dword v125, off, s[0:3], 0 offset:240
	buffer_load_dword v126, off, s[0:3], 0 offset:244
	ds_read2_b64 v[2:5], v1 offset0:73 offset1:74
	ds_read2_b64 v[92:95], v1 offset0:75 offset1:76
	;; [unrolled: 1-line block ×5, first 2 shown]
	s_mov_b32 s4, exec_lo
	s_waitcnt vmcnt(21) lgkmcnt(4)
	v_mul_f32_e32 v1, v2, v6
	v_mul_f32_e32 v6, v3, v6
	s_waitcnt vmcnt(20)
	v_mul_f32_e32 v127, v4, v7
	v_mul_f32_e32 v7, v5, v7
	s_waitcnt vmcnt(19) lgkmcnt(3)
	v_mul_f32_e32 v128, v92, v8
	s_waitcnt vmcnt(18)
	v_mul_f32_e32 v129, v94, v108
	s_waitcnt vmcnt(17) lgkmcnt(2)
	v_mul_f32_e32 v130, v96, v109
	s_waitcnt vmcnt(16)
	;; [unrolled: 4-line block ×3, first 2 shown]
	v_mul_f32_e32 v133, v102, v112
	s_waitcnt vmcnt(11)
	v_fma_f32 v2, v2, v115, -v6
	v_fmac_f32_e32 v1, v3, v115
	v_mul_f32_e32 v3, v93, v8
	s_waitcnt vmcnt(10)
	v_fma_f32 v4, v4, v116, -v7
	v_fmac_f32_e32 v127, v5, v116
	v_add_f32_e32 v2, 0, v2
	v_add_f32_e32 v1, 0, v1
	v_mul_f32_e32 v5, v95, v108
	s_waitcnt vmcnt(9)
	v_fma_f32 v3, v92, v117, -v3
	v_fmac_f32_e32 v128, v93, v117
	v_add_f32_e32 v2, v2, v4
	v_add_f32_e32 v1, v1, v127
	;; [unrolled: 6-line block ×6, first 2 shown]
	s_waitcnt lgkmcnt(0)
	v_mul_f32_e32 v3, v105, v113
	s_waitcnt vmcnt(4)
	v_fma_f32 v4, v102, v122, -v4
	v_mul_f32_e32 v134, v104, v113
	v_add_f32_e32 v2, v2, v5
	v_fmac_f32_e32 v133, v103, v122
	v_add_f32_e32 v1, v1, v132
	v_mul_f32_e32 v5, v107, v114
	s_waitcnt vmcnt(3)
	v_fma_f32 v3, v104, v123, -v3
	v_add_f32_e32 v2, v2, v4
	v_mul_f32_e32 v135, v106, v114
	v_fmac_f32_e32 v134, v105, v123
	v_add_f32_e32 v1, v1, v133
	s_waitcnt vmcnt(2)
	v_fma_f32 v4, v106, v124, -v5
	v_add_f32_e32 v2, v2, v3
	v_fmac_f32_e32 v135, v107, v124
	v_add_f32_e32 v1, v1, v134
	v_add_f32_e32 v2, v2, v4
	;; [unrolled: 1-line block ×3, first 2 shown]
	s_waitcnt vmcnt(1)
	v_sub_f32_e32 v2, v125, v2
	s_waitcnt vmcnt(0)
	v_sub_f32_e32 v1, v126, v1
	buffer_store_dword v2, off, s[0:3], 0 offset:240
	buffer_store_dword v1, off, s[0:3], 0 offset:244
	v_cmpx_lt_u32_e32 29, v0
	s_cbranch_execz .LBB40_201
; %bb.200:
	s_clause 0x1
	buffer_load_dword v1, off, s[0:3], 0 offset:232
	buffer_load_dword v2, off, s[0:3], 0 offset:236
	v_mov_b32_e32 v3, 0
	buffer_store_dword v3, off, s[0:3], 0 offset:232
	buffer_store_dword v3, off, s[0:3], 0 offset:236
	s_waitcnt vmcnt(0)
	ds_write_b64 v91, v[1:2]
.LBB40_201:
	s_or_b32 exec_lo, exec_lo, s4
	s_waitcnt lgkmcnt(0)
	s_waitcnt_vscnt null, 0x0
	s_barrier
	buffer_gl0_inv
	s_clause 0x17
	buffer_load_dword v8, off, s[0:3], 0 offset:244
	buffer_load_dword v108, off, s[0:3], 0 offset:252
	;; [unrolled: 1-line block ×24, first 2 shown]
	v_mov_b32_e32 v1, 0
	ds_read_b128 v[2:5], v1 offset:576
	ds_read_b128 v[92:95], v1 offset:592
	;; [unrolled: 1-line block ×5, first 2 shown]
	ds_read_b64 v[6:7], v1 offset:656
	s_mov_b32 s4, exec_lo
	s_waitcnt vmcnt(23) lgkmcnt(5)
	v_mul_f32_e32 v131, v2, v8
	v_mul_f32_e32 v8, v3, v8
	s_waitcnt vmcnt(22)
	v_mul_f32_e32 v132, v4, v108
	v_mul_f32_e32 v108, v5, v108
	s_waitcnt vmcnt(21) lgkmcnt(4)
	v_mul_f32_e32 v133, v92, v109
	s_waitcnt vmcnt(20)
	v_mul_f32_e32 v134, v94, v110
	s_waitcnt vmcnt(19) lgkmcnt(3)
	v_mul_f32_e32 v135, v96, v111
	s_waitcnt vmcnt(18)
	;; [unrolled: 4-line block ×4, first 2 shown]
	v_fma_f32 v2, v2, v118, -v8
	v_fmac_f32_e32 v131, v3, v118
	v_mul_f32_e32 v3, v93, v109
	s_waitcnt vmcnt(11)
	v_fma_f32 v4, v4, v119, -v108
	v_fmac_f32_e32 v132, v5, v119
	v_add_f32_e32 v2, 0, v2
	v_add_f32_e32 v5, 0, v131
	v_mul_f32_e32 v8, v95, v110
	s_waitcnt vmcnt(10)
	v_fma_f32 v3, v92, v120, -v3
	v_fmac_f32_e32 v133, v93, v120
	v_add_f32_e32 v2, v2, v4
	v_add_f32_e32 v4, v5, v132
	;; [unrolled: 6-line block ×7, first 2 shown]
	v_mul_f32_e32 v8, v107, v116
	s_waitcnt vmcnt(4)
	v_fma_f32 v4, v104, v126, -v4
	v_mul_f32_e32 v140, v106, v116
	v_add_f32_e32 v2, v2, v5
	v_fmac_f32_e32 v139, v105, v126
	v_add_f32_e32 v3, v3, v138
	s_waitcnt lgkmcnt(0)
	v_mul_f32_e32 v5, v7, v117
	s_waitcnt vmcnt(3)
	v_fma_f32 v8, v106, v127, -v8
	v_add_f32_e32 v2, v2, v4
	v_mul_f32_e32 v141, v6, v117
	v_fmac_f32_e32 v140, v107, v127
	v_add_f32_e32 v3, v3, v139
	s_waitcnt vmcnt(2)
	v_fma_f32 v4, v6, v128, -v5
	v_add_f32_e32 v2, v2, v8
	v_fmac_f32_e32 v141, v7, v128
	v_add_f32_e32 v3, v3, v140
	v_add_f32_e32 v2, v2, v4
	v_add_f32_e32 v3, v3, v141
	s_waitcnt vmcnt(1)
	v_sub_f32_e32 v2, v129, v2
	s_waitcnt vmcnt(0)
	v_sub_f32_e32 v3, v130, v3
	buffer_store_dword v2, off, s[0:3], 0 offset:232
	buffer_store_dword v3, off, s[0:3], 0 offset:236
	v_cmpx_lt_u32_e32 28, v0
	s_cbranch_execz .LBB40_203
; %bb.202:
	s_clause 0x1
	buffer_load_dword v2, off, s[0:3], 0 offset:224
	buffer_load_dword v3, off, s[0:3], 0 offset:228
	buffer_store_dword v1, off, s[0:3], 0 offset:224
	buffer_store_dword v1, off, s[0:3], 0 offset:228
	s_waitcnt vmcnt(0)
	ds_write_b64 v91, v[2:3]
.LBB40_203:
	s_or_b32 exec_lo, exec_lo, s4
	s_waitcnt lgkmcnt(0)
	s_waitcnt_vscnt null, 0x0
	s_barrier
	buffer_gl0_inv
	s_clause 0x19
	buffer_load_dword v6, off, s[0:3], 0 offset:236
	buffer_load_dword v7, off, s[0:3], 0 offset:244
	;; [unrolled: 1-line block ×26, first 2 shown]
	ds_read2_b64 v[2:5], v1 offset0:71 offset1:72
	ds_read2_b64 v[92:95], v1 offset0:73 offset1:74
	;; [unrolled: 1-line block ×6, first 2 shown]
	s_mov_b32 s4, exec_lo
	s_waitcnt vmcnt(25) lgkmcnt(5)
	v_mul_f32_e32 v1, v2, v6
	v_mul_f32_e32 v6, v3, v6
	s_waitcnt vmcnt(24)
	v_mul_f32_e32 v135, v4, v7
	v_mul_f32_e32 v7, v5, v7
	s_waitcnt vmcnt(23) lgkmcnt(4)
	v_mul_f32_e32 v136, v92, v8
	s_waitcnt vmcnt(22)
	v_mul_f32_e32 v137, v94, v112
	s_waitcnt vmcnt(21) lgkmcnt(3)
	v_mul_f32_e32 v138, v96, v113
	s_waitcnt vmcnt(20)
	;; [unrolled: 4-line block ×4, first 2 shown]
	v_mul_f32_e32 v143, v106, v118
	s_waitcnt vmcnt(13)
	v_fma_f32 v2, v2, v121, -v6
	v_fmac_f32_e32 v1, v3, v121
	v_mul_f32_e32 v3, v93, v8
	s_waitcnt vmcnt(12)
	v_fma_f32 v4, v4, v122, -v7
	v_fmac_f32_e32 v135, v5, v122
	v_add_f32_e32 v2, 0, v2
	v_add_f32_e32 v1, 0, v1
	v_mul_f32_e32 v5, v95, v112
	s_waitcnt vmcnt(11)
	v_fma_f32 v3, v92, v123, -v3
	v_fmac_f32_e32 v136, v93, v123
	v_add_f32_e32 v2, v2, v4
	v_add_f32_e32 v1, v1, v135
	;; [unrolled: 6-line block ×8, first 2 shown]
	s_waitcnt lgkmcnt(0)
	v_mul_f32_e32 v4, v109, v119
	s_waitcnt vmcnt(4)
	v_fma_f32 v5, v106, v130, -v5
	v_mul_f32_e32 v144, v108, v119
	v_add_f32_e32 v2, v2, v3
	v_fmac_f32_e32 v143, v107, v130
	v_add_f32_e32 v1, v1, v142
	v_mul_f32_e32 v3, v111, v120
	s_waitcnt vmcnt(3)
	v_fma_f32 v4, v108, v131, -v4
	v_add_f32_e32 v2, v2, v5
	v_mul_f32_e32 v145, v110, v120
	v_fmac_f32_e32 v144, v109, v131
	v_add_f32_e32 v1, v1, v143
	s_waitcnt vmcnt(2)
	v_fma_f32 v3, v110, v132, -v3
	v_add_f32_e32 v2, v2, v4
	v_fmac_f32_e32 v145, v111, v132
	v_add_f32_e32 v1, v1, v144
	v_add_f32_e32 v2, v2, v3
	;; [unrolled: 1-line block ×3, first 2 shown]
	s_waitcnt vmcnt(1)
	v_sub_f32_e32 v2, v133, v2
	s_waitcnt vmcnt(0)
	v_sub_f32_e32 v1, v134, v1
	buffer_store_dword v2, off, s[0:3], 0 offset:224
	buffer_store_dword v1, off, s[0:3], 0 offset:228
	v_cmpx_lt_u32_e32 27, v0
	s_cbranch_execz .LBB40_205
; %bb.204:
	s_clause 0x1
	buffer_load_dword v1, off, s[0:3], 0 offset:216
	buffer_load_dword v2, off, s[0:3], 0 offset:220
	v_mov_b32_e32 v3, 0
	buffer_store_dword v3, off, s[0:3], 0 offset:216
	buffer_store_dword v3, off, s[0:3], 0 offset:220
	s_waitcnt vmcnt(0)
	ds_write_b64 v91, v[1:2]
.LBB40_205:
	s_or_b32 exec_lo, exec_lo, s4
	s_waitcnt lgkmcnt(0)
	s_waitcnt_vscnt null, 0x0
	s_barrier
	buffer_gl0_inv
	s_clause 0x1b
	buffer_load_dword v8, off, s[0:3], 0 offset:228
	buffer_load_dword v112, off, s[0:3], 0 offset:236
	;; [unrolled: 1-line block ×28, first 2 shown]
	v_mov_b32_e32 v1, 0
	ds_read_b128 v[2:5], v1 offset:560
	ds_read_b128 v[92:95], v1 offset:576
	ds_read_b128 v[96:99], v1 offset:592
	ds_read_b128 v[100:103], v1 offset:608
	ds_read_b128 v[104:107], v1 offset:624
	ds_read_b128 v[108:111], v1 offset:640
	ds_read_b64 v[6:7], v1 offset:656
	s_mov_b32 s4, exec_lo
	s_waitcnt vmcnt(27) lgkmcnt(6)
	v_mul_f32_e32 v139, v2, v8
	v_mul_f32_e32 v8, v3, v8
	s_waitcnt vmcnt(26)
	v_mul_f32_e32 v140, v4, v112
	v_mul_f32_e32 v112, v5, v112
	s_waitcnt vmcnt(25) lgkmcnt(5)
	v_mul_f32_e32 v141, v92, v113
	s_waitcnt vmcnt(24)
	v_mul_f32_e32 v142, v94, v114
	s_waitcnt vmcnt(23) lgkmcnt(4)
	v_mul_f32_e32 v143, v96, v115
	s_waitcnt vmcnt(22)
	;; [unrolled: 4-line block ×5, first 2 shown]
	v_fma_f32 v2, v2, v124, -v8
	v_fmac_f32_e32 v139, v3, v124
	v_mul_f32_e32 v3, v93, v113
	s_waitcnt vmcnt(13)
	v_fma_f32 v4, v4, v125, -v112
	v_fmac_f32_e32 v140, v5, v125
	v_add_f32_e32 v2, 0, v2
	v_add_f32_e32 v5, 0, v139
	v_mul_f32_e32 v8, v95, v114
	s_waitcnt vmcnt(12)
	v_fma_f32 v3, v92, v126, -v3
	v_fmac_f32_e32 v141, v93, v126
	v_add_f32_e32 v2, v2, v4
	v_add_f32_e32 v4, v5, v140
	;; [unrolled: 6-line block ×9, first 2 shown]
	v_mul_f32_e32 v4, v111, v122
	s_waitcnt vmcnt(4)
	v_fma_f32 v5, v108, v134, -v5
	v_mul_f32_e32 v150, v110, v122
	v_add_f32_e32 v2, v2, v8
	v_fmac_f32_e32 v149, v109, v134
	v_add_f32_e32 v3, v3, v148
	s_waitcnt lgkmcnt(0)
	v_mul_f32_e32 v8, v7, v123
	s_waitcnt vmcnt(3)
	v_fma_f32 v4, v110, v135, -v4
	v_add_f32_e32 v2, v2, v5
	v_mul_f32_e32 v151, v6, v123
	v_fmac_f32_e32 v150, v111, v135
	v_add_f32_e32 v3, v3, v149
	s_waitcnt vmcnt(2)
	v_fma_f32 v5, v6, v136, -v8
	v_add_f32_e32 v2, v2, v4
	v_fmac_f32_e32 v151, v7, v136
	v_add_f32_e32 v3, v3, v150
	v_add_f32_e32 v2, v2, v5
	;; [unrolled: 1-line block ×3, first 2 shown]
	s_waitcnt vmcnt(1)
	v_sub_f32_e32 v2, v137, v2
	s_waitcnt vmcnt(0)
	v_sub_f32_e32 v3, v138, v3
	buffer_store_dword v2, off, s[0:3], 0 offset:216
	buffer_store_dword v3, off, s[0:3], 0 offset:220
	v_cmpx_lt_u32_e32 26, v0
	s_cbranch_execz .LBB40_207
; %bb.206:
	s_clause 0x1
	buffer_load_dword v2, off, s[0:3], 0 offset:208
	buffer_load_dword v3, off, s[0:3], 0 offset:212
	buffer_store_dword v1, off, s[0:3], 0 offset:208
	buffer_store_dword v1, off, s[0:3], 0 offset:212
	s_waitcnt vmcnt(0)
	ds_write_b64 v91, v[2:3]
.LBB40_207:
	s_or_b32 exec_lo, exec_lo, s4
	s_waitcnt lgkmcnt(0)
	s_waitcnt_vscnt null, 0x0
	s_barrier
	buffer_gl0_inv
	s_clause 0x1d
	buffer_load_dword v6, off, s[0:3], 0 offset:220
	buffer_load_dword v7, off, s[0:3], 0 offset:228
	;; [unrolled: 1-line block ×30, first 2 shown]
	ds_read2_b64 v[2:5], v1 offset0:69 offset1:70
	ds_read2_b64 v[92:95], v1 offset0:71 offset1:72
	;; [unrolled: 1-line block ×7, first 2 shown]
	s_mov_b32 s4, exec_lo
	s_waitcnt vmcnt(29) lgkmcnt(6)
	v_mul_f32_e32 v1, v2, v6
	v_mul_f32_e32 v6, v3, v6
	s_waitcnt vmcnt(28)
	v_mul_f32_e32 v143, v4, v7
	v_mul_f32_e32 v7, v5, v7
	s_waitcnt vmcnt(27) lgkmcnt(5)
	v_mul_f32_e32 v144, v92, v8
	s_waitcnt vmcnt(26)
	v_mul_f32_e32 v145, v94, v116
	s_waitcnt vmcnt(25) lgkmcnt(4)
	v_mul_f32_e32 v146, v96, v117
	s_waitcnt vmcnt(24)
	;; [unrolled: 4-line block ×5, first 2 shown]
	v_mul_f32_e32 v153, v110, v124
	s_waitcnt vmcnt(15)
	v_fma_f32 v2, v2, v127, -v6
	v_fmac_f32_e32 v1, v3, v127
	v_mul_f32_e32 v3, v93, v8
	s_waitcnt vmcnt(14)
	v_fma_f32 v4, v4, v128, -v7
	v_fmac_f32_e32 v143, v5, v128
	v_add_f32_e32 v2, 0, v2
	v_add_f32_e32 v1, 0, v1
	v_mul_f32_e32 v5, v95, v116
	s_waitcnt vmcnt(13)
	v_fma_f32 v3, v92, v129, -v3
	v_fmac_f32_e32 v144, v93, v129
	v_add_f32_e32 v2, v2, v4
	v_add_f32_e32 v1, v1, v143
	;; [unrolled: 6-line block ×10, first 2 shown]
	s_waitcnt lgkmcnt(0)
	v_mul_f32_e32 v5, v113, v125
	s_waitcnt vmcnt(4)
	v_fma_f32 v3, v110, v138, -v3
	v_mul_f32_e32 v154, v112, v125
	v_add_f32_e32 v2, v2, v4
	v_fmac_f32_e32 v153, v111, v138
	v_add_f32_e32 v1, v1, v152
	v_mul_f32_e32 v4, v115, v126
	s_waitcnt vmcnt(3)
	v_fma_f32 v5, v112, v139, -v5
	v_add_f32_e32 v2, v2, v3
	v_mul_f32_e32 v155, v114, v126
	v_fmac_f32_e32 v154, v113, v139
	v_add_f32_e32 v1, v1, v153
	s_waitcnt vmcnt(2)
	v_fma_f32 v3, v114, v140, -v4
	v_add_f32_e32 v2, v2, v5
	v_fmac_f32_e32 v155, v115, v140
	v_add_f32_e32 v1, v1, v154
	v_add_f32_e32 v2, v2, v3
	;; [unrolled: 1-line block ×3, first 2 shown]
	s_waitcnt vmcnt(1)
	v_sub_f32_e32 v2, v141, v2
	s_waitcnt vmcnt(0)
	v_sub_f32_e32 v1, v142, v1
	buffer_store_dword v2, off, s[0:3], 0 offset:208
	buffer_store_dword v1, off, s[0:3], 0 offset:212
	v_cmpx_lt_u32_e32 25, v0
	s_cbranch_execz .LBB40_209
; %bb.208:
	s_clause 0x1
	buffer_load_dword v1, off, s[0:3], 0 offset:200
	buffer_load_dword v2, off, s[0:3], 0 offset:204
	v_mov_b32_e32 v3, 0
	buffer_store_dword v3, off, s[0:3], 0 offset:200
	buffer_store_dword v3, off, s[0:3], 0 offset:204
	s_waitcnt vmcnt(0)
	ds_write_b64 v91, v[1:2]
.LBB40_209:
	s_or_b32 exec_lo, exec_lo, s4
	s_waitcnt lgkmcnt(0)
	s_waitcnt_vscnt null, 0x0
	s_barrier
	buffer_gl0_inv
	s_clause 0x1f
	buffer_load_dword v8, off, s[0:3], 0 offset:212
	buffer_load_dword v116, off, s[0:3], 0 offset:220
	buffer_load_dword v117, off, s[0:3], 0 offset:228
	buffer_load_dword v118, off, s[0:3], 0 offset:236
	buffer_load_dword v119, off, s[0:3], 0 offset:244
	buffer_load_dword v120, off, s[0:3], 0 offset:252
	buffer_load_dword v121, off, s[0:3], 0 offset:260
	buffer_load_dword v122, off, s[0:3], 0 offset:268
	buffer_load_dword v123, off, s[0:3], 0 offset:276
	buffer_load_dword v124, off, s[0:3], 0 offset:284
	buffer_load_dword v125, off, s[0:3], 0 offset:292
	buffer_load_dword v126, off, s[0:3], 0 offset:300
	buffer_load_dword v127, off, s[0:3], 0 offset:308
	buffer_load_dword v128, off, s[0:3], 0 offset:316
	buffer_load_dword v129, off, s[0:3], 0 offset:324
	buffer_load_dword v130, off, s[0:3], 0 offset:208
	buffer_load_dword v131, off, s[0:3], 0 offset:216
	buffer_load_dword v132, off, s[0:3], 0 offset:224
	buffer_load_dword v133, off, s[0:3], 0 offset:232
	buffer_load_dword v134, off, s[0:3], 0 offset:240
	buffer_load_dword v135, off, s[0:3], 0 offset:248
	buffer_load_dword v136, off, s[0:3], 0 offset:256
	buffer_load_dword v137, off, s[0:3], 0 offset:264
	buffer_load_dword v138, off, s[0:3], 0 offset:272
	buffer_load_dword v139, off, s[0:3], 0 offset:280
	buffer_load_dword v140, off, s[0:3], 0 offset:288
	buffer_load_dword v141, off, s[0:3], 0 offset:296
	buffer_load_dword v142, off, s[0:3], 0 offset:304
	buffer_load_dword v143, off, s[0:3], 0 offset:312
	buffer_load_dword v144, off, s[0:3], 0 offset:320
	buffer_load_dword v145, off, s[0:3], 0 offset:200
	buffer_load_dword v146, off, s[0:3], 0 offset:204
	v_mov_b32_e32 v1, 0
	ds_read_b128 v[2:5], v1 offset:544
	ds_read_b128 v[92:95], v1 offset:560
	;; [unrolled: 1-line block ×7, first 2 shown]
	ds_read_b64 v[6:7], v1 offset:656
	s_mov_b32 s4, exec_lo
	s_waitcnt vmcnt(31) lgkmcnt(7)
	v_mul_f32_e32 v147, v2, v8
	v_mul_f32_e32 v8, v3, v8
	s_waitcnt vmcnt(30)
	v_mul_f32_e32 v148, v4, v116
	v_mul_f32_e32 v116, v5, v116
	s_waitcnt vmcnt(29) lgkmcnt(6)
	v_mul_f32_e32 v149, v92, v117
	s_waitcnt vmcnt(28)
	v_mul_f32_e32 v150, v94, v118
	s_waitcnt vmcnt(27) lgkmcnt(5)
	v_mul_f32_e32 v151, v96, v119
	s_waitcnt vmcnt(26)
	;; [unrolled: 4-line block ×6, first 2 shown]
	v_fma_f32 v2, v2, v130, -v8
	v_fmac_f32_e32 v147, v3, v130
	v_mul_f32_e32 v3, v93, v117
	s_waitcnt vmcnt(15)
	v_fma_f32 v4, v4, v131, -v116
	v_fmac_f32_e32 v148, v5, v131
	v_add_f32_e32 v2, 0, v2
	v_add_f32_e32 v5, 0, v147
	v_mul_f32_e32 v8, v95, v118
	s_waitcnt vmcnt(14)
	v_fma_f32 v3, v92, v132, -v3
	v_fmac_f32_e32 v149, v93, v132
	v_add_f32_e32 v2, v2, v4
	v_add_f32_e32 v4, v5, v148
	;; [unrolled: 6-line block ×11, first 2 shown]
	v_mul_f32_e32 v5, v115, v128
	s_waitcnt vmcnt(4)
	v_fma_f32 v8, v112, v142, -v8
	v_mul_f32_e32 v160, v114, v128
	v_add_f32_e32 v2, v2, v4
	v_fmac_f32_e32 v159, v113, v142
	v_add_f32_e32 v3, v3, v158
	s_waitcnt lgkmcnt(0)
	v_mul_f32_e32 v4, v7, v129
	s_waitcnt vmcnt(3)
	v_fma_f32 v5, v114, v143, -v5
	v_add_f32_e32 v2, v2, v8
	v_mul_f32_e32 v161, v6, v129
	v_fmac_f32_e32 v160, v115, v143
	v_add_f32_e32 v3, v3, v159
	s_waitcnt vmcnt(2)
	v_fma_f32 v4, v6, v144, -v4
	v_add_f32_e32 v2, v2, v5
	v_fmac_f32_e32 v161, v7, v144
	v_add_f32_e32 v3, v3, v160
	v_add_f32_e32 v2, v2, v4
	;; [unrolled: 1-line block ×3, first 2 shown]
	s_waitcnt vmcnt(1)
	v_sub_f32_e32 v2, v145, v2
	s_waitcnt vmcnt(0)
	v_sub_f32_e32 v3, v146, v3
	buffer_store_dword v2, off, s[0:3], 0 offset:200
	buffer_store_dword v3, off, s[0:3], 0 offset:204
	v_cmpx_lt_u32_e32 24, v0
	s_cbranch_execz .LBB40_211
; %bb.210:
	s_clause 0x1
	buffer_load_dword v2, off, s[0:3], 0 offset:192
	buffer_load_dword v3, off, s[0:3], 0 offset:196
	buffer_store_dword v1, off, s[0:3], 0 offset:192
	buffer_store_dword v1, off, s[0:3], 0 offset:196
	s_waitcnt vmcnt(0)
	ds_write_b64 v91, v[2:3]
.LBB40_211:
	s_or_b32 exec_lo, exec_lo, s4
	s_waitcnt lgkmcnt(0)
	s_waitcnt_vscnt null, 0x0
	s_barrier
	buffer_gl0_inv
	s_clause 0x21
	buffer_load_dword v6, off, s[0:3], 0 offset:204
	buffer_load_dword v7, off, s[0:3], 0 offset:212
	;; [unrolled: 1-line block ×34, first 2 shown]
	ds_read2_b64 v[2:5], v1 offset0:67 offset1:68
	ds_read2_b64 v[92:95], v1 offset0:69 offset1:70
	;; [unrolled: 1-line block ×8, first 2 shown]
	s_mov_b32 s4, exec_lo
	s_waitcnt vmcnt(33) lgkmcnt(7)
	v_mul_f32_e32 v1, v2, v6
	v_mul_f32_e32 v6, v3, v6
	s_waitcnt vmcnt(32)
	v_mul_f32_e32 v151, v4, v7
	v_mul_f32_e32 v7, v5, v7
	s_waitcnt vmcnt(31) lgkmcnt(6)
	v_mul_f32_e32 v152, v92, v8
	s_waitcnt vmcnt(30)
	v_mul_f32_e32 v153, v94, v120
	s_waitcnt vmcnt(29) lgkmcnt(5)
	v_mul_f32_e32 v154, v96, v121
	s_waitcnt vmcnt(28)
	v_mul_f32_e32 v155, v98, v122
	s_waitcnt vmcnt(27) lgkmcnt(4)
	v_mul_f32_e32 v156, v100, v123
	s_waitcnt vmcnt(26)
	v_mul_f32_e32 v157, v102, v124
	s_waitcnt vmcnt(25) lgkmcnt(3)
	v_mul_f32_e32 v158, v104, v125
	s_waitcnt vmcnt(24)
	v_mul_f32_e32 v159, v106, v126
	s_waitcnt vmcnt(23) lgkmcnt(2)
	v_mul_f32_e32 v160, v108, v127
	s_waitcnt vmcnt(22)
	v_mul_f32_e32 v161, v110, v128
	s_waitcnt vmcnt(21) lgkmcnt(1)
	v_mul_f32_e32 v162, v112, v129
	s_waitcnt vmcnt(20)
	v_mul_f32_e32 v163, v114, v130
	s_waitcnt vmcnt(17)
	v_fma_f32 v2, v2, v133, -v6
	v_fmac_f32_e32 v1, v3, v133
	v_mul_f32_e32 v3, v93, v8
	s_waitcnt vmcnt(16)
	v_fma_f32 v4, v4, v134, -v7
	v_fmac_f32_e32 v151, v5, v134
	v_add_f32_e32 v2, 0, v2
	v_add_f32_e32 v1, 0, v1
	v_mul_f32_e32 v5, v95, v120
	s_waitcnt vmcnt(15)
	v_fma_f32 v3, v92, v135, -v3
	v_fmac_f32_e32 v152, v93, v135
	v_add_f32_e32 v2, v2, v4
	v_add_f32_e32 v1, v1, v151
	;; [unrolled: 6-line block ×12, first 2 shown]
	s_waitcnt lgkmcnt(0)
	v_mul_f32_e32 v3, v117, v131
	s_waitcnt vmcnt(4)
	v_fma_f32 v4, v114, v146, -v4
	v_mul_f32_e32 v164, v116, v131
	v_add_f32_e32 v2, v2, v5
	v_fmac_f32_e32 v163, v115, v146
	v_add_f32_e32 v1, v1, v162
	v_mul_f32_e32 v5, v119, v132
	s_waitcnt vmcnt(3)
	v_fma_f32 v3, v116, v147, -v3
	v_add_f32_e32 v2, v2, v4
	v_mul_f32_e32 v165, v118, v132
	v_fmac_f32_e32 v164, v117, v147
	v_add_f32_e32 v1, v1, v163
	s_waitcnt vmcnt(2)
	v_fma_f32 v4, v118, v148, -v5
	v_add_f32_e32 v2, v2, v3
	v_fmac_f32_e32 v165, v119, v148
	v_add_f32_e32 v1, v1, v164
	v_add_f32_e32 v2, v2, v4
	;; [unrolled: 1-line block ×3, first 2 shown]
	s_waitcnt vmcnt(1)
	v_sub_f32_e32 v2, v149, v2
	s_waitcnt vmcnt(0)
	v_sub_f32_e32 v1, v150, v1
	buffer_store_dword v2, off, s[0:3], 0 offset:192
	buffer_store_dword v1, off, s[0:3], 0 offset:196
	v_cmpx_lt_u32_e32 23, v0
	s_cbranch_execz .LBB40_213
; %bb.212:
	s_clause 0x1
	buffer_load_dword v1, off, s[0:3], 0 offset:184
	buffer_load_dword v2, off, s[0:3], 0 offset:188
	v_mov_b32_e32 v3, 0
	buffer_store_dword v3, off, s[0:3], 0 offset:184
	buffer_store_dword v3, off, s[0:3], 0 offset:188
	s_waitcnt vmcnt(0)
	ds_write_b64 v91, v[1:2]
.LBB40_213:
	s_or_b32 exec_lo, exec_lo, s4
	s_waitcnt lgkmcnt(0)
	s_waitcnt_vscnt null, 0x0
	s_barrier
	buffer_gl0_inv
	s_clause 0x23
	buffer_load_dword v8, off, s[0:3], 0 offset:196
	buffer_load_dword v120, off, s[0:3], 0 offset:204
	;; [unrolled: 1-line block ×36, first 2 shown]
	v_mov_b32_e32 v1, 0
	ds_read_b128 v[2:5], v1 offset:528
	ds_read_b128 v[92:95], v1 offset:544
	;; [unrolled: 1-line block ×8, first 2 shown]
	ds_read_b64 v[6:7], v1 offset:656
	s_mov_b32 s4, exec_lo
	s_waitcnt vmcnt(35) lgkmcnt(8)
	v_mul_f32_e32 v155, v2, v8
	v_mul_f32_e32 v8, v3, v8
	s_waitcnt vmcnt(34)
	v_mul_f32_e32 v156, v4, v120
	v_mul_f32_e32 v120, v5, v120
	s_waitcnt vmcnt(33) lgkmcnt(7)
	v_mul_f32_e32 v157, v92, v121
	s_waitcnt vmcnt(32)
	v_mul_f32_e32 v158, v94, v122
	s_waitcnt vmcnt(31) lgkmcnt(6)
	v_mul_f32_e32 v159, v96, v123
	s_waitcnt vmcnt(30)
	;; [unrolled: 4-line block ×7, first 2 shown]
	v_fma_f32 v2, v2, v136, -v8
	v_fmac_f32_e32 v155, v3, v136
	v_mul_f32_e32 v3, v93, v121
	s_waitcnt vmcnt(17)
	v_fma_f32 v4, v4, v137, -v120
	v_fmac_f32_e32 v156, v5, v137
	v_add_f32_e32 v2, 0, v2
	v_add_f32_e32 v5, 0, v155
	v_mul_f32_e32 v8, v95, v122
	s_waitcnt vmcnt(16)
	v_fma_f32 v3, v92, v138, -v3
	v_fmac_f32_e32 v157, v93, v138
	v_add_f32_e32 v2, v2, v4
	v_add_f32_e32 v4, v5, v156
	;; [unrolled: 6-line block ×13, first 2 shown]
	v_mul_f32_e32 v8, v119, v134
	s_waitcnt vmcnt(4)
	v_fma_f32 v4, v116, v150, -v4
	v_mul_f32_e32 v170, v118, v134
	v_add_f32_e32 v2, v2, v5
	v_fmac_f32_e32 v169, v117, v150
	v_add_f32_e32 v3, v3, v168
	s_waitcnt lgkmcnt(0)
	v_mul_f32_e32 v5, v7, v135
	s_waitcnt vmcnt(3)
	v_fma_f32 v8, v118, v151, -v8
	v_add_f32_e32 v2, v2, v4
	v_mul_f32_e32 v171, v6, v135
	v_fmac_f32_e32 v170, v119, v151
	v_add_f32_e32 v3, v3, v169
	s_waitcnt vmcnt(2)
	v_fma_f32 v4, v6, v152, -v5
	v_add_f32_e32 v2, v2, v8
	v_fmac_f32_e32 v171, v7, v152
	v_add_f32_e32 v3, v3, v170
	v_add_f32_e32 v2, v2, v4
	;; [unrolled: 1-line block ×3, first 2 shown]
	s_waitcnt vmcnt(1)
	v_sub_f32_e32 v2, v153, v2
	s_waitcnt vmcnt(0)
	v_sub_f32_e32 v3, v154, v3
	buffer_store_dword v2, off, s[0:3], 0 offset:184
	buffer_store_dword v3, off, s[0:3], 0 offset:188
	v_cmpx_lt_u32_e32 22, v0
	s_cbranch_execz .LBB40_215
; %bb.214:
	s_clause 0x1
	buffer_load_dword v2, off, s[0:3], 0 offset:176
	buffer_load_dword v3, off, s[0:3], 0 offset:180
	buffer_store_dword v1, off, s[0:3], 0 offset:176
	buffer_store_dword v1, off, s[0:3], 0 offset:180
	s_waitcnt vmcnt(0)
	ds_write_b64 v91, v[2:3]
.LBB40_215:
	s_or_b32 exec_lo, exec_lo, s4
	s_waitcnt lgkmcnt(0)
	s_waitcnt_vscnt null, 0x0
	s_barrier
	buffer_gl0_inv
	s_clause 0x25
	buffer_load_dword v6, off, s[0:3], 0 offset:188
	buffer_load_dword v7, off, s[0:3], 0 offset:196
	;; [unrolled: 1-line block ×38, first 2 shown]
	ds_read2_b64 v[2:5], v1 offset0:65 offset1:66
	ds_read2_b64 v[92:95], v1 offset0:67 offset1:68
	;; [unrolled: 1-line block ×9, first 2 shown]
	s_mov_b32 s4, exec_lo
	s_waitcnt vmcnt(37) lgkmcnt(8)
	v_mul_f32_e32 v1, v2, v6
	v_mul_f32_e32 v6, v3, v6
	s_waitcnt vmcnt(36)
	v_mul_f32_e32 v159, v4, v7
	v_mul_f32_e32 v7, v5, v7
	s_waitcnt vmcnt(35) lgkmcnt(7)
	v_mul_f32_e32 v160, v92, v8
	s_waitcnt vmcnt(34)
	v_mul_f32_e32 v161, v94, v124
	s_waitcnt vmcnt(33) lgkmcnt(6)
	v_mul_f32_e32 v162, v96, v125
	s_waitcnt vmcnt(32)
	;; [unrolled: 4-line block ×7, first 2 shown]
	v_mul_f32_e32 v173, v118, v136
	s_waitcnt vmcnt(19)
	v_fma_f32 v2, v2, v139, -v6
	v_fmac_f32_e32 v1, v3, v139
	v_mul_f32_e32 v3, v93, v8
	s_waitcnt vmcnt(18)
	v_fma_f32 v4, v4, v140, -v7
	v_fmac_f32_e32 v159, v5, v140
	v_add_f32_e32 v2, 0, v2
	v_add_f32_e32 v1, 0, v1
	v_mul_f32_e32 v5, v95, v124
	s_waitcnt vmcnt(17)
	v_fma_f32 v3, v92, v141, -v3
	v_fmac_f32_e32 v160, v93, v141
	v_add_f32_e32 v2, v2, v4
	v_add_f32_e32 v1, v1, v159
	;; [unrolled: 6-line block ×14, first 2 shown]
	s_waitcnt lgkmcnt(0)
	v_mul_f32_e32 v4, v121, v137
	s_waitcnt vmcnt(4)
	v_fma_f32 v5, v118, v154, -v5
	v_mul_f32_e32 v174, v120, v137
	v_add_f32_e32 v2, v2, v3
	v_fmac_f32_e32 v173, v119, v154
	v_add_f32_e32 v1, v1, v172
	v_mul_f32_e32 v3, v123, v138
	s_waitcnt vmcnt(3)
	v_fma_f32 v4, v120, v155, -v4
	v_add_f32_e32 v2, v2, v5
	v_mul_f32_e32 v175, v122, v138
	v_fmac_f32_e32 v174, v121, v155
	v_add_f32_e32 v1, v1, v173
	s_waitcnt vmcnt(2)
	v_fma_f32 v3, v122, v156, -v3
	v_add_f32_e32 v2, v2, v4
	v_fmac_f32_e32 v175, v123, v156
	v_add_f32_e32 v1, v1, v174
	v_add_f32_e32 v2, v2, v3
	v_add_f32_e32 v1, v1, v175
	s_waitcnt vmcnt(1)
	v_sub_f32_e32 v2, v157, v2
	s_waitcnt vmcnt(0)
	v_sub_f32_e32 v1, v158, v1
	buffer_store_dword v2, off, s[0:3], 0 offset:176
	buffer_store_dword v1, off, s[0:3], 0 offset:180
	v_cmpx_lt_u32_e32 21, v0
	s_cbranch_execz .LBB40_217
; %bb.216:
	s_clause 0x1
	buffer_load_dword v1, off, s[0:3], 0 offset:168
	buffer_load_dword v2, off, s[0:3], 0 offset:172
	v_mov_b32_e32 v3, 0
	buffer_store_dword v3, off, s[0:3], 0 offset:168
	buffer_store_dword v3, off, s[0:3], 0 offset:172
	s_waitcnt vmcnt(0)
	ds_write_b64 v91, v[1:2]
.LBB40_217:
	s_or_b32 exec_lo, exec_lo, s4
	s_waitcnt lgkmcnt(0)
	s_waitcnt_vscnt null, 0x0
	s_barrier
	buffer_gl0_inv
	s_clause 0x27
	buffer_load_dword v8, off, s[0:3], 0 offset:180
	buffer_load_dword v124, off, s[0:3], 0 offset:188
	buffer_load_dword v125, off, s[0:3], 0 offset:196
	buffer_load_dword v126, off, s[0:3], 0 offset:204
	buffer_load_dword v127, off, s[0:3], 0 offset:212
	buffer_load_dword v128, off, s[0:3], 0 offset:220
	buffer_load_dword v129, off, s[0:3], 0 offset:228
	buffer_load_dword v130, off, s[0:3], 0 offset:236
	buffer_load_dword v131, off, s[0:3], 0 offset:244
	buffer_load_dword v132, off, s[0:3], 0 offset:252
	buffer_load_dword v133, off, s[0:3], 0 offset:260
	buffer_load_dword v134, off, s[0:3], 0 offset:268
	buffer_load_dword v135, off, s[0:3], 0 offset:276
	buffer_load_dword v136, off, s[0:3], 0 offset:284
	buffer_load_dword v137, off, s[0:3], 0 offset:292
	buffer_load_dword v138, off, s[0:3], 0 offset:300
	buffer_load_dword v139, off, s[0:3], 0 offset:308
	buffer_load_dword v140, off, s[0:3], 0 offset:316
	buffer_load_dword v141, off, s[0:3], 0 offset:324
	buffer_load_dword v142, off, s[0:3], 0 offset:176
	buffer_load_dword v143, off, s[0:3], 0 offset:184
	buffer_load_dword v144, off, s[0:3], 0 offset:192
	buffer_load_dword v145, off, s[0:3], 0 offset:200
	buffer_load_dword v146, off, s[0:3], 0 offset:208
	buffer_load_dword v147, off, s[0:3], 0 offset:216
	buffer_load_dword v148, off, s[0:3], 0 offset:224
	buffer_load_dword v149, off, s[0:3], 0 offset:232
	buffer_load_dword v150, off, s[0:3], 0 offset:240
	buffer_load_dword v151, off, s[0:3], 0 offset:248
	buffer_load_dword v152, off, s[0:3], 0 offset:256
	buffer_load_dword v153, off, s[0:3], 0 offset:264
	buffer_load_dword v154, off, s[0:3], 0 offset:272
	buffer_load_dword v155, off, s[0:3], 0 offset:280
	buffer_load_dword v156, off, s[0:3], 0 offset:288
	buffer_load_dword v157, off, s[0:3], 0 offset:296
	buffer_load_dword v158, off, s[0:3], 0 offset:304
	buffer_load_dword v159, off, s[0:3], 0 offset:312
	buffer_load_dword v160, off, s[0:3], 0 offset:320
	buffer_load_dword v161, off, s[0:3], 0 offset:168
	buffer_load_dword v162, off, s[0:3], 0 offset:172
	v_mov_b32_e32 v1, 0
	ds_read_b128 v[2:5], v1 offset:512
	ds_read_b128 v[92:95], v1 offset:528
	;; [unrolled: 1-line block ×9, first 2 shown]
	ds_read_b64 v[6:7], v1 offset:656
	s_mov_b32 s4, exec_lo
	s_waitcnt vmcnt(39) lgkmcnt(9)
	v_mul_f32_e32 v163, v2, v8
	v_mul_f32_e32 v8, v3, v8
	s_waitcnt vmcnt(38)
	v_mul_f32_e32 v164, v4, v124
	v_mul_f32_e32 v124, v5, v124
	s_waitcnt vmcnt(37) lgkmcnt(8)
	v_mul_f32_e32 v165, v92, v125
	s_waitcnt vmcnt(36)
	v_mul_f32_e32 v166, v94, v126
	s_waitcnt vmcnt(35) lgkmcnt(7)
	v_mul_f32_e32 v167, v96, v127
	s_waitcnt vmcnt(34)
	;; [unrolled: 4-line block ×8, first 2 shown]
	v_fma_f32 v2, v2, v142, -v8
	v_fmac_f32_e32 v163, v3, v142
	v_mul_f32_e32 v3, v93, v125
	s_waitcnt vmcnt(19)
	v_fma_f32 v4, v4, v143, -v124
	v_fmac_f32_e32 v164, v5, v143
	v_add_f32_e32 v2, 0, v2
	v_add_f32_e32 v5, 0, v163
	v_mul_f32_e32 v8, v95, v126
	s_waitcnt vmcnt(18)
	v_fma_f32 v3, v92, v144, -v3
	v_fmac_f32_e32 v165, v93, v144
	v_add_f32_e32 v2, v2, v4
	v_add_f32_e32 v4, v5, v164
	v_mul_f32_e32 v5, v97, v127
	s_waitcnt vmcnt(17)
	v_fma_f32 v8, v94, v145, -v8
	v_fmac_f32_e32 v166, v95, v145
	v_add_f32_e32 v2, v2, v3
	v_add_f32_e32 v3, v4, v165
	v_mul_f32_e32 v4, v99, v128
	s_waitcnt vmcnt(16)
	v_fma_f32 v5, v96, v146, -v5
	v_fmac_f32_e32 v167, v97, v146
	v_add_f32_e32 v2, v2, v8
	v_add_f32_e32 v3, v3, v166
	v_mul_f32_e32 v8, v101, v129
	s_waitcnt vmcnt(15)
	v_fma_f32 v4, v98, v147, -v4
	v_fmac_f32_e32 v168, v99, v147
	v_add_f32_e32 v2, v2, v5
	v_add_f32_e32 v3, v3, v167
	v_mul_f32_e32 v5, v103, v130
	s_waitcnt vmcnt(14)
	v_fma_f32 v8, v100, v148, -v8
	v_fmac_f32_e32 v169, v101, v148
	v_add_f32_e32 v2, v2, v4
	v_add_f32_e32 v3, v3, v168
	v_mul_f32_e32 v4, v105, v131
	s_waitcnt vmcnt(13)
	v_fma_f32 v5, v102, v149, -v5
	v_fmac_f32_e32 v170, v103, v149
	v_add_f32_e32 v2, v2, v8
	v_add_f32_e32 v3, v3, v169
	v_mul_f32_e32 v8, v107, v132
	s_waitcnt vmcnt(12)
	v_fma_f32 v4, v104, v150, -v4
	v_fmac_f32_e32 v171, v105, v150
	v_add_f32_e32 v2, v2, v5
	v_add_f32_e32 v3, v3, v170
	v_mul_f32_e32 v5, v109, v133
	s_waitcnt vmcnt(11)
	v_fma_f32 v8, v106, v151, -v8
	v_fmac_f32_e32 v172, v107, v151
	v_add_f32_e32 v2, v2, v4
	v_add_f32_e32 v3, v3, v171
	v_mul_f32_e32 v4, v111, v134
	s_waitcnt vmcnt(10)
	v_fma_f32 v5, v108, v152, -v5
	v_fmac_f32_e32 v173, v109, v152
	v_add_f32_e32 v2, v2, v8
	v_add_f32_e32 v3, v3, v172
	v_mul_f32_e32 v8, v113, v135
	s_waitcnt vmcnt(9)
	v_fma_f32 v4, v110, v153, -v4
	v_fmac_f32_e32 v174, v111, v153
	v_add_f32_e32 v2, v2, v5
	v_add_f32_e32 v3, v3, v173
	v_mul_f32_e32 v5, v115, v136
	s_waitcnt vmcnt(8)
	v_fma_f32 v8, v112, v154, -v8
	v_fmac_f32_e32 v175, v113, v154
	v_add_f32_e32 v2, v2, v4
	v_add_f32_e32 v3, v3, v174
	v_mul_f32_e32 v4, v117, v137
	s_waitcnt vmcnt(7)
	v_fma_f32 v5, v114, v155, -v5
	v_fmac_f32_e32 v176, v115, v155
	v_add_f32_e32 v2, v2, v8
	v_add_f32_e32 v3, v3, v175
	v_mul_f32_e32 v8, v119, v138
	s_waitcnt vmcnt(6)
	v_fma_f32 v4, v116, v156, -v4
	v_fmac_f32_e32 v177, v117, v156
	v_add_f32_e32 v2, v2, v5
	v_add_f32_e32 v3, v3, v176
	v_mul_f32_e32 v5, v121, v139
	s_waitcnt vmcnt(5)
	v_fma_f32 v8, v118, v157, -v8
	v_fmac_f32_e32 v178, v119, v157
	v_add_f32_e32 v2, v2, v4
	v_add_f32_e32 v3, v3, v177
	v_mul_f32_e32 v4, v123, v140
	s_waitcnt vmcnt(4)
	v_fma_f32 v5, v120, v158, -v5
	v_mul_f32_e32 v180, v122, v140
	v_add_f32_e32 v2, v2, v8
	v_fmac_f32_e32 v179, v121, v158
	v_add_f32_e32 v3, v3, v178
	s_waitcnt lgkmcnt(0)
	v_mul_f32_e32 v8, v7, v141
	s_waitcnt vmcnt(3)
	v_fma_f32 v4, v122, v159, -v4
	v_add_f32_e32 v2, v2, v5
	v_mul_f32_e32 v181, v6, v141
	v_fmac_f32_e32 v180, v123, v159
	v_add_f32_e32 v3, v3, v179
	s_waitcnt vmcnt(2)
	v_fma_f32 v5, v6, v160, -v8
	v_add_f32_e32 v2, v2, v4
	v_fmac_f32_e32 v181, v7, v160
	v_add_f32_e32 v3, v3, v180
	v_add_f32_e32 v2, v2, v5
	;; [unrolled: 1-line block ×3, first 2 shown]
	s_waitcnt vmcnt(1)
	v_sub_f32_e32 v2, v161, v2
	s_waitcnt vmcnt(0)
	v_sub_f32_e32 v3, v162, v3
	buffer_store_dword v2, off, s[0:3], 0 offset:168
	buffer_store_dword v3, off, s[0:3], 0 offset:172
	v_cmpx_lt_u32_e32 20, v0
	s_cbranch_execz .LBB40_219
; %bb.218:
	s_clause 0x1
	buffer_load_dword v2, off, s[0:3], 0 offset:160
	buffer_load_dword v3, off, s[0:3], 0 offset:164
	buffer_store_dword v1, off, s[0:3], 0 offset:160
	buffer_store_dword v1, off, s[0:3], 0 offset:164
	s_waitcnt vmcnt(0)
	ds_write_b64 v91, v[2:3]
.LBB40_219:
	s_or_b32 exec_lo, exec_lo, s4
	s_waitcnt lgkmcnt(0)
	s_waitcnt_vscnt null, 0x0
	s_barrier
	buffer_gl0_inv
	s_clause 0x29
	buffer_load_dword v6, off, s[0:3], 0 offset:172
	buffer_load_dword v7, off, s[0:3], 0 offset:180
	;; [unrolled: 1-line block ×42, first 2 shown]
	ds_read2_b64 v[2:5], v1 offset0:63 offset1:64
	ds_read2_b64 v[92:95], v1 offset0:65 offset1:66
	;; [unrolled: 1-line block ×10, first 2 shown]
	s_mov_b32 s4, exec_lo
	s_waitcnt vmcnt(41) lgkmcnt(9)
	v_mul_f32_e32 v1, v2, v6
	v_mul_f32_e32 v6, v3, v6
	s_waitcnt vmcnt(40)
	v_mul_f32_e32 v167, v4, v7
	v_mul_f32_e32 v7, v5, v7
	s_waitcnt vmcnt(39) lgkmcnt(8)
	v_mul_f32_e32 v168, v92, v8
	s_waitcnt vmcnt(38)
	v_mul_f32_e32 v169, v94, v128
	s_waitcnt vmcnt(37) lgkmcnt(7)
	v_mul_f32_e32 v170, v96, v129
	s_waitcnt vmcnt(36)
	;; [unrolled: 4-line block ×8, first 2 shown]
	v_mul_f32_e32 v183, v122, v142
	s_waitcnt vmcnt(21)
	v_fma_f32 v2, v2, v145, -v6
	v_fmac_f32_e32 v1, v3, v145
	v_mul_f32_e32 v3, v93, v8
	s_waitcnt vmcnt(20)
	v_fma_f32 v4, v4, v146, -v7
	v_fmac_f32_e32 v167, v5, v146
	v_add_f32_e32 v2, 0, v2
	v_add_f32_e32 v1, 0, v1
	v_mul_f32_e32 v5, v95, v128
	s_waitcnt vmcnt(19)
	v_fma_f32 v3, v92, v147, -v3
	v_fmac_f32_e32 v168, v93, v147
	v_add_f32_e32 v2, v2, v4
	v_add_f32_e32 v1, v1, v167
	;; [unrolled: 6-line block ×16, first 2 shown]
	s_waitcnt lgkmcnt(0)
	v_mul_f32_e32 v5, v125, v143
	s_waitcnt vmcnt(4)
	v_fma_f32 v3, v122, v162, -v3
	v_mul_f32_e32 v184, v124, v143
	v_add_f32_e32 v2, v2, v4
	v_fmac_f32_e32 v183, v123, v162
	v_add_f32_e32 v1, v1, v182
	v_mul_f32_e32 v4, v127, v144
	s_waitcnt vmcnt(3)
	v_fma_f32 v5, v124, v163, -v5
	v_add_f32_e32 v2, v2, v3
	v_mul_f32_e32 v185, v126, v144
	v_fmac_f32_e32 v184, v125, v163
	v_add_f32_e32 v1, v1, v183
	s_waitcnt vmcnt(2)
	v_fma_f32 v3, v126, v164, -v4
	v_add_f32_e32 v2, v2, v5
	v_fmac_f32_e32 v185, v127, v164
	v_add_f32_e32 v1, v1, v184
	v_add_f32_e32 v2, v2, v3
	;; [unrolled: 1-line block ×3, first 2 shown]
	s_waitcnt vmcnt(1)
	v_sub_f32_e32 v2, v165, v2
	s_waitcnt vmcnt(0)
	v_sub_f32_e32 v1, v166, v1
	buffer_store_dword v2, off, s[0:3], 0 offset:160
	buffer_store_dword v1, off, s[0:3], 0 offset:164
	v_cmpx_lt_u32_e32 19, v0
	s_cbranch_execz .LBB40_221
; %bb.220:
	s_clause 0x1
	buffer_load_dword v1, off, s[0:3], 0 offset:152
	buffer_load_dword v2, off, s[0:3], 0 offset:156
	v_mov_b32_e32 v3, 0
	buffer_store_dword v3, off, s[0:3], 0 offset:152
	buffer_store_dword v3, off, s[0:3], 0 offset:156
	s_waitcnt vmcnt(0)
	ds_write_b64 v91, v[1:2]
.LBB40_221:
	s_or_b32 exec_lo, exec_lo, s4
	s_waitcnt lgkmcnt(0)
	s_waitcnt_vscnt null, 0x0
	s_barrier
	buffer_gl0_inv
	s_clause 0x2b
	buffer_load_dword v8, off, s[0:3], 0 offset:164
	buffer_load_dword v128, off, s[0:3], 0 offset:172
	;; [unrolled: 1-line block ×44, first 2 shown]
	v_mov_b32_e32 v1, 0
	ds_read_b128 v[2:5], v1 offset:496
	ds_read_b128 v[92:95], v1 offset:512
	ds_read_b128 v[96:99], v1 offset:528
	ds_read_b128 v[100:103], v1 offset:544
	ds_read_b128 v[104:107], v1 offset:560
	ds_read_b128 v[108:111], v1 offset:576
	ds_read_b128 v[112:115], v1 offset:592
	ds_read_b128 v[116:119], v1 offset:608
	ds_read_b128 v[120:123], v1 offset:624
	ds_read_b128 v[124:127], v1 offset:640
	ds_read_b64 v[6:7], v1 offset:656
	s_mov_b32 s4, exec_lo
	s_waitcnt vmcnt(43) lgkmcnt(10)
	v_mul_f32_e32 v171, v2, v8
	v_mul_f32_e32 v8, v3, v8
	s_waitcnt vmcnt(42)
	v_mul_f32_e32 v172, v4, v128
	v_mul_f32_e32 v128, v5, v128
	s_waitcnt vmcnt(41) lgkmcnt(9)
	v_mul_f32_e32 v173, v92, v129
	s_waitcnt vmcnt(40)
	v_mul_f32_e32 v174, v94, v130
	s_waitcnt vmcnt(39) lgkmcnt(8)
	v_mul_f32_e32 v175, v96, v131
	s_waitcnt vmcnt(38)
	;; [unrolled: 4-line block ×9, first 2 shown]
	v_fma_f32 v2, v2, v148, -v8
	v_fmac_f32_e32 v171, v3, v148
	v_mul_f32_e32 v3, v93, v129
	s_waitcnt vmcnt(21)
	v_fma_f32 v4, v4, v149, -v128
	v_fmac_f32_e32 v172, v5, v149
	v_add_f32_e32 v2, 0, v2
	v_add_f32_e32 v5, 0, v171
	v_mul_f32_e32 v8, v95, v130
	s_waitcnt vmcnt(20)
	v_fma_f32 v3, v92, v150, -v3
	v_fmac_f32_e32 v173, v93, v150
	v_add_f32_e32 v2, v2, v4
	v_add_f32_e32 v4, v5, v172
	;; [unrolled: 6-line block ×17, first 2 shown]
	v_mul_f32_e32 v5, v127, v146
	s_waitcnt vmcnt(4)
	v_fma_f32 v8, v124, v166, -v8
	v_mul_f32_e32 v190, v126, v146
	v_add_f32_e32 v2, v2, v4
	v_fmac_f32_e32 v189, v125, v166
	v_add_f32_e32 v3, v3, v188
	s_waitcnt lgkmcnt(0)
	v_mul_f32_e32 v4, v7, v147
	s_waitcnt vmcnt(3)
	v_fma_f32 v5, v126, v167, -v5
	v_add_f32_e32 v2, v2, v8
	v_mul_f32_e32 v191, v6, v147
	v_fmac_f32_e32 v190, v127, v167
	v_add_f32_e32 v3, v3, v189
	s_waitcnt vmcnt(2)
	v_fma_f32 v4, v6, v168, -v4
	v_add_f32_e32 v2, v2, v5
	v_fmac_f32_e32 v191, v7, v168
	v_add_f32_e32 v3, v3, v190
	v_add_f32_e32 v2, v2, v4
	;; [unrolled: 1-line block ×3, first 2 shown]
	s_waitcnt vmcnt(1)
	v_sub_f32_e32 v2, v169, v2
	s_waitcnt vmcnt(0)
	v_sub_f32_e32 v3, v170, v3
	buffer_store_dword v2, off, s[0:3], 0 offset:152
	buffer_store_dword v3, off, s[0:3], 0 offset:156
	v_cmpx_lt_u32_e32 18, v0
	s_cbranch_execz .LBB40_223
; %bb.222:
	s_clause 0x1
	buffer_load_dword v2, off, s[0:3], 0 offset:144
	buffer_load_dword v3, off, s[0:3], 0 offset:148
	buffer_store_dword v1, off, s[0:3], 0 offset:144
	buffer_store_dword v1, off, s[0:3], 0 offset:148
	s_waitcnt vmcnt(0)
	ds_write_b64 v91, v[2:3]
.LBB40_223:
	s_or_b32 exec_lo, exec_lo, s4
	s_waitcnt lgkmcnt(0)
	s_waitcnt_vscnt null, 0x0
	s_barrier
	buffer_gl0_inv
	s_clause 0x2d
	buffer_load_dword v6, off, s[0:3], 0 offset:156
	buffer_load_dword v7, off, s[0:3], 0 offset:164
	;; [unrolled: 1-line block ×46, first 2 shown]
	ds_read2_b64 v[2:5], v1 offset0:61 offset1:62
	ds_read2_b64 v[92:95], v1 offset0:63 offset1:64
	;; [unrolled: 1-line block ×11, first 2 shown]
	s_mov_b32 s4, exec_lo
	s_waitcnt vmcnt(45) lgkmcnt(10)
	v_mul_f32_e32 v1, v2, v6
	v_mul_f32_e32 v6, v3, v6
	s_waitcnt vmcnt(44)
	v_mul_f32_e32 v175, v4, v7
	v_mul_f32_e32 v7, v5, v7
	s_waitcnt vmcnt(43) lgkmcnt(9)
	v_mul_f32_e32 v176, v92, v8
	s_waitcnt vmcnt(42)
	v_mul_f32_e32 v177, v94, v132
	s_waitcnt vmcnt(41) lgkmcnt(8)
	v_mul_f32_e32 v178, v96, v133
	s_waitcnt vmcnt(40)
	;; [unrolled: 4-line block ×9, first 2 shown]
	v_mul_f32_e32 v193, v126, v148
	s_waitcnt vmcnt(23)
	v_fma_f32 v2, v2, v151, -v6
	v_fmac_f32_e32 v1, v3, v151
	v_mul_f32_e32 v3, v93, v8
	s_waitcnt vmcnt(22)
	v_fma_f32 v4, v4, v152, -v7
	v_fmac_f32_e32 v175, v5, v152
	v_add_f32_e32 v2, 0, v2
	v_add_f32_e32 v1, 0, v1
	v_mul_f32_e32 v5, v95, v132
	s_waitcnt vmcnt(21)
	v_fma_f32 v3, v92, v153, -v3
	v_fmac_f32_e32 v176, v93, v153
	v_add_f32_e32 v2, v2, v4
	v_add_f32_e32 v1, v1, v175
	;; [unrolled: 6-line block ×18, first 2 shown]
	s_waitcnt lgkmcnt(0)
	v_mul_f32_e32 v3, v129, v149
	s_waitcnt vmcnt(4)
	v_fma_f32 v4, v126, v170, -v4
	v_mul_f32_e32 v194, v128, v149
	v_add_f32_e32 v2, v2, v5
	v_fmac_f32_e32 v193, v127, v170
	v_add_f32_e32 v1, v1, v192
	v_mul_f32_e32 v5, v131, v150
	s_waitcnt vmcnt(3)
	v_fma_f32 v3, v128, v171, -v3
	v_add_f32_e32 v2, v2, v4
	v_mul_f32_e32 v195, v130, v150
	v_fmac_f32_e32 v194, v129, v171
	v_add_f32_e32 v1, v1, v193
	s_waitcnt vmcnt(2)
	v_fma_f32 v4, v130, v172, -v5
	v_add_f32_e32 v2, v2, v3
	v_fmac_f32_e32 v195, v131, v172
	v_add_f32_e32 v1, v1, v194
	v_add_f32_e32 v2, v2, v4
	;; [unrolled: 1-line block ×3, first 2 shown]
	s_waitcnt vmcnt(1)
	v_sub_f32_e32 v2, v173, v2
	s_waitcnt vmcnt(0)
	v_sub_f32_e32 v1, v174, v1
	buffer_store_dword v2, off, s[0:3], 0 offset:144
	buffer_store_dword v1, off, s[0:3], 0 offset:148
	v_cmpx_lt_u32_e32 17, v0
	s_cbranch_execz .LBB40_225
; %bb.224:
	s_clause 0x1
	buffer_load_dword v1, off, s[0:3], 0 offset:136
	buffer_load_dword v2, off, s[0:3], 0 offset:140
	v_mov_b32_e32 v3, 0
	buffer_store_dword v3, off, s[0:3], 0 offset:136
	buffer_store_dword v3, off, s[0:3], 0 offset:140
	s_waitcnt vmcnt(0)
	ds_write_b64 v91, v[1:2]
.LBB40_225:
	s_or_b32 exec_lo, exec_lo, s4
	s_waitcnt lgkmcnt(0)
	s_waitcnt_vscnt null, 0x0
	s_barrier
	buffer_gl0_inv
	s_clause 0x2f
	buffer_load_dword v8, off, s[0:3], 0 offset:148
	buffer_load_dword v132, off, s[0:3], 0 offset:156
	;; [unrolled: 1-line block ×48, first 2 shown]
	v_mov_b32_e32 v1, 0
	ds_read_b128 v[2:5], v1 offset:480
	ds_read_b128 v[92:95], v1 offset:496
	;; [unrolled: 1-line block ×11, first 2 shown]
	ds_read_b64 v[6:7], v1 offset:656
	s_mov_b32 s4, exec_lo
	s_waitcnt vmcnt(47) lgkmcnt(11)
	v_mul_f32_e32 v179, v2, v8
	v_mul_f32_e32 v8, v3, v8
	s_waitcnt vmcnt(46)
	v_mul_f32_e32 v180, v4, v132
	v_mul_f32_e32 v132, v5, v132
	s_waitcnt vmcnt(45) lgkmcnt(10)
	v_mul_f32_e32 v181, v92, v133
	s_waitcnt vmcnt(44)
	v_mul_f32_e32 v182, v94, v134
	s_waitcnt vmcnt(43) lgkmcnt(9)
	v_mul_f32_e32 v183, v96, v135
	s_waitcnt vmcnt(42)
	;; [unrolled: 4-line block ×10, first 2 shown]
	v_fma_f32 v2, v2, v154, -v8
	v_fmac_f32_e32 v179, v3, v154
	v_mul_f32_e32 v3, v93, v133
	s_waitcnt vmcnt(23)
	v_fma_f32 v4, v4, v155, -v132
	v_fmac_f32_e32 v180, v5, v155
	v_add_f32_e32 v2, 0, v2
	v_add_f32_e32 v5, 0, v179
	v_mul_f32_e32 v8, v95, v134
	s_waitcnt vmcnt(22)
	v_fma_f32 v3, v92, v156, -v3
	v_fmac_f32_e32 v181, v93, v156
	v_add_f32_e32 v2, v2, v4
	v_add_f32_e32 v4, v5, v180
	;; [unrolled: 6-line block ×19, first 2 shown]
	v_mul_f32_e32 v8, v131, v152
	s_waitcnt vmcnt(4)
	v_fma_f32 v4, v128, v174, -v4
	v_mul_f32_e32 v200, v130, v152
	v_add_f32_e32 v2, v2, v5
	v_fmac_f32_e32 v199, v129, v174
	v_add_f32_e32 v3, v3, v198
	s_waitcnt lgkmcnt(0)
	v_mul_f32_e32 v5, v7, v153
	s_waitcnt vmcnt(3)
	v_fma_f32 v8, v130, v175, -v8
	v_add_f32_e32 v2, v2, v4
	v_mul_f32_e32 v201, v6, v153
	v_fmac_f32_e32 v200, v131, v175
	v_add_f32_e32 v3, v3, v199
	s_waitcnt vmcnt(2)
	v_fma_f32 v4, v6, v176, -v5
	v_add_f32_e32 v2, v2, v8
	v_fmac_f32_e32 v201, v7, v176
	v_add_f32_e32 v3, v3, v200
	v_add_f32_e32 v2, v2, v4
	;; [unrolled: 1-line block ×3, first 2 shown]
	s_waitcnt vmcnt(1)
	v_sub_f32_e32 v2, v177, v2
	s_waitcnt vmcnt(0)
	v_sub_f32_e32 v3, v178, v3
	buffer_store_dword v2, off, s[0:3], 0 offset:136
	buffer_store_dword v3, off, s[0:3], 0 offset:140
	v_cmpx_lt_u32_e32 16, v0
	s_cbranch_execz .LBB40_227
; %bb.226:
	s_clause 0x1
	buffer_load_dword v2, off, s[0:3], 0 offset:128
	buffer_load_dword v3, off, s[0:3], 0 offset:132
	buffer_store_dword v1, off, s[0:3], 0 offset:128
	buffer_store_dword v1, off, s[0:3], 0 offset:132
	s_waitcnt vmcnt(0)
	ds_write_b64 v91, v[2:3]
.LBB40_227:
	s_or_b32 exec_lo, exec_lo, s4
	s_waitcnt lgkmcnt(0)
	s_waitcnt_vscnt null, 0x0
	s_barrier
	buffer_gl0_inv
	s_clause 0x31
	buffer_load_dword v6, off, s[0:3], 0 offset:140
	buffer_load_dword v7, off, s[0:3], 0 offset:148
	;; [unrolled: 1-line block ×50, first 2 shown]
	ds_read2_b64 v[2:5], v1 offset0:59 offset1:60
	ds_read2_b64 v[92:95], v1 offset0:61 offset1:62
	;; [unrolled: 1-line block ×12, first 2 shown]
	s_mov_b32 s4, exec_lo
	s_waitcnt vmcnt(49) lgkmcnt(11)
	v_mul_f32_e32 v1, v2, v6
	v_mul_f32_e32 v6, v3, v6
	s_waitcnt vmcnt(48)
	v_mul_f32_e32 v183, v4, v7
	v_mul_f32_e32 v7, v5, v7
	s_waitcnt vmcnt(47) lgkmcnt(10)
	v_mul_f32_e32 v184, v92, v8
	s_waitcnt vmcnt(46)
	v_mul_f32_e32 v185, v94, v136
	s_waitcnt vmcnt(45) lgkmcnt(9)
	v_mul_f32_e32 v186, v96, v137
	s_waitcnt vmcnt(44)
	;; [unrolled: 4-line block ×10, first 2 shown]
	v_mul_f32_e32 v203, v130, v154
	s_waitcnt vmcnt(25)
	v_fma_f32 v2, v2, v157, -v6
	v_fmac_f32_e32 v1, v3, v157
	v_mul_f32_e32 v3, v93, v8
	s_waitcnt vmcnt(24)
	v_fma_f32 v4, v4, v158, -v7
	v_fmac_f32_e32 v183, v5, v158
	v_add_f32_e32 v2, 0, v2
	v_add_f32_e32 v1, 0, v1
	v_mul_f32_e32 v5, v95, v136
	s_waitcnt vmcnt(23)
	v_fma_f32 v3, v92, v159, -v3
	v_fmac_f32_e32 v184, v93, v159
	v_add_f32_e32 v2, v2, v4
	v_add_f32_e32 v1, v1, v183
	;; [unrolled: 6-line block ×20, first 2 shown]
	s_waitcnt lgkmcnt(0)
	v_mul_f32_e32 v4, v133, v155
	s_waitcnt vmcnt(4)
	v_fma_f32 v5, v130, v178, -v5
	v_mul_f32_e32 v204, v132, v155
	v_add_f32_e32 v2, v2, v3
	v_fmac_f32_e32 v203, v131, v178
	v_add_f32_e32 v1, v1, v202
	v_mul_f32_e32 v3, v135, v156
	s_waitcnt vmcnt(3)
	v_fma_f32 v4, v132, v179, -v4
	v_add_f32_e32 v2, v2, v5
	v_mul_f32_e32 v205, v134, v156
	v_fmac_f32_e32 v204, v133, v179
	v_add_f32_e32 v1, v1, v203
	s_waitcnt vmcnt(2)
	v_fma_f32 v3, v134, v180, -v3
	v_add_f32_e32 v2, v2, v4
	v_fmac_f32_e32 v205, v135, v180
	v_add_f32_e32 v1, v1, v204
	v_add_f32_e32 v2, v2, v3
	;; [unrolled: 1-line block ×3, first 2 shown]
	s_waitcnt vmcnt(1)
	v_sub_f32_e32 v2, v181, v2
	s_waitcnt vmcnt(0)
	v_sub_f32_e32 v1, v182, v1
	buffer_store_dword v2, off, s[0:3], 0 offset:128
	buffer_store_dword v1, off, s[0:3], 0 offset:132
	v_cmpx_lt_u32_e32 15, v0
	s_cbranch_execz .LBB40_229
; %bb.228:
	s_clause 0x1
	buffer_load_dword v1, off, s[0:3], 0 offset:120
	buffer_load_dword v2, off, s[0:3], 0 offset:124
	v_mov_b32_e32 v3, 0
	buffer_store_dword v3, off, s[0:3], 0 offset:120
	buffer_store_dword v3, off, s[0:3], 0 offset:124
	s_waitcnt vmcnt(0)
	ds_write_b64 v91, v[1:2]
.LBB40_229:
	s_or_b32 exec_lo, exec_lo, s4
	s_waitcnt lgkmcnt(0)
	s_waitcnt_vscnt null, 0x0
	s_barrier
	buffer_gl0_inv
	s_clause 0x33
	buffer_load_dword v8, off, s[0:3], 0 offset:132
	buffer_load_dword v136, off, s[0:3], 0 offset:140
	;; [unrolled: 1-line block ×52, first 2 shown]
	v_mov_b32_e32 v1, 0
	ds_read_b128 v[2:5], v1 offset:464
	ds_read_b128 v[92:95], v1 offset:480
	;; [unrolled: 1-line block ×12, first 2 shown]
	ds_read_b64 v[6:7], v1 offset:656
	s_mov_b32 s4, exec_lo
	s_waitcnt vmcnt(51) lgkmcnt(12)
	v_mul_f32_e32 v187, v2, v8
	v_mul_f32_e32 v8, v3, v8
	s_waitcnt vmcnt(50)
	v_mul_f32_e32 v188, v4, v136
	v_mul_f32_e32 v136, v5, v136
	s_waitcnt vmcnt(49) lgkmcnt(11)
	v_mul_f32_e32 v189, v92, v137
	s_waitcnt vmcnt(48)
	v_mul_f32_e32 v190, v94, v138
	s_waitcnt vmcnt(47) lgkmcnt(10)
	v_mul_f32_e32 v191, v96, v139
	s_waitcnt vmcnt(46)
	;; [unrolled: 4-line block ×11, first 2 shown]
	v_fma_f32 v2, v2, v160, -v8
	v_fmac_f32_e32 v187, v3, v160
	v_mul_f32_e32 v3, v93, v137
	s_waitcnt vmcnt(25)
	v_fma_f32 v4, v4, v161, -v136
	v_fmac_f32_e32 v188, v5, v161
	v_add_f32_e32 v2, 0, v2
	v_add_f32_e32 v5, 0, v187
	v_mul_f32_e32 v8, v95, v138
	s_waitcnt vmcnt(24)
	v_fma_f32 v3, v92, v162, -v3
	v_fmac_f32_e32 v189, v93, v162
	v_add_f32_e32 v2, v2, v4
	v_add_f32_e32 v4, v5, v188
	;; [unrolled: 6-line block ×21, first 2 shown]
	v_mul_f32_e32 v4, v135, v158
	s_waitcnt vmcnt(4)
	v_fma_f32 v5, v132, v182, -v5
	v_mul_f32_e32 v210, v134, v158
	v_add_f32_e32 v2, v2, v8
	v_fmac_f32_e32 v209, v133, v182
	v_add_f32_e32 v3, v3, v208
	s_waitcnt lgkmcnt(0)
	v_mul_f32_e32 v8, v7, v159
	s_waitcnt vmcnt(3)
	v_fma_f32 v4, v134, v183, -v4
	v_add_f32_e32 v2, v2, v5
	v_mul_f32_e32 v211, v6, v159
	v_fmac_f32_e32 v210, v135, v183
	v_add_f32_e32 v3, v3, v209
	s_waitcnt vmcnt(2)
	v_fma_f32 v5, v6, v184, -v8
	v_add_f32_e32 v2, v2, v4
	v_fmac_f32_e32 v211, v7, v184
	v_add_f32_e32 v3, v3, v210
	v_add_f32_e32 v2, v2, v5
	;; [unrolled: 1-line block ×3, first 2 shown]
	s_waitcnt vmcnt(1)
	v_sub_f32_e32 v2, v185, v2
	s_waitcnt vmcnt(0)
	v_sub_f32_e32 v3, v186, v3
	buffer_store_dword v2, off, s[0:3], 0 offset:120
	buffer_store_dword v3, off, s[0:3], 0 offset:124
	v_cmpx_lt_u32_e32 14, v0
	s_cbranch_execz .LBB40_231
; %bb.230:
	s_clause 0x1
	buffer_load_dword v2, off, s[0:3], 0 offset:112
	buffer_load_dword v3, off, s[0:3], 0 offset:116
	buffer_store_dword v1, off, s[0:3], 0 offset:112
	buffer_store_dword v1, off, s[0:3], 0 offset:116
	s_waitcnt vmcnt(0)
	ds_write_b64 v91, v[2:3]
.LBB40_231:
	s_or_b32 exec_lo, exec_lo, s4
	s_waitcnt lgkmcnt(0)
	s_waitcnt_vscnt null, 0x0
	s_barrier
	buffer_gl0_inv
	s_clause 0x35
	buffer_load_dword v6, off, s[0:3], 0 offset:124
	buffer_load_dword v7, off, s[0:3], 0 offset:132
	;; [unrolled: 1-line block ×54, first 2 shown]
	ds_read2_b64 v[2:5], v1 offset0:57 offset1:58
	ds_read2_b64 v[92:95], v1 offset0:59 offset1:60
	;; [unrolled: 1-line block ×13, first 2 shown]
	s_mov_b32 s4, exec_lo
	s_waitcnt vmcnt(53) lgkmcnt(12)
	v_mul_f32_e32 v1, v2, v6
	v_mul_f32_e32 v6, v3, v6
	s_waitcnt vmcnt(52)
	v_mul_f32_e32 v191, v4, v7
	v_mul_f32_e32 v7, v5, v7
	s_waitcnt vmcnt(51) lgkmcnt(11)
	v_mul_f32_e32 v192, v92, v8
	s_waitcnt vmcnt(50)
	v_mul_f32_e32 v193, v94, v140
	s_waitcnt vmcnt(49) lgkmcnt(10)
	v_mul_f32_e32 v194, v96, v141
	s_waitcnt vmcnt(48)
	;; [unrolled: 4-line block ×11, first 2 shown]
	v_mul_f32_e32 v213, v134, v160
	s_waitcnt vmcnt(27)
	v_fma_f32 v2, v2, v163, -v6
	v_fmac_f32_e32 v1, v3, v163
	v_mul_f32_e32 v3, v93, v8
	s_waitcnt vmcnt(26)
	v_fma_f32 v4, v4, v164, -v7
	v_fmac_f32_e32 v191, v5, v164
	v_add_f32_e32 v2, 0, v2
	v_add_f32_e32 v1, 0, v1
	v_mul_f32_e32 v5, v95, v140
	s_waitcnt vmcnt(25)
	v_fma_f32 v3, v92, v165, -v3
	v_fmac_f32_e32 v192, v93, v165
	v_add_f32_e32 v2, v2, v4
	v_add_f32_e32 v1, v1, v191
	;; [unrolled: 6-line block ×22, first 2 shown]
	s_waitcnt lgkmcnt(0)
	v_mul_f32_e32 v5, v137, v161
	s_waitcnt vmcnt(4)
	v_fma_f32 v3, v134, v186, -v3
	v_mul_f32_e32 v214, v136, v161
	v_add_f32_e32 v2, v2, v4
	v_fmac_f32_e32 v213, v135, v186
	v_add_f32_e32 v1, v1, v212
	v_mul_f32_e32 v4, v139, v162
	s_waitcnt vmcnt(3)
	v_fma_f32 v5, v136, v187, -v5
	v_add_f32_e32 v2, v2, v3
	v_mul_f32_e32 v215, v138, v162
	v_fmac_f32_e32 v214, v137, v187
	v_add_f32_e32 v1, v1, v213
	s_waitcnt vmcnt(2)
	v_fma_f32 v3, v138, v188, -v4
	v_add_f32_e32 v2, v2, v5
	v_fmac_f32_e32 v215, v139, v188
	v_add_f32_e32 v1, v1, v214
	v_add_f32_e32 v2, v2, v3
	;; [unrolled: 1-line block ×3, first 2 shown]
	s_waitcnt vmcnt(1)
	v_sub_f32_e32 v2, v189, v2
	s_waitcnt vmcnt(0)
	v_sub_f32_e32 v1, v190, v1
	buffer_store_dword v2, off, s[0:3], 0 offset:112
	buffer_store_dword v1, off, s[0:3], 0 offset:116
	v_cmpx_lt_u32_e32 13, v0
	s_cbranch_execz .LBB40_233
; %bb.232:
	s_clause 0x1
	buffer_load_dword v1, off, s[0:3], 0 offset:104
	buffer_load_dword v2, off, s[0:3], 0 offset:108
	v_mov_b32_e32 v3, 0
	buffer_store_dword v3, off, s[0:3], 0 offset:104
	buffer_store_dword v3, off, s[0:3], 0 offset:108
	s_waitcnt vmcnt(0)
	ds_write_b64 v91, v[1:2]
.LBB40_233:
	s_or_b32 exec_lo, exec_lo, s4
	s_waitcnt lgkmcnt(0)
	s_waitcnt_vscnt null, 0x0
	s_barrier
	buffer_gl0_inv
	s_clause 0x37
	buffer_load_dword v8, off, s[0:3], 0 offset:116
	buffer_load_dword v140, off, s[0:3], 0 offset:124
	;; [unrolled: 1-line block ×56, first 2 shown]
	v_mov_b32_e32 v1, 0
	ds_read_b128 v[2:5], v1 offset:448
	ds_read_b128 v[92:95], v1 offset:464
	;; [unrolled: 1-line block ×13, first 2 shown]
	ds_read_b64 v[6:7], v1 offset:656
	s_mov_b32 s4, exec_lo
	s_waitcnt vmcnt(55) lgkmcnt(13)
	v_mul_f32_e32 v195, v2, v8
	v_mul_f32_e32 v8, v3, v8
	s_waitcnt vmcnt(54)
	v_mul_f32_e32 v196, v4, v140
	v_mul_f32_e32 v140, v5, v140
	s_waitcnt vmcnt(53) lgkmcnt(12)
	v_mul_f32_e32 v197, v92, v141
	s_waitcnt vmcnt(52)
	v_mul_f32_e32 v198, v94, v142
	s_waitcnt vmcnt(51) lgkmcnt(11)
	v_mul_f32_e32 v199, v96, v143
	s_waitcnt vmcnt(50)
	;; [unrolled: 4-line block ×12, first 2 shown]
	v_fma_f32 v2, v2, v166, -v8
	v_fmac_f32_e32 v195, v3, v166
	v_mul_f32_e32 v3, v93, v141
	s_waitcnt vmcnt(27)
	v_fma_f32 v4, v4, v167, -v140
	v_fmac_f32_e32 v196, v5, v167
	v_add_f32_e32 v2, 0, v2
	v_add_f32_e32 v5, 0, v195
	v_mul_f32_e32 v8, v95, v142
	s_waitcnt vmcnt(26)
	v_fma_f32 v3, v92, v168, -v3
	v_fmac_f32_e32 v197, v93, v168
	v_add_f32_e32 v2, v2, v4
	v_add_f32_e32 v4, v5, v196
	;; [unrolled: 6-line block ×23, first 2 shown]
	v_mul_f32_e32 v5, v139, v164
	s_waitcnt vmcnt(4)
	v_fma_f32 v8, v136, v190, -v8
	v_mul_f32_e32 v220, v138, v164
	v_add_f32_e32 v2, v2, v4
	v_fmac_f32_e32 v219, v137, v190
	v_add_f32_e32 v3, v3, v218
	s_waitcnt lgkmcnt(0)
	v_mul_f32_e32 v4, v7, v165
	s_waitcnt vmcnt(3)
	v_fma_f32 v5, v138, v191, -v5
	v_add_f32_e32 v2, v2, v8
	v_mul_f32_e32 v221, v6, v165
	v_fmac_f32_e32 v220, v139, v191
	v_add_f32_e32 v3, v3, v219
	s_waitcnt vmcnt(2)
	v_fma_f32 v4, v6, v192, -v4
	v_add_f32_e32 v2, v2, v5
	v_fmac_f32_e32 v221, v7, v192
	v_add_f32_e32 v3, v3, v220
	v_add_f32_e32 v2, v2, v4
	;; [unrolled: 1-line block ×3, first 2 shown]
	s_waitcnt vmcnt(1)
	v_sub_f32_e32 v2, v193, v2
	s_waitcnt vmcnt(0)
	v_sub_f32_e32 v3, v194, v3
	buffer_store_dword v2, off, s[0:3], 0 offset:104
	buffer_store_dword v3, off, s[0:3], 0 offset:108
	v_cmpx_lt_u32_e32 12, v0
	s_cbranch_execz .LBB40_235
; %bb.234:
	s_clause 0x1
	buffer_load_dword v2, off, s[0:3], 0 offset:96
	buffer_load_dword v3, off, s[0:3], 0 offset:100
	buffer_store_dword v1, off, s[0:3], 0 offset:96
	buffer_store_dword v1, off, s[0:3], 0 offset:100
	s_waitcnt vmcnt(0)
	ds_write_b64 v91, v[2:3]
.LBB40_235:
	s_or_b32 exec_lo, exec_lo, s4
	s_waitcnt lgkmcnt(0)
	s_waitcnt_vscnt null, 0x0
	s_barrier
	buffer_gl0_inv
	s_clause 0x39
	buffer_load_dword v6, off, s[0:3], 0 offset:108
	buffer_load_dword v7, off, s[0:3], 0 offset:116
	;; [unrolled: 1-line block ×58, first 2 shown]
	ds_read2_b64 v[2:5], v1 offset0:55 offset1:56
	ds_read2_b64 v[92:95], v1 offset0:57 offset1:58
	;; [unrolled: 1-line block ×14, first 2 shown]
	s_mov_b32 s4, exec_lo
	s_waitcnt vmcnt(57) lgkmcnt(13)
	v_mul_f32_e32 v1, v2, v6
	v_mul_f32_e32 v6, v3, v6
	s_waitcnt vmcnt(56)
	v_mul_f32_e32 v199, v4, v7
	v_mul_f32_e32 v7, v5, v7
	s_waitcnt vmcnt(55) lgkmcnt(12)
	v_mul_f32_e32 v200, v92, v8
	s_waitcnt vmcnt(54)
	v_mul_f32_e32 v201, v94, v144
	s_waitcnt vmcnt(53) lgkmcnt(11)
	v_mul_f32_e32 v202, v96, v145
	s_waitcnt vmcnt(52)
	;; [unrolled: 4-line block ×12, first 2 shown]
	v_mul_f32_e32 v223, v138, v166
	s_waitcnt vmcnt(29)
	v_fma_f32 v2, v2, v169, -v6
	v_fmac_f32_e32 v1, v3, v169
	v_mul_f32_e32 v3, v93, v8
	s_waitcnt vmcnt(28)
	v_fma_f32 v4, v4, v170, -v7
	v_fmac_f32_e32 v199, v5, v170
	v_add_f32_e32 v2, 0, v2
	v_add_f32_e32 v1, 0, v1
	v_mul_f32_e32 v5, v95, v144
	s_waitcnt vmcnt(27)
	v_fma_f32 v3, v92, v171, -v3
	v_fmac_f32_e32 v200, v93, v171
	v_add_f32_e32 v2, v2, v4
	v_add_f32_e32 v1, v1, v199
	;; [unrolled: 6-line block ×24, first 2 shown]
	s_waitcnt lgkmcnt(0)
	v_mul_f32_e32 v3, v141, v167
	s_waitcnt vmcnt(4)
	v_fma_f32 v4, v138, v194, -v4
	v_mul_f32_e32 v224, v140, v167
	v_add_f32_e32 v2, v2, v5
	v_fmac_f32_e32 v223, v139, v194
	v_add_f32_e32 v1, v1, v222
	v_mul_f32_e32 v5, v143, v168
	s_waitcnt vmcnt(3)
	v_fma_f32 v3, v140, v195, -v3
	v_add_f32_e32 v2, v2, v4
	v_mul_f32_e32 v225, v142, v168
	v_fmac_f32_e32 v224, v141, v195
	v_add_f32_e32 v1, v1, v223
	s_waitcnt vmcnt(2)
	v_fma_f32 v4, v142, v196, -v5
	v_add_f32_e32 v2, v2, v3
	v_fmac_f32_e32 v225, v143, v196
	v_add_f32_e32 v1, v1, v224
	v_add_f32_e32 v2, v2, v4
	;; [unrolled: 1-line block ×3, first 2 shown]
	s_waitcnt vmcnt(1)
	v_sub_f32_e32 v2, v197, v2
	s_waitcnt vmcnt(0)
	v_sub_f32_e32 v1, v198, v1
	buffer_store_dword v2, off, s[0:3], 0 offset:96
	buffer_store_dword v1, off, s[0:3], 0 offset:100
	v_cmpx_lt_u32_e32 11, v0
	s_cbranch_execz .LBB40_237
; %bb.236:
	s_clause 0x1
	buffer_load_dword v1, off, s[0:3], 0 offset:88
	buffer_load_dword v2, off, s[0:3], 0 offset:92
	v_mov_b32_e32 v3, 0
	buffer_store_dword v3, off, s[0:3], 0 offset:88
	buffer_store_dword v3, off, s[0:3], 0 offset:92
	s_waitcnt vmcnt(0)
	ds_write_b64 v91, v[1:2]
.LBB40_237:
	s_or_b32 exec_lo, exec_lo, s4
	s_waitcnt lgkmcnt(0)
	s_waitcnt_vscnt null, 0x0
	s_barrier
	buffer_gl0_inv
	s_clause 0x3b
	buffer_load_dword v8, off, s[0:3], 0 offset:100
	buffer_load_dword v144, off, s[0:3], 0 offset:108
	;; [unrolled: 1-line block ×60, first 2 shown]
	v_mov_b32_e32 v1, 0
	ds_read_b128 v[2:5], v1 offset:432
	ds_read_b128 v[92:95], v1 offset:448
	;; [unrolled: 1-line block ×14, first 2 shown]
	ds_read_b64 v[6:7], v1 offset:656
	s_mov_b32 s4, exec_lo
	s_waitcnt vmcnt(59) lgkmcnt(14)
	v_mul_f32_e32 v203, v2, v8
	v_mul_f32_e32 v8, v3, v8
	s_waitcnt vmcnt(58)
	v_mul_f32_e32 v204, v4, v144
	v_mul_f32_e32 v144, v5, v144
	s_waitcnt vmcnt(57) lgkmcnt(13)
	v_mul_f32_e32 v205, v92, v145
	s_waitcnt vmcnt(56)
	v_mul_f32_e32 v206, v94, v146
	s_waitcnt vmcnt(55) lgkmcnt(12)
	v_mul_f32_e32 v207, v96, v147
	s_waitcnt vmcnt(54)
	;; [unrolled: 4-line block ×13, first 2 shown]
	v_fma_f32 v2, v2, v172, -v8
	v_fmac_f32_e32 v203, v3, v172
	v_mul_f32_e32 v3, v93, v145
	s_waitcnt vmcnt(29)
	v_fma_f32 v4, v4, v173, -v144
	v_fmac_f32_e32 v204, v5, v173
	v_add_f32_e32 v2, 0, v2
	v_add_f32_e32 v5, 0, v203
	v_mul_f32_e32 v8, v95, v146
	s_waitcnt vmcnt(28)
	v_fma_f32 v3, v92, v174, -v3
	v_fmac_f32_e32 v205, v93, v174
	v_add_f32_e32 v2, v2, v4
	v_add_f32_e32 v4, v5, v204
	;; [unrolled: 6-line block ×25, first 2 shown]
	v_mul_f32_e32 v8, v143, v170
	s_waitcnt vmcnt(4)
	v_fma_f32 v4, v140, v198, -v4
	v_mul_f32_e32 v230, v142, v170
	v_add_f32_e32 v2, v2, v5
	v_fmac_f32_e32 v229, v141, v198
	v_add_f32_e32 v3, v3, v228
	s_waitcnt lgkmcnt(0)
	v_mul_f32_e32 v5, v7, v171
	s_waitcnt vmcnt(3)
	v_fma_f32 v8, v142, v199, -v8
	v_add_f32_e32 v2, v2, v4
	v_mul_f32_e32 v231, v6, v171
	v_fmac_f32_e32 v230, v143, v199
	v_add_f32_e32 v3, v3, v229
	s_waitcnt vmcnt(2)
	v_fma_f32 v4, v6, v200, -v5
	v_add_f32_e32 v2, v2, v8
	v_fmac_f32_e32 v231, v7, v200
	v_add_f32_e32 v3, v3, v230
	v_add_f32_e32 v2, v2, v4
	;; [unrolled: 1-line block ×3, first 2 shown]
	s_waitcnt vmcnt(1)
	v_sub_f32_e32 v2, v201, v2
	s_waitcnt vmcnt(0)
	v_sub_f32_e32 v3, v202, v3
	buffer_store_dword v2, off, s[0:3], 0 offset:88
	buffer_store_dword v3, off, s[0:3], 0 offset:92
	v_cmpx_lt_u32_e32 10, v0
	s_cbranch_execz .LBB40_239
; %bb.238:
	s_clause 0x1
	buffer_load_dword v2, off, s[0:3], 0 offset:80
	buffer_load_dword v3, off, s[0:3], 0 offset:84
	buffer_store_dword v1, off, s[0:3], 0 offset:80
	buffer_store_dword v1, off, s[0:3], 0 offset:84
	s_waitcnt vmcnt(0)
	ds_write_b64 v91, v[2:3]
.LBB40_239:
	s_or_b32 exec_lo, exec_lo, s4
	s_waitcnt lgkmcnt(0)
	s_waitcnt_vscnt null, 0x0
	s_barrier
	buffer_gl0_inv
	s_clause 0x3d
	buffer_load_dword v6, off, s[0:3], 0 offset:92
	buffer_load_dword v7, off, s[0:3], 0 offset:100
	;; [unrolled: 1-line block ×62, first 2 shown]
	ds_read2_b64 v[2:5], v1 offset0:53 offset1:54
	ds_read2_b64 v[92:95], v1 offset0:55 offset1:56
	;; [unrolled: 1-line block ×15, first 2 shown]
	s_mov_b32 s4, exec_lo
	s_waitcnt vmcnt(61) lgkmcnt(14)
	v_mul_f32_e32 v1, v2, v6
	v_mul_f32_e32 v6, v3, v6
	s_waitcnt vmcnt(60)
	v_mul_f32_e32 v207, v4, v7
	v_mul_f32_e32 v7, v5, v7
	s_waitcnt vmcnt(59) lgkmcnt(13)
	v_mul_f32_e32 v208, v92, v8
	s_waitcnt vmcnt(58)
	v_mul_f32_e32 v209, v94, v148
	s_waitcnt vmcnt(57) lgkmcnt(12)
	v_mul_f32_e32 v210, v96, v149
	s_waitcnt vmcnt(56)
	v_mul_f32_e32 v211, v98, v150
	s_waitcnt vmcnt(55) lgkmcnt(11)
	v_mul_f32_e32 v212, v100, v151
	s_waitcnt vmcnt(54)
	v_mul_f32_e32 v213, v102, v152
	s_waitcnt vmcnt(53) lgkmcnt(10)
	v_mul_f32_e32 v214, v104, v153
	s_waitcnt vmcnt(52)
	v_mul_f32_e32 v215, v106, v154
	s_waitcnt vmcnt(51) lgkmcnt(9)
	v_mul_f32_e32 v216, v108, v155
	s_waitcnt vmcnt(50)
	v_mul_f32_e32 v217, v110, v156
	s_waitcnt vmcnt(49) lgkmcnt(8)
	v_mul_f32_e32 v218, v112, v157
	s_waitcnt vmcnt(48)
	v_mul_f32_e32 v219, v114, v158
	s_waitcnt vmcnt(47) lgkmcnt(7)
	v_mul_f32_e32 v220, v116, v159
	s_waitcnt vmcnt(46)
	v_mul_f32_e32 v221, v118, v160
	s_waitcnt vmcnt(45) lgkmcnt(6)
	v_mul_f32_e32 v222, v120, v161
	s_waitcnt vmcnt(44)
	v_mul_f32_e32 v223, v122, v162
	s_waitcnt vmcnt(43) lgkmcnt(5)
	v_mul_f32_e32 v224, v124, v163
	s_waitcnt vmcnt(42)
	v_mul_f32_e32 v225, v126, v164
	s_waitcnt vmcnt(41) lgkmcnt(4)
	v_mul_f32_e32 v226, v128, v165
	s_waitcnt vmcnt(40)
	v_mul_f32_e32 v227, v130, v166
	s_waitcnt vmcnt(39) lgkmcnt(3)
	v_mul_f32_e32 v228, v132, v167
	s_waitcnt vmcnt(38)
	v_mul_f32_e32 v229, v134, v168
	s_waitcnt vmcnt(37) lgkmcnt(2)
	v_mul_f32_e32 v230, v136, v169
	s_waitcnt vmcnt(36)
	v_mul_f32_e32 v231, v138, v170
	s_waitcnt vmcnt(35) lgkmcnt(1)
	v_mul_f32_e32 v232, v140, v171
	s_waitcnt vmcnt(34)
	v_mul_f32_e32 v233, v142, v172
	s_waitcnt vmcnt(31)
	v_fma_f32 v2, v2, v175, -v6
	v_fmac_f32_e32 v1, v3, v175
	v_mul_f32_e32 v3, v93, v8
	s_waitcnt vmcnt(30)
	v_fma_f32 v4, v4, v176, -v7
	v_fmac_f32_e32 v207, v5, v176
	v_add_f32_e32 v2, 0, v2
	v_add_f32_e32 v1, 0, v1
	v_mul_f32_e32 v5, v95, v148
	s_waitcnt vmcnt(29)
	v_fma_f32 v3, v92, v177, -v3
	v_fmac_f32_e32 v208, v93, v177
	v_add_f32_e32 v2, v2, v4
	v_add_f32_e32 v1, v1, v207
	;; [unrolled: 6-line block ×26, first 2 shown]
	s_waitcnt lgkmcnt(0)
	v_mul_f32_e32 v4, v145, v173
	s_waitcnt vmcnt(4)
	v_fma_f32 v5, v142, v202, -v5
	v_mul_f32_e32 v234, v144, v173
	v_add_f32_e32 v2, v2, v3
	v_fmac_f32_e32 v233, v143, v202
	v_add_f32_e32 v1, v1, v232
	v_mul_f32_e32 v3, v147, v174
	s_waitcnt vmcnt(3)
	v_fma_f32 v4, v144, v203, -v4
	v_add_f32_e32 v2, v2, v5
	v_mul_f32_e32 v235, v146, v174
	v_fmac_f32_e32 v234, v145, v203
	v_add_f32_e32 v1, v1, v233
	s_waitcnt vmcnt(2)
	v_fma_f32 v3, v146, v204, -v3
	v_add_f32_e32 v2, v2, v4
	v_fmac_f32_e32 v235, v147, v204
	v_add_f32_e32 v1, v1, v234
	v_add_f32_e32 v2, v2, v3
	;; [unrolled: 1-line block ×3, first 2 shown]
	s_waitcnt vmcnt(1)
	v_sub_f32_e32 v2, v205, v2
	s_waitcnt vmcnt(0)
	v_sub_f32_e32 v1, v206, v1
	buffer_store_dword v2, off, s[0:3], 0 offset:80
	buffer_store_dword v1, off, s[0:3], 0 offset:84
	v_cmpx_lt_u32_e32 9, v0
	s_cbranch_execz .LBB40_241
; %bb.240:
	s_clause 0x1
	buffer_load_dword v1, off, s[0:3], 0 offset:72
	buffer_load_dword v2, off, s[0:3], 0 offset:76
	v_mov_b32_e32 v3, 0
	buffer_store_dword v3, off, s[0:3], 0 offset:72
	buffer_store_dword v3, off, s[0:3], 0 offset:76
	s_waitcnt vmcnt(0)
	ds_write_b64 v91, v[1:2]
.LBB40_241:
	s_or_b32 exec_lo, exec_lo, s4
	s_waitcnt lgkmcnt(0)
	s_waitcnt_vscnt null, 0x0
	s_barrier
	buffer_gl0_inv
	s_clause 0x3e
	buffer_load_dword v8, off, s[0:3], 0 offset:84
	buffer_load_dword v148, off, s[0:3], 0 offset:92
	;; [unrolled: 1-line block ×64, first 2 shown]
	v_mov_b32_e32 v1, 0
	ds_read_b128 v[2:5], v1 offset:416
	ds_read_b128 v[92:95], v1 offset:432
	;; [unrolled: 1-line block ×15, first 2 shown]
	ds_read_b64 v[6:7], v1 offset:656
	s_mov_b32 s4, exec_lo
	s_waitcnt vmcnt(62) lgkmcnt(15)
	v_mul_f32_e32 v211, v2, v8
	v_mul_f32_e32 v8, v3, v8
	;; [unrolled: 1-line block ×4, first 2 shown]
	s_waitcnt vmcnt(61) lgkmcnt(14)
	v_mul_f32_e32 v213, v92, v149
	s_waitcnt vmcnt(60)
	v_mul_f32_e32 v214, v94, v150
	s_waitcnt vmcnt(59) lgkmcnt(13)
	v_mul_f32_e32 v215, v96, v151
	s_waitcnt vmcnt(58)
	v_mul_f32_e32 v216, v98, v152
	;; [unrolled: 4-line block ×13, first 2 shown]
	s_waitcnt vmcnt(35) lgkmcnt(1)
	v_mul_f32_e32 v239, v144, v175
	s_waitcnt vmcnt(32)
	v_fma_f32 v2, v2, v178, -v8
	v_fmac_f32_e32 v211, v3, v178
	v_mul_f32_e32 v3, v93, v149
	s_waitcnt vmcnt(31)
	v_fma_f32 v4, v4, v179, -v148
	v_fmac_f32_e32 v212, v5, v179
	v_add_f32_e32 v2, 0, v2
	v_add_f32_e32 v5, 0, v211
	v_mul_f32_e32 v8, v95, v150
	s_waitcnt vmcnt(30)
	v_fma_f32 v3, v92, v180, -v3
	v_fmac_f32_e32 v213, v93, v180
	v_add_f32_e32 v2, v2, v4
	v_add_f32_e32 v4, v5, v212
	;; [unrolled: 6-line block ×27, first 2 shown]
	v_mul_f32_e32 v4, v147, v176
	s_waitcnt vmcnt(4)
	v_fma_f32 v5, v144, v206, -v5
	v_mul_f32_e32 v240, v146, v176
	v_add_f32_e32 v2, v2, v8
	v_fmac_f32_e32 v239, v145, v206
	v_add_f32_e32 v3, v3, v238
	s_waitcnt lgkmcnt(0)
	v_mul_f32_e32 v8, v7, v177
	s_waitcnt vmcnt(3)
	v_fma_f32 v4, v146, v207, -v4
	v_add_f32_e32 v2, v2, v5
	v_mul_f32_e32 v241, v6, v177
	v_fmac_f32_e32 v240, v147, v207
	v_add_f32_e32 v3, v3, v239
	s_waitcnt vmcnt(2)
	v_fma_f32 v5, v6, v208, -v8
	v_add_f32_e32 v2, v2, v4
	v_fmac_f32_e32 v241, v7, v208
	v_add_f32_e32 v3, v3, v240
	v_add_f32_e32 v2, v2, v5
	;; [unrolled: 1-line block ×3, first 2 shown]
	s_waitcnt vmcnt(1)
	v_sub_f32_e32 v2, v209, v2
	s_waitcnt vmcnt(0)
	v_sub_f32_e32 v3, v210, v3
	buffer_store_dword v2, off, s[0:3], 0 offset:72
	buffer_store_dword v3, off, s[0:3], 0 offset:76
	v_cmpx_lt_u32_e32 8, v0
	s_cbranch_execz .LBB40_243
; %bb.242:
	s_clause 0x1
	buffer_load_dword v2, off, s[0:3], 0 offset:64
	buffer_load_dword v3, off, s[0:3], 0 offset:68
	buffer_store_dword v1, off, s[0:3], 0 offset:64
	buffer_store_dword v1, off, s[0:3], 0 offset:68
	s_waitcnt vmcnt(0)
	ds_write_b64 v91, v[2:3]
.LBB40_243:
	s_or_b32 exec_lo, exec_lo, s4
	s_waitcnt lgkmcnt(0)
	s_waitcnt_vscnt null, 0x0
	s_barrier
	buffer_gl0_inv
	s_clause 0x3e
	buffer_load_dword v6, off, s[0:3], 0 offset:76
	buffer_load_dword v7, off, s[0:3], 0 offset:84
	;; [unrolled: 1-line block ×63, first 2 shown]
	s_clause 0x2
	buffer_load_dword v212, off, s[0:3], 0 offset:320
	buffer_load_dword v213, off, s[0:3], 0 offset:64
	;; [unrolled: 1-line block ×3, first 2 shown]
	ds_read2_b64 v[2:5], v1 offset0:51 offset1:52
	ds_read2_b64 v[92:95], v1 offset0:53 offset1:54
	;; [unrolled: 1-line block ×16, first 2 shown]
	s_mov_b32 s4, exec_lo
	s_waitcnt vmcnt(62) lgkmcnt(15)
	v_mul_f32_e32 v1, v2, v6
	v_mul_f32_e32 v6, v3, v6
	;; [unrolled: 1-line block ×4, first 2 shown]
	s_waitcnt lgkmcnt(14)
	v_mul_f32_e32 v216, v92, v8
	v_mul_f32_e32 v217, v94, v152
	s_waitcnt vmcnt(61) lgkmcnt(13)
	v_mul_f32_e32 v218, v96, v153
	s_waitcnt vmcnt(60)
	v_mul_f32_e32 v219, v98, v154
	s_waitcnt vmcnt(59) lgkmcnt(12)
	v_mul_f32_e32 v220, v100, v155
	s_waitcnt vmcnt(58)
	;; [unrolled: 4-line block ×13, first 2 shown]
	v_mul_f32_e32 v243, v146, v178
	s_waitcnt vmcnt(33)
	v_fma_f32 v2, v2, v181, -v6
	v_fmac_f32_e32 v1, v3, v181
	v_mul_f32_e32 v3, v93, v8
	s_waitcnt vmcnt(32)
	v_fma_f32 v4, v4, v182, -v7
	v_fmac_f32_e32 v215, v5, v182
	v_add_f32_e32 v2, 0, v2
	v_add_f32_e32 v1, 0, v1
	v_mul_f32_e32 v5, v95, v152
	s_waitcnt vmcnt(31)
	v_fma_f32 v3, v92, v183, -v3
	v_fmac_f32_e32 v216, v93, v183
	v_add_f32_e32 v2, v2, v4
	v_add_f32_e32 v1, v1, v215
	;; [unrolled: 6-line block ×28, first 2 shown]
	s_waitcnt lgkmcnt(0)
	v_mul_f32_e32 v5, v149, v179
	s_waitcnt vmcnt(4)
	v_fma_f32 v3, v146, v210, -v3
	v_mul_f32_e32 v244, v148, v179
	v_add_f32_e32 v2, v2, v4
	v_fmac_f32_e32 v243, v147, v210
	v_add_f32_e32 v1, v1, v242
	v_mul_f32_e32 v4, v151, v180
	s_waitcnt vmcnt(3)
	v_fma_f32 v5, v148, v211, -v5
	v_add_f32_e32 v2, v2, v3
	v_mul_f32_e32 v245, v150, v180
	v_fmac_f32_e32 v244, v149, v211
	v_add_f32_e32 v1, v1, v243
	s_waitcnt vmcnt(2)
	v_fma_f32 v3, v150, v212, -v4
	v_add_f32_e32 v2, v2, v5
	v_fmac_f32_e32 v245, v151, v212
	v_add_f32_e32 v1, v1, v244
	v_add_f32_e32 v2, v2, v3
	;; [unrolled: 1-line block ×3, first 2 shown]
	s_waitcnt vmcnt(1)
	v_sub_f32_e32 v2, v213, v2
	s_waitcnt vmcnt(0)
	v_sub_f32_e32 v1, v214, v1
	buffer_store_dword v2, off, s[0:3], 0 offset:64
	buffer_store_dword v1, off, s[0:3], 0 offset:68
	v_cmpx_lt_u32_e32 7, v0
	s_cbranch_execz .LBB40_245
; %bb.244:
	s_clause 0x1
	buffer_load_dword v1, off, s[0:3], 0 offset:56
	buffer_load_dword v2, off, s[0:3], 0 offset:60
	v_mov_b32_e32 v3, 0
	buffer_store_dword v3, off, s[0:3], 0 offset:56
	buffer_store_dword v3, off, s[0:3], 0 offset:60
	s_waitcnt vmcnt(0)
	ds_write_b64 v91, v[1:2]
.LBB40_245:
	s_or_b32 exec_lo, exec_lo, s4
	s_waitcnt lgkmcnt(0)
	s_waitcnt_vscnt null, 0x0
	s_barrier
	buffer_gl0_inv
	s_clause 0x3e
	buffer_load_dword v151, off, s[0:3], 0 offset:68
	buffer_load_dword v152, off, s[0:3], 0 offset:76
	buffer_load_dword v153, off, s[0:3], 0 offset:84
	buffer_load_dword v154, off, s[0:3], 0 offset:92
	buffer_load_dword v155, off, s[0:3], 0 offset:100
	buffer_load_dword v156, off, s[0:3], 0 offset:108
	buffer_load_dword v157, off, s[0:3], 0 offset:116
	buffer_load_dword v158, off, s[0:3], 0 offset:124
	buffer_load_dword v159, off, s[0:3], 0 offset:132
	buffer_load_dword v160, off, s[0:3], 0 offset:140
	buffer_load_dword v161, off, s[0:3], 0 offset:148
	buffer_load_dword v162, off, s[0:3], 0 offset:156
	buffer_load_dword v163, off, s[0:3], 0 offset:164
	buffer_load_dword v164, off, s[0:3], 0 offset:172
	buffer_load_dword v165, off, s[0:3], 0 offset:180
	buffer_load_dword v166, off, s[0:3], 0 offset:188
	buffer_load_dword v167, off, s[0:3], 0 offset:196
	buffer_load_dword v168, off, s[0:3], 0 offset:204
	buffer_load_dword v169, off, s[0:3], 0 offset:212
	buffer_load_dword v170, off, s[0:3], 0 offset:220
	buffer_load_dword v171, off, s[0:3], 0 offset:228
	buffer_load_dword v172, off, s[0:3], 0 offset:236
	buffer_load_dword v173, off, s[0:3], 0 offset:244
	buffer_load_dword v174, off, s[0:3], 0 offset:252
	buffer_load_dword v175, off, s[0:3], 0 offset:260
	buffer_load_dword v176, off, s[0:3], 0 offset:268
	buffer_load_dword v177, off, s[0:3], 0 offset:276
	buffer_load_dword v178, off, s[0:3], 0 offset:284
	buffer_load_dword v179, off, s[0:3], 0 offset:292
	buffer_load_dword v180, off, s[0:3], 0 offset:300
	buffer_load_dword v181, off, s[0:3], 0 offset:308
	buffer_load_dword v182, off, s[0:3], 0 offset:316
	buffer_load_dword v183, off, s[0:3], 0 offset:324
	buffer_load_dword v184, off, s[0:3], 0 offset:64
	buffer_load_dword v185, off, s[0:3], 0 offset:72
	buffer_load_dword v186, off, s[0:3], 0 offset:80
	buffer_load_dword v187, off, s[0:3], 0 offset:88
	buffer_load_dword v188, off, s[0:3], 0 offset:96
	buffer_load_dword v189, off, s[0:3], 0 offset:104
	buffer_load_dword v190, off, s[0:3], 0 offset:112
	buffer_load_dword v191, off, s[0:3], 0 offset:120
	buffer_load_dword v192, off, s[0:3], 0 offset:128
	buffer_load_dword v193, off, s[0:3], 0 offset:136
	buffer_load_dword v194, off, s[0:3], 0 offset:144
	buffer_load_dword v195, off, s[0:3], 0 offset:152
	buffer_load_dword v196, off, s[0:3], 0 offset:160
	buffer_load_dword v197, off, s[0:3], 0 offset:168
	buffer_load_dword v198, off, s[0:3], 0 offset:176
	buffer_load_dword v199, off, s[0:3], 0 offset:184
	buffer_load_dword v200, off, s[0:3], 0 offset:192
	buffer_load_dword v201, off, s[0:3], 0 offset:200
	buffer_load_dword v202, off, s[0:3], 0 offset:208
	buffer_load_dword v203, off, s[0:3], 0 offset:216
	buffer_load_dword v204, off, s[0:3], 0 offset:224
	buffer_load_dword v205, off, s[0:3], 0 offset:232
	buffer_load_dword v206, off, s[0:3], 0 offset:240
	buffer_load_dword v207, off, s[0:3], 0 offset:248
	buffer_load_dword v208, off, s[0:3], 0 offset:256
	buffer_load_dword v209, off, s[0:3], 0 offset:264
	buffer_load_dword v210, off, s[0:3], 0 offset:272
	buffer_load_dword v211, off, s[0:3], 0 offset:280
	buffer_load_dword v212, off, s[0:3], 0 offset:288
	buffer_load_dword v213, off, s[0:3], 0 offset:296
	s_clause 0x4
	buffer_load_dword v214, off, s[0:3], 0 offset:304
	buffer_load_dword v215, off, s[0:3], 0 offset:312
	;; [unrolled: 1-line block ×5, first 2 shown]
	v_mov_b32_e32 v92, 0
	ds_read_b128 v[1:4], v92 offset:400
	ds_read_b128 v[5:8], v92 offset:416
	ds_read_b128 v[93:96], v92 offset:432
	ds_read_b128 v[97:100], v92 offset:448
	ds_read_b128 v[101:104], v92 offset:464
	ds_read_b128 v[105:108], v92 offset:480
	ds_read_b128 v[109:112], v92 offset:496
	ds_read_b128 v[113:116], v92 offset:512
	ds_read_b128 v[117:120], v92 offset:528
	ds_read_b128 v[121:124], v92 offset:544
	ds_read_b128 v[125:128], v92 offset:560
	ds_read_b128 v[129:132], v92 offset:576
	ds_read_b128 v[133:136], v92 offset:592
	ds_read_b128 v[137:140], v92 offset:608
	ds_read_b128 v[141:144], v92 offset:624
	ds_read_b128 v[145:148], v92 offset:640
	ds_read_b64 v[149:150], v92 offset:656
	s_mov_b32 s4, exec_lo
	s_waitcnt vmcnt(62) lgkmcnt(16)
	v_mul_f32_e32 v219, v1, v151
	v_mul_f32_e32 v151, v2, v151
	;; [unrolled: 1-line block ×4, first 2 shown]
	s_waitcnt lgkmcnt(15)
	v_mul_f32_e32 v221, v5, v153
	v_mul_f32_e32 v222, v7, v154
	s_waitcnt lgkmcnt(14)
	v_mul_f32_e32 v223, v93, v155
	v_mul_f32_e32 v224, v95, v156
	s_waitcnt vmcnt(61) lgkmcnt(13)
	v_mul_f32_e32 v225, v97, v157
	s_waitcnt vmcnt(60)
	v_mul_f32_e32 v226, v99, v158
	s_waitcnt vmcnt(59) lgkmcnt(12)
	v_mul_f32_e32 v227, v101, v159
	s_waitcnt vmcnt(58)
	;; [unrolled: 4-line block ×13, first 2 shown]
	v_fma_f32 v1, v1, v184, -v151
	v_fmac_f32_e32 v219, v2, v184
	v_mul_f32_e32 v2, v6, v153
	s_waitcnt vmcnt(33)
	v_fma_f32 v3, v3, v185, -v152
	v_fmac_f32_e32 v220, v4, v185
	v_add_f32_e32 v1, 0, v1
	v_add_f32_e32 v4, 0, v219
	v_mul_f32_e32 v151, v8, v154
	s_waitcnt vmcnt(32)
	v_fma_f32 v2, v5, v186, -v2
	v_fmac_f32_e32 v221, v6, v186
	v_add_f32_e32 v1, v1, v3
	v_add_f32_e32 v3, v4, v220
	;; [unrolled: 6-line block ×29, first 2 shown]
	v_mul_f32_e32 v4, v148, v182
	s_waitcnt vmcnt(4)
	v_fma_f32 v5, v145, v214, -v5
	v_mul_f32_e32 v250, v147, v182
	v_add_f32_e32 v1, v1, v3
	v_fmac_f32_e32 v249, v146, v214
	v_add_f32_e32 v2, v2, v248
	s_waitcnt lgkmcnt(0)
	v_mul_f32_e32 v3, v150, v183
	s_waitcnt vmcnt(3)
	v_fma_f32 v4, v147, v215, -v4
	v_add_f32_e32 v1, v1, v5
	v_mul_f32_e32 v251, v149, v183
	v_fmac_f32_e32 v250, v148, v215
	v_add_f32_e32 v2, v2, v249
	s_waitcnt vmcnt(2)
	v_fma_f32 v3, v149, v216, -v3
	v_add_f32_e32 v1, v1, v4
	v_fmac_f32_e32 v251, v150, v216
	v_add_f32_e32 v2, v2, v250
	v_add_f32_e32 v1, v1, v3
	;; [unrolled: 1-line block ×3, first 2 shown]
	s_waitcnt vmcnt(1)
	v_sub_f32_e32 v1, v217, v1
	s_waitcnt vmcnt(0)
	v_sub_f32_e32 v2, v218, v2
	buffer_store_dword v1, off, s[0:3], 0 offset:56
	buffer_store_dword v2, off, s[0:3], 0 offset:60
	v_cmpx_lt_u32_e32 6, v0
	s_cbranch_execz .LBB40_247
; %bb.246:
	s_clause 0x1
	buffer_load_dword v1, off, s[0:3], 0 offset:48
	buffer_load_dword v2, off, s[0:3], 0 offset:52
	buffer_store_dword v92, off, s[0:3], 0 offset:48
	buffer_store_dword v92, off, s[0:3], 0 offset:52
	s_waitcnt vmcnt(0)
	ds_write_b64 v91, v[1:2]
.LBB40_247:
	s_or_b32 exec_lo, exec_lo, s4
	s_waitcnt lgkmcnt(0)
	s_waitcnt_vscnt null, 0x0
	s_barrier
	buffer_gl0_inv
	s_clause 0x23
	buffer_load_dword v127, off, s[0:3], 0 offset:60
	buffer_load_dword v128, off, s[0:3], 0 offset:68
	;; [unrolled: 1-line block ×36, first 2 shown]
	ds_read2_b64 v[5:8], v92 offset0:49 offset1:50
	ds_read2_b64 v[1:4], v92 offset0:51 offset1:52
	ds_read2_b64 v[129:132], v92 offset0:53 offset1:54
	s_clause 0x1
	buffer_load_dword v137, off, s[0:3], 0 offset:196
	buffer_load_dword v138, off, s[0:3], 0 offset:204
	ds_read2_b64 v[133:136], v92 offset0:55 offset1:56
	buffer_load_dword v141, off, s[0:3], 0 offset:52
	s_mov_b32 s4, exec_lo
	s_waitcnt vmcnt(38) lgkmcnt(3)
	v_mul_f32_e32 v139, v5, v127
	s_waitcnt vmcnt(37)
	v_mul_f32_e32 v140, v7, v128
	v_mul_f32_e32 v127, v6, v127
	;; [unrolled: 1-line block ×3, first 2 shown]
	s_waitcnt vmcnt(34)
	v_fmac_f32_e32 v139, v6, v99
	v_fmac_f32_e32 v140, v8, v98
	v_fma_f32 v99, v5, v99, -v127
	v_fma_f32 v98, v7, v98, -v128
	ds_read2_b64 v[5:8], v92 offset0:57 offset1:58
	s_waitcnt vmcnt(33) lgkmcnt(3)
	v_mul_f32_e32 v127, v1, v96
	v_mul_f32_e32 v96, v2, v96
	s_waitcnt vmcnt(32)
	v_mul_f32_e32 v128, v3, v95
	v_mul_f32_e32 v95, v4, v95
	s_waitcnt vmcnt(31) lgkmcnt(2)
	v_mul_f32_e32 v142, v129, v94
	v_fmac_f32_e32 v127, v2, v93
	v_fma_f32 v143, v1, v93, -v96
	s_waitcnt vmcnt(30)
	v_mul_f32_e32 v144, v131, v97
	v_mul_f32_e32 v93, v130, v94
	;; [unrolled: 1-line block ×3, first 2 shown]
	s_waitcnt vmcnt(26)
	v_fmac_f32_e32 v128, v4, v105
	v_fma_f32 v97, v3, v105, -v95
	ds_read2_b64 v[1:4], v92 offset0:59 offset1:60
	v_fmac_f32_e32 v142, v130, v104
	v_fma_f32 v104, v129, v104, -v93
	s_waitcnt vmcnt(25) lgkmcnt(2)
	v_mul_f32_e32 v105, v133, v101
	s_waitcnt vmcnt(24)
	v_mul_f32_e32 v129, v135, v102
	v_mul_f32_e32 v101, v134, v101
	;; [unrolled: 1-line block ×3, first 2 shown]
	v_fmac_f32_e32 v144, v132, v103
	v_fma_f32 v103, v131, v103, -v94
	ds_read2_b64 v[93:96], v92 offset0:61 offset1:62
	v_fmac_f32_e32 v105, v134, v100
	s_waitcnt vmcnt(19)
	v_fmac_f32_e32 v129, v136, v116
	v_fma_f32 v100, v133, v100, -v101
	v_fma_f32 v101, v135, v116, -v102
	s_clause 0x4
	buffer_load_dword v102, off, s[0:3], 0 offset:212
	buffer_load_dword v116, off, s[0:3], 0 offset:232
	;; [unrolled: 1-line block ×5, first 2 shown]
	s_waitcnt lgkmcnt(2)
	v_mul_f32_e32 v130, v5, v106
	v_mul_f32_e32 v106, v6, v106
	s_waitcnt vmcnt(23)
	v_mul_f32_e32 v134, v7, v112
	v_mul_f32_e32 v112, v8, v112
	v_fmac_f32_e32 v130, v6, v111
	v_fma_f32 v5, v5, v111, -v106
	s_waitcnt vmcnt(22) lgkmcnt(1)
	v_mul_f32_e32 v106, v1, v109
	v_fmac_f32_e32 v134, v8, v108
	v_fma_f32 v108, v7, v108, -v112
	s_waitcnt vmcnt(21)
	v_mul_f32_e32 v111, v3, v110
	v_mul_f32_e32 v6, v2, v109
	v_mul_f32_e32 v7, v4, v110
	s_clause 0x2
	buffer_load_dword v109, off, s[0:3], 0 offset:220
	buffer_load_dword v110, off, s[0:3], 0 offset:228
	buffer_load_dword v112, off, s[0:3], 0 offset:236
	v_fmac_f32_e32 v106, v2, v107
	s_waitcnt vmcnt(20)
	v_fmac_f32_e32 v111, v4, v125
	v_fma_f32 v107, v1, v107, -v6
	v_fma_f32 v125, v3, v125, -v7
	ds_read2_b64 v[1:4], v92 offset0:63 offset1:64
	v_add_f32_e32 v6, 0, v139
	v_add_f32_e32 v7, 0, v99
	s_waitcnt vmcnt(19) lgkmcnt(1)
	v_mul_f32_e32 v135, v93, v122
	s_waitcnt vmcnt(18)
	v_mul_f32_e32 v136, v95, v123
	v_mul_f32_e32 v8, v94, v122
	v_add_f32_e32 v6, v6, v140
	v_mul_f32_e32 v99, v96, v123
	v_add_f32_e32 v7, v7, v98
	v_fmac_f32_e32 v135, v94, v120
	v_fmac_f32_e32 v136, v96, v119
	v_add_f32_e32 v6, v6, v127
	v_fma_f32 v93, v93, v120, -v8
	v_fma_f32 v98, v95, v119, -v99
	v_add_f32_e32 v7, v7, v143
	s_clause 0x7
	buffer_load_dword v119, off, s[0:3], 0 offset:244
	buffer_load_dword v120, off, s[0:3], 0 offset:252
	;; [unrolled: 1-line block ×8, first 2 shown]
	v_add_f32_e32 v6, v6, v128
	v_add_f32_e32 v7, v7, v97
	s_waitcnt vmcnt(25) lgkmcnt(0)
	v_mul_f32_e32 v8, v2, v117
	v_mul_f32_e32 v99, v1, v117
	s_clause 0x3
	buffer_load_dword v117, off, s[0:3], 0 offset:276
	buffer_load_dword v128, off, s[0:3], 0 offset:284
	;; [unrolled: 1-line block ×4, first 2 shown]
	v_fma_f32 v97, v1, v114, -v8
	v_add_f32_e32 v1, v6, v142
	v_fmac_f32_e32 v99, v2, v114
	v_add_f32_e32 v6, v7, v104
	s_waitcnt vmcnt(28)
	v_mul_f32_e32 v104, v3, v115
	v_mul_f32_e32 v2, v4, v115
	v_add_f32_e32 v7, v1, v144
	s_clause 0x2
	buffer_load_dword v114, off, s[0:3], 0 offset:308
	buffer_load_dword v142, off, s[0:3], 0 offset:316
	;; [unrolled: 1-line block ×3, first 2 shown]
	s_waitcnt vmcnt(27)
	v_fmac_f32_e32 v104, v4, v126
	v_fma_f32 v126, v3, v126, -v2
	ds_read2_b64 v[1:4], v92 offset0:65 offset1:66
	v_add_f32_e32 v7, v7, v105
	v_add_f32_e32 v6, v6, v103
	;; [unrolled: 1-line block ×3, first 2 shown]
	s_clause 0x3
	buffer_load_dword v129, off, s[0:3], 0 offset:296
	buffer_load_dword v144, off, s[0:3], 0 offset:288
	;; [unrolled: 1-line block ×4, first 2 shown]
	v_add_f32_e32 v6, v6, v100
	v_add_f32_e32 v94, v7, v130
	v_add_f32_e32 v6, v6, v101
	v_add_f32_e32 v94, v94, v134
	v_add_f32_e32 v95, v6, v5
	ds_read2_b64 v[5:8], v92 offset0:67 offset1:68
	s_waitcnt vmcnt(30) lgkmcnt(1)
	v_mul_f32_e32 v101, v1, v124
	v_mul_f32_e32 v96, v2, v124
	s_waitcnt vmcnt(29)
	v_mul_f32_e32 v105, v3, v137
	v_fmac_f32_e32 v101, v2, v121
	v_fma_f32 v103, v1, v121, -v96
	s_clause 0x3
	buffer_load_dword v121, off, s[0:3], 0 offset:320
	buffer_load_dword v124, off, s[0:3], 0 offset:312
	;; [unrolled: 1-line block ×4, first 2 shown]
	v_add_f32_e32 v1, v95, v108
	v_add_f32_e32 v2, v94, v106
	v_mul_f32_e32 v94, v4, v137
	v_fmac_f32_e32 v105, v4, v118
	v_add_f32_e32 v1, v1, v107
	v_add_f32_e32 v2, v2, v111
	v_fma_f32 v106, v3, v118, -v94
	v_add_f32_e32 v95, v1, v125
	v_add_f32_e32 v100, v2, v135
	ds_read2_b64 v[1:4], v92 offset0:69 offset1:70
	s_waitcnt vmcnt(32) lgkmcnt(1)
	v_mul_f32_e32 v108, v5, v138
	v_mul_f32_e32 v111, v6, v138
	v_add_f32_e32 v107, v95, v93
	ds_read2_b64 v[93:96], v92 offset0:71 offset1:72
	v_add_f32_e32 v100, v100, v136
	v_fmac_f32_e32 v108, v6, v113
	v_fma_f32 v111, v5, v113, -v111
	v_add_f32_e32 v98, v107, v98
	v_add_f32_e32 v107, v100, v99
	;; [unrolled: 1-line block ×5, first 2 shown]
	s_waitcnt vmcnt(30)
	v_mul_f32_e32 v118, v7, v102
	v_mul_f32_e32 v102, v8, v102
	s_waitcnt vmcnt(26)
	v_fmac_f32_e32 v118, v8, v133
	v_fma_f32 v113, v7, v133, -v102
	v_add_f32_e32 v102, v98, v97
	ds_read2_b64 v[5:8], v92 offset0:73 offset1:74
	ds_read2_b64 v[97:100], v92 offset0:75 offset1:76
	v_add_f32_e32 v102, v102, v126
	s_waitcnt vmcnt(25) lgkmcnt(3)
	v_mul_f32_e32 v125, v1, v109
	v_mul_f32_e32 v107, v2, v109
	s_waitcnt vmcnt(24)
	v_mul_f32_e32 v126, v3, v110
	v_mul_f32_e32 v109, v4, v110
	s_waitcnt vmcnt(23) lgkmcnt(2)
	v_mul_f32_e32 v110, v93, v112
	v_fmac_f32_e32 v125, v2, v132
	v_fma_f32 v132, v1, v132, -v107
	v_add_f32_e32 v107, v102, v103
	v_fmac_f32_e32 v126, v4, v131
	v_fma_f32 v109, v3, v131, -v109
	v_mul_f32_e32 v112, v94, v112
	ds_read2_b64 v[1:4], v92 offset0:77 offset1:78
	ds_read2_b64 v[101:104], v92 offset0:79 offset1:80
	v_add_f32_e32 v131, v107, v106
	v_fmac_f32_e32 v110, v94, v116
	v_add_f32_e32 v94, v105, v108
	ds_read2_b64 v[105:108], v92 offset0:81 offset1:82
	v_fma_f32 v93, v93, v116, -v112
	v_add_f32_e32 v92, v131, v111
	s_waitcnt vmcnt(22)
	v_mul_f32_e32 v112, v96, v119
	v_add_f32_e32 v94, v94, v118
	v_mul_f32_e32 v111, v95, v119
	s_waitcnt vmcnt(21) lgkmcnt(4)
	v_mul_f32_e32 v116, v5, v120
	v_add_f32_e32 v92, v92, v113
	v_mul_f32_e32 v118, v6, v120
	v_add_f32_e32 v94, v94, v125
	s_waitcnt vmcnt(15)
	v_fma_f32 v95, v95, v143, -v112
	v_fmac_f32_e32 v111, v96, v143
	v_add_f32_e32 v92, v92, v132
	v_fmac_f32_e32 v116, v6, v140
	v_add_f32_e32 v94, v94, v126
	v_fma_f32 v5, v5, v140, -v118
	v_mul_f32_e32 v113, v7, v122
	v_add_f32_e32 v92, v92, v109
	v_mul_f32_e32 v109, v8, v122
	s_waitcnt lgkmcnt(3)
	v_mul_f32_e32 v96, v97, v123
	s_waitcnt vmcnt(14)
	v_mul_f32_e32 v112, v99, v117
	v_fmac_f32_e32 v113, v8, v139
	v_add_f32_e32 v92, v92, v93
	v_add_f32_e32 v93, v94, v110
	v_fma_f32 v7, v7, v139, -v109
	v_mul_f32_e32 v8, v100, v117
	v_fmac_f32_e32 v96, v98, v127
	v_add_f32_e32 v6, v92, v95
	v_add_f32_e32 v92, v93, v111
	v_mul_f32_e32 v93, v98, v123
	s_waitcnt vmcnt(13) lgkmcnt(2)
	v_mul_f32_e32 v119, v1, v128
	s_waitcnt vmcnt(12)
	v_mul_f32_e32 v120, v3, v145
	v_add_f32_e32 v5, v6, v5
	v_add_f32_e32 v6, v92, v116
	v_fma_f32 v92, v97, v127, -v93
	s_waitcnt vmcnt(4)
	v_fma_f32 v8, v99, v148, -v8
	v_fmac_f32_e32 v112, v100, v148
	v_add_f32_e32 v5, v5, v7
	v_add_f32_e32 v6, v6, v113
	v_mul_f32_e32 v7, v2, v128
	v_fmac_f32_e32 v119, v2, v147
	s_waitcnt lgkmcnt(1)
	v_mul_f32_e32 v125, v101, v146
	v_add_f32_e32 v5, v5, v92
	v_add_f32_e32 v6, v6, v96
	v_mul_f32_e32 v92, v4, v145
	v_fma_f32 v1, v1, v147, -v7
	v_fmac_f32_e32 v120, v4, v144
	v_add_f32_e32 v2, v5, v8
	v_add_f32_e32 v5, v6, v112
	v_mul_f32_e32 v6, v102, v146
	v_fma_f32 v3, v3, v144, -v92
	v_mul_f32_e32 v4, v104, v114
	v_add_f32_e32 v1, v2, v1
	v_add_f32_e32 v2, v5, v119
	v_fma_f32 v5, v101, v129, -v6
	v_mul_f32_e32 v122, v103, v114
	v_fmac_f32_e32 v125, v102, v129
	v_add_f32_e32 v1, v1, v3
	v_add_f32_e32 v2, v2, v120
	s_waitcnt lgkmcnt(0)
	v_mul_f32_e32 v3, v106, v142
	s_waitcnt vmcnt(1)
	v_fma_f32 v4, v103, v130, -v4
	v_mul_f32_e32 v126, v105, v142
	v_add_f32_e32 v1, v1, v5
	v_fmac_f32_e32 v122, v104, v130
	v_add_f32_e32 v2, v2, v125
	v_mul_f32_e32 v5, v108, v115
	v_fma_f32 v3, v105, v124, -v3
	v_add_f32_e32 v1, v1, v4
	v_mul_f32_e32 v94, v107, v115
	v_fmac_f32_e32 v126, v106, v124
	v_add_f32_e32 v2, v2, v122
	v_fma_f32 v4, v107, v121, -v5
	v_add_f32_e32 v1, v1, v3
	v_fmac_f32_e32 v94, v108, v121
	v_add_f32_e32 v2, v2, v126
	v_add_f32_e32 v1, v1, v4
	;; [unrolled: 1-line block ×3, first 2 shown]
	s_waitcnt vmcnt(0)
	v_sub_f32_e32 v1, v134, v1
	v_sub_f32_e32 v2, v141, v2
	buffer_store_dword v1, off, s[0:3], 0 offset:48
	buffer_store_dword v2, off, s[0:3], 0 offset:52
	v_cmpx_lt_u32_e32 5, v0
	s_cbranch_execz .LBB40_249
; %bb.248:
	s_clause 0x1
	buffer_load_dword v1, off, s[0:3], 0 offset:40
	buffer_load_dword v2, off, s[0:3], 0 offset:44
	v_mov_b32_e32 v3, 0
	buffer_store_dword v3, off, s[0:3], 0 offset:40
	buffer_store_dword v3, off, s[0:3], 0 offset:44
	s_waitcnt vmcnt(0)
	ds_write_b64 v91, v[1:2]
.LBB40_249:
	s_or_b32 exec_lo, exec_lo, s4
	s_waitcnt lgkmcnt(0)
	s_waitcnt_vscnt null, 0x0
	s_barrier
	buffer_gl0_inv
	s_clause 0x2a
	buffer_load_dword v7, off, s[0:3], 0 offset:52
	buffer_load_dword v8, off, s[0:3], 0 offset:60
	;; [unrolled: 1-line block ×43, first 2 shown]
	v_mov_b32_e32 v1, 0
	ds_read_b128 v[124:127], v1 offset:384
	ds_read_b128 v[128:131], v1 offset:400
	ds_read_b128 v[132:135], v1 offset:416
	buffer_load_dword v142, off, s[0:3], 0 offset:44
	s_mov_b32 s4, exec_lo
	s_waitcnt vmcnt(43) lgkmcnt(2)
	v_mul_f32_e32 v140, v124, v7
	s_waitcnt vmcnt(42)
	v_mul_f32_e32 v141, v126, v8
	v_mul_f32_e32 v7, v125, v7
	;; [unrolled: 1-line block ×3, first 2 shown]
	s_waitcnt vmcnt(39)
	v_fmac_f32_e32 v140, v125, v6
	v_fmac_f32_e32 v141, v127, v5
	v_fma_f32 v143, v124, v6, -v7
	v_fma_f32 v144, v126, v5, -v8
	ds_read_b128 v[5:8], v1 offset:432
	ds_read_b128 v[124:127], v1 offset:448
	s_waitcnt vmcnt(38) lgkmcnt(3)
	v_mul_f32_e32 v145, v128, v3
	v_mul_f32_e32 v3, v129, v3
	s_waitcnt vmcnt(37)
	v_mul_f32_e32 v146, v130, v4
	v_mul_f32_e32 v4, v131, v4
	s_waitcnt vmcnt(32) lgkmcnt(2)
	v_mul_f32_e32 v148, v132, v99
	v_fmac_f32_e32 v145, v129, v2
	v_fma_f32 v147, v128, v2, -v3
	v_mul_f32_e32 v2, v133, v99
	s_waitcnt vmcnt(31)
	v_mul_f32_e32 v149, v134, v98
	v_mul_f32_e32 v3, v135, v98
	v_fmac_f32_e32 v146, v131, v100
	v_fma_f32 v100, v130, v100, -v4
	v_fmac_f32_e32 v148, v133, v95
	v_fma_f32 v132, v132, v95, -v2
	;; [unrolled: 2-line block ×3, first 2 shown]
	ds_read_b128 v[128:131], v1 offset:464
	s_waitcnt vmcnt(30) lgkmcnt(2)
	v_mul_f32_e32 v133, v5, v96
	v_mul_f32_e32 v2, v6, v96
	s_waitcnt vmcnt(29)
	v_mul_f32_e32 v135, v7, v94
	v_mul_f32_e32 v3, v8, v94
	s_waitcnt vmcnt(28) lgkmcnt(1)
	v_mul_f32_e32 v150, v124, v97
	v_fmac_f32_e32 v133, v6, v92
	v_fma_f32 v6, v5, v92, -v2
	s_waitcnt vmcnt(24)
	v_fmac_f32_e32 v135, v8, v107
	v_fma_f32 v7, v7, v107, -v3
	s_waitcnt vmcnt(23)
	v_mul_f32_e32 v8, v126, v106
	v_mul_f32_e32 v92, v125, v97
	;; [unrolled: 1-line block ×3, first 2 shown]
	ds_read_b128 v[2:5], v1 offset:480
	v_fmac_f32_e32 v150, v125, v105
	v_fmac_f32_e32 v8, v127, v102
	v_fma_f32 v105, v124, v105, -v92
	v_fma_f32 v102, v126, v102, -v93
	ds_read_b128 v[92:95], v1 offset:496
	s_waitcnt vmcnt(22) lgkmcnt(2)
	v_mul_f32_e32 v106, v128, v104
	v_mul_f32_e32 v96, v129, v104
	s_waitcnt vmcnt(21)
	v_mul_f32_e32 v104, v130, v103
	v_mul_f32_e32 v97, v131, v103
	buffer_load_dword v103, off, s[0:3], 0 offset:212
	v_fmac_f32_e32 v106, v129, v101
	v_fma_f32 v101, v128, v101, -v96
	s_waitcnt vmcnt(18)
	v_fmac_f32_e32 v104, v131, v115
	v_fma_f32 v107, v130, v115, -v97
	s_waitcnt vmcnt(17) lgkmcnt(1)
	v_mul_f32_e32 v115, v2, v113
	s_waitcnt vmcnt(16)
	v_mul_f32_e32 v124, v4, v114
	v_mul_f32_e32 v96, v3, v113
	;; [unrolled: 1-line block ×3, first 2 shown]
	v_fmac_f32_e32 v115, v3, v110
	v_fmac_f32_e32 v124, v5, v109
	v_fma_f32 v110, v2, v110, -v96
	v_fma_f32 v109, v4, v109, -v97
	ds_read_b128 v[2:5], v1 offset:512
	s_waitcnt vmcnt(15) lgkmcnt(1)
	v_mul_f32_e32 v113, v92, v112
	v_mul_f32_e32 v98, v93, v112
	s_waitcnt vmcnt(14)
	v_mul_f32_e32 v112, v94, v111
	v_mul_f32_e32 v111, v95, v111
	v_fmac_f32_e32 v113, v93, v108
	v_fma_f32 v108, v92, v108, -v98
	ds_read_b128 v[96:99], v1 offset:528
	s_waitcnt vmcnt(10)
	v_fmac_f32_e32 v112, v95, v123
	v_fma_f32 v111, v94, v123, -v111
	s_clause 0x1
	buffer_load_dword v114, off, s[0:3], 0 offset:220
	buffer_load_dword v123, off, s[0:3], 0 offset:228
	s_waitcnt vmcnt(11) lgkmcnt(1)
	v_mul_f32_e32 v125, v2, v122
	v_mul_f32_e32 v92, v3, v122
	s_waitcnt vmcnt(10)
	v_mul_f32_e32 v126, v4, v121
	v_mul_f32_e32 v93, v5, v121
	buffer_load_dword v122, off, s[0:3], 0 offset:236
	v_fmac_f32_e32 v125, v3, v119
	v_fma_f32 v119, v2, v119, -v92
	v_fmac_f32_e32 v126, v5, v117
	s_waitcnt vmcnt(10) lgkmcnt(0)
	v_mul_f32_e32 v121, v96, v120
	v_mul_f32_e32 v2, v97, v120
	s_waitcnt vmcnt(9)
	v_mul_f32_e32 v3, v99, v118
	s_clause 0x3
	buffer_load_dword v120, off, s[0:3], 0 offset:256
	buffer_load_dword v127, off, s[0:3], 0 offset:248
	;; [unrolled: 1-line block ×4, first 2 shown]
	v_mul_f32_e32 v130, v98, v118
	v_fmac_f32_e32 v121, v97, v116
	v_fma_f32 v116, v96, v116, -v2
	v_add_f32_e32 v2, 0, v140
	s_clause 0x1
	buffer_load_dword v118, off, s[0:3], 0 offset:244
	buffer_load_dword v140, off, s[0:3], 0 offset:260
	s_waitcnt vmcnt(11)
	v_fma_f32 v131, v98, v139, -v3
	v_add_f32_e32 v3, 0, v143
	v_add_f32_e32 v2, v2, v141
	v_fmac_f32_e32 v130, v99, v139
	s_clause 0x4
	buffer_load_dword v139, off, s[0:3], 0 offset:252
	buffer_load_dword v141, off, s[0:3], 0 offset:268
	;; [unrolled: 1-line block ×5, first 2 shown]
	v_add_f32_e32 v3, v3, v144
	v_add_f32_e32 v2, v2, v145
	s_clause 0x1
	buffer_load_dword v144, off, s[0:3], 0 offset:300
	buffer_load_dword v145, off, s[0:3], 0 offset:308
	v_fma_f32 v117, v4, v117, -v93
	v_add_f32_e32 v3, v3, v147
	v_add_f32_e32 v2, v2, v146
	s_clause 0x1
	buffer_load_dword v146, off, s[0:3], 0 offset:316
	buffer_load_dword v147, off, s[0:3], 0 offset:324
	v_add_f32_e32 v3, v3, v100
	v_add_f32_e32 v2, v2, v148
	;; [unrolled: 1-line block ×4, first 2 shown]
	s_clause 0x3
	buffer_load_dword v132, off, s[0:3], 0 offset:288
	buffer_load_dword v148, off, s[0:3], 0 offset:280
	;; [unrolled: 1-line block ×4, first 2 shown]
	v_add_f32_e32 v3, v3, v134
	v_add_f32_e32 v2, v2, v133
	;; [unrolled: 1-line block ×4, first 2 shown]
	s_clause 0x4
	buffer_load_dword v133, off, s[0:3], 0 offset:320
	buffer_load_dword v134, off, s[0:3], 0 offset:312
	;; [unrolled: 1-line block ×5, first 2 shown]
	ds_read_b128 v[92:95], v1 offset:560
	v_add_f32_e32 v3, v3, v7
	v_add_f32_e32 v2, v2, v150
	;; [unrolled: 1-line block ×5, first 2 shown]
	ds_read_b128 v[2:5], v1 offset:544
	v_add_f32_e32 v6, v6, v106
	v_add_f32_e32 v7, v7, v101
	;; [unrolled: 1-line block ×14, first 2 shown]
	s_waitcnt vmcnt(27) lgkmcnt(0)
	v_mul_f32_e32 v8, v2, v103
	v_mul_f32_e32 v96, v3, v103
	v_fmac_f32_e32 v8, v3, v138
	v_add_f32_e32 v3, v7, v108
	v_fma_f32 v108, v2, v138, -v96
	v_add_f32_e32 v8, v115, v8
	v_add_f32_e32 v7, v3, v111
	;; [unrolled: 1-line block ×5, first 2 shown]
	s_waitcnt vmcnt(26)
	v_mul_f32_e32 v109, v4, v114
	v_mul_f32_e32 v97, v5, v114
	v_add_f32_e32 v116, v7, v131
	s_waitcnt vmcnt(25)
	v_mul_f32_e32 v104, v93, v123
	v_mul_f32_e32 v111, v92, v123
	v_fmac_f32_e32 v109, v5, v137
	v_fma_f32 v110, v4, v137, -v97
	ds_read_b128 v[2:5], v1 offset:576
	ds_read_b128 v[96:99], v1 offset:592
	v_add_f32_e32 v108, v116, v108
	v_fma_f32 v114, v92, v136, -v104
	v_fmac_f32_e32 v111, v93, v136
	v_add_f32_e32 v8, v8, v109
	ds_read_b128 v[100:103], v1 offset:608
	ds_read_b128 v[104:107], v1 offset:624
	s_waitcnt vmcnt(24)
	v_mul_f32_e32 v113, v95, v122
	v_add_f32_e32 v108, v108, v110
	v_mul_f32_e32 v112, v94, v122
	v_add_f32_e32 v8, v8, v111
	v_add_f32_e32 v108, v108, v114
	s_waitcnt vmcnt(20)
	v_fma_f32 v113, v94, v129, -v113
	v_fmac_f32_e32 v112, v95, v129
	ds_read_b128 v[92:95], v1 offset:640
	ds_read_b64 v[6:7], v1 offset:656
	s_waitcnt vmcnt(19) lgkmcnt(5)
	v_mul_f32_e32 v116, v3, v118
	v_mul_f32_e32 v117, v2, v118
	v_add_f32_e32 v108, v108, v113
	v_add_f32_e32 v8, v8, v112
	s_waitcnt vmcnt(18) lgkmcnt(4)
	v_mul_f32_e32 v115, v96, v140
	v_fma_f32 v2, v2, v128, -v116
	s_waitcnt vmcnt(17)
	v_mul_f32_e32 v118, v5, v139
	v_mul_f32_e32 v119, v4, v139
	v_fmac_f32_e32 v117, v3, v128
	v_mul_f32_e32 v116, v97, v140
	v_add_f32_e32 v2, v108, v2
	v_fma_f32 v4, v4, v127, -v118
	v_fmac_f32_e32 v119, v5, v127
	v_add_f32_e32 v5, v8, v117
	s_waitcnt vmcnt(16)
	v_mul_f32_e32 v8, v99, v141
	v_fma_f32 v96, v96, v120, -v116
	v_add_f32_e32 v2, v2, v4
	v_mul_f32_e32 v110, v98, v141
	v_fmac_f32_e32 v115, v97, v120
	v_add_f32_e32 v4, v5, v119
	s_waitcnt vmcnt(15) lgkmcnt(3)
	v_mul_f32_e32 v5, v101, v143
	v_add_f32_e32 v2, v2, v96
	v_mul_f32_e32 v121, v100, v143
	s_waitcnt vmcnt(14)
	v_mul_f32_e32 v96, v103, v151
	v_add_f32_e32 v4, v4, v115
	s_waitcnt vmcnt(5)
	v_fma_f32 v8, v98, v153, -v8
	v_fmac_f32_e32 v110, v99, v153
	v_fma_f32 v5, v100, v149, -v5
	v_mul_f32_e32 v109, v102, v151
	v_fmac_f32_e32 v121, v101, v149
	v_add_f32_e32 v2, v2, v8
	v_add_f32_e32 v4, v4, v110
	s_waitcnt lgkmcnt(2)
	v_mul_f32_e32 v8, v105, v152
	v_fma_f32 v96, v102, v148, -v96
	v_mul_f32_e32 v114, v104, v152
	v_add_f32_e32 v2, v2, v5
	v_fmac_f32_e32 v109, v103, v148
	v_add_f32_e32 v4, v4, v121
	v_mul_f32_e32 v5, v107, v144
	v_fma_f32 v8, v104, v132, -v8
	v_add_f32_e32 v2, v2, v96
	v_mul_f32_e32 v3, v106, v144
	v_fmac_f32_e32 v114, v105, v132
	v_add_f32_e32 v4, v4, v109
	s_waitcnt lgkmcnt(1)
	v_mul_f32_e32 v96, v93, v145
	s_waitcnt vmcnt(1)
	v_fma_f32 v5, v106, v154, -v5
	v_add_f32_e32 v2, v2, v8
	v_mul_f32_e32 v111, v92, v145
	v_fmac_f32_e32 v3, v107, v154
	v_add_f32_e32 v4, v4, v114
	v_mul_f32_e32 v8, v95, v146
	v_fma_f32 v92, v92, v135, -v96
	v_add_f32_e32 v2, v2, v5
	v_mul_f32_e32 v113, v94, v146
	v_fmac_f32_e32 v111, v93, v135
	v_add_f32_e32 v3, v4, v3
	s_waitcnt lgkmcnt(0)
	v_mul_f32_e32 v4, v7, v147
	v_fma_f32 v5, v94, v134, -v8
	v_add_f32_e32 v2, v2, v92
	v_mul_f32_e32 v112, v6, v147
	v_fmac_f32_e32 v113, v95, v134
	v_add_f32_e32 v3, v3, v111
	v_fma_f32 v4, v6, v133, -v4
	v_add_f32_e32 v2, v2, v5
	v_fmac_f32_e32 v112, v7, v133
	v_add_f32_e32 v3, v3, v113
	v_add_f32_e32 v2, v2, v4
	;; [unrolled: 1-line block ×3, first 2 shown]
	s_waitcnt vmcnt(0)
	v_sub_f32_e32 v2, v155, v2
	v_sub_f32_e32 v3, v142, v3
	buffer_store_dword v2, off, s[0:3], 0 offset:40
	buffer_store_dword v3, off, s[0:3], 0 offset:44
	v_cmpx_lt_u32_e32 4, v0
	s_cbranch_execz .LBB40_251
; %bb.250:
	s_clause 0x1
	buffer_load_dword v2, off, s[0:3], 0 offset:32
	buffer_load_dword v3, off, s[0:3], 0 offset:36
	buffer_store_dword v1, off, s[0:3], 0 offset:32
	buffer_store_dword v1, off, s[0:3], 0 offset:36
	s_waitcnt vmcnt(0)
	ds_write_b64 v91, v[2:3]
.LBB40_251:
	s_or_b32 exec_lo, exec_lo, s4
	s_waitcnt lgkmcnt(0)
	s_waitcnt_vscnt null, 0x0
	s_barrier
	buffer_gl0_inv
	s_clause 0x2a
	buffer_load_dword v7, off, s[0:3], 0 offset:44
	buffer_load_dword v8, off, s[0:3], 0 offset:52
	;; [unrolled: 1-line block ×43, first 2 shown]
	ds_read2_b64 v[124:127], v1 offset0:47 offset1:48
	ds_read2_b64 v[128:131], v1 offset0:49 offset1:50
	ds_read2_b64 v[132:135], v1 offset0:51 offset1:52
	buffer_load_dword v142, off, s[0:3], 0 offset:36
	s_mov_b32 s4, exec_lo
	s_waitcnt vmcnt(43) lgkmcnt(2)
	v_mul_f32_e32 v140, v124, v7
	s_waitcnt vmcnt(42)
	v_mul_f32_e32 v141, v126, v8
	v_mul_f32_e32 v7, v125, v7
	;; [unrolled: 1-line block ×3, first 2 shown]
	s_waitcnt vmcnt(39)
	v_fmac_f32_e32 v140, v125, v6
	v_fmac_f32_e32 v141, v127, v5
	v_fma_f32 v143, v124, v6, -v7
	v_fma_f32 v144, v126, v5, -v8
	ds_read2_b64 v[5:8], v1 offset0:53 offset1:54
	ds_read2_b64 v[124:127], v1 offset0:55 offset1:56
	s_waitcnt vmcnt(38) lgkmcnt(3)
	v_mul_f32_e32 v145, v128, v3
	s_waitcnt vmcnt(37)
	v_mul_f32_e32 v146, v130, v4
	v_mul_f32_e32 v3, v129, v3
	;; [unrolled: 1-line block ×3, first 2 shown]
	v_fmac_f32_e32 v145, v129, v2
	s_waitcnt vmcnt(33)
	v_fmac_f32_e32 v146, v131, v99
	v_fma_f32 v128, v128, v2, -v3
	v_fma_f32 v129, v130, v99, -v4
	s_waitcnt vmcnt(32) lgkmcnt(2)
	v_mul_f32_e32 v130, v132, v97
	v_mul_f32_e32 v2, v133, v97
	s_waitcnt vmcnt(31)
	v_mul_f32_e32 v3, v135, v98
	v_mul_f32_e32 v131, v134, v98
	v_fmac_f32_e32 v130, v133, v96
	v_fma_f32 v132, v132, v96, -v2
	v_fma_f32 v133, v134, v93, -v3
	ds_read2_b64 v[96:99], v1 offset0:57 offset1:58
	s_waitcnt vmcnt(30) lgkmcnt(2)
	v_mul_f32_e32 v134, v5, v94
	v_mul_f32_e32 v2, v6, v94
	s_waitcnt vmcnt(29)
	v_mul_f32_e32 v3, v8, v95
	v_fmac_f32_e32 v131, v135, v93
	v_mul_f32_e32 v135, v7, v95
	v_fmac_f32_e32 v134, v6, v92
	v_fma_f32 v6, v5, v92, -v2
	s_waitcnt vmcnt(25)
	v_fma_f32 v7, v7, v107, -v3
	ds_read2_b64 v[2:5], v1 offset0:59 offset1:60
	v_fmac_f32_e32 v135, v8, v107
	s_waitcnt vmcnt(24) lgkmcnt(2)
	v_mul_f32_e32 v8, v124, v105
	s_waitcnt vmcnt(23)
	v_mul_f32_e32 v107, v126, v106
	v_mul_f32_e32 v92, v125, v105
	;; [unrolled: 1-line block ×3, first 2 shown]
	v_fmac_f32_e32 v8, v125, v104
	v_fmac_f32_e32 v107, v127, v101
	v_fma_f32 v104, v124, v104, -v92
	v_fma_f32 v101, v126, v101, -v93
	ds_read2_b64 v[92:95], v1 offset0:61 offset1:62
	s_waitcnt vmcnt(22) lgkmcnt(2)
	v_mul_f32_e32 v105, v96, v102
	s_waitcnt vmcnt(21)
	v_mul_f32_e32 v106, v98, v103
	v_mul_f32_e32 v102, v97, v102
	;; [unrolled: 1-line block ×3, first 2 shown]
	v_fmac_f32_e32 v105, v97, v100
	s_waitcnt vmcnt(17)
	v_fmac_f32_e32 v106, v99, v115
	v_fma_f32 v100, v96, v100, -v102
	v_fma_f32 v102, v98, v115, -v103
	s_waitcnt vmcnt(16) lgkmcnt(1)
	v_mul_f32_e32 v103, v2, v113
	s_waitcnt vmcnt(15)
	v_mul_f32_e32 v115, v4, v114
	v_mul_f32_e32 v113, v3, v113
	v_mul_f32_e32 v114, v5, v114
	ds_read2_b64 v[96:99], v1 offset0:63 offset1:64
	v_fmac_f32_e32 v103, v3, v112
	v_fmac_f32_e32 v115, v5, v109
	v_fma_f32 v112, v2, v112, -v113
	v_fma_f32 v109, v4, v109, -v114
	s_clause 0x1
	buffer_load_dword v113, off, s[0:3], 0 offset:204
	buffer_load_dword v114, off, s[0:3], 0 offset:212
	s_waitcnt vmcnt(16) lgkmcnt(1)
	v_mul_f32_e32 v124, v92, v110
	v_mul_f32_e32 v2, v93, v110
	s_waitcnt vmcnt(15)
	v_mul_f32_e32 v3, v95, v111
	v_mul_f32_e32 v125, v94, v111
	buffer_load_dword v111, off, s[0:3], 0 offset:220
	v_fmac_f32_e32 v124, v93, v108
	v_fma_f32 v108, v92, v108, -v2
	s_waitcnt vmcnt(12)
	v_fma_f32 v110, v94, v123, -v3
	ds_read2_b64 v[2:5], v1 offset0:65 offset1:66
	v_fmac_f32_e32 v125, v95, v123
	s_waitcnt vmcnt(11) lgkmcnt(1)
	v_mul_f32_e32 v123, v96, v121
	s_waitcnt vmcnt(10)
	v_mul_f32_e32 v126, v98, v122
	v_mul_f32_e32 v92, v97, v121
	v_mul_f32_e32 v93, v99, v122
	s_clause 0x5
	buffer_load_dword v121, off, s[0:3], 0 offset:228
	buffer_load_dword v122, off, s[0:3], 0 offset:248
	;; [unrolled: 1-line block ×6, first 2 shown]
	v_fmac_f32_e32 v123, v97, v120
	v_fma_f32 v120, v96, v120, -v92
	v_fmac_f32_e32 v126, v99, v119
	v_fma_f32 v119, v98, v119, -v93
	s_waitcnt vmcnt(15) lgkmcnt(0)
	v_mul_f32_e32 v149, v2, v118
	v_mul_f32_e32 v92, v3, v118
	s_waitcnt vmcnt(14)
	v_mul_f32_e32 v118, v4, v117
	v_fmac_f32_e32 v149, v3, v116
	v_add_f32_e32 v3, 0, v140
	v_fma_f32 v116, v2, v116, -v92
	v_add_f32_e32 v2, 0, v143
	v_mul_f32_e32 v92, v5, v117
	s_clause 0x1
	buffer_load_dword v117, off, s[0:3], 0 offset:244
	buffer_load_dword v140, off, s[0:3], 0 offset:252
	v_add_f32_e32 v3, v3, v141
	v_add_f32_e32 v2, v2, v144
	buffer_load_dword v141, off, s[0:3], 0 offset:260
	s_waitcnt vmcnt(13)
	v_fmac_f32_e32 v118, v5, v139
	v_fma_f32 v139, v4, v139, -v92
	v_add_f32_e32 v3, v3, v145
	v_add_f32_e32 v2, v2, v128
	s_clause 0x2
	buffer_load_dword v128, off, s[0:3], 0 offset:268
	buffer_load_dword v143, off, s[0:3], 0 offset:276
	;; [unrolled: 1-line block ×3, first 2 shown]
	v_add_f32_e32 v3, v3, v146
	v_add_f32_e32 v2, v2, v129
	s_clause 0x3
	buffer_load_dword v129, off, s[0:3], 0 offset:292
	buffer_load_dword v145, off, s[0:3], 0 offset:300
	;; [unrolled: 1-line block ×4, first 2 shown]
	v_add_f32_e32 v3, v3, v130
	v_add_f32_e32 v2, v2, v132
	buffer_load_dword v130, off, s[0:3], 0 offset:324
	v_add_f32_e32 v3, v3, v131
	v_add_f32_e32 v2, v2, v133
	s_clause 0x3
	buffer_load_dword v131, off, s[0:3], 0 offset:280
	buffer_load_dword v132, off, s[0:3], 0 offset:272
	;; [unrolled: 1-line block ×4, first 2 shown]
	v_add_f32_e32 v3, v3, v134
	v_add_f32_e32 v2, v2, v6
	;; [unrolled: 1-line block ×4, first 2 shown]
	s_clause 0x4
	buffer_load_dword v6, off, s[0:3], 0 offset:312
	buffer_load_dword v7, off, s[0:3], 0 offset:304
	;; [unrolled: 1-line block ×5, first 2 shown]
	v_add_f32_e32 v3, v3, v8
	buffer_load_dword v8, off, s[0:3], 0 offset:320
	v_add_f32_e32 v2, v2, v104
	v_add_f32_e32 v3, v3, v107
	v_add_f32_e32 v2, v2, v101
	v_add_f32_e32 v92, v3, v105
	v_add_f32_e32 v93, v2, v100
	ds_read2_b64 v[2:5], v1 offset0:67 offset1:68
	v_add_f32_e32 v92, v92, v106
	v_add_f32_e32 v93, v93, v102
	;; [unrolled: 1-line block ×4, first 2 shown]
	ds_read2_b64 v[92:95], v1 offset0:69 offset1:70
	v_add_f32_e32 v96, v96, v115
	v_add_f32_e32 v97, v97, v109
	;; [unrolled: 1-line block ×10, first 2 shown]
	s_waitcnt vmcnt(29) lgkmcnt(1)
	v_mul_f32_e32 v112, v2, v113
	v_mul_f32_e32 v98, v3, v113
	s_waitcnt vmcnt(28)
	v_mul_f32_e32 v113, v4, v114
	v_mul_f32_e32 v99, v5, v114
	v_fmac_f32_e32 v112, v3, v138
	v_fma_f32 v114, v2, v138, -v98
	v_fmac_f32_e32 v113, v5, v137
	v_fma_f32 v115, v4, v137, -v99
	ds_read2_b64 v[2:5], v1 offset0:71 offset1:72
	ds_read2_b64 v[96:99], v1 offset0:73 offset1:74
	s_waitcnt vmcnt(27) lgkmcnt(2)
	v_mul_f32_e32 v124, v92, v111
	v_mul_f32_e32 v102, v93, v111
	v_fmac_f32_e32 v124, v93, v136
	v_add_f32_e32 v93, v101, v126
	v_fma_f32 v120, v92, v136, -v102
	s_waitcnt vmcnt(26)
	v_mul_f32_e32 v125, v94, v121
	v_mul_f32_e32 v103, v95, v121
	v_add_f32_e32 v105, v93, v149
	s_waitcnt vmcnt(22)
	v_fmac_f32_e32 v125, v95, v148
	v_fma_f32 v119, v94, v148, -v103
	v_add_f32_e32 v110, v105, v118
	v_add_f32_e32 v118, v108, v139
	s_waitcnt vmcnt(21) lgkmcnt(1)
	v_mul_f32_e32 v116, v2, v150
	v_mul_f32_e32 v109, v3, v150
	ds_read2_b64 v[92:95], v1 offset0:75 offset1:76
	ds_read2_b64 v[100:103], v1 offset0:77 offset1:78
	ds_read2_b64 v[104:107], v1 offset0:79 offset1:80
	v_fmac_f32_e32 v116, v3, v147
	v_fma_f32 v2, v2, v147, -v109
	v_add_f32_e32 v3, v110, v112
	ds_read2_b64 v[108:111], v1 offset0:81 offset1:82
	v_add_f32_e32 v1, v118, v114
	s_waitcnt vmcnt(20)
	v_mul_f32_e32 v114, v5, v117
	v_add_f32_e32 v3, v3, v113
	v_mul_f32_e32 v112, v4, v117
	v_add_f32_e32 v1, v1, v115
	s_waitcnt vmcnt(19) lgkmcnt(4)
	v_mul_f32_e32 v117, v97, v140
	v_fma_f32 v4, v4, v127, -v114
	v_add_f32_e32 v3, v3, v124
	v_mul_f32_e32 v113, v96, v140
	v_add_f32_e32 v1, v1, v120
	v_fmac_f32_e32 v112, v5, v127
	v_fma_f32 v96, v96, v122, -v117
	v_add_f32_e32 v3, v3, v125
	s_waitcnt vmcnt(18)
	v_mul_f32_e32 v115, v98, v141
	v_add_f32_e32 v1, v1, v119
	v_mul_f32_e32 v119, v99, v141
	v_fmac_f32_e32 v113, v97, v122
	s_waitcnt vmcnt(17) lgkmcnt(3)
	v_mul_f32_e32 v5, v92, v128
	s_waitcnt vmcnt(16)
	v_mul_f32_e32 v114, v94, v143
	v_add_f32_e32 v1, v1, v2
	v_add_f32_e32 v2, v3, v116
	s_waitcnt vmcnt(15) lgkmcnt(2)
	v_mul_f32_e32 v118, v100, v144
	s_waitcnt vmcnt(14)
	v_mul_f32_e32 v120, v102, v129
	s_waitcnt vmcnt(8)
	v_fmac_f32_e32 v114, v95, v132
	v_add_f32_e32 v1, v1, v4
	v_add_f32_e32 v2, v2, v112
	v_mul_f32_e32 v4, v93, v128
	s_waitcnt vmcnt(6)
	v_fma_f32 v97, v98, v152, -v119
	v_fmac_f32_e32 v115, v99, v152
	v_add_f32_e32 v1, v1, v96
	v_add_f32_e32 v2, v2, v113
	v_mul_f32_e32 v96, v95, v143
	v_fma_f32 v4, v92, v133, -v4
	v_fmac_f32_e32 v5, v93, v133
	v_add_f32_e32 v1, v1, v97
	v_add_f32_e32 v2, v2, v115
	v_mul_f32_e32 v92, v101, v144
	;; [unrolled: 5-line block ×3, first 2 shown]
	v_fma_f32 v5, v100, v131, -v92
	s_waitcnt lgkmcnt(1)
	v_mul_f32_e32 v92, v105, v145
	v_add_f32_e32 v1, v1, v93
	v_add_f32_e32 v2, v2, v114
	s_waitcnt vmcnt(2)
	v_fma_f32 v4, v102, v135, -v4
	v_mul_f32_e32 v121, v104, v145
	v_fmac_f32_e32 v120, v103, v135
	v_add_f32_e32 v1, v1, v5
	v_add_f32_e32 v2, v2, v118
	v_mul_f32_e32 v5, v107, v146
	v_fma_f32 v92, v104, v134, -v92
	v_mul_f32_e32 v123, v106, v146
	v_add_f32_e32 v1, v1, v4
	v_fmac_f32_e32 v121, v105, v134
	v_add_f32_e32 v2, v2, v120
	s_waitcnt lgkmcnt(0)
	v_mul_f32_e32 v4, v109, v151
	v_fma_f32 v5, v106, v7, -v5
	v_add_f32_e32 v1, v1, v92
	v_mul_f32_e32 v124, v108, v151
	v_fmac_f32_e32 v123, v107, v7
	v_add_f32_e32 v2, v2, v121
	v_mul_f32_e32 v7, v111, v130
	v_fma_f32 v4, v108, v6, -v4
	v_add_f32_e32 v1, v1, v5
	v_mul_f32_e32 v3, v110, v130
	v_fmac_f32_e32 v124, v109, v6
	v_add_f32_e32 v2, v2, v123
	s_waitcnt vmcnt(0)
	v_fma_f32 v5, v110, v8, -v7
	v_add_f32_e32 v1, v1, v4
	v_fmac_f32_e32 v3, v111, v8
	v_add_f32_e32 v2, v2, v124
	v_add_f32_e32 v1, v1, v5
	;; [unrolled: 1-line block ×3, first 2 shown]
	v_sub_f32_e32 v1, v153, v1
	v_sub_f32_e32 v2, v142, v2
	buffer_store_dword v1, off, s[0:3], 0 offset:32
	buffer_store_dword v2, off, s[0:3], 0 offset:36
	v_cmpx_lt_u32_e32 3, v0
	s_cbranch_execz .LBB40_253
; %bb.252:
	s_clause 0x1
	buffer_load_dword v1, off, s[0:3], 0 offset:24
	buffer_load_dword v2, off, s[0:3], 0 offset:28
	v_mov_b32_e32 v3, 0
	buffer_store_dword v3, off, s[0:3], 0 offset:24
	buffer_store_dword v3, off, s[0:3], 0 offset:28
	s_waitcnt vmcnt(0)
	ds_write_b64 v91, v[1:2]
.LBB40_253:
	s_or_b32 exec_lo, exec_lo, s4
	s_waitcnt lgkmcnt(0)
	s_waitcnt_vscnt null, 0x0
	s_barrier
	buffer_gl0_inv
	s_clause 0x2b
	buffer_load_dword v123, off, s[0:3], 0 offset:36
	buffer_load_dword v2, off, s[0:3], 0 offset:48
	;; [unrolled: 1-line block ×44, first 2 shown]
	v_mov_b32_e32 v1, 0
	ds_read_b128 v[124:127], v1 offset:368
	ds_read_b128 v[128:131], v1 offset:384
	;; [unrolled: 1-line block ×3, first 2 shown]
	buffer_load_dword v142, off, s[0:3], 0 offset:28
	s_mov_b32 s4, exec_lo
	s_waitcnt vmcnt(44) lgkmcnt(2)
	v_mul_f32_e32 v141, v124, v123
	v_mul_f32_e32 v123, v125, v123
	s_waitcnt vmcnt(40)
	v_mul_f32_e32 v144, v126, v92
	v_mul_f32_e32 v92, v127, v92
	v_fmac_f32_e32 v141, v125, v93
	v_fma_f32 v143, v124, v93, -v123
	s_waitcnt vmcnt(39) lgkmcnt(1)
	v_mul_f32_e32 v146, v128, v7
	v_fmac_f32_e32 v144, v127, v5
	v_fma_f32 v145, v126, v5, -v92
	v_mul_f32_e32 v5, v129, v7
	ds_read_b128 v[123:126], v1 offset:416
	v_fmac_f32_e32 v146, v129, v2
	s_waitcnt vmcnt(38)
	v_mul_f32_e32 v148, v130, v4
	v_fma_f32 v147, v128, v2, -v5
	v_mul_f32_e32 v2, v131, v4
	s_waitcnt vmcnt(34)
	v_fmac_f32_e32 v148, v131, v97
	s_waitcnt vmcnt(33) lgkmcnt(1)
	v_mul_f32_e32 v131, v132, v96
	v_fma_f32 v97, v130, v97, -v2
	v_mul_f32_e32 v2, v133, v96
	ds_read_b128 v[127:130], v1 offset:432
	v_fmac_f32_e32 v131, v133, v94
	v_fma_f32 v96, v132, v94, -v2
	s_waitcnt vmcnt(32)
	v_mul_f32_e32 v132, v134, v95
	v_mul_f32_e32 v2, v135, v95
	ds_read_b128 v[92:95], v1 offset:464
	v_fmac_f32_e32 v132, v135, v6
	v_fma_f32 v133, v134, v6, -v2
	s_waitcnt vmcnt(31) lgkmcnt(2)
	v_mul_f32_e32 v2, v124, v8
	ds_read_b128 v[4:7], v1 offset:448
	v_mul_f32_e32 v134, v123, v8
	v_fma_f32 v8, v123, v3, -v2
	s_waitcnt vmcnt(30)
	v_mul_f32_e32 v2, v126, v98
	v_mul_f32_e32 v123, v125, v98
	v_fmac_f32_e32 v134, v124, v3
	s_waitcnt vmcnt(24) lgkmcnt(2)
	v_mul_f32_e32 v124, v129, v103
	v_fma_f32 v98, v125, v106, -v2
	v_mul_f32_e32 v2, v128, v105
	v_fmac_f32_e32 v123, v126, v106
	v_mul_f32_e32 v106, v127, v105
	v_fmac_f32_e32 v124, v130, v100
	v_fma_f32 v105, v127, v102, -v2
	v_mul_f32_e32 v2, v130, v103
	v_fmac_f32_e32 v106, v128, v102
	s_waitcnt vmcnt(23) lgkmcnt(0)
	v_mul_f32_e32 v126, v4, v101
	s_waitcnt vmcnt(22)
	v_mul_f32_e32 v127, v6, v104
	v_fma_f32 v125, v129, v100, -v2
	v_mul_f32_e32 v2, v5, v101
	ds_read_b128 v[100:103], v1 offset:480
	v_fmac_f32_e32 v126, v5, v99
	s_waitcnt vmcnt(18)
	v_fmac_f32_e32 v127, v7, v115
	v_fma_f32 v99, v4, v99, -v2
	v_mul_f32_e32 v2, v7, v104
	s_waitcnt vmcnt(17)
	v_mul_f32_e32 v7, v92, v114
	s_waitcnt vmcnt(16)
	v_mul_f32_e32 v104, v94, v113
	v_mul_f32_e32 v113, v95, v113
	v_fma_f32 v6, v6, v115, -v2
	v_mul_f32_e32 v2, v93, v114
	v_fmac_f32_e32 v7, v93, v111
	v_fmac_f32_e32 v104, v95, v108
	v_fma_f32 v108, v94, v108, -v113
	v_add_f32_e32 v94, 0, v141
	v_fma_f32 v111, v92, v111, -v2
	ds_read_b128 v[2:5], v1 offset:496
	s_clause 0x2
	buffer_load_dword v113, off, s[0:3], 0 offset:204
	buffer_load_dword v114, off, s[0:3], 0 offset:212
	;; [unrolled: 1-line block ×3, first 2 shown]
	s_waitcnt vmcnt(18) lgkmcnt(1)
	v_mul_f32_e32 v115, v100, v109
	v_mul_f32_e32 v92, v101, v109
	s_waitcnt vmcnt(17)
	v_mul_f32_e32 v109, v102, v112
	v_mul_f32_e32 v93, v103, v112
	v_fmac_f32_e32 v115, v101, v107
	v_fma_f32 v100, v100, v107, -v92
	s_waitcnt vmcnt(13)
	v_fmac_f32_e32 v109, v103, v122
	v_fma_f32 v101, v102, v122, -v93
	v_add_f32_e32 v103, v94, v144
	ds_read_b128 v[92:95], v1 offset:512
	v_add_f32_e32 v102, 0, v143
	v_add_f32_e32 v103, v103, v146
	;; [unrolled: 1-line block ×3, first 2 shown]
	s_waitcnt vmcnt(12) lgkmcnt(1)
	v_mul_f32_e32 v107, v2, v121
	v_mul_f32_e32 v112, v3, v121
	s_clause 0x3
	buffer_load_dword v121, off, s[0:3], 0 offset:240
	buffer_load_dword v122, off, s[0:3], 0 offset:232
	;; [unrolled: 1-line block ×4, first 2 shown]
	v_fmac_f32_e32 v107, v3, v120
	v_fma_f32 v112, v2, v120, -v112
	s_clause 0x1
	buffer_load_dword v120, off, s[0:3], 0 offset:228
	buffer_load_dword v135, off, s[0:3], 0 offset:236
	v_add_f32_e32 v2, v102, v147
	v_add_f32_e32 v3, v103, v148
	s_waitcnt vmcnt(17)
	v_mul_f32_e32 v102, v4, v119
	v_mul_f32_e32 v103, v5, v119
	buffer_load_dword v119, off, s[0:3], 0 offset:244
	v_add_f32_e32 v2, v2, v97
	v_add_f32_e32 v3, v3, v131
	v_fmac_f32_e32 v102, v5, v117
	v_fma_f32 v103, v4, v117, -v103
	s_clause 0x3
	buffer_load_dword v117, off, s[0:3], 0 offset:252
	buffer_load_dword v131, off, s[0:3], 0 offset:260
	;; [unrolled: 1-line block ×4, first 2 shown]
	v_add_f32_e32 v96, v2, v96
	v_add_f32_e32 v97, v3, v132
	ds_read_b128 v[2:5], v1 offset:528
	s_waitcnt vmcnt(21) lgkmcnt(1)
	v_mul_f32_e32 v132, v92, v116
	v_mul_f32_e32 v116, v93, v116
	v_add_f32_e32 v96, v96, v133
	v_add_f32_e32 v97, v97, v134
	s_waitcnt vmcnt(20)
	v_mul_f32_e32 v133, v94, v118
	v_fmac_f32_e32 v132, v93, v110
	v_fma_f32 v110, v92, v110, -v116
	v_add_f32_e32 v8, v96, v8
	v_add_f32_e32 v92, v97, v123
	v_mul_f32_e32 v96, v95, v118
	s_clause 0x4
	buffer_load_dword v116, off, s[0:3], 0 offset:284
	buffer_load_dword v118, off, s[0:3], 0 offset:292
	;; [unrolled: 1-line block ×5, first 2 shown]
	v_add_f32_e32 v8, v8, v98
	s_clause 0x4
	buffer_load_dword v145, off, s[0:3], 0 offset:272
	buffer_load_dword v146, off, s[0:3], 0 offset:264
	;; [unrolled: 1-line block ×5, first 2 shown]
	v_add_f32_e32 v92, v92, v106
	s_waitcnt vmcnt(26)
	v_fmac_f32_e32 v133, v95, v139
	v_fma_f32 v139, v94, v139, -v96
	v_add_f32_e32 v8, v8, v105
	v_add_f32_e32 v92, v92, v124
	s_waitcnt vmcnt(25) lgkmcnt(0)
	v_mul_f32_e32 v97, v3, v140
	v_mul_f32_e32 v124, v2, v140
	v_add_f32_e32 v8, v8, v125
	v_add_f32_e32 v96, v92, v126
	ds_read_b128 v[92:95], v1 offset:544
	v_fma_f32 v105, v2, v138, -v97
	v_add_f32_e32 v8, v8, v99
	v_fmac_f32_e32 v124, v3, v138
	v_add_f32_e32 v96, v96, v127
	v_add_f32_e32 v2, v8, v6
	s_clause 0x3
	buffer_load_dword v8, off, s[0:3], 0 offset:304
	buffer_load_dword v125, off, s[0:3], 0 offset:296
	;; [unrolled: 1-line block ×4, first 2 shown]
	v_add_f32_e32 v3, v96, v7
	v_add_f32_e32 v2, v2, v111
	s_clause 0x1
	buffer_load_dword v111, off, s[0:3], 0 offset:320
	buffer_load_dword v138, off, s[0:3], 0 offset:312
	v_add_f32_e32 v3, v3, v104
	ds_read_b128 v[96:99], v1 offset:576
	v_add_f32_e32 v2, v2, v108
	buffer_load_dword v108, off, s[0:3], 0 offset:24
	v_add_f32_e32 v6, v3, v115
	v_add_f32_e32 v7, v2, v100
	;; [unrolled: 1-line block ×11, first 2 shown]
	s_waitcnt vmcnt(30)
	v_mul_f32_e32 v115, v4, v113
	v_mul_f32_e32 v3, v5, v113
	s_waitcnt vmcnt(29) lgkmcnt(1)
	v_mul_f32_e32 v100, v93, v114
	v_mul_f32_e32 v109, v92, v114
	s_waitcnt vmcnt(28)
	v_mul_f32_e32 v101, v95, v128
	v_fmac_f32_e32 v115, v5, v137
	v_fma_f32 v113, v4, v137, -v3
	ds_read_b128 v[2:5], v1 offset:560
	v_fma_f32 v112, v92, v136, -v100
	v_mul_f32_e32 v114, v94, v128
	v_fmac_f32_e32 v109, v93, v136
	s_waitcnt vmcnt(24)
	v_fma_f32 v128, v94, v130, -v101
	v_fmac_f32_e32 v114, v95, v130
	ds_read_b128 v[92:95], v1 offset:592
	ds_read_b128 v[100:103], v1 offset:608
	s_waitcnt vmcnt(23) lgkmcnt(2)
	v_mul_f32_e32 v110, v2, v120
	v_mul_f32_e32 v104, v3, v120
	s_waitcnt vmcnt(22)
	v_mul_f32_e32 v120, v4, v135
	v_mul_f32_e32 v130, v5, v135
	v_fmac_f32_e32 v110, v3, v129
	v_fma_f32 v129, v2, v129, -v104
	v_add_f32_e32 v2, v6, v133
	v_add_f32_e32 v6, v7, v105
	v_fmac_f32_e32 v120, v5, v122
	v_fma_f32 v122, v4, v122, -v130
	s_waitcnt vmcnt(21)
	v_mul_f32_e32 v130, v96, v119
	v_add_f32_e32 v124, v2, v124
	v_add_f32_e32 v113, v6, v113
	ds_read_b128 v[104:107], v1 offset:624
	ds_read_b128 v[2:5], v1 offset:640
	v_fmac_f32_e32 v130, v97, v121
	v_add_f32_e32 v115, v124, v115
	v_add_f32_e32 v112, v113, v112
	v_mul_f32_e32 v113, v97, v119
	s_waitcnt vmcnt(20)
	v_mul_f32_e32 v124, v98, v117
	v_mul_f32_e32 v117, v99, v117
	v_add_f32_e32 v109, v115, v109
	v_add_f32_e32 v112, v112, v128
	v_fma_f32 v96, v96, v121, -v113
	s_waitcnt vmcnt(19) lgkmcnt(3)
	v_mul_f32_e32 v115, v92, v131
	v_mul_f32_e32 v121, v93, v131
	v_add_f32_e32 v109, v109, v114
	v_add_f32_e32 v112, v112, v129
	s_waitcnt vmcnt(8)
	v_fma_f32 v98, v98, v148, -v117
	v_fmac_f32_e32 v124, v99, v148
	v_fmac_f32_e32 v115, v93, v147
	v_add_f32_e32 v109, v109, v110
	v_add_f32_e32 v112, v112, v122
	v_fma_f32 v92, v92, v147, -v121
	v_mul_f32_e32 v119, v94, v141
	s_waitcnt lgkmcnt(2)
	v_mul_f32_e32 v128, v100, v143
	v_add_f32_e32 v109, v109, v120
	v_add_f32_e32 v96, v112, v96
	v_mul_f32_e32 v114, v102, v116
	v_fmac_f32_e32 v119, v95, v146
	v_fmac_f32_e32 v128, v101, v145
	v_add_f32_e32 v99, v109, v130
	v_mul_f32_e32 v109, v95, v141
	v_add_f32_e32 v93, v96, v98
	v_mul_f32_e32 v98, v101, v143
	v_mul_f32_e32 v95, v103, v116
	v_add_f32_e32 v96, v99, v124
	v_fma_f32 v94, v94, v146, -v109
	v_add_f32_e32 v92, v93, v92
	ds_read_b64 v[6:7], v1 offset:656
	s_waitcnt vmcnt(3)
	v_fma_f32 v95, v102, v127, -v95
	v_add_f32_e32 v93, v96, v115
	v_fma_f32 v96, v100, v145, -v98
	v_add_f32_e32 v92, v92, v94
	s_waitcnt lgkmcnt(2)
	v_mul_f32_e32 v94, v105, v118
	v_mul_f32_e32 v129, v104, v118
	v_add_f32_e32 v93, v93, v119
	v_fmac_f32_e32 v114, v103, v127
	v_add_f32_e32 v92, v92, v96
	v_mul_f32_e32 v96, v107, v123
	v_fma_f32 v94, v104, v126, -v94
	v_add_f32_e32 v93, v93, v128
	v_mul_f32_e32 v97, v106, v123
	v_add_f32_e32 v92, v92, v95
	v_fmac_f32_e32 v129, v105, v126
	s_waitcnt lgkmcnt(1)
	v_mul_f32_e32 v110, v2, v134
	v_add_f32_e32 v93, v93, v114
	v_mul_f32_e32 v95, v3, v134
	v_fma_f32 v96, v106, v125, -v96
	v_add_f32_e32 v92, v92, v94
	v_fmac_f32_e32 v97, v107, v125
	v_add_f32_e32 v93, v93, v129
	v_mul_f32_e32 v94, v5, v144
	v_fmac_f32_e32 v110, v3, v8
	v_fma_f32 v2, v2, v8, -v95
	v_add_f32_e32 v3, v92, v96
	v_mul_f32_e32 v113, v4, v144
	v_add_f32_e32 v8, v93, v97
	s_waitcnt lgkmcnt(0)
	v_mul_f32_e32 v92, v7, v149
	s_waitcnt vmcnt(1)
	v_fma_f32 v4, v4, v138, -v94
	v_add_f32_e32 v2, v3, v2
	v_mul_f32_e32 v120, v6, v149
	v_fmac_f32_e32 v113, v5, v138
	v_add_f32_e32 v3, v8, v110
	v_fma_f32 v5, v6, v111, -v92
	v_add_f32_e32 v2, v2, v4
	v_fmac_f32_e32 v120, v7, v111
	v_add_f32_e32 v3, v3, v113
	v_add_f32_e32 v2, v2, v5
	;; [unrolled: 1-line block ×3, first 2 shown]
	s_waitcnt vmcnt(0)
	v_sub_f32_e32 v2, v108, v2
	v_sub_f32_e32 v3, v142, v3
	buffer_store_dword v2, off, s[0:3], 0 offset:24
	buffer_store_dword v3, off, s[0:3], 0 offset:28
	v_cmpx_lt_u32_e32 2, v0
	s_cbranch_execz .LBB40_255
; %bb.254:
	s_clause 0x1
	buffer_load_dword v2, off, s[0:3], 0 offset:16
	buffer_load_dword v3, off, s[0:3], 0 offset:20
	buffer_store_dword v1, off, s[0:3], 0 offset:16
	buffer_store_dword v1, off, s[0:3], 0 offset:20
	s_waitcnt vmcnt(0)
	ds_write_b64 v91, v[2:3]
.LBB40_255:
	s_or_b32 exec_lo, exec_lo, s4
	s_waitcnt lgkmcnt(0)
	s_waitcnt_vscnt null, 0x0
	s_barrier
	buffer_gl0_inv
	s_clause 0x2b
	buffer_load_dword v123, off, s[0:3], 0 offset:28
	buffer_load_dword v2, off, s[0:3], 0 offset:40
	;; [unrolled: 1-line block ×44, first 2 shown]
	ds_read2_b64 v[124:127], v1 offset0:45 offset1:46
	ds_read2_b64 v[128:131], v1 offset0:47 offset1:48
	;; [unrolled: 1-line block ×3, first 2 shown]
	buffer_load_dword v142, off, s[0:3], 0 offset:20
	s_mov_b32 s4, exec_lo
	s_waitcnt vmcnt(44) lgkmcnt(2)
	v_mul_f32_e32 v141, v124, v123
	v_mul_f32_e32 v123, v125, v123
	s_waitcnt vmcnt(40)
	v_mul_f32_e32 v144, v126, v92
	v_mul_f32_e32 v92, v127, v92
	s_waitcnt vmcnt(39) lgkmcnt(1)
	v_mul_f32_e32 v146, v128, v7
	v_fmac_f32_e32 v141, v125, v93
	v_fma_f32 v143, v124, v93, -v123
	v_fmac_f32_e32 v144, v127, v5
	v_fma_f32 v145, v126, v5, -v92
	v_mul_f32_e32 v5, v129, v7
	ds_read2_b64 v[123:126], v1 offset0:51 offset1:52
	v_fmac_f32_e32 v146, v129, v2
	s_waitcnt vmcnt(38)
	v_mul_f32_e32 v148, v130, v4
	v_fma_f32 v147, v128, v2, -v5
	v_mul_f32_e32 v2, v131, v4
	s_waitcnt vmcnt(34)
	v_fmac_f32_e32 v148, v131, v97
	s_waitcnt vmcnt(33) lgkmcnt(1)
	v_mul_f32_e32 v131, v132, v96
	v_fma_f32 v97, v130, v97, -v2
	v_mul_f32_e32 v2, v133, v96
	ds_read2_b64 v[127:130], v1 offset0:53 offset1:54
	v_fmac_f32_e32 v131, v133, v94
	v_fma_f32 v96, v132, v94, -v2
	s_waitcnt vmcnt(32)
	v_mul_f32_e32 v132, v134, v95
	v_mul_f32_e32 v2, v135, v95
	ds_read2_b64 v[92:95], v1 offset0:57 offset1:58
	v_fmac_f32_e32 v132, v135, v6
	v_fma_f32 v133, v134, v6, -v2
	ds_read2_b64 v[4:7], v1 offset0:55 offset1:56
	s_waitcnt vmcnt(31) lgkmcnt(3)
	v_mul_f32_e32 v2, v124, v8
	v_mul_f32_e32 v134, v123, v8
	s_waitcnt vmcnt(30)
	v_mul_f32_e32 v135, v125, v98
	v_fma_f32 v8, v123, v3, -v2
	v_mul_f32_e32 v2, v126, v98
	s_waitcnt vmcnt(26)
	v_fmac_f32_e32 v135, v126, v106
	v_fmac_f32_e32 v134, v124, v3
	s_waitcnt vmcnt(24) lgkmcnt(2)
	v_mul_f32_e32 v3, v130, v104
	v_fma_f32 v98, v125, v106, -v2
	v_mul_f32_e32 v106, v127, v105
	v_mul_f32_e32 v2, v128, v105
	;; [unrolled: 1-line block ×3, first 2 shown]
	ds_read2_b64 v[123:126], v1 offset0:59 offset1:60
	v_fmac_f32_e32 v106, v128, v102
	v_fma_f32 v102, v127, v102, -v2
	s_waitcnt vmcnt(23) lgkmcnt(1)
	v_mul_f32_e32 v104, v4, v101
	v_mul_f32_e32 v2, v5, v101
	s_waitcnt vmcnt(22)
	v_mul_f32_e32 v101, v6, v103
	v_fmac_f32_e32 v105, v130, v100
	v_fma_f32 v100, v129, v100, -v3
	v_fmac_f32_e32 v104, v5, v99
	v_fma_f32 v99, v4, v99, -v2
	v_mul_f32_e32 v2, v7, v103
	s_waitcnt vmcnt(18)
	v_fmac_f32_e32 v101, v7, v116
	s_clause 0x1
	buffer_load_dword v7, off, s[0:3], 0 offset:196
	buffer_load_dword v103, off, s[0:3], 0 offset:204
	s_waitcnt vmcnt(18)
	v_mul_f32_e32 v3, v95, v113
	v_fma_f32 v6, v6, v116, -v2
	v_mul_f32_e32 v116, v92, v114
	v_mul_f32_e32 v2, v93, v114
	;; [unrolled: 1-line block ×3, first 2 shown]
	s_waitcnt vmcnt(17) lgkmcnt(0)
	v_mul_f32_e32 v113, v123, v112
	v_mul_f32_e32 v112, v124, v112
	v_fmac_f32_e32 v116, v93, v110
	v_fma_f32 v110, v92, v110, -v2
	s_waitcnt vmcnt(16)
	v_mul_f32_e32 v127, v125, v117
	v_mul_f32_e32 v92, v126, v117
	v_fmac_f32_e32 v114, v95, v109
	v_fma_f32 v109, v94, v109, -v3
	ds_read2_b64 v[2:5], v1 offset0:61 offset1:62
	v_fmac_f32_e32 v113, v124, v107
	v_fma_f32 v107, v123, v107, -v112
	s_waitcnt vmcnt(12)
	v_fmac_f32_e32 v127, v126, v122
	v_fma_f32 v112, v125, v122, -v92
	s_clause 0x7
	buffer_load_dword v117, off, s[0:3], 0 offset:212
	buffer_load_dword v122, off, s[0:3], 0 offset:232
	;; [unrolled: 1-line block ×8, first 2 shown]
	v_add_f32_e32 v92, 0, v141
	v_add_f32_e32 v93, 0, v143
	;; [unrolled: 1-line block ×6, first 2 shown]
	s_waitcnt vmcnt(19) lgkmcnt(0)
	v_mul_f32_e32 v141, v2, v121
	v_mul_f32_e32 v121, v3, v121
	v_add_f32_e32 v130, v92, v148
	v_add_f32_e32 v97, v93, v97
	ds_read2_b64 v[92:95], v1 offset0:63 offset1:64
	v_fmac_f32_e32 v141, v3, v119
	v_fma_f32 v119, v2, v119, -v121
	v_add_f32_e32 v130, v130, v131
	v_add_f32_e32 v96, v97, v96
	s_waitcnt vmcnt(18)
	v_mul_f32_e32 v131, v4, v120
	v_mul_f32_e32 v97, v5, v120
	v_add_f32_e32 v3, v130, v132
	v_add_f32_e32 v96, v96, v133
	v_fmac_f32_e32 v131, v5, v118
	v_fma_f32 v118, v4, v118, -v97
	v_add_f32_e32 v2, v3, v134
	v_add_f32_e32 v3, v96, v8
	s_clause 0x7
	buffer_load_dword v8, off, s[0:3], 0 offset:244
	buffer_load_dword v120, off, s[0:3], 0 offset:252
	;; [unrolled: 1-line block ×8, first 2 shown]
	v_add_f32_e32 v2, v2, v135
	v_add_f32_e32 v3, v3, v98
	s_waitcnt vmcnt(25) lgkmcnt(0)
	v_mul_f32_e32 v144, v92, v115
	v_mul_f32_e32 v4, v93, v115
	s_clause 0x3
	buffer_load_dword v115, off, s[0:3], 0 offset:276
	buffer_load_dword v135, off, s[0:3], 0 offset:284
	;; [unrolled: 1-line block ×4, first 2 shown]
	v_add_f32_e32 v2, v2, v106
	s_clause 0x1
	buffer_load_dword v147, off, s[0:3], 0 offset:308
	buffer_load_dword v148, off, s[0:3], 0 offset:316
	v_fmac_f32_e32 v144, v93, v108
	v_fma_f32 v108, v92, v108, -v4
	v_add_f32_e32 v92, v3, v102
	s_waitcnt vmcnt(30)
	v_mul_f32_e32 v3, v95, v111
	v_mul_f32_e32 v106, v94, v111
	v_add_f32_e32 v93, v2, v105
	buffer_load_dword v149, off, s[0:3], 0 offset:324
	v_add_f32_e32 v92, v92, v100
	s_waitcnt vmcnt(27)
	v_fma_f32 v105, v94, v139, -v3
	ds_read2_b64 v[2:5], v1 offset0:65 offset1:66
	v_fmac_f32_e32 v106, v95, v139
	v_add_f32_e32 v93, v93, v104
	s_clause 0x3
	buffer_load_dword v139, off, s[0:3], 0 offset:296
	buffer_load_dword v150, off, s[0:3], 0 offset:288
	;; [unrolled: 1-line block ×4, first 2 shown]
	v_add_f32_e32 v92, v92, v99
	v_add_f32_e32 v93, v93, v101
	;; [unrolled: 1-line block ×4, first 2 shown]
	ds_read2_b64 v[92:95], v1 offset0:67 offset1:68
	v_add_f32_e32 v6, v6, v110
	v_add_f32_e32 v96, v96, v114
	s_waitcnt vmcnt(30) lgkmcnt(1)
	v_mul_f32_e32 v104, v2, v140
	v_mul_f32_e32 v97, v3, v140
	v_fmac_f32_e32 v104, v3, v138
	v_fma_f32 v110, v2, v138, -v97
	v_add_f32_e32 v2, v6, v109
	v_add_f32_e32 v3, v96, v113
	s_clause 0x3
	buffer_load_dword v6, off, s[0:3], 0 offset:320
	buffer_load_dword v113, off, s[0:3], 0 offset:312
	;; [unrolled: 1-line block ×4, first 2 shown]
	v_add_f32_e32 v2, v2, v107
	v_add_f32_e32 v3, v3, v127
	;; [unrolled: 1-line block ×6, first 2 shown]
	ds_read2_b64 v[96:99], v1 offset0:71 offset1:72
	v_add_f32_e32 v101, v101, v118
	v_add_f32_e32 v111, v100, v144
	v_add_f32_e32 v108, v101, v108
	v_add_f32_e32 v106, v111, v106
	v_add_f32_e32 v105, v108, v105
	v_add_f32_e32 v104, v106, v104
	s_waitcnt vmcnt(32)
	v_mul_f32_e32 v107, v4, v7
	v_mul_f32_e32 v7, v5, v7
	s_waitcnt vmcnt(31) lgkmcnt(1)
	v_mul_f32_e32 v109, v92, v103
	v_mul_f32_e32 v102, v93, v103
	v_fmac_f32_e32 v107, v5, v137
	v_fma_f32 v7, v4, v137, -v7
	ds_read2_b64 v[2:5], v1 offset0:69 offset1:70
	v_fmac_f32_e32 v109, v93, v136
	s_waitcnt vmcnt(30)
	v_mul_f32_e32 v112, v94, v117
	v_mul_f32_e32 v103, v95, v117
	v_fma_f32 v117, v92, v136, -v102
	s_waitcnt vmcnt(26)
	v_fmac_f32_e32 v112, v95, v125
	v_fma_f32 v118, v94, v125, -v103
	ds_read2_b64 v[92:95], v1 offset0:73 offset1:74
	ds_read2_b64 v[100:103], v1 offset0:75 offset1:76
	s_waitcnt vmcnt(23) lgkmcnt(3)
	v_mul_f32_e32 v127, v97, v129
	s_waitcnt lgkmcnt(2)
	v_mul_f32_e32 v119, v2, v126
	v_mul_f32_e32 v108, v3, v126
	;; [unrolled: 1-line block ×5, first 2 shown]
	v_fmac_f32_e32 v119, v3, v124
	v_fma_f32 v124, v2, v124, -v108
	v_add_f32_e32 v108, v105, v110
	v_add_f32_e32 v110, v104, v107
	v_fmac_f32_e32 v125, v5, v123
	v_fma_f32 v123, v4, v123, -v111
	ds_read2_b64 v[2:5], v1 offset0:77 offset1:78
	ds_read2_b64 v[104:107], v1 offset0:79 offset1:80
	v_add_f32_e32 v7, v108, v7
	v_fmac_f32_e32 v126, v97, v122
	v_add_f32_e32 v97, v110, v109
	ds_read2_b64 v[108:111], v1 offset0:81 offset1:82
	v_fma_f32 v96, v96, v122, -v127
	v_add_f32_e32 v1, v7, v117
	v_add_f32_e32 v97, v97, v112
	s_waitcnt vmcnt(22)
	v_mul_f32_e32 v7, v98, v8
	v_add_f32_e32 v1, v1, v118
	v_mul_f32_e32 v8, v99, v8
	v_add_f32_e32 v97, v97, v119
	s_waitcnt vmcnt(21) lgkmcnt(4)
	v_mul_f32_e32 v118, v93, v120
	v_mul_f32_e32 v112, v92, v120
	v_add_f32_e32 v1, v1, v124
	s_waitcnt vmcnt(15)
	v_fma_f32 v8, v98, v143, -v8
	v_add_f32_e32 v97, v97, v125
	v_fmac_f32_e32 v7, v99, v143
	v_mul_f32_e32 v117, v94, v121
	v_add_f32_e32 v1, v1, v123
	v_mul_f32_e32 v121, v95, v121
	v_fma_f32 v92, v92, v134, -v118
	v_fmac_f32_e32 v112, v93, v134
	s_waitcnt lgkmcnt(3)
	v_mul_f32_e32 v98, v100, v130
	v_add_f32_e32 v1, v1, v96
	v_add_f32_e32 v96, v97, v126
	v_fma_f32 v93, v94, v133, -v121
	v_fmac_f32_e32 v117, v95, v133
	s_waitcnt vmcnt(14)
	v_mul_f32_e32 v99, v102, v115
	v_add_f32_e32 v1, v1, v8
	v_add_f32_e32 v7, v96, v7
	v_mul_f32_e32 v8, v101, v130
	v_fmac_f32_e32 v98, v101, v132
	s_waitcnt vmcnt(13) lgkmcnt(2)
	v_mul_f32_e32 v119, v2, v135
	v_add_f32_e32 v1, v1, v92
	v_add_f32_e32 v7, v7, v112
	v_mul_f32_e32 v92, v103, v115
	v_fma_f32 v8, v100, v132, -v8
	s_waitcnt vmcnt(4)
	v_fmac_f32_e32 v99, v103, v152
	v_add_f32_e32 v1, v1, v93
	v_add_f32_e32 v7, v7, v117
	v_mul_f32_e32 v93, v3, v135
	v_fma_f32 v92, v102, v152, -v92
	v_mul_f32_e32 v120, v4, v145
	v_add_f32_e32 v1, v1, v8
	v_add_f32_e32 v7, v7, v98
	v_mul_f32_e32 v8, v5, v145
	v_fma_f32 v2, v2, v151, -v93
	v_fmac_f32_e32 v119, v3, v151
	v_add_f32_e32 v1, v1, v92
	v_add_f32_e32 v3, v7, v99
	s_waitcnt lgkmcnt(1)
	v_mul_f32_e32 v7, v105, v146
	v_fma_f32 v4, v4, v150, -v8
	v_mul_f32_e32 v122, v104, v146
	v_add_f32_e32 v1, v1, v2
	v_fmac_f32_e32 v120, v5, v150
	v_add_f32_e32 v2, v3, v119
	v_mul_f32_e32 v3, v107, v147
	v_fma_f32 v5, v104, v139, -v7
	v_add_f32_e32 v1, v1, v4
	v_mul_f32_e32 v123, v106, v147
	v_fmac_f32_e32 v122, v105, v139
	v_add_f32_e32 v2, v2, v120
	s_waitcnt lgkmcnt(0)
	v_mul_f32_e32 v4, v109, v148
	s_waitcnt vmcnt(1)
	v_fma_f32 v3, v106, v114, -v3
	v_add_f32_e32 v1, v1, v5
	v_mul_f32_e32 v124, v108, v148
	v_fmac_f32_e32 v123, v107, v114
	v_add_f32_e32 v2, v2, v122
	v_mul_f32_e32 v5, v111, v149
	v_fma_f32 v4, v108, v113, -v4
	v_add_f32_e32 v1, v1, v3
	v_mul_f32_e32 v97, v110, v149
	v_fmac_f32_e32 v124, v109, v113
	v_add_f32_e32 v2, v2, v123
	v_fma_f32 v3, v110, v6, -v5
	v_add_f32_e32 v1, v1, v4
	v_fmac_f32_e32 v97, v111, v6
	v_add_f32_e32 v2, v2, v124
	v_add_f32_e32 v1, v1, v3
	;; [unrolled: 1-line block ×3, first 2 shown]
	s_waitcnt vmcnt(0)
	v_sub_f32_e32 v1, v116, v1
	v_sub_f32_e32 v2, v142, v2
	buffer_store_dword v1, off, s[0:3], 0 offset:16
	buffer_store_dword v2, off, s[0:3], 0 offset:20
	v_cmpx_lt_u32_e32 1, v0
	s_cbranch_execz .LBB40_257
; %bb.256:
	s_clause 0x1
	buffer_load_dword v1, off, s[0:3], 0 offset:8
	buffer_load_dword v2, off, s[0:3], 0 offset:12
	v_mov_b32_e32 v3, 0
	buffer_store_dword v3, off, s[0:3], 0 offset:8
	buffer_store_dword v3, off, s[0:3], 0 offset:12
	s_waitcnt vmcnt(0)
	ds_write_b64 v91, v[1:2]
.LBB40_257:
	s_or_b32 exec_lo, exec_lo, s4
	s_waitcnt lgkmcnt(0)
	s_waitcnt_vscnt null, 0x0
	s_barrier
	buffer_gl0_inv
	s_clause 0x2c
	buffer_load_dword v122, off, s[0:3], 0 offset:20
	buffer_load_dword v123, off, s[0:3], 0 offset:28
	;; [unrolled: 1-line block ×45, first 2 shown]
	v_mov_b32_e32 v1, 0
	ds_read_b128 v[124:127], v1 offset:352
	ds_read_b128 v[128:131], v1 offset:368
	buffer_load_dword v140, off, s[0:3], 0 offset:12
	s_mov_b32 s4, exec_lo
	s_waitcnt vmcnt(45) lgkmcnt(1)
	v_mul_f32_e32 v138, v124, v122
	v_mul_f32_e32 v122, v125, v122
	s_waitcnt vmcnt(44)
	v_mul_f32_e32 v139, v126, v123
	v_mul_f32_e32 v123, v127, v123
	s_waitcnt vmcnt(41)
	v_fmac_f32_e32 v138, v125, v93
	v_fma_f32 v141, v124, v93, -v122
	s_waitcnt vmcnt(40) lgkmcnt(0)
	v_mul_f32_e32 v143, v128, v4
	v_fma_f32 v142, v126, v7, -v123
	ds_read_b128 v[122:125], v1 offset:384
	s_waitcnt vmcnt(39)
	v_mul_f32_e32 v144, v130, v5
	v_mul_f32_e32 v4, v129, v4
	v_fmac_f32_e32 v139, v127, v7
	v_mul_f32_e32 v5, v131, v5
	v_fmac_f32_e32 v143, v129, v2
	s_waitcnt vmcnt(35)
	v_fmac_f32_e32 v144, v131, v96
	v_fma_f32 v131, v128, v2, -v4
	ds_read_b128 v[126:129], v1 offset:400
	v_fma_f32 v96, v130, v96, -v5
	s_waitcnt vmcnt(34) lgkmcnt(1)
	v_mul_f32_e32 v130, v122, v95
	v_mul_f32_e32 v2, v123, v95
	s_waitcnt vmcnt(33)
	v_mul_f32_e32 v145, v124, v94
	v_mul_f32_e32 v4, v125, v94
	v_fmac_f32_e32 v130, v123, v92
	v_fma_f32 v122, v122, v92, -v2
	v_fmac_f32_e32 v145, v125, v6
	v_fma_f32 v123, v124, v6, -v4
	ds_read_b128 v[4:7], v1 offset:416
	s_waitcnt vmcnt(32) lgkmcnt(1)
	v_mul_f32_e32 v124, v126, v8
	v_mul_f32_e32 v2, v127, v8
	s_waitcnt vmcnt(31)
	v_mul_f32_e32 v8, v128, v97
	v_mul_f32_e32 v92, v129, v97
	v_fmac_f32_e32 v124, v127, v3
	v_fma_f32 v97, v126, v3, -v2
	s_waitcnt vmcnt(27)
	v_fmac_f32_e32 v8, v129, v105
	v_fma_f32 v105, v128, v105, -v92
	ds_read_b128 v[92:95], v1 offset:432
	buffer_load_dword v129, off, s[0:3], 0 offset:204
	s_waitcnt vmcnt(27) lgkmcnt(1)
	v_mul_f32_e32 v125, v4, v103
	v_mul_f32_e32 v2, v5, v103
	s_waitcnt vmcnt(26)
	v_mul_f32_e32 v103, v6, v102
	v_mul_f32_e32 v3, v7, v102
	v_fmac_f32_e32 v125, v5, v101
	v_fma_f32 v101, v4, v101, -v2
	v_fmac_f32_e32 v103, v7, v99
	v_fma_f32 v6, v6, v99, -v3
	ds_read_b128 v[2:5], v1 offset:448
	s_waitcnt vmcnt(25) lgkmcnt(1)
	v_mul_f32_e32 v7, v92, v100
	v_mul_f32_e32 v99, v93, v100
	s_waitcnt vmcnt(24)
	v_mul_f32_e32 v100, v94, v104
	v_mul_f32_e32 v102, v95, v104
	v_fmac_f32_e32 v7, v93, v98
	v_fma_f32 v98, v92, v98, -v99
	s_waitcnt vmcnt(20)
	v_fmac_f32_e32 v100, v95, v113
	v_fma_f32 v99, v94, v113, -v102
	ds_read_b128 v[92:95], v1 offset:464
	s_waitcnt vmcnt(19) lgkmcnt(1)
	v_mul_f32_e32 v102, v2, v111
	v_mul_f32_e32 v104, v3, v111
	s_waitcnt vmcnt(18)
	v_mul_f32_e32 v111, v4, v110
	v_mul_f32_e32 v110, v5, v110
	v_fmac_f32_e32 v102, v3, v109
	v_fma_f32 v104, v2, v109, -v104
	v_fmac_f32_e32 v111, v5, v107
	v_fma_f32 v107, v4, v107, -v110
	ds_read_b128 v[2:5], v1 offset:480
	s_waitcnt vmcnt(17) lgkmcnt(1)
	v_mul_f32_e32 v109, v92, v108
	v_mul_f32_e32 v108, v93, v108
	s_waitcnt vmcnt(16)
	v_mul_f32_e32 v110, v94, v112
	v_mul_f32_e32 v112, v95, v112
	v_fmac_f32_e32 v109, v93, v106
	v_fma_f32 v106, v92, v106, -v108
	s_waitcnt vmcnt(12)
	v_fmac_f32_e32 v110, v95, v120
	v_fma_f32 v108, v94, v120, -v112
	ds_read_b128 v[92:95], v1 offset:496
	s_waitcnt vmcnt(11) lgkmcnt(1)
	v_mul_f32_e32 v112, v2, v119
	v_mul_f32_e32 v113, v3, v119
	s_waitcnt vmcnt(10)
	v_mul_f32_e32 v119, v4, v118
	v_mul_f32_e32 v118, v5, v118
	v_fmac_f32_e32 v112, v3, v117
	v_fma_f32 v113, v2, v117, -v113
	v_fmac_f32_e32 v119, v5, v115
	v_fma_f32 v115, v4, v115, -v118
	ds_read_b128 v[2:5], v1 offset:512
	s_waitcnt vmcnt(8) lgkmcnt(1)
	v_mul_f32_e32 v118, v94, v121
	v_mul_f32_e32 v120, v95, v121
	buffer_load_dword v121, off, s[0:3], 0 offset:196
	v_mul_f32_e32 v117, v92, v116
	v_mul_f32_e32 v116, v93, v116
	s_waitcnt vmcnt(5)
	v_fmac_f32_e32 v118, v95, v135
	v_fmac_f32_e32 v117, v93, v114
	v_fma_f32 v114, v92, v114, -v116
	v_fma_f32 v116, v94, v135, -v120
	ds_read_b128 v[92:95], v1 offset:528
	s_waitcnt vmcnt(4) lgkmcnt(1)
	v_mul_f32_e32 v120, v2, v136
	v_mul_f32_e32 v126, v3, v136
	s_waitcnt vmcnt(3)
	v_mul_f32_e32 v127, v4, v137
	v_mul_f32_e32 v128, v5, v137
	v_fmac_f32_e32 v120, v3, v134
	v_fma_f32 v126, v2, v134, -v126
	v_fmac_f32_e32 v127, v5, v133
	v_fma_f32 v128, v4, v133, -v128
	s_clause 0x4
	buffer_load_dword v133, off, s[0:3], 0 offset:224
	buffer_load_dword v134, off, s[0:3], 0 offset:216
	;; [unrolled: 1-line block ×5, first 2 shown]
	s_waitcnt vmcnt(6) lgkmcnt(0)
	v_mul_f32_e32 v4, v95, v129
	s_waitcnt vmcnt(5)
	v_mul_f32_e32 v136, v92, v121
	v_mul_f32_e32 v3, v93, v121
	;; [unrolled: 1-line block ×3, first 2 shown]
	v_fmac_f32_e32 v136, v93, v132
	v_fma_f32 v129, v92, v132, -v3
	buffer_load_dword v132, off, s[0:3], 0 offset:212
	v_add_f32_e32 v3, 0, v141
	v_add_f32_e32 v3, v3, v142
	;; [unrolled: 1-line block ×4, first 2 shown]
	s_waitcnt vmcnt(2)
	v_fmac_f32_e32 v121, v95, v2
	v_fma_f32 v137, v94, v2, -v4
	v_add_f32_e32 v2, 0, v138
	buffer_load_dword v138, off, s[0:3], 0 offset:228
	v_add_f32_e32 v3, v3, v122
	v_add_f32_e32 v2, v2, v139
	buffer_load_dword v139, off, s[0:3], 0 offset:236
	v_add_f32_e32 v3, v3, v123
	v_add_f32_e32 v2, v2, v143
	s_clause 0x3
	buffer_load_dword v141, off, s[0:3], 0 offset:256
	buffer_load_dword v142, off, s[0:3], 0 offset:248
	;; [unrolled: 1-line block ×4, first 2 shown]
	v_add_f32_e32 v3, v3, v97
	v_add_f32_e32 v2, v2, v144
	s_clause 0x1
	buffer_load_dword v131, off, s[0:3], 0 offset:244
	buffer_load_dword v144, off, s[0:3], 0 offset:252
	v_add_f32_e32 v3, v3, v105
	v_add_f32_e32 v2, v2, v130
	buffer_load_dword v130, off, s[0:3], 0 offset:260
	v_add_f32_e32 v3, v3, v101
	v_add_f32_e32 v2, v2, v145
	s_clause 0x3
	buffer_load_dword v122, off, s[0:3], 0 offset:268
	buffer_load_dword v145, off, s[0:3], 0 offset:276
	;; [unrolled: 1-line block ×4, first 2 shown]
	v_add_f32_e32 v3, v3, v6
	v_add_f32_e32 v2, v2, v124
	s_clause 0x1
	buffer_load_dword v123, off, s[0:3], 0 offset:300
	buffer_load_dword v124, off, s[0:3], 0 offset:308
	v_add_f32_e32 v3, v3, v98
	v_add_f32_e32 v2, v2, v8
	s_clause 0x1
	buffer_load_dword v8, off, s[0:3], 0 offset:316
	buffer_load_dword v150, off, s[0:3], 0 offset:324
	;; [unrolled: 5-line block ×3, first 2 shown]
	buffer_load_dword v152, off, s[0:3], 0 offset:272
	buffer_load_dword v153, off, s[0:3], 0 offset:264
	;; [unrolled: 1-line block ×7, first 2 shown]
	v_add_f32_e32 v3, v3, v104
	v_add_f32_e32 v2, v2, v103
	ds_read_b128 v[92:95], v1 offset:560
	v_add_f32_e32 v2, v2, v7
	v_add_f32_e32 v7, v3, v107
	v_add_f32_e32 v2, v2, v100
	v_add_f32_e32 v7, v7, v106
	v_add_f32_e32 v2, v2, v102
	v_add_f32_e32 v7, v7, v108
	v_add_f32_e32 v6, v2, v111
	ds_read_b128 v[2:5], v1 offset:544
	v_add_f32_e32 v7, v7, v113
	v_add_f32_e32 v6, v6, v109
	;; [unrolled: 1-line block ×6, first 2 shown]
	s_waitcnt vmcnt(27) lgkmcnt(0)
	v_mul_f32_e32 v109, v4, v146
	v_mul_f32_e32 v97, v5, v146
	v_add_f32_e32 v6, v6, v117
	v_fmac_f32_e32 v109, v5, v134
	v_fma_f32 v111, v4, v134, -v97
	v_add_f32_e32 v6, v6, v118
	v_add_f32_e32 v6, v6, v120
	;; [unrolled: 1-line block ×3, first 2 shown]
	s_waitcnt vmcnt(26)
	v_mul_f32_e32 v108, v2, v132
	v_mul_f32_e32 v96, v3, v132
	v_fmac_f32_e32 v108, v3, v135
	v_add_f32_e32 v3, v7, v114
	v_fma_f32 v110, v2, v135, -v96
	v_add_f32_e32 v7, v3, v116
	ds_read_b128 v[2:5], v1 offset:576
	ds_read_b128 v[96:99], v1 offset:592
	v_add_f32_e32 v116, v6, v136
	ds_read_b128 v[100:103], v1 offset:608
	v_add_f32_e32 v7, v7, v126
	v_add_f32_e32 v116, v116, v121
	;; [unrolled: 1-line block ×3, first 2 shown]
	s_waitcnt vmcnt(25)
	v_mul_f32_e32 v104, v93, v138
	v_mul_f32_e32 v112, v92, v138
	v_add_f32_e32 v108, v116, v108
	v_add_f32_e32 v7, v7, v129
	s_waitcnt vmcnt(24)
	v_mul_f32_e32 v114, v95, v139
	v_fma_f32 v115, v92, v133, -v104
	v_mul_f32_e32 v113, v94, v139
	v_fmac_f32_e32 v112, v93, v133
	v_add_f32_e32 v117, v7, v137
	v_add_f32_e32 v108, v108, v109
	s_waitcnt vmcnt(20)
	v_fma_f32 v114, v94, v147, -v114
	v_fmac_f32_e32 v113, v95, v147
	ds_read_b128 v[104:107], v1 offset:624
	v_add_f32_e32 v110, v117, v110
	s_waitcnt vmcnt(19) lgkmcnt(3)
	v_mul_f32_e32 v117, v3, v131
	v_mul_f32_e32 v118, v2, v131
	v_add_f32_e32 v108, v108, v112
	s_waitcnt vmcnt(18)
	v_mul_f32_e32 v120, v5, v144
	v_add_f32_e32 v110, v110, v111
	v_fma_f32 v2, v2, v143, -v117
	v_mul_f32_e32 v119, v4, v144
	v_fmac_f32_e32 v118, v3, v143
	v_add_f32_e32 v108, v108, v113
	v_add_f32_e32 v110, v110, v115
	s_waitcnt vmcnt(17) lgkmcnt(2)
	v_mul_f32_e32 v117, v97, v130
	v_fma_f32 v4, v4, v142, -v120
	v_mul_f32_e32 v116, v96, v130
	v_fmac_f32_e32 v119, v5, v142
	v_add_f32_e32 v110, v110, v114
	v_add_f32_e32 v5, v108, v118
	s_waitcnt vmcnt(16)
	v_mul_f32_e32 v108, v99, v122
	v_fma_f32 v96, v96, v141, -v117
	v_mul_f32_e32 v111, v98, v122
	v_add_f32_e32 v2, v110, v2
	v_fmac_f32_e32 v116, v97, v141
	ds_read_b128 v[92:95], v1 offset:640
	ds_read_b64 v[6:7], v1 offset:656
	s_waitcnt vmcnt(15) lgkmcnt(3)
	v_mul_f32_e32 v121, v100, v145
	s_waitcnt vmcnt(14)
	v_mul_f32_e32 v109, v102, v148
	v_add_f32_e32 v2, v2, v4
	v_add_f32_e32 v4, v5, v119
	v_mul_f32_e32 v5, v101, v145
	s_waitcnt vmcnt(5)
	v_fma_f32 v97, v98, v153, -v108
	v_fmac_f32_e32 v111, v99, v153
	v_add_f32_e32 v2, v2, v96
	v_add_f32_e32 v4, v4, v116
	v_mul_f32_e32 v96, v103, v148
	v_fma_f32 v5, v100, v152, -v5
	v_fmac_f32_e32 v121, v101, v152
	v_add_f32_e32 v2, v2, v97
	v_add_f32_e32 v4, v4, v111
	s_waitcnt lgkmcnt(2)
	v_mul_f32_e32 v97, v105, v149
	v_fma_f32 v96, v102, v151, -v96
	v_mul_f32_e32 v115, v104, v149
	v_add_f32_e32 v2, v2, v5
	v_fmac_f32_e32 v109, v103, v151
	v_add_f32_e32 v4, v4, v121
	v_mul_f32_e32 v5, v107, v123
	v_fma_f32 v97, v104, v125, -v97
	v_add_f32_e32 v2, v2, v96
	v_mul_f32_e32 v3, v106, v123
	v_fmac_f32_e32 v115, v105, v125
	v_add_f32_e32 v4, v4, v109
	s_waitcnt lgkmcnt(1)
	v_mul_f32_e32 v96, v93, v124
	s_waitcnt vmcnt(1)
	v_fma_f32 v5, v106, v157, -v5
	v_add_f32_e32 v2, v2, v97
	v_mul_f32_e32 v112, v92, v124
	v_fmac_f32_e32 v3, v107, v157
	v_add_f32_e32 v4, v4, v115
	v_mul_f32_e32 v114, v94, v8
	v_mul_f32_e32 v8, v95, v8
	v_fma_f32 v92, v92, v156, -v96
	v_add_f32_e32 v2, v2, v5
	v_fmac_f32_e32 v112, v93, v156
	v_add_f32_e32 v3, v4, v3
	s_waitcnt lgkmcnt(0)
	v_mul_f32_e32 v4, v7, v150
	v_fma_f32 v5, v94, v155, -v8
	v_add_f32_e32 v2, v2, v92
	v_mul_f32_e32 v113, v6, v150
	v_fmac_f32_e32 v114, v95, v155
	v_add_f32_e32 v3, v3, v112
	v_fma_f32 v4, v6, v154, -v4
	v_add_f32_e32 v2, v2, v5
	v_fmac_f32_e32 v113, v7, v154
	v_add_f32_e32 v3, v3, v114
	v_add_f32_e32 v2, v2, v4
	v_add_f32_e32 v3, v3, v113
	s_waitcnt vmcnt(0)
	v_sub_f32_e32 v2, v158, v2
	v_sub_f32_e32 v3, v140, v3
	buffer_store_dword v2, off, s[0:3], 0 offset:8
	buffer_store_dword v3, off, s[0:3], 0 offset:12
	v_cmpx_ne_u32_e32 0, v0
	s_cbranch_execz .LBB40_259
; %bb.258:
	s_clause 0x1
	buffer_load_dword v2, off, s[0:3], 0
	buffer_load_dword v3, off, s[0:3], 0 offset:4
	buffer_store_dword v1, off, s[0:3], 0
	buffer_store_dword v1, off, s[0:3], 0 offset:4
	s_waitcnt vmcnt(0)
	ds_write_b64 v91, v[2:3]
.LBB40_259:
	s_or_b32 exec_lo, exec_lo, s4
	s_waitcnt lgkmcnt(0)
	s_waitcnt_vscnt null, 0x0
	s_barrier
	buffer_gl0_inv
	s_clause 0x2c
	buffer_load_dword v121, off, s[0:3], 0 offset:12
	buffer_load_dword v0, off, s[0:3], 0 offset:24
	;; [unrolled: 1-line block ×45, first 2 shown]
	ds_read2_b64 v[122:125], v1 offset0:43 offset1:44
	ds_read2_b64 v[126:129], v1 offset0:45 offset1:46
	ds_read2_b64 v[130:133], v1 offset0:47 offset1:48
	buffer_load_dword v141, off, s[0:3], 0 offset:4
	s_and_b32 vcc_lo, exec_lo, s22
	s_waitcnt vmcnt(45) lgkmcnt(2)
	v_mul_f32_e32 v140, v122, v121
	v_mul_f32_e32 v121, v123, v121
	s_waitcnt vmcnt(41)
	v_mul_f32_e32 v143, v124, v8
	v_mul_f32_e32 v8, v125, v8
	v_fmac_f32_e32 v140, v123, v91
	v_fma_f32 v142, v122, v91, -v121
	s_waitcnt vmcnt(40) lgkmcnt(1)
	v_mul_f32_e32 v144, v126, v6
	v_fmac_f32_e32 v143, v125, v4
	v_fma_f32 v8, v124, v4, -v8
	ds_read2_b64 v[121:124], v1 offset0:49 offset1:50
	v_mul_f32_e32 v4, v127, v6
	s_waitcnt vmcnt(39)
	v_mul_f32_e32 v145, v128, v3
	v_mul_f32_e32 v3, v129, v3
	v_fmac_f32_e32 v144, v127, v0
	v_fma_f32 v0, v126, v0, -v4
	s_waitcnt vmcnt(35)
	v_fmac_f32_e32 v145, v129, v95
	v_fma_f32 v95, v128, v95, -v3
	s_waitcnt vmcnt(34) lgkmcnt(1)
	v_mul_f32_e32 v129, v130, v94
	v_mul_f32_e32 v3, v131, v94
	ds_read2_b64 v[125:128], v1 offset0:51 offset1:52
	v_fmac_f32_e32 v129, v131, v92
	v_fma_f32 v130, v130, v92, -v3
	s_waitcnt vmcnt(33)
	v_mul_f32_e32 v131, v132, v93
	v_mul_f32_e32 v3, v133, v93
	ds_read2_b64 v[91:94], v1 offset0:55 offset1:56
	v_fmac_f32_e32 v131, v133, v5
	v_fma_f32 v132, v132, v5, -v3
	s_waitcnt vmcnt(32) lgkmcnt(2)
	v_mul_f32_e32 v133, v121, v7
	v_mul_f32_e32 v7, v122, v7
	ds_read2_b64 v[3:6], v1 offset0:53 offset1:54
	v_fmac_f32_e32 v133, v122, v2
	v_fma_f32 v7, v121, v2, -v7
	s_waitcnt vmcnt(31)
	v_mul_f32_e32 v2, v124, v96
	v_mul_f32_e32 v121, v123, v96
	s_waitcnt vmcnt(25) lgkmcnt(2)
	v_mul_f32_e32 v122, v127, v101
	v_fma_f32 v96, v123, v104, -v2
	v_mul_f32_e32 v2, v126, v103
	v_fmac_f32_e32 v121, v124, v104
	v_mul_f32_e32 v104, v125, v103
	v_fmac_f32_e32 v122, v128, v98
	v_fma_f32 v103, v125, v100, -v2
	v_mul_f32_e32 v2, v128, v101
	v_fmac_f32_e32 v104, v126, v100
	s_waitcnt vmcnt(24) lgkmcnt(0)
	v_mul_f32_e32 v124, v3, v99
	s_waitcnt vmcnt(23)
	v_mul_f32_e32 v125, v5, v102
	v_fma_f32 v123, v127, v98, -v2
	v_mul_f32_e32 v2, v4, v99
	ds_read2_b64 v[98:101], v1 offset0:57 offset1:58
	v_fmac_f32_e32 v124, v4, v97
	s_waitcnt vmcnt(19)
	v_fmac_f32_e32 v125, v6, v111
	v_fma_f32 v97, v3, v97, -v2
	v_mul_f32_e32 v2, v6, v102
	s_waitcnt vmcnt(18)
	v_mul_f32_e32 v102, v91, v110
	v_mul_f32_e32 v110, v92, v110
	v_fma_f32 v6, v5, v111, -v2
	ds_read2_b64 v[2:5], v1 offset0:59 offset1:60
	v_fmac_f32_e32 v102, v92, v108
	v_fma_f32 v108, v91, v108, -v110
	s_waitcnt vmcnt(17)
	v_mul_f32_e32 v110, v93, v109
	v_mul_f32_e32 v91, v94, v109
	v_fmac_f32_e32 v110, v94, v106
	v_fma_f32 v106, v93, v106, -v91
	s_waitcnt vmcnt(16) lgkmcnt(1)
	v_mul_f32_e32 v109, v98, v107
	v_mul_f32_e32 v91, v99, v107
	s_waitcnt vmcnt(15)
	v_mul_f32_e32 v107, v100, v112
	v_mul_f32_e32 v111, v101, v112
	v_fmac_f32_e32 v109, v99, v105
	v_fma_f32 v98, v98, v105, -v91
	ds_read2_b64 v[91:94], v1 offset0:61 offset1:62
	buffer_load_dword v105, off, s[0:3], 0 offset:188
	s_waitcnt vmcnt(12)
	v_fmac_f32_e32 v107, v101, v120
	v_fma_f32 v99, v100, v120, -v111
	s_waitcnt vmcnt(11) lgkmcnt(1)
	v_mul_f32_e32 v100, v2, v119
	v_mul_f32_e32 v101, v3, v119
	s_waitcnt vmcnt(10)
	v_mul_f32_e32 v111, v4, v118
	v_mul_f32_e32 v112, v5, v118
	v_add_f32_e32 v118, 0, v142
	v_fmac_f32_e32 v100, v3, v117
	v_fma_f32 v101, v2, v117, -v101
	v_add_f32_e32 v117, 0, v140
	v_fmac_f32_e32 v111, v5, v115
	v_fma_f32 v112, v4, v115, -v112
	ds_read2_b64 v[2:5], v1 offset0:63 offset1:64
	v_add_f32_e32 v8, v118, v8
	v_add_f32_e32 v115, v117, v143
	s_clause 0x5
	buffer_load_dword v117, off, s[0:3], 0 offset:196
	buffer_load_dword v118, off, s[0:3], 0 offset:204
	;; [unrolled: 1-line block ×6, first 2 shown]
	s_waitcnt vmcnt(15) lgkmcnt(1)
	v_mul_f32_e32 v128, v91, v114
	v_add_f32_e32 v115, v115, v144
	v_mul_f32_e32 v114, v92, v114
	v_add_f32_e32 v0, v8, v0
	s_waitcnt vmcnt(14)
	v_mul_f32_e32 v8, v93, v116
	v_fmac_f32_e32 v128, v92, v113
	v_mul_f32_e32 v116, v94, v116
	v_fma_f32 v113, v91, v113, -v114
	v_add_f32_e32 v91, v115, v145
	s_clause 0x1
	buffer_load_dword v114, off, s[0:3], 0 offset:212
	buffer_load_dword v115, off, s[0:3], 0 offset:220
	v_add_f32_e32 v0, v0, v95
	buffer_load_dword v140, off, s[0:3], 0 offset:228
	s_waitcnt vmcnt(13)
	v_fmac_f32_e32 v8, v94, v137
	v_add_f32_e32 v95, v91, v129
	v_fma_f32 v116, v93, v137, -v116
	v_add_f32_e32 v0, v0, v130
	s_waitcnt vmcnt(12) lgkmcnt(0)
	v_mul_f32_e32 v130, v3, v138
	ds_read2_b64 v[91:94], v1 offset0:65 offset1:66
	v_add_f32_e32 v95, v95, v131
	v_mul_f32_e32 v129, v2, v138
	v_add_f32_e32 v0, v0, v132
	s_clause 0x3
	buffer_load_dword v131, off, s[0:3], 0 offset:248
	buffer_load_dword v132, off, s[0:3], 0 offset:240
	;; [unrolled: 1-line block ×4, first 2 shown]
	v_fma_f32 v130, v2, v136, -v130
	v_add_f32_e32 v2, v95, v133
	v_fmac_f32_e32 v129, v3, v136
	s_clause 0x1
	buffer_load_dword v133, off, s[0:3], 0 offset:236
	buffer_load_dword v136, off, s[0:3], 0 offset:244
	v_add_f32_e32 v0, v0, v7
	s_waitcnt vmcnt(17)
	v_mul_f32_e32 v7, v4, v139
	v_add_f32_e32 v2, v2, v121
	buffer_load_dword v121, off, s[0:3], 0 offset:252
	v_mul_f32_e32 v3, v5, v139
	v_add_f32_e32 v0, v0, v96
	s_clause 0x1
	buffer_load_dword v139, off, s[0:3], 0 offset:260
	buffer_load_dword v142, off, s[0:3], 0 offset:268
	v_add_f32_e32 v2, v2, v104
	s_clause 0x1
	buffer_load_dword v143, off, s[0:3], 0 offset:276
	buffer_load_dword v144, off, s[0:3], 0 offset:284
	v_fmac_f32_e32 v7, v5, v135
	v_add_f32_e32 v0, v0, v103
	v_fma_f32 v135, v4, v135, -v3
	v_add_f32_e32 v2, v2, v122
	s_clause 0x3
	buffer_load_dword v122, off, s[0:3], 0 offset:292
	buffer_load_dword v145, off, s[0:3], 0 offset:300
	;; [unrolled: 1-line block ×4, first 2 shown]
	v_add_f32_e32 v0, v0, v123
	buffer_load_dword v123, off, s[0:3], 0 offset:324
	v_add_f32_e32 v2, v2, v124
	v_add_f32_e32 v0, v0, v97
	;; [unrolled: 1-line block ×3, first 2 shown]
	s_clause 0x3
	buffer_load_dword v124, off, s[0:3], 0 offset:280
	buffer_load_dword v125, off, s[0:3], 0 offset:272
	;; [unrolled: 1-line block ×4, first 2 shown]
	v_add_f32_e32 v0, v0, v6
	s_clause 0x5
	buffer_load_dword v6, off, s[0:3], 0 offset:312
	buffer_load_dword v150, off, s[0:3], 0 offset:304
	;; [unrolled: 1-line block ×5, first 2 shown]
	buffer_load_dword v154, off, s[0:3], 0
	v_add_f32_e32 v2, v2, v102
	v_add_f32_e32 v0, v0, v108
	;; [unrolled: 1-line block ×9, first 2 shown]
	ds_read2_b64 v[2:5], v1 offset0:67 offset1:68
	v_add_f32_e32 v0, v0, v101
	v_add_f32_e32 v95, v95, v111
	;; [unrolled: 1-line block ×7, first 2 shown]
	s_waitcnt vmcnt(35) lgkmcnt(1)
	v_mul_f32_e32 v96, v92, v105
	v_mul_f32_e32 v103, v91, v105
	v_fma_f32 v104, v91, v134, -v96
	v_add_f32_e32 v91, v95, v128
	ds_read2_b64 v[95:98], v1 offset0:69 offset1:70
	v_fmac_f32_e32 v103, v92, v134
	v_add_f32_e32 v0, v0, v104
	v_add_f32_e32 v8, v91, v8
	s_waitcnt vmcnt(33) lgkmcnt(1)
	v_mul_f32_e32 v91, v3, v118
	v_mul_f32_e32 v111, v2, v118
	;; [unrolled: 1-line block ×4, first 2 shown]
	s_waitcnt vmcnt(30)
	v_fma_f32 v112, v2, v126, -v91
	v_add_f32_e32 v2, v8, v129
	s_waitcnt vmcnt(29)
	v_fma_f32 v108, v93, v127, -v92
	v_fmac_f32_e32 v107, v94, v127
	ds_read2_b64 v[91:94], v1 offset0:71 offset1:72
	ds_read2_b64 v[99:102], v1 offset0:73 offset1:74
	v_fmac_f32_e32 v111, v3, v126
	v_add_f32_e32 v2, v2, v7
	v_add_f32_e32 v0, v0, v108
	s_waitcnt vmcnt(28)
	v_mul_f32_e32 v3, v5, v114
	s_waitcnt vmcnt(27) lgkmcnt(2)
	v_mul_f32_e32 v105, v96, v115
	v_mul_f32_e32 v7, v95, v115
	;; [unrolled: 1-line block ×3, first 2 shown]
	s_waitcnt vmcnt(26)
	v_mul_f32_e32 v113, v97, v140
	v_mul_f32_e32 v109, v98, v140
	v_fma_f32 v115, v95, v119, -v105
	v_add_f32_e32 v95, v2, v103
	v_fma_f32 v114, v4, v120, -v3
	v_add_f32_e32 v0, v0, v112
	v_fmac_f32_e32 v8, v5, v120
	v_fmac_f32_e32 v7, v96, v119
	v_add_f32_e32 v116, v95, v107
	ds_read2_b64 v[2:5], v1 offset0:75 offset1:76
	ds_read2_b64 v[103:106], v1 offset0:77 offset1:78
	s_waitcnt vmcnt(22)
	v_fmac_f32_e32 v113, v98, v138
	v_fma_f32 v117, v97, v138, -v109
	ds_read2_b64 v[95:98], v1 offset0:79 offset1:80
	ds_read2_b64 v[107:110], v1 offset0:81 offset1:82
	v_add_f32_e32 v1, v116, v111
	v_add_f32_e32 v0, v0, v114
	s_waitcnt vmcnt(21) lgkmcnt(5)
	v_mul_f32_e32 v116, v92, v133
	v_mul_f32_e32 v111, v91, v133
	s_waitcnt vmcnt(20)
	v_mul_f32_e32 v118, v94, v136
	v_add_f32_e32 v1, v1, v8
	v_add_f32_e32 v0, v0, v115
	v_fma_f32 v91, v91, v137, -v116
	v_mul_f32_e32 v112, v93, v136
	v_fmac_f32_e32 v111, v92, v137
	v_add_f32_e32 v1, v1, v7
	v_add_f32_e32 v0, v0, v117
	s_waitcnt vmcnt(19) lgkmcnt(4)
	v_mul_f32_e32 v116, v100, v121
	v_fma_f32 v93, v93, v132, -v118
	v_mul_f32_e32 v8, v99, v121
	v_add_f32_e32 v1, v1, v113
	v_add_f32_e32 v0, v0, v91
	v_fmac_f32_e32 v112, v94, v132
	s_waitcnt vmcnt(18)
	v_mul_f32_e32 v119, v102, v139
	v_fma_f32 v99, v99, v131, -v116
	v_add_f32_e32 v1, v1, v111
	v_add_f32_e32 v0, v0, v93
	v_mul_f32_e32 v92, v101, v139
	v_fmac_f32_e32 v8, v100, v131
	s_waitcnt vmcnt(17) lgkmcnt(3)
	v_mul_f32_e32 v93, v3, v142
	v_add_f32_e32 v1, v1, v112
	s_waitcnt vmcnt(6)
	v_fma_f32 v100, v101, v149, -v119
	v_add_f32_e32 v0, v0, v99
	v_mul_f32_e32 v114, v2, v142
	v_fmac_f32_e32 v92, v102, v149
	v_add_f32_e32 v1, v1, v8
	v_mul_f32_e32 v8, v5, v143
	v_fma_f32 v2, v2, v148, -v93
	v_add_f32_e32 v0, v0, v100
	v_mul_f32_e32 v7, v4, v143
	v_fmac_f32_e32 v114, v3, v148
	v_add_f32_e32 v1, v1, v92
	s_waitcnt lgkmcnt(2)
	v_mul_f32_e32 v3, v104, v144
	v_fma_f32 v4, v4, v125, -v8
	v_add_f32_e32 v0, v0, v2
	v_mul_f32_e32 v115, v103, v144
	v_fmac_f32_e32 v7, v5, v125
	v_add_f32_e32 v1, v1, v114
	v_mul_f32_e32 v2, v106, v122
	v_fma_f32 v3, v103, v124, -v3
	v_add_f32_e32 v0, v0, v4
	v_mul_f32_e32 v94, v105, v122
	v_fmac_f32_e32 v115, v104, v124
	v_add_f32_e32 v1, v1, v7
	s_waitcnt lgkmcnt(1)
	v_mul_f32_e32 v4, v96, v145
	s_waitcnt vmcnt(2)
	v_fma_f32 v2, v105, v152, -v2
	v_add_f32_e32 v0, v0, v3
	v_mul_f32_e32 v118, v95, v145
	v_fmac_f32_e32 v94, v106, v152
	v_add_f32_e32 v1, v1, v115
	v_mul_f32_e32 v3, v98, v146
	v_fma_f32 v4, v95, v151, -v4
	v_add_f32_e32 v0, v0, v2
	v_mul_f32_e32 v113, v97, v146
	v_fmac_f32_e32 v118, v96, v151
	v_add_f32_e32 v1, v1, v94
	s_waitcnt lgkmcnt(0)
	v_mul_f32_e32 v2, v108, v147
	v_fma_f32 v3, v97, v150, -v3
	v_add_f32_e32 v0, v0, v4
	v_mul_f32_e32 v117, v107, v147
	v_fmac_f32_e32 v113, v98, v150
	v_add_f32_e32 v1, v1, v118
	v_mul_f32_e32 v4, v110, v123
	v_fma_f32 v2, v107, v6, -v2
	v_add_f32_e32 v0, v0, v3
	v_mul_f32_e32 v91, v109, v123
	v_fmac_f32_e32 v117, v108, v6
	v_add_f32_e32 v1, v1, v113
	s_waitcnt vmcnt(1)
	v_fma_f32 v3, v109, v153, -v4
	v_add_f32_e32 v0, v0, v2
	v_fmac_f32_e32 v91, v110, v153
	v_add_f32_e32 v1, v1, v117
	v_add_f32_e32 v0, v0, v3
	v_add_f32_e32 v1, v1, v91
	s_waitcnt vmcnt(0)
	v_sub_f32_e32 v0, v154, v0
	v_sub_f32_e32 v1, v141, v1
	buffer_store_dword v0, off, s[0:3], 0
	buffer_store_dword v1, off, s[0:3], 0 offset:4
	s_cbranch_vccz .LBB40_340
; %bb.260:
	v_mov_b32_e32 v0, 0
	global_load_dword v1, v0, s[20:21] offset:156
	s_waitcnt vmcnt(0)
	v_add_nc_u32_e32 v1, -1, v1
	v_cmp_ne_u32_e32 vcc_lo, 39, v1
	s_cbranch_vccz .LBB40_262
; %bb.261:
	v_lshlrev_b32_e32 v1, 3, v1
	s_clause 0x3
	buffer_load_dword v2, v1, s[0:3], 0 offen
	buffer_load_dword v3, v1, s[0:3], 0 offen offset:4
	buffer_load_dword v4, off, s[0:3], 0 offset:312
	buffer_load_dword v5, off, s[0:3], 0 offset:316
	s_waitcnt vmcnt(3)
	buffer_store_dword v2, off, s[0:3], 0 offset:312
	s_waitcnt vmcnt(2)
	buffer_store_dword v3, off, s[0:3], 0 offset:316
	s_waitcnt vmcnt(1)
	buffer_store_dword v4, v1, s[0:3], 0 offen
	s_waitcnt vmcnt(0)
	buffer_store_dword v5, v1, s[0:3], 0 offen offset:4
.LBB40_262:
	global_load_dword v0, v0, s[20:21] offset:152
	s_waitcnt vmcnt(0)
	v_add_nc_u32_e32 v0, -1, v0
	v_cmp_eq_u32_e32 vcc_lo, 38, v0
	s_cbranch_vccnz .LBB40_264
; %bb.263:
	v_lshlrev_b32_e32 v0, 3, v0
	s_clause 0x3
	buffer_load_dword v1, v0, s[0:3], 0 offen
	buffer_load_dword v2, v0, s[0:3], 0 offen offset:4
	buffer_load_dword v3, off, s[0:3], 0 offset:308
	buffer_load_dword v4, off, s[0:3], 0 offset:304
	s_waitcnt vmcnt(3)
	buffer_store_dword v1, off, s[0:3], 0 offset:304
	s_waitcnt vmcnt(2)
	buffer_store_dword v2, off, s[0:3], 0 offset:308
	s_waitcnt vmcnt(1)
	buffer_store_dword v3, v0, s[0:3], 0 offen offset:4
	s_waitcnt vmcnt(0)
	buffer_store_dword v4, v0, s[0:3], 0 offen
.LBB40_264:
	v_mov_b32_e32 v0, 0
	global_load_dword v1, v0, s[20:21] offset:148
	s_waitcnt vmcnt(0)
	v_add_nc_u32_e32 v1, -1, v1
	v_cmp_eq_u32_e32 vcc_lo, 37, v1
	s_cbranch_vccnz .LBB40_266
; %bb.265:
	v_lshlrev_b32_e32 v1, 3, v1
	s_clause 0x3
	buffer_load_dword v2, v1, s[0:3], 0 offen
	buffer_load_dword v3, v1, s[0:3], 0 offen offset:4
	buffer_load_dword v4, off, s[0:3], 0 offset:296
	buffer_load_dword v5, off, s[0:3], 0 offset:300
	s_waitcnt vmcnt(3)
	buffer_store_dword v2, off, s[0:3], 0 offset:296
	s_waitcnt vmcnt(2)
	buffer_store_dword v3, off, s[0:3], 0 offset:300
	s_waitcnt vmcnt(1)
	buffer_store_dword v4, v1, s[0:3], 0 offen
	s_waitcnt vmcnt(0)
	buffer_store_dword v5, v1, s[0:3], 0 offen offset:4
.LBB40_266:
	global_load_dword v0, v0, s[20:21] offset:144
	s_waitcnt vmcnt(0)
	v_add_nc_u32_e32 v0, -1, v0
	v_cmp_eq_u32_e32 vcc_lo, 36, v0
	s_cbranch_vccnz .LBB40_268
; %bb.267:
	v_lshlrev_b32_e32 v0, 3, v0
	s_clause 0x3
	buffer_load_dword v1, v0, s[0:3], 0 offen
	buffer_load_dword v2, v0, s[0:3], 0 offen offset:4
	buffer_load_dword v3, off, s[0:3], 0 offset:292
	buffer_load_dword v4, off, s[0:3], 0 offset:288
	s_waitcnt vmcnt(3)
	buffer_store_dword v1, off, s[0:3], 0 offset:288
	s_waitcnt vmcnt(2)
	buffer_store_dword v2, off, s[0:3], 0 offset:292
	s_waitcnt vmcnt(1)
	buffer_store_dword v3, v0, s[0:3], 0 offen offset:4
	s_waitcnt vmcnt(0)
	buffer_store_dword v4, v0, s[0:3], 0 offen
.LBB40_268:
	v_mov_b32_e32 v0, 0
	global_load_dword v1, v0, s[20:21] offset:140
	s_waitcnt vmcnt(0)
	v_add_nc_u32_e32 v1, -1, v1
	v_cmp_eq_u32_e32 vcc_lo, 35, v1
	s_cbranch_vccnz .LBB40_270
; %bb.269:
	v_lshlrev_b32_e32 v1, 3, v1
	s_clause 0x3
	buffer_load_dword v2, v1, s[0:3], 0 offen
	buffer_load_dword v3, v1, s[0:3], 0 offen offset:4
	buffer_load_dword v4, off, s[0:3], 0 offset:280
	buffer_load_dword v5, off, s[0:3], 0 offset:284
	s_waitcnt vmcnt(3)
	buffer_store_dword v2, off, s[0:3], 0 offset:280
	s_waitcnt vmcnt(2)
	buffer_store_dword v3, off, s[0:3], 0 offset:284
	s_waitcnt vmcnt(1)
	buffer_store_dword v4, v1, s[0:3], 0 offen
	s_waitcnt vmcnt(0)
	buffer_store_dword v5, v1, s[0:3], 0 offen offset:4
.LBB40_270:
	;; [unrolled: 43-line block ×19, first 2 shown]
	global_load_dword v0, v0, s[20:21]
	s_waitcnt vmcnt(0)
	v_add_nc_u32_e32 v0, -1, v0
	v_cmp_eq_u32_e32 vcc_lo, 0, v0
	s_cbranch_vccnz .LBB40_340
; %bb.339:
	v_lshlrev_b32_e32 v0, 3, v0
	s_clause 0x3
	buffer_load_dword v1, v0, s[0:3], 0 offen
	buffer_load_dword v2, v0, s[0:3], 0 offen offset:4
	buffer_load_dword v3, off, s[0:3], 0 offset:4
	buffer_load_dword v4, off, s[0:3], 0
	s_waitcnt vmcnt(3)
	buffer_store_dword v1, off, s[0:3], 0
	s_waitcnt vmcnt(2)
	buffer_store_dword v2, off, s[0:3], 0 offset:4
	s_waitcnt vmcnt(1)
	buffer_store_dword v3, v0, s[0:3], 0 offen offset:4
	s_waitcnt vmcnt(0)
	buffer_store_dword v4, v0, s[0:3], 0 offen
.LBB40_340:
	s_clause 0x3e
	buffer_load_dword v0, off, s[0:3], 0
	buffer_load_dword v1, off, s[0:3], 0 offset:4
	buffer_load_dword v2, off, s[0:3], 0 offset:8
	buffer_load_dword v3, off, s[0:3], 0 offset:12
	buffer_load_dword v4, off, s[0:3], 0 offset:16
	buffer_load_dword v5, off, s[0:3], 0 offset:20
	buffer_load_dword v6, off, s[0:3], 0 offset:24
	buffer_load_dword v7, off, s[0:3], 0 offset:28
	buffer_load_dword v91, off, s[0:3], 0 offset:32
	buffer_load_dword v92, off, s[0:3], 0 offset:36
	buffer_load_dword v93, off, s[0:3], 0 offset:40
	buffer_load_dword v94, off, s[0:3], 0 offset:44
	buffer_load_dword v95, off, s[0:3], 0 offset:48
	buffer_load_dword v96, off, s[0:3], 0 offset:52
	buffer_load_dword v97, off, s[0:3], 0 offset:56
	buffer_load_dword v98, off, s[0:3], 0 offset:60
	buffer_load_dword v100, off, s[0:3], 0 offset:68
	buffer_load_dword v101, off, s[0:3], 0 offset:72
	buffer_load_dword v102, off, s[0:3], 0 offset:76
	buffer_load_dword v103, off, s[0:3], 0 offset:80
	buffer_load_dword v104, off, s[0:3], 0 offset:84
	buffer_load_dword v105, off, s[0:3], 0 offset:88
	buffer_load_dword v106, off, s[0:3], 0 offset:92
	buffer_load_dword v99, off, s[0:3], 0 offset:64
	buffer_load_dword v107, off, s[0:3], 0 offset:96
	buffer_load_dword v108, off, s[0:3], 0 offset:100
	buffer_load_dword v109, off, s[0:3], 0 offset:104
	buffer_load_dword v110, off, s[0:3], 0 offset:108
	buffer_load_dword v111, off, s[0:3], 0 offset:112
	buffer_load_dword v112, off, s[0:3], 0 offset:116
	buffer_load_dword v113, off, s[0:3], 0 offset:120
	buffer_load_dword v114, off, s[0:3], 0 offset:124
	buffer_load_dword v115, off, s[0:3], 0 offset:128
	buffer_load_dword v116, off, s[0:3], 0 offset:132
	buffer_load_dword v117, off, s[0:3], 0 offset:136
	buffer_load_dword v118, off, s[0:3], 0 offset:140
	buffer_load_dword v119, off, s[0:3], 0 offset:144
	buffer_load_dword v120, off, s[0:3], 0 offset:148
	buffer_load_dword v121, off, s[0:3], 0 offset:152
	buffer_load_dword v122, off, s[0:3], 0 offset:156
	buffer_load_dword v123, off, s[0:3], 0 offset:160
	buffer_load_dword v124, off, s[0:3], 0 offset:164
	buffer_load_dword v125, off, s[0:3], 0 offset:168
	buffer_load_dword v126, off, s[0:3], 0 offset:172
	buffer_load_dword v127, off, s[0:3], 0 offset:176
	buffer_load_dword v128, off, s[0:3], 0 offset:180
	buffer_load_dword v129, off, s[0:3], 0 offset:184
	buffer_load_dword v130, off, s[0:3], 0 offset:188
	buffer_load_dword v131, off, s[0:3], 0 offset:192
	buffer_load_dword v132, off, s[0:3], 0 offset:196
	buffer_load_dword v133, off, s[0:3], 0 offset:200
	buffer_load_dword v134, off, s[0:3], 0 offset:204
	buffer_load_dword v135, off, s[0:3], 0 offset:208
	buffer_load_dword v136, off, s[0:3], 0 offset:212
	buffer_load_dword v137, off, s[0:3], 0 offset:216
	buffer_load_dword v138, off, s[0:3], 0 offset:220
	buffer_load_dword v139, off, s[0:3], 0 offset:224
	buffer_load_dword v140, off, s[0:3], 0 offset:228
	buffer_load_dword v141, off, s[0:3], 0 offset:232
	buffer_load_dword v142, off, s[0:3], 0 offset:236
	buffer_load_dword v143, off, s[0:3], 0 offset:240
	buffer_load_dword v144, off, s[0:3], 0 offset:244
	buffer_load_dword v145, off, s[0:3], 0 offset:248
	s_clause 0x12
	buffer_load_dword v146, off, s[0:3], 0 offset:252
	buffer_load_dword v147, off, s[0:3], 0 offset:256
	;; [unrolled: 1-line block ×19, first 2 shown]
	s_waitcnt vmcnt(62)
	global_store_dwordx2 v[77:78], v[0:1], off
	global_store_dwordx2 v[79:80], v[2:3], off
	;; [unrolled: 1-line block ×8, first 2 shown]
	s_waitcnt vmcnt(58)
	global_store_dwordx2 v[21:22], v[99:100], off
	global_store_dwordx2 v[23:24], v[101:102], off
	;; [unrolled: 1-line block ×4, first 2 shown]
	s_waitcnt vmcnt(56)
	global_store_dwordx2 v[29:30], v[107:108], off
	s_waitcnt vmcnt(54)
	global_store_dwordx2 v[31:32], v[109:110], off
	;; [unrolled: 2-line block ×29, first 2 shown]
	s_endpgm
	.section	.rodata,"a",@progbits
	.p2align	6, 0x0
	.amdhsa_kernel _ZN9rocsolver6v33100L18getri_kernel_smallILi41E19rocblas_complex_numIfEPS3_EEvT1_iilPiilS6_bb
		.amdhsa_group_segment_fixed_size 664
		.amdhsa_private_segment_fixed_size 336
		.amdhsa_kernarg_size 60
		.amdhsa_user_sgpr_count 6
		.amdhsa_user_sgpr_private_segment_buffer 1
		.amdhsa_user_sgpr_dispatch_ptr 0
		.amdhsa_user_sgpr_queue_ptr 0
		.amdhsa_user_sgpr_kernarg_segment_ptr 1
		.amdhsa_user_sgpr_dispatch_id 0
		.amdhsa_user_sgpr_flat_scratch_init 0
		.amdhsa_user_sgpr_private_segment_size 0
		.amdhsa_wavefront_size32 1
		.amdhsa_uses_dynamic_stack 0
		.amdhsa_system_sgpr_private_segment_wavefront_offset 1
		.amdhsa_system_sgpr_workgroup_id_x 1
		.amdhsa_system_sgpr_workgroup_id_y 0
		.amdhsa_system_sgpr_workgroup_id_z 0
		.amdhsa_system_sgpr_workgroup_info 0
		.amdhsa_system_vgpr_workitem_id 0
		.amdhsa_next_free_vgpr 252
		.amdhsa_next_free_sgpr 23
		.amdhsa_reserve_vcc 1
		.amdhsa_reserve_flat_scratch 0
		.amdhsa_float_round_mode_32 0
		.amdhsa_float_round_mode_16_64 0
		.amdhsa_float_denorm_mode_32 3
		.amdhsa_float_denorm_mode_16_64 3
		.amdhsa_dx10_clamp 1
		.amdhsa_ieee_mode 1
		.amdhsa_fp16_overflow 0
		.amdhsa_workgroup_processor_mode 1
		.amdhsa_memory_ordered 1
		.amdhsa_forward_progress 1
		.amdhsa_shared_vgpr_count 0
		.amdhsa_exception_fp_ieee_invalid_op 0
		.amdhsa_exception_fp_denorm_src 0
		.amdhsa_exception_fp_ieee_div_zero 0
		.amdhsa_exception_fp_ieee_overflow 0
		.amdhsa_exception_fp_ieee_underflow 0
		.amdhsa_exception_fp_ieee_inexact 0
		.amdhsa_exception_int_div_zero 0
	.end_amdhsa_kernel
	.section	.text._ZN9rocsolver6v33100L18getri_kernel_smallILi41E19rocblas_complex_numIfEPS3_EEvT1_iilPiilS6_bb,"axG",@progbits,_ZN9rocsolver6v33100L18getri_kernel_smallILi41E19rocblas_complex_numIfEPS3_EEvT1_iilPiilS6_bb,comdat
.Lfunc_end40:
	.size	_ZN9rocsolver6v33100L18getri_kernel_smallILi41E19rocblas_complex_numIfEPS3_EEvT1_iilPiilS6_bb, .Lfunc_end40-_ZN9rocsolver6v33100L18getri_kernel_smallILi41E19rocblas_complex_numIfEPS3_EEvT1_iilPiilS6_bb
                                        ; -- End function
	.set _ZN9rocsolver6v33100L18getri_kernel_smallILi41E19rocblas_complex_numIfEPS3_EEvT1_iilPiilS6_bb.num_vgpr, 252
	.set _ZN9rocsolver6v33100L18getri_kernel_smallILi41E19rocblas_complex_numIfEPS3_EEvT1_iilPiilS6_bb.num_agpr, 0
	.set _ZN9rocsolver6v33100L18getri_kernel_smallILi41E19rocblas_complex_numIfEPS3_EEvT1_iilPiilS6_bb.numbered_sgpr, 23
	.set _ZN9rocsolver6v33100L18getri_kernel_smallILi41E19rocblas_complex_numIfEPS3_EEvT1_iilPiilS6_bb.num_named_barrier, 0
	.set _ZN9rocsolver6v33100L18getri_kernel_smallILi41E19rocblas_complex_numIfEPS3_EEvT1_iilPiilS6_bb.private_seg_size, 336
	.set _ZN9rocsolver6v33100L18getri_kernel_smallILi41E19rocblas_complex_numIfEPS3_EEvT1_iilPiilS6_bb.uses_vcc, 1
	.set _ZN9rocsolver6v33100L18getri_kernel_smallILi41E19rocblas_complex_numIfEPS3_EEvT1_iilPiilS6_bb.uses_flat_scratch, 0
	.set _ZN9rocsolver6v33100L18getri_kernel_smallILi41E19rocblas_complex_numIfEPS3_EEvT1_iilPiilS6_bb.has_dyn_sized_stack, 0
	.set _ZN9rocsolver6v33100L18getri_kernel_smallILi41E19rocblas_complex_numIfEPS3_EEvT1_iilPiilS6_bb.has_recursion, 0
	.set _ZN9rocsolver6v33100L18getri_kernel_smallILi41E19rocblas_complex_numIfEPS3_EEvT1_iilPiilS6_bb.has_indirect_call, 0
	.section	.AMDGPU.csdata,"",@progbits
; Kernel info:
; codeLenInByte = 70120
; TotalNumSgprs: 25
; NumVgprs: 252
; ScratchSize: 336
; MemoryBound: 0
; FloatMode: 240
; IeeeMode: 1
; LDSByteSize: 664 bytes/workgroup (compile time only)
; SGPRBlocks: 0
; VGPRBlocks: 31
; NumSGPRsForWavesPerEU: 25
; NumVGPRsForWavesPerEU: 252
; Occupancy: 4
; WaveLimiterHint : 1
; COMPUTE_PGM_RSRC2:SCRATCH_EN: 1
; COMPUTE_PGM_RSRC2:USER_SGPR: 6
; COMPUTE_PGM_RSRC2:TRAP_HANDLER: 0
; COMPUTE_PGM_RSRC2:TGID_X_EN: 1
; COMPUTE_PGM_RSRC2:TGID_Y_EN: 0
; COMPUTE_PGM_RSRC2:TGID_Z_EN: 0
; COMPUTE_PGM_RSRC2:TIDIG_COMP_CNT: 0
	.section	.text._ZN9rocsolver6v33100L18getri_kernel_smallILi42E19rocblas_complex_numIfEPS3_EEvT1_iilPiilS6_bb,"axG",@progbits,_ZN9rocsolver6v33100L18getri_kernel_smallILi42E19rocblas_complex_numIfEPS3_EEvT1_iilPiilS6_bb,comdat
	.globl	_ZN9rocsolver6v33100L18getri_kernel_smallILi42E19rocblas_complex_numIfEPS3_EEvT1_iilPiilS6_bb ; -- Begin function _ZN9rocsolver6v33100L18getri_kernel_smallILi42E19rocblas_complex_numIfEPS3_EEvT1_iilPiilS6_bb
	.p2align	8
	.type	_ZN9rocsolver6v33100L18getri_kernel_smallILi42E19rocblas_complex_numIfEPS3_EEvT1_iilPiilS6_bb,@function
_ZN9rocsolver6v33100L18getri_kernel_smallILi42E19rocblas_complex_numIfEPS3_EEvT1_iilPiilS6_bb: ; @_ZN9rocsolver6v33100L18getri_kernel_smallILi42E19rocblas_complex_numIfEPS3_EEvT1_iilPiilS6_bb
; %bb.0:
	s_add_u32 s0, s0, s7
	s_addc_u32 s1, s1, 0
	s_mov_b32 s7, exec_lo
	v_cmpx_gt_u32_e32 42, v0
	s_cbranch_execz .LBB41_182
; %bb.1:
	s_clause 0x2
	s_load_dword s7, s[4:5], 0x38
	s_load_dwordx4 s[16:19], s[4:5], 0x10
	s_load_dwordx4 s[8:11], s[4:5], 0x28
                                        ; implicit-def: $sgpr20_sgpr21
	s_waitcnt lgkmcnt(0)
	s_bitcmp1_b32 s7, 8
	s_cselect_b32 s22, -1, 0
	s_bfe_u32 s12, s7, 0x10008
	s_ashr_i32 s7, s6, 31
	s_cmp_eq_u32 s12, 0
	s_cbranch_scc1 .LBB41_3
; %bb.2:
	s_load_dword s12, s[4:5], 0x20
	s_mul_i32 s13, s8, s7
	s_mul_hi_u32 s14, s8, s6
	s_mul_i32 s9, s9, s6
	s_add_i32 s13, s14, s13
	s_mul_i32 s8, s8, s6
	s_add_i32 s9, s13, s9
	s_lshl_b64 s[8:9], s[8:9], 2
	s_waitcnt lgkmcnt(0)
	s_ashr_i32 s13, s12, 31
	s_add_u32 s14, s18, s8
	s_addc_u32 s15, s19, s9
	s_lshl_b64 s[8:9], s[12:13], 2
	s_add_u32 s20, s14, s8
	s_addc_u32 s21, s15, s9
.LBB41_3:
	s_clause 0x1
	s_load_dwordx4 s[12:15], s[4:5], 0x0
	s_load_dword s8, s[4:5], 0x38
	s_mul_i32 s4, s16, s7
	s_mul_hi_u32 s5, s16, s6
	s_mul_i32 s9, s17, s6
	s_add_i32 s5, s5, s4
	s_mul_i32 s4, s16, s6
	s_add_i32 s5, s5, s9
	s_lshl_b64 s[4:5], s[4:5], 3
	s_waitcnt lgkmcnt(0)
	v_add3_u32 v1, s15, s15, v0
	s_ashr_i32 s17, s14, 31
	s_mov_b32 s16, s14
	s_add_u32 s9, s12, s4
	s_addc_u32 s12, s13, s5
	v_add_nc_u32_e32 v3, s15, v1
	v_ashrrev_i32_e32 v2, 31, v1
	s_lshl_b64 s[4:5], s[16:17], 3
	s_add_u32 s4, s9, s4
	v_add_nc_u32_e32 v5, s15, v3
	v_ashrrev_i32_e32 v4, 31, v3
	v_lshlrev_b64 v[1:2], 3, v[1:2]
	s_addc_u32 s5, s12, s5
	s_mov_b32 s12, s15
	v_ashrrev_i32_e32 v6, 31, v5
	v_add_nc_u32_e32 v7, s15, v5
	v_lshlrev_b64 v[3:4], 3, v[3:4]
	v_add_co_u32 v9, vcc_lo, s4, v1
	v_add_co_ci_u32_e64 v10, null, s5, v2, vcc_lo
	v_lshlrev_b64 v[1:2], 3, v[5:6]
	v_ashrrev_i32_e32 v8, 31, v7
	v_add_nc_u32_e32 v5, s15, v7
	v_add_co_u32 v11, vcc_lo, s4, v3
	v_add_co_ci_u32_e64 v12, null, s5, v4, vcc_lo
	v_lshlrev_b64 v[3:4], 3, v[7:8]
	v_ashrrev_i32_e32 v6, 31, v5
	v_add_nc_u32_e32 v7, s15, v5
	;; [unrolled: 5-line block ×28, first 2 shown]
	v_add_co_u32 v65, vcc_lo, s4, v1
	v_add_co_ci_u32_e64 v66, null, s5, v2, vcc_lo
	v_lshlrev_b64 v[1:2], 3, v[5:6]
	v_add_nc_u32_e32 v5, s15, v7
	v_ashrrev_i32_e32 v8, 31, v7
	v_add_co_u32 v67, vcc_lo, s4, v3
	v_add_co_ci_u32_e64 v68, null, s5, v4, vcc_lo
	v_ashrrev_i32_e32 v6, 31, v5
	v_lshlrev_b64 v[3:4], 3, v[7:8]
	v_add_co_u32 v69, vcc_lo, s4, v1
	v_add_co_ci_u32_e64 v70, null, s5, v2, vcc_lo
	v_lshlrev_b64 v[1:2], 3, v[5:6]
	v_add_nc_u32_e32 v5, s15, v5
	v_add_co_u32 v71, vcc_lo, s4, v3
	v_add_co_ci_u32_e64 v72, null, s5, v4, vcc_lo
	v_ashrrev_i32_e32 v6, 31, v5
	v_add_nc_u32_e32 v4, s15, v5
	v_add_co_u32 v73, vcc_lo, s4, v1
	v_add_co_ci_u32_e64 v74, null, s5, v2, vcc_lo
	v_lshlrev_b64 v[1:2], 3, v[5:6]
	v_add_nc_u32_e32 v6, s15, v4
	v_lshlrev_b32_e32 v3, 3, v0
	v_ashrrev_i32_e32 v5, 31, v4
	s_ashr_i32 s13, s15, 31
	global_load_dwordx2 v[95:96], v[9:10], off
	v_add_nc_u32_e32 v85, s15, v6
	v_add_co_u32 v79, s9, s4, v3
	v_ashrrev_i32_e32 v7, 31, v6
	v_add_co_ci_u32_e64 v80, null, s5, 0, s9
	v_add_nc_u32_e32 v87, s15, v85
	v_ashrrev_i32_e32 v86, 31, v85
	s_lshl_b64 s[12:13], s[12:13], 3
	v_lshlrev_b64 v[4:5], 3, v[4:5]
	v_add_co_u32 v81, vcc_lo, v79, s12
	v_add_nc_u32_e32 v89, s15, v87
	v_ashrrev_i32_e32 v88, 31, v87
	v_lshlrev_b64 v[6:7], 3, v[6:7]
	v_add_co_ci_u32_e64 v82, null, s13, v80, vcc_lo
	v_add_nc_u32_e32 v91, s15, v89
	v_ashrrev_i32_e32 v90, 31, v89
	v_add_co_u32 v75, vcc_lo, s4, v1
	v_lshlrev_b64 v[85:86], 3, v[85:86]
	v_ashrrev_i32_e32 v92, 31, v91
	v_add_co_ci_u32_e64 v76, null, s5, v2, vcc_lo
	v_add_co_u32 v77, vcc_lo, s4, v4
	v_lshlrev_b64 v[87:88], 3, v[87:88]
	v_add_co_ci_u32_e64 v78, null, s5, v5, vcc_lo
	v_add_co_u32 v83, vcc_lo, s4, v6
	v_lshlrev_b64 v[89:90], 3, v[89:90]
	v_add_co_ci_u32_e64 v84, null, s5, v7, vcc_lo
	v_add_co_u32 v85, vcc_lo, s4, v85
	v_lshlrev_b64 v[91:92], 3, v[91:92]
	v_add_co_ci_u32_e64 v86, null, s5, v86, vcc_lo
	v_add_co_u32 v87, vcc_lo, s4, v87
	v_add_co_ci_u32_e64 v88, null, s5, v88, vcc_lo
	v_add_co_u32 v89, vcc_lo, s4, v89
	;; [unrolled: 2-line block ×3, first 2 shown]
	v_add_co_ci_u32_e64 v92, null, s5, v92, vcc_lo
	s_clause 0x28
	global_load_dwordx2 v[1:2], v3, s[4:5]
	global_load_dwordx2 v[93:94], v[81:82], off
	global_load_dwordx2 v[97:98], v[11:12], off
	;; [unrolled: 1-line block ×40, first 2 shown]
	s_mov_b32 s5, -1
	s_bitcmp0_b32 s8, 0
	s_waitcnt vmcnt(40)
	buffer_store_dword v2, off, s[0:3], 0 offset:4
	buffer_store_dword v1, off, s[0:3], 0
	s_waitcnt vmcnt(39)
	buffer_store_dword v94, off, s[0:3], 0 offset:12
	buffer_store_dword v93, off, s[0:3], 0 offset:8
	;; [unrolled: 1-line block ×4, first 2 shown]
	s_waitcnt vmcnt(38)
	buffer_store_dword v98, off, s[0:3], 0 offset:28
	buffer_store_dword v97, off, s[0:3], 0 offset:24
	s_waitcnt vmcnt(37)
	buffer_store_dword v100, off, s[0:3], 0 offset:36
	buffer_store_dword v99, off, s[0:3], 0 offset:32
	;; [unrolled: 3-line block ×39, first 2 shown]
	s_cbranch_scc1 .LBB41_180
; %bb.4:
	v_cmp_eq_u32_e64 s4, 0, v0
	s_and_saveexec_b32 s5, s4
; %bb.5:
	v_mov_b32_e32 v1, 0
	ds_write_b32 v1, v1 offset:672
; %bb.6:
	s_or_b32 exec_lo, exec_lo, s5
	v_lshl_add_u32 v5, v0, 3, 0
	s_waitcnt lgkmcnt(0)
	s_waitcnt_vscnt null, 0x0
	s_barrier
	buffer_gl0_inv
	s_clause 0x1
	buffer_load_dword v1, v5, s[0:3], 0 offen
	buffer_load_dword v2, v5, s[0:3], 0 offen offset:4
	s_waitcnt vmcnt(1)
	v_cmp_eq_f32_e32 vcc_lo, 0, v1
	s_waitcnt vmcnt(0)
	v_cmp_eq_f32_e64 s5, 0, v2
	s_and_b32 s5, vcc_lo, s5
	s_and_saveexec_b32 s8, s5
	s_cbranch_execz .LBB41_10
; %bb.7:
	v_mov_b32_e32 v1, 0
	s_mov_b32 s9, 0
	ds_read_b32 v2, v1 offset:672
	s_waitcnt lgkmcnt(0)
	v_readfirstlane_b32 s5, v2
	v_add_nc_u32_e32 v2, 1, v0
	s_cmp_eq_u32 s5, 0
	v_cmp_gt_i32_e32 vcc_lo, s5, v2
	s_cselect_b32 s12, -1, 0
	s_or_b32 s12, s12, vcc_lo
	s_and_b32 exec_lo, exec_lo, s12
	s_cbranch_execz .LBB41_10
; %bb.8:
	v_mov_b32_e32 v4, s5
.LBB41_9:                               ; =>This Inner Loop Header: Depth=1
	ds_cmpst_rtn_b32 v4, v1, v4, v2 offset:672
	s_waitcnt lgkmcnt(0)
	v_cmp_ne_u32_e32 vcc_lo, 0, v4
	v_cmp_le_i32_e64 s5, v4, v2
	s_and_b32 s5, vcc_lo, s5
	s_and_b32 s5, exec_lo, s5
	s_or_b32 s9, s5, s9
	s_andn2_b32 exec_lo, exec_lo, s9
	s_cbranch_execnz .LBB41_9
.LBB41_10:
	s_or_b32 exec_lo, exec_lo, s8
	v_mov_b32_e32 v1, 0
	s_barrier
	buffer_gl0_inv
	ds_read_b32 v2, v1 offset:672
	s_and_saveexec_b32 s5, s4
	s_cbranch_execz .LBB41_12
; %bb.11:
	s_lshl_b64 s[8:9], s[6:7], 2
	s_add_u32 s8, s10, s8
	s_addc_u32 s9, s11, s9
	s_waitcnt lgkmcnt(0)
	global_store_dword v1, v2, s[8:9]
.LBB41_12:
	s_or_b32 exec_lo, exec_lo, s5
	s_waitcnt lgkmcnt(0)
	v_cmp_ne_u32_e32 vcc_lo, 0, v2
	s_mov_b32 s5, 0
	s_cbranch_vccnz .LBB41_180
; %bb.13:
	s_clause 0x1
	buffer_load_dword v2, v5, s[0:3], 0 offen
	buffer_load_dword v4, v5, s[0:3], 0 offen offset:4
                                        ; implicit-def: $vgpr7
                                        ; implicit-def: $vgpr6
                                        ; implicit-def: $vgpr1
	s_waitcnt vmcnt(0)
	v_cmp_ngt_f32_e64 s5, |v2|, |v4|
	s_and_saveexec_b32 s8, s5
	s_xor_b32 s5, exec_lo, s8
	s_cbranch_execz .LBB41_15
; %bb.14:
	v_div_scale_f32 v1, null, v4, v4, v2
	v_div_scale_f32 v8, vcc_lo, v2, v4, v2
	v_rcp_f32_e32 v6, v1
	v_fma_f32 v7, -v1, v6, 1.0
	v_fmac_f32_e32 v6, v7, v6
	v_mul_f32_e32 v7, v8, v6
	v_fma_f32 v93, -v1, v7, v8
	v_fmac_f32_e32 v7, v93, v6
	v_fma_f32 v1, -v1, v7, v8
	v_div_fmas_f32 v1, v1, v6, v7
	v_div_fixup_f32 v1, v1, v4, v2
	v_fmac_f32_e32 v4, v2, v1
	v_div_scale_f32 v2, null, v4, v4, 1.0
	v_rcp_f32_e32 v6, v2
	v_fma_f32 v7, -v2, v6, 1.0
	v_fmac_f32_e32 v6, v7, v6
	v_div_scale_f32 v7, vcc_lo, 1.0, v4, 1.0
	v_mul_f32_e32 v8, v7, v6
	v_fma_f32 v93, -v2, v8, v7
	v_fmac_f32_e32 v8, v93, v6
	v_fma_f32 v2, -v2, v8, v7
	v_div_fmas_f32 v2, v2, v6, v8
	v_div_fixup_f32 v2, v2, v4, 1.0
                                        ; implicit-def: $vgpr4
	v_mul_f32_e32 v7, v1, v2
	v_xor_b32_e32 v6, 0x80000000, v2
                                        ; implicit-def: $vgpr2
	v_xor_b32_e32 v1, 0x80000000, v7
.LBB41_15:
	s_andn2_saveexec_b32 s5, s5
	s_cbranch_execz .LBB41_17
; %bb.16:
	v_div_scale_f32 v1, null, v2, v2, v4
	v_div_scale_f32 v8, vcc_lo, v4, v2, v4
	v_rcp_f32_e32 v6, v1
	v_fma_f32 v7, -v1, v6, 1.0
	v_fmac_f32_e32 v6, v7, v6
	v_mul_f32_e32 v7, v8, v6
	v_fma_f32 v93, -v1, v7, v8
	v_fmac_f32_e32 v7, v93, v6
	v_fma_f32 v1, -v1, v7, v8
	v_div_fmas_f32 v1, v1, v6, v7
	v_div_fixup_f32 v6, v1, v2, v4
	v_fmac_f32_e32 v2, v4, v6
	v_div_scale_f32 v1, null, v2, v2, 1.0
	v_div_scale_f32 v8, vcc_lo, 1.0, v2, 1.0
	v_rcp_f32_e32 v4, v1
	v_fma_f32 v7, -v1, v4, 1.0
	v_fmac_f32_e32 v4, v7, v4
	v_mul_f32_e32 v7, v8, v4
	v_fma_f32 v93, -v1, v7, v8
	v_fmac_f32_e32 v7, v93, v4
	v_fma_f32 v1, -v1, v7, v8
	v_div_fmas_f32 v1, v1, v4, v7
	v_div_fixup_f32 v7, v1, v2, 1.0
	v_xor_b32_e32 v1, 0x80000000, v7
	v_mul_f32_e64 v6, v6, -v7
.LBB41_17:
	s_or_b32 exec_lo, exec_lo, s5
	buffer_store_dword v7, v5, s[0:3], 0 offen
	buffer_store_dword v6, v5, s[0:3], 0 offen offset:4
	s_clause 0x1
	buffer_load_dword v8, off, s[0:3], 0 offset:12
	buffer_load_dword v7, off, s[0:3], 0 offset:8
	v_xor_b32_e32 v2, 0x80000000, v6
	v_add_nc_u32_e32 v4, 0x150, v3
	s_waitcnt vmcnt(0)
	ds_write2_b64 v3, v[1:2], v[7:8] offset1:42
	s_waitcnt lgkmcnt(0)
	s_waitcnt_vscnt null, 0x0
	s_barrier
	buffer_gl0_inv
	s_and_saveexec_b32 s5, s4
	s_cbranch_execz .LBB41_19
; %bb.18:
	s_clause 0x1
	buffer_load_dword v8, v5, s[0:3], 0 offen offset:4
	buffer_load_dword v93, v5, s[0:3], 0 offen
	ds_read_b64 v[1:2], v4
	v_mov_b32_e32 v6, 0
	ds_read_b64 v[6:7], v6 offset:8
	s_waitcnt vmcnt(1) lgkmcnt(1)
	v_mul_f32_e32 v94, v1, v8
	v_mul_f32_e32 v8, v2, v8
	s_waitcnt vmcnt(0)
	v_fmac_f32_e32 v94, v2, v93
	v_fma_f32 v1, v1, v93, -v8
	v_add_f32_e32 v2, 0, v94
	v_add_f32_e32 v1, 0, v1
	s_waitcnt lgkmcnt(0)
	v_mul_f32_e32 v8, v2, v7
	v_mul_f32_e32 v7, v1, v7
	v_fma_f32 v1, v1, v6, -v8
	v_fmac_f32_e32 v7, v2, v6
	buffer_store_dword v1, off, s[0:3], 0 offset:8
	buffer_store_dword v7, off, s[0:3], 0 offset:12
.LBB41_19:
	s_or_b32 exec_lo, exec_lo, s5
	s_waitcnt_vscnt null, 0x0
	s_barrier
	buffer_gl0_inv
	s_clause 0x1
	buffer_load_dword v1, off, s[0:3], 0 offset:16
	buffer_load_dword v2, off, s[0:3], 0 offset:20
	s_mov_b32 s5, exec_lo
	s_waitcnt vmcnt(0)
	ds_write_b64 v4, v[1:2]
	s_waitcnt lgkmcnt(0)
	s_barrier
	buffer_gl0_inv
	v_cmpx_gt_u32_e32 2, v0
	s_cbranch_execz .LBB41_23
; %bb.20:
	s_clause 0x1
	buffer_load_dword v6, v5, s[0:3], 0 offen offset:4
	buffer_load_dword v5, v5, s[0:3], 0 offen
	ds_read_b64 v[1:2], v4
	s_waitcnt vmcnt(1) lgkmcnt(0)
	v_mul_f32_e32 v7, v2, v6
	v_mul_f32_e32 v6, v1, v6
	s_waitcnt vmcnt(0)
	v_fma_f32 v1, v1, v5, -v7
	v_fmac_f32_e32 v6, v2, v5
	v_add_f32_e32 v2, 0, v1
	v_add_f32_e32 v1, 0, v6
	s_and_saveexec_b32 s8, s4
	s_cbranch_execz .LBB41_22
; %bb.21:
	s_clause 0x1
	buffer_load_dword v7, off, s[0:3], 0 offset:12
	buffer_load_dword v8, off, s[0:3], 0 offset:8
	v_mov_b32_e32 v5, 0
	ds_read_b64 v[5:6], v5 offset:344
	s_waitcnt vmcnt(1) lgkmcnt(0)
	v_mul_f32_e32 v93, v5, v7
	v_mul_f32_e32 v7, v6, v7
	s_waitcnt vmcnt(0)
	v_fmac_f32_e32 v93, v6, v8
	v_fma_f32 v5, v5, v8, -v7
	v_add_f32_e32 v1, v1, v93
	v_add_f32_e32 v2, v2, v5
.LBB41_22:
	s_or_b32 exec_lo, exec_lo, s8
	v_mov_b32_e32 v5, 0
	ds_read_b64 v[5:6], v5 offset:16
	s_waitcnt lgkmcnt(0)
	v_mul_f32_e32 v7, v1, v6
	v_mul_f32_e32 v6, v2, v6
	v_fma_f32 v2, v2, v5, -v7
	v_fmac_f32_e32 v6, v1, v5
	buffer_store_dword v2, off, s[0:3], 0 offset:16
	buffer_store_dword v6, off, s[0:3], 0 offset:20
.LBB41_23:
	s_or_b32 exec_lo, exec_lo, s5
	s_waitcnt_vscnt null, 0x0
	s_barrier
	buffer_gl0_inv
	s_clause 0x1
	buffer_load_dword v5, off, s[0:3], 0 offset:24
	buffer_load_dword v6, off, s[0:3], 0 offset:28
	v_add_nc_u32_e32 v1, -1, v0
	s_mov_b32 s4, exec_lo
	s_waitcnt vmcnt(0)
	ds_write_b64 v4, v[5:6]
	s_waitcnt lgkmcnt(0)
	s_barrier
	buffer_gl0_inv
	v_cmpx_gt_u32_e32 3, v0
	s_cbranch_execz .LBB41_27
; %bb.24:
	v_add_nc_u32_e32 v5, -1, v0
	v_add_nc_u32_e32 v6, 0x150, v3
	v_mov_b32_e32 v7, v3
	v_mov_b32_e32 v2, 0
	;; [unrolled: 1-line block ×3, first 2 shown]
	s_mov_b32 s5, 0
	.p2align	6
.LBB41_25:                              ; =>This Inner Loop Header: Depth=1
	s_clause 0x1
	buffer_load_dword v95, v7, s[0:3], 0 offen offset:4
	buffer_load_dword v96, v7, s[0:3], 0 offen
	ds_read_b64 v[93:94], v6
	v_add_nc_u32_e32 v5, 1, v5
	v_add_nc_u32_e32 v6, 8, v6
	;; [unrolled: 1-line block ×3, first 2 shown]
	v_cmp_lt_u32_e32 vcc_lo, 1, v5
	s_or_b32 s5, vcc_lo, s5
	s_waitcnt vmcnt(1) lgkmcnt(0)
	v_mul_f32_e32 v97, v94, v95
	v_mul_f32_e32 v95, v93, v95
	s_waitcnt vmcnt(0)
	v_fma_f32 v93, v93, v96, -v97
	v_fmac_f32_e32 v95, v94, v96
	v_add_f32_e32 v8, v8, v93
	v_add_f32_e32 v2, v2, v95
	s_andn2_b32 exec_lo, exec_lo, s5
	s_cbranch_execnz .LBB41_25
; %bb.26:
	s_or_b32 exec_lo, exec_lo, s5
	v_mov_b32_e32 v5, 0
	ds_read_b64 v[5:6], v5 offset:24
	s_waitcnt lgkmcnt(0)
	v_mul_f32_e32 v7, v2, v6
	v_mul_f32_e32 v6, v8, v6
	v_fma_f32 v7, v8, v5, -v7
	v_fmac_f32_e32 v6, v2, v5
	buffer_store_dword v7, off, s[0:3], 0 offset:24
	buffer_store_dword v6, off, s[0:3], 0 offset:28
.LBB41_27:
	s_or_b32 exec_lo, exec_lo, s4
	s_waitcnt_vscnt null, 0x0
	s_barrier
	buffer_gl0_inv
	s_clause 0x1
	buffer_load_dword v5, off, s[0:3], 0 offset:32
	buffer_load_dword v6, off, s[0:3], 0 offset:36
	s_mov_b32 s4, exec_lo
	s_waitcnt vmcnt(0)
	ds_write_b64 v4, v[5:6]
	s_waitcnt lgkmcnt(0)
	s_barrier
	buffer_gl0_inv
	v_cmpx_gt_u32_e32 4, v0
	s_cbranch_execz .LBB41_31
; %bb.28:
	v_add_nc_u32_e32 v5, -1, v0
	v_add_nc_u32_e32 v6, 0x150, v3
	v_mov_b32_e32 v7, v3
	v_mov_b32_e32 v2, 0
	v_mov_b32_e32 v8, 0
	s_mov_b32 s5, 0
	.p2align	6
.LBB41_29:                              ; =>This Inner Loop Header: Depth=1
	s_clause 0x1
	buffer_load_dword v95, v7, s[0:3], 0 offen offset:4
	buffer_load_dword v96, v7, s[0:3], 0 offen
	ds_read_b64 v[93:94], v6
	v_add_nc_u32_e32 v5, 1, v5
	v_add_nc_u32_e32 v6, 8, v6
	;; [unrolled: 1-line block ×3, first 2 shown]
	v_cmp_lt_u32_e32 vcc_lo, 2, v5
	s_or_b32 s5, vcc_lo, s5
	s_waitcnt vmcnt(1) lgkmcnt(0)
	v_mul_f32_e32 v97, v94, v95
	v_mul_f32_e32 v95, v93, v95
	s_waitcnt vmcnt(0)
	v_fma_f32 v93, v93, v96, -v97
	v_fmac_f32_e32 v95, v94, v96
	v_add_f32_e32 v8, v8, v93
	v_add_f32_e32 v2, v2, v95
	s_andn2_b32 exec_lo, exec_lo, s5
	s_cbranch_execnz .LBB41_29
; %bb.30:
	s_or_b32 exec_lo, exec_lo, s5
	v_mov_b32_e32 v5, 0
	ds_read_b64 v[5:6], v5 offset:32
	s_waitcnt lgkmcnt(0)
	v_mul_f32_e32 v7, v2, v6
	v_mul_f32_e32 v6, v8, v6
	v_fma_f32 v7, v8, v5, -v7
	v_fmac_f32_e32 v6, v2, v5
	buffer_store_dword v7, off, s[0:3], 0 offset:32
	buffer_store_dword v6, off, s[0:3], 0 offset:36
.LBB41_31:
	s_or_b32 exec_lo, exec_lo, s4
	s_waitcnt_vscnt null, 0x0
	s_barrier
	buffer_gl0_inv
	s_clause 0x1
	buffer_load_dword v5, off, s[0:3], 0 offset:40
	buffer_load_dword v6, off, s[0:3], 0 offset:44
	s_mov_b32 s4, exec_lo
	s_waitcnt vmcnt(0)
	ds_write_b64 v4, v[5:6]
	s_waitcnt lgkmcnt(0)
	s_barrier
	buffer_gl0_inv
	v_cmpx_gt_u32_e32 5, v0
	s_cbranch_execz .LBB41_35
; %bb.32:
	v_add_nc_u32_e32 v5, -1, v0
	v_add_nc_u32_e32 v6, 0x150, v3
	v_mov_b32_e32 v7, v3
	v_mov_b32_e32 v2, 0
	;; [unrolled: 1-line block ×3, first 2 shown]
	s_mov_b32 s5, 0
	.p2align	6
.LBB41_33:                              ; =>This Inner Loop Header: Depth=1
	s_clause 0x1
	buffer_load_dword v95, v7, s[0:3], 0 offen offset:4
	buffer_load_dword v96, v7, s[0:3], 0 offen
	ds_read_b64 v[93:94], v6
	v_add_nc_u32_e32 v5, 1, v5
	v_add_nc_u32_e32 v6, 8, v6
	;; [unrolled: 1-line block ×3, first 2 shown]
	v_cmp_lt_u32_e32 vcc_lo, 3, v5
	s_or_b32 s5, vcc_lo, s5
	s_waitcnt vmcnt(1) lgkmcnt(0)
	v_mul_f32_e32 v97, v94, v95
	v_mul_f32_e32 v95, v93, v95
	s_waitcnt vmcnt(0)
	v_fma_f32 v93, v93, v96, -v97
	v_fmac_f32_e32 v95, v94, v96
	v_add_f32_e32 v8, v8, v93
	v_add_f32_e32 v2, v2, v95
	s_andn2_b32 exec_lo, exec_lo, s5
	s_cbranch_execnz .LBB41_33
; %bb.34:
	s_or_b32 exec_lo, exec_lo, s5
	v_mov_b32_e32 v5, 0
	ds_read_b64 v[5:6], v5 offset:40
	s_waitcnt lgkmcnt(0)
	v_mul_f32_e32 v7, v2, v6
	v_mul_f32_e32 v6, v8, v6
	v_fma_f32 v7, v8, v5, -v7
	v_fmac_f32_e32 v6, v2, v5
	buffer_store_dword v7, off, s[0:3], 0 offset:40
	buffer_store_dword v6, off, s[0:3], 0 offset:44
.LBB41_35:
	s_or_b32 exec_lo, exec_lo, s4
	s_waitcnt_vscnt null, 0x0
	s_barrier
	buffer_gl0_inv
	s_clause 0x1
	buffer_load_dword v5, off, s[0:3], 0 offset:48
	buffer_load_dword v6, off, s[0:3], 0 offset:52
	s_mov_b32 s4, exec_lo
	s_waitcnt vmcnt(0)
	ds_write_b64 v4, v[5:6]
	s_waitcnt lgkmcnt(0)
	s_barrier
	buffer_gl0_inv
	v_cmpx_gt_u32_e32 6, v0
	s_cbranch_execz .LBB41_39
; %bb.36:
	v_add_nc_u32_e32 v5, -1, v0
	v_add_nc_u32_e32 v6, 0x150, v3
	v_mov_b32_e32 v7, v3
	v_mov_b32_e32 v2, 0
	v_mov_b32_e32 v8, 0
	s_mov_b32 s5, 0
	.p2align	6
.LBB41_37:                              ; =>This Inner Loop Header: Depth=1
	s_clause 0x1
	buffer_load_dword v95, v7, s[0:3], 0 offen offset:4
	buffer_load_dword v96, v7, s[0:3], 0 offen
	ds_read_b64 v[93:94], v6
	v_add_nc_u32_e32 v5, 1, v5
	v_add_nc_u32_e32 v6, 8, v6
	;; [unrolled: 1-line block ×3, first 2 shown]
	v_cmp_lt_u32_e32 vcc_lo, 4, v5
	s_or_b32 s5, vcc_lo, s5
	s_waitcnt vmcnt(1) lgkmcnt(0)
	v_mul_f32_e32 v97, v94, v95
	v_mul_f32_e32 v95, v93, v95
	s_waitcnt vmcnt(0)
	v_fma_f32 v93, v93, v96, -v97
	v_fmac_f32_e32 v95, v94, v96
	v_add_f32_e32 v8, v8, v93
	v_add_f32_e32 v2, v2, v95
	s_andn2_b32 exec_lo, exec_lo, s5
	s_cbranch_execnz .LBB41_37
; %bb.38:
	s_or_b32 exec_lo, exec_lo, s5
	v_mov_b32_e32 v5, 0
	ds_read_b64 v[5:6], v5 offset:48
	s_waitcnt lgkmcnt(0)
	v_mul_f32_e32 v7, v2, v6
	v_mul_f32_e32 v6, v8, v6
	v_fma_f32 v7, v8, v5, -v7
	v_fmac_f32_e32 v6, v2, v5
	buffer_store_dword v7, off, s[0:3], 0 offset:48
	buffer_store_dword v6, off, s[0:3], 0 offset:52
.LBB41_39:
	s_or_b32 exec_lo, exec_lo, s4
	s_waitcnt_vscnt null, 0x0
	s_barrier
	buffer_gl0_inv
	s_clause 0x1
	buffer_load_dword v5, off, s[0:3], 0 offset:56
	buffer_load_dword v6, off, s[0:3], 0 offset:60
	s_mov_b32 s4, exec_lo
	s_waitcnt vmcnt(0)
	ds_write_b64 v4, v[5:6]
	s_waitcnt lgkmcnt(0)
	s_barrier
	buffer_gl0_inv
	v_cmpx_gt_u32_e32 7, v0
	s_cbranch_execz .LBB41_43
; %bb.40:
	v_add_nc_u32_e32 v5, -1, v0
	v_add_nc_u32_e32 v6, 0x150, v3
	v_mov_b32_e32 v7, v3
	v_mov_b32_e32 v2, 0
	;; [unrolled: 1-line block ×3, first 2 shown]
	s_mov_b32 s5, 0
	.p2align	6
.LBB41_41:                              ; =>This Inner Loop Header: Depth=1
	s_clause 0x1
	buffer_load_dword v95, v7, s[0:3], 0 offen offset:4
	buffer_load_dword v96, v7, s[0:3], 0 offen
	ds_read_b64 v[93:94], v6
	v_add_nc_u32_e32 v5, 1, v5
	v_add_nc_u32_e32 v6, 8, v6
	;; [unrolled: 1-line block ×3, first 2 shown]
	v_cmp_lt_u32_e32 vcc_lo, 5, v5
	s_or_b32 s5, vcc_lo, s5
	s_waitcnt vmcnt(1) lgkmcnt(0)
	v_mul_f32_e32 v97, v94, v95
	v_mul_f32_e32 v95, v93, v95
	s_waitcnt vmcnt(0)
	v_fma_f32 v93, v93, v96, -v97
	v_fmac_f32_e32 v95, v94, v96
	v_add_f32_e32 v8, v8, v93
	v_add_f32_e32 v2, v2, v95
	s_andn2_b32 exec_lo, exec_lo, s5
	s_cbranch_execnz .LBB41_41
; %bb.42:
	s_or_b32 exec_lo, exec_lo, s5
	v_mov_b32_e32 v5, 0
	ds_read_b64 v[5:6], v5 offset:56
	s_waitcnt lgkmcnt(0)
	v_mul_f32_e32 v7, v2, v6
	v_mul_f32_e32 v6, v8, v6
	v_fma_f32 v7, v8, v5, -v7
	v_fmac_f32_e32 v6, v2, v5
	buffer_store_dword v7, off, s[0:3], 0 offset:56
	buffer_store_dword v6, off, s[0:3], 0 offset:60
.LBB41_43:
	s_or_b32 exec_lo, exec_lo, s4
	s_waitcnt_vscnt null, 0x0
	s_barrier
	buffer_gl0_inv
	s_clause 0x1
	buffer_load_dword v5, off, s[0:3], 0 offset:64
	buffer_load_dword v6, off, s[0:3], 0 offset:68
	s_mov_b32 s4, exec_lo
	s_waitcnt vmcnt(0)
	ds_write_b64 v4, v[5:6]
	s_waitcnt lgkmcnt(0)
	s_barrier
	buffer_gl0_inv
	v_cmpx_gt_u32_e32 8, v0
	s_cbranch_execz .LBB41_47
; %bb.44:
	v_add_nc_u32_e32 v5, -1, v0
	v_add_nc_u32_e32 v6, 0x150, v3
	v_mov_b32_e32 v7, v3
	v_mov_b32_e32 v2, 0
	;; [unrolled: 1-line block ×3, first 2 shown]
	s_mov_b32 s5, 0
	.p2align	6
.LBB41_45:                              ; =>This Inner Loop Header: Depth=1
	s_clause 0x1
	buffer_load_dword v95, v7, s[0:3], 0 offen offset:4
	buffer_load_dword v96, v7, s[0:3], 0 offen
	ds_read_b64 v[93:94], v6
	v_add_nc_u32_e32 v5, 1, v5
	v_add_nc_u32_e32 v6, 8, v6
	;; [unrolled: 1-line block ×3, first 2 shown]
	v_cmp_lt_u32_e32 vcc_lo, 6, v5
	s_or_b32 s5, vcc_lo, s5
	s_waitcnt vmcnt(1) lgkmcnt(0)
	v_mul_f32_e32 v97, v94, v95
	v_mul_f32_e32 v95, v93, v95
	s_waitcnt vmcnt(0)
	v_fma_f32 v93, v93, v96, -v97
	v_fmac_f32_e32 v95, v94, v96
	v_add_f32_e32 v8, v8, v93
	v_add_f32_e32 v2, v2, v95
	s_andn2_b32 exec_lo, exec_lo, s5
	s_cbranch_execnz .LBB41_45
; %bb.46:
	s_or_b32 exec_lo, exec_lo, s5
	v_mov_b32_e32 v5, 0
	ds_read_b64 v[5:6], v5 offset:64
	s_waitcnt lgkmcnt(0)
	v_mul_f32_e32 v7, v2, v6
	v_mul_f32_e32 v6, v8, v6
	v_fma_f32 v7, v8, v5, -v7
	v_fmac_f32_e32 v6, v2, v5
	buffer_store_dword v7, off, s[0:3], 0 offset:64
	buffer_store_dword v6, off, s[0:3], 0 offset:68
.LBB41_47:
	s_or_b32 exec_lo, exec_lo, s4
	s_waitcnt_vscnt null, 0x0
	s_barrier
	buffer_gl0_inv
	s_clause 0x1
	buffer_load_dword v5, off, s[0:3], 0 offset:72
	buffer_load_dword v6, off, s[0:3], 0 offset:76
	s_mov_b32 s4, exec_lo
	s_waitcnt vmcnt(0)
	ds_write_b64 v4, v[5:6]
	s_waitcnt lgkmcnt(0)
	s_barrier
	buffer_gl0_inv
	v_cmpx_gt_u32_e32 9, v0
	s_cbranch_execz .LBB41_51
; %bb.48:
	v_add_nc_u32_e32 v5, -1, v0
	v_add_nc_u32_e32 v6, 0x150, v3
	v_mov_b32_e32 v7, v3
	v_mov_b32_e32 v2, 0
	;; [unrolled: 1-line block ×3, first 2 shown]
	s_mov_b32 s5, 0
	.p2align	6
.LBB41_49:                              ; =>This Inner Loop Header: Depth=1
	s_clause 0x1
	buffer_load_dword v95, v7, s[0:3], 0 offen offset:4
	buffer_load_dword v96, v7, s[0:3], 0 offen
	ds_read_b64 v[93:94], v6
	v_add_nc_u32_e32 v5, 1, v5
	v_add_nc_u32_e32 v6, 8, v6
	;; [unrolled: 1-line block ×3, first 2 shown]
	v_cmp_lt_u32_e32 vcc_lo, 7, v5
	s_or_b32 s5, vcc_lo, s5
	s_waitcnt vmcnt(1) lgkmcnt(0)
	v_mul_f32_e32 v97, v94, v95
	v_mul_f32_e32 v95, v93, v95
	s_waitcnt vmcnt(0)
	v_fma_f32 v93, v93, v96, -v97
	v_fmac_f32_e32 v95, v94, v96
	v_add_f32_e32 v8, v8, v93
	v_add_f32_e32 v2, v2, v95
	s_andn2_b32 exec_lo, exec_lo, s5
	s_cbranch_execnz .LBB41_49
; %bb.50:
	s_or_b32 exec_lo, exec_lo, s5
	v_mov_b32_e32 v5, 0
	ds_read_b64 v[5:6], v5 offset:72
	s_waitcnt lgkmcnt(0)
	v_mul_f32_e32 v7, v2, v6
	v_mul_f32_e32 v6, v8, v6
	v_fma_f32 v7, v8, v5, -v7
	v_fmac_f32_e32 v6, v2, v5
	buffer_store_dword v7, off, s[0:3], 0 offset:72
	buffer_store_dword v6, off, s[0:3], 0 offset:76
.LBB41_51:
	s_or_b32 exec_lo, exec_lo, s4
	s_waitcnt_vscnt null, 0x0
	s_barrier
	buffer_gl0_inv
	s_clause 0x1
	buffer_load_dword v5, off, s[0:3], 0 offset:80
	buffer_load_dword v6, off, s[0:3], 0 offset:84
	s_mov_b32 s4, exec_lo
	s_waitcnt vmcnt(0)
	ds_write_b64 v4, v[5:6]
	s_waitcnt lgkmcnt(0)
	s_barrier
	buffer_gl0_inv
	v_cmpx_gt_u32_e32 10, v0
	s_cbranch_execz .LBB41_55
; %bb.52:
	v_add_nc_u32_e32 v5, -1, v0
	v_add_nc_u32_e32 v6, 0x150, v3
	v_mov_b32_e32 v7, v3
	v_mov_b32_e32 v2, 0
	;; [unrolled: 1-line block ×3, first 2 shown]
	s_mov_b32 s5, 0
	.p2align	6
.LBB41_53:                              ; =>This Inner Loop Header: Depth=1
	s_clause 0x1
	buffer_load_dword v95, v7, s[0:3], 0 offen offset:4
	buffer_load_dword v96, v7, s[0:3], 0 offen
	ds_read_b64 v[93:94], v6
	v_add_nc_u32_e32 v5, 1, v5
	v_add_nc_u32_e32 v6, 8, v6
	;; [unrolled: 1-line block ×3, first 2 shown]
	v_cmp_lt_u32_e32 vcc_lo, 8, v5
	s_or_b32 s5, vcc_lo, s5
	s_waitcnt vmcnt(1) lgkmcnt(0)
	v_mul_f32_e32 v97, v94, v95
	v_mul_f32_e32 v95, v93, v95
	s_waitcnt vmcnt(0)
	v_fma_f32 v93, v93, v96, -v97
	v_fmac_f32_e32 v95, v94, v96
	v_add_f32_e32 v8, v8, v93
	v_add_f32_e32 v2, v2, v95
	s_andn2_b32 exec_lo, exec_lo, s5
	s_cbranch_execnz .LBB41_53
; %bb.54:
	s_or_b32 exec_lo, exec_lo, s5
	v_mov_b32_e32 v5, 0
	ds_read_b64 v[5:6], v5 offset:80
	s_waitcnt lgkmcnt(0)
	v_mul_f32_e32 v7, v2, v6
	v_mul_f32_e32 v6, v8, v6
	v_fma_f32 v7, v8, v5, -v7
	v_fmac_f32_e32 v6, v2, v5
	buffer_store_dword v7, off, s[0:3], 0 offset:80
	buffer_store_dword v6, off, s[0:3], 0 offset:84
.LBB41_55:
	s_or_b32 exec_lo, exec_lo, s4
	s_waitcnt_vscnt null, 0x0
	s_barrier
	buffer_gl0_inv
	s_clause 0x1
	buffer_load_dword v5, off, s[0:3], 0 offset:88
	buffer_load_dword v6, off, s[0:3], 0 offset:92
	s_mov_b32 s4, exec_lo
	s_waitcnt vmcnt(0)
	ds_write_b64 v4, v[5:6]
	s_waitcnt lgkmcnt(0)
	s_barrier
	buffer_gl0_inv
	v_cmpx_gt_u32_e32 11, v0
	s_cbranch_execz .LBB41_59
; %bb.56:
	v_add_nc_u32_e32 v5, -1, v0
	v_add_nc_u32_e32 v6, 0x150, v3
	v_mov_b32_e32 v7, v3
	v_mov_b32_e32 v2, 0
	;; [unrolled: 1-line block ×3, first 2 shown]
	s_mov_b32 s5, 0
	.p2align	6
.LBB41_57:                              ; =>This Inner Loop Header: Depth=1
	s_clause 0x1
	buffer_load_dword v95, v7, s[0:3], 0 offen offset:4
	buffer_load_dword v96, v7, s[0:3], 0 offen
	ds_read_b64 v[93:94], v6
	v_add_nc_u32_e32 v5, 1, v5
	v_add_nc_u32_e32 v6, 8, v6
	;; [unrolled: 1-line block ×3, first 2 shown]
	v_cmp_lt_u32_e32 vcc_lo, 9, v5
	s_or_b32 s5, vcc_lo, s5
	s_waitcnt vmcnt(1) lgkmcnt(0)
	v_mul_f32_e32 v97, v94, v95
	v_mul_f32_e32 v95, v93, v95
	s_waitcnt vmcnt(0)
	v_fma_f32 v93, v93, v96, -v97
	v_fmac_f32_e32 v95, v94, v96
	v_add_f32_e32 v8, v8, v93
	v_add_f32_e32 v2, v2, v95
	s_andn2_b32 exec_lo, exec_lo, s5
	s_cbranch_execnz .LBB41_57
; %bb.58:
	s_or_b32 exec_lo, exec_lo, s5
	v_mov_b32_e32 v5, 0
	ds_read_b64 v[5:6], v5 offset:88
	s_waitcnt lgkmcnt(0)
	v_mul_f32_e32 v7, v2, v6
	v_mul_f32_e32 v6, v8, v6
	v_fma_f32 v7, v8, v5, -v7
	v_fmac_f32_e32 v6, v2, v5
	buffer_store_dword v7, off, s[0:3], 0 offset:88
	buffer_store_dword v6, off, s[0:3], 0 offset:92
.LBB41_59:
	s_or_b32 exec_lo, exec_lo, s4
	s_waitcnt_vscnt null, 0x0
	s_barrier
	buffer_gl0_inv
	s_clause 0x1
	buffer_load_dword v5, off, s[0:3], 0 offset:96
	buffer_load_dword v6, off, s[0:3], 0 offset:100
	s_mov_b32 s4, exec_lo
	s_waitcnt vmcnt(0)
	ds_write_b64 v4, v[5:6]
	s_waitcnt lgkmcnt(0)
	s_barrier
	buffer_gl0_inv
	v_cmpx_gt_u32_e32 12, v0
	s_cbranch_execz .LBB41_63
; %bb.60:
	v_add_nc_u32_e32 v5, -1, v0
	v_add_nc_u32_e32 v6, 0x150, v3
	v_mov_b32_e32 v7, v3
	v_mov_b32_e32 v2, 0
	;; [unrolled: 1-line block ×3, first 2 shown]
	s_mov_b32 s5, 0
	.p2align	6
.LBB41_61:                              ; =>This Inner Loop Header: Depth=1
	s_clause 0x1
	buffer_load_dword v95, v7, s[0:3], 0 offen offset:4
	buffer_load_dword v96, v7, s[0:3], 0 offen
	ds_read_b64 v[93:94], v6
	v_add_nc_u32_e32 v5, 1, v5
	v_add_nc_u32_e32 v6, 8, v6
	;; [unrolled: 1-line block ×3, first 2 shown]
	v_cmp_lt_u32_e32 vcc_lo, 10, v5
	s_or_b32 s5, vcc_lo, s5
	s_waitcnt vmcnt(1) lgkmcnt(0)
	v_mul_f32_e32 v97, v94, v95
	v_mul_f32_e32 v95, v93, v95
	s_waitcnt vmcnt(0)
	v_fma_f32 v93, v93, v96, -v97
	v_fmac_f32_e32 v95, v94, v96
	v_add_f32_e32 v8, v8, v93
	v_add_f32_e32 v2, v2, v95
	s_andn2_b32 exec_lo, exec_lo, s5
	s_cbranch_execnz .LBB41_61
; %bb.62:
	s_or_b32 exec_lo, exec_lo, s5
	v_mov_b32_e32 v5, 0
	ds_read_b64 v[5:6], v5 offset:96
	s_waitcnt lgkmcnt(0)
	v_mul_f32_e32 v7, v2, v6
	v_mul_f32_e32 v6, v8, v6
	v_fma_f32 v7, v8, v5, -v7
	v_fmac_f32_e32 v6, v2, v5
	buffer_store_dword v7, off, s[0:3], 0 offset:96
	buffer_store_dword v6, off, s[0:3], 0 offset:100
.LBB41_63:
	s_or_b32 exec_lo, exec_lo, s4
	s_waitcnt_vscnt null, 0x0
	s_barrier
	buffer_gl0_inv
	s_clause 0x1
	buffer_load_dword v5, off, s[0:3], 0 offset:104
	buffer_load_dword v6, off, s[0:3], 0 offset:108
	s_mov_b32 s4, exec_lo
	s_waitcnt vmcnt(0)
	ds_write_b64 v4, v[5:6]
	s_waitcnt lgkmcnt(0)
	s_barrier
	buffer_gl0_inv
	v_cmpx_gt_u32_e32 13, v0
	s_cbranch_execz .LBB41_67
; %bb.64:
	v_add_nc_u32_e32 v5, -1, v0
	v_add_nc_u32_e32 v6, 0x150, v3
	v_mov_b32_e32 v7, v3
	v_mov_b32_e32 v2, 0
	;; [unrolled: 1-line block ×3, first 2 shown]
	s_mov_b32 s5, 0
	.p2align	6
.LBB41_65:                              ; =>This Inner Loop Header: Depth=1
	s_clause 0x1
	buffer_load_dword v95, v7, s[0:3], 0 offen offset:4
	buffer_load_dword v96, v7, s[0:3], 0 offen
	ds_read_b64 v[93:94], v6
	v_add_nc_u32_e32 v5, 1, v5
	v_add_nc_u32_e32 v6, 8, v6
	;; [unrolled: 1-line block ×3, first 2 shown]
	v_cmp_lt_u32_e32 vcc_lo, 11, v5
	s_or_b32 s5, vcc_lo, s5
	s_waitcnt vmcnt(1) lgkmcnt(0)
	v_mul_f32_e32 v97, v94, v95
	v_mul_f32_e32 v95, v93, v95
	s_waitcnt vmcnt(0)
	v_fma_f32 v93, v93, v96, -v97
	v_fmac_f32_e32 v95, v94, v96
	v_add_f32_e32 v8, v8, v93
	v_add_f32_e32 v2, v2, v95
	s_andn2_b32 exec_lo, exec_lo, s5
	s_cbranch_execnz .LBB41_65
; %bb.66:
	s_or_b32 exec_lo, exec_lo, s5
	v_mov_b32_e32 v5, 0
	ds_read_b64 v[5:6], v5 offset:104
	s_waitcnt lgkmcnt(0)
	v_mul_f32_e32 v7, v2, v6
	v_mul_f32_e32 v6, v8, v6
	v_fma_f32 v7, v8, v5, -v7
	v_fmac_f32_e32 v6, v2, v5
	buffer_store_dword v7, off, s[0:3], 0 offset:104
	buffer_store_dword v6, off, s[0:3], 0 offset:108
.LBB41_67:
	s_or_b32 exec_lo, exec_lo, s4
	s_waitcnt_vscnt null, 0x0
	s_barrier
	buffer_gl0_inv
	s_clause 0x1
	buffer_load_dword v5, off, s[0:3], 0 offset:112
	buffer_load_dword v6, off, s[0:3], 0 offset:116
	s_mov_b32 s4, exec_lo
	s_waitcnt vmcnt(0)
	ds_write_b64 v4, v[5:6]
	s_waitcnt lgkmcnt(0)
	s_barrier
	buffer_gl0_inv
	v_cmpx_gt_u32_e32 14, v0
	s_cbranch_execz .LBB41_71
; %bb.68:
	v_add_nc_u32_e32 v5, -1, v0
	v_add_nc_u32_e32 v6, 0x150, v3
	v_mov_b32_e32 v7, v3
	v_mov_b32_e32 v2, 0
	;; [unrolled: 1-line block ×3, first 2 shown]
	s_mov_b32 s5, 0
	.p2align	6
.LBB41_69:                              ; =>This Inner Loop Header: Depth=1
	s_clause 0x1
	buffer_load_dword v95, v7, s[0:3], 0 offen offset:4
	buffer_load_dword v96, v7, s[0:3], 0 offen
	ds_read_b64 v[93:94], v6
	v_add_nc_u32_e32 v5, 1, v5
	v_add_nc_u32_e32 v6, 8, v6
	;; [unrolled: 1-line block ×3, first 2 shown]
	v_cmp_lt_u32_e32 vcc_lo, 12, v5
	s_or_b32 s5, vcc_lo, s5
	s_waitcnt vmcnt(1) lgkmcnt(0)
	v_mul_f32_e32 v97, v94, v95
	v_mul_f32_e32 v95, v93, v95
	s_waitcnt vmcnt(0)
	v_fma_f32 v93, v93, v96, -v97
	v_fmac_f32_e32 v95, v94, v96
	v_add_f32_e32 v8, v8, v93
	v_add_f32_e32 v2, v2, v95
	s_andn2_b32 exec_lo, exec_lo, s5
	s_cbranch_execnz .LBB41_69
; %bb.70:
	s_or_b32 exec_lo, exec_lo, s5
	v_mov_b32_e32 v5, 0
	ds_read_b64 v[5:6], v5 offset:112
	s_waitcnt lgkmcnt(0)
	v_mul_f32_e32 v7, v2, v6
	v_mul_f32_e32 v6, v8, v6
	v_fma_f32 v7, v8, v5, -v7
	v_fmac_f32_e32 v6, v2, v5
	buffer_store_dword v7, off, s[0:3], 0 offset:112
	buffer_store_dword v6, off, s[0:3], 0 offset:116
.LBB41_71:
	s_or_b32 exec_lo, exec_lo, s4
	s_waitcnt_vscnt null, 0x0
	s_barrier
	buffer_gl0_inv
	s_clause 0x1
	buffer_load_dword v5, off, s[0:3], 0 offset:120
	buffer_load_dword v6, off, s[0:3], 0 offset:124
	s_mov_b32 s4, exec_lo
	s_waitcnt vmcnt(0)
	ds_write_b64 v4, v[5:6]
	s_waitcnt lgkmcnt(0)
	s_barrier
	buffer_gl0_inv
	v_cmpx_gt_u32_e32 15, v0
	s_cbranch_execz .LBB41_75
; %bb.72:
	v_add_nc_u32_e32 v5, -1, v0
	v_add_nc_u32_e32 v6, 0x150, v3
	v_mov_b32_e32 v7, v3
	v_mov_b32_e32 v2, 0
	;; [unrolled: 1-line block ×3, first 2 shown]
	s_mov_b32 s5, 0
	.p2align	6
.LBB41_73:                              ; =>This Inner Loop Header: Depth=1
	s_clause 0x1
	buffer_load_dword v95, v7, s[0:3], 0 offen offset:4
	buffer_load_dword v96, v7, s[0:3], 0 offen
	ds_read_b64 v[93:94], v6
	v_add_nc_u32_e32 v5, 1, v5
	v_add_nc_u32_e32 v6, 8, v6
	;; [unrolled: 1-line block ×3, first 2 shown]
	v_cmp_lt_u32_e32 vcc_lo, 13, v5
	s_or_b32 s5, vcc_lo, s5
	s_waitcnt vmcnt(1) lgkmcnt(0)
	v_mul_f32_e32 v97, v94, v95
	v_mul_f32_e32 v95, v93, v95
	s_waitcnt vmcnt(0)
	v_fma_f32 v93, v93, v96, -v97
	v_fmac_f32_e32 v95, v94, v96
	v_add_f32_e32 v8, v8, v93
	v_add_f32_e32 v2, v2, v95
	s_andn2_b32 exec_lo, exec_lo, s5
	s_cbranch_execnz .LBB41_73
; %bb.74:
	s_or_b32 exec_lo, exec_lo, s5
	v_mov_b32_e32 v5, 0
	ds_read_b64 v[5:6], v5 offset:120
	s_waitcnt lgkmcnt(0)
	v_mul_f32_e32 v7, v2, v6
	v_mul_f32_e32 v6, v8, v6
	v_fma_f32 v7, v8, v5, -v7
	v_fmac_f32_e32 v6, v2, v5
	buffer_store_dword v7, off, s[0:3], 0 offset:120
	buffer_store_dword v6, off, s[0:3], 0 offset:124
.LBB41_75:
	s_or_b32 exec_lo, exec_lo, s4
	s_waitcnt_vscnt null, 0x0
	s_barrier
	buffer_gl0_inv
	s_clause 0x1
	buffer_load_dword v5, off, s[0:3], 0 offset:128
	buffer_load_dword v6, off, s[0:3], 0 offset:132
	s_mov_b32 s4, exec_lo
	s_waitcnt vmcnt(0)
	ds_write_b64 v4, v[5:6]
	s_waitcnt lgkmcnt(0)
	s_barrier
	buffer_gl0_inv
	v_cmpx_gt_u32_e32 16, v0
	s_cbranch_execz .LBB41_79
; %bb.76:
	v_add_nc_u32_e32 v5, -1, v0
	v_add_nc_u32_e32 v6, 0x150, v3
	v_mov_b32_e32 v7, v3
	v_mov_b32_e32 v2, 0
	;; [unrolled: 1-line block ×3, first 2 shown]
	s_mov_b32 s5, 0
	.p2align	6
.LBB41_77:                              ; =>This Inner Loop Header: Depth=1
	s_clause 0x1
	buffer_load_dword v95, v7, s[0:3], 0 offen offset:4
	buffer_load_dword v96, v7, s[0:3], 0 offen
	ds_read_b64 v[93:94], v6
	v_add_nc_u32_e32 v5, 1, v5
	v_add_nc_u32_e32 v6, 8, v6
	;; [unrolled: 1-line block ×3, first 2 shown]
	v_cmp_lt_u32_e32 vcc_lo, 14, v5
	s_or_b32 s5, vcc_lo, s5
	s_waitcnt vmcnt(1) lgkmcnt(0)
	v_mul_f32_e32 v97, v94, v95
	v_mul_f32_e32 v95, v93, v95
	s_waitcnt vmcnt(0)
	v_fma_f32 v93, v93, v96, -v97
	v_fmac_f32_e32 v95, v94, v96
	v_add_f32_e32 v8, v8, v93
	v_add_f32_e32 v2, v2, v95
	s_andn2_b32 exec_lo, exec_lo, s5
	s_cbranch_execnz .LBB41_77
; %bb.78:
	s_or_b32 exec_lo, exec_lo, s5
	v_mov_b32_e32 v5, 0
	ds_read_b64 v[5:6], v5 offset:128
	s_waitcnt lgkmcnt(0)
	v_mul_f32_e32 v7, v2, v6
	v_mul_f32_e32 v6, v8, v6
	v_fma_f32 v7, v8, v5, -v7
	v_fmac_f32_e32 v6, v2, v5
	buffer_store_dword v7, off, s[0:3], 0 offset:128
	buffer_store_dword v6, off, s[0:3], 0 offset:132
.LBB41_79:
	s_or_b32 exec_lo, exec_lo, s4
	s_waitcnt_vscnt null, 0x0
	s_barrier
	buffer_gl0_inv
	s_clause 0x1
	buffer_load_dword v5, off, s[0:3], 0 offset:136
	buffer_load_dword v6, off, s[0:3], 0 offset:140
	s_mov_b32 s4, exec_lo
	s_waitcnt vmcnt(0)
	ds_write_b64 v4, v[5:6]
	s_waitcnt lgkmcnt(0)
	s_barrier
	buffer_gl0_inv
	v_cmpx_gt_u32_e32 17, v0
	s_cbranch_execz .LBB41_83
; %bb.80:
	v_add_nc_u32_e32 v5, -1, v0
	v_add_nc_u32_e32 v6, 0x150, v3
	v_mov_b32_e32 v7, v3
	v_mov_b32_e32 v2, 0
	;; [unrolled: 1-line block ×3, first 2 shown]
	s_mov_b32 s5, 0
	.p2align	6
.LBB41_81:                              ; =>This Inner Loop Header: Depth=1
	s_clause 0x1
	buffer_load_dword v95, v7, s[0:3], 0 offen offset:4
	buffer_load_dword v96, v7, s[0:3], 0 offen
	ds_read_b64 v[93:94], v6
	v_add_nc_u32_e32 v5, 1, v5
	v_add_nc_u32_e32 v6, 8, v6
	;; [unrolled: 1-line block ×3, first 2 shown]
	v_cmp_lt_u32_e32 vcc_lo, 15, v5
	s_or_b32 s5, vcc_lo, s5
	s_waitcnt vmcnt(1) lgkmcnt(0)
	v_mul_f32_e32 v97, v94, v95
	v_mul_f32_e32 v95, v93, v95
	s_waitcnt vmcnt(0)
	v_fma_f32 v93, v93, v96, -v97
	v_fmac_f32_e32 v95, v94, v96
	v_add_f32_e32 v8, v8, v93
	v_add_f32_e32 v2, v2, v95
	s_andn2_b32 exec_lo, exec_lo, s5
	s_cbranch_execnz .LBB41_81
; %bb.82:
	s_or_b32 exec_lo, exec_lo, s5
	v_mov_b32_e32 v5, 0
	ds_read_b64 v[5:6], v5 offset:136
	s_waitcnt lgkmcnt(0)
	v_mul_f32_e32 v7, v2, v6
	v_mul_f32_e32 v6, v8, v6
	v_fma_f32 v7, v8, v5, -v7
	v_fmac_f32_e32 v6, v2, v5
	buffer_store_dword v7, off, s[0:3], 0 offset:136
	buffer_store_dword v6, off, s[0:3], 0 offset:140
.LBB41_83:
	s_or_b32 exec_lo, exec_lo, s4
	s_waitcnt_vscnt null, 0x0
	s_barrier
	buffer_gl0_inv
	s_clause 0x1
	buffer_load_dword v5, off, s[0:3], 0 offset:144
	buffer_load_dword v6, off, s[0:3], 0 offset:148
	s_mov_b32 s4, exec_lo
	s_waitcnt vmcnt(0)
	ds_write_b64 v4, v[5:6]
	s_waitcnt lgkmcnt(0)
	s_barrier
	buffer_gl0_inv
	v_cmpx_gt_u32_e32 18, v0
	s_cbranch_execz .LBB41_87
; %bb.84:
	v_add_nc_u32_e32 v5, -1, v0
	v_add_nc_u32_e32 v6, 0x150, v3
	v_mov_b32_e32 v7, v3
	v_mov_b32_e32 v2, 0
	v_mov_b32_e32 v8, 0
	s_mov_b32 s5, 0
	.p2align	6
.LBB41_85:                              ; =>This Inner Loop Header: Depth=1
	s_clause 0x1
	buffer_load_dword v95, v7, s[0:3], 0 offen offset:4
	buffer_load_dword v96, v7, s[0:3], 0 offen
	ds_read_b64 v[93:94], v6
	v_add_nc_u32_e32 v5, 1, v5
	v_add_nc_u32_e32 v6, 8, v6
	v_add_nc_u32_e32 v7, 8, v7
	v_cmp_lt_u32_e32 vcc_lo, 16, v5
	s_or_b32 s5, vcc_lo, s5
	s_waitcnt vmcnt(1) lgkmcnt(0)
	v_mul_f32_e32 v97, v94, v95
	v_mul_f32_e32 v95, v93, v95
	s_waitcnt vmcnt(0)
	v_fma_f32 v93, v93, v96, -v97
	v_fmac_f32_e32 v95, v94, v96
	v_add_f32_e32 v8, v8, v93
	v_add_f32_e32 v2, v2, v95
	s_andn2_b32 exec_lo, exec_lo, s5
	s_cbranch_execnz .LBB41_85
; %bb.86:
	s_or_b32 exec_lo, exec_lo, s5
	v_mov_b32_e32 v5, 0
	ds_read_b64 v[5:6], v5 offset:144
	s_waitcnt lgkmcnt(0)
	v_mul_f32_e32 v7, v2, v6
	v_mul_f32_e32 v6, v8, v6
	v_fma_f32 v7, v8, v5, -v7
	v_fmac_f32_e32 v6, v2, v5
	buffer_store_dword v7, off, s[0:3], 0 offset:144
	buffer_store_dword v6, off, s[0:3], 0 offset:148
.LBB41_87:
	s_or_b32 exec_lo, exec_lo, s4
	s_waitcnt_vscnt null, 0x0
	s_barrier
	buffer_gl0_inv
	s_clause 0x1
	buffer_load_dword v5, off, s[0:3], 0 offset:152
	buffer_load_dword v6, off, s[0:3], 0 offset:156
	s_mov_b32 s4, exec_lo
	s_waitcnt vmcnt(0)
	ds_write_b64 v4, v[5:6]
	s_waitcnt lgkmcnt(0)
	s_barrier
	buffer_gl0_inv
	v_cmpx_gt_u32_e32 19, v0
	s_cbranch_execz .LBB41_91
; %bb.88:
	v_add_nc_u32_e32 v5, -1, v0
	v_add_nc_u32_e32 v6, 0x150, v3
	v_mov_b32_e32 v7, v3
	v_mov_b32_e32 v2, 0
	;; [unrolled: 1-line block ×3, first 2 shown]
	s_mov_b32 s5, 0
	.p2align	6
.LBB41_89:                              ; =>This Inner Loop Header: Depth=1
	s_clause 0x1
	buffer_load_dword v95, v7, s[0:3], 0 offen offset:4
	buffer_load_dword v96, v7, s[0:3], 0 offen
	ds_read_b64 v[93:94], v6
	v_add_nc_u32_e32 v5, 1, v5
	v_add_nc_u32_e32 v6, 8, v6
	;; [unrolled: 1-line block ×3, first 2 shown]
	v_cmp_lt_u32_e32 vcc_lo, 17, v5
	s_or_b32 s5, vcc_lo, s5
	s_waitcnt vmcnt(1) lgkmcnt(0)
	v_mul_f32_e32 v97, v94, v95
	v_mul_f32_e32 v95, v93, v95
	s_waitcnt vmcnt(0)
	v_fma_f32 v93, v93, v96, -v97
	v_fmac_f32_e32 v95, v94, v96
	v_add_f32_e32 v8, v8, v93
	v_add_f32_e32 v2, v2, v95
	s_andn2_b32 exec_lo, exec_lo, s5
	s_cbranch_execnz .LBB41_89
; %bb.90:
	s_or_b32 exec_lo, exec_lo, s5
	v_mov_b32_e32 v5, 0
	ds_read_b64 v[5:6], v5 offset:152
	s_waitcnt lgkmcnt(0)
	v_mul_f32_e32 v7, v2, v6
	v_mul_f32_e32 v6, v8, v6
	v_fma_f32 v7, v8, v5, -v7
	v_fmac_f32_e32 v6, v2, v5
	buffer_store_dword v7, off, s[0:3], 0 offset:152
	buffer_store_dword v6, off, s[0:3], 0 offset:156
.LBB41_91:
	s_or_b32 exec_lo, exec_lo, s4
	s_waitcnt_vscnt null, 0x0
	s_barrier
	buffer_gl0_inv
	s_clause 0x1
	buffer_load_dword v5, off, s[0:3], 0 offset:160
	buffer_load_dword v6, off, s[0:3], 0 offset:164
	s_mov_b32 s4, exec_lo
	s_waitcnt vmcnt(0)
	ds_write_b64 v4, v[5:6]
	s_waitcnt lgkmcnt(0)
	s_barrier
	buffer_gl0_inv
	v_cmpx_gt_u32_e32 20, v0
	s_cbranch_execz .LBB41_95
; %bb.92:
	v_add_nc_u32_e32 v5, -1, v0
	v_add_nc_u32_e32 v6, 0x150, v3
	v_mov_b32_e32 v7, v3
	v_mov_b32_e32 v2, 0
	;; [unrolled: 1-line block ×3, first 2 shown]
	s_mov_b32 s5, 0
	.p2align	6
.LBB41_93:                              ; =>This Inner Loop Header: Depth=1
	s_clause 0x1
	buffer_load_dword v95, v7, s[0:3], 0 offen offset:4
	buffer_load_dword v96, v7, s[0:3], 0 offen
	ds_read_b64 v[93:94], v6
	v_add_nc_u32_e32 v5, 1, v5
	v_add_nc_u32_e32 v6, 8, v6
	;; [unrolled: 1-line block ×3, first 2 shown]
	v_cmp_lt_u32_e32 vcc_lo, 18, v5
	s_or_b32 s5, vcc_lo, s5
	s_waitcnt vmcnt(1) lgkmcnt(0)
	v_mul_f32_e32 v97, v94, v95
	v_mul_f32_e32 v95, v93, v95
	s_waitcnt vmcnt(0)
	v_fma_f32 v93, v93, v96, -v97
	v_fmac_f32_e32 v95, v94, v96
	v_add_f32_e32 v8, v8, v93
	v_add_f32_e32 v2, v2, v95
	s_andn2_b32 exec_lo, exec_lo, s5
	s_cbranch_execnz .LBB41_93
; %bb.94:
	s_or_b32 exec_lo, exec_lo, s5
	v_mov_b32_e32 v5, 0
	ds_read_b64 v[5:6], v5 offset:160
	s_waitcnt lgkmcnt(0)
	v_mul_f32_e32 v7, v2, v6
	v_mul_f32_e32 v6, v8, v6
	v_fma_f32 v7, v8, v5, -v7
	v_fmac_f32_e32 v6, v2, v5
	buffer_store_dword v7, off, s[0:3], 0 offset:160
	buffer_store_dword v6, off, s[0:3], 0 offset:164
.LBB41_95:
	s_or_b32 exec_lo, exec_lo, s4
	s_waitcnt_vscnt null, 0x0
	s_barrier
	buffer_gl0_inv
	s_clause 0x1
	buffer_load_dword v5, off, s[0:3], 0 offset:168
	buffer_load_dword v6, off, s[0:3], 0 offset:172
	s_mov_b32 s4, exec_lo
	s_waitcnt vmcnt(0)
	ds_write_b64 v4, v[5:6]
	s_waitcnt lgkmcnt(0)
	s_barrier
	buffer_gl0_inv
	v_cmpx_gt_u32_e32 21, v0
	s_cbranch_execz .LBB41_99
; %bb.96:
	v_add_nc_u32_e32 v5, -1, v0
	v_add_nc_u32_e32 v6, 0x150, v3
	v_mov_b32_e32 v7, v3
	v_mov_b32_e32 v2, 0
	;; [unrolled: 1-line block ×3, first 2 shown]
	s_mov_b32 s5, 0
	.p2align	6
.LBB41_97:                              ; =>This Inner Loop Header: Depth=1
	s_clause 0x1
	buffer_load_dword v95, v7, s[0:3], 0 offen offset:4
	buffer_load_dword v96, v7, s[0:3], 0 offen
	ds_read_b64 v[93:94], v6
	v_add_nc_u32_e32 v5, 1, v5
	v_add_nc_u32_e32 v6, 8, v6
	;; [unrolled: 1-line block ×3, first 2 shown]
	v_cmp_lt_u32_e32 vcc_lo, 19, v5
	s_or_b32 s5, vcc_lo, s5
	s_waitcnt vmcnt(1) lgkmcnt(0)
	v_mul_f32_e32 v97, v94, v95
	v_mul_f32_e32 v95, v93, v95
	s_waitcnt vmcnt(0)
	v_fma_f32 v93, v93, v96, -v97
	v_fmac_f32_e32 v95, v94, v96
	v_add_f32_e32 v8, v8, v93
	v_add_f32_e32 v2, v2, v95
	s_andn2_b32 exec_lo, exec_lo, s5
	s_cbranch_execnz .LBB41_97
; %bb.98:
	s_or_b32 exec_lo, exec_lo, s5
	v_mov_b32_e32 v5, 0
	ds_read_b64 v[5:6], v5 offset:168
	s_waitcnt lgkmcnt(0)
	v_mul_f32_e32 v7, v2, v6
	v_mul_f32_e32 v6, v8, v6
	v_fma_f32 v7, v8, v5, -v7
	v_fmac_f32_e32 v6, v2, v5
	buffer_store_dword v7, off, s[0:3], 0 offset:168
	buffer_store_dword v6, off, s[0:3], 0 offset:172
.LBB41_99:
	s_or_b32 exec_lo, exec_lo, s4
	s_waitcnt_vscnt null, 0x0
	s_barrier
	buffer_gl0_inv
	s_clause 0x1
	buffer_load_dword v5, off, s[0:3], 0 offset:176
	buffer_load_dword v6, off, s[0:3], 0 offset:180
	s_mov_b32 s4, exec_lo
	s_waitcnt vmcnt(0)
	ds_write_b64 v4, v[5:6]
	s_waitcnt lgkmcnt(0)
	s_barrier
	buffer_gl0_inv
	v_cmpx_gt_u32_e32 22, v0
	s_cbranch_execz .LBB41_103
; %bb.100:
	v_add_nc_u32_e32 v5, -1, v0
	v_add_nc_u32_e32 v6, 0x150, v3
	v_mov_b32_e32 v7, v3
	v_mov_b32_e32 v2, 0
	;; [unrolled: 1-line block ×3, first 2 shown]
	s_mov_b32 s5, 0
	.p2align	6
.LBB41_101:                             ; =>This Inner Loop Header: Depth=1
	s_clause 0x1
	buffer_load_dword v95, v7, s[0:3], 0 offen offset:4
	buffer_load_dword v96, v7, s[0:3], 0 offen
	ds_read_b64 v[93:94], v6
	v_add_nc_u32_e32 v5, 1, v5
	v_add_nc_u32_e32 v6, 8, v6
	;; [unrolled: 1-line block ×3, first 2 shown]
	v_cmp_lt_u32_e32 vcc_lo, 20, v5
	s_or_b32 s5, vcc_lo, s5
	s_waitcnt vmcnt(1) lgkmcnt(0)
	v_mul_f32_e32 v97, v94, v95
	v_mul_f32_e32 v95, v93, v95
	s_waitcnt vmcnt(0)
	v_fma_f32 v93, v93, v96, -v97
	v_fmac_f32_e32 v95, v94, v96
	v_add_f32_e32 v8, v8, v93
	v_add_f32_e32 v2, v2, v95
	s_andn2_b32 exec_lo, exec_lo, s5
	s_cbranch_execnz .LBB41_101
; %bb.102:
	s_or_b32 exec_lo, exec_lo, s5
	v_mov_b32_e32 v5, 0
	ds_read_b64 v[5:6], v5 offset:176
	s_waitcnt lgkmcnt(0)
	v_mul_f32_e32 v7, v2, v6
	v_mul_f32_e32 v6, v8, v6
	v_fma_f32 v7, v8, v5, -v7
	v_fmac_f32_e32 v6, v2, v5
	buffer_store_dword v7, off, s[0:3], 0 offset:176
	buffer_store_dword v6, off, s[0:3], 0 offset:180
.LBB41_103:
	s_or_b32 exec_lo, exec_lo, s4
	s_waitcnt_vscnt null, 0x0
	s_barrier
	buffer_gl0_inv
	s_clause 0x1
	buffer_load_dword v5, off, s[0:3], 0 offset:184
	buffer_load_dword v6, off, s[0:3], 0 offset:188
	s_mov_b32 s4, exec_lo
	s_waitcnt vmcnt(0)
	ds_write_b64 v4, v[5:6]
	s_waitcnt lgkmcnt(0)
	s_barrier
	buffer_gl0_inv
	v_cmpx_gt_u32_e32 23, v0
	s_cbranch_execz .LBB41_107
; %bb.104:
	v_add_nc_u32_e32 v5, -1, v0
	v_add_nc_u32_e32 v6, 0x150, v3
	v_mov_b32_e32 v7, v3
	v_mov_b32_e32 v2, 0
	;; [unrolled: 1-line block ×3, first 2 shown]
	s_mov_b32 s5, 0
	.p2align	6
.LBB41_105:                             ; =>This Inner Loop Header: Depth=1
	s_clause 0x1
	buffer_load_dword v95, v7, s[0:3], 0 offen offset:4
	buffer_load_dword v96, v7, s[0:3], 0 offen
	ds_read_b64 v[93:94], v6
	v_add_nc_u32_e32 v5, 1, v5
	v_add_nc_u32_e32 v6, 8, v6
	v_add_nc_u32_e32 v7, 8, v7
	v_cmp_lt_u32_e32 vcc_lo, 21, v5
	s_or_b32 s5, vcc_lo, s5
	s_waitcnt vmcnt(1) lgkmcnt(0)
	v_mul_f32_e32 v97, v94, v95
	v_mul_f32_e32 v95, v93, v95
	s_waitcnt vmcnt(0)
	v_fma_f32 v93, v93, v96, -v97
	v_fmac_f32_e32 v95, v94, v96
	v_add_f32_e32 v8, v8, v93
	v_add_f32_e32 v2, v2, v95
	s_andn2_b32 exec_lo, exec_lo, s5
	s_cbranch_execnz .LBB41_105
; %bb.106:
	s_or_b32 exec_lo, exec_lo, s5
	v_mov_b32_e32 v5, 0
	ds_read_b64 v[5:6], v5 offset:184
	s_waitcnt lgkmcnt(0)
	v_mul_f32_e32 v7, v2, v6
	v_mul_f32_e32 v6, v8, v6
	v_fma_f32 v7, v8, v5, -v7
	v_fmac_f32_e32 v6, v2, v5
	buffer_store_dword v7, off, s[0:3], 0 offset:184
	buffer_store_dword v6, off, s[0:3], 0 offset:188
.LBB41_107:
	s_or_b32 exec_lo, exec_lo, s4
	s_waitcnt_vscnt null, 0x0
	s_barrier
	buffer_gl0_inv
	s_clause 0x1
	buffer_load_dword v5, off, s[0:3], 0 offset:192
	buffer_load_dword v6, off, s[0:3], 0 offset:196
	s_mov_b32 s4, exec_lo
	s_waitcnt vmcnt(0)
	ds_write_b64 v4, v[5:6]
	s_waitcnt lgkmcnt(0)
	s_barrier
	buffer_gl0_inv
	v_cmpx_gt_u32_e32 24, v0
	s_cbranch_execz .LBB41_111
; %bb.108:
	v_add_nc_u32_e32 v5, -1, v0
	v_add_nc_u32_e32 v6, 0x150, v3
	v_mov_b32_e32 v7, v3
	v_mov_b32_e32 v2, 0
	;; [unrolled: 1-line block ×3, first 2 shown]
	s_mov_b32 s5, 0
	.p2align	6
.LBB41_109:                             ; =>This Inner Loop Header: Depth=1
	s_clause 0x1
	buffer_load_dword v95, v7, s[0:3], 0 offen offset:4
	buffer_load_dword v96, v7, s[0:3], 0 offen
	ds_read_b64 v[93:94], v6
	v_add_nc_u32_e32 v5, 1, v5
	v_add_nc_u32_e32 v6, 8, v6
	;; [unrolled: 1-line block ×3, first 2 shown]
	v_cmp_lt_u32_e32 vcc_lo, 22, v5
	s_or_b32 s5, vcc_lo, s5
	s_waitcnt vmcnt(1) lgkmcnt(0)
	v_mul_f32_e32 v97, v94, v95
	v_mul_f32_e32 v95, v93, v95
	s_waitcnt vmcnt(0)
	v_fma_f32 v93, v93, v96, -v97
	v_fmac_f32_e32 v95, v94, v96
	v_add_f32_e32 v8, v8, v93
	v_add_f32_e32 v2, v2, v95
	s_andn2_b32 exec_lo, exec_lo, s5
	s_cbranch_execnz .LBB41_109
; %bb.110:
	s_or_b32 exec_lo, exec_lo, s5
	v_mov_b32_e32 v5, 0
	ds_read_b64 v[5:6], v5 offset:192
	s_waitcnt lgkmcnt(0)
	v_mul_f32_e32 v7, v2, v6
	v_mul_f32_e32 v6, v8, v6
	v_fma_f32 v7, v8, v5, -v7
	v_fmac_f32_e32 v6, v2, v5
	buffer_store_dword v7, off, s[0:3], 0 offset:192
	buffer_store_dword v6, off, s[0:3], 0 offset:196
.LBB41_111:
	s_or_b32 exec_lo, exec_lo, s4
	s_waitcnt_vscnt null, 0x0
	s_barrier
	buffer_gl0_inv
	s_clause 0x1
	buffer_load_dword v5, off, s[0:3], 0 offset:200
	buffer_load_dword v6, off, s[0:3], 0 offset:204
	s_mov_b32 s4, exec_lo
	s_waitcnt vmcnt(0)
	ds_write_b64 v4, v[5:6]
	s_waitcnt lgkmcnt(0)
	s_barrier
	buffer_gl0_inv
	v_cmpx_gt_u32_e32 25, v0
	s_cbranch_execz .LBB41_115
; %bb.112:
	v_add_nc_u32_e32 v5, -1, v0
	v_add_nc_u32_e32 v6, 0x150, v3
	v_mov_b32_e32 v7, v3
	v_mov_b32_e32 v2, 0
	;; [unrolled: 1-line block ×3, first 2 shown]
	s_mov_b32 s5, 0
	.p2align	6
.LBB41_113:                             ; =>This Inner Loop Header: Depth=1
	s_clause 0x1
	buffer_load_dword v95, v7, s[0:3], 0 offen offset:4
	buffer_load_dword v96, v7, s[0:3], 0 offen
	ds_read_b64 v[93:94], v6
	v_add_nc_u32_e32 v5, 1, v5
	v_add_nc_u32_e32 v6, 8, v6
	;; [unrolled: 1-line block ×3, first 2 shown]
	v_cmp_lt_u32_e32 vcc_lo, 23, v5
	s_or_b32 s5, vcc_lo, s5
	s_waitcnt vmcnt(1) lgkmcnt(0)
	v_mul_f32_e32 v97, v94, v95
	v_mul_f32_e32 v95, v93, v95
	s_waitcnt vmcnt(0)
	v_fma_f32 v93, v93, v96, -v97
	v_fmac_f32_e32 v95, v94, v96
	v_add_f32_e32 v8, v8, v93
	v_add_f32_e32 v2, v2, v95
	s_andn2_b32 exec_lo, exec_lo, s5
	s_cbranch_execnz .LBB41_113
; %bb.114:
	s_or_b32 exec_lo, exec_lo, s5
	v_mov_b32_e32 v5, 0
	ds_read_b64 v[5:6], v5 offset:200
	s_waitcnt lgkmcnt(0)
	v_mul_f32_e32 v7, v2, v6
	v_mul_f32_e32 v6, v8, v6
	v_fma_f32 v7, v8, v5, -v7
	v_fmac_f32_e32 v6, v2, v5
	buffer_store_dword v7, off, s[0:3], 0 offset:200
	buffer_store_dword v6, off, s[0:3], 0 offset:204
.LBB41_115:
	s_or_b32 exec_lo, exec_lo, s4
	s_waitcnt_vscnt null, 0x0
	s_barrier
	buffer_gl0_inv
	s_clause 0x1
	buffer_load_dword v5, off, s[0:3], 0 offset:208
	buffer_load_dword v6, off, s[0:3], 0 offset:212
	s_mov_b32 s4, exec_lo
	s_waitcnt vmcnt(0)
	ds_write_b64 v4, v[5:6]
	s_waitcnt lgkmcnt(0)
	s_barrier
	buffer_gl0_inv
	v_cmpx_gt_u32_e32 26, v0
	s_cbranch_execz .LBB41_119
; %bb.116:
	v_add_nc_u32_e32 v5, -1, v0
	v_add_nc_u32_e32 v6, 0x150, v3
	v_mov_b32_e32 v7, v3
	v_mov_b32_e32 v2, 0
	;; [unrolled: 1-line block ×3, first 2 shown]
	s_mov_b32 s5, 0
	.p2align	6
.LBB41_117:                             ; =>This Inner Loop Header: Depth=1
	s_clause 0x1
	buffer_load_dword v95, v7, s[0:3], 0 offen offset:4
	buffer_load_dword v96, v7, s[0:3], 0 offen
	ds_read_b64 v[93:94], v6
	v_add_nc_u32_e32 v5, 1, v5
	v_add_nc_u32_e32 v6, 8, v6
	;; [unrolled: 1-line block ×3, first 2 shown]
	v_cmp_lt_u32_e32 vcc_lo, 24, v5
	s_or_b32 s5, vcc_lo, s5
	s_waitcnt vmcnt(1) lgkmcnt(0)
	v_mul_f32_e32 v97, v94, v95
	v_mul_f32_e32 v95, v93, v95
	s_waitcnt vmcnt(0)
	v_fma_f32 v93, v93, v96, -v97
	v_fmac_f32_e32 v95, v94, v96
	v_add_f32_e32 v8, v8, v93
	v_add_f32_e32 v2, v2, v95
	s_andn2_b32 exec_lo, exec_lo, s5
	s_cbranch_execnz .LBB41_117
; %bb.118:
	s_or_b32 exec_lo, exec_lo, s5
	v_mov_b32_e32 v5, 0
	ds_read_b64 v[5:6], v5 offset:208
	s_waitcnt lgkmcnt(0)
	v_mul_f32_e32 v7, v2, v6
	v_mul_f32_e32 v6, v8, v6
	v_fma_f32 v7, v8, v5, -v7
	v_fmac_f32_e32 v6, v2, v5
	buffer_store_dword v7, off, s[0:3], 0 offset:208
	buffer_store_dword v6, off, s[0:3], 0 offset:212
.LBB41_119:
	s_or_b32 exec_lo, exec_lo, s4
	s_waitcnt_vscnt null, 0x0
	s_barrier
	buffer_gl0_inv
	s_clause 0x1
	buffer_load_dword v5, off, s[0:3], 0 offset:216
	buffer_load_dword v6, off, s[0:3], 0 offset:220
	s_mov_b32 s4, exec_lo
	s_waitcnt vmcnt(0)
	ds_write_b64 v4, v[5:6]
	s_waitcnt lgkmcnt(0)
	s_barrier
	buffer_gl0_inv
	v_cmpx_gt_u32_e32 27, v0
	s_cbranch_execz .LBB41_123
; %bb.120:
	v_add_nc_u32_e32 v5, -1, v0
	v_add_nc_u32_e32 v6, 0x150, v3
	v_mov_b32_e32 v7, v3
	v_mov_b32_e32 v2, 0
	v_mov_b32_e32 v8, 0
	s_mov_b32 s5, 0
	.p2align	6
.LBB41_121:                             ; =>This Inner Loop Header: Depth=1
	s_clause 0x1
	buffer_load_dword v95, v7, s[0:3], 0 offen offset:4
	buffer_load_dword v96, v7, s[0:3], 0 offen
	ds_read_b64 v[93:94], v6
	v_add_nc_u32_e32 v5, 1, v5
	v_add_nc_u32_e32 v6, 8, v6
	;; [unrolled: 1-line block ×3, first 2 shown]
	v_cmp_lt_u32_e32 vcc_lo, 25, v5
	s_or_b32 s5, vcc_lo, s5
	s_waitcnt vmcnt(1) lgkmcnt(0)
	v_mul_f32_e32 v97, v94, v95
	v_mul_f32_e32 v95, v93, v95
	s_waitcnt vmcnt(0)
	v_fma_f32 v93, v93, v96, -v97
	v_fmac_f32_e32 v95, v94, v96
	v_add_f32_e32 v8, v8, v93
	v_add_f32_e32 v2, v2, v95
	s_andn2_b32 exec_lo, exec_lo, s5
	s_cbranch_execnz .LBB41_121
; %bb.122:
	s_or_b32 exec_lo, exec_lo, s5
	v_mov_b32_e32 v5, 0
	ds_read_b64 v[5:6], v5 offset:216
	s_waitcnt lgkmcnt(0)
	v_mul_f32_e32 v7, v2, v6
	v_mul_f32_e32 v6, v8, v6
	v_fma_f32 v7, v8, v5, -v7
	v_fmac_f32_e32 v6, v2, v5
	buffer_store_dword v7, off, s[0:3], 0 offset:216
	buffer_store_dword v6, off, s[0:3], 0 offset:220
.LBB41_123:
	s_or_b32 exec_lo, exec_lo, s4
	s_waitcnt_vscnt null, 0x0
	s_barrier
	buffer_gl0_inv
	s_clause 0x1
	buffer_load_dword v5, off, s[0:3], 0 offset:224
	buffer_load_dword v6, off, s[0:3], 0 offset:228
	s_mov_b32 s4, exec_lo
	s_waitcnt vmcnt(0)
	ds_write_b64 v4, v[5:6]
	s_waitcnt lgkmcnt(0)
	s_barrier
	buffer_gl0_inv
	v_cmpx_gt_u32_e32 28, v0
	s_cbranch_execz .LBB41_127
; %bb.124:
	v_add_nc_u32_e32 v5, -1, v0
	v_add_nc_u32_e32 v6, 0x150, v3
	v_mov_b32_e32 v7, v3
	v_mov_b32_e32 v2, 0
	;; [unrolled: 1-line block ×3, first 2 shown]
	s_mov_b32 s5, 0
	.p2align	6
.LBB41_125:                             ; =>This Inner Loop Header: Depth=1
	s_clause 0x1
	buffer_load_dword v95, v7, s[0:3], 0 offen offset:4
	buffer_load_dword v96, v7, s[0:3], 0 offen
	ds_read_b64 v[93:94], v6
	v_add_nc_u32_e32 v5, 1, v5
	v_add_nc_u32_e32 v6, 8, v6
	v_add_nc_u32_e32 v7, 8, v7
	v_cmp_lt_u32_e32 vcc_lo, 26, v5
	s_or_b32 s5, vcc_lo, s5
	s_waitcnt vmcnt(1) lgkmcnt(0)
	v_mul_f32_e32 v97, v94, v95
	v_mul_f32_e32 v95, v93, v95
	s_waitcnt vmcnt(0)
	v_fma_f32 v93, v93, v96, -v97
	v_fmac_f32_e32 v95, v94, v96
	v_add_f32_e32 v8, v8, v93
	v_add_f32_e32 v2, v2, v95
	s_andn2_b32 exec_lo, exec_lo, s5
	s_cbranch_execnz .LBB41_125
; %bb.126:
	s_or_b32 exec_lo, exec_lo, s5
	v_mov_b32_e32 v5, 0
	ds_read_b64 v[5:6], v5 offset:224
	s_waitcnt lgkmcnt(0)
	v_mul_f32_e32 v7, v2, v6
	v_mul_f32_e32 v6, v8, v6
	v_fma_f32 v7, v8, v5, -v7
	v_fmac_f32_e32 v6, v2, v5
	buffer_store_dword v7, off, s[0:3], 0 offset:224
	buffer_store_dword v6, off, s[0:3], 0 offset:228
.LBB41_127:
	s_or_b32 exec_lo, exec_lo, s4
	s_waitcnt_vscnt null, 0x0
	s_barrier
	buffer_gl0_inv
	s_clause 0x1
	buffer_load_dword v5, off, s[0:3], 0 offset:232
	buffer_load_dword v6, off, s[0:3], 0 offset:236
	s_mov_b32 s4, exec_lo
	s_waitcnt vmcnt(0)
	ds_write_b64 v4, v[5:6]
	s_waitcnt lgkmcnt(0)
	s_barrier
	buffer_gl0_inv
	v_cmpx_gt_u32_e32 29, v0
	s_cbranch_execz .LBB41_131
; %bb.128:
	v_add_nc_u32_e32 v5, -1, v0
	v_add_nc_u32_e32 v6, 0x150, v3
	v_mov_b32_e32 v7, v3
	v_mov_b32_e32 v2, 0
	;; [unrolled: 1-line block ×3, first 2 shown]
	s_mov_b32 s5, 0
	.p2align	6
.LBB41_129:                             ; =>This Inner Loop Header: Depth=1
	s_clause 0x1
	buffer_load_dword v95, v7, s[0:3], 0 offen offset:4
	buffer_load_dword v96, v7, s[0:3], 0 offen
	ds_read_b64 v[93:94], v6
	v_add_nc_u32_e32 v5, 1, v5
	v_add_nc_u32_e32 v6, 8, v6
	;; [unrolled: 1-line block ×3, first 2 shown]
	v_cmp_lt_u32_e32 vcc_lo, 27, v5
	s_or_b32 s5, vcc_lo, s5
	s_waitcnt vmcnt(1) lgkmcnt(0)
	v_mul_f32_e32 v97, v94, v95
	v_mul_f32_e32 v95, v93, v95
	s_waitcnt vmcnt(0)
	v_fma_f32 v93, v93, v96, -v97
	v_fmac_f32_e32 v95, v94, v96
	v_add_f32_e32 v8, v8, v93
	v_add_f32_e32 v2, v2, v95
	s_andn2_b32 exec_lo, exec_lo, s5
	s_cbranch_execnz .LBB41_129
; %bb.130:
	s_or_b32 exec_lo, exec_lo, s5
	v_mov_b32_e32 v5, 0
	ds_read_b64 v[5:6], v5 offset:232
	s_waitcnt lgkmcnt(0)
	v_mul_f32_e32 v7, v2, v6
	v_mul_f32_e32 v6, v8, v6
	v_fma_f32 v7, v8, v5, -v7
	v_fmac_f32_e32 v6, v2, v5
	buffer_store_dword v7, off, s[0:3], 0 offset:232
	buffer_store_dword v6, off, s[0:3], 0 offset:236
.LBB41_131:
	s_or_b32 exec_lo, exec_lo, s4
	s_waitcnt_vscnt null, 0x0
	s_barrier
	buffer_gl0_inv
	s_clause 0x1
	buffer_load_dword v5, off, s[0:3], 0 offset:240
	buffer_load_dword v6, off, s[0:3], 0 offset:244
	s_mov_b32 s4, exec_lo
	s_waitcnt vmcnt(0)
	ds_write_b64 v4, v[5:6]
	s_waitcnt lgkmcnt(0)
	s_barrier
	buffer_gl0_inv
	v_cmpx_gt_u32_e32 30, v0
	s_cbranch_execz .LBB41_135
; %bb.132:
	v_add_nc_u32_e32 v5, -1, v0
	v_add_nc_u32_e32 v6, 0x150, v3
	v_mov_b32_e32 v7, v3
	v_mov_b32_e32 v2, 0
	;; [unrolled: 1-line block ×3, first 2 shown]
	s_mov_b32 s5, 0
	.p2align	6
.LBB41_133:                             ; =>This Inner Loop Header: Depth=1
	s_clause 0x1
	buffer_load_dword v95, v7, s[0:3], 0 offen offset:4
	buffer_load_dword v96, v7, s[0:3], 0 offen
	ds_read_b64 v[93:94], v6
	v_add_nc_u32_e32 v5, 1, v5
	v_add_nc_u32_e32 v6, 8, v6
	;; [unrolled: 1-line block ×3, first 2 shown]
	v_cmp_lt_u32_e32 vcc_lo, 28, v5
	s_or_b32 s5, vcc_lo, s5
	s_waitcnt vmcnt(1) lgkmcnt(0)
	v_mul_f32_e32 v97, v94, v95
	v_mul_f32_e32 v95, v93, v95
	s_waitcnt vmcnt(0)
	v_fma_f32 v93, v93, v96, -v97
	v_fmac_f32_e32 v95, v94, v96
	v_add_f32_e32 v8, v8, v93
	v_add_f32_e32 v2, v2, v95
	s_andn2_b32 exec_lo, exec_lo, s5
	s_cbranch_execnz .LBB41_133
; %bb.134:
	s_or_b32 exec_lo, exec_lo, s5
	v_mov_b32_e32 v5, 0
	ds_read_b64 v[5:6], v5 offset:240
	s_waitcnt lgkmcnt(0)
	v_mul_f32_e32 v7, v2, v6
	v_mul_f32_e32 v6, v8, v6
	v_fma_f32 v7, v8, v5, -v7
	v_fmac_f32_e32 v6, v2, v5
	buffer_store_dword v7, off, s[0:3], 0 offset:240
	buffer_store_dword v6, off, s[0:3], 0 offset:244
.LBB41_135:
	s_or_b32 exec_lo, exec_lo, s4
	s_waitcnt_vscnt null, 0x0
	s_barrier
	buffer_gl0_inv
	s_clause 0x1
	buffer_load_dword v5, off, s[0:3], 0 offset:248
	buffer_load_dword v6, off, s[0:3], 0 offset:252
	s_mov_b32 s4, exec_lo
	s_waitcnt vmcnt(0)
	ds_write_b64 v4, v[5:6]
	s_waitcnt lgkmcnt(0)
	s_barrier
	buffer_gl0_inv
	v_cmpx_gt_u32_e32 31, v0
	s_cbranch_execz .LBB41_139
; %bb.136:
	v_add_nc_u32_e32 v5, -1, v0
	v_add_nc_u32_e32 v6, 0x150, v3
	v_mov_b32_e32 v7, v3
	v_mov_b32_e32 v2, 0
	;; [unrolled: 1-line block ×3, first 2 shown]
	s_mov_b32 s5, 0
	.p2align	6
.LBB41_137:                             ; =>This Inner Loop Header: Depth=1
	s_clause 0x1
	buffer_load_dword v95, v7, s[0:3], 0 offen offset:4
	buffer_load_dword v96, v7, s[0:3], 0 offen
	ds_read_b64 v[93:94], v6
	v_add_nc_u32_e32 v5, 1, v5
	v_add_nc_u32_e32 v6, 8, v6
	;; [unrolled: 1-line block ×3, first 2 shown]
	v_cmp_lt_u32_e32 vcc_lo, 29, v5
	s_or_b32 s5, vcc_lo, s5
	s_waitcnt vmcnt(1) lgkmcnt(0)
	v_mul_f32_e32 v97, v94, v95
	v_mul_f32_e32 v95, v93, v95
	s_waitcnt vmcnt(0)
	v_fma_f32 v93, v93, v96, -v97
	v_fmac_f32_e32 v95, v94, v96
	v_add_f32_e32 v8, v8, v93
	v_add_f32_e32 v2, v2, v95
	s_andn2_b32 exec_lo, exec_lo, s5
	s_cbranch_execnz .LBB41_137
; %bb.138:
	s_or_b32 exec_lo, exec_lo, s5
	v_mov_b32_e32 v5, 0
	ds_read_b64 v[5:6], v5 offset:248
	s_waitcnt lgkmcnt(0)
	v_mul_f32_e32 v7, v2, v6
	v_mul_f32_e32 v6, v8, v6
	v_fma_f32 v7, v8, v5, -v7
	v_fmac_f32_e32 v6, v2, v5
	buffer_store_dword v7, off, s[0:3], 0 offset:248
	buffer_store_dword v6, off, s[0:3], 0 offset:252
.LBB41_139:
	s_or_b32 exec_lo, exec_lo, s4
	s_waitcnt_vscnt null, 0x0
	s_barrier
	buffer_gl0_inv
	s_clause 0x1
	buffer_load_dword v5, off, s[0:3], 0 offset:256
	buffer_load_dword v6, off, s[0:3], 0 offset:260
	s_mov_b32 s4, exec_lo
	s_waitcnt vmcnt(0)
	ds_write_b64 v4, v[5:6]
	s_waitcnt lgkmcnt(0)
	s_barrier
	buffer_gl0_inv
	v_cmpx_gt_u32_e32 32, v0
	s_cbranch_execz .LBB41_143
; %bb.140:
	v_add_nc_u32_e32 v5, -1, v0
	v_add_nc_u32_e32 v6, 0x150, v3
	v_mov_b32_e32 v7, v3
	v_mov_b32_e32 v2, 0
	;; [unrolled: 1-line block ×3, first 2 shown]
	s_mov_b32 s5, 0
	.p2align	6
.LBB41_141:                             ; =>This Inner Loop Header: Depth=1
	s_clause 0x1
	buffer_load_dword v95, v7, s[0:3], 0 offen offset:4
	buffer_load_dword v96, v7, s[0:3], 0 offen
	ds_read_b64 v[93:94], v6
	v_add_nc_u32_e32 v5, 1, v5
	v_add_nc_u32_e32 v6, 8, v6
	;; [unrolled: 1-line block ×3, first 2 shown]
	v_cmp_lt_u32_e32 vcc_lo, 30, v5
	s_or_b32 s5, vcc_lo, s5
	s_waitcnt vmcnt(1) lgkmcnt(0)
	v_mul_f32_e32 v97, v94, v95
	v_mul_f32_e32 v95, v93, v95
	s_waitcnt vmcnt(0)
	v_fma_f32 v93, v93, v96, -v97
	v_fmac_f32_e32 v95, v94, v96
	v_add_f32_e32 v8, v8, v93
	v_add_f32_e32 v2, v2, v95
	s_andn2_b32 exec_lo, exec_lo, s5
	s_cbranch_execnz .LBB41_141
; %bb.142:
	s_or_b32 exec_lo, exec_lo, s5
	v_mov_b32_e32 v5, 0
	ds_read_b64 v[5:6], v5 offset:256
	s_waitcnt lgkmcnt(0)
	v_mul_f32_e32 v7, v2, v6
	v_mul_f32_e32 v6, v8, v6
	v_fma_f32 v7, v8, v5, -v7
	v_fmac_f32_e32 v6, v2, v5
	buffer_store_dword v7, off, s[0:3], 0 offset:256
	buffer_store_dword v6, off, s[0:3], 0 offset:260
.LBB41_143:
	s_or_b32 exec_lo, exec_lo, s4
	s_waitcnt_vscnt null, 0x0
	s_barrier
	buffer_gl0_inv
	s_clause 0x1
	buffer_load_dword v5, off, s[0:3], 0 offset:264
	buffer_load_dword v6, off, s[0:3], 0 offset:268
	s_mov_b32 s4, exec_lo
	s_waitcnt vmcnt(0)
	ds_write_b64 v4, v[5:6]
	s_waitcnt lgkmcnt(0)
	s_barrier
	buffer_gl0_inv
	v_cmpx_gt_u32_e32 33, v0
	s_cbranch_execz .LBB41_147
; %bb.144:
	v_add_nc_u32_e32 v5, -1, v0
	v_add_nc_u32_e32 v6, 0x150, v3
	v_mov_b32_e32 v7, v3
	v_mov_b32_e32 v2, 0
	;; [unrolled: 1-line block ×3, first 2 shown]
	s_mov_b32 s5, 0
	.p2align	6
.LBB41_145:                             ; =>This Inner Loop Header: Depth=1
	s_clause 0x1
	buffer_load_dword v95, v7, s[0:3], 0 offen offset:4
	buffer_load_dword v96, v7, s[0:3], 0 offen
	ds_read_b64 v[93:94], v6
	v_add_nc_u32_e32 v5, 1, v5
	v_add_nc_u32_e32 v6, 8, v6
	;; [unrolled: 1-line block ×3, first 2 shown]
	v_cmp_lt_u32_e32 vcc_lo, 31, v5
	s_or_b32 s5, vcc_lo, s5
	s_waitcnt vmcnt(1) lgkmcnt(0)
	v_mul_f32_e32 v97, v94, v95
	v_mul_f32_e32 v95, v93, v95
	s_waitcnt vmcnt(0)
	v_fma_f32 v93, v93, v96, -v97
	v_fmac_f32_e32 v95, v94, v96
	v_add_f32_e32 v8, v8, v93
	v_add_f32_e32 v2, v2, v95
	s_andn2_b32 exec_lo, exec_lo, s5
	s_cbranch_execnz .LBB41_145
; %bb.146:
	s_or_b32 exec_lo, exec_lo, s5
	v_mov_b32_e32 v5, 0
	ds_read_b64 v[5:6], v5 offset:264
	s_waitcnt lgkmcnt(0)
	v_mul_f32_e32 v7, v2, v6
	v_mul_f32_e32 v6, v8, v6
	v_fma_f32 v7, v8, v5, -v7
	v_fmac_f32_e32 v6, v2, v5
	buffer_store_dword v7, off, s[0:3], 0 offset:264
	buffer_store_dword v6, off, s[0:3], 0 offset:268
.LBB41_147:
	s_or_b32 exec_lo, exec_lo, s4
	s_waitcnt_vscnt null, 0x0
	s_barrier
	buffer_gl0_inv
	s_clause 0x1
	buffer_load_dword v5, off, s[0:3], 0 offset:272
	buffer_load_dword v6, off, s[0:3], 0 offset:276
	s_mov_b32 s4, exec_lo
	s_waitcnt vmcnt(0)
	ds_write_b64 v4, v[5:6]
	s_waitcnt lgkmcnt(0)
	s_barrier
	buffer_gl0_inv
	v_cmpx_gt_u32_e32 34, v0
	s_cbranch_execz .LBB41_151
; %bb.148:
	v_add_nc_u32_e32 v5, -1, v0
	v_add_nc_u32_e32 v6, 0x150, v3
	v_mov_b32_e32 v7, v3
	v_mov_b32_e32 v2, 0
	;; [unrolled: 1-line block ×3, first 2 shown]
	s_mov_b32 s5, 0
	.p2align	6
.LBB41_149:                             ; =>This Inner Loop Header: Depth=1
	s_clause 0x1
	buffer_load_dword v95, v7, s[0:3], 0 offen offset:4
	buffer_load_dword v96, v7, s[0:3], 0 offen
	ds_read_b64 v[93:94], v6
	v_add_nc_u32_e32 v5, 1, v5
	v_add_nc_u32_e32 v6, 8, v6
	;; [unrolled: 1-line block ×3, first 2 shown]
	v_cmp_lt_u32_e32 vcc_lo, 32, v5
	s_or_b32 s5, vcc_lo, s5
	s_waitcnt vmcnt(1) lgkmcnt(0)
	v_mul_f32_e32 v97, v94, v95
	v_mul_f32_e32 v95, v93, v95
	s_waitcnt vmcnt(0)
	v_fma_f32 v93, v93, v96, -v97
	v_fmac_f32_e32 v95, v94, v96
	v_add_f32_e32 v8, v8, v93
	v_add_f32_e32 v2, v2, v95
	s_andn2_b32 exec_lo, exec_lo, s5
	s_cbranch_execnz .LBB41_149
; %bb.150:
	s_or_b32 exec_lo, exec_lo, s5
	v_mov_b32_e32 v5, 0
	ds_read_b64 v[5:6], v5 offset:272
	s_waitcnt lgkmcnt(0)
	v_mul_f32_e32 v7, v2, v6
	v_mul_f32_e32 v6, v8, v6
	v_fma_f32 v7, v8, v5, -v7
	v_fmac_f32_e32 v6, v2, v5
	buffer_store_dword v7, off, s[0:3], 0 offset:272
	buffer_store_dword v6, off, s[0:3], 0 offset:276
.LBB41_151:
	s_or_b32 exec_lo, exec_lo, s4
	s_waitcnt_vscnt null, 0x0
	s_barrier
	buffer_gl0_inv
	s_clause 0x1
	buffer_load_dword v5, off, s[0:3], 0 offset:280
	buffer_load_dword v6, off, s[0:3], 0 offset:284
	s_mov_b32 s4, exec_lo
	s_waitcnt vmcnt(0)
	ds_write_b64 v4, v[5:6]
	s_waitcnt lgkmcnt(0)
	s_barrier
	buffer_gl0_inv
	v_cmpx_gt_u32_e32 35, v0
	s_cbranch_execz .LBB41_155
; %bb.152:
	v_add_nc_u32_e32 v5, -1, v0
	v_add_nc_u32_e32 v6, 0x150, v3
	v_mov_b32_e32 v7, v3
	v_mov_b32_e32 v2, 0
	;; [unrolled: 1-line block ×3, first 2 shown]
	s_mov_b32 s5, 0
	.p2align	6
.LBB41_153:                             ; =>This Inner Loop Header: Depth=1
	s_clause 0x1
	buffer_load_dword v95, v7, s[0:3], 0 offen offset:4
	buffer_load_dword v96, v7, s[0:3], 0 offen
	ds_read_b64 v[93:94], v6
	v_add_nc_u32_e32 v5, 1, v5
	v_add_nc_u32_e32 v6, 8, v6
	;; [unrolled: 1-line block ×3, first 2 shown]
	v_cmp_lt_u32_e32 vcc_lo, 33, v5
	s_or_b32 s5, vcc_lo, s5
	s_waitcnt vmcnt(1) lgkmcnt(0)
	v_mul_f32_e32 v97, v94, v95
	v_mul_f32_e32 v95, v93, v95
	s_waitcnt vmcnt(0)
	v_fma_f32 v93, v93, v96, -v97
	v_fmac_f32_e32 v95, v94, v96
	v_add_f32_e32 v8, v8, v93
	v_add_f32_e32 v2, v2, v95
	s_andn2_b32 exec_lo, exec_lo, s5
	s_cbranch_execnz .LBB41_153
; %bb.154:
	s_or_b32 exec_lo, exec_lo, s5
	v_mov_b32_e32 v5, 0
	ds_read_b64 v[5:6], v5 offset:280
	s_waitcnt lgkmcnt(0)
	v_mul_f32_e32 v7, v2, v6
	v_mul_f32_e32 v6, v8, v6
	v_fma_f32 v7, v8, v5, -v7
	v_fmac_f32_e32 v6, v2, v5
	buffer_store_dword v7, off, s[0:3], 0 offset:280
	buffer_store_dword v6, off, s[0:3], 0 offset:284
.LBB41_155:
	s_or_b32 exec_lo, exec_lo, s4
	s_waitcnt_vscnt null, 0x0
	s_barrier
	buffer_gl0_inv
	s_clause 0x1
	buffer_load_dword v5, off, s[0:3], 0 offset:288
	buffer_load_dword v6, off, s[0:3], 0 offset:292
	s_mov_b32 s4, exec_lo
	s_waitcnt vmcnt(0)
	ds_write_b64 v4, v[5:6]
	s_waitcnt lgkmcnt(0)
	s_barrier
	buffer_gl0_inv
	v_cmpx_gt_u32_e32 36, v0
	s_cbranch_execz .LBB41_159
; %bb.156:
	v_add_nc_u32_e32 v5, -1, v0
	v_add_nc_u32_e32 v6, 0x150, v3
	v_mov_b32_e32 v7, v3
	v_mov_b32_e32 v2, 0
	;; [unrolled: 1-line block ×3, first 2 shown]
	s_mov_b32 s5, 0
	.p2align	6
.LBB41_157:                             ; =>This Inner Loop Header: Depth=1
	s_clause 0x1
	buffer_load_dword v95, v7, s[0:3], 0 offen offset:4
	buffer_load_dword v96, v7, s[0:3], 0 offen
	ds_read_b64 v[93:94], v6
	v_add_nc_u32_e32 v5, 1, v5
	v_add_nc_u32_e32 v6, 8, v6
	;; [unrolled: 1-line block ×3, first 2 shown]
	v_cmp_lt_u32_e32 vcc_lo, 34, v5
	s_or_b32 s5, vcc_lo, s5
	s_waitcnt vmcnt(1) lgkmcnt(0)
	v_mul_f32_e32 v97, v94, v95
	v_mul_f32_e32 v95, v93, v95
	s_waitcnt vmcnt(0)
	v_fma_f32 v93, v93, v96, -v97
	v_fmac_f32_e32 v95, v94, v96
	v_add_f32_e32 v8, v8, v93
	v_add_f32_e32 v2, v2, v95
	s_andn2_b32 exec_lo, exec_lo, s5
	s_cbranch_execnz .LBB41_157
; %bb.158:
	s_or_b32 exec_lo, exec_lo, s5
	v_mov_b32_e32 v5, 0
	ds_read_b64 v[5:6], v5 offset:288
	s_waitcnt lgkmcnt(0)
	v_mul_f32_e32 v7, v2, v6
	v_mul_f32_e32 v6, v8, v6
	v_fma_f32 v7, v8, v5, -v7
	v_fmac_f32_e32 v6, v2, v5
	buffer_store_dword v7, off, s[0:3], 0 offset:288
	buffer_store_dword v6, off, s[0:3], 0 offset:292
.LBB41_159:
	s_or_b32 exec_lo, exec_lo, s4
	s_waitcnt_vscnt null, 0x0
	s_barrier
	buffer_gl0_inv
	s_clause 0x1
	buffer_load_dword v5, off, s[0:3], 0 offset:296
	buffer_load_dword v6, off, s[0:3], 0 offset:300
	s_mov_b32 s4, exec_lo
	s_waitcnt vmcnt(0)
	ds_write_b64 v4, v[5:6]
	s_waitcnt lgkmcnt(0)
	s_barrier
	buffer_gl0_inv
	v_cmpx_gt_u32_e32 37, v0
	s_cbranch_execz .LBB41_163
; %bb.160:
	v_add_nc_u32_e32 v5, -1, v0
	v_add_nc_u32_e32 v6, 0x150, v3
	v_mov_b32_e32 v7, v3
	v_mov_b32_e32 v2, 0
	;; [unrolled: 1-line block ×3, first 2 shown]
	s_mov_b32 s5, 0
	.p2align	6
.LBB41_161:                             ; =>This Inner Loop Header: Depth=1
	s_clause 0x1
	buffer_load_dword v95, v7, s[0:3], 0 offen offset:4
	buffer_load_dword v96, v7, s[0:3], 0 offen
	ds_read_b64 v[93:94], v6
	v_add_nc_u32_e32 v5, 1, v5
	v_add_nc_u32_e32 v6, 8, v6
	;; [unrolled: 1-line block ×3, first 2 shown]
	v_cmp_lt_u32_e32 vcc_lo, 35, v5
	s_or_b32 s5, vcc_lo, s5
	s_waitcnt vmcnt(1) lgkmcnt(0)
	v_mul_f32_e32 v97, v94, v95
	v_mul_f32_e32 v95, v93, v95
	s_waitcnt vmcnt(0)
	v_fma_f32 v93, v93, v96, -v97
	v_fmac_f32_e32 v95, v94, v96
	v_add_f32_e32 v8, v8, v93
	v_add_f32_e32 v2, v2, v95
	s_andn2_b32 exec_lo, exec_lo, s5
	s_cbranch_execnz .LBB41_161
; %bb.162:
	s_or_b32 exec_lo, exec_lo, s5
	v_mov_b32_e32 v5, 0
	ds_read_b64 v[5:6], v5 offset:296
	s_waitcnt lgkmcnt(0)
	v_mul_f32_e32 v7, v2, v6
	v_mul_f32_e32 v6, v8, v6
	v_fma_f32 v7, v8, v5, -v7
	v_fmac_f32_e32 v6, v2, v5
	buffer_store_dword v7, off, s[0:3], 0 offset:296
	buffer_store_dword v6, off, s[0:3], 0 offset:300
.LBB41_163:
	s_or_b32 exec_lo, exec_lo, s4
	s_waitcnt_vscnt null, 0x0
	s_barrier
	buffer_gl0_inv
	s_clause 0x1
	buffer_load_dword v5, off, s[0:3], 0 offset:304
	buffer_load_dword v6, off, s[0:3], 0 offset:308
	s_mov_b32 s4, exec_lo
	s_waitcnt vmcnt(0)
	ds_write_b64 v4, v[5:6]
	s_waitcnt lgkmcnt(0)
	s_barrier
	buffer_gl0_inv
	v_cmpx_gt_u32_e32 38, v0
	s_cbranch_execz .LBB41_167
; %bb.164:
	v_add_nc_u32_e32 v5, -1, v0
	v_add_nc_u32_e32 v6, 0x150, v3
	v_mov_b32_e32 v7, v3
	v_mov_b32_e32 v2, 0
	;; [unrolled: 1-line block ×3, first 2 shown]
	s_mov_b32 s5, 0
	.p2align	6
.LBB41_165:                             ; =>This Inner Loop Header: Depth=1
	s_clause 0x1
	buffer_load_dword v95, v7, s[0:3], 0 offen offset:4
	buffer_load_dword v96, v7, s[0:3], 0 offen
	ds_read_b64 v[93:94], v6
	v_add_nc_u32_e32 v5, 1, v5
	v_add_nc_u32_e32 v6, 8, v6
	;; [unrolled: 1-line block ×3, first 2 shown]
	v_cmp_lt_u32_e32 vcc_lo, 36, v5
	s_or_b32 s5, vcc_lo, s5
	s_waitcnt vmcnt(1) lgkmcnt(0)
	v_mul_f32_e32 v97, v94, v95
	v_mul_f32_e32 v95, v93, v95
	s_waitcnt vmcnt(0)
	v_fma_f32 v93, v93, v96, -v97
	v_fmac_f32_e32 v95, v94, v96
	v_add_f32_e32 v8, v8, v93
	v_add_f32_e32 v2, v2, v95
	s_andn2_b32 exec_lo, exec_lo, s5
	s_cbranch_execnz .LBB41_165
; %bb.166:
	s_or_b32 exec_lo, exec_lo, s5
	v_mov_b32_e32 v5, 0
	ds_read_b64 v[5:6], v5 offset:304
	s_waitcnt lgkmcnt(0)
	v_mul_f32_e32 v7, v2, v6
	v_mul_f32_e32 v6, v8, v6
	v_fma_f32 v7, v8, v5, -v7
	v_fmac_f32_e32 v6, v2, v5
	buffer_store_dword v7, off, s[0:3], 0 offset:304
	buffer_store_dword v6, off, s[0:3], 0 offset:308
.LBB41_167:
	s_or_b32 exec_lo, exec_lo, s4
	s_waitcnt_vscnt null, 0x0
	s_barrier
	buffer_gl0_inv
	s_clause 0x1
	buffer_load_dword v5, off, s[0:3], 0 offset:312
	buffer_load_dword v6, off, s[0:3], 0 offset:316
	s_mov_b32 s4, exec_lo
	s_waitcnt vmcnt(0)
	ds_write_b64 v4, v[5:6]
	s_waitcnt lgkmcnt(0)
	s_barrier
	buffer_gl0_inv
	v_cmpx_gt_u32_e32 39, v0
	s_cbranch_execz .LBB41_171
; %bb.168:
	v_add_nc_u32_e32 v5, -1, v0
	v_add_nc_u32_e32 v6, 0x150, v3
	v_mov_b32_e32 v7, v3
	v_mov_b32_e32 v2, 0
	;; [unrolled: 1-line block ×3, first 2 shown]
	s_mov_b32 s5, 0
	.p2align	6
.LBB41_169:                             ; =>This Inner Loop Header: Depth=1
	s_clause 0x1
	buffer_load_dword v95, v7, s[0:3], 0 offen offset:4
	buffer_load_dword v96, v7, s[0:3], 0 offen
	ds_read_b64 v[93:94], v6
	v_add_nc_u32_e32 v5, 1, v5
	v_add_nc_u32_e32 v6, 8, v6
	;; [unrolled: 1-line block ×3, first 2 shown]
	v_cmp_lt_u32_e32 vcc_lo, 37, v5
	s_or_b32 s5, vcc_lo, s5
	s_waitcnt vmcnt(1) lgkmcnt(0)
	v_mul_f32_e32 v97, v94, v95
	v_mul_f32_e32 v95, v93, v95
	s_waitcnt vmcnt(0)
	v_fma_f32 v93, v93, v96, -v97
	v_fmac_f32_e32 v95, v94, v96
	v_add_f32_e32 v8, v8, v93
	v_add_f32_e32 v2, v2, v95
	s_andn2_b32 exec_lo, exec_lo, s5
	s_cbranch_execnz .LBB41_169
; %bb.170:
	s_or_b32 exec_lo, exec_lo, s5
	v_mov_b32_e32 v5, 0
	ds_read_b64 v[5:6], v5 offset:312
	s_waitcnt lgkmcnt(0)
	v_mul_f32_e32 v7, v2, v6
	v_mul_f32_e32 v6, v8, v6
	v_fma_f32 v7, v8, v5, -v7
	v_fmac_f32_e32 v6, v2, v5
	buffer_store_dword v7, off, s[0:3], 0 offset:312
	buffer_store_dword v6, off, s[0:3], 0 offset:316
.LBB41_171:
	s_or_b32 exec_lo, exec_lo, s4
	s_waitcnt_vscnt null, 0x0
	s_barrier
	buffer_gl0_inv
	s_clause 0x1
	buffer_load_dword v5, off, s[0:3], 0 offset:320
	buffer_load_dword v6, off, s[0:3], 0 offset:324
	s_mov_b32 s4, exec_lo
	s_waitcnt vmcnt(0)
	ds_write_b64 v4, v[5:6]
	s_waitcnt lgkmcnt(0)
	s_barrier
	buffer_gl0_inv
	v_cmpx_gt_u32_e32 40, v0
	s_cbranch_execz .LBB41_175
; %bb.172:
	v_add_nc_u32_e32 v5, -1, v0
	v_add_nc_u32_e32 v6, 0x150, v3
	v_mov_b32_e32 v7, v3
	v_mov_b32_e32 v2, 0
	;; [unrolled: 1-line block ×3, first 2 shown]
	s_mov_b32 s5, 0
	.p2align	6
.LBB41_173:                             ; =>This Inner Loop Header: Depth=1
	s_clause 0x1
	buffer_load_dword v95, v7, s[0:3], 0 offen offset:4
	buffer_load_dword v96, v7, s[0:3], 0 offen
	ds_read_b64 v[93:94], v6
	v_add_nc_u32_e32 v5, 1, v5
	v_add_nc_u32_e32 v6, 8, v6
	;; [unrolled: 1-line block ×3, first 2 shown]
	v_cmp_lt_u32_e32 vcc_lo, 38, v5
	s_or_b32 s5, vcc_lo, s5
	s_waitcnt vmcnt(1) lgkmcnt(0)
	v_mul_f32_e32 v97, v94, v95
	v_mul_f32_e32 v95, v93, v95
	s_waitcnt vmcnt(0)
	v_fma_f32 v93, v93, v96, -v97
	v_fmac_f32_e32 v95, v94, v96
	v_add_f32_e32 v8, v8, v93
	v_add_f32_e32 v2, v2, v95
	s_andn2_b32 exec_lo, exec_lo, s5
	s_cbranch_execnz .LBB41_173
; %bb.174:
	s_or_b32 exec_lo, exec_lo, s5
	v_mov_b32_e32 v5, 0
	ds_read_b64 v[5:6], v5 offset:320
	s_waitcnt lgkmcnt(0)
	v_mul_f32_e32 v7, v2, v6
	v_mul_f32_e32 v6, v8, v6
	v_fma_f32 v7, v8, v5, -v7
	v_fmac_f32_e32 v6, v2, v5
	buffer_store_dword v7, off, s[0:3], 0 offset:320
	buffer_store_dword v6, off, s[0:3], 0 offset:324
.LBB41_175:
	s_or_b32 exec_lo, exec_lo, s4
	s_waitcnt_vscnt null, 0x0
	s_barrier
	buffer_gl0_inv
	s_clause 0x1
	buffer_load_dword v5, off, s[0:3], 0 offset:328
	buffer_load_dword v6, off, s[0:3], 0 offset:332
	s_mov_b32 s4, exec_lo
	s_waitcnt vmcnt(0)
	ds_write_b64 v4, v[5:6]
	s_waitcnt lgkmcnt(0)
	s_barrier
	buffer_gl0_inv
	v_cmpx_ne_u32_e32 41, v0
	s_cbranch_execz .LBB41_179
; %bb.176:
	v_mov_b32_e32 v2, 0
	v_mov_b32_e32 v5, 0
	s_mov_b32 s5, 0
	.p2align	6
.LBB41_177:                             ; =>This Inner Loop Header: Depth=1
	s_clause 0x1
	buffer_load_dword v8, v3, s[0:3], 0 offen offset:4
	buffer_load_dword v93, v3, s[0:3], 0 offen
	ds_read_b64 v[6:7], v4
	v_add_nc_u32_e32 v1, 1, v1
	v_add_nc_u32_e32 v4, 8, v4
	;; [unrolled: 1-line block ×3, first 2 shown]
	v_cmp_lt_u32_e32 vcc_lo, 39, v1
	s_or_b32 s5, vcc_lo, s5
	s_waitcnt vmcnt(1) lgkmcnt(0)
	v_mul_f32_e32 v94, v7, v8
	v_mul_f32_e32 v8, v6, v8
	s_waitcnt vmcnt(0)
	v_fma_f32 v6, v6, v93, -v94
	v_fmac_f32_e32 v8, v7, v93
	v_add_f32_e32 v5, v5, v6
	v_add_f32_e32 v2, v2, v8
	s_andn2_b32 exec_lo, exec_lo, s5
	s_cbranch_execnz .LBB41_177
; %bb.178:
	s_or_b32 exec_lo, exec_lo, s5
	v_mov_b32_e32 v1, 0
	ds_read_b64 v[3:4], v1 offset:328
	s_waitcnt lgkmcnt(0)
	v_mul_f32_e32 v1, v2, v4
	v_mul_f32_e32 v4, v5, v4
	v_fma_f32 v1, v5, v3, -v1
	v_fmac_f32_e32 v4, v2, v3
	buffer_store_dword v1, off, s[0:3], 0 offset:328
	buffer_store_dword v4, off, s[0:3], 0 offset:332
.LBB41_179:
	s_or_b32 exec_lo, exec_lo, s4
	s_mov_b32 s5, -1
	s_waitcnt_vscnt null, 0x0
	s_barrier
	buffer_gl0_inv
.LBB41_180:
	s_and_b32 vcc_lo, exec_lo, s5
	s_cbranch_vccz .LBB41_182
; %bb.181:
	s_lshl_b64 s[4:5], s[6:7], 2
	v_mov_b32_e32 v1, 0
	s_add_u32 s4, s10, s4
	s_addc_u32 s5, s11, s5
	global_load_dword v1, v1, s[4:5]
	s_waitcnt vmcnt(0)
	v_cmp_ne_u32_e32 vcc_lo, 0, v1
	s_cbranch_vccz .LBB41_183
.LBB41_182:
	s_endpgm
.LBB41_183:
	v_lshl_add_u32 v93, v0, 3, 0x150
	s_mov_b32 s4, exec_lo
	v_cmpx_eq_u32_e32 41, v0
	s_cbranch_execz .LBB41_185
; %bb.184:
	s_clause 0x1
	buffer_load_dword v1, off, s[0:3], 0 offset:320
	buffer_load_dword v2, off, s[0:3], 0 offset:324
	v_mov_b32_e32 v3, 0
	buffer_store_dword v3, off, s[0:3], 0 offset:320
	buffer_store_dword v3, off, s[0:3], 0 offset:324
	s_waitcnt vmcnt(0)
	ds_write_b64 v93, v[1:2]
.LBB41_185:
	s_or_b32 exec_lo, exec_lo, s4
	s_waitcnt lgkmcnt(0)
	s_waitcnt_vscnt null, 0x0
	s_barrier
	buffer_gl0_inv
	s_clause 0x3
	buffer_load_dword v4, off, s[0:3], 0 offset:332
	buffer_load_dword v5, off, s[0:3], 0 offset:328
	;; [unrolled: 1-line block ×4, first 2 shown]
	v_mov_b32_e32 v1, 0
	s_mov_b32 s4, exec_lo
	ds_read_b64 v[2:3], v1 offset:664
	s_waitcnt vmcnt(3) lgkmcnt(0)
	v_mul_f32_e32 v8, v3, v4
	v_mul_f32_e32 v4, v2, v4
	s_waitcnt vmcnt(2)
	v_fma_f32 v2, v2, v5, -v8
	v_fmac_f32_e32 v4, v3, v5
	v_add_f32_e32 v2, 0, v2
	v_add_f32_e32 v3, 0, v4
	s_waitcnt vmcnt(1)
	v_sub_f32_e32 v2, v6, v2
	s_waitcnt vmcnt(0)
	v_sub_f32_e32 v3, v7, v3
	buffer_store_dword v2, off, s[0:3], 0 offset:320
	buffer_store_dword v3, off, s[0:3], 0 offset:324
	v_cmpx_lt_u32_e32 39, v0
	s_cbranch_execz .LBB41_187
; %bb.186:
	s_clause 0x1
	buffer_load_dword v2, off, s[0:3], 0 offset:312
	buffer_load_dword v3, off, s[0:3], 0 offset:316
	buffer_store_dword v1, off, s[0:3], 0 offset:312
	buffer_store_dword v1, off, s[0:3], 0 offset:316
	s_waitcnt vmcnt(0)
	ds_write_b64 v93, v[2:3]
.LBB41_187:
	s_or_b32 exec_lo, exec_lo, s4
	s_waitcnt lgkmcnt(0)
	s_waitcnt_vscnt null, 0x0
	s_barrier
	buffer_gl0_inv
	s_clause 0x5
	buffer_load_dword v5, off, s[0:3], 0 offset:324
	buffer_load_dword v6, off, s[0:3], 0 offset:332
	;; [unrolled: 1-line block ×6, first 2 shown]
	ds_read_b128 v[1:4], v1 offset:656
	s_mov_b32 s4, exec_lo
	s_waitcnt vmcnt(5) lgkmcnt(0)
	v_mul_f32_e32 v96, v2, v5
	v_mul_f32_e32 v5, v1, v5
	s_waitcnt vmcnt(4)
	v_mul_f32_e32 v97, v3, v6
	v_mul_f32_e32 v6, v4, v6
	s_waitcnt vmcnt(3)
	v_fma_f32 v1, v1, v7, -v96
	v_fmac_f32_e32 v5, v2, v7
	s_waitcnt vmcnt(2)
	v_fmac_f32_e32 v97, v4, v8
	v_fma_f32 v2, v3, v8, -v6
	v_add_f32_e32 v1, 0, v1
	v_add_f32_e32 v3, 0, v5
	;; [unrolled: 1-line block ×4, first 2 shown]
	s_waitcnt vmcnt(1)
	v_sub_f32_e32 v1, v94, v1
	s_waitcnt vmcnt(0)
	v_sub_f32_e32 v2, v95, v2
	buffer_store_dword v1, off, s[0:3], 0 offset:312
	buffer_store_dword v2, off, s[0:3], 0 offset:316
	v_cmpx_lt_u32_e32 38, v0
	s_cbranch_execz .LBB41_189
; %bb.188:
	s_clause 0x1
	buffer_load_dword v1, off, s[0:3], 0 offset:304
	buffer_load_dword v2, off, s[0:3], 0 offset:308
	v_mov_b32_e32 v3, 0
	buffer_store_dword v3, off, s[0:3], 0 offset:304
	buffer_store_dword v3, off, s[0:3], 0 offset:308
	s_waitcnt vmcnt(0)
	ds_write_b64 v93, v[1:2]
.LBB41_189:
	s_or_b32 exec_lo, exec_lo, s4
	s_waitcnt lgkmcnt(0)
	s_waitcnt_vscnt null, 0x0
	s_barrier
	buffer_gl0_inv
	s_clause 0x7
	buffer_load_dword v8, off, s[0:3], 0 offset:316
	buffer_load_dword v94, off, s[0:3], 0 offset:324
	;; [unrolled: 1-line block ×8, first 2 shown]
	v_mov_b32_e32 v1, 0
	ds_read2_b64 v[2:5], v1 offset0:81 offset1:82
	ds_read_b64 v[6:7], v1 offset:664
	s_mov_b32 s4, exec_lo
	s_waitcnt vmcnt(7) lgkmcnt(1)
	v_mul_f32_e32 v101, v3, v8
	v_mul_f32_e32 v8, v2, v8
	s_waitcnt vmcnt(6)
	v_mul_f32_e32 v102, v4, v94
	v_mul_f32_e32 v94, v5, v94
	s_waitcnt vmcnt(5) lgkmcnt(0)
	v_mul_f32_e32 v103, v6, v95
	s_waitcnt vmcnt(4)
	v_fma_f32 v2, v2, v96, -v101
	v_fmac_f32_e32 v8, v3, v96
	v_mul_f32_e32 v3, v7, v95
	s_waitcnt vmcnt(3)
	v_fma_f32 v4, v4, v97, -v94
	v_fmac_f32_e32 v102, v5, v97
	v_add_f32_e32 v2, 0, v2
	v_add_f32_e32 v5, 0, v8
	s_waitcnt vmcnt(2)
	v_fma_f32 v3, v6, v98, -v3
	v_fmac_f32_e32 v103, v7, v98
	v_add_f32_e32 v2, v2, v4
	v_add_f32_e32 v4, v5, v102
	;; [unrolled: 1-line block ×4, first 2 shown]
	s_waitcnt vmcnt(1)
	v_sub_f32_e32 v2, v99, v2
	s_waitcnt vmcnt(0)
	v_sub_f32_e32 v3, v100, v3
	buffer_store_dword v2, off, s[0:3], 0 offset:304
	buffer_store_dword v3, off, s[0:3], 0 offset:308
	v_cmpx_lt_u32_e32 37, v0
	s_cbranch_execz .LBB41_191
; %bb.190:
	s_clause 0x1
	buffer_load_dword v2, off, s[0:3], 0 offset:296
	buffer_load_dword v3, off, s[0:3], 0 offset:300
	buffer_store_dword v1, off, s[0:3], 0 offset:296
	buffer_store_dword v1, off, s[0:3], 0 offset:300
	s_waitcnt vmcnt(0)
	ds_write_b64 v93, v[2:3]
.LBB41_191:
	s_or_b32 exec_lo, exec_lo, s4
	s_waitcnt lgkmcnt(0)
	s_waitcnt_vscnt null, 0x0
	s_barrier
	buffer_gl0_inv
	s_clause 0x9
	buffer_load_dword v6, off, s[0:3], 0 offset:308
	buffer_load_dword v7, off, s[0:3], 0 offset:316
	;; [unrolled: 1-line block ×10, first 2 shown]
	ds_read_b128 v[2:5], v1 offset:640
	ds_read_b128 v[94:97], v1 offset:656
	s_mov_b32 s4, exec_lo
	s_waitcnt vmcnt(9) lgkmcnt(1)
	v_mul_f32_e32 v1, v2, v6
	v_mul_f32_e32 v6, v3, v6
	s_waitcnt vmcnt(8)
	v_mul_f32_e32 v105, v4, v7
	v_mul_f32_e32 v7, v5, v7
	s_waitcnt vmcnt(7) lgkmcnt(0)
	v_mul_f32_e32 v106, v94, v8
	s_waitcnt vmcnt(5)
	v_fmac_f32_e32 v1, v3, v99
	v_fma_f32 v2, v2, v99, -v6
	v_mul_f32_e32 v3, v95, v8
	s_waitcnt vmcnt(4)
	v_fma_f32 v4, v4, v100, -v7
	v_fmac_f32_e32 v105, v5, v100
	v_add_f32_e32 v1, 0, v1
	v_add_f32_e32 v2, 0, v2
	v_mul_f32_e32 v5, v97, v98
	s_waitcnt vmcnt(3)
	v_fma_f32 v3, v94, v101, -v3
	v_mul_f32_e32 v107, v96, v98
	v_fmac_f32_e32 v106, v95, v101
	v_add_f32_e32 v2, v2, v4
	v_add_f32_e32 v1, v1, v105
	s_waitcnt vmcnt(2)
	v_fma_f32 v4, v96, v102, -v5
	v_fmac_f32_e32 v107, v97, v102
	v_add_f32_e32 v2, v2, v3
	v_add_f32_e32 v1, v1, v106
	;; [unrolled: 1-line block ×4, first 2 shown]
	s_waitcnt vmcnt(1)
	v_sub_f32_e32 v2, v103, v2
	s_waitcnt vmcnt(0)
	v_sub_f32_e32 v1, v104, v1
	buffer_store_dword v2, off, s[0:3], 0 offset:296
	buffer_store_dword v1, off, s[0:3], 0 offset:300
	v_cmpx_lt_u32_e32 36, v0
	s_cbranch_execz .LBB41_193
; %bb.192:
	s_clause 0x1
	buffer_load_dword v1, off, s[0:3], 0 offset:288
	buffer_load_dword v2, off, s[0:3], 0 offset:292
	v_mov_b32_e32 v3, 0
	buffer_store_dword v3, off, s[0:3], 0 offset:288
	buffer_store_dword v3, off, s[0:3], 0 offset:292
	s_waitcnt vmcnt(0)
	ds_write_b64 v93, v[1:2]
.LBB41_193:
	s_or_b32 exec_lo, exec_lo, s4
	s_waitcnt lgkmcnt(0)
	s_waitcnt_vscnt null, 0x0
	s_barrier
	buffer_gl0_inv
	s_clause 0xb
	buffer_load_dword v8, off, s[0:3], 0 offset:300
	buffer_load_dword v98, off, s[0:3], 0 offset:308
	;; [unrolled: 1-line block ×12, first 2 shown]
	v_mov_b32_e32 v1, 0
	ds_read2_b64 v[2:5], v1 offset0:79 offset1:80
	ds_read2_b64 v[94:97], v1 offset0:81 offset1:82
	ds_read_b64 v[6:7], v1 offset:664
	s_mov_b32 s4, exec_lo
	s_waitcnt vmcnt(11) lgkmcnt(2)
	v_mul_f32_e32 v109, v2, v8
	v_mul_f32_e32 v8, v3, v8
	s_waitcnt vmcnt(10)
	v_mul_f32_e32 v110, v4, v98
	v_mul_f32_e32 v98, v5, v98
	s_waitcnt vmcnt(9) lgkmcnt(1)
	v_mul_f32_e32 v111, v94, v99
	s_waitcnt vmcnt(6)
	v_fmac_f32_e32 v109, v3, v102
	v_fma_f32 v2, v2, v102, -v8
	v_mul_f32_e32 v3, v95, v99
	s_waitcnt vmcnt(5)
	v_fma_f32 v4, v4, v103, -v98
	v_fmac_f32_e32 v110, v5, v103
	v_add_f32_e32 v5, 0, v109
	v_add_f32_e32 v2, 0, v2
	v_mul_f32_e32 v8, v97, v100
	s_waitcnt vmcnt(4)
	v_fma_f32 v3, v94, v104, -v3
	v_mul_f32_e32 v112, v96, v100
	v_fmac_f32_e32 v111, v95, v104
	v_add_f32_e32 v2, v2, v4
	v_add_f32_e32 v4, v5, v110
	s_waitcnt lgkmcnt(0)
	v_mul_f32_e32 v5, v7, v101
	s_waitcnt vmcnt(3)
	v_fma_f32 v8, v96, v105, -v8
	v_mul_f32_e32 v113, v6, v101
	v_add_f32_e32 v2, v2, v3
	v_fmac_f32_e32 v112, v97, v105
	v_add_f32_e32 v3, v4, v111
	s_waitcnt vmcnt(2)
	v_fma_f32 v4, v6, v106, -v5
	v_fmac_f32_e32 v113, v7, v106
	v_add_f32_e32 v2, v2, v8
	v_add_f32_e32 v3, v3, v112
	;; [unrolled: 1-line block ×4, first 2 shown]
	s_waitcnt vmcnt(1)
	v_sub_f32_e32 v2, v107, v2
	s_waitcnt vmcnt(0)
	v_sub_f32_e32 v3, v108, v3
	buffer_store_dword v2, off, s[0:3], 0 offset:288
	buffer_store_dword v3, off, s[0:3], 0 offset:292
	v_cmpx_lt_u32_e32 35, v0
	s_cbranch_execz .LBB41_195
; %bb.194:
	s_clause 0x1
	buffer_load_dword v2, off, s[0:3], 0 offset:280
	buffer_load_dword v3, off, s[0:3], 0 offset:284
	buffer_store_dword v1, off, s[0:3], 0 offset:280
	buffer_store_dword v1, off, s[0:3], 0 offset:284
	s_waitcnt vmcnt(0)
	ds_write_b64 v93, v[2:3]
.LBB41_195:
	s_or_b32 exec_lo, exec_lo, s4
	s_waitcnt lgkmcnt(0)
	s_waitcnt_vscnt null, 0x0
	s_barrier
	buffer_gl0_inv
	s_clause 0xd
	buffer_load_dword v6, off, s[0:3], 0 offset:292
	buffer_load_dword v7, off, s[0:3], 0 offset:300
	;; [unrolled: 1-line block ×14, first 2 shown]
	ds_read_b128 v[2:5], v1 offset:624
	ds_read_b128 v[94:97], v1 offset:640
	ds_read_b128 v[98:101], v1 offset:656
	s_mov_b32 s4, exec_lo
	s_waitcnt vmcnt(13) lgkmcnt(2)
	v_mul_f32_e32 v1, v2, v6
	v_mul_f32_e32 v6, v3, v6
	s_waitcnt vmcnt(12)
	v_mul_f32_e32 v113, v4, v7
	v_mul_f32_e32 v7, v5, v7
	s_waitcnt vmcnt(11) lgkmcnt(1)
	v_mul_f32_e32 v114, v94, v8
	s_waitcnt vmcnt(10)
	v_mul_f32_e32 v115, v96, v102
	s_waitcnt vmcnt(7)
	v_fma_f32 v2, v2, v105, -v6
	v_fmac_f32_e32 v1, v3, v105
	v_mul_f32_e32 v3, v95, v8
	s_waitcnt vmcnt(6)
	v_fma_f32 v4, v4, v106, -v7
	v_fmac_f32_e32 v113, v5, v106
	v_add_f32_e32 v2, 0, v2
	v_add_f32_e32 v1, 0, v1
	v_mul_f32_e32 v5, v97, v102
	s_waitcnt vmcnt(5)
	v_fma_f32 v3, v94, v107, -v3
	v_fmac_f32_e32 v114, v95, v107
	v_add_f32_e32 v2, v2, v4
	v_add_f32_e32 v1, v1, v113
	s_waitcnt lgkmcnt(0)
	v_mul_f32_e32 v4, v99, v103
	s_waitcnt vmcnt(4)
	v_fma_f32 v5, v96, v108, -v5
	v_mul_f32_e32 v116, v98, v103
	v_add_f32_e32 v2, v2, v3
	v_fmac_f32_e32 v115, v97, v108
	v_add_f32_e32 v1, v1, v114
	v_mul_f32_e32 v3, v101, v104
	s_waitcnt vmcnt(3)
	v_fma_f32 v4, v98, v109, -v4
	v_add_f32_e32 v2, v2, v5
	v_mul_f32_e32 v117, v100, v104
	v_fmac_f32_e32 v116, v99, v109
	v_add_f32_e32 v1, v1, v115
	s_waitcnt vmcnt(2)
	v_fma_f32 v3, v100, v110, -v3
	v_add_f32_e32 v2, v2, v4
	v_fmac_f32_e32 v117, v101, v110
	v_add_f32_e32 v1, v1, v116
	v_add_f32_e32 v2, v2, v3
	;; [unrolled: 1-line block ×3, first 2 shown]
	s_waitcnt vmcnt(1)
	v_sub_f32_e32 v2, v111, v2
	s_waitcnt vmcnt(0)
	v_sub_f32_e32 v1, v112, v1
	buffer_store_dword v2, off, s[0:3], 0 offset:280
	buffer_store_dword v1, off, s[0:3], 0 offset:284
	v_cmpx_lt_u32_e32 34, v0
	s_cbranch_execz .LBB41_197
; %bb.196:
	s_clause 0x1
	buffer_load_dword v1, off, s[0:3], 0 offset:272
	buffer_load_dword v2, off, s[0:3], 0 offset:276
	v_mov_b32_e32 v3, 0
	buffer_store_dword v3, off, s[0:3], 0 offset:272
	buffer_store_dword v3, off, s[0:3], 0 offset:276
	s_waitcnt vmcnt(0)
	ds_write_b64 v93, v[1:2]
.LBB41_197:
	s_or_b32 exec_lo, exec_lo, s4
	s_waitcnt lgkmcnt(0)
	s_waitcnt_vscnt null, 0x0
	s_barrier
	buffer_gl0_inv
	s_clause 0xf
	buffer_load_dword v8, off, s[0:3], 0 offset:284
	buffer_load_dword v102, off, s[0:3], 0 offset:292
	buffer_load_dword v103, off, s[0:3], 0 offset:300
	buffer_load_dword v104, off, s[0:3], 0 offset:308
	buffer_load_dword v105, off, s[0:3], 0 offset:316
	buffer_load_dword v106, off, s[0:3], 0 offset:324
	buffer_load_dword v107, off, s[0:3], 0 offset:332
	buffer_load_dword v108, off, s[0:3], 0 offset:280
	buffer_load_dword v109, off, s[0:3], 0 offset:288
	buffer_load_dword v110, off, s[0:3], 0 offset:296
	buffer_load_dword v111, off, s[0:3], 0 offset:304
	buffer_load_dword v112, off, s[0:3], 0 offset:312
	buffer_load_dword v113, off, s[0:3], 0 offset:320
	buffer_load_dword v114, off, s[0:3], 0 offset:328
	buffer_load_dword v115, off, s[0:3], 0 offset:272
	buffer_load_dword v116, off, s[0:3], 0 offset:276
	v_mov_b32_e32 v1, 0
	ds_read2_b64 v[2:5], v1 offset0:77 offset1:78
	ds_read2_b64 v[94:97], v1 offset0:79 offset1:80
	;; [unrolled: 1-line block ×3, first 2 shown]
	ds_read_b64 v[6:7], v1 offset:664
	s_mov_b32 s4, exec_lo
	s_waitcnt vmcnt(15) lgkmcnt(3)
	v_mul_f32_e32 v117, v2, v8
	v_mul_f32_e32 v8, v3, v8
	s_waitcnt vmcnt(14)
	v_mul_f32_e32 v118, v4, v102
	v_mul_f32_e32 v102, v5, v102
	s_waitcnt vmcnt(13) lgkmcnt(2)
	v_mul_f32_e32 v119, v94, v103
	s_waitcnt vmcnt(12)
	v_mul_f32_e32 v120, v96, v104
	s_waitcnt vmcnt(11) lgkmcnt(1)
	v_mul_f32_e32 v121, v98, v105
	s_waitcnt vmcnt(8)
	v_fma_f32 v2, v2, v108, -v8
	v_fmac_f32_e32 v117, v3, v108
	v_mul_f32_e32 v3, v95, v103
	s_waitcnt vmcnt(7)
	v_fma_f32 v4, v4, v109, -v102
	v_fmac_f32_e32 v118, v5, v109
	v_add_f32_e32 v2, 0, v2
	v_add_f32_e32 v5, 0, v117
	v_mul_f32_e32 v8, v97, v104
	s_waitcnt vmcnt(6)
	v_fma_f32 v3, v94, v110, -v3
	v_fmac_f32_e32 v119, v95, v110
	v_add_f32_e32 v2, v2, v4
	v_add_f32_e32 v4, v5, v118
	;; [unrolled: 6-line block ×3, first 2 shown]
	v_mul_f32_e32 v4, v101, v106
	s_waitcnt vmcnt(4)
	v_fma_f32 v5, v98, v112, -v5
	v_mul_f32_e32 v122, v100, v106
	v_add_f32_e32 v2, v2, v8
	v_fmac_f32_e32 v121, v99, v112
	v_add_f32_e32 v3, v3, v120
	s_waitcnt lgkmcnt(0)
	v_mul_f32_e32 v8, v7, v107
	s_waitcnt vmcnt(3)
	v_fma_f32 v4, v100, v113, -v4
	v_add_f32_e32 v2, v2, v5
	v_mul_f32_e32 v123, v6, v107
	v_fmac_f32_e32 v122, v101, v113
	v_add_f32_e32 v3, v3, v121
	s_waitcnt vmcnt(2)
	v_fma_f32 v5, v6, v114, -v8
	v_add_f32_e32 v2, v2, v4
	v_fmac_f32_e32 v123, v7, v114
	v_add_f32_e32 v3, v3, v122
	v_add_f32_e32 v2, v2, v5
	;; [unrolled: 1-line block ×3, first 2 shown]
	s_waitcnt vmcnt(1)
	v_sub_f32_e32 v2, v115, v2
	s_waitcnt vmcnt(0)
	v_sub_f32_e32 v3, v116, v3
	buffer_store_dword v2, off, s[0:3], 0 offset:272
	buffer_store_dword v3, off, s[0:3], 0 offset:276
	v_cmpx_lt_u32_e32 33, v0
	s_cbranch_execz .LBB41_199
; %bb.198:
	s_clause 0x1
	buffer_load_dword v2, off, s[0:3], 0 offset:264
	buffer_load_dword v3, off, s[0:3], 0 offset:268
	buffer_store_dword v1, off, s[0:3], 0 offset:264
	buffer_store_dword v1, off, s[0:3], 0 offset:268
	s_waitcnt vmcnt(0)
	ds_write_b64 v93, v[2:3]
.LBB41_199:
	s_or_b32 exec_lo, exec_lo, s4
	s_waitcnt lgkmcnt(0)
	s_waitcnt_vscnt null, 0x0
	s_barrier
	buffer_gl0_inv
	s_clause 0x11
	buffer_load_dword v6, off, s[0:3], 0 offset:276
	buffer_load_dword v7, off, s[0:3], 0 offset:284
	;; [unrolled: 1-line block ×18, first 2 shown]
	ds_read_b128 v[2:5], v1 offset:608
	ds_read_b128 v[94:97], v1 offset:624
	;; [unrolled: 1-line block ×4, first 2 shown]
	s_mov_b32 s4, exec_lo
	s_waitcnt vmcnt(17) lgkmcnt(3)
	v_mul_f32_e32 v1, v2, v6
	v_mul_f32_e32 v6, v3, v6
	s_waitcnt vmcnt(16)
	v_mul_f32_e32 v121, v4, v7
	v_mul_f32_e32 v7, v5, v7
	s_waitcnt vmcnt(15) lgkmcnt(2)
	v_mul_f32_e32 v122, v94, v8
	s_waitcnt vmcnt(14)
	v_mul_f32_e32 v123, v96, v106
	s_waitcnt vmcnt(13) lgkmcnt(1)
	v_mul_f32_e32 v124, v98, v107
	s_waitcnt vmcnt(12)
	v_mul_f32_e32 v125, v100, v108
	s_waitcnt vmcnt(9)
	v_fma_f32 v2, v2, v111, -v6
	v_fmac_f32_e32 v1, v3, v111
	v_mul_f32_e32 v3, v95, v8
	s_waitcnt vmcnt(8)
	v_fma_f32 v4, v4, v112, -v7
	v_fmac_f32_e32 v121, v5, v112
	v_add_f32_e32 v2, 0, v2
	v_add_f32_e32 v1, 0, v1
	v_mul_f32_e32 v5, v97, v106
	s_waitcnt vmcnt(7)
	v_fma_f32 v3, v94, v113, -v3
	v_fmac_f32_e32 v122, v95, v113
	v_add_f32_e32 v2, v2, v4
	v_add_f32_e32 v1, v1, v121
	v_mul_f32_e32 v4, v99, v107
	s_waitcnt vmcnt(6)
	v_fma_f32 v5, v96, v114, -v5
	v_fmac_f32_e32 v123, v97, v114
	v_add_f32_e32 v2, v2, v3
	v_add_f32_e32 v1, v1, v122
	v_mul_f32_e32 v3, v101, v108
	s_waitcnt vmcnt(5)
	v_fma_f32 v4, v98, v115, -v4
	v_fmac_f32_e32 v124, v99, v115
	v_add_f32_e32 v2, v2, v5
	v_add_f32_e32 v1, v1, v123
	s_waitcnt lgkmcnt(0)
	v_mul_f32_e32 v5, v103, v109
	s_waitcnt vmcnt(4)
	v_fma_f32 v3, v100, v116, -v3
	v_mul_f32_e32 v126, v102, v109
	v_add_f32_e32 v2, v2, v4
	v_fmac_f32_e32 v125, v101, v116
	v_add_f32_e32 v1, v1, v124
	v_mul_f32_e32 v4, v105, v110
	s_waitcnt vmcnt(3)
	v_fma_f32 v5, v102, v117, -v5
	v_add_f32_e32 v2, v2, v3
	v_mul_f32_e32 v127, v104, v110
	v_fmac_f32_e32 v126, v103, v117
	v_add_f32_e32 v1, v1, v125
	s_waitcnt vmcnt(2)
	v_fma_f32 v3, v104, v118, -v4
	v_add_f32_e32 v2, v2, v5
	v_fmac_f32_e32 v127, v105, v118
	v_add_f32_e32 v1, v1, v126
	v_add_f32_e32 v2, v2, v3
	;; [unrolled: 1-line block ×3, first 2 shown]
	s_waitcnt vmcnt(1)
	v_sub_f32_e32 v2, v119, v2
	s_waitcnt vmcnt(0)
	v_sub_f32_e32 v1, v120, v1
	buffer_store_dword v2, off, s[0:3], 0 offset:264
	buffer_store_dword v1, off, s[0:3], 0 offset:268
	v_cmpx_lt_u32_e32 32, v0
	s_cbranch_execz .LBB41_201
; %bb.200:
	s_clause 0x1
	buffer_load_dword v1, off, s[0:3], 0 offset:256
	buffer_load_dword v2, off, s[0:3], 0 offset:260
	v_mov_b32_e32 v3, 0
	buffer_store_dword v3, off, s[0:3], 0 offset:256
	buffer_store_dword v3, off, s[0:3], 0 offset:260
	s_waitcnt vmcnt(0)
	ds_write_b64 v93, v[1:2]
.LBB41_201:
	s_or_b32 exec_lo, exec_lo, s4
	s_waitcnt lgkmcnt(0)
	s_waitcnt_vscnt null, 0x0
	s_barrier
	buffer_gl0_inv
	s_clause 0x13
	buffer_load_dword v8, off, s[0:3], 0 offset:268
	buffer_load_dword v106, off, s[0:3], 0 offset:276
	;; [unrolled: 1-line block ×20, first 2 shown]
	v_mov_b32_e32 v1, 0
	ds_read2_b64 v[2:5], v1 offset0:75 offset1:76
	ds_read2_b64 v[94:97], v1 offset0:77 offset1:78
	;; [unrolled: 1-line block ×4, first 2 shown]
	ds_read_b64 v[6:7], v1 offset:664
	s_mov_b32 s4, exec_lo
	s_waitcnt vmcnt(19) lgkmcnt(4)
	v_mul_f32_e32 v125, v2, v8
	v_mul_f32_e32 v8, v3, v8
	s_waitcnt vmcnt(18)
	v_mul_f32_e32 v126, v4, v106
	v_mul_f32_e32 v106, v5, v106
	s_waitcnt vmcnt(17) lgkmcnt(3)
	v_mul_f32_e32 v127, v94, v107
	s_waitcnt vmcnt(16)
	v_mul_f32_e32 v128, v96, v108
	s_waitcnt vmcnt(15) lgkmcnt(2)
	v_mul_f32_e32 v129, v98, v109
	s_waitcnt vmcnt(14)
	;; [unrolled: 4-line block ×3, first 2 shown]
	v_fma_f32 v2, v2, v114, -v8
	v_fmac_f32_e32 v125, v3, v114
	v_mul_f32_e32 v3, v95, v107
	s_waitcnt vmcnt(9)
	v_fma_f32 v4, v4, v115, -v106
	v_fmac_f32_e32 v126, v5, v115
	v_add_f32_e32 v2, 0, v2
	v_add_f32_e32 v5, 0, v125
	v_mul_f32_e32 v8, v97, v108
	s_waitcnt vmcnt(8)
	v_fma_f32 v3, v94, v116, -v3
	v_fmac_f32_e32 v127, v95, v116
	v_add_f32_e32 v2, v2, v4
	v_add_f32_e32 v4, v5, v126
	;; [unrolled: 6-line block ×5, first 2 shown]
	v_mul_f32_e32 v5, v105, v112
	s_waitcnt vmcnt(4)
	v_fma_f32 v8, v102, v120, -v8
	v_mul_f32_e32 v132, v104, v112
	v_add_f32_e32 v2, v2, v4
	v_fmac_f32_e32 v131, v103, v120
	v_add_f32_e32 v3, v3, v130
	s_waitcnt lgkmcnt(0)
	v_mul_f32_e32 v4, v7, v113
	s_waitcnt vmcnt(3)
	v_fma_f32 v5, v104, v121, -v5
	v_add_f32_e32 v2, v2, v8
	v_mul_f32_e32 v133, v6, v113
	v_fmac_f32_e32 v132, v105, v121
	v_add_f32_e32 v3, v3, v131
	s_waitcnt vmcnt(2)
	v_fma_f32 v4, v6, v122, -v4
	v_add_f32_e32 v2, v2, v5
	v_fmac_f32_e32 v133, v7, v122
	v_add_f32_e32 v3, v3, v132
	v_add_f32_e32 v2, v2, v4
	;; [unrolled: 1-line block ×3, first 2 shown]
	s_waitcnt vmcnt(1)
	v_sub_f32_e32 v2, v123, v2
	s_waitcnt vmcnt(0)
	v_sub_f32_e32 v3, v124, v3
	buffer_store_dword v2, off, s[0:3], 0 offset:256
	buffer_store_dword v3, off, s[0:3], 0 offset:260
	v_cmpx_lt_u32_e32 31, v0
	s_cbranch_execz .LBB41_203
; %bb.202:
	s_clause 0x1
	buffer_load_dword v2, off, s[0:3], 0 offset:248
	buffer_load_dword v3, off, s[0:3], 0 offset:252
	buffer_store_dword v1, off, s[0:3], 0 offset:248
	buffer_store_dword v1, off, s[0:3], 0 offset:252
	s_waitcnt vmcnt(0)
	ds_write_b64 v93, v[2:3]
.LBB41_203:
	s_or_b32 exec_lo, exec_lo, s4
	s_waitcnt lgkmcnt(0)
	s_waitcnt_vscnt null, 0x0
	s_barrier
	buffer_gl0_inv
	s_clause 0x15
	buffer_load_dword v6, off, s[0:3], 0 offset:260
	buffer_load_dword v7, off, s[0:3], 0 offset:268
	buffer_load_dword v8, off, s[0:3], 0 offset:276
	buffer_load_dword v110, off, s[0:3], 0 offset:284
	buffer_load_dword v111, off, s[0:3], 0 offset:292
	buffer_load_dword v112, off, s[0:3], 0 offset:300
	buffer_load_dword v113, off, s[0:3], 0 offset:308
	buffer_load_dword v114, off, s[0:3], 0 offset:316
	buffer_load_dword v115, off, s[0:3], 0 offset:324
	buffer_load_dword v116, off, s[0:3], 0 offset:332
	buffer_load_dword v117, off, s[0:3], 0 offset:256
	buffer_load_dword v118, off, s[0:3], 0 offset:264
	buffer_load_dword v119, off, s[0:3], 0 offset:272
	buffer_load_dword v120, off, s[0:3], 0 offset:280
	buffer_load_dword v121, off, s[0:3], 0 offset:288
	buffer_load_dword v122, off, s[0:3], 0 offset:296
	buffer_load_dword v123, off, s[0:3], 0 offset:304
	buffer_load_dword v124, off, s[0:3], 0 offset:312
	buffer_load_dword v125, off, s[0:3], 0 offset:320
	buffer_load_dword v126, off, s[0:3], 0 offset:328
	buffer_load_dword v127, off, s[0:3], 0 offset:248
	buffer_load_dword v128, off, s[0:3], 0 offset:252
	ds_read_b128 v[2:5], v1 offset:592
	ds_read_b128 v[94:97], v1 offset:608
	;; [unrolled: 1-line block ×5, first 2 shown]
	s_mov_b32 s4, exec_lo
	s_waitcnt vmcnt(21) lgkmcnt(4)
	v_mul_f32_e32 v1, v2, v6
	v_mul_f32_e32 v6, v3, v6
	s_waitcnt vmcnt(20)
	v_mul_f32_e32 v129, v4, v7
	v_mul_f32_e32 v7, v5, v7
	s_waitcnt vmcnt(19) lgkmcnt(3)
	v_mul_f32_e32 v130, v94, v8
	s_waitcnt vmcnt(18)
	v_mul_f32_e32 v131, v96, v110
	s_waitcnt vmcnt(17) lgkmcnt(2)
	v_mul_f32_e32 v132, v98, v111
	s_waitcnt vmcnt(16)
	;; [unrolled: 4-line block ×3, first 2 shown]
	v_mul_f32_e32 v135, v104, v114
	s_waitcnt vmcnt(11)
	v_fma_f32 v2, v2, v117, -v6
	v_fmac_f32_e32 v1, v3, v117
	v_mul_f32_e32 v3, v95, v8
	s_waitcnt vmcnt(10)
	v_fma_f32 v4, v4, v118, -v7
	v_fmac_f32_e32 v129, v5, v118
	v_add_f32_e32 v2, 0, v2
	v_add_f32_e32 v1, 0, v1
	v_mul_f32_e32 v5, v97, v110
	s_waitcnt vmcnt(9)
	v_fma_f32 v3, v94, v119, -v3
	v_fmac_f32_e32 v130, v95, v119
	v_add_f32_e32 v2, v2, v4
	v_add_f32_e32 v1, v1, v129
	;; [unrolled: 6-line block ×6, first 2 shown]
	s_waitcnt lgkmcnt(0)
	v_mul_f32_e32 v3, v107, v115
	s_waitcnt vmcnt(4)
	v_fma_f32 v4, v104, v124, -v4
	v_mul_f32_e32 v136, v106, v115
	v_add_f32_e32 v2, v2, v5
	v_fmac_f32_e32 v135, v105, v124
	v_add_f32_e32 v1, v1, v134
	v_mul_f32_e32 v5, v109, v116
	s_waitcnt vmcnt(3)
	v_fma_f32 v3, v106, v125, -v3
	v_add_f32_e32 v2, v2, v4
	v_mul_f32_e32 v137, v108, v116
	v_fmac_f32_e32 v136, v107, v125
	v_add_f32_e32 v1, v1, v135
	s_waitcnt vmcnt(2)
	v_fma_f32 v4, v108, v126, -v5
	v_add_f32_e32 v2, v2, v3
	v_fmac_f32_e32 v137, v109, v126
	v_add_f32_e32 v1, v1, v136
	v_add_f32_e32 v2, v2, v4
	;; [unrolled: 1-line block ×3, first 2 shown]
	s_waitcnt vmcnt(1)
	v_sub_f32_e32 v2, v127, v2
	s_waitcnt vmcnt(0)
	v_sub_f32_e32 v1, v128, v1
	buffer_store_dword v2, off, s[0:3], 0 offset:248
	buffer_store_dword v1, off, s[0:3], 0 offset:252
	v_cmpx_lt_u32_e32 30, v0
	s_cbranch_execz .LBB41_205
; %bb.204:
	s_clause 0x1
	buffer_load_dword v1, off, s[0:3], 0 offset:240
	buffer_load_dword v2, off, s[0:3], 0 offset:244
	v_mov_b32_e32 v3, 0
	buffer_store_dword v3, off, s[0:3], 0 offset:240
	buffer_store_dword v3, off, s[0:3], 0 offset:244
	s_waitcnt vmcnt(0)
	ds_write_b64 v93, v[1:2]
.LBB41_205:
	s_or_b32 exec_lo, exec_lo, s4
	s_waitcnt lgkmcnt(0)
	s_waitcnt_vscnt null, 0x0
	s_barrier
	buffer_gl0_inv
	s_clause 0x17
	buffer_load_dword v8, off, s[0:3], 0 offset:252
	buffer_load_dword v110, off, s[0:3], 0 offset:260
	;; [unrolled: 1-line block ×24, first 2 shown]
	v_mov_b32_e32 v1, 0
	ds_read2_b64 v[2:5], v1 offset0:73 offset1:74
	ds_read2_b64 v[94:97], v1 offset0:75 offset1:76
	;; [unrolled: 1-line block ×5, first 2 shown]
	ds_read_b64 v[6:7], v1 offset:664
	s_mov_b32 s4, exec_lo
	s_waitcnt vmcnt(23) lgkmcnt(5)
	v_mul_f32_e32 v133, v2, v8
	v_mul_f32_e32 v8, v3, v8
	s_waitcnt vmcnt(22)
	v_mul_f32_e32 v134, v4, v110
	v_mul_f32_e32 v110, v5, v110
	s_waitcnt vmcnt(21) lgkmcnt(4)
	v_mul_f32_e32 v135, v94, v111
	s_waitcnt vmcnt(20)
	v_mul_f32_e32 v136, v96, v112
	s_waitcnt vmcnt(19) lgkmcnt(3)
	v_mul_f32_e32 v137, v98, v113
	s_waitcnt vmcnt(18)
	;; [unrolled: 4-line block ×4, first 2 shown]
	v_fma_f32 v2, v2, v120, -v8
	v_fmac_f32_e32 v133, v3, v120
	v_mul_f32_e32 v3, v95, v111
	s_waitcnt vmcnt(11)
	v_fma_f32 v4, v4, v121, -v110
	v_fmac_f32_e32 v134, v5, v121
	v_add_f32_e32 v2, 0, v2
	v_add_f32_e32 v5, 0, v133
	v_mul_f32_e32 v8, v97, v112
	s_waitcnt vmcnt(10)
	v_fma_f32 v3, v94, v122, -v3
	v_fmac_f32_e32 v135, v95, v122
	v_add_f32_e32 v2, v2, v4
	v_add_f32_e32 v4, v5, v134
	;; [unrolled: 6-line block ×7, first 2 shown]
	v_mul_f32_e32 v8, v109, v118
	s_waitcnt vmcnt(4)
	v_fma_f32 v4, v106, v128, -v4
	v_mul_f32_e32 v142, v108, v118
	v_add_f32_e32 v2, v2, v5
	v_fmac_f32_e32 v141, v107, v128
	v_add_f32_e32 v3, v3, v140
	s_waitcnt lgkmcnt(0)
	v_mul_f32_e32 v5, v7, v119
	s_waitcnt vmcnt(3)
	v_fma_f32 v8, v108, v129, -v8
	v_add_f32_e32 v2, v2, v4
	v_mul_f32_e32 v143, v6, v119
	v_fmac_f32_e32 v142, v109, v129
	v_add_f32_e32 v3, v3, v141
	s_waitcnt vmcnt(2)
	v_fma_f32 v4, v6, v130, -v5
	v_add_f32_e32 v2, v2, v8
	v_fmac_f32_e32 v143, v7, v130
	v_add_f32_e32 v3, v3, v142
	v_add_f32_e32 v2, v2, v4
	;; [unrolled: 1-line block ×3, first 2 shown]
	s_waitcnt vmcnt(1)
	v_sub_f32_e32 v2, v131, v2
	s_waitcnt vmcnt(0)
	v_sub_f32_e32 v3, v132, v3
	buffer_store_dword v2, off, s[0:3], 0 offset:240
	buffer_store_dword v3, off, s[0:3], 0 offset:244
	v_cmpx_lt_u32_e32 29, v0
	s_cbranch_execz .LBB41_207
; %bb.206:
	s_clause 0x1
	buffer_load_dword v2, off, s[0:3], 0 offset:232
	buffer_load_dword v3, off, s[0:3], 0 offset:236
	buffer_store_dword v1, off, s[0:3], 0 offset:232
	buffer_store_dword v1, off, s[0:3], 0 offset:236
	s_waitcnt vmcnt(0)
	ds_write_b64 v93, v[2:3]
.LBB41_207:
	s_or_b32 exec_lo, exec_lo, s4
	s_waitcnt lgkmcnt(0)
	s_waitcnt_vscnt null, 0x0
	s_barrier
	buffer_gl0_inv
	s_clause 0x19
	buffer_load_dword v6, off, s[0:3], 0 offset:244
	buffer_load_dword v7, off, s[0:3], 0 offset:252
	;; [unrolled: 1-line block ×26, first 2 shown]
	ds_read_b128 v[2:5], v1 offset:576
	ds_read_b128 v[94:97], v1 offset:592
	;; [unrolled: 1-line block ×6, first 2 shown]
	s_mov_b32 s4, exec_lo
	s_waitcnt vmcnt(25) lgkmcnt(5)
	v_mul_f32_e32 v1, v2, v6
	v_mul_f32_e32 v6, v3, v6
	s_waitcnt vmcnt(24)
	v_mul_f32_e32 v137, v4, v7
	v_mul_f32_e32 v7, v5, v7
	s_waitcnt vmcnt(23) lgkmcnt(4)
	v_mul_f32_e32 v138, v94, v8
	s_waitcnt vmcnt(22)
	v_mul_f32_e32 v139, v96, v114
	s_waitcnt vmcnt(21) lgkmcnt(3)
	v_mul_f32_e32 v140, v98, v115
	s_waitcnt vmcnt(20)
	;; [unrolled: 4-line block ×4, first 2 shown]
	v_mul_f32_e32 v145, v108, v120
	s_waitcnt vmcnt(13)
	v_fma_f32 v2, v2, v123, -v6
	v_fmac_f32_e32 v1, v3, v123
	v_mul_f32_e32 v3, v95, v8
	s_waitcnt vmcnt(12)
	v_fma_f32 v4, v4, v124, -v7
	v_fmac_f32_e32 v137, v5, v124
	v_add_f32_e32 v2, 0, v2
	v_add_f32_e32 v1, 0, v1
	v_mul_f32_e32 v5, v97, v114
	s_waitcnt vmcnt(11)
	v_fma_f32 v3, v94, v125, -v3
	v_fmac_f32_e32 v138, v95, v125
	v_add_f32_e32 v2, v2, v4
	v_add_f32_e32 v1, v1, v137
	;; [unrolled: 6-line block ×8, first 2 shown]
	s_waitcnt lgkmcnt(0)
	v_mul_f32_e32 v4, v111, v121
	s_waitcnt vmcnt(4)
	v_fma_f32 v5, v108, v132, -v5
	v_mul_f32_e32 v146, v110, v121
	v_add_f32_e32 v2, v2, v3
	v_fmac_f32_e32 v145, v109, v132
	v_add_f32_e32 v1, v1, v144
	v_mul_f32_e32 v3, v113, v122
	s_waitcnt vmcnt(3)
	v_fma_f32 v4, v110, v133, -v4
	v_add_f32_e32 v2, v2, v5
	v_mul_f32_e32 v147, v112, v122
	v_fmac_f32_e32 v146, v111, v133
	v_add_f32_e32 v1, v1, v145
	s_waitcnt vmcnt(2)
	v_fma_f32 v3, v112, v134, -v3
	v_add_f32_e32 v2, v2, v4
	v_fmac_f32_e32 v147, v113, v134
	v_add_f32_e32 v1, v1, v146
	v_add_f32_e32 v2, v2, v3
	;; [unrolled: 1-line block ×3, first 2 shown]
	s_waitcnt vmcnt(1)
	v_sub_f32_e32 v2, v135, v2
	s_waitcnt vmcnt(0)
	v_sub_f32_e32 v1, v136, v1
	buffer_store_dword v2, off, s[0:3], 0 offset:232
	buffer_store_dword v1, off, s[0:3], 0 offset:236
	v_cmpx_lt_u32_e32 28, v0
	s_cbranch_execz .LBB41_209
; %bb.208:
	s_clause 0x1
	buffer_load_dword v1, off, s[0:3], 0 offset:224
	buffer_load_dword v2, off, s[0:3], 0 offset:228
	v_mov_b32_e32 v3, 0
	buffer_store_dword v3, off, s[0:3], 0 offset:224
	buffer_store_dword v3, off, s[0:3], 0 offset:228
	s_waitcnt vmcnt(0)
	ds_write_b64 v93, v[1:2]
.LBB41_209:
	s_or_b32 exec_lo, exec_lo, s4
	s_waitcnt lgkmcnt(0)
	s_waitcnt_vscnt null, 0x0
	s_barrier
	buffer_gl0_inv
	s_clause 0x1b
	buffer_load_dword v8, off, s[0:3], 0 offset:236
	buffer_load_dword v114, off, s[0:3], 0 offset:244
	;; [unrolled: 1-line block ×28, first 2 shown]
	v_mov_b32_e32 v1, 0
	ds_read2_b64 v[2:5], v1 offset0:71 offset1:72
	ds_read2_b64 v[94:97], v1 offset0:73 offset1:74
	;; [unrolled: 1-line block ×6, first 2 shown]
	ds_read_b64 v[6:7], v1 offset:664
	s_mov_b32 s4, exec_lo
	s_waitcnt vmcnt(27) lgkmcnt(6)
	v_mul_f32_e32 v141, v2, v8
	v_mul_f32_e32 v8, v3, v8
	s_waitcnt vmcnt(26)
	v_mul_f32_e32 v142, v4, v114
	v_mul_f32_e32 v114, v5, v114
	s_waitcnt vmcnt(25) lgkmcnt(5)
	v_mul_f32_e32 v143, v94, v115
	s_waitcnt vmcnt(24)
	v_mul_f32_e32 v144, v96, v116
	s_waitcnt vmcnt(23) lgkmcnt(4)
	v_mul_f32_e32 v145, v98, v117
	s_waitcnt vmcnt(22)
	;; [unrolled: 4-line block ×5, first 2 shown]
	v_fma_f32 v2, v2, v126, -v8
	v_fmac_f32_e32 v141, v3, v126
	v_mul_f32_e32 v3, v95, v115
	s_waitcnt vmcnt(13)
	v_fma_f32 v4, v4, v127, -v114
	v_fmac_f32_e32 v142, v5, v127
	v_add_f32_e32 v2, 0, v2
	v_add_f32_e32 v5, 0, v141
	v_mul_f32_e32 v8, v97, v116
	s_waitcnt vmcnt(12)
	v_fma_f32 v3, v94, v128, -v3
	v_fmac_f32_e32 v143, v95, v128
	v_add_f32_e32 v2, v2, v4
	v_add_f32_e32 v4, v5, v142
	;; [unrolled: 6-line block ×9, first 2 shown]
	v_mul_f32_e32 v4, v113, v124
	s_waitcnt vmcnt(4)
	v_fma_f32 v5, v110, v136, -v5
	v_mul_f32_e32 v152, v112, v124
	v_add_f32_e32 v2, v2, v8
	v_fmac_f32_e32 v151, v111, v136
	v_add_f32_e32 v3, v3, v150
	s_waitcnt lgkmcnt(0)
	v_mul_f32_e32 v8, v7, v125
	s_waitcnt vmcnt(3)
	v_fma_f32 v4, v112, v137, -v4
	v_add_f32_e32 v2, v2, v5
	v_mul_f32_e32 v153, v6, v125
	v_fmac_f32_e32 v152, v113, v137
	v_add_f32_e32 v3, v3, v151
	s_waitcnt vmcnt(2)
	v_fma_f32 v5, v6, v138, -v8
	v_add_f32_e32 v2, v2, v4
	v_fmac_f32_e32 v153, v7, v138
	v_add_f32_e32 v3, v3, v152
	v_add_f32_e32 v2, v2, v5
	;; [unrolled: 1-line block ×3, first 2 shown]
	s_waitcnt vmcnt(1)
	v_sub_f32_e32 v2, v139, v2
	s_waitcnt vmcnt(0)
	v_sub_f32_e32 v3, v140, v3
	buffer_store_dword v2, off, s[0:3], 0 offset:224
	buffer_store_dword v3, off, s[0:3], 0 offset:228
	v_cmpx_lt_u32_e32 27, v0
	s_cbranch_execz .LBB41_211
; %bb.210:
	s_clause 0x1
	buffer_load_dword v2, off, s[0:3], 0 offset:216
	buffer_load_dword v3, off, s[0:3], 0 offset:220
	buffer_store_dword v1, off, s[0:3], 0 offset:216
	buffer_store_dword v1, off, s[0:3], 0 offset:220
	s_waitcnt vmcnt(0)
	ds_write_b64 v93, v[2:3]
.LBB41_211:
	s_or_b32 exec_lo, exec_lo, s4
	s_waitcnt lgkmcnt(0)
	s_waitcnt_vscnt null, 0x0
	s_barrier
	buffer_gl0_inv
	s_clause 0x1d
	buffer_load_dword v6, off, s[0:3], 0 offset:228
	buffer_load_dword v7, off, s[0:3], 0 offset:236
	;; [unrolled: 1-line block ×30, first 2 shown]
	ds_read_b128 v[2:5], v1 offset:560
	ds_read_b128 v[94:97], v1 offset:576
	;; [unrolled: 1-line block ×7, first 2 shown]
	s_mov_b32 s4, exec_lo
	s_waitcnt vmcnt(29) lgkmcnt(6)
	v_mul_f32_e32 v1, v2, v6
	v_mul_f32_e32 v6, v3, v6
	s_waitcnt vmcnt(28)
	v_mul_f32_e32 v145, v4, v7
	v_mul_f32_e32 v7, v5, v7
	s_waitcnt vmcnt(27) lgkmcnt(5)
	v_mul_f32_e32 v146, v94, v8
	s_waitcnt vmcnt(26)
	v_mul_f32_e32 v147, v96, v118
	s_waitcnt vmcnt(25) lgkmcnt(4)
	v_mul_f32_e32 v148, v98, v119
	s_waitcnt vmcnt(24)
	;; [unrolled: 4-line block ×5, first 2 shown]
	v_mul_f32_e32 v155, v112, v126
	s_waitcnt vmcnt(15)
	v_fma_f32 v2, v2, v129, -v6
	v_fmac_f32_e32 v1, v3, v129
	v_mul_f32_e32 v3, v95, v8
	s_waitcnt vmcnt(14)
	v_fma_f32 v4, v4, v130, -v7
	v_fmac_f32_e32 v145, v5, v130
	v_add_f32_e32 v2, 0, v2
	v_add_f32_e32 v1, 0, v1
	v_mul_f32_e32 v5, v97, v118
	s_waitcnt vmcnt(13)
	v_fma_f32 v3, v94, v131, -v3
	v_fmac_f32_e32 v146, v95, v131
	v_add_f32_e32 v2, v2, v4
	v_add_f32_e32 v1, v1, v145
	;; [unrolled: 6-line block ×10, first 2 shown]
	s_waitcnt lgkmcnt(0)
	v_mul_f32_e32 v5, v115, v127
	s_waitcnt vmcnt(4)
	v_fma_f32 v3, v112, v140, -v3
	v_mul_f32_e32 v156, v114, v127
	v_add_f32_e32 v2, v2, v4
	v_fmac_f32_e32 v155, v113, v140
	v_add_f32_e32 v1, v1, v154
	v_mul_f32_e32 v4, v117, v128
	s_waitcnt vmcnt(3)
	v_fma_f32 v5, v114, v141, -v5
	v_add_f32_e32 v2, v2, v3
	v_mul_f32_e32 v157, v116, v128
	v_fmac_f32_e32 v156, v115, v141
	v_add_f32_e32 v1, v1, v155
	s_waitcnt vmcnt(2)
	v_fma_f32 v3, v116, v142, -v4
	v_add_f32_e32 v2, v2, v5
	v_fmac_f32_e32 v157, v117, v142
	v_add_f32_e32 v1, v1, v156
	v_add_f32_e32 v2, v2, v3
	;; [unrolled: 1-line block ×3, first 2 shown]
	s_waitcnt vmcnt(1)
	v_sub_f32_e32 v2, v143, v2
	s_waitcnt vmcnt(0)
	v_sub_f32_e32 v1, v144, v1
	buffer_store_dword v2, off, s[0:3], 0 offset:216
	buffer_store_dword v1, off, s[0:3], 0 offset:220
	v_cmpx_lt_u32_e32 26, v0
	s_cbranch_execz .LBB41_213
; %bb.212:
	s_clause 0x1
	buffer_load_dword v1, off, s[0:3], 0 offset:208
	buffer_load_dword v2, off, s[0:3], 0 offset:212
	v_mov_b32_e32 v3, 0
	buffer_store_dword v3, off, s[0:3], 0 offset:208
	buffer_store_dword v3, off, s[0:3], 0 offset:212
	s_waitcnt vmcnt(0)
	ds_write_b64 v93, v[1:2]
.LBB41_213:
	s_or_b32 exec_lo, exec_lo, s4
	s_waitcnt lgkmcnt(0)
	s_waitcnt_vscnt null, 0x0
	s_barrier
	buffer_gl0_inv
	s_clause 0x1f
	buffer_load_dword v8, off, s[0:3], 0 offset:220
	buffer_load_dword v118, off, s[0:3], 0 offset:228
	;; [unrolled: 1-line block ×32, first 2 shown]
	v_mov_b32_e32 v1, 0
	ds_read2_b64 v[2:5], v1 offset0:69 offset1:70
	ds_read2_b64 v[94:97], v1 offset0:71 offset1:72
	;; [unrolled: 1-line block ×7, first 2 shown]
	ds_read_b64 v[6:7], v1 offset:664
	s_mov_b32 s4, exec_lo
	s_waitcnt vmcnt(31) lgkmcnt(7)
	v_mul_f32_e32 v149, v2, v8
	v_mul_f32_e32 v8, v3, v8
	s_waitcnt vmcnt(30)
	v_mul_f32_e32 v150, v4, v118
	v_mul_f32_e32 v118, v5, v118
	s_waitcnt vmcnt(29) lgkmcnt(6)
	v_mul_f32_e32 v151, v94, v119
	s_waitcnt vmcnt(28)
	v_mul_f32_e32 v152, v96, v120
	s_waitcnt vmcnt(27) lgkmcnt(5)
	v_mul_f32_e32 v153, v98, v121
	s_waitcnt vmcnt(26)
	;; [unrolled: 4-line block ×6, first 2 shown]
	v_fma_f32 v2, v2, v132, -v8
	v_fmac_f32_e32 v149, v3, v132
	v_mul_f32_e32 v3, v95, v119
	s_waitcnt vmcnt(15)
	v_fma_f32 v4, v4, v133, -v118
	v_fmac_f32_e32 v150, v5, v133
	v_add_f32_e32 v2, 0, v2
	v_add_f32_e32 v5, 0, v149
	v_mul_f32_e32 v8, v97, v120
	s_waitcnt vmcnt(14)
	v_fma_f32 v3, v94, v134, -v3
	v_fmac_f32_e32 v151, v95, v134
	v_add_f32_e32 v2, v2, v4
	v_add_f32_e32 v4, v5, v150
	;; [unrolled: 6-line block ×11, first 2 shown]
	v_mul_f32_e32 v5, v117, v130
	s_waitcnt vmcnt(4)
	v_fma_f32 v8, v114, v144, -v8
	v_mul_f32_e32 v162, v116, v130
	v_add_f32_e32 v2, v2, v4
	v_fmac_f32_e32 v161, v115, v144
	v_add_f32_e32 v3, v3, v160
	s_waitcnt lgkmcnt(0)
	v_mul_f32_e32 v4, v7, v131
	s_waitcnt vmcnt(3)
	v_fma_f32 v5, v116, v145, -v5
	v_add_f32_e32 v2, v2, v8
	v_mul_f32_e32 v163, v6, v131
	v_fmac_f32_e32 v162, v117, v145
	v_add_f32_e32 v3, v3, v161
	s_waitcnt vmcnt(2)
	v_fma_f32 v4, v6, v146, -v4
	v_add_f32_e32 v2, v2, v5
	v_fmac_f32_e32 v163, v7, v146
	v_add_f32_e32 v3, v3, v162
	v_add_f32_e32 v2, v2, v4
	;; [unrolled: 1-line block ×3, first 2 shown]
	s_waitcnt vmcnt(1)
	v_sub_f32_e32 v2, v147, v2
	s_waitcnt vmcnt(0)
	v_sub_f32_e32 v3, v148, v3
	buffer_store_dword v2, off, s[0:3], 0 offset:208
	buffer_store_dword v3, off, s[0:3], 0 offset:212
	v_cmpx_lt_u32_e32 25, v0
	s_cbranch_execz .LBB41_215
; %bb.214:
	s_clause 0x1
	buffer_load_dword v2, off, s[0:3], 0 offset:200
	buffer_load_dword v3, off, s[0:3], 0 offset:204
	buffer_store_dword v1, off, s[0:3], 0 offset:200
	buffer_store_dword v1, off, s[0:3], 0 offset:204
	s_waitcnt vmcnt(0)
	ds_write_b64 v93, v[2:3]
.LBB41_215:
	s_or_b32 exec_lo, exec_lo, s4
	s_waitcnt lgkmcnt(0)
	s_waitcnt_vscnt null, 0x0
	s_barrier
	buffer_gl0_inv
	s_clause 0x21
	buffer_load_dword v6, off, s[0:3], 0 offset:212
	buffer_load_dword v7, off, s[0:3], 0 offset:220
	;; [unrolled: 1-line block ×34, first 2 shown]
	ds_read_b128 v[2:5], v1 offset:544
	ds_read_b128 v[94:97], v1 offset:560
	;; [unrolled: 1-line block ×8, first 2 shown]
	s_mov_b32 s4, exec_lo
	s_waitcnt vmcnt(33) lgkmcnt(7)
	v_mul_f32_e32 v1, v2, v6
	v_mul_f32_e32 v6, v3, v6
	s_waitcnt vmcnt(32)
	v_mul_f32_e32 v153, v4, v7
	v_mul_f32_e32 v7, v5, v7
	s_waitcnt vmcnt(31) lgkmcnt(6)
	v_mul_f32_e32 v154, v94, v8
	s_waitcnt vmcnt(30)
	v_mul_f32_e32 v155, v96, v122
	s_waitcnt vmcnt(29) lgkmcnt(5)
	v_mul_f32_e32 v156, v98, v123
	s_waitcnt vmcnt(28)
	;; [unrolled: 4-line block ×6, first 2 shown]
	v_mul_f32_e32 v165, v116, v132
	s_waitcnt vmcnt(17)
	v_fma_f32 v2, v2, v135, -v6
	v_fmac_f32_e32 v1, v3, v135
	v_mul_f32_e32 v3, v95, v8
	s_waitcnt vmcnt(16)
	v_fma_f32 v4, v4, v136, -v7
	v_fmac_f32_e32 v153, v5, v136
	v_add_f32_e32 v2, 0, v2
	v_add_f32_e32 v1, 0, v1
	v_mul_f32_e32 v5, v97, v122
	s_waitcnt vmcnt(15)
	v_fma_f32 v3, v94, v137, -v3
	v_fmac_f32_e32 v154, v95, v137
	v_add_f32_e32 v2, v2, v4
	v_add_f32_e32 v1, v1, v153
	;; [unrolled: 6-line block ×12, first 2 shown]
	s_waitcnt lgkmcnt(0)
	v_mul_f32_e32 v3, v119, v133
	s_waitcnt vmcnt(4)
	v_fma_f32 v4, v116, v148, -v4
	v_mul_f32_e32 v166, v118, v133
	v_add_f32_e32 v2, v2, v5
	v_fmac_f32_e32 v165, v117, v148
	v_add_f32_e32 v1, v1, v164
	v_mul_f32_e32 v5, v121, v134
	s_waitcnt vmcnt(3)
	v_fma_f32 v3, v118, v149, -v3
	v_add_f32_e32 v2, v2, v4
	v_mul_f32_e32 v167, v120, v134
	v_fmac_f32_e32 v166, v119, v149
	v_add_f32_e32 v1, v1, v165
	s_waitcnt vmcnt(2)
	v_fma_f32 v4, v120, v150, -v5
	v_add_f32_e32 v2, v2, v3
	v_fmac_f32_e32 v167, v121, v150
	v_add_f32_e32 v1, v1, v166
	v_add_f32_e32 v2, v2, v4
	;; [unrolled: 1-line block ×3, first 2 shown]
	s_waitcnt vmcnt(1)
	v_sub_f32_e32 v2, v151, v2
	s_waitcnt vmcnt(0)
	v_sub_f32_e32 v1, v152, v1
	buffer_store_dword v2, off, s[0:3], 0 offset:200
	buffer_store_dword v1, off, s[0:3], 0 offset:204
	v_cmpx_lt_u32_e32 24, v0
	s_cbranch_execz .LBB41_217
; %bb.216:
	s_clause 0x1
	buffer_load_dword v1, off, s[0:3], 0 offset:192
	buffer_load_dword v2, off, s[0:3], 0 offset:196
	v_mov_b32_e32 v3, 0
	buffer_store_dword v3, off, s[0:3], 0 offset:192
	buffer_store_dword v3, off, s[0:3], 0 offset:196
	s_waitcnt vmcnt(0)
	ds_write_b64 v93, v[1:2]
.LBB41_217:
	s_or_b32 exec_lo, exec_lo, s4
	s_waitcnt lgkmcnt(0)
	s_waitcnt_vscnt null, 0x0
	s_barrier
	buffer_gl0_inv
	s_clause 0x23
	buffer_load_dword v8, off, s[0:3], 0 offset:204
	buffer_load_dword v122, off, s[0:3], 0 offset:212
	;; [unrolled: 1-line block ×36, first 2 shown]
	v_mov_b32_e32 v1, 0
	ds_read2_b64 v[2:5], v1 offset0:67 offset1:68
	ds_read2_b64 v[94:97], v1 offset0:69 offset1:70
	;; [unrolled: 1-line block ×8, first 2 shown]
	ds_read_b64 v[6:7], v1 offset:664
	s_mov_b32 s4, exec_lo
	s_waitcnt vmcnt(35) lgkmcnt(8)
	v_mul_f32_e32 v157, v2, v8
	v_mul_f32_e32 v8, v3, v8
	s_waitcnt vmcnt(34)
	v_mul_f32_e32 v158, v4, v122
	v_mul_f32_e32 v122, v5, v122
	s_waitcnt vmcnt(33) lgkmcnt(7)
	v_mul_f32_e32 v159, v94, v123
	s_waitcnt vmcnt(32)
	v_mul_f32_e32 v160, v96, v124
	s_waitcnt vmcnt(31) lgkmcnt(6)
	v_mul_f32_e32 v161, v98, v125
	s_waitcnt vmcnt(30)
	;; [unrolled: 4-line block ×7, first 2 shown]
	v_fma_f32 v2, v2, v138, -v8
	v_fmac_f32_e32 v157, v3, v138
	v_mul_f32_e32 v3, v95, v123
	s_waitcnt vmcnt(17)
	v_fma_f32 v4, v4, v139, -v122
	v_fmac_f32_e32 v158, v5, v139
	v_add_f32_e32 v2, 0, v2
	v_add_f32_e32 v5, 0, v157
	v_mul_f32_e32 v8, v97, v124
	s_waitcnt vmcnt(16)
	v_fma_f32 v3, v94, v140, -v3
	v_fmac_f32_e32 v159, v95, v140
	v_add_f32_e32 v2, v2, v4
	v_add_f32_e32 v4, v5, v158
	;; [unrolled: 6-line block ×13, first 2 shown]
	v_mul_f32_e32 v8, v121, v136
	s_waitcnt vmcnt(4)
	v_fma_f32 v4, v118, v152, -v4
	v_mul_f32_e32 v172, v120, v136
	v_add_f32_e32 v2, v2, v5
	v_fmac_f32_e32 v171, v119, v152
	v_add_f32_e32 v3, v3, v170
	s_waitcnt lgkmcnt(0)
	v_mul_f32_e32 v5, v7, v137
	s_waitcnt vmcnt(3)
	v_fma_f32 v8, v120, v153, -v8
	v_add_f32_e32 v2, v2, v4
	v_mul_f32_e32 v173, v6, v137
	v_fmac_f32_e32 v172, v121, v153
	v_add_f32_e32 v3, v3, v171
	s_waitcnt vmcnt(2)
	v_fma_f32 v4, v6, v154, -v5
	v_add_f32_e32 v2, v2, v8
	v_fmac_f32_e32 v173, v7, v154
	v_add_f32_e32 v3, v3, v172
	v_add_f32_e32 v2, v2, v4
	;; [unrolled: 1-line block ×3, first 2 shown]
	s_waitcnt vmcnt(1)
	v_sub_f32_e32 v2, v155, v2
	s_waitcnt vmcnt(0)
	v_sub_f32_e32 v3, v156, v3
	buffer_store_dword v2, off, s[0:3], 0 offset:192
	buffer_store_dword v3, off, s[0:3], 0 offset:196
	v_cmpx_lt_u32_e32 23, v0
	s_cbranch_execz .LBB41_219
; %bb.218:
	s_clause 0x1
	buffer_load_dword v2, off, s[0:3], 0 offset:184
	buffer_load_dword v3, off, s[0:3], 0 offset:188
	buffer_store_dword v1, off, s[0:3], 0 offset:184
	buffer_store_dword v1, off, s[0:3], 0 offset:188
	s_waitcnt vmcnt(0)
	ds_write_b64 v93, v[2:3]
.LBB41_219:
	s_or_b32 exec_lo, exec_lo, s4
	s_waitcnt lgkmcnt(0)
	s_waitcnt_vscnt null, 0x0
	s_barrier
	buffer_gl0_inv
	s_clause 0x25
	buffer_load_dword v6, off, s[0:3], 0 offset:196
	buffer_load_dword v7, off, s[0:3], 0 offset:204
	;; [unrolled: 1-line block ×38, first 2 shown]
	ds_read_b128 v[2:5], v1 offset:528
	ds_read_b128 v[94:97], v1 offset:544
	;; [unrolled: 1-line block ×9, first 2 shown]
	s_mov_b32 s4, exec_lo
	s_waitcnt vmcnt(37) lgkmcnt(8)
	v_mul_f32_e32 v1, v2, v6
	v_mul_f32_e32 v6, v3, v6
	s_waitcnt vmcnt(36)
	v_mul_f32_e32 v161, v4, v7
	v_mul_f32_e32 v7, v5, v7
	s_waitcnt vmcnt(35) lgkmcnt(7)
	v_mul_f32_e32 v162, v94, v8
	s_waitcnt vmcnt(34)
	v_mul_f32_e32 v163, v96, v126
	s_waitcnt vmcnt(33) lgkmcnt(6)
	v_mul_f32_e32 v164, v98, v127
	s_waitcnt vmcnt(32)
	;; [unrolled: 4-line block ×7, first 2 shown]
	v_mul_f32_e32 v175, v120, v138
	s_waitcnt vmcnt(19)
	v_fma_f32 v2, v2, v141, -v6
	v_fmac_f32_e32 v1, v3, v141
	v_mul_f32_e32 v3, v95, v8
	s_waitcnt vmcnt(18)
	v_fma_f32 v4, v4, v142, -v7
	v_fmac_f32_e32 v161, v5, v142
	v_add_f32_e32 v2, 0, v2
	v_add_f32_e32 v1, 0, v1
	v_mul_f32_e32 v5, v97, v126
	s_waitcnt vmcnt(17)
	v_fma_f32 v3, v94, v143, -v3
	v_fmac_f32_e32 v162, v95, v143
	v_add_f32_e32 v2, v2, v4
	v_add_f32_e32 v1, v1, v161
	;; [unrolled: 6-line block ×14, first 2 shown]
	s_waitcnt lgkmcnt(0)
	v_mul_f32_e32 v4, v123, v139
	s_waitcnt vmcnt(4)
	v_fma_f32 v5, v120, v156, -v5
	v_mul_f32_e32 v176, v122, v139
	v_add_f32_e32 v2, v2, v3
	v_fmac_f32_e32 v175, v121, v156
	v_add_f32_e32 v1, v1, v174
	v_mul_f32_e32 v3, v125, v140
	s_waitcnt vmcnt(3)
	v_fma_f32 v4, v122, v157, -v4
	v_add_f32_e32 v2, v2, v5
	v_mul_f32_e32 v177, v124, v140
	v_fmac_f32_e32 v176, v123, v157
	v_add_f32_e32 v1, v1, v175
	s_waitcnt vmcnt(2)
	v_fma_f32 v3, v124, v158, -v3
	v_add_f32_e32 v2, v2, v4
	v_fmac_f32_e32 v177, v125, v158
	v_add_f32_e32 v1, v1, v176
	v_add_f32_e32 v2, v2, v3
	v_add_f32_e32 v1, v1, v177
	s_waitcnt vmcnt(1)
	v_sub_f32_e32 v2, v159, v2
	s_waitcnt vmcnt(0)
	v_sub_f32_e32 v1, v160, v1
	buffer_store_dword v2, off, s[0:3], 0 offset:184
	buffer_store_dword v1, off, s[0:3], 0 offset:188
	v_cmpx_lt_u32_e32 22, v0
	s_cbranch_execz .LBB41_221
; %bb.220:
	s_clause 0x1
	buffer_load_dword v1, off, s[0:3], 0 offset:176
	buffer_load_dword v2, off, s[0:3], 0 offset:180
	v_mov_b32_e32 v3, 0
	buffer_store_dword v3, off, s[0:3], 0 offset:176
	buffer_store_dword v3, off, s[0:3], 0 offset:180
	s_waitcnt vmcnt(0)
	ds_write_b64 v93, v[1:2]
.LBB41_221:
	s_or_b32 exec_lo, exec_lo, s4
	s_waitcnt lgkmcnt(0)
	s_waitcnt_vscnt null, 0x0
	s_barrier
	buffer_gl0_inv
	s_clause 0x27
	buffer_load_dword v8, off, s[0:3], 0 offset:188
	buffer_load_dword v126, off, s[0:3], 0 offset:196
	;; [unrolled: 1-line block ×40, first 2 shown]
	v_mov_b32_e32 v1, 0
	ds_read2_b64 v[2:5], v1 offset0:65 offset1:66
	ds_read2_b64 v[94:97], v1 offset0:67 offset1:68
	;; [unrolled: 1-line block ×9, first 2 shown]
	ds_read_b64 v[6:7], v1 offset:664
	s_mov_b32 s4, exec_lo
	s_waitcnt vmcnt(39) lgkmcnt(9)
	v_mul_f32_e32 v165, v2, v8
	v_mul_f32_e32 v8, v3, v8
	s_waitcnt vmcnt(38)
	v_mul_f32_e32 v166, v4, v126
	v_mul_f32_e32 v126, v5, v126
	s_waitcnt vmcnt(37) lgkmcnt(8)
	v_mul_f32_e32 v167, v94, v127
	s_waitcnt vmcnt(36)
	v_mul_f32_e32 v168, v96, v128
	s_waitcnt vmcnt(35) lgkmcnt(7)
	v_mul_f32_e32 v169, v98, v129
	s_waitcnt vmcnt(34)
	;; [unrolled: 4-line block ×8, first 2 shown]
	v_fma_f32 v2, v2, v144, -v8
	v_fmac_f32_e32 v165, v3, v144
	v_mul_f32_e32 v3, v95, v127
	s_waitcnt vmcnt(19)
	v_fma_f32 v4, v4, v145, -v126
	v_fmac_f32_e32 v166, v5, v145
	v_add_f32_e32 v2, 0, v2
	v_add_f32_e32 v5, 0, v165
	v_mul_f32_e32 v8, v97, v128
	s_waitcnt vmcnt(18)
	v_fma_f32 v3, v94, v146, -v3
	v_fmac_f32_e32 v167, v95, v146
	v_add_f32_e32 v2, v2, v4
	v_add_f32_e32 v4, v5, v166
	;; [unrolled: 6-line block ×15, first 2 shown]
	v_mul_f32_e32 v4, v125, v142
	s_waitcnt vmcnt(4)
	v_fma_f32 v5, v122, v160, -v5
	v_mul_f32_e32 v182, v124, v142
	v_add_f32_e32 v2, v2, v8
	v_fmac_f32_e32 v181, v123, v160
	v_add_f32_e32 v3, v3, v180
	s_waitcnt lgkmcnt(0)
	v_mul_f32_e32 v8, v7, v143
	s_waitcnt vmcnt(3)
	v_fma_f32 v4, v124, v161, -v4
	v_add_f32_e32 v2, v2, v5
	v_mul_f32_e32 v183, v6, v143
	v_fmac_f32_e32 v182, v125, v161
	v_add_f32_e32 v3, v3, v181
	s_waitcnt vmcnt(2)
	v_fma_f32 v5, v6, v162, -v8
	v_add_f32_e32 v2, v2, v4
	v_fmac_f32_e32 v183, v7, v162
	v_add_f32_e32 v3, v3, v182
	v_add_f32_e32 v2, v2, v5
	;; [unrolled: 1-line block ×3, first 2 shown]
	s_waitcnt vmcnt(1)
	v_sub_f32_e32 v2, v163, v2
	s_waitcnt vmcnt(0)
	v_sub_f32_e32 v3, v164, v3
	buffer_store_dword v2, off, s[0:3], 0 offset:176
	buffer_store_dword v3, off, s[0:3], 0 offset:180
	v_cmpx_lt_u32_e32 21, v0
	s_cbranch_execz .LBB41_223
; %bb.222:
	s_clause 0x1
	buffer_load_dword v2, off, s[0:3], 0 offset:168
	buffer_load_dword v3, off, s[0:3], 0 offset:172
	buffer_store_dword v1, off, s[0:3], 0 offset:168
	buffer_store_dword v1, off, s[0:3], 0 offset:172
	s_waitcnt vmcnt(0)
	ds_write_b64 v93, v[2:3]
.LBB41_223:
	s_or_b32 exec_lo, exec_lo, s4
	s_waitcnt lgkmcnt(0)
	s_waitcnt_vscnt null, 0x0
	s_barrier
	buffer_gl0_inv
	s_clause 0x29
	buffer_load_dword v6, off, s[0:3], 0 offset:180
	buffer_load_dword v7, off, s[0:3], 0 offset:188
	;; [unrolled: 1-line block ×42, first 2 shown]
	ds_read_b128 v[2:5], v1 offset:512
	ds_read_b128 v[94:97], v1 offset:528
	;; [unrolled: 1-line block ×10, first 2 shown]
	s_mov_b32 s4, exec_lo
	s_waitcnt vmcnt(41) lgkmcnt(9)
	v_mul_f32_e32 v1, v2, v6
	v_mul_f32_e32 v6, v3, v6
	s_waitcnt vmcnt(40)
	v_mul_f32_e32 v169, v4, v7
	v_mul_f32_e32 v7, v5, v7
	s_waitcnt vmcnt(39) lgkmcnt(8)
	v_mul_f32_e32 v170, v94, v8
	s_waitcnt vmcnt(38)
	v_mul_f32_e32 v171, v96, v130
	s_waitcnt vmcnt(37) lgkmcnt(7)
	v_mul_f32_e32 v172, v98, v131
	s_waitcnt vmcnt(36)
	;; [unrolled: 4-line block ×8, first 2 shown]
	v_mul_f32_e32 v185, v124, v144
	s_waitcnt vmcnt(21)
	v_fma_f32 v2, v2, v147, -v6
	v_fmac_f32_e32 v1, v3, v147
	v_mul_f32_e32 v3, v95, v8
	s_waitcnt vmcnt(20)
	v_fma_f32 v4, v4, v148, -v7
	v_fmac_f32_e32 v169, v5, v148
	v_add_f32_e32 v2, 0, v2
	v_add_f32_e32 v1, 0, v1
	v_mul_f32_e32 v5, v97, v130
	s_waitcnt vmcnt(19)
	v_fma_f32 v3, v94, v149, -v3
	v_fmac_f32_e32 v170, v95, v149
	v_add_f32_e32 v2, v2, v4
	v_add_f32_e32 v1, v1, v169
	;; [unrolled: 6-line block ×16, first 2 shown]
	s_waitcnt lgkmcnt(0)
	v_mul_f32_e32 v5, v127, v145
	s_waitcnt vmcnt(4)
	v_fma_f32 v3, v124, v164, -v3
	v_mul_f32_e32 v186, v126, v145
	v_add_f32_e32 v2, v2, v4
	v_fmac_f32_e32 v185, v125, v164
	v_add_f32_e32 v1, v1, v184
	v_mul_f32_e32 v4, v129, v146
	s_waitcnt vmcnt(3)
	v_fma_f32 v5, v126, v165, -v5
	v_add_f32_e32 v2, v2, v3
	v_mul_f32_e32 v187, v128, v146
	v_fmac_f32_e32 v186, v127, v165
	v_add_f32_e32 v1, v1, v185
	s_waitcnt vmcnt(2)
	v_fma_f32 v3, v128, v166, -v4
	v_add_f32_e32 v2, v2, v5
	v_fmac_f32_e32 v187, v129, v166
	v_add_f32_e32 v1, v1, v186
	v_add_f32_e32 v2, v2, v3
	;; [unrolled: 1-line block ×3, first 2 shown]
	s_waitcnt vmcnt(1)
	v_sub_f32_e32 v2, v167, v2
	s_waitcnt vmcnt(0)
	v_sub_f32_e32 v1, v168, v1
	buffer_store_dword v2, off, s[0:3], 0 offset:168
	buffer_store_dword v1, off, s[0:3], 0 offset:172
	v_cmpx_lt_u32_e32 20, v0
	s_cbranch_execz .LBB41_225
; %bb.224:
	s_clause 0x1
	buffer_load_dword v1, off, s[0:3], 0 offset:160
	buffer_load_dword v2, off, s[0:3], 0 offset:164
	v_mov_b32_e32 v3, 0
	buffer_store_dword v3, off, s[0:3], 0 offset:160
	buffer_store_dword v3, off, s[0:3], 0 offset:164
	s_waitcnt vmcnt(0)
	ds_write_b64 v93, v[1:2]
.LBB41_225:
	s_or_b32 exec_lo, exec_lo, s4
	s_waitcnt lgkmcnt(0)
	s_waitcnt_vscnt null, 0x0
	s_barrier
	buffer_gl0_inv
	s_clause 0x2b
	buffer_load_dword v8, off, s[0:3], 0 offset:172
	buffer_load_dword v130, off, s[0:3], 0 offset:180
	;; [unrolled: 1-line block ×44, first 2 shown]
	v_mov_b32_e32 v1, 0
	ds_read2_b64 v[2:5], v1 offset0:63 offset1:64
	ds_read2_b64 v[94:97], v1 offset0:65 offset1:66
	;; [unrolled: 1-line block ×10, first 2 shown]
	ds_read_b64 v[6:7], v1 offset:664
	s_mov_b32 s4, exec_lo
	s_waitcnt vmcnt(43) lgkmcnt(10)
	v_mul_f32_e32 v173, v2, v8
	v_mul_f32_e32 v8, v3, v8
	s_waitcnt vmcnt(42)
	v_mul_f32_e32 v174, v4, v130
	v_mul_f32_e32 v130, v5, v130
	s_waitcnt vmcnt(41) lgkmcnt(9)
	v_mul_f32_e32 v175, v94, v131
	s_waitcnt vmcnt(40)
	v_mul_f32_e32 v176, v96, v132
	s_waitcnt vmcnt(39) lgkmcnt(8)
	v_mul_f32_e32 v177, v98, v133
	s_waitcnt vmcnt(38)
	;; [unrolled: 4-line block ×9, first 2 shown]
	v_fma_f32 v2, v2, v150, -v8
	v_fmac_f32_e32 v173, v3, v150
	v_mul_f32_e32 v3, v95, v131
	s_waitcnt vmcnt(21)
	v_fma_f32 v4, v4, v151, -v130
	v_fmac_f32_e32 v174, v5, v151
	v_add_f32_e32 v2, 0, v2
	v_add_f32_e32 v5, 0, v173
	v_mul_f32_e32 v8, v97, v132
	s_waitcnt vmcnt(20)
	v_fma_f32 v3, v94, v152, -v3
	v_fmac_f32_e32 v175, v95, v152
	v_add_f32_e32 v2, v2, v4
	v_add_f32_e32 v4, v5, v174
	;; [unrolled: 6-line block ×17, first 2 shown]
	v_mul_f32_e32 v5, v129, v148
	s_waitcnt vmcnt(4)
	v_fma_f32 v8, v126, v168, -v8
	v_mul_f32_e32 v192, v128, v148
	v_add_f32_e32 v2, v2, v4
	v_fmac_f32_e32 v191, v127, v168
	v_add_f32_e32 v3, v3, v190
	s_waitcnt lgkmcnt(0)
	v_mul_f32_e32 v4, v7, v149
	s_waitcnt vmcnt(3)
	v_fma_f32 v5, v128, v169, -v5
	v_add_f32_e32 v2, v2, v8
	v_mul_f32_e32 v193, v6, v149
	v_fmac_f32_e32 v192, v129, v169
	v_add_f32_e32 v3, v3, v191
	s_waitcnt vmcnt(2)
	v_fma_f32 v4, v6, v170, -v4
	v_add_f32_e32 v2, v2, v5
	v_fmac_f32_e32 v193, v7, v170
	v_add_f32_e32 v3, v3, v192
	v_add_f32_e32 v2, v2, v4
	;; [unrolled: 1-line block ×3, first 2 shown]
	s_waitcnt vmcnt(1)
	v_sub_f32_e32 v2, v171, v2
	s_waitcnt vmcnt(0)
	v_sub_f32_e32 v3, v172, v3
	buffer_store_dword v2, off, s[0:3], 0 offset:160
	buffer_store_dword v3, off, s[0:3], 0 offset:164
	v_cmpx_lt_u32_e32 19, v0
	s_cbranch_execz .LBB41_227
; %bb.226:
	s_clause 0x1
	buffer_load_dword v2, off, s[0:3], 0 offset:152
	buffer_load_dword v3, off, s[0:3], 0 offset:156
	buffer_store_dword v1, off, s[0:3], 0 offset:152
	buffer_store_dword v1, off, s[0:3], 0 offset:156
	s_waitcnt vmcnt(0)
	ds_write_b64 v93, v[2:3]
.LBB41_227:
	s_or_b32 exec_lo, exec_lo, s4
	s_waitcnt lgkmcnt(0)
	s_waitcnt_vscnt null, 0x0
	s_barrier
	buffer_gl0_inv
	s_clause 0x2d
	buffer_load_dword v6, off, s[0:3], 0 offset:164
	buffer_load_dword v7, off, s[0:3], 0 offset:172
	;; [unrolled: 1-line block ×46, first 2 shown]
	ds_read_b128 v[2:5], v1 offset:496
	ds_read_b128 v[94:97], v1 offset:512
	;; [unrolled: 1-line block ×11, first 2 shown]
	s_mov_b32 s4, exec_lo
	s_waitcnt vmcnt(45) lgkmcnt(10)
	v_mul_f32_e32 v1, v2, v6
	v_mul_f32_e32 v6, v3, v6
	s_waitcnt vmcnt(44)
	v_mul_f32_e32 v177, v4, v7
	v_mul_f32_e32 v7, v5, v7
	s_waitcnt vmcnt(43) lgkmcnt(9)
	v_mul_f32_e32 v178, v94, v8
	s_waitcnt vmcnt(42)
	v_mul_f32_e32 v179, v96, v134
	s_waitcnt vmcnt(41) lgkmcnt(8)
	v_mul_f32_e32 v180, v98, v135
	s_waitcnt vmcnt(40)
	;; [unrolled: 4-line block ×9, first 2 shown]
	v_mul_f32_e32 v195, v128, v150
	s_waitcnt vmcnt(23)
	v_fma_f32 v2, v2, v153, -v6
	v_fmac_f32_e32 v1, v3, v153
	v_mul_f32_e32 v3, v95, v8
	s_waitcnt vmcnt(22)
	v_fma_f32 v4, v4, v154, -v7
	v_fmac_f32_e32 v177, v5, v154
	v_add_f32_e32 v2, 0, v2
	v_add_f32_e32 v1, 0, v1
	v_mul_f32_e32 v5, v97, v134
	s_waitcnt vmcnt(21)
	v_fma_f32 v3, v94, v155, -v3
	v_fmac_f32_e32 v178, v95, v155
	v_add_f32_e32 v2, v2, v4
	v_add_f32_e32 v1, v1, v177
	;; [unrolled: 6-line block ×18, first 2 shown]
	s_waitcnt lgkmcnt(0)
	v_mul_f32_e32 v3, v131, v151
	s_waitcnt vmcnt(4)
	v_fma_f32 v4, v128, v172, -v4
	v_mul_f32_e32 v196, v130, v151
	v_add_f32_e32 v2, v2, v5
	v_fmac_f32_e32 v195, v129, v172
	v_add_f32_e32 v1, v1, v194
	v_mul_f32_e32 v5, v133, v152
	s_waitcnt vmcnt(3)
	v_fma_f32 v3, v130, v173, -v3
	v_add_f32_e32 v2, v2, v4
	v_mul_f32_e32 v197, v132, v152
	v_fmac_f32_e32 v196, v131, v173
	v_add_f32_e32 v1, v1, v195
	s_waitcnt vmcnt(2)
	v_fma_f32 v4, v132, v174, -v5
	v_add_f32_e32 v2, v2, v3
	v_fmac_f32_e32 v197, v133, v174
	v_add_f32_e32 v1, v1, v196
	v_add_f32_e32 v2, v2, v4
	;; [unrolled: 1-line block ×3, first 2 shown]
	s_waitcnt vmcnt(1)
	v_sub_f32_e32 v2, v175, v2
	s_waitcnt vmcnt(0)
	v_sub_f32_e32 v1, v176, v1
	buffer_store_dword v2, off, s[0:3], 0 offset:152
	buffer_store_dword v1, off, s[0:3], 0 offset:156
	v_cmpx_lt_u32_e32 18, v0
	s_cbranch_execz .LBB41_229
; %bb.228:
	s_clause 0x1
	buffer_load_dword v1, off, s[0:3], 0 offset:144
	buffer_load_dword v2, off, s[0:3], 0 offset:148
	v_mov_b32_e32 v3, 0
	buffer_store_dword v3, off, s[0:3], 0 offset:144
	buffer_store_dword v3, off, s[0:3], 0 offset:148
	s_waitcnt vmcnt(0)
	ds_write_b64 v93, v[1:2]
.LBB41_229:
	s_or_b32 exec_lo, exec_lo, s4
	s_waitcnt lgkmcnt(0)
	s_waitcnt_vscnt null, 0x0
	s_barrier
	buffer_gl0_inv
	s_clause 0x2f
	buffer_load_dword v8, off, s[0:3], 0 offset:156
	buffer_load_dword v134, off, s[0:3], 0 offset:164
	;; [unrolled: 1-line block ×48, first 2 shown]
	v_mov_b32_e32 v1, 0
	ds_read2_b64 v[2:5], v1 offset0:61 offset1:62
	ds_read2_b64 v[94:97], v1 offset0:63 offset1:64
	;; [unrolled: 1-line block ×11, first 2 shown]
	ds_read_b64 v[6:7], v1 offset:664
	s_mov_b32 s4, exec_lo
	s_waitcnt vmcnt(47) lgkmcnt(11)
	v_mul_f32_e32 v181, v2, v8
	v_mul_f32_e32 v8, v3, v8
	s_waitcnt vmcnt(46)
	v_mul_f32_e32 v182, v4, v134
	v_mul_f32_e32 v134, v5, v134
	s_waitcnt vmcnt(45) lgkmcnt(10)
	v_mul_f32_e32 v183, v94, v135
	s_waitcnt vmcnt(44)
	v_mul_f32_e32 v184, v96, v136
	s_waitcnt vmcnt(43) lgkmcnt(9)
	v_mul_f32_e32 v185, v98, v137
	s_waitcnt vmcnt(42)
	v_mul_f32_e32 v186, v100, v138
	s_waitcnt vmcnt(41) lgkmcnt(8)
	v_mul_f32_e32 v187, v102, v139
	s_waitcnt vmcnt(40)
	v_mul_f32_e32 v188, v104, v140
	s_waitcnt vmcnt(39) lgkmcnt(7)
	v_mul_f32_e32 v189, v106, v141
	s_waitcnt vmcnt(38)
	v_mul_f32_e32 v190, v108, v142
	s_waitcnt vmcnt(37) lgkmcnt(6)
	v_mul_f32_e32 v191, v110, v143
	s_waitcnt vmcnt(36)
	v_mul_f32_e32 v192, v112, v144
	s_waitcnt vmcnt(35) lgkmcnt(5)
	v_mul_f32_e32 v193, v114, v145
	s_waitcnt vmcnt(34)
	v_mul_f32_e32 v194, v116, v146
	s_waitcnt vmcnt(33) lgkmcnt(4)
	v_mul_f32_e32 v195, v118, v147
	s_waitcnt vmcnt(32)
	v_mul_f32_e32 v196, v120, v148
	s_waitcnt vmcnt(31) lgkmcnt(3)
	v_mul_f32_e32 v197, v122, v149
	s_waitcnt vmcnt(30)
	v_mul_f32_e32 v198, v124, v150
	s_waitcnt vmcnt(29) lgkmcnt(2)
	v_mul_f32_e32 v199, v126, v151
	s_waitcnt vmcnt(28)
	v_mul_f32_e32 v200, v128, v152
	s_waitcnt vmcnt(27) lgkmcnt(1)
	v_mul_f32_e32 v201, v130, v153
	s_waitcnt vmcnt(24)
	v_fma_f32 v2, v2, v156, -v8
	v_fmac_f32_e32 v181, v3, v156
	v_mul_f32_e32 v3, v95, v135
	s_waitcnt vmcnt(23)
	v_fma_f32 v4, v4, v157, -v134
	v_fmac_f32_e32 v182, v5, v157
	v_add_f32_e32 v2, 0, v2
	v_add_f32_e32 v5, 0, v181
	v_mul_f32_e32 v8, v97, v136
	s_waitcnt vmcnt(22)
	v_fma_f32 v3, v94, v158, -v3
	v_fmac_f32_e32 v183, v95, v158
	v_add_f32_e32 v2, v2, v4
	v_add_f32_e32 v4, v5, v182
	v_mul_f32_e32 v5, v99, v137
	s_waitcnt vmcnt(21)
	v_fma_f32 v8, v96, v159, -v8
	v_fmac_f32_e32 v184, v97, v159
	v_add_f32_e32 v2, v2, v3
	v_add_f32_e32 v3, v4, v183
	v_mul_f32_e32 v4, v101, v138
	s_waitcnt vmcnt(20)
	v_fma_f32 v5, v98, v160, -v5
	v_fmac_f32_e32 v185, v99, v160
	v_add_f32_e32 v2, v2, v8
	v_add_f32_e32 v3, v3, v184
	v_mul_f32_e32 v8, v103, v139
	s_waitcnt vmcnt(19)
	v_fma_f32 v4, v100, v161, -v4
	v_fmac_f32_e32 v186, v101, v161
	v_add_f32_e32 v2, v2, v5
	v_add_f32_e32 v3, v3, v185
	v_mul_f32_e32 v5, v105, v140
	s_waitcnt vmcnt(18)
	v_fma_f32 v8, v102, v162, -v8
	v_fmac_f32_e32 v187, v103, v162
	v_add_f32_e32 v2, v2, v4
	v_add_f32_e32 v3, v3, v186
	v_mul_f32_e32 v4, v107, v141
	s_waitcnt vmcnt(17)
	v_fma_f32 v5, v104, v163, -v5
	v_fmac_f32_e32 v188, v105, v163
	v_add_f32_e32 v2, v2, v8
	v_add_f32_e32 v3, v3, v187
	v_mul_f32_e32 v8, v109, v142
	s_waitcnt vmcnt(16)
	v_fma_f32 v4, v106, v164, -v4
	v_fmac_f32_e32 v189, v107, v164
	v_add_f32_e32 v2, v2, v5
	v_add_f32_e32 v3, v3, v188
	v_mul_f32_e32 v5, v111, v143
	s_waitcnt vmcnt(15)
	v_fma_f32 v8, v108, v165, -v8
	v_fmac_f32_e32 v190, v109, v165
	v_add_f32_e32 v2, v2, v4
	v_add_f32_e32 v3, v3, v189
	v_mul_f32_e32 v4, v113, v144
	s_waitcnt vmcnt(14)
	v_fma_f32 v5, v110, v166, -v5
	v_fmac_f32_e32 v191, v111, v166
	v_add_f32_e32 v2, v2, v8
	v_add_f32_e32 v3, v3, v190
	v_mul_f32_e32 v8, v115, v145
	s_waitcnt vmcnt(13)
	v_fma_f32 v4, v112, v167, -v4
	v_fmac_f32_e32 v192, v113, v167
	v_add_f32_e32 v2, v2, v5
	v_add_f32_e32 v3, v3, v191
	v_mul_f32_e32 v5, v117, v146
	s_waitcnt vmcnt(12)
	v_fma_f32 v8, v114, v168, -v8
	v_fmac_f32_e32 v193, v115, v168
	v_add_f32_e32 v2, v2, v4
	v_add_f32_e32 v3, v3, v192
	v_mul_f32_e32 v4, v119, v147
	s_waitcnt vmcnt(11)
	v_fma_f32 v5, v116, v169, -v5
	v_fmac_f32_e32 v194, v117, v169
	v_add_f32_e32 v2, v2, v8
	v_add_f32_e32 v3, v3, v193
	v_mul_f32_e32 v8, v121, v148
	s_waitcnt vmcnt(10)
	v_fma_f32 v4, v118, v170, -v4
	v_fmac_f32_e32 v195, v119, v170
	v_add_f32_e32 v2, v2, v5
	v_add_f32_e32 v3, v3, v194
	v_mul_f32_e32 v5, v123, v149
	s_waitcnt vmcnt(9)
	v_fma_f32 v8, v120, v171, -v8
	v_fmac_f32_e32 v196, v121, v171
	v_add_f32_e32 v2, v2, v4
	v_add_f32_e32 v3, v3, v195
	v_mul_f32_e32 v4, v125, v150
	s_waitcnt vmcnt(8)
	v_fma_f32 v5, v122, v172, -v5
	v_fmac_f32_e32 v197, v123, v172
	v_add_f32_e32 v2, v2, v8
	v_add_f32_e32 v3, v3, v196
	v_mul_f32_e32 v8, v127, v151
	s_waitcnt vmcnt(7)
	v_fma_f32 v4, v124, v173, -v4
	v_fmac_f32_e32 v198, v125, v173
	v_add_f32_e32 v2, v2, v5
	v_add_f32_e32 v3, v3, v197
	v_mul_f32_e32 v5, v129, v152
	s_waitcnt vmcnt(6)
	v_fma_f32 v8, v126, v174, -v8
	v_fmac_f32_e32 v199, v127, v174
	v_add_f32_e32 v2, v2, v4
	v_add_f32_e32 v3, v3, v198
	v_mul_f32_e32 v4, v131, v153
	s_waitcnt vmcnt(5)
	v_fma_f32 v5, v128, v175, -v5
	v_fmac_f32_e32 v200, v129, v175
	v_add_f32_e32 v2, v2, v8
	v_add_f32_e32 v3, v3, v199
	v_mul_f32_e32 v8, v133, v154
	s_waitcnt vmcnt(4)
	v_fma_f32 v4, v130, v176, -v4
	v_mul_f32_e32 v202, v132, v154
	v_add_f32_e32 v2, v2, v5
	v_fmac_f32_e32 v201, v131, v176
	v_add_f32_e32 v3, v3, v200
	s_waitcnt lgkmcnt(0)
	v_mul_f32_e32 v5, v7, v155
	s_waitcnt vmcnt(3)
	v_fma_f32 v8, v132, v177, -v8
	v_add_f32_e32 v2, v2, v4
	v_mul_f32_e32 v203, v6, v155
	v_fmac_f32_e32 v202, v133, v177
	v_add_f32_e32 v3, v3, v201
	s_waitcnt vmcnt(2)
	v_fma_f32 v4, v6, v178, -v5
	v_add_f32_e32 v2, v2, v8
	v_fmac_f32_e32 v203, v7, v178
	v_add_f32_e32 v3, v3, v202
	v_add_f32_e32 v2, v2, v4
	;; [unrolled: 1-line block ×3, first 2 shown]
	s_waitcnt vmcnt(1)
	v_sub_f32_e32 v2, v179, v2
	s_waitcnt vmcnt(0)
	v_sub_f32_e32 v3, v180, v3
	buffer_store_dword v2, off, s[0:3], 0 offset:144
	buffer_store_dword v3, off, s[0:3], 0 offset:148
	v_cmpx_lt_u32_e32 17, v0
	s_cbranch_execz .LBB41_231
; %bb.230:
	s_clause 0x1
	buffer_load_dword v2, off, s[0:3], 0 offset:136
	buffer_load_dword v3, off, s[0:3], 0 offset:140
	buffer_store_dword v1, off, s[0:3], 0 offset:136
	buffer_store_dword v1, off, s[0:3], 0 offset:140
	s_waitcnt vmcnt(0)
	ds_write_b64 v93, v[2:3]
.LBB41_231:
	s_or_b32 exec_lo, exec_lo, s4
	s_waitcnt lgkmcnt(0)
	s_waitcnt_vscnt null, 0x0
	s_barrier
	buffer_gl0_inv
	s_clause 0x31
	buffer_load_dword v6, off, s[0:3], 0 offset:148
	buffer_load_dword v7, off, s[0:3], 0 offset:156
	;; [unrolled: 1-line block ×50, first 2 shown]
	ds_read_b128 v[2:5], v1 offset:480
	ds_read_b128 v[94:97], v1 offset:496
	;; [unrolled: 1-line block ×12, first 2 shown]
	s_mov_b32 s4, exec_lo
	s_waitcnt vmcnt(49) lgkmcnt(11)
	v_mul_f32_e32 v1, v2, v6
	v_mul_f32_e32 v6, v3, v6
	s_waitcnt vmcnt(48)
	v_mul_f32_e32 v185, v4, v7
	v_mul_f32_e32 v7, v5, v7
	s_waitcnt vmcnt(47) lgkmcnt(10)
	v_mul_f32_e32 v186, v94, v8
	s_waitcnt vmcnt(46)
	v_mul_f32_e32 v187, v96, v138
	s_waitcnt vmcnt(45) lgkmcnt(9)
	v_mul_f32_e32 v188, v98, v139
	s_waitcnt vmcnt(44)
	;; [unrolled: 4-line block ×10, first 2 shown]
	v_mul_f32_e32 v205, v132, v156
	s_waitcnt vmcnt(25)
	v_fma_f32 v2, v2, v159, -v6
	v_fmac_f32_e32 v1, v3, v159
	v_mul_f32_e32 v3, v95, v8
	s_waitcnt vmcnt(24)
	v_fma_f32 v4, v4, v160, -v7
	v_fmac_f32_e32 v185, v5, v160
	v_add_f32_e32 v2, 0, v2
	v_add_f32_e32 v1, 0, v1
	v_mul_f32_e32 v5, v97, v138
	s_waitcnt vmcnt(23)
	v_fma_f32 v3, v94, v161, -v3
	v_fmac_f32_e32 v186, v95, v161
	v_add_f32_e32 v2, v2, v4
	v_add_f32_e32 v1, v1, v185
	;; [unrolled: 6-line block ×20, first 2 shown]
	s_waitcnt lgkmcnt(0)
	v_mul_f32_e32 v4, v135, v157
	s_waitcnt vmcnt(4)
	v_fma_f32 v5, v132, v180, -v5
	v_mul_f32_e32 v206, v134, v157
	v_add_f32_e32 v2, v2, v3
	v_fmac_f32_e32 v205, v133, v180
	v_add_f32_e32 v1, v1, v204
	v_mul_f32_e32 v3, v137, v158
	s_waitcnt vmcnt(3)
	v_fma_f32 v4, v134, v181, -v4
	v_add_f32_e32 v2, v2, v5
	v_mul_f32_e32 v207, v136, v158
	v_fmac_f32_e32 v206, v135, v181
	v_add_f32_e32 v1, v1, v205
	s_waitcnt vmcnt(2)
	v_fma_f32 v3, v136, v182, -v3
	v_add_f32_e32 v2, v2, v4
	v_fmac_f32_e32 v207, v137, v182
	v_add_f32_e32 v1, v1, v206
	v_add_f32_e32 v2, v2, v3
	;; [unrolled: 1-line block ×3, first 2 shown]
	s_waitcnt vmcnt(1)
	v_sub_f32_e32 v2, v183, v2
	s_waitcnt vmcnt(0)
	v_sub_f32_e32 v1, v184, v1
	buffer_store_dword v2, off, s[0:3], 0 offset:136
	buffer_store_dword v1, off, s[0:3], 0 offset:140
	v_cmpx_lt_u32_e32 16, v0
	s_cbranch_execz .LBB41_233
; %bb.232:
	s_clause 0x1
	buffer_load_dword v1, off, s[0:3], 0 offset:128
	buffer_load_dword v2, off, s[0:3], 0 offset:132
	v_mov_b32_e32 v3, 0
	buffer_store_dword v3, off, s[0:3], 0 offset:128
	buffer_store_dword v3, off, s[0:3], 0 offset:132
	s_waitcnt vmcnt(0)
	ds_write_b64 v93, v[1:2]
.LBB41_233:
	s_or_b32 exec_lo, exec_lo, s4
	s_waitcnt lgkmcnt(0)
	s_waitcnt_vscnt null, 0x0
	s_barrier
	buffer_gl0_inv
	s_clause 0x33
	buffer_load_dword v8, off, s[0:3], 0 offset:140
	buffer_load_dword v138, off, s[0:3], 0 offset:148
	;; [unrolled: 1-line block ×52, first 2 shown]
	v_mov_b32_e32 v1, 0
	ds_read2_b64 v[2:5], v1 offset0:59 offset1:60
	ds_read2_b64 v[94:97], v1 offset0:61 offset1:62
	;; [unrolled: 1-line block ×12, first 2 shown]
	ds_read_b64 v[6:7], v1 offset:664
	s_mov_b32 s4, exec_lo
	s_waitcnt vmcnt(51) lgkmcnt(12)
	v_mul_f32_e32 v189, v2, v8
	v_mul_f32_e32 v8, v3, v8
	s_waitcnt vmcnt(50)
	v_mul_f32_e32 v190, v4, v138
	v_mul_f32_e32 v138, v5, v138
	s_waitcnt vmcnt(49) lgkmcnt(11)
	v_mul_f32_e32 v191, v94, v139
	s_waitcnt vmcnt(48)
	v_mul_f32_e32 v192, v96, v140
	s_waitcnt vmcnt(47) lgkmcnt(10)
	v_mul_f32_e32 v193, v98, v141
	s_waitcnt vmcnt(46)
	;; [unrolled: 4-line block ×11, first 2 shown]
	v_fma_f32 v2, v2, v162, -v8
	v_fmac_f32_e32 v189, v3, v162
	v_mul_f32_e32 v3, v95, v139
	s_waitcnt vmcnt(25)
	v_fma_f32 v4, v4, v163, -v138
	v_fmac_f32_e32 v190, v5, v163
	v_add_f32_e32 v2, 0, v2
	v_add_f32_e32 v5, 0, v189
	v_mul_f32_e32 v8, v97, v140
	s_waitcnt vmcnt(24)
	v_fma_f32 v3, v94, v164, -v3
	v_fmac_f32_e32 v191, v95, v164
	v_add_f32_e32 v2, v2, v4
	v_add_f32_e32 v4, v5, v190
	;; [unrolled: 6-line block ×21, first 2 shown]
	v_mul_f32_e32 v4, v137, v160
	s_waitcnt vmcnt(4)
	v_fma_f32 v5, v134, v184, -v5
	v_mul_f32_e32 v212, v136, v160
	v_add_f32_e32 v2, v2, v8
	v_fmac_f32_e32 v211, v135, v184
	v_add_f32_e32 v3, v3, v210
	s_waitcnt lgkmcnt(0)
	v_mul_f32_e32 v8, v7, v161
	s_waitcnt vmcnt(3)
	v_fma_f32 v4, v136, v185, -v4
	v_add_f32_e32 v2, v2, v5
	v_mul_f32_e32 v213, v6, v161
	v_fmac_f32_e32 v212, v137, v185
	v_add_f32_e32 v3, v3, v211
	s_waitcnt vmcnt(2)
	v_fma_f32 v5, v6, v186, -v8
	v_add_f32_e32 v2, v2, v4
	v_fmac_f32_e32 v213, v7, v186
	v_add_f32_e32 v3, v3, v212
	v_add_f32_e32 v2, v2, v5
	;; [unrolled: 1-line block ×3, first 2 shown]
	s_waitcnt vmcnt(1)
	v_sub_f32_e32 v2, v187, v2
	s_waitcnt vmcnt(0)
	v_sub_f32_e32 v3, v188, v3
	buffer_store_dword v2, off, s[0:3], 0 offset:128
	buffer_store_dword v3, off, s[0:3], 0 offset:132
	v_cmpx_lt_u32_e32 15, v0
	s_cbranch_execz .LBB41_235
; %bb.234:
	s_clause 0x1
	buffer_load_dword v2, off, s[0:3], 0 offset:120
	buffer_load_dword v3, off, s[0:3], 0 offset:124
	buffer_store_dword v1, off, s[0:3], 0 offset:120
	buffer_store_dword v1, off, s[0:3], 0 offset:124
	s_waitcnt vmcnt(0)
	ds_write_b64 v93, v[2:3]
.LBB41_235:
	s_or_b32 exec_lo, exec_lo, s4
	s_waitcnt lgkmcnt(0)
	s_waitcnt_vscnt null, 0x0
	s_barrier
	buffer_gl0_inv
	s_clause 0x35
	buffer_load_dword v6, off, s[0:3], 0 offset:132
	buffer_load_dword v7, off, s[0:3], 0 offset:140
	;; [unrolled: 1-line block ×54, first 2 shown]
	ds_read_b128 v[2:5], v1 offset:464
	ds_read_b128 v[94:97], v1 offset:480
	;; [unrolled: 1-line block ×13, first 2 shown]
	s_mov_b32 s4, exec_lo
	s_waitcnt vmcnt(53) lgkmcnt(12)
	v_mul_f32_e32 v1, v2, v6
	v_mul_f32_e32 v6, v3, v6
	s_waitcnt vmcnt(52)
	v_mul_f32_e32 v193, v4, v7
	v_mul_f32_e32 v7, v5, v7
	s_waitcnt vmcnt(51) lgkmcnt(11)
	v_mul_f32_e32 v194, v94, v8
	s_waitcnt vmcnt(50)
	v_mul_f32_e32 v195, v96, v142
	s_waitcnt vmcnt(49) lgkmcnt(10)
	v_mul_f32_e32 v196, v98, v143
	s_waitcnt vmcnt(48)
	;; [unrolled: 4-line block ×11, first 2 shown]
	v_mul_f32_e32 v215, v136, v162
	s_waitcnt vmcnt(27)
	v_fma_f32 v2, v2, v165, -v6
	v_fmac_f32_e32 v1, v3, v165
	v_mul_f32_e32 v3, v95, v8
	s_waitcnt vmcnt(26)
	v_fma_f32 v4, v4, v166, -v7
	v_fmac_f32_e32 v193, v5, v166
	v_add_f32_e32 v2, 0, v2
	v_add_f32_e32 v1, 0, v1
	v_mul_f32_e32 v5, v97, v142
	s_waitcnt vmcnt(25)
	v_fma_f32 v3, v94, v167, -v3
	v_fmac_f32_e32 v194, v95, v167
	v_add_f32_e32 v2, v2, v4
	v_add_f32_e32 v1, v1, v193
	;; [unrolled: 6-line block ×22, first 2 shown]
	s_waitcnt lgkmcnt(0)
	v_mul_f32_e32 v5, v139, v163
	s_waitcnt vmcnt(4)
	v_fma_f32 v3, v136, v188, -v3
	v_mul_f32_e32 v216, v138, v163
	v_add_f32_e32 v2, v2, v4
	v_fmac_f32_e32 v215, v137, v188
	v_add_f32_e32 v1, v1, v214
	v_mul_f32_e32 v4, v141, v164
	s_waitcnt vmcnt(3)
	v_fma_f32 v5, v138, v189, -v5
	v_add_f32_e32 v2, v2, v3
	v_mul_f32_e32 v217, v140, v164
	v_fmac_f32_e32 v216, v139, v189
	v_add_f32_e32 v1, v1, v215
	s_waitcnt vmcnt(2)
	v_fma_f32 v3, v140, v190, -v4
	v_add_f32_e32 v2, v2, v5
	v_fmac_f32_e32 v217, v141, v190
	v_add_f32_e32 v1, v1, v216
	v_add_f32_e32 v2, v2, v3
	;; [unrolled: 1-line block ×3, first 2 shown]
	s_waitcnt vmcnt(1)
	v_sub_f32_e32 v2, v191, v2
	s_waitcnt vmcnt(0)
	v_sub_f32_e32 v1, v192, v1
	buffer_store_dword v2, off, s[0:3], 0 offset:120
	buffer_store_dword v1, off, s[0:3], 0 offset:124
	v_cmpx_lt_u32_e32 14, v0
	s_cbranch_execz .LBB41_237
; %bb.236:
	s_clause 0x1
	buffer_load_dword v1, off, s[0:3], 0 offset:112
	buffer_load_dword v2, off, s[0:3], 0 offset:116
	v_mov_b32_e32 v3, 0
	buffer_store_dword v3, off, s[0:3], 0 offset:112
	buffer_store_dword v3, off, s[0:3], 0 offset:116
	s_waitcnt vmcnt(0)
	ds_write_b64 v93, v[1:2]
.LBB41_237:
	s_or_b32 exec_lo, exec_lo, s4
	s_waitcnt lgkmcnt(0)
	s_waitcnt_vscnt null, 0x0
	s_barrier
	buffer_gl0_inv
	s_clause 0x37
	buffer_load_dword v8, off, s[0:3], 0 offset:124
	buffer_load_dword v142, off, s[0:3], 0 offset:132
	buffer_load_dword v143, off, s[0:3], 0 offset:140
	buffer_load_dword v144, off, s[0:3], 0 offset:148
	buffer_load_dword v145, off, s[0:3], 0 offset:156
	buffer_load_dword v146, off, s[0:3], 0 offset:164
	buffer_load_dword v147, off, s[0:3], 0 offset:172
	buffer_load_dword v148, off, s[0:3], 0 offset:180
	buffer_load_dword v149, off, s[0:3], 0 offset:188
	buffer_load_dword v150, off, s[0:3], 0 offset:196
	buffer_load_dword v151, off, s[0:3], 0 offset:204
	buffer_load_dword v152, off, s[0:3], 0 offset:212
	buffer_load_dword v153, off, s[0:3], 0 offset:220
	buffer_load_dword v154, off, s[0:3], 0 offset:228
	buffer_load_dword v155, off, s[0:3], 0 offset:236
	buffer_load_dword v156, off, s[0:3], 0 offset:244
	buffer_load_dword v157, off, s[0:3], 0 offset:252
	buffer_load_dword v158, off, s[0:3], 0 offset:260
	buffer_load_dword v159, off, s[0:3], 0 offset:268
	buffer_load_dword v160, off, s[0:3], 0 offset:276
	buffer_load_dword v161, off, s[0:3], 0 offset:284
	buffer_load_dword v162, off, s[0:3], 0 offset:292
	buffer_load_dword v163, off, s[0:3], 0 offset:300
	buffer_load_dword v164, off, s[0:3], 0 offset:308
	buffer_load_dword v165, off, s[0:3], 0 offset:316
	buffer_load_dword v166, off, s[0:3], 0 offset:324
	buffer_load_dword v167, off, s[0:3], 0 offset:332
	buffer_load_dword v168, off, s[0:3], 0 offset:120
	buffer_load_dword v169, off, s[0:3], 0 offset:128
	buffer_load_dword v170, off, s[0:3], 0 offset:136
	buffer_load_dword v171, off, s[0:3], 0 offset:144
	buffer_load_dword v172, off, s[0:3], 0 offset:152
	buffer_load_dword v173, off, s[0:3], 0 offset:160
	buffer_load_dword v174, off, s[0:3], 0 offset:168
	buffer_load_dword v175, off, s[0:3], 0 offset:176
	buffer_load_dword v176, off, s[0:3], 0 offset:184
	buffer_load_dword v177, off, s[0:3], 0 offset:192
	buffer_load_dword v178, off, s[0:3], 0 offset:200
	buffer_load_dword v179, off, s[0:3], 0 offset:208
	buffer_load_dword v180, off, s[0:3], 0 offset:216
	buffer_load_dword v181, off, s[0:3], 0 offset:224
	buffer_load_dword v182, off, s[0:3], 0 offset:232
	buffer_load_dword v183, off, s[0:3], 0 offset:240
	buffer_load_dword v184, off, s[0:3], 0 offset:248
	buffer_load_dword v185, off, s[0:3], 0 offset:256
	buffer_load_dword v186, off, s[0:3], 0 offset:264
	buffer_load_dword v187, off, s[0:3], 0 offset:272
	buffer_load_dword v188, off, s[0:3], 0 offset:280
	buffer_load_dword v189, off, s[0:3], 0 offset:288
	buffer_load_dword v190, off, s[0:3], 0 offset:296
	buffer_load_dword v191, off, s[0:3], 0 offset:304
	buffer_load_dword v192, off, s[0:3], 0 offset:312
	buffer_load_dword v193, off, s[0:3], 0 offset:320
	buffer_load_dword v194, off, s[0:3], 0 offset:328
	buffer_load_dword v195, off, s[0:3], 0 offset:112
	buffer_load_dword v196, off, s[0:3], 0 offset:116
	v_mov_b32_e32 v1, 0
	ds_read2_b64 v[2:5], v1 offset0:57 offset1:58
	ds_read2_b64 v[94:97], v1 offset0:59 offset1:60
	;; [unrolled: 1-line block ×13, first 2 shown]
	ds_read_b64 v[6:7], v1 offset:664
	s_mov_b32 s4, exec_lo
	s_waitcnt vmcnt(55) lgkmcnt(13)
	v_mul_f32_e32 v197, v2, v8
	v_mul_f32_e32 v8, v3, v8
	s_waitcnt vmcnt(54)
	v_mul_f32_e32 v198, v4, v142
	v_mul_f32_e32 v142, v5, v142
	s_waitcnt vmcnt(53) lgkmcnt(12)
	v_mul_f32_e32 v199, v94, v143
	s_waitcnt vmcnt(52)
	v_mul_f32_e32 v200, v96, v144
	s_waitcnt vmcnt(51) lgkmcnt(11)
	v_mul_f32_e32 v201, v98, v145
	s_waitcnt vmcnt(50)
	;; [unrolled: 4-line block ×12, first 2 shown]
	v_fma_f32 v2, v2, v168, -v8
	v_fmac_f32_e32 v197, v3, v168
	v_mul_f32_e32 v3, v95, v143
	s_waitcnt vmcnt(27)
	v_fma_f32 v4, v4, v169, -v142
	v_fmac_f32_e32 v198, v5, v169
	v_add_f32_e32 v2, 0, v2
	v_add_f32_e32 v5, 0, v197
	v_mul_f32_e32 v8, v97, v144
	s_waitcnt vmcnt(26)
	v_fma_f32 v3, v94, v170, -v3
	v_fmac_f32_e32 v199, v95, v170
	v_add_f32_e32 v2, v2, v4
	v_add_f32_e32 v4, v5, v198
	;; [unrolled: 6-line block ×23, first 2 shown]
	v_mul_f32_e32 v5, v141, v166
	s_waitcnt vmcnt(4)
	v_fma_f32 v8, v138, v192, -v8
	v_mul_f32_e32 v222, v140, v166
	v_add_f32_e32 v2, v2, v4
	v_fmac_f32_e32 v221, v139, v192
	v_add_f32_e32 v3, v3, v220
	s_waitcnt lgkmcnt(0)
	v_mul_f32_e32 v4, v7, v167
	s_waitcnt vmcnt(3)
	v_fma_f32 v5, v140, v193, -v5
	v_add_f32_e32 v2, v2, v8
	v_mul_f32_e32 v223, v6, v167
	v_fmac_f32_e32 v222, v141, v193
	v_add_f32_e32 v3, v3, v221
	s_waitcnt vmcnt(2)
	v_fma_f32 v4, v6, v194, -v4
	v_add_f32_e32 v2, v2, v5
	v_fmac_f32_e32 v223, v7, v194
	v_add_f32_e32 v3, v3, v222
	v_add_f32_e32 v2, v2, v4
	v_add_f32_e32 v3, v3, v223
	s_waitcnt vmcnt(1)
	v_sub_f32_e32 v2, v195, v2
	s_waitcnt vmcnt(0)
	v_sub_f32_e32 v3, v196, v3
	buffer_store_dword v2, off, s[0:3], 0 offset:112
	buffer_store_dword v3, off, s[0:3], 0 offset:116
	v_cmpx_lt_u32_e32 13, v0
	s_cbranch_execz .LBB41_239
; %bb.238:
	s_clause 0x1
	buffer_load_dword v2, off, s[0:3], 0 offset:104
	buffer_load_dword v3, off, s[0:3], 0 offset:108
	buffer_store_dword v1, off, s[0:3], 0 offset:104
	buffer_store_dword v1, off, s[0:3], 0 offset:108
	s_waitcnt vmcnt(0)
	ds_write_b64 v93, v[2:3]
.LBB41_239:
	s_or_b32 exec_lo, exec_lo, s4
	s_waitcnt lgkmcnt(0)
	s_waitcnt_vscnt null, 0x0
	s_barrier
	buffer_gl0_inv
	s_clause 0x39
	buffer_load_dword v6, off, s[0:3], 0 offset:116
	buffer_load_dword v7, off, s[0:3], 0 offset:124
	;; [unrolled: 1-line block ×58, first 2 shown]
	ds_read_b128 v[2:5], v1 offset:448
	ds_read_b128 v[94:97], v1 offset:464
	;; [unrolled: 1-line block ×14, first 2 shown]
	s_mov_b32 s4, exec_lo
	s_waitcnt vmcnt(57) lgkmcnt(13)
	v_mul_f32_e32 v1, v2, v6
	v_mul_f32_e32 v6, v3, v6
	s_waitcnt vmcnt(56)
	v_mul_f32_e32 v201, v4, v7
	v_mul_f32_e32 v7, v5, v7
	s_waitcnt vmcnt(55) lgkmcnt(12)
	v_mul_f32_e32 v202, v94, v8
	s_waitcnt vmcnt(54)
	v_mul_f32_e32 v203, v96, v146
	s_waitcnt vmcnt(53) lgkmcnt(11)
	v_mul_f32_e32 v204, v98, v147
	s_waitcnt vmcnt(52)
	;; [unrolled: 4-line block ×12, first 2 shown]
	v_mul_f32_e32 v225, v140, v168
	s_waitcnt vmcnt(29)
	v_fma_f32 v2, v2, v171, -v6
	v_fmac_f32_e32 v1, v3, v171
	v_mul_f32_e32 v3, v95, v8
	s_waitcnt vmcnt(28)
	v_fma_f32 v4, v4, v172, -v7
	v_fmac_f32_e32 v201, v5, v172
	v_add_f32_e32 v2, 0, v2
	v_add_f32_e32 v1, 0, v1
	v_mul_f32_e32 v5, v97, v146
	s_waitcnt vmcnt(27)
	v_fma_f32 v3, v94, v173, -v3
	v_fmac_f32_e32 v202, v95, v173
	v_add_f32_e32 v2, v2, v4
	v_add_f32_e32 v1, v1, v201
	v_mul_f32_e32 v4, v99, v147
	s_waitcnt vmcnt(26)
	v_fma_f32 v5, v96, v174, -v5
	v_fmac_f32_e32 v203, v97, v174
	v_add_f32_e32 v2, v2, v3
	v_add_f32_e32 v1, v1, v202
	v_mul_f32_e32 v3, v101, v148
	s_waitcnt vmcnt(25)
	v_fma_f32 v4, v98, v175, -v4
	v_fmac_f32_e32 v204, v99, v175
	v_add_f32_e32 v2, v2, v5
	v_add_f32_e32 v1, v1, v203
	v_mul_f32_e32 v5, v103, v149
	s_waitcnt vmcnt(24)
	v_fma_f32 v3, v100, v176, -v3
	v_fmac_f32_e32 v205, v101, v176
	v_add_f32_e32 v2, v2, v4
	v_add_f32_e32 v1, v1, v204
	v_mul_f32_e32 v4, v105, v150
	s_waitcnt vmcnt(23)
	v_fma_f32 v5, v102, v177, -v5
	v_fmac_f32_e32 v206, v103, v177
	v_add_f32_e32 v2, v2, v3
	v_add_f32_e32 v1, v1, v205
	v_mul_f32_e32 v3, v107, v151
	s_waitcnt vmcnt(22)
	v_fma_f32 v4, v104, v178, -v4
	v_fmac_f32_e32 v207, v105, v178
	v_add_f32_e32 v2, v2, v5
	v_add_f32_e32 v1, v1, v206
	v_mul_f32_e32 v5, v109, v152
	s_waitcnt vmcnt(21)
	v_fma_f32 v3, v106, v179, -v3
	v_fmac_f32_e32 v208, v107, v179
	v_add_f32_e32 v2, v2, v4
	v_add_f32_e32 v1, v1, v207
	v_mul_f32_e32 v4, v111, v153
	s_waitcnt vmcnt(20)
	v_fma_f32 v5, v108, v180, -v5
	v_fmac_f32_e32 v209, v109, v180
	v_add_f32_e32 v2, v2, v3
	v_add_f32_e32 v1, v1, v208
	v_mul_f32_e32 v3, v113, v154
	s_waitcnt vmcnt(19)
	v_fma_f32 v4, v110, v181, -v4
	v_fmac_f32_e32 v210, v111, v181
	v_add_f32_e32 v2, v2, v5
	v_add_f32_e32 v1, v1, v209
	v_mul_f32_e32 v5, v115, v155
	s_waitcnt vmcnt(18)
	v_fma_f32 v3, v112, v182, -v3
	v_fmac_f32_e32 v211, v113, v182
	v_add_f32_e32 v2, v2, v4
	v_add_f32_e32 v1, v1, v210
	v_mul_f32_e32 v4, v117, v156
	s_waitcnt vmcnt(17)
	v_fma_f32 v5, v114, v183, -v5
	v_fmac_f32_e32 v212, v115, v183
	v_add_f32_e32 v2, v2, v3
	v_add_f32_e32 v1, v1, v211
	v_mul_f32_e32 v3, v119, v157
	s_waitcnt vmcnt(16)
	v_fma_f32 v4, v116, v184, -v4
	v_fmac_f32_e32 v213, v117, v184
	v_add_f32_e32 v2, v2, v5
	v_add_f32_e32 v1, v1, v212
	v_mul_f32_e32 v5, v121, v158
	s_waitcnt vmcnt(15)
	v_fma_f32 v3, v118, v185, -v3
	v_fmac_f32_e32 v214, v119, v185
	v_add_f32_e32 v2, v2, v4
	v_add_f32_e32 v1, v1, v213
	v_mul_f32_e32 v4, v123, v159
	s_waitcnt vmcnt(14)
	v_fma_f32 v5, v120, v186, -v5
	v_fmac_f32_e32 v215, v121, v186
	v_add_f32_e32 v2, v2, v3
	v_add_f32_e32 v1, v1, v214
	v_mul_f32_e32 v3, v125, v160
	s_waitcnt vmcnt(13)
	v_fma_f32 v4, v122, v187, -v4
	v_fmac_f32_e32 v216, v123, v187
	v_add_f32_e32 v2, v2, v5
	v_add_f32_e32 v1, v1, v215
	v_mul_f32_e32 v5, v127, v161
	s_waitcnt vmcnt(12)
	v_fma_f32 v3, v124, v188, -v3
	v_fmac_f32_e32 v217, v125, v188
	v_add_f32_e32 v2, v2, v4
	v_add_f32_e32 v1, v1, v216
	v_mul_f32_e32 v4, v129, v162
	s_waitcnt vmcnt(11)
	v_fma_f32 v5, v126, v189, -v5
	v_fmac_f32_e32 v218, v127, v189
	v_add_f32_e32 v2, v2, v3
	v_add_f32_e32 v1, v1, v217
	v_mul_f32_e32 v3, v131, v163
	s_waitcnt vmcnt(10)
	v_fma_f32 v4, v128, v190, -v4
	v_fmac_f32_e32 v219, v129, v190
	v_add_f32_e32 v2, v2, v5
	v_add_f32_e32 v1, v1, v218
	v_mul_f32_e32 v5, v133, v164
	s_waitcnt vmcnt(9)
	v_fma_f32 v3, v130, v191, -v3
	v_fmac_f32_e32 v220, v131, v191
	v_add_f32_e32 v2, v2, v4
	v_add_f32_e32 v1, v1, v219
	v_mul_f32_e32 v4, v135, v165
	s_waitcnt vmcnt(8)
	v_fma_f32 v5, v132, v192, -v5
	v_fmac_f32_e32 v221, v133, v192
	v_add_f32_e32 v2, v2, v3
	v_add_f32_e32 v1, v1, v220
	v_mul_f32_e32 v3, v137, v166
	s_waitcnt vmcnt(7)
	v_fma_f32 v4, v134, v193, -v4
	v_fmac_f32_e32 v222, v135, v193
	v_add_f32_e32 v2, v2, v5
	v_add_f32_e32 v1, v1, v221
	v_mul_f32_e32 v5, v139, v167
	s_waitcnt vmcnt(6)
	v_fma_f32 v3, v136, v194, -v3
	v_fmac_f32_e32 v223, v137, v194
	v_add_f32_e32 v2, v2, v4
	v_add_f32_e32 v1, v1, v222
	v_mul_f32_e32 v4, v141, v168
	s_waitcnt vmcnt(5)
	v_fma_f32 v5, v138, v195, -v5
	v_fmac_f32_e32 v224, v139, v195
	v_add_f32_e32 v2, v2, v3
	v_add_f32_e32 v1, v1, v223
	s_waitcnt lgkmcnt(0)
	v_mul_f32_e32 v3, v143, v169
	s_waitcnt vmcnt(4)
	v_fma_f32 v4, v140, v196, -v4
	v_mul_f32_e32 v226, v142, v169
	v_add_f32_e32 v2, v2, v5
	v_fmac_f32_e32 v225, v141, v196
	v_add_f32_e32 v1, v1, v224
	v_mul_f32_e32 v5, v145, v170
	s_waitcnt vmcnt(3)
	v_fma_f32 v3, v142, v197, -v3
	v_add_f32_e32 v2, v2, v4
	v_mul_f32_e32 v227, v144, v170
	v_fmac_f32_e32 v226, v143, v197
	v_add_f32_e32 v1, v1, v225
	s_waitcnt vmcnt(2)
	v_fma_f32 v4, v144, v198, -v5
	v_add_f32_e32 v2, v2, v3
	v_fmac_f32_e32 v227, v145, v198
	v_add_f32_e32 v1, v1, v226
	v_add_f32_e32 v2, v2, v4
	;; [unrolled: 1-line block ×3, first 2 shown]
	s_waitcnt vmcnt(1)
	v_sub_f32_e32 v2, v199, v2
	s_waitcnt vmcnt(0)
	v_sub_f32_e32 v1, v200, v1
	buffer_store_dword v2, off, s[0:3], 0 offset:104
	buffer_store_dword v1, off, s[0:3], 0 offset:108
	v_cmpx_lt_u32_e32 12, v0
	s_cbranch_execz .LBB41_241
; %bb.240:
	s_clause 0x1
	buffer_load_dword v1, off, s[0:3], 0 offset:96
	buffer_load_dword v2, off, s[0:3], 0 offset:100
	v_mov_b32_e32 v3, 0
	buffer_store_dword v3, off, s[0:3], 0 offset:96
	buffer_store_dword v3, off, s[0:3], 0 offset:100
	s_waitcnt vmcnt(0)
	ds_write_b64 v93, v[1:2]
.LBB41_241:
	s_or_b32 exec_lo, exec_lo, s4
	s_waitcnt lgkmcnt(0)
	s_waitcnt_vscnt null, 0x0
	s_barrier
	buffer_gl0_inv
	s_clause 0x3b
	buffer_load_dword v8, off, s[0:3], 0 offset:108
	buffer_load_dword v146, off, s[0:3], 0 offset:116
	;; [unrolled: 1-line block ×60, first 2 shown]
	v_mov_b32_e32 v1, 0
	ds_read2_b64 v[2:5], v1 offset0:55 offset1:56
	ds_read2_b64 v[94:97], v1 offset0:57 offset1:58
	;; [unrolled: 1-line block ×14, first 2 shown]
	ds_read_b64 v[6:7], v1 offset:664
	s_mov_b32 s4, exec_lo
	s_waitcnt vmcnt(59) lgkmcnt(14)
	v_mul_f32_e32 v205, v2, v8
	v_mul_f32_e32 v8, v3, v8
	s_waitcnt vmcnt(58)
	v_mul_f32_e32 v206, v4, v146
	v_mul_f32_e32 v146, v5, v146
	s_waitcnt vmcnt(57) lgkmcnt(13)
	v_mul_f32_e32 v207, v94, v147
	s_waitcnt vmcnt(56)
	v_mul_f32_e32 v208, v96, v148
	s_waitcnt vmcnt(55) lgkmcnt(12)
	v_mul_f32_e32 v209, v98, v149
	s_waitcnt vmcnt(54)
	;; [unrolled: 4-line block ×13, first 2 shown]
	v_fma_f32 v2, v2, v174, -v8
	v_fmac_f32_e32 v205, v3, v174
	v_mul_f32_e32 v3, v95, v147
	s_waitcnt vmcnt(29)
	v_fma_f32 v4, v4, v175, -v146
	v_fmac_f32_e32 v206, v5, v175
	v_add_f32_e32 v2, 0, v2
	v_add_f32_e32 v5, 0, v205
	v_mul_f32_e32 v8, v97, v148
	s_waitcnt vmcnt(28)
	v_fma_f32 v3, v94, v176, -v3
	v_fmac_f32_e32 v207, v95, v176
	v_add_f32_e32 v2, v2, v4
	v_add_f32_e32 v4, v5, v206
	;; [unrolled: 6-line block ×25, first 2 shown]
	v_mul_f32_e32 v8, v145, v172
	s_waitcnt vmcnt(4)
	v_fma_f32 v4, v142, v200, -v4
	v_mul_f32_e32 v232, v144, v172
	v_add_f32_e32 v2, v2, v5
	v_fmac_f32_e32 v231, v143, v200
	v_add_f32_e32 v3, v3, v230
	s_waitcnt lgkmcnt(0)
	v_mul_f32_e32 v5, v7, v173
	s_waitcnt vmcnt(3)
	v_fma_f32 v8, v144, v201, -v8
	v_add_f32_e32 v2, v2, v4
	v_mul_f32_e32 v233, v6, v173
	v_fmac_f32_e32 v232, v145, v201
	v_add_f32_e32 v3, v3, v231
	s_waitcnt vmcnt(2)
	v_fma_f32 v4, v6, v202, -v5
	v_add_f32_e32 v2, v2, v8
	v_fmac_f32_e32 v233, v7, v202
	v_add_f32_e32 v3, v3, v232
	v_add_f32_e32 v2, v2, v4
	;; [unrolled: 1-line block ×3, first 2 shown]
	s_waitcnt vmcnt(1)
	v_sub_f32_e32 v2, v203, v2
	s_waitcnt vmcnt(0)
	v_sub_f32_e32 v3, v204, v3
	buffer_store_dword v2, off, s[0:3], 0 offset:96
	buffer_store_dword v3, off, s[0:3], 0 offset:100
	v_cmpx_lt_u32_e32 11, v0
	s_cbranch_execz .LBB41_243
; %bb.242:
	s_clause 0x1
	buffer_load_dword v2, off, s[0:3], 0 offset:88
	buffer_load_dword v3, off, s[0:3], 0 offset:92
	buffer_store_dword v1, off, s[0:3], 0 offset:88
	buffer_store_dword v1, off, s[0:3], 0 offset:92
	s_waitcnt vmcnt(0)
	ds_write_b64 v93, v[2:3]
.LBB41_243:
	s_or_b32 exec_lo, exec_lo, s4
	s_waitcnt lgkmcnt(0)
	s_waitcnt_vscnt null, 0x0
	s_barrier
	buffer_gl0_inv
	s_clause 0x3d
	buffer_load_dword v6, off, s[0:3], 0 offset:100
	buffer_load_dword v7, off, s[0:3], 0 offset:108
	;; [unrolled: 1-line block ×62, first 2 shown]
	ds_read_b128 v[2:5], v1 offset:432
	ds_read_b128 v[94:97], v1 offset:448
	;; [unrolled: 1-line block ×15, first 2 shown]
	s_mov_b32 s4, exec_lo
	s_waitcnt vmcnt(61) lgkmcnt(14)
	v_mul_f32_e32 v1, v2, v6
	v_mul_f32_e32 v6, v3, v6
	s_waitcnt vmcnt(60)
	v_mul_f32_e32 v209, v4, v7
	v_mul_f32_e32 v7, v5, v7
	s_waitcnt vmcnt(59) lgkmcnt(13)
	v_mul_f32_e32 v210, v94, v8
	s_waitcnt vmcnt(58)
	v_mul_f32_e32 v211, v96, v150
	s_waitcnt vmcnt(57) lgkmcnt(12)
	v_mul_f32_e32 v212, v98, v151
	s_waitcnt vmcnt(56)
	;; [unrolled: 4-line block ×13, first 2 shown]
	v_mul_f32_e32 v235, v144, v174
	s_waitcnt vmcnt(31)
	v_fma_f32 v2, v2, v177, -v6
	v_fmac_f32_e32 v1, v3, v177
	v_mul_f32_e32 v3, v95, v8
	s_waitcnt vmcnt(30)
	v_fma_f32 v4, v4, v178, -v7
	v_fmac_f32_e32 v209, v5, v178
	v_add_f32_e32 v2, 0, v2
	v_add_f32_e32 v1, 0, v1
	v_mul_f32_e32 v5, v97, v150
	s_waitcnt vmcnt(29)
	v_fma_f32 v3, v94, v179, -v3
	v_fmac_f32_e32 v210, v95, v179
	v_add_f32_e32 v2, v2, v4
	v_add_f32_e32 v1, v1, v209
	;; [unrolled: 6-line block ×26, first 2 shown]
	s_waitcnt lgkmcnt(0)
	v_mul_f32_e32 v4, v147, v175
	s_waitcnt vmcnt(4)
	v_fma_f32 v5, v144, v204, -v5
	v_mul_f32_e32 v236, v146, v175
	v_add_f32_e32 v2, v2, v3
	v_fmac_f32_e32 v235, v145, v204
	v_add_f32_e32 v1, v1, v234
	v_mul_f32_e32 v3, v149, v176
	s_waitcnt vmcnt(3)
	v_fma_f32 v4, v146, v205, -v4
	v_add_f32_e32 v2, v2, v5
	v_mul_f32_e32 v237, v148, v176
	v_fmac_f32_e32 v236, v147, v205
	v_add_f32_e32 v1, v1, v235
	s_waitcnt vmcnt(2)
	v_fma_f32 v3, v148, v206, -v3
	v_add_f32_e32 v2, v2, v4
	v_fmac_f32_e32 v237, v149, v206
	v_add_f32_e32 v1, v1, v236
	v_add_f32_e32 v2, v2, v3
	;; [unrolled: 1-line block ×3, first 2 shown]
	s_waitcnt vmcnt(1)
	v_sub_f32_e32 v2, v207, v2
	s_waitcnt vmcnt(0)
	v_sub_f32_e32 v1, v208, v1
	buffer_store_dword v2, off, s[0:3], 0 offset:88
	buffer_store_dword v1, off, s[0:3], 0 offset:92
	v_cmpx_lt_u32_e32 10, v0
	s_cbranch_execz .LBB41_245
; %bb.244:
	s_clause 0x1
	buffer_load_dword v1, off, s[0:3], 0 offset:80
	buffer_load_dword v2, off, s[0:3], 0 offset:84
	v_mov_b32_e32 v3, 0
	buffer_store_dword v3, off, s[0:3], 0 offset:80
	buffer_store_dword v3, off, s[0:3], 0 offset:84
	s_waitcnt vmcnt(0)
	ds_write_b64 v93, v[1:2]
.LBB41_245:
	s_or_b32 exec_lo, exec_lo, s4
	s_waitcnt lgkmcnt(0)
	s_waitcnt_vscnt null, 0x0
	s_barrier
	buffer_gl0_inv
	s_clause 0x3e
	buffer_load_dword v8, off, s[0:3], 0 offset:92
	buffer_load_dword v150, off, s[0:3], 0 offset:100
	;; [unrolled: 1-line block ×64, first 2 shown]
	v_mov_b32_e32 v1, 0
	ds_read2_b64 v[2:5], v1 offset0:53 offset1:54
	ds_read2_b64 v[94:97], v1 offset0:55 offset1:56
	;; [unrolled: 1-line block ×15, first 2 shown]
	ds_read_b64 v[6:7], v1 offset:664
	s_mov_b32 s4, exec_lo
	s_waitcnt vmcnt(62) lgkmcnt(15)
	v_mul_f32_e32 v213, v2, v8
	v_mul_f32_e32 v8, v3, v8
	;; [unrolled: 1-line block ×4, first 2 shown]
	s_waitcnt vmcnt(61) lgkmcnt(14)
	v_mul_f32_e32 v215, v94, v151
	s_waitcnt vmcnt(60)
	v_mul_f32_e32 v216, v96, v152
	s_waitcnt vmcnt(59) lgkmcnt(13)
	v_mul_f32_e32 v217, v98, v153
	s_waitcnt vmcnt(58)
	v_mul_f32_e32 v218, v100, v154
	;; [unrolled: 4-line block ×13, first 2 shown]
	s_waitcnt vmcnt(35) lgkmcnt(1)
	v_mul_f32_e32 v241, v146, v177
	s_waitcnt vmcnt(32)
	v_fma_f32 v2, v2, v180, -v8
	v_fmac_f32_e32 v213, v3, v180
	v_mul_f32_e32 v3, v95, v151
	s_waitcnt vmcnt(31)
	v_fma_f32 v4, v4, v181, -v150
	v_fmac_f32_e32 v214, v5, v181
	v_add_f32_e32 v2, 0, v2
	v_add_f32_e32 v5, 0, v213
	v_mul_f32_e32 v8, v97, v152
	s_waitcnt vmcnt(30)
	v_fma_f32 v3, v94, v182, -v3
	v_fmac_f32_e32 v215, v95, v182
	v_add_f32_e32 v2, v2, v4
	v_add_f32_e32 v4, v5, v214
	v_mul_f32_e32 v5, v99, v153
	s_waitcnt vmcnt(29)
	v_fma_f32 v8, v96, v183, -v8
	v_fmac_f32_e32 v216, v97, v183
	v_add_f32_e32 v2, v2, v3
	v_add_f32_e32 v3, v4, v215
	v_mul_f32_e32 v4, v101, v154
	s_waitcnt vmcnt(28)
	v_fma_f32 v5, v98, v184, -v5
	v_fmac_f32_e32 v217, v99, v184
	v_add_f32_e32 v2, v2, v8
	v_add_f32_e32 v3, v3, v216
	v_mul_f32_e32 v8, v103, v155
	s_waitcnt vmcnt(27)
	v_fma_f32 v4, v100, v185, -v4
	v_fmac_f32_e32 v218, v101, v185
	v_add_f32_e32 v2, v2, v5
	v_add_f32_e32 v3, v3, v217
	v_mul_f32_e32 v5, v105, v156
	s_waitcnt vmcnt(26)
	v_fma_f32 v8, v102, v186, -v8
	v_fmac_f32_e32 v219, v103, v186
	v_add_f32_e32 v2, v2, v4
	v_add_f32_e32 v3, v3, v218
	v_mul_f32_e32 v4, v107, v157
	s_waitcnt vmcnt(25)
	v_fma_f32 v5, v104, v187, -v5
	v_fmac_f32_e32 v220, v105, v187
	v_add_f32_e32 v2, v2, v8
	v_add_f32_e32 v3, v3, v219
	v_mul_f32_e32 v8, v109, v158
	s_waitcnt vmcnt(24)
	v_fma_f32 v4, v106, v188, -v4
	v_fmac_f32_e32 v221, v107, v188
	v_add_f32_e32 v2, v2, v5
	v_add_f32_e32 v3, v3, v220
	v_mul_f32_e32 v5, v111, v159
	s_waitcnt vmcnt(23)
	v_fma_f32 v8, v108, v189, -v8
	v_fmac_f32_e32 v222, v109, v189
	v_add_f32_e32 v2, v2, v4
	v_add_f32_e32 v3, v3, v221
	v_mul_f32_e32 v4, v113, v160
	s_waitcnt vmcnt(22)
	v_fma_f32 v5, v110, v190, -v5
	v_fmac_f32_e32 v223, v111, v190
	v_add_f32_e32 v2, v2, v8
	v_add_f32_e32 v3, v3, v222
	v_mul_f32_e32 v8, v115, v161
	s_waitcnt vmcnt(21)
	v_fma_f32 v4, v112, v191, -v4
	v_fmac_f32_e32 v224, v113, v191
	v_add_f32_e32 v2, v2, v5
	v_add_f32_e32 v3, v3, v223
	v_mul_f32_e32 v5, v117, v162
	s_waitcnt vmcnt(20)
	v_fma_f32 v8, v114, v192, -v8
	v_fmac_f32_e32 v225, v115, v192
	v_add_f32_e32 v2, v2, v4
	v_add_f32_e32 v3, v3, v224
	v_mul_f32_e32 v4, v119, v163
	s_waitcnt vmcnt(19)
	v_fma_f32 v5, v116, v193, -v5
	v_fmac_f32_e32 v226, v117, v193
	v_add_f32_e32 v2, v2, v8
	v_add_f32_e32 v3, v3, v225
	v_mul_f32_e32 v8, v121, v164
	s_waitcnt vmcnt(18)
	v_fma_f32 v4, v118, v194, -v4
	v_fmac_f32_e32 v227, v119, v194
	v_add_f32_e32 v2, v2, v5
	v_add_f32_e32 v3, v3, v226
	v_mul_f32_e32 v5, v123, v165
	s_waitcnt vmcnt(17)
	v_fma_f32 v8, v120, v195, -v8
	v_fmac_f32_e32 v228, v121, v195
	v_add_f32_e32 v2, v2, v4
	v_add_f32_e32 v3, v3, v227
	v_mul_f32_e32 v4, v125, v166
	s_waitcnt vmcnt(16)
	v_fma_f32 v5, v122, v196, -v5
	v_fmac_f32_e32 v229, v123, v196
	v_add_f32_e32 v2, v2, v8
	v_add_f32_e32 v3, v3, v228
	v_mul_f32_e32 v8, v127, v167
	s_waitcnt vmcnt(15)
	v_fma_f32 v4, v124, v197, -v4
	v_fmac_f32_e32 v230, v125, v197
	v_add_f32_e32 v2, v2, v5
	v_add_f32_e32 v3, v3, v229
	v_mul_f32_e32 v5, v129, v168
	s_waitcnt vmcnt(14)
	v_fma_f32 v8, v126, v198, -v8
	v_fmac_f32_e32 v231, v127, v198
	v_add_f32_e32 v2, v2, v4
	v_add_f32_e32 v3, v3, v230
	v_mul_f32_e32 v4, v131, v169
	s_waitcnt vmcnt(13)
	v_fma_f32 v5, v128, v199, -v5
	v_fmac_f32_e32 v232, v129, v199
	v_add_f32_e32 v2, v2, v8
	v_add_f32_e32 v3, v3, v231
	v_mul_f32_e32 v8, v133, v170
	s_waitcnt vmcnt(12)
	v_fma_f32 v4, v130, v200, -v4
	v_fmac_f32_e32 v233, v131, v200
	v_add_f32_e32 v2, v2, v5
	v_add_f32_e32 v3, v3, v232
	v_mul_f32_e32 v5, v135, v171
	s_waitcnt vmcnt(11)
	v_fma_f32 v8, v132, v201, -v8
	v_fmac_f32_e32 v234, v133, v201
	v_add_f32_e32 v2, v2, v4
	v_add_f32_e32 v3, v3, v233
	v_mul_f32_e32 v4, v137, v172
	s_waitcnt vmcnt(10)
	v_fma_f32 v5, v134, v202, -v5
	v_fmac_f32_e32 v235, v135, v202
	v_add_f32_e32 v2, v2, v8
	v_add_f32_e32 v3, v3, v234
	v_mul_f32_e32 v8, v139, v173
	s_waitcnt vmcnt(9)
	v_fma_f32 v4, v136, v203, -v4
	v_fmac_f32_e32 v236, v137, v203
	v_add_f32_e32 v2, v2, v5
	v_add_f32_e32 v3, v3, v235
	v_mul_f32_e32 v5, v141, v174
	s_waitcnt vmcnt(8)
	v_fma_f32 v8, v138, v204, -v8
	v_fmac_f32_e32 v237, v139, v204
	v_add_f32_e32 v2, v2, v4
	v_add_f32_e32 v3, v3, v236
	v_mul_f32_e32 v4, v143, v175
	s_waitcnt vmcnt(7)
	v_fma_f32 v5, v140, v205, -v5
	v_fmac_f32_e32 v238, v141, v205
	v_add_f32_e32 v2, v2, v8
	v_add_f32_e32 v3, v3, v237
	v_mul_f32_e32 v8, v145, v176
	s_waitcnt vmcnt(6)
	v_fma_f32 v4, v142, v206, -v4
	v_fmac_f32_e32 v239, v143, v206
	v_add_f32_e32 v2, v2, v5
	v_add_f32_e32 v3, v3, v238
	v_mul_f32_e32 v5, v147, v177
	s_waitcnt vmcnt(5)
	v_fma_f32 v8, v144, v207, -v8
	v_fmac_f32_e32 v240, v145, v207
	v_add_f32_e32 v2, v2, v4
	v_add_f32_e32 v3, v3, v239
	v_mul_f32_e32 v4, v149, v178
	s_waitcnt vmcnt(4)
	v_fma_f32 v5, v146, v208, -v5
	v_mul_f32_e32 v242, v148, v178
	v_add_f32_e32 v2, v2, v8
	v_fmac_f32_e32 v241, v147, v208
	v_add_f32_e32 v3, v3, v240
	s_waitcnt lgkmcnt(0)
	v_mul_f32_e32 v8, v7, v179
	s_waitcnt vmcnt(3)
	v_fma_f32 v4, v148, v209, -v4
	v_add_f32_e32 v2, v2, v5
	v_mul_f32_e32 v243, v6, v179
	v_fmac_f32_e32 v242, v149, v209
	v_add_f32_e32 v3, v3, v241
	s_waitcnt vmcnt(2)
	v_fma_f32 v5, v6, v210, -v8
	v_add_f32_e32 v2, v2, v4
	v_fmac_f32_e32 v243, v7, v210
	v_add_f32_e32 v3, v3, v242
	v_add_f32_e32 v2, v2, v5
	;; [unrolled: 1-line block ×3, first 2 shown]
	s_waitcnt vmcnt(1)
	v_sub_f32_e32 v2, v211, v2
	s_waitcnt vmcnt(0)
	v_sub_f32_e32 v3, v212, v3
	buffer_store_dword v2, off, s[0:3], 0 offset:80
	buffer_store_dword v3, off, s[0:3], 0 offset:84
	v_cmpx_lt_u32_e32 9, v0
	s_cbranch_execz .LBB41_247
; %bb.246:
	s_clause 0x1
	buffer_load_dword v2, off, s[0:3], 0 offset:72
	buffer_load_dword v3, off, s[0:3], 0 offset:76
	buffer_store_dword v1, off, s[0:3], 0 offset:72
	buffer_store_dword v1, off, s[0:3], 0 offset:76
	s_waitcnt vmcnt(0)
	ds_write_b64 v93, v[2:3]
.LBB41_247:
	s_or_b32 exec_lo, exec_lo, s4
	s_waitcnt lgkmcnt(0)
	s_waitcnt_vscnt null, 0x0
	s_barrier
	buffer_gl0_inv
	s_clause 0x3e
	buffer_load_dword v6, off, s[0:3], 0 offset:84
	buffer_load_dword v7, off, s[0:3], 0 offset:92
	;; [unrolled: 1-line block ×63, first 2 shown]
	s_clause 0x2
	buffer_load_dword v214, off, s[0:3], 0 offset:328
	buffer_load_dword v215, off, s[0:3], 0 offset:72
	;; [unrolled: 1-line block ×3, first 2 shown]
	ds_read_b128 v[2:5], v1 offset:416
	ds_read_b128 v[94:97], v1 offset:432
	;; [unrolled: 1-line block ×16, first 2 shown]
	s_mov_b32 s4, exec_lo
	s_waitcnt vmcnt(62) lgkmcnt(15)
	v_mul_f32_e32 v1, v2, v6
	v_mul_f32_e32 v6, v3, v6
	;; [unrolled: 1-line block ×4, first 2 shown]
	s_waitcnt lgkmcnt(14)
	v_mul_f32_e32 v218, v94, v8
	v_mul_f32_e32 v219, v96, v154
	s_waitcnt vmcnt(61) lgkmcnt(13)
	v_mul_f32_e32 v220, v98, v155
	s_waitcnt vmcnt(60)
	v_mul_f32_e32 v221, v100, v156
	s_waitcnt vmcnt(59) lgkmcnt(12)
	v_mul_f32_e32 v222, v102, v157
	s_waitcnt vmcnt(58)
	v_mul_f32_e32 v223, v104, v158
	s_waitcnt vmcnt(57) lgkmcnt(11)
	v_mul_f32_e32 v224, v106, v159
	s_waitcnt vmcnt(56)
	v_mul_f32_e32 v225, v108, v160
	s_waitcnt vmcnt(55) lgkmcnt(10)
	v_mul_f32_e32 v226, v110, v161
	s_waitcnt vmcnt(54)
	v_mul_f32_e32 v227, v112, v162
	s_waitcnt vmcnt(53) lgkmcnt(9)
	v_mul_f32_e32 v228, v114, v163
	s_waitcnt vmcnt(52)
	v_mul_f32_e32 v229, v116, v164
	s_waitcnt vmcnt(51) lgkmcnt(8)
	v_mul_f32_e32 v230, v118, v165
	s_waitcnt vmcnt(50)
	v_mul_f32_e32 v231, v120, v166
	s_waitcnt vmcnt(49) lgkmcnt(7)
	v_mul_f32_e32 v232, v122, v167
	s_waitcnt vmcnt(48)
	v_mul_f32_e32 v233, v124, v168
	s_waitcnt vmcnt(47) lgkmcnt(6)
	v_mul_f32_e32 v234, v126, v169
	s_waitcnt vmcnt(46)
	v_mul_f32_e32 v235, v128, v170
	s_waitcnt vmcnt(45) lgkmcnt(5)
	v_mul_f32_e32 v236, v130, v171
	s_waitcnt vmcnt(44)
	v_mul_f32_e32 v237, v132, v172
	s_waitcnt vmcnt(43) lgkmcnt(4)
	v_mul_f32_e32 v238, v134, v173
	s_waitcnt vmcnt(42)
	v_mul_f32_e32 v239, v136, v174
	s_waitcnt vmcnt(41) lgkmcnt(3)
	v_mul_f32_e32 v240, v138, v175
	s_waitcnt vmcnt(40)
	v_mul_f32_e32 v241, v140, v176
	s_waitcnt vmcnt(39) lgkmcnt(2)
	v_mul_f32_e32 v242, v142, v177
	s_waitcnt vmcnt(38)
	v_mul_f32_e32 v243, v144, v178
	s_waitcnt vmcnt(37) lgkmcnt(1)
	v_mul_f32_e32 v244, v146, v179
	s_waitcnt vmcnt(36)
	v_mul_f32_e32 v245, v148, v180
	s_waitcnt vmcnt(33)
	v_fma_f32 v2, v2, v183, -v6
	v_fmac_f32_e32 v1, v3, v183
	v_mul_f32_e32 v3, v95, v8
	s_waitcnt vmcnt(32)
	v_fma_f32 v4, v4, v184, -v7
	v_fmac_f32_e32 v217, v5, v184
	v_add_f32_e32 v2, 0, v2
	v_add_f32_e32 v1, 0, v1
	v_mul_f32_e32 v5, v97, v154
	s_waitcnt vmcnt(31)
	v_fma_f32 v3, v94, v185, -v3
	v_fmac_f32_e32 v218, v95, v185
	v_add_f32_e32 v2, v2, v4
	v_add_f32_e32 v1, v1, v217
	;; [unrolled: 6-line block ×28, first 2 shown]
	s_waitcnt lgkmcnt(0)
	v_mul_f32_e32 v5, v151, v181
	s_waitcnt vmcnt(4)
	v_fma_f32 v3, v148, v212, -v3
	v_mul_f32_e32 v246, v150, v181
	v_add_f32_e32 v2, v2, v4
	v_fmac_f32_e32 v245, v149, v212
	v_add_f32_e32 v1, v1, v244
	v_mul_f32_e32 v4, v153, v182
	s_waitcnt vmcnt(3)
	v_fma_f32 v5, v150, v213, -v5
	v_add_f32_e32 v2, v2, v3
	v_mul_f32_e32 v247, v152, v182
	v_fmac_f32_e32 v246, v151, v213
	v_add_f32_e32 v1, v1, v245
	s_waitcnt vmcnt(2)
	v_fma_f32 v3, v152, v214, -v4
	v_add_f32_e32 v2, v2, v5
	v_fmac_f32_e32 v247, v153, v214
	v_add_f32_e32 v1, v1, v246
	v_add_f32_e32 v2, v2, v3
	;; [unrolled: 1-line block ×3, first 2 shown]
	s_waitcnt vmcnt(1)
	v_sub_f32_e32 v2, v215, v2
	s_waitcnt vmcnt(0)
	v_sub_f32_e32 v1, v216, v1
	buffer_store_dword v2, off, s[0:3], 0 offset:72
	buffer_store_dword v1, off, s[0:3], 0 offset:76
	v_cmpx_lt_u32_e32 8, v0
	s_cbranch_execz .LBB41_249
; %bb.248:
	s_clause 0x1
	buffer_load_dword v1, off, s[0:3], 0 offset:64
	buffer_load_dword v2, off, s[0:3], 0 offset:68
	v_mov_b32_e32 v3, 0
	buffer_store_dword v3, off, s[0:3], 0 offset:64
	buffer_store_dword v3, off, s[0:3], 0 offset:68
	s_waitcnt vmcnt(0)
	ds_write_b64 v93, v[1:2]
.LBB41_249:
	s_or_b32 exec_lo, exec_lo, s4
	s_waitcnt lgkmcnt(0)
	s_waitcnt_vscnt null, 0x0
	s_barrier
	buffer_gl0_inv
	s_clause 0x3e
	buffer_load_dword v153, off, s[0:3], 0 offset:76
	buffer_load_dword v154, off, s[0:3], 0 offset:84
	;; [unrolled: 1-line block ×63, first 2 shown]
	s_clause 0x4
	buffer_load_dword v216, off, s[0:3], 0 offset:312
	buffer_load_dword v217, off, s[0:3], 0 offset:320
	;; [unrolled: 1-line block ×5, first 2 shown]
	v_mov_b32_e32 v94, 0
	ds_read2_b64 v[1:4], v94 offset0:51 offset1:52
	ds_read2_b64 v[5:8], v94 offset0:53 offset1:54
	ds_read2_b64 v[95:98], v94 offset0:55 offset1:56
	ds_read2_b64 v[99:102], v94 offset0:57 offset1:58
	ds_read2_b64 v[103:106], v94 offset0:59 offset1:60
	ds_read2_b64 v[107:110], v94 offset0:61 offset1:62
	ds_read2_b64 v[111:114], v94 offset0:63 offset1:64
	ds_read2_b64 v[115:118], v94 offset0:65 offset1:66
	ds_read2_b64 v[119:122], v94 offset0:67 offset1:68
	ds_read2_b64 v[123:126], v94 offset0:69 offset1:70
	ds_read2_b64 v[127:130], v94 offset0:71 offset1:72
	ds_read2_b64 v[131:134], v94 offset0:73 offset1:74
	ds_read2_b64 v[135:138], v94 offset0:75 offset1:76
	ds_read2_b64 v[139:142], v94 offset0:77 offset1:78
	ds_read2_b64 v[143:146], v94 offset0:79 offset1:80
	ds_read2_b64 v[147:150], v94 offset0:81 offset1:82
	ds_read_b64 v[151:152], v94 offset:664
	s_mov_b32 s4, exec_lo
	s_waitcnt vmcnt(62) lgkmcnt(16)
	v_mul_f32_e32 v221, v1, v153
	v_mul_f32_e32 v153, v2, v153
	;; [unrolled: 1-line block ×4, first 2 shown]
	s_waitcnt lgkmcnt(15)
	v_mul_f32_e32 v223, v5, v155
	v_mul_f32_e32 v224, v7, v156
	s_waitcnt lgkmcnt(14)
	v_mul_f32_e32 v225, v95, v157
	v_mul_f32_e32 v226, v97, v158
	s_waitcnt vmcnt(61) lgkmcnt(13)
	v_mul_f32_e32 v227, v99, v159
	s_waitcnt vmcnt(60)
	v_mul_f32_e32 v228, v101, v160
	s_waitcnt vmcnt(59) lgkmcnt(12)
	v_mul_f32_e32 v229, v103, v161
	s_waitcnt vmcnt(58)
	;; [unrolled: 4-line block ×13, first 2 shown]
	v_fma_f32 v1, v1, v186, -v153
	v_fmac_f32_e32 v221, v2, v186
	v_mul_f32_e32 v2, v6, v155
	s_waitcnt vmcnt(33)
	v_fma_f32 v3, v3, v187, -v154
	v_fmac_f32_e32 v222, v4, v187
	v_add_f32_e32 v1, 0, v1
	v_add_f32_e32 v4, 0, v221
	v_mul_f32_e32 v153, v8, v156
	s_waitcnt vmcnt(32)
	v_fma_f32 v2, v5, v188, -v2
	v_fmac_f32_e32 v223, v6, v188
	v_add_f32_e32 v1, v1, v3
	v_add_f32_e32 v3, v4, v222
	;; [unrolled: 6-line block ×29, first 2 shown]
	v_mul_f32_e32 v4, v150, v184
	s_waitcnt vmcnt(4)
	v_fma_f32 v5, v147, v216, -v5
	v_mul_f32_e32 v252, v149, v184
	v_add_f32_e32 v1, v1, v3
	v_fmac_f32_e32 v251, v148, v216
	v_add_f32_e32 v2, v2, v250
	s_waitcnt lgkmcnt(0)
	v_mul_f32_e32 v3, v152, v185
	s_waitcnt vmcnt(3)
	v_fma_f32 v4, v149, v217, -v4
	v_add_f32_e32 v1, v1, v5
	v_mul_f32_e32 v253, v151, v185
	v_fmac_f32_e32 v252, v150, v217
	v_add_f32_e32 v2, v2, v251
	s_waitcnt vmcnt(2)
	v_fma_f32 v3, v151, v218, -v3
	v_add_f32_e32 v1, v1, v4
	v_fmac_f32_e32 v253, v152, v218
	v_add_f32_e32 v2, v2, v252
	v_add_f32_e32 v1, v1, v3
	;; [unrolled: 1-line block ×3, first 2 shown]
	s_waitcnt vmcnt(1)
	v_sub_f32_e32 v1, v219, v1
	s_waitcnt vmcnt(0)
	v_sub_f32_e32 v2, v220, v2
	buffer_store_dword v1, off, s[0:3], 0 offset:64
	buffer_store_dword v2, off, s[0:3], 0 offset:68
	v_cmpx_lt_u32_e32 7, v0
	s_cbranch_execz .LBB41_251
; %bb.250:
	s_clause 0x1
	buffer_load_dword v1, off, s[0:3], 0 offset:56
	buffer_load_dword v2, off, s[0:3], 0 offset:60
	buffer_store_dword v94, off, s[0:3], 0 offset:56
	buffer_store_dword v94, off, s[0:3], 0 offset:60
	s_waitcnt vmcnt(0)
	ds_write_b64 v93, v[1:2]
.LBB41_251:
	s_or_b32 exec_lo, exec_lo, s4
	s_waitcnt lgkmcnt(0)
	s_waitcnt_vscnt null, 0x0
	s_barrier
	buffer_gl0_inv
	s_clause 0x23
	buffer_load_dword v129, off, s[0:3], 0 offset:68
	buffer_load_dword v130, off, s[0:3], 0 offset:76
	;; [unrolled: 1-line block ×36, first 2 shown]
	ds_read_b128 v[5:8], v94 offset:400
	ds_read_b128 v[1:4], v94 offset:416
	;; [unrolled: 1-line block ×3, first 2 shown]
	s_clause 0x1
	buffer_load_dword v139, off, s[0:3], 0 offset:204
	buffer_load_dword v140, off, s[0:3], 0 offset:212
	ds_read_b128 v[135:138], v94 offset:448
	buffer_load_dword v143, off, s[0:3], 0 offset:60
	s_mov_b32 s4, exec_lo
	s_waitcnt vmcnt(38) lgkmcnt(3)
	v_mul_f32_e32 v141, v5, v129
	s_waitcnt vmcnt(37)
	v_mul_f32_e32 v142, v7, v130
	v_mul_f32_e32 v129, v6, v129
	;; [unrolled: 1-line block ×3, first 2 shown]
	s_waitcnt vmcnt(34)
	v_fmac_f32_e32 v141, v6, v101
	v_fmac_f32_e32 v142, v8, v100
	v_fma_f32 v101, v5, v101, -v129
	v_fma_f32 v100, v7, v100, -v130
	ds_read_b128 v[5:8], v94 offset:464
	s_waitcnt vmcnt(33) lgkmcnt(3)
	v_mul_f32_e32 v129, v1, v98
	v_mul_f32_e32 v98, v2, v98
	s_waitcnt vmcnt(32)
	v_mul_f32_e32 v130, v3, v97
	v_mul_f32_e32 v97, v4, v97
	s_waitcnt vmcnt(31) lgkmcnt(2)
	v_mul_f32_e32 v144, v131, v96
	v_fmac_f32_e32 v129, v2, v95
	v_fma_f32 v145, v1, v95, -v98
	s_waitcnt vmcnt(30)
	v_mul_f32_e32 v146, v133, v99
	v_mul_f32_e32 v95, v132, v96
	;; [unrolled: 1-line block ×3, first 2 shown]
	s_waitcnt vmcnt(26)
	v_fmac_f32_e32 v130, v4, v107
	v_fma_f32 v99, v3, v107, -v97
	ds_read_b128 v[1:4], v94 offset:480
	v_fmac_f32_e32 v144, v132, v106
	v_fma_f32 v106, v131, v106, -v95
	s_waitcnt vmcnt(25) lgkmcnt(2)
	v_mul_f32_e32 v107, v135, v103
	s_waitcnt vmcnt(24)
	v_mul_f32_e32 v131, v137, v104
	v_mul_f32_e32 v103, v136, v103
	;; [unrolled: 1-line block ×3, first 2 shown]
	v_fmac_f32_e32 v146, v134, v105
	v_fma_f32 v105, v133, v105, -v96
	ds_read_b128 v[95:98], v94 offset:496
	v_fmac_f32_e32 v107, v136, v102
	s_waitcnt vmcnt(19)
	v_fmac_f32_e32 v131, v138, v118
	v_fma_f32 v102, v135, v102, -v103
	v_fma_f32 v103, v137, v118, -v104
	s_clause 0x4
	buffer_load_dword v104, off, s[0:3], 0 offset:220
	buffer_load_dword v118, off, s[0:3], 0 offset:240
	buffer_load_dword v133, off, s[0:3], 0 offset:232
	buffer_load_dword v134, off, s[0:3], 0 offset:224
	buffer_load_dword v135, off, s[0:3], 0 offset:216
	s_waitcnt lgkmcnt(2)
	v_mul_f32_e32 v132, v5, v108
	v_mul_f32_e32 v108, v6, v108
	s_waitcnt vmcnt(23)
	v_mul_f32_e32 v136, v7, v114
	v_mul_f32_e32 v114, v8, v114
	v_fmac_f32_e32 v132, v6, v113
	v_fma_f32 v5, v5, v113, -v108
	s_waitcnt vmcnt(22) lgkmcnt(1)
	v_mul_f32_e32 v108, v1, v111
	v_fmac_f32_e32 v136, v8, v110
	v_fma_f32 v110, v7, v110, -v114
	s_waitcnt vmcnt(21)
	v_mul_f32_e32 v113, v3, v112
	v_mul_f32_e32 v6, v2, v111
	v_mul_f32_e32 v7, v4, v112
	s_clause 0x2
	buffer_load_dword v111, off, s[0:3], 0 offset:228
	buffer_load_dword v112, off, s[0:3], 0 offset:236
	;; [unrolled: 1-line block ×3, first 2 shown]
	v_fmac_f32_e32 v108, v2, v109
	s_waitcnt vmcnt(20)
	v_fmac_f32_e32 v113, v4, v127
	v_fma_f32 v109, v1, v109, -v6
	v_fma_f32 v127, v3, v127, -v7
	ds_read_b128 v[1:4], v94 offset:512
	v_add_f32_e32 v6, 0, v141
	v_add_f32_e32 v7, 0, v101
	s_waitcnt vmcnt(19) lgkmcnt(1)
	v_mul_f32_e32 v137, v95, v124
	s_waitcnt vmcnt(18)
	v_mul_f32_e32 v138, v97, v125
	v_mul_f32_e32 v8, v96, v124
	v_add_f32_e32 v6, v6, v142
	v_mul_f32_e32 v101, v98, v125
	v_add_f32_e32 v7, v7, v100
	v_fmac_f32_e32 v137, v96, v122
	v_fmac_f32_e32 v138, v98, v121
	v_add_f32_e32 v6, v6, v129
	v_fma_f32 v95, v95, v122, -v8
	v_fma_f32 v100, v97, v121, -v101
	v_add_f32_e32 v7, v7, v145
	s_clause 0x7
	buffer_load_dword v121, off, s[0:3], 0 offset:252
	buffer_load_dword v122, off, s[0:3], 0 offset:260
	;; [unrolled: 1-line block ×8, first 2 shown]
	v_add_f32_e32 v6, v6, v130
	v_add_f32_e32 v7, v7, v99
	s_waitcnt vmcnt(25) lgkmcnt(0)
	v_mul_f32_e32 v8, v2, v119
	v_mul_f32_e32 v101, v1, v119
	s_clause 0x3
	buffer_load_dword v119, off, s[0:3], 0 offset:284
	buffer_load_dword v130, off, s[0:3], 0 offset:292
	;; [unrolled: 1-line block ×4, first 2 shown]
	v_fma_f32 v99, v1, v116, -v8
	v_add_f32_e32 v1, v6, v144
	v_fmac_f32_e32 v101, v2, v116
	v_add_f32_e32 v6, v7, v106
	s_waitcnt vmcnt(28)
	v_mul_f32_e32 v106, v3, v117
	v_mul_f32_e32 v2, v4, v117
	v_add_f32_e32 v7, v1, v146
	s_clause 0x2
	buffer_load_dword v116, off, s[0:3], 0 offset:316
	buffer_load_dword v144, off, s[0:3], 0 offset:324
	;; [unrolled: 1-line block ×3, first 2 shown]
	s_waitcnt vmcnt(27)
	v_fmac_f32_e32 v106, v4, v128
	v_fma_f32 v128, v3, v128, -v2
	ds_read_b128 v[1:4], v94 offset:528
	v_add_f32_e32 v7, v7, v107
	v_add_f32_e32 v6, v6, v105
	;; [unrolled: 1-line block ×3, first 2 shown]
	s_clause 0x3
	buffer_load_dword v131, off, s[0:3], 0 offset:304
	buffer_load_dword v146, off, s[0:3], 0 offset:296
	;; [unrolled: 1-line block ×4, first 2 shown]
	v_add_f32_e32 v6, v6, v102
	v_add_f32_e32 v96, v7, v132
	;; [unrolled: 1-line block ×5, first 2 shown]
	ds_read_b128 v[5:8], v94 offset:544
	s_waitcnt vmcnt(30) lgkmcnt(1)
	v_mul_f32_e32 v103, v1, v126
	v_mul_f32_e32 v98, v2, v126
	s_waitcnt vmcnt(29)
	v_mul_f32_e32 v107, v3, v139
	v_fmac_f32_e32 v103, v2, v123
	v_fma_f32 v105, v1, v123, -v98
	s_clause 0x3
	buffer_load_dword v123, off, s[0:3], 0 offset:328
	buffer_load_dword v126, off, s[0:3], 0 offset:320
	;; [unrolled: 1-line block ×4, first 2 shown]
	v_add_f32_e32 v1, v97, v110
	v_add_f32_e32 v2, v96, v108
	v_mul_f32_e32 v96, v4, v139
	v_fmac_f32_e32 v107, v4, v120
	v_add_f32_e32 v1, v1, v109
	v_add_f32_e32 v2, v2, v113
	v_fma_f32 v108, v3, v120, -v96
	v_add_f32_e32 v97, v1, v127
	v_add_f32_e32 v102, v2, v137
	ds_read_b128 v[1:4], v94 offset:560
	s_waitcnt vmcnt(32) lgkmcnt(1)
	v_mul_f32_e32 v110, v5, v140
	v_mul_f32_e32 v113, v6, v140
	v_add_f32_e32 v109, v97, v95
	ds_read_b128 v[95:98], v94 offset:576
	v_add_f32_e32 v102, v102, v138
	v_fmac_f32_e32 v110, v6, v115
	v_fma_f32 v113, v5, v115, -v113
	v_add_f32_e32 v100, v109, v100
	v_add_f32_e32 v109, v102, v101
	;; [unrolled: 1-line block ×5, first 2 shown]
	s_waitcnt vmcnt(30)
	v_mul_f32_e32 v120, v7, v104
	v_mul_f32_e32 v104, v8, v104
	s_waitcnt vmcnt(26)
	v_fmac_f32_e32 v120, v8, v135
	v_fma_f32 v115, v7, v135, -v104
	v_add_f32_e32 v104, v100, v99
	ds_read_b128 v[5:8], v94 offset:592
	ds_read_b128 v[99:102], v94 offset:608
	v_add_f32_e32 v104, v104, v128
	s_waitcnt vmcnt(25) lgkmcnt(3)
	v_mul_f32_e32 v127, v1, v111
	v_mul_f32_e32 v109, v2, v111
	s_waitcnt vmcnt(24)
	v_mul_f32_e32 v128, v3, v112
	v_mul_f32_e32 v111, v4, v112
	s_waitcnt vmcnt(23) lgkmcnt(2)
	v_mul_f32_e32 v112, v95, v114
	v_fmac_f32_e32 v127, v2, v134
	v_fma_f32 v134, v1, v134, -v109
	v_add_f32_e32 v109, v104, v105
	v_fmac_f32_e32 v128, v4, v133
	v_fma_f32 v111, v3, v133, -v111
	v_mul_f32_e32 v114, v96, v114
	ds_read_b128 v[1:4], v94 offset:624
	ds_read_b128 v[103:106], v94 offset:640
	v_add_f32_e32 v133, v109, v108
	v_fmac_f32_e32 v112, v96, v118
	v_add_f32_e32 v96, v107, v110
	ds_read_b128 v[107:110], v94 offset:656
	v_fma_f32 v95, v95, v118, -v114
	v_add_f32_e32 v94, v133, v113
	s_waitcnt vmcnt(22)
	v_mul_f32_e32 v114, v98, v121
	v_add_f32_e32 v96, v96, v120
	v_mul_f32_e32 v113, v97, v121
	s_waitcnt vmcnt(21) lgkmcnt(4)
	v_mul_f32_e32 v118, v5, v122
	v_add_f32_e32 v94, v94, v115
	v_mul_f32_e32 v120, v6, v122
	v_add_f32_e32 v96, v96, v127
	s_waitcnt vmcnt(15)
	v_fma_f32 v97, v97, v145, -v114
	v_fmac_f32_e32 v113, v98, v145
	v_add_f32_e32 v94, v94, v134
	v_fmac_f32_e32 v118, v6, v142
	v_add_f32_e32 v96, v96, v128
	v_fma_f32 v5, v5, v142, -v120
	v_mul_f32_e32 v115, v7, v124
	v_add_f32_e32 v94, v94, v111
	v_mul_f32_e32 v111, v8, v124
	s_waitcnt lgkmcnt(3)
	v_mul_f32_e32 v98, v99, v125
	s_waitcnt vmcnt(14)
	v_mul_f32_e32 v114, v101, v119
	v_fmac_f32_e32 v115, v8, v141
	v_add_f32_e32 v94, v94, v95
	v_add_f32_e32 v95, v96, v112
	v_fma_f32 v7, v7, v141, -v111
	v_mul_f32_e32 v8, v102, v119
	v_fmac_f32_e32 v98, v100, v129
	v_add_f32_e32 v6, v94, v97
	v_add_f32_e32 v94, v95, v113
	v_mul_f32_e32 v95, v100, v125
	s_waitcnt vmcnt(13) lgkmcnt(2)
	v_mul_f32_e32 v121, v1, v130
	s_waitcnt vmcnt(12)
	v_mul_f32_e32 v122, v3, v147
	v_add_f32_e32 v5, v6, v5
	v_add_f32_e32 v6, v94, v118
	v_fma_f32 v94, v99, v129, -v95
	s_waitcnt vmcnt(4)
	v_fma_f32 v8, v101, v150, -v8
	v_fmac_f32_e32 v114, v102, v150
	v_add_f32_e32 v5, v5, v7
	v_add_f32_e32 v6, v6, v115
	v_mul_f32_e32 v7, v2, v130
	v_fmac_f32_e32 v121, v2, v149
	s_waitcnt lgkmcnt(1)
	v_mul_f32_e32 v127, v103, v148
	v_add_f32_e32 v5, v5, v94
	v_add_f32_e32 v6, v6, v98
	v_mul_f32_e32 v94, v4, v147
	v_fma_f32 v1, v1, v149, -v7
	v_fmac_f32_e32 v122, v4, v146
	v_add_f32_e32 v2, v5, v8
	v_add_f32_e32 v5, v6, v114
	v_mul_f32_e32 v6, v104, v148
	v_fma_f32 v3, v3, v146, -v94
	v_mul_f32_e32 v4, v106, v116
	v_add_f32_e32 v1, v2, v1
	v_add_f32_e32 v2, v5, v121
	v_fma_f32 v5, v103, v131, -v6
	v_mul_f32_e32 v124, v105, v116
	v_fmac_f32_e32 v127, v104, v131
	v_add_f32_e32 v1, v1, v3
	v_add_f32_e32 v2, v2, v122
	s_waitcnt lgkmcnt(0)
	v_mul_f32_e32 v3, v108, v144
	s_waitcnt vmcnt(1)
	v_fma_f32 v4, v105, v132, -v4
	v_mul_f32_e32 v128, v107, v144
	v_add_f32_e32 v1, v1, v5
	v_fmac_f32_e32 v124, v106, v132
	v_add_f32_e32 v2, v2, v127
	v_mul_f32_e32 v5, v110, v117
	v_fma_f32 v3, v107, v126, -v3
	v_add_f32_e32 v1, v1, v4
	v_mul_f32_e32 v96, v109, v117
	v_fmac_f32_e32 v128, v108, v126
	v_add_f32_e32 v2, v2, v124
	v_fma_f32 v4, v109, v123, -v5
	v_add_f32_e32 v1, v1, v3
	v_fmac_f32_e32 v96, v110, v123
	v_add_f32_e32 v2, v2, v128
	v_add_f32_e32 v1, v1, v4
	;; [unrolled: 1-line block ×3, first 2 shown]
	s_waitcnt vmcnt(0)
	v_sub_f32_e32 v1, v136, v1
	v_sub_f32_e32 v2, v143, v2
	buffer_store_dword v1, off, s[0:3], 0 offset:56
	buffer_store_dword v2, off, s[0:3], 0 offset:60
	v_cmpx_lt_u32_e32 6, v0
	s_cbranch_execz .LBB41_253
; %bb.252:
	s_clause 0x1
	buffer_load_dword v1, off, s[0:3], 0 offset:48
	buffer_load_dword v2, off, s[0:3], 0 offset:52
	v_mov_b32_e32 v3, 0
	buffer_store_dword v3, off, s[0:3], 0 offset:48
	buffer_store_dword v3, off, s[0:3], 0 offset:52
	s_waitcnt vmcnt(0)
	ds_write_b64 v93, v[1:2]
.LBB41_253:
	s_or_b32 exec_lo, exec_lo, s4
	s_waitcnt lgkmcnt(0)
	s_waitcnt_vscnt null, 0x0
	s_barrier
	buffer_gl0_inv
	s_clause 0x2a
	buffer_load_dword v7, off, s[0:3], 0 offset:60
	buffer_load_dword v8, off, s[0:3], 0 offset:68
	;; [unrolled: 1-line block ×43, first 2 shown]
	v_mov_b32_e32 v1, 0
	ds_read2_b64 v[126:129], v1 offset0:49 offset1:50
	ds_read2_b64 v[130:133], v1 offset0:51 offset1:52
	;; [unrolled: 1-line block ×3, first 2 shown]
	buffer_load_dword v144, off, s[0:3], 0 offset:52
	s_mov_b32 s4, exec_lo
	s_waitcnt vmcnt(43) lgkmcnt(2)
	v_mul_f32_e32 v142, v126, v7
	s_waitcnt vmcnt(42)
	v_mul_f32_e32 v143, v128, v8
	v_mul_f32_e32 v7, v127, v7
	;; [unrolled: 1-line block ×3, first 2 shown]
	s_waitcnt vmcnt(39)
	v_fmac_f32_e32 v142, v127, v6
	v_fmac_f32_e32 v143, v129, v5
	v_fma_f32 v145, v126, v6, -v7
	v_fma_f32 v146, v128, v5, -v8
	ds_read2_b64 v[5:8], v1 offset0:55 offset1:56
	ds_read2_b64 v[126:129], v1 offset0:57 offset1:58
	s_waitcnt vmcnt(38) lgkmcnt(3)
	v_mul_f32_e32 v147, v130, v3
	v_mul_f32_e32 v3, v131, v3
	s_waitcnt vmcnt(37)
	v_mul_f32_e32 v148, v132, v4
	v_mul_f32_e32 v4, v133, v4
	s_waitcnt vmcnt(32) lgkmcnt(2)
	v_mul_f32_e32 v150, v134, v101
	v_fmac_f32_e32 v147, v131, v2
	v_fma_f32 v149, v130, v2, -v3
	v_mul_f32_e32 v2, v135, v101
	s_waitcnt vmcnt(31)
	v_mul_f32_e32 v151, v136, v100
	v_mul_f32_e32 v3, v137, v100
	v_fmac_f32_e32 v148, v133, v102
	v_fma_f32 v102, v132, v102, -v4
	v_fmac_f32_e32 v150, v135, v97
	v_fma_f32 v134, v134, v97, -v2
	;; [unrolled: 2-line block ×3, first 2 shown]
	ds_read2_b64 v[130:133], v1 offset0:59 offset1:60
	s_waitcnt vmcnt(30) lgkmcnt(2)
	v_mul_f32_e32 v135, v5, v98
	v_mul_f32_e32 v2, v6, v98
	s_waitcnt vmcnt(29)
	v_mul_f32_e32 v137, v7, v96
	v_mul_f32_e32 v3, v8, v96
	s_waitcnt vmcnt(28) lgkmcnt(1)
	v_mul_f32_e32 v152, v126, v99
	v_fmac_f32_e32 v135, v6, v94
	v_fma_f32 v6, v5, v94, -v2
	s_waitcnt vmcnt(24)
	v_fmac_f32_e32 v137, v8, v109
	v_fma_f32 v7, v7, v109, -v3
	s_waitcnt vmcnt(23)
	v_mul_f32_e32 v8, v128, v108
	v_mul_f32_e32 v94, v127, v99
	v_mul_f32_e32 v95, v129, v108
	ds_read2_b64 v[2:5], v1 offset0:61 offset1:62
	v_fmac_f32_e32 v152, v127, v107
	v_fmac_f32_e32 v8, v129, v104
	v_fma_f32 v107, v126, v107, -v94
	v_fma_f32 v104, v128, v104, -v95
	ds_read2_b64 v[94:97], v1 offset0:63 offset1:64
	s_waitcnt vmcnt(22) lgkmcnt(2)
	v_mul_f32_e32 v108, v130, v106
	v_mul_f32_e32 v98, v131, v106
	s_waitcnt vmcnt(21)
	v_mul_f32_e32 v106, v132, v105
	v_mul_f32_e32 v99, v133, v105
	buffer_load_dword v105, off, s[0:3], 0 offset:220
	v_fmac_f32_e32 v108, v131, v103
	v_fma_f32 v103, v130, v103, -v98
	s_waitcnt vmcnt(18)
	v_fmac_f32_e32 v106, v133, v117
	v_fma_f32 v109, v132, v117, -v99
	s_waitcnt vmcnt(17) lgkmcnt(1)
	v_mul_f32_e32 v117, v2, v115
	s_waitcnt vmcnt(16)
	v_mul_f32_e32 v126, v4, v116
	v_mul_f32_e32 v98, v3, v115
	;; [unrolled: 1-line block ×3, first 2 shown]
	v_fmac_f32_e32 v117, v3, v112
	v_fmac_f32_e32 v126, v5, v111
	v_fma_f32 v112, v2, v112, -v98
	v_fma_f32 v111, v4, v111, -v99
	ds_read2_b64 v[2:5], v1 offset0:65 offset1:66
	s_waitcnt vmcnt(15) lgkmcnt(1)
	v_mul_f32_e32 v115, v94, v114
	v_mul_f32_e32 v100, v95, v114
	s_waitcnt vmcnt(14)
	v_mul_f32_e32 v114, v96, v113
	v_mul_f32_e32 v113, v97, v113
	v_fmac_f32_e32 v115, v95, v110
	v_fma_f32 v110, v94, v110, -v100
	ds_read2_b64 v[98:101], v1 offset0:67 offset1:68
	s_waitcnt vmcnt(10)
	v_fmac_f32_e32 v114, v97, v125
	v_fma_f32 v113, v96, v125, -v113
	s_clause 0x1
	buffer_load_dword v116, off, s[0:3], 0 offset:228
	buffer_load_dword v125, off, s[0:3], 0 offset:236
	s_waitcnt vmcnt(11) lgkmcnt(1)
	v_mul_f32_e32 v127, v2, v124
	v_mul_f32_e32 v94, v3, v124
	s_waitcnt vmcnt(10)
	v_mul_f32_e32 v128, v4, v123
	v_mul_f32_e32 v95, v5, v123
	buffer_load_dword v124, off, s[0:3], 0 offset:244
	v_fmac_f32_e32 v127, v3, v121
	v_fma_f32 v121, v2, v121, -v94
	v_fmac_f32_e32 v128, v5, v119
	s_waitcnt vmcnt(10) lgkmcnt(0)
	v_mul_f32_e32 v123, v98, v122
	v_mul_f32_e32 v2, v99, v122
	s_waitcnt vmcnt(9)
	v_mul_f32_e32 v3, v101, v120
	s_clause 0x3
	buffer_load_dword v122, off, s[0:3], 0 offset:264
	buffer_load_dword v129, off, s[0:3], 0 offset:256
	buffer_load_dword v130, off, s[0:3], 0 offset:248
	buffer_load_dword v131, off, s[0:3], 0 offset:240
	v_mul_f32_e32 v132, v100, v120
	v_fmac_f32_e32 v123, v99, v118
	v_fma_f32 v118, v98, v118, -v2
	v_add_f32_e32 v2, 0, v142
	s_clause 0x1
	buffer_load_dword v120, off, s[0:3], 0 offset:252
	buffer_load_dword v142, off, s[0:3], 0 offset:268
	s_waitcnt vmcnt(11)
	v_fma_f32 v133, v100, v141, -v3
	v_add_f32_e32 v3, 0, v145
	v_add_f32_e32 v2, v2, v143
	v_fmac_f32_e32 v132, v101, v141
	s_clause 0x4
	buffer_load_dword v141, off, s[0:3], 0 offset:260
	buffer_load_dword v143, off, s[0:3], 0 offset:276
	;; [unrolled: 1-line block ×5, first 2 shown]
	v_add_f32_e32 v3, v3, v146
	v_add_f32_e32 v2, v2, v147
	s_clause 0x1
	buffer_load_dword v146, off, s[0:3], 0 offset:308
	buffer_load_dword v147, off, s[0:3], 0 offset:316
	v_fma_f32 v119, v4, v119, -v95
	v_add_f32_e32 v3, v3, v149
	v_add_f32_e32 v2, v2, v148
	s_clause 0x1
	buffer_load_dword v148, off, s[0:3], 0 offset:324
	buffer_load_dword v149, off, s[0:3], 0 offset:332
	v_add_f32_e32 v3, v3, v102
	v_add_f32_e32 v2, v2, v150
	;; [unrolled: 1-line block ×4, first 2 shown]
	s_clause 0x3
	buffer_load_dword v134, off, s[0:3], 0 offset:296
	buffer_load_dword v150, off, s[0:3], 0 offset:288
	;; [unrolled: 1-line block ×4, first 2 shown]
	v_add_f32_e32 v3, v3, v136
	v_add_f32_e32 v2, v2, v135
	;; [unrolled: 1-line block ×4, first 2 shown]
	s_clause 0x4
	buffer_load_dword v135, off, s[0:3], 0 offset:328
	buffer_load_dword v136, off, s[0:3], 0 offset:320
	;; [unrolled: 1-line block ×5, first 2 shown]
	ds_read2_b64 v[94:97], v1 offset0:71 offset1:72
	v_add_f32_e32 v3, v3, v7
	v_add_f32_e32 v2, v2, v152
	;; [unrolled: 1-line block ×5, first 2 shown]
	ds_read2_b64 v[2:5], v1 offset0:69 offset1:70
	v_add_f32_e32 v6, v6, v108
	v_add_f32_e32 v7, v7, v103
	;; [unrolled: 1-line block ×14, first 2 shown]
	s_waitcnt vmcnt(27) lgkmcnt(0)
	v_mul_f32_e32 v8, v2, v105
	v_mul_f32_e32 v98, v3, v105
	v_fmac_f32_e32 v8, v3, v140
	v_add_f32_e32 v3, v7, v110
	v_fma_f32 v110, v2, v140, -v98
	v_add_f32_e32 v8, v117, v8
	v_add_f32_e32 v7, v3, v113
	;; [unrolled: 1-line block ×5, first 2 shown]
	s_waitcnt vmcnt(26)
	v_mul_f32_e32 v111, v4, v116
	v_mul_f32_e32 v99, v5, v116
	v_add_f32_e32 v118, v7, v133
	s_waitcnt vmcnt(25)
	v_mul_f32_e32 v106, v95, v125
	v_mul_f32_e32 v113, v94, v125
	v_fmac_f32_e32 v111, v5, v139
	v_fma_f32 v112, v4, v139, -v99
	ds_read2_b64 v[2:5], v1 offset0:73 offset1:74
	ds_read2_b64 v[98:101], v1 offset0:75 offset1:76
	v_add_f32_e32 v110, v118, v110
	v_fma_f32 v116, v94, v138, -v106
	v_fmac_f32_e32 v113, v95, v138
	v_add_f32_e32 v8, v8, v111
	ds_read2_b64 v[102:105], v1 offset0:77 offset1:78
	ds_read2_b64 v[106:109], v1 offset0:79 offset1:80
	s_waitcnt vmcnt(24)
	v_mul_f32_e32 v115, v97, v124
	v_add_f32_e32 v110, v110, v112
	v_mul_f32_e32 v114, v96, v124
	v_add_f32_e32 v8, v8, v113
	v_add_f32_e32 v110, v110, v116
	s_waitcnt vmcnt(20)
	v_fma_f32 v115, v96, v131, -v115
	v_fmac_f32_e32 v114, v97, v131
	ds_read2_b64 v[94:97], v1 offset0:81 offset1:82
	ds_read_b64 v[6:7], v1 offset:664
	s_waitcnt vmcnt(19) lgkmcnt(5)
	v_mul_f32_e32 v118, v3, v120
	v_mul_f32_e32 v119, v2, v120
	v_add_f32_e32 v110, v110, v115
	v_add_f32_e32 v8, v8, v114
	s_waitcnt vmcnt(18) lgkmcnt(4)
	v_mul_f32_e32 v117, v98, v142
	v_fma_f32 v2, v2, v130, -v118
	s_waitcnt vmcnt(17)
	v_mul_f32_e32 v120, v5, v141
	v_mul_f32_e32 v121, v4, v141
	v_fmac_f32_e32 v119, v3, v130
	v_mul_f32_e32 v118, v99, v142
	v_add_f32_e32 v2, v110, v2
	v_fma_f32 v4, v4, v129, -v120
	v_fmac_f32_e32 v121, v5, v129
	v_add_f32_e32 v5, v8, v119
	s_waitcnt vmcnt(16)
	v_mul_f32_e32 v8, v101, v143
	v_fma_f32 v98, v98, v122, -v118
	v_add_f32_e32 v2, v2, v4
	v_mul_f32_e32 v112, v100, v143
	v_fmac_f32_e32 v117, v99, v122
	v_add_f32_e32 v4, v5, v121
	s_waitcnt vmcnt(15) lgkmcnt(3)
	v_mul_f32_e32 v5, v103, v145
	v_add_f32_e32 v2, v2, v98
	v_mul_f32_e32 v123, v102, v145
	s_waitcnt vmcnt(14)
	v_mul_f32_e32 v98, v105, v153
	v_add_f32_e32 v4, v4, v117
	s_waitcnt vmcnt(5)
	v_fma_f32 v8, v100, v155, -v8
	v_fmac_f32_e32 v112, v101, v155
	v_fma_f32 v5, v102, v151, -v5
	v_mul_f32_e32 v111, v104, v153
	v_fmac_f32_e32 v123, v103, v151
	v_add_f32_e32 v2, v2, v8
	v_add_f32_e32 v4, v4, v112
	s_waitcnt lgkmcnt(2)
	v_mul_f32_e32 v8, v107, v154
	v_fma_f32 v98, v104, v150, -v98
	v_mul_f32_e32 v116, v106, v154
	v_add_f32_e32 v2, v2, v5
	v_fmac_f32_e32 v111, v105, v150
	v_add_f32_e32 v4, v4, v123
	v_mul_f32_e32 v5, v109, v146
	v_fma_f32 v8, v106, v134, -v8
	v_add_f32_e32 v2, v2, v98
	v_mul_f32_e32 v3, v108, v146
	v_fmac_f32_e32 v116, v107, v134
	v_add_f32_e32 v4, v4, v111
	s_waitcnt lgkmcnt(1)
	v_mul_f32_e32 v98, v95, v147
	s_waitcnt vmcnt(1)
	v_fma_f32 v5, v108, v156, -v5
	v_add_f32_e32 v2, v2, v8
	v_mul_f32_e32 v113, v94, v147
	v_fmac_f32_e32 v3, v109, v156
	v_add_f32_e32 v4, v4, v116
	v_mul_f32_e32 v8, v97, v148
	v_fma_f32 v94, v94, v137, -v98
	v_add_f32_e32 v2, v2, v5
	v_mul_f32_e32 v115, v96, v148
	v_fmac_f32_e32 v113, v95, v137
	v_add_f32_e32 v3, v4, v3
	s_waitcnt lgkmcnt(0)
	v_mul_f32_e32 v4, v7, v149
	v_fma_f32 v5, v96, v136, -v8
	v_add_f32_e32 v2, v2, v94
	v_mul_f32_e32 v114, v6, v149
	v_fmac_f32_e32 v115, v97, v136
	v_add_f32_e32 v3, v3, v113
	v_fma_f32 v4, v6, v135, -v4
	v_add_f32_e32 v2, v2, v5
	v_fmac_f32_e32 v114, v7, v135
	v_add_f32_e32 v3, v3, v115
	v_add_f32_e32 v2, v2, v4
	;; [unrolled: 1-line block ×3, first 2 shown]
	s_waitcnt vmcnt(0)
	v_sub_f32_e32 v2, v157, v2
	v_sub_f32_e32 v3, v144, v3
	buffer_store_dword v2, off, s[0:3], 0 offset:48
	buffer_store_dword v3, off, s[0:3], 0 offset:52
	v_cmpx_lt_u32_e32 5, v0
	s_cbranch_execz .LBB41_255
; %bb.254:
	s_clause 0x1
	buffer_load_dword v2, off, s[0:3], 0 offset:40
	buffer_load_dword v3, off, s[0:3], 0 offset:44
	buffer_store_dword v1, off, s[0:3], 0 offset:40
	buffer_store_dword v1, off, s[0:3], 0 offset:44
	s_waitcnt vmcnt(0)
	ds_write_b64 v93, v[2:3]
.LBB41_255:
	s_or_b32 exec_lo, exec_lo, s4
	s_waitcnt lgkmcnt(0)
	s_waitcnt_vscnt null, 0x0
	s_barrier
	buffer_gl0_inv
	s_clause 0x2a
	buffer_load_dword v8, off, s[0:3], 0 offset:52
	buffer_load_dword v94, off, s[0:3], 0 offset:60
	;; [unrolled: 1-line block ×43, first 2 shown]
	ds_read_b128 v[126:129], v1 offset:384
	ds_read_b128 v[130:133], v1 offset:400
	;; [unrolled: 1-line block ×3, first 2 shown]
	buffer_load_dword v144, off, s[0:3], 0 offset:44
	s_mov_b32 s4, exec_lo
	s_waitcnt vmcnt(43) lgkmcnt(2)
	v_mul_f32_e32 v142, v126, v8
	s_waitcnt vmcnt(42)
	v_mul_f32_e32 v143, v128, v94
	v_mul_f32_e32 v8, v127, v8
	;; [unrolled: 1-line block ×3, first 2 shown]
	s_waitcnt vmcnt(39)
	v_fmac_f32_e32 v142, v127, v6
	v_fmac_f32_e32 v143, v129, v5
	v_fma_f32 v6, v126, v6, -v8
	v_fma_f32 v8, v128, v5, -v94
	ds_read_b128 v[126:129], v1 offset:432
	s_waitcnt vmcnt(38) lgkmcnt(2)
	v_mul_f32_e32 v145, v130, v3
	s_waitcnt vmcnt(37)
	v_mul_f32_e32 v146, v132, v4
	v_mul_f32_e32 v3, v131, v3
	;; [unrolled: 1-line block ×3, first 2 shown]
	s_waitcnt vmcnt(32) lgkmcnt(1)
	v_mul_f32_e32 v94, v135, v99
	v_fmac_f32_e32 v145, v131, v2
	v_fmac_f32_e32 v146, v133, v101
	v_fma_f32 v130, v130, v2, -v3
	v_fma_f32 v131, v132, v101, -v4
	ds_read_b128 v[2:5], v1 offset:448
	v_mul_f32_e32 v132, v134, v99
	s_waitcnt vmcnt(31)
	v_mul_f32_e32 v133, v136, v100
	v_mul_f32_e32 v99, v137, v100
	v_fma_f32 v134, v134, v98, -v94
	v_fmac_f32_e32 v132, v135, v98
	v_fmac_f32_e32 v133, v137, v95
	v_fma_f32 v135, v136, v95, -v99
	ds_read_b128 v[98:101], v1 offset:464
	s_waitcnt vmcnt(30) lgkmcnt(2)
	v_mul_f32_e32 v136, v126, v96
	s_waitcnt vmcnt(29)
	v_mul_f32_e32 v137, v128, v97
	v_mul_f32_e32 v94, v127, v96
	;; [unrolled: 1-line block ×3, first 2 shown]
	v_fmac_f32_e32 v136, v127, v7
	s_waitcnt vmcnt(25)
	v_fmac_f32_e32 v137, v129, v109
	v_fma_f32 v7, v126, v7, -v94
	v_fma_f32 v109, v128, v109, -v95
	ds_read_b128 v[94:97], v1 offset:480
	s_waitcnt vmcnt(24) lgkmcnt(2)
	v_mul_f32_e32 v126, v2, v107
	s_waitcnt vmcnt(23)
	v_mul_f32_e32 v127, v4, v108
	v_mul_f32_e32 v107, v3, v107
	;; [unrolled: 1-line block ×3, first 2 shown]
	v_fmac_f32_e32 v126, v3, v106
	v_fmac_f32_e32 v127, v5, v103
	v_fma_f32 v106, v2, v106, -v107
	v_fma_f32 v103, v4, v103, -v108
	ds_read_b128 v[2:5], v1 offset:496
	s_waitcnt vmcnt(22) lgkmcnt(2)
	v_mul_f32_e32 v107, v98, v104
	s_waitcnt vmcnt(21)
	v_mul_f32_e32 v108, v100, v105
	v_mul_f32_e32 v104, v99, v104
	;; [unrolled: 1-line block ×3, first 2 shown]
	v_fmac_f32_e32 v107, v99, v102
	s_waitcnt vmcnt(17)
	v_fmac_f32_e32 v108, v101, v117
	v_fma_f32 v102, v98, v102, -v104
	v_fma_f32 v104, v100, v117, -v105
	s_waitcnt vmcnt(16) lgkmcnt(1)
	v_mul_f32_e32 v105, v94, v115
	v_mul_f32_e32 v115, v95, v115
	ds_read_b128 v[98:101], v1 offset:512
	s_waitcnt vmcnt(15)
	v_mul_f32_e32 v117, v96, v116
	v_mul_f32_e32 v116, v97, v116
	v_fmac_f32_e32 v105, v95, v114
	v_fma_f32 v94, v94, v114, -v115
	s_clause 0x1
	buffer_load_dword v114, off, s[0:3], 0 offset:212
	buffer_load_dword v115, off, s[0:3], 0 offset:220
	v_fmac_f32_e32 v117, v97, v111
	v_fma_f32 v111, v96, v111, -v116
	s_waitcnt vmcnt(16) lgkmcnt(1)
	v_mul_f32_e32 v116, v2, v112
	s_waitcnt vmcnt(15)
	v_mul_f32_e32 v128, v4, v113
	v_mul_f32_e32 v95, v3, v112
	;; [unrolled: 1-line block ×3, first 2 shown]
	buffer_load_dword v113, off, s[0:3], 0 offset:228
	v_fmac_f32_e32 v116, v3, v110
	s_waitcnt vmcnt(12)
	v_fmac_f32_e32 v128, v5, v125
	v_fma_f32 v110, v2, v110, -v95
	v_fma_f32 v112, v4, v125, -v96
	ds_read_b128 v[2:5], v1 offset:528
	s_waitcnt vmcnt(11) lgkmcnt(1)
	v_mul_f32_e32 v125, v98, v123
	s_waitcnt vmcnt(10)
	v_mul_f32_e32 v129, v100, v124
	v_mul_f32_e32 v95, v99, v123
	;; [unrolled: 1-line block ×3, first 2 shown]
	s_clause 0x5
	buffer_load_dword v123, off, s[0:3], 0 offset:236
	buffer_load_dword v124, off, s[0:3], 0 offset:256
	;; [unrolled: 1-line block ×6, first 2 shown]
	v_fmac_f32_e32 v125, v99, v122
	v_fma_f32 v122, v98, v122, -v95
	v_fmac_f32_e32 v129, v101, v121
	v_fma_f32 v121, v100, v121, -v96
	s_waitcnt vmcnt(15) lgkmcnt(0)
	v_mul_f32_e32 v150, v2, v120
	v_mul_f32_e32 v95, v3, v120
	v_fmac_f32_e32 v150, v3, v118
	v_add_f32_e32 v3, 0, v142
	v_fma_f32 v118, v2, v118, -v95
	v_add_f32_e32 v2, 0, v6
	s_waitcnt vmcnt(14)
	v_mul_f32_e32 v6, v4, v119
	v_mul_f32_e32 v95, v5, v119
	v_add_f32_e32 v3, v3, v143
	buffer_load_dword v119, off, s[0:3], 0 offset:252
	v_add_f32_e32 v2, v2, v8
	buffer_load_dword v8, off, s[0:3], 0 offset:260
	s_waitcnt vmcnt(12)
	v_fmac_f32_e32 v6, v5, v141
	v_add_f32_e32 v3, v3, v145
	v_fma_f32 v120, v4, v141, -v95
	v_add_f32_e32 v2, v2, v130
	s_clause 0x3
	buffer_load_dword v141, off, s[0:3], 0 offset:268
	buffer_load_dword v130, off, s[0:3], 0 offset:276
	;; [unrolled: 1-line block ×4, first 2 shown]
	v_add_f32_e32 v3, v3, v146
	v_add_f32_e32 v2, v2, v131
	s_clause 0x3
	buffer_load_dword v131, off, s[0:3], 0 offset:300
	buffer_load_dword v145, off, s[0:3], 0 offset:308
	buffer_load_dword v146, off, s[0:3], 0 offset:316
	buffer_load_dword v152, off, s[0:3], 0 offset:324
	v_add_f32_e32 v3, v3, v132
	buffer_load_dword v132, off, s[0:3], 0 offset:332
	v_add_f32_e32 v2, v2, v134
	v_add_f32_e32 v3, v3, v133
	;; [unrolled: 1-line block ×3, first 2 shown]
	s_clause 0x3
	buffer_load_dword v133, off, s[0:3], 0 offset:288
	buffer_load_dword v134, off, s[0:3], 0 offset:280
	;; [unrolled: 1-line block ×4, first 2 shown]
	v_add_f32_e32 v3, v3, v136
	v_add_f32_e32 v2, v2, v7
	;; [unrolled: 1-line block ×3, first 2 shown]
	s_clause 0x4
	buffer_load_dword v7, off, s[0:3], 0 offset:320
	buffer_load_dword v136, off, s[0:3], 0 offset:312
	;; [unrolled: 1-line block ×5, first 2 shown]
	v_add_f32_e32 v2, v2, v109
	v_add_f32_e32 v3, v3, v126
	buffer_load_dword v126, off, s[0:3], 0 offset:328
	v_add_f32_e32 v2, v2, v106
	v_add_f32_e32 v3, v3, v127
	;; [unrolled: 1-line block ×5, first 2 shown]
	ds_read_b128 v[2:5], v1 offset:544
	v_add_f32_e32 v95, v95, v108
	v_add_f32_e32 v96, v96, v104
	;; [unrolled: 1-line block ×4, first 2 shown]
	ds_read_b128 v[94:97], v1 offset:560
	v_add_f32_e32 v98, v98, v117
	v_add_f32_e32 v99, v99, v111
	;; [unrolled: 1-line block ×11, first 2 shown]
	s_waitcnt vmcnt(29) lgkmcnt(1)
	v_mul_f32_e32 v117, v2, v114
	v_mul_f32_e32 v100, v3, v114
	s_waitcnt vmcnt(28)
	v_mul_f32_e32 v114, v4, v115
	v_mul_f32_e32 v101, v5, v115
	v_fmac_f32_e32 v117, v3, v140
	v_fma_f32 v115, v2, v140, -v100
	v_fmac_f32_e32 v114, v5, v139
	v_fma_f32 v116, v4, v139, -v101
	ds_read_b128 v[2:5], v1 offset:576
	ds_read_b128 v[98:101], v1 offset:592
	s_waitcnt vmcnt(27) lgkmcnt(2)
	v_mul_f32_e32 v127, v94, v113
	v_mul_f32_e32 v104, v95, v113
	v_fmac_f32_e32 v127, v95, v138
	v_add_f32_e32 v95, v103, v129
	v_fma_f32 v122, v94, v138, -v104
	s_waitcnt vmcnt(26)
	v_mul_f32_e32 v128, v96, v123
	v_mul_f32_e32 v105, v97, v123
	v_add_f32_e32 v107, v95, v150
	s_waitcnt vmcnt(22)
	v_fmac_f32_e32 v128, v97, v149
	v_fma_f32 v121, v96, v149, -v105
	v_add_f32_e32 v6, v107, v6
	ds_read_b128 v[94:97], v1 offset:608
	ds_read_b128 v[102:105], v1 offset:624
	s_waitcnt vmcnt(21) lgkmcnt(3)
	v_mul_f32_e32 v111, v3, v151
	v_mul_f32_e32 v118, v2, v151
	ds_read_b128 v[106:109], v1 offset:640
	v_fma_f32 v2, v2, v148, -v111
	ds_read_b128 v[110:113], v1 offset:656
	v_add_f32_e32 v1, v120, v115
	v_fmac_f32_e32 v118, v3, v148
	v_add_f32_e32 v3, v6, v117
	v_add_f32_e32 v1, v1, v116
	;; [unrolled: 1-line block ×3, first 2 shown]
	s_waitcnt vmcnt(20)
	v_mul_f32_e32 v115, v5, v119
	v_add_f32_e32 v1, v1, v122
	v_mul_f32_e32 v6, v4, v119
	v_add_f32_e32 v3, v3, v127
	s_waitcnt vmcnt(19) lgkmcnt(4)
	v_mul_f32_e32 v114, v98, v8
	v_mul_f32_e32 v8, v99, v8
	v_add_f32_e32 v1, v1, v121
	v_fma_f32 v4, v4, v147, -v115
	v_add_f32_e32 v3, v3, v128
	v_fmac_f32_e32 v6, v5, v147
	s_waitcnt vmcnt(18)
	v_mul_f32_e32 v121, v101, v141
	v_add_f32_e32 v1, v1, v2
	v_fma_f32 v8, v98, v124, -v8
	v_add_f32_e32 v2, v3, v118
	v_mul_f32_e32 v116, v100, v141
	v_fmac_f32_e32 v114, v99, v124
	v_add_f32_e32 v1, v1, v4
	s_waitcnt vmcnt(17) lgkmcnt(3)
	v_mul_f32_e32 v4, v95, v130
	v_add_f32_e32 v2, v2, v6
	v_mul_f32_e32 v5, v94, v130
	s_waitcnt vmcnt(16)
	v_mul_f32_e32 v115, v96, v142
	v_add_f32_e32 v1, v1, v8
	s_waitcnt vmcnt(6)
	v_fma_f32 v6, v100, v153, -v121
	v_fmac_f32_e32 v116, v101, v153
	v_add_f32_e32 v2, v2, v114
	v_mul_f32_e32 v8, v97, v142
	v_fma_f32 v4, v94, v135, -v4
	v_add_f32_e32 v1, v1, v6
	v_fmac_f32_e32 v5, v95, v135
	v_add_f32_e32 v2, v2, v116
	s_waitcnt lgkmcnt(2)
	v_mul_f32_e32 v6, v103, v143
	v_fma_f32 v8, v96, v134, -v8
	v_add_f32_e32 v1, v1, v4
	v_mul_f32_e32 v117, v102, v143
	v_fmac_f32_e32 v115, v97, v134
	v_add_f32_e32 v2, v2, v5
	v_mul_f32_e32 v4, v105, v131
	v_fma_f32 v5, v102, v133, -v6
	v_add_f32_e32 v1, v1, v8
	v_mul_f32_e32 v119, v104, v131
	v_fmac_f32_e32 v117, v103, v133
	v_add_f32_e32 v2, v2, v115
	s_waitcnt lgkmcnt(1)
	v_mul_f32_e32 v6, v107, v145
	s_waitcnt vmcnt(2)
	v_fma_f32 v4, v104, v154, -v4
	v_add_f32_e32 v1, v1, v5
	v_mul_f32_e32 v120, v106, v145
	v_fmac_f32_e32 v119, v105, v154
	v_add_f32_e32 v2, v2, v117
	v_mul_f32_e32 v5, v109, v146
	v_fma_f32 v6, v106, v137, -v6
	v_add_f32_e32 v1, v1, v4
	v_mul_f32_e32 v122, v108, v146
	v_fmac_f32_e32 v120, v107, v137
	v_add_f32_e32 v2, v2, v119
	s_waitcnt lgkmcnt(0)
	v_mul_f32_e32 v4, v111, v152
	v_fma_f32 v5, v108, v136, -v5
	v_add_f32_e32 v1, v1, v6
	v_mul_f32_e32 v123, v110, v152
	v_fmac_f32_e32 v122, v109, v136
	v_add_f32_e32 v2, v2, v120
	v_mul_f32_e32 v6, v113, v132
	v_fma_f32 v4, v110, v7, -v4
	v_add_f32_e32 v1, v1, v5
	v_mul_f32_e32 v3, v112, v132
	v_fmac_f32_e32 v123, v111, v7
	v_add_f32_e32 v2, v2, v122
	s_waitcnt vmcnt(0)
	v_fma_f32 v5, v112, v126, -v6
	v_add_f32_e32 v1, v1, v4
	v_fmac_f32_e32 v3, v113, v126
	v_add_f32_e32 v2, v2, v123
	v_add_f32_e32 v1, v1, v5
	;; [unrolled: 1-line block ×3, first 2 shown]
	v_sub_f32_e32 v1, v155, v1
	v_sub_f32_e32 v2, v144, v2
	buffer_store_dword v1, off, s[0:3], 0 offset:40
	buffer_store_dword v2, off, s[0:3], 0 offset:44
	v_cmpx_lt_u32_e32 4, v0
	s_cbranch_execz .LBB41_257
; %bb.256:
	s_clause 0x1
	buffer_load_dword v1, off, s[0:3], 0 offset:32
	buffer_load_dword v2, off, s[0:3], 0 offset:36
	v_mov_b32_e32 v3, 0
	buffer_store_dword v3, off, s[0:3], 0 offset:32
	buffer_store_dword v3, off, s[0:3], 0 offset:36
	s_waitcnt vmcnt(0)
	ds_write_b64 v93, v[1:2]
.LBB41_257:
	s_or_b32 exec_lo, exec_lo, s4
	s_waitcnt lgkmcnt(0)
	s_waitcnt_vscnt null, 0x0
	s_barrier
	buffer_gl0_inv
	s_clause 0x2b
	buffer_load_dword v125, off, s[0:3], 0 offset:44
	buffer_load_dword v2, off, s[0:3], 0 offset:56
	;; [unrolled: 1-line block ×44, first 2 shown]
	v_mov_b32_e32 v1, 0
	ds_read2_b64 v[126:129], v1 offset0:47 offset1:48
	ds_read2_b64 v[130:133], v1 offset0:49 offset1:50
	ds_read2_b64 v[134:137], v1 offset0:51 offset1:52
	buffer_load_dword v144, off, s[0:3], 0 offset:36
	s_mov_b32 s4, exec_lo
	s_waitcnt vmcnt(44) lgkmcnt(2)
	v_mul_f32_e32 v143, v126, v125
	v_mul_f32_e32 v125, v127, v125
	s_waitcnt vmcnt(40)
	v_mul_f32_e32 v146, v128, v94
	v_mul_f32_e32 v94, v129, v94
	v_fmac_f32_e32 v143, v127, v95
	v_fma_f32 v145, v126, v95, -v125
	s_waitcnt vmcnt(39) lgkmcnt(1)
	v_mul_f32_e32 v148, v130, v7
	v_fmac_f32_e32 v146, v129, v5
	v_fma_f32 v147, v128, v5, -v94
	v_mul_f32_e32 v5, v131, v7
	ds_read2_b64 v[125:128], v1 offset0:53 offset1:54
	v_fmac_f32_e32 v148, v131, v2
	s_waitcnt vmcnt(38)
	v_mul_f32_e32 v150, v132, v4
	v_fma_f32 v149, v130, v2, -v5
	v_mul_f32_e32 v2, v133, v4
	s_waitcnt vmcnt(34)
	v_fmac_f32_e32 v150, v133, v99
	s_waitcnt vmcnt(33) lgkmcnt(1)
	v_mul_f32_e32 v133, v134, v98
	v_fma_f32 v99, v132, v99, -v2
	v_mul_f32_e32 v2, v135, v98
	ds_read2_b64 v[129:132], v1 offset0:55 offset1:56
	v_fmac_f32_e32 v133, v135, v96
	v_fma_f32 v98, v134, v96, -v2
	s_waitcnt vmcnt(32)
	v_mul_f32_e32 v134, v136, v97
	v_mul_f32_e32 v2, v137, v97
	ds_read2_b64 v[94:97], v1 offset0:59 offset1:60
	v_fmac_f32_e32 v134, v137, v6
	v_fma_f32 v135, v136, v6, -v2
	s_waitcnt vmcnt(31) lgkmcnt(2)
	v_mul_f32_e32 v2, v126, v8
	ds_read2_b64 v[4:7], v1 offset0:57 offset1:58
	v_mul_f32_e32 v136, v125, v8
	v_fma_f32 v8, v125, v3, -v2
	s_waitcnt vmcnt(30)
	v_mul_f32_e32 v2, v128, v100
	v_mul_f32_e32 v125, v127, v100
	v_fmac_f32_e32 v136, v126, v3
	s_waitcnt vmcnt(24) lgkmcnt(2)
	v_mul_f32_e32 v126, v131, v105
	v_fma_f32 v100, v127, v108, -v2
	v_mul_f32_e32 v2, v130, v107
	v_fmac_f32_e32 v125, v128, v108
	v_mul_f32_e32 v108, v129, v107
	v_fmac_f32_e32 v126, v132, v102
	v_fma_f32 v107, v129, v104, -v2
	v_mul_f32_e32 v2, v132, v105
	v_fmac_f32_e32 v108, v130, v104
	s_waitcnt vmcnt(23) lgkmcnt(0)
	v_mul_f32_e32 v128, v4, v103
	s_waitcnt vmcnt(22)
	v_mul_f32_e32 v129, v6, v106
	v_fma_f32 v127, v131, v102, -v2
	v_mul_f32_e32 v2, v5, v103
	ds_read2_b64 v[102:105], v1 offset0:61 offset1:62
	v_fmac_f32_e32 v128, v5, v101
	s_waitcnt vmcnt(18)
	v_fmac_f32_e32 v129, v7, v117
	v_fma_f32 v101, v4, v101, -v2
	v_mul_f32_e32 v2, v7, v106
	s_waitcnt vmcnt(17)
	v_mul_f32_e32 v7, v94, v116
	s_waitcnt vmcnt(16)
	v_mul_f32_e32 v106, v96, v115
	v_mul_f32_e32 v115, v97, v115
	v_fma_f32 v6, v6, v117, -v2
	v_mul_f32_e32 v2, v95, v116
	v_fmac_f32_e32 v7, v95, v113
	v_fmac_f32_e32 v106, v97, v110
	v_fma_f32 v110, v96, v110, -v115
	v_add_f32_e32 v96, 0, v143
	v_fma_f32 v113, v94, v113, -v2
	ds_read2_b64 v[2:5], v1 offset0:63 offset1:64
	s_clause 0x2
	buffer_load_dword v115, off, s[0:3], 0 offset:212
	buffer_load_dword v116, off, s[0:3], 0 offset:220
	;; [unrolled: 1-line block ×3, first 2 shown]
	s_waitcnt vmcnt(18) lgkmcnt(1)
	v_mul_f32_e32 v117, v102, v111
	v_mul_f32_e32 v94, v103, v111
	s_waitcnt vmcnt(17)
	v_mul_f32_e32 v111, v104, v114
	v_mul_f32_e32 v95, v105, v114
	v_fmac_f32_e32 v117, v103, v109
	v_fma_f32 v102, v102, v109, -v94
	s_waitcnt vmcnt(13)
	v_fmac_f32_e32 v111, v105, v124
	v_fma_f32 v103, v104, v124, -v95
	v_add_f32_e32 v105, v96, v146
	ds_read2_b64 v[94:97], v1 offset0:65 offset1:66
	v_add_f32_e32 v104, 0, v145
	v_add_f32_e32 v105, v105, v148
	;; [unrolled: 1-line block ×3, first 2 shown]
	s_waitcnt vmcnt(12) lgkmcnt(1)
	v_mul_f32_e32 v109, v2, v123
	v_mul_f32_e32 v114, v3, v123
	s_clause 0x3
	buffer_load_dword v123, off, s[0:3], 0 offset:248
	buffer_load_dword v124, off, s[0:3], 0 offset:240
	;; [unrolled: 1-line block ×4, first 2 shown]
	v_fmac_f32_e32 v109, v3, v122
	v_fma_f32 v114, v2, v122, -v114
	s_clause 0x1
	buffer_load_dword v122, off, s[0:3], 0 offset:236
	buffer_load_dword v137, off, s[0:3], 0 offset:244
	v_add_f32_e32 v2, v104, v149
	v_add_f32_e32 v3, v105, v150
	s_waitcnt vmcnt(17)
	v_mul_f32_e32 v104, v4, v121
	v_mul_f32_e32 v105, v5, v121
	buffer_load_dword v121, off, s[0:3], 0 offset:252
	v_add_f32_e32 v2, v2, v99
	v_add_f32_e32 v3, v3, v133
	v_fmac_f32_e32 v104, v5, v119
	v_fma_f32 v105, v4, v119, -v105
	s_clause 0x3
	buffer_load_dword v119, off, s[0:3], 0 offset:260
	buffer_load_dword v133, off, s[0:3], 0 offset:268
	;; [unrolled: 1-line block ×4, first 2 shown]
	v_add_f32_e32 v98, v2, v98
	v_add_f32_e32 v99, v3, v134
	ds_read2_b64 v[2:5], v1 offset0:67 offset1:68
	s_waitcnt vmcnt(21) lgkmcnt(1)
	v_mul_f32_e32 v134, v94, v118
	v_mul_f32_e32 v118, v95, v118
	v_add_f32_e32 v98, v98, v135
	v_add_f32_e32 v99, v99, v136
	s_waitcnt vmcnt(20)
	v_mul_f32_e32 v135, v96, v120
	v_fmac_f32_e32 v134, v95, v112
	v_fma_f32 v112, v94, v112, -v118
	v_add_f32_e32 v8, v98, v8
	v_add_f32_e32 v94, v99, v125
	v_mul_f32_e32 v98, v97, v120
	s_clause 0x4
	buffer_load_dword v118, off, s[0:3], 0 offset:292
	buffer_load_dword v120, off, s[0:3], 0 offset:300
	;; [unrolled: 1-line block ×5, first 2 shown]
	v_add_f32_e32 v8, v8, v100
	s_clause 0x4
	buffer_load_dword v147, off, s[0:3], 0 offset:280
	buffer_load_dword v148, off, s[0:3], 0 offset:272
	;; [unrolled: 1-line block ×5, first 2 shown]
	v_add_f32_e32 v94, v94, v108
	s_waitcnt vmcnt(26)
	v_fmac_f32_e32 v135, v97, v141
	v_fma_f32 v141, v96, v141, -v98
	v_add_f32_e32 v8, v8, v107
	v_add_f32_e32 v94, v94, v126
	s_waitcnt vmcnt(25) lgkmcnt(0)
	v_mul_f32_e32 v99, v3, v142
	v_mul_f32_e32 v126, v2, v142
	v_add_f32_e32 v8, v8, v127
	v_add_f32_e32 v98, v94, v128
	ds_read2_b64 v[94:97], v1 offset0:69 offset1:70
	v_fma_f32 v107, v2, v140, -v99
	v_add_f32_e32 v8, v8, v101
	v_fmac_f32_e32 v126, v3, v140
	v_add_f32_e32 v98, v98, v129
	v_add_f32_e32 v2, v8, v6
	s_clause 0x3
	buffer_load_dword v8, off, s[0:3], 0 offset:312
	buffer_load_dword v127, off, s[0:3], 0 offset:304
	;; [unrolled: 1-line block ×4, first 2 shown]
	v_add_f32_e32 v3, v98, v7
	v_add_f32_e32 v2, v2, v113
	s_clause 0x1
	buffer_load_dword v113, off, s[0:3], 0 offset:328
	buffer_load_dword v140, off, s[0:3], 0 offset:320
	v_add_f32_e32 v3, v3, v106
	ds_read2_b64 v[98:101], v1 offset0:73 offset1:74
	v_add_f32_e32 v2, v2, v110
	buffer_load_dword v110, off, s[0:3], 0 offset:32
	v_add_f32_e32 v6, v3, v117
	v_add_f32_e32 v7, v2, v102
	;; [unrolled: 1-line block ×11, first 2 shown]
	s_waitcnt vmcnt(30)
	v_mul_f32_e32 v117, v4, v115
	v_mul_f32_e32 v3, v5, v115
	s_waitcnt vmcnt(29) lgkmcnt(1)
	v_mul_f32_e32 v102, v95, v116
	v_mul_f32_e32 v111, v94, v116
	s_waitcnt vmcnt(28)
	v_mul_f32_e32 v103, v97, v130
	v_fmac_f32_e32 v117, v5, v139
	v_fma_f32 v115, v4, v139, -v3
	ds_read2_b64 v[2:5], v1 offset0:71 offset1:72
	v_fma_f32 v114, v94, v138, -v102
	v_mul_f32_e32 v116, v96, v130
	v_fmac_f32_e32 v111, v95, v138
	s_waitcnt vmcnt(24)
	v_fma_f32 v130, v96, v132, -v103
	v_fmac_f32_e32 v116, v97, v132
	ds_read2_b64 v[94:97], v1 offset0:75 offset1:76
	ds_read2_b64 v[102:105], v1 offset0:77 offset1:78
	s_waitcnt vmcnt(23) lgkmcnt(2)
	v_mul_f32_e32 v112, v2, v122
	v_mul_f32_e32 v106, v3, v122
	s_waitcnt vmcnt(22)
	v_mul_f32_e32 v122, v4, v137
	v_mul_f32_e32 v132, v5, v137
	v_fmac_f32_e32 v112, v3, v131
	v_fma_f32 v131, v2, v131, -v106
	v_add_f32_e32 v2, v6, v135
	v_add_f32_e32 v6, v7, v107
	v_fmac_f32_e32 v122, v5, v124
	v_fma_f32 v124, v4, v124, -v132
	s_waitcnt vmcnt(21)
	v_mul_f32_e32 v132, v98, v121
	v_add_f32_e32 v126, v2, v126
	v_add_f32_e32 v115, v6, v115
	ds_read2_b64 v[106:109], v1 offset0:79 offset1:80
	ds_read2_b64 v[2:5], v1 offset0:81 offset1:82
	v_fmac_f32_e32 v132, v99, v123
	v_add_f32_e32 v117, v126, v117
	v_add_f32_e32 v114, v115, v114
	v_mul_f32_e32 v115, v99, v121
	s_waitcnt vmcnt(20)
	v_mul_f32_e32 v126, v100, v119
	v_mul_f32_e32 v119, v101, v119
	v_add_f32_e32 v111, v117, v111
	v_add_f32_e32 v114, v114, v130
	v_fma_f32 v98, v98, v123, -v115
	s_waitcnt vmcnt(19) lgkmcnt(3)
	v_mul_f32_e32 v117, v94, v133
	v_mul_f32_e32 v123, v95, v133
	v_add_f32_e32 v111, v111, v116
	v_add_f32_e32 v114, v114, v131
	s_waitcnt vmcnt(8)
	v_fma_f32 v100, v100, v150, -v119
	v_fmac_f32_e32 v126, v101, v150
	v_fmac_f32_e32 v117, v95, v149
	v_add_f32_e32 v111, v111, v112
	v_add_f32_e32 v114, v114, v124
	v_fma_f32 v94, v94, v149, -v123
	v_mul_f32_e32 v121, v96, v143
	s_waitcnt lgkmcnt(2)
	v_mul_f32_e32 v130, v102, v145
	v_add_f32_e32 v111, v111, v122
	v_add_f32_e32 v98, v114, v98
	v_mul_f32_e32 v116, v104, v118
	v_fmac_f32_e32 v121, v97, v148
	v_fmac_f32_e32 v130, v103, v147
	v_add_f32_e32 v101, v111, v132
	v_mul_f32_e32 v111, v97, v143
	v_add_f32_e32 v95, v98, v100
	v_mul_f32_e32 v100, v103, v145
	v_mul_f32_e32 v97, v105, v118
	v_add_f32_e32 v98, v101, v126
	v_fma_f32 v96, v96, v148, -v111
	v_add_f32_e32 v94, v95, v94
	ds_read_b64 v[6:7], v1 offset:664
	s_waitcnt vmcnt(3)
	v_fma_f32 v97, v104, v129, -v97
	v_add_f32_e32 v95, v98, v117
	v_fma_f32 v98, v102, v147, -v100
	v_add_f32_e32 v94, v94, v96
	s_waitcnt lgkmcnt(2)
	v_mul_f32_e32 v96, v107, v120
	v_mul_f32_e32 v131, v106, v120
	v_add_f32_e32 v95, v95, v121
	v_fmac_f32_e32 v116, v105, v129
	v_add_f32_e32 v94, v94, v98
	v_mul_f32_e32 v98, v109, v125
	v_fma_f32 v96, v106, v128, -v96
	v_add_f32_e32 v95, v95, v130
	v_mul_f32_e32 v99, v108, v125
	v_add_f32_e32 v94, v94, v97
	v_fmac_f32_e32 v131, v107, v128
	s_waitcnt lgkmcnt(1)
	v_mul_f32_e32 v112, v2, v136
	v_add_f32_e32 v95, v95, v116
	v_mul_f32_e32 v97, v3, v136
	v_fma_f32 v98, v108, v127, -v98
	v_add_f32_e32 v94, v94, v96
	v_fmac_f32_e32 v99, v109, v127
	v_add_f32_e32 v95, v95, v131
	v_mul_f32_e32 v96, v5, v146
	v_fmac_f32_e32 v112, v3, v8
	v_fma_f32 v2, v2, v8, -v97
	v_add_f32_e32 v3, v94, v98
	v_mul_f32_e32 v115, v4, v146
	v_add_f32_e32 v8, v95, v99
	s_waitcnt lgkmcnt(0)
	v_mul_f32_e32 v94, v7, v151
	s_waitcnt vmcnt(1)
	v_fma_f32 v4, v4, v140, -v96
	v_add_f32_e32 v2, v3, v2
	v_mul_f32_e32 v122, v6, v151
	v_fmac_f32_e32 v115, v5, v140
	v_add_f32_e32 v3, v8, v112
	v_fma_f32 v5, v6, v113, -v94
	v_add_f32_e32 v2, v2, v4
	v_fmac_f32_e32 v122, v7, v113
	v_add_f32_e32 v3, v3, v115
	v_add_f32_e32 v2, v2, v5
	;; [unrolled: 1-line block ×3, first 2 shown]
	s_waitcnt vmcnt(0)
	v_sub_f32_e32 v2, v110, v2
	v_sub_f32_e32 v3, v144, v3
	buffer_store_dword v2, off, s[0:3], 0 offset:32
	buffer_store_dword v3, off, s[0:3], 0 offset:36
	v_cmpx_lt_u32_e32 3, v0
	s_cbranch_execz .LBB41_259
; %bb.258:
	s_clause 0x1
	buffer_load_dword v2, off, s[0:3], 0 offset:24
	buffer_load_dword v3, off, s[0:3], 0 offset:28
	buffer_store_dword v1, off, s[0:3], 0 offset:24
	buffer_store_dword v1, off, s[0:3], 0 offset:28
	s_waitcnt vmcnt(0)
	ds_write_b64 v93, v[2:3]
.LBB41_259:
	s_or_b32 exec_lo, exec_lo, s4
	s_waitcnt lgkmcnt(0)
	s_waitcnt_vscnt null, 0x0
	s_barrier
	buffer_gl0_inv
	s_clause 0x2b
	buffer_load_dword v125, off, s[0:3], 0 offset:36
	buffer_load_dword v2, off, s[0:3], 0 offset:48
	;; [unrolled: 1-line block ×44, first 2 shown]
	ds_read_b128 v[126:129], v1 offset:368
	ds_read_b128 v[130:133], v1 offset:384
	;; [unrolled: 1-line block ×3, first 2 shown]
	buffer_load_dword v144, off, s[0:3], 0 offset:28
	s_mov_b32 s4, exec_lo
	s_waitcnt vmcnt(44) lgkmcnt(2)
	v_mul_f32_e32 v143, v126, v125
	v_mul_f32_e32 v125, v127, v125
	s_waitcnt vmcnt(40)
	v_mul_f32_e32 v146, v128, v94
	v_mul_f32_e32 v94, v129, v94
	s_waitcnt vmcnt(39) lgkmcnt(1)
	v_mul_f32_e32 v148, v130, v7
	v_fmac_f32_e32 v143, v127, v95
	v_fma_f32 v145, v126, v95, -v125
	v_fmac_f32_e32 v146, v129, v5
	v_fma_f32 v147, v128, v5, -v94
	v_mul_f32_e32 v5, v131, v7
	ds_read_b128 v[125:128], v1 offset:416
	v_fmac_f32_e32 v148, v131, v2
	s_waitcnt vmcnt(38)
	v_mul_f32_e32 v150, v132, v4
	v_fma_f32 v149, v130, v2, -v5
	v_mul_f32_e32 v2, v133, v4
	s_waitcnt vmcnt(34)
	v_fmac_f32_e32 v150, v133, v99
	s_waitcnt vmcnt(33) lgkmcnt(1)
	v_mul_f32_e32 v133, v134, v98
	v_fma_f32 v99, v132, v99, -v2
	v_mul_f32_e32 v2, v135, v98
	ds_read_b128 v[129:132], v1 offset:432
	v_fmac_f32_e32 v133, v135, v96
	v_fma_f32 v98, v134, v96, -v2
	s_waitcnt vmcnt(32)
	v_mul_f32_e32 v134, v136, v97
	v_mul_f32_e32 v2, v137, v97
	ds_read_b128 v[94:97], v1 offset:464
	v_fmac_f32_e32 v134, v137, v6
	v_fma_f32 v135, v136, v6, -v2
	ds_read_b128 v[4:7], v1 offset:448
	s_waitcnt vmcnt(31) lgkmcnt(3)
	v_mul_f32_e32 v2, v126, v8
	v_mul_f32_e32 v136, v125, v8
	s_waitcnt vmcnt(30)
	v_mul_f32_e32 v137, v127, v100
	v_fma_f32 v8, v125, v3, -v2
	v_mul_f32_e32 v2, v128, v100
	s_waitcnt vmcnt(26)
	v_fmac_f32_e32 v137, v128, v108
	v_fmac_f32_e32 v136, v126, v3
	s_waitcnt vmcnt(24) lgkmcnt(2)
	v_mul_f32_e32 v3, v132, v106
	v_fma_f32 v100, v127, v108, -v2
	v_mul_f32_e32 v108, v129, v107
	v_mul_f32_e32 v2, v130, v107
	;; [unrolled: 1-line block ×3, first 2 shown]
	ds_read_b128 v[125:128], v1 offset:480
	v_fmac_f32_e32 v108, v130, v104
	v_fma_f32 v104, v129, v104, -v2
	s_waitcnt vmcnt(23) lgkmcnt(1)
	v_mul_f32_e32 v106, v4, v103
	v_mul_f32_e32 v2, v5, v103
	s_waitcnt vmcnt(22)
	v_mul_f32_e32 v103, v6, v105
	v_fmac_f32_e32 v107, v132, v102
	v_fma_f32 v102, v131, v102, -v3
	v_fmac_f32_e32 v106, v5, v101
	v_fma_f32 v101, v4, v101, -v2
	v_mul_f32_e32 v2, v7, v105
	s_waitcnt vmcnt(18)
	v_fmac_f32_e32 v103, v7, v118
	s_clause 0x1
	buffer_load_dword v7, off, s[0:3], 0 offset:204
	buffer_load_dword v105, off, s[0:3], 0 offset:212
	s_waitcnt vmcnt(18)
	v_mul_f32_e32 v3, v97, v115
	v_fma_f32 v6, v6, v118, -v2
	v_mul_f32_e32 v118, v94, v116
	v_mul_f32_e32 v2, v95, v116
	;; [unrolled: 1-line block ×3, first 2 shown]
	s_waitcnt vmcnt(17) lgkmcnt(0)
	v_mul_f32_e32 v115, v125, v114
	v_mul_f32_e32 v114, v126, v114
	v_fmac_f32_e32 v118, v95, v112
	v_fma_f32 v112, v94, v112, -v2
	s_waitcnt vmcnt(16)
	v_mul_f32_e32 v129, v127, v119
	v_mul_f32_e32 v94, v128, v119
	v_fmac_f32_e32 v116, v97, v111
	v_fma_f32 v111, v96, v111, -v3
	ds_read_b128 v[2:5], v1 offset:496
	v_fmac_f32_e32 v115, v126, v109
	v_fma_f32 v109, v125, v109, -v114
	s_waitcnt vmcnt(12)
	v_fmac_f32_e32 v129, v128, v124
	v_fma_f32 v114, v127, v124, -v94
	s_clause 0x7
	buffer_load_dword v119, off, s[0:3], 0 offset:220
	buffer_load_dword v124, off, s[0:3], 0 offset:240
	;; [unrolled: 1-line block ×8, first 2 shown]
	v_add_f32_e32 v94, 0, v143
	v_add_f32_e32 v95, 0, v145
	;; [unrolled: 1-line block ×6, first 2 shown]
	s_waitcnt vmcnt(19) lgkmcnt(0)
	v_mul_f32_e32 v143, v2, v123
	v_mul_f32_e32 v123, v3, v123
	v_add_f32_e32 v132, v94, v150
	v_add_f32_e32 v99, v95, v99
	ds_read_b128 v[94:97], v1 offset:512
	v_fmac_f32_e32 v143, v3, v121
	v_fma_f32 v121, v2, v121, -v123
	v_add_f32_e32 v132, v132, v133
	v_add_f32_e32 v98, v99, v98
	s_waitcnt vmcnt(18)
	v_mul_f32_e32 v133, v4, v122
	v_mul_f32_e32 v99, v5, v122
	v_add_f32_e32 v3, v132, v134
	v_add_f32_e32 v98, v98, v135
	v_fmac_f32_e32 v133, v5, v120
	v_fma_f32 v120, v4, v120, -v99
	v_add_f32_e32 v2, v3, v136
	v_add_f32_e32 v3, v98, v8
	s_clause 0x7
	buffer_load_dword v8, off, s[0:3], 0 offset:252
	buffer_load_dword v122, off, s[0:3], 0 offset:260
	;; [unrolled: 1-line block ×8, first 2 shown]
	v_add_f32_e32 v2, v2, v137
	v_add_f32_e32 v3, v3, v100
	s_waitcnt vmcnt(25) lgkmcnt(0)
	v_mul_f32_e32 v146, v94, v117
	v_mul_f32_e32 v4, v95, v117
	s_clause 0x3
	buffer_load_dword v117, off, s[0:3], 0 offset:284
	buffer_load_dword v137, off, s[0:3], 0 offset:292
	;; [unrolled: 1-line block ×4, first 2 shown]
	v_add_f32_e32 v2, v2, v108
	s_clause 0x1
	buffer_load_dword v149, off, s[0:3], 0 offset:316
	buffer_load_dword v150, off, s[0:3], 0 offset:324
	v_fmac_f32_e32 v146, v95, v110
	v_fma_f32 v110, v94, v110, -v4
	v_add_f32_e32 v94, v3, v104
	s_waitcnt vmcnt(30)
	v_mul_f32_e32 v3, v97, v113
	v_mul_f32_e32 v108, v96, v113
	v_add_f32_e32 v95, v2, v107
	buffer_load_dword v151, off, s[0:3], 0 offset:332
	v_add_f32_e32 v94, v94, v102
	s_waitcnt vmcnt(27)
	v_fma_f32 v107, v96, v141, -v3
	ds_read_b128 v[2:5], v1 offset:528
	v_fmac_f32_e32 v108, v97, v141
	v_add_f32_e32 v95, v95, v106
	s_clause 0x3
	buffer_load_dword v141, off, s[0:3], 0 offset:304
	buffer_load_dword v152, off, s[0:3], 0 offset:296
	;; [unrolled: 1-line block ×4, first 2 shown]
	v_add_f32_e32 v94, v94, v101
	v_add_f32_e32 v95, v95, v103
	;; [unrolled: 1-line block ×4, first 2 shown]
	ds_read_b128 v[94:97], v1 offset:544
	v_add_f32_e32 v6, v6, v112
	v_add_f32_e32 v98, v98, v116
	s_waitcnt vmcnt(30) lgkmcnt(1)
	v_mul_f32_e32 v106, v2, v142
	v_mul_f32_e32 v99, v3, v142
	v_fmac_f32_e32 v106, v3, v140
	v_fma_f32 v112, v2, v140, -v99
	v_add_f32_e32 v2, v6, v111
	v_add_f32_e32 v3, v98, v115
	s_clause 0x3
	buffer_load_dword v6, off, s[0:3], 0 offset:328
	buffer_load_dword v115, off, s[0:3], 0 offset:320
	;; [unrolled: 1-line block ×4, first 2 shown]
	v_add_f32_e32 v2, v2, v109
	v_add_f32_e32 v3, v3, v129
	;; [unrolled: 1-line block ×6, first 2 shown]
	ds_read_b128 v[98:101], v1 offset:576
	v_add_f32_e32 v103, v103, v120
	v_add_f32_e32 v113, v102, v146
	v_add_f32_e32 v110, v103, v110
	v_add_f32_e32 v108, v113, v108
	v_add_f32_e32 v107, v110, v107
	v_add_f32_e32 v106, v108, v106
	s_waitcnt vmcnt(32)
	v_mul_f32_e32 v109, v4, v7
	v_mul_f32_e32 v7, v5, v7
	s_waitcnt vmcnt(31) lgkmcnt(1)
	v_mul_f32_e32 v111, v94, v105
	v_mul_f32_e32 v104, v95, v105
	v_fmac_f32_e32 v109, v5, v139
	v_fma_f32 v7, v4, v139, -v7
	ds_read_b128 v[2:5], v1 offset:560
	v_fmac_f32_e32 v111, v95, v138
	s_waitcnt vmcnt(30)
	v_mul_f32_e32 v114, v96, v119
	v_mul_f32_e32 v105, v97, v119
	v_fma_f32 v119, v94, v138, -v104
	s_waitcnt vmcnt(26)
	v_fmac_f32_e32 v114, v97, v127
	v_fma_f32 v120, v96, v127, -v105
	ds_read_b128 v[94:97], v1 offset:592
	ds_read_b128 v[102:105], v1 offset:608
	s_waitcnt vmcnt(23) lgkmcnt(3)
	v_mul_f32_e32 v129, v99, v131
	s_waitcnt lgkmcnt(2)
	v_mul_f32_e32 v121, v2, v128
	v_mul_f32_e32 v110, v3, v128
	;; [unrolled: 1-line block ×5, first 2 shown]
	v_fmac_f32_e32 v121, v3, v126
	v_fma_f32 v126, v2, v126, -v110
	v_add_f32_e32 v110, v107, v112
	v_add_f32_e32 v112, v106, v109
	v_fmac_f32_e32 v127, v5, v125
	v_fma_f32 v125, v4, v125, -v113
	ds_read_b128 v[2:5], v1 offset:624
	ds_read_b128 v[106:109], v1 offset:640
	v_add_f32_e32 v7, v110, v7
	v_fmac_f32_e32 v128, v99, v124
	v_add_f32_e32 v99, v112, v111
	ds_read_b128 v[110:113], v1 offset:656
	v_fma_f32 v98, v98, v124, -v129
	v_add_f32_e32 v1, v7, v119
	v_add_f32_e32 v99, v99, v114
	s_waitcnt vmcnt(22)
	v_mul_f32_e32 v7, v100, v8
	v_add_f32_e32 v1, v1, v120
	v_mul_f32_e32 v8, v101, v8
	v_add_f32_e32 v99, v99, v121
	s_waitcnt vmcnt(21) lgkmcnt(4)
	v_mul_f32_e32 v120, v95, v122
	v_mul_f32_e32 v114, v94, v122
	v_add_f32_e32 v1, v1, v126
	s_waitcnt vmcnt(15)
	v_fma_f32 v8, v100, v145, -v8
	v_add_f32_e32 v99, v99, v127
	v_fmac_f32_e32 v7, v101, v145
	v_mul_f32_e32 v119, v96, v123
	v_add_f32_e32 v1, v1, v125
	v_mul_f32_e32 v123, v97, v123
	v_fma_f32 v94, v94, v136, -v120
	v_fmac_f32_e32 v114, v95, v136
	s_waitcnt lgkmcnt(3)
	v_mul_f32_e32 v100, v102, v132
	v_add_f32_e32 v1, v1, v98
	v_add_f32_e32 v98, v99, v128
	v_fma_f32 v95, v96, v135, -v123
	v_fmac_f32_e32 v119, v97, v135
	s_waitcnt vmcnt(14)
	v_mul_f32_e32 v101, v104, v117
	v_add_f32_e32 v1, v1, v8
	v_add_f32_e32 v7, v98, v7
	v_mul_f32_e32 v8, v103, v132
	v_fmac_f32_e32 v100, v103, v134
	s_waitcnt vmcnt(13) lgkmcnt(2)
	v_mul_f32_e32 v121, v2, v137
	v_add_f32_e32 v1, v1, v94
	v_add_f32_e32 v7, v7, v114
	v_mul_f32_e32 v94, v105, v117
	v_fma_f32 v8, v102, v134, -v8
	s_waitcnt vmcnt(4)
	v_fmac_f32_e32 v101, v105, v154
	v_add_f32_e32 v1, v1, v95
	v_add_f32_e32 v7, v7, v119
	v_mul_f32_e32 v95, v3, v137
	v_fma_f32 v94, v104, v154, -v94
	v_mul_f32_e32 v122, v4, v147
	v_add_f32_e32 v1, v1, v8
	v_add_f32_e32 v7, v7, v100
	v_mul_f32_e32 v8, v5, v147
	v_fma_f32 v2, v2, v153, -v95
	v_fmac_f32_e32 v121, v3, v153
	v_add_f32_e32 v1, v1, v94
	v_add_f32_e32 v3, v7, v101
	s_waitcnt lgkmcnt(1)
	v_mul_f32_e32 v7, v107, v148
	v_fma_f32 v4, v4, v152, -v8
	v_mul_f32_e32 v124, v106, v148
	v_add_f32_e32 v1, v1, v2
	v_fmac_f32_e32 v122, v5, v152
	v_add_f32_e32 v2, v3, v121
	v_mul_f32_e32 v3, v109, v149
	v_fma_f32 v5, v106, v141, -v7
	v_add_f32_e32 v1, v1, v4
	v_mul_f32_e32 v125, v108, v149
	v_fmac_f32_e32 v124, v107, v141
	v_add_f32_e32 v2, v2, v122
	s_waitcnt lgkmcnt(0)
	v_mul_f32_e32 v4, v111, v150
	s_waitcnt vmcnt(1)
	v_fma_f32 v3, v108, v116, -v3
	v_add_f32_e32 v1, v1, v5
	v_mul_f32_e32 v126, v110, v150
	v_fmac_f32_e32 v125, v109, v116
	v_add_f32_e32 v2, v2, v124
	v_mul_f32_e32 v5, v113, v151
	v_fma_f32 v4, v110, v115, -v4
	v_add_f32_e32 v1, v1, v3
	v_mul_f32_e32 v99, v112, v151
	v_fmac_f32_e32 v126, v111, v115
	v_add_f32_e32 v2, v2, v125
	v_fma_f32 v3, v112, v6, -v5
	v_add_f32_e32 v1, v1, v4
	v_fmac_f32_e32 v99, v113, v6
	v_add_f32_e32 v2, v2, v126
	v_add_f32_e32 v1, v1, v3
	;; [unrolled: 1-line block ×3, first 2 shown]
	s_waitcnt vmcnt(0)
	v_sub_f32_e32 v1, v118, v1
	v_sub_f32_e32 v2, v144, v2
	buffer_store_dword v1, off, s[0:3], 0 offset:24
	buffer_store_dword v2, off, s[0:3], 0 offset:28
	v_cmpx_lt_u32_e32 2, v0
	s_cbranch_execz .LBB41_261
; %bb.260:
	s_clause 0x1
	buffer_load_dword v1, off, s[0:3], 0 offset:16
	buffer_load_dword v2, off, s[0:3], 0 offset:20
	v_mov_b32_e32 v3, 0
	buffer_store_dword v3, off, s[0:3], 0 offset:16
	buffer_store_dword v3, off, s[0:3], 0 offset:20
	s_waitcnt vmcnt(0)
	ds_write_b64 v93, v[1:2]
.LBB41_261:
	s_or_b32 exec_lo, exec_lo, s4
	s_waitcnt lgkmcnt(0)
	s_waitcnt_vscnt null, 0x0
	s_barrier
	buffer_gl0_inv
	s_clause 0x2c
	buffer_load_dword v124, off, s[0:3], 0 offset:28
	buffer_load_dword v125, off, s[0:3], 0 offset:36
	;; [unrolled: 1-line block ×45, first 2 shown]
	v_mov_b32_e32 v1, 0
	ds_read2_b64 v[126:129], v1 offset0:45 offset1:46
	ds_read2_b64 v[130:133], v1 offset0:47 offset1:48
	buffer_load_dword v142, off, s[0:3], 0 offset:20
	s_mov_b32 s4, exec_lo
	s_waitcnt vmcnt(45) lgkmcnt(1)
	v_mul_f32_e32 v140, v126, v124
	v_mul_f32_e32 v124, v127, v124
	s_waitcnt vmcnt(44)
	v_mul_f32_e32 v141, v128, v125
	v_mul_f32_e32 v125, v129, v125
	s_waitcnt vmcnt(41)
	v_fmac_f32_e32 v140, v127, v95
	v_fma_f32 v143, v126, v95, -v124
	s_waitcnt vmcnt(40) lgkmcnt(0)
	v_mul_f32_e32 v145, v130, v4
	v_fma_f32 v144, v128, v7, -v125
	ds_read2_b64 v[124:127], v1 offset0:49 offset1:50
	s_waitcnt vmcnt(39)
	v_mul_f32_e32 v146, v132, v5
	v_mul_f32_e32 v4, v131, v4
	v_fmac_f32_e32 v141, v129, v7
	v_mul_f32_e32 v5, v133, v5
	v_fmac_f32_e32 v145, v131, v2
	s_waitcnt vmcnt(35)
	v_fmac_f32_e32 v146, v133, v98
	v_fma_f32 v133, v130, v2, -v4
	ds_read2_b64 v[128:131], v1 offset0:51 offset1:52
	v_fma_f32 v98, v132, v98, -v5
	s_waitcnt vmcnt(34) lgkmcnt(1)
	v_mul_f32_e32 v132, v124, v97
	v_mul_f32_e32 v2, v125, v97
	s_waitcnt vmcnt(33)
	v_mul_f32_e32 v147, v126, v96
	v_mul_f32_e32 v4, v127, v96
	v_fmac_f32_e32 v132, v125, v94
	v_fma_f32 v124, v124, v94, -v2
	v_fmac_f32_e32 v147, v127, v6
	v_fma_f32 v125, v126, v6, -v4
	ds_read2_b64 v[4:7], v1 offset0:53 offset1:54
	s_waitcnt vmcnt(32) lgkmcnt(1)
	v_mul_f32_e32 v126, v128, v8
	v_mul_f32_e32 v2, v129, v8
	s_waitcnt vmcnt(31)
	v_mul_f32_e32 v8, v130, v99
	v_mul_f32_e32 v94, v131, v99
	v_fmac_f32_e32 v126, v129, v3
	v_fma_f32 v99, v128, v3, -v2
	s_waitcnt vmcnt(27)
	v_fmac_f32_e32 v8, v131, v107
	v_fma_f32 v107, v130, v107, -v94
	ds_read2_b64 v[94:97], v1 offset0:55 offset1:56
	buffer_load_dword v131, off, s[0:3], 0 offset:212
	s_waitcnt vmcnt(27) lgkmcnt(1)
	v_mul_f32_e32 v127, v4, v105
	v_mul_f32_e32 v2, v5, v105
	s_waitcnt vmcnt(26)
	v_mul_f32_e32 v105, v6, v104
	v_mul_f32_e32 v3, v7, v104
	v_fmac_f32_e32 v127, v5, v103
	v_fma_f32 v103, v4, v103, -v2
	v_fmac_f32_e32 v105, v7, v101
	v_fma_f32 v6, v6, v101, -v3
	ds_read2_b64 v[2:5], v1 offset0:57 offset1:58
	s_waitcnt vmcnt(25) lgkmcnt(1)
	v_mul_f32_e32 v7, v94, v102
	v_mul_f32_e32 v101, v95, v102
	s_waitcnt vmcnt(24)
	v_mul_f32_e32 v102, v96, v106
	v_mul_f32_e32 v104, v97, v106
	v_fmac_f32_e32 v7, v95, v100
	v_fma_f32 v100, v94, v100, -v101
	s_waitcnt vmcnt(20)
	v_fmac_f32_e32 v102, v97, v115
	v_fma_f32 v101, v96, v115, -v104
	ds_read2_b64 v[94:97], v1 offset0:59 offset1:60
	s_waitcnt vmcnt(19) lgkmcnt(1)
	v_mul_f32_e32 v104, v2, v113
	v_mul_f32_e32 v106, v3, v113
	s_waitcnt vmcnt(18)
	v_mul_f32_e32 v113, v4, v112
	v_mul_f32_e32 v112, v5, v112
	v_fmac_f32_e32 v104, v3, v111
	v_fma_f32 v106, v2, v111, -v106
	v_fmac_f32_e32 v113, v5, v109
	v_fma_f32 v109, v4, v109, -v112
	ds_read2_b64 v[2:5], v1 offset0:61 offset1:62
	s_waitcnt vmcnt(17) lgkmcnt(1)
	v_mul_f32_e32 v111, v94, v110
	v_mul_f32_e32 v110, v95, v110
	s_waitcnt vmcnt(16)
	v_mul_f32_e32 v112, v96, v114
	v_mul_f32_e32 v114, v97, v114
	v_fmac_f32_e32 v111, v95, v108
	v_fma_f32 v108, v94, v108, -v110
	s_waitcnt vmcnt(12)
	v_fmac_f32_e32 v112, v97, v122
	v_fma_f32 v110, v96, v122, -v114
	ds_read2_b64 v[94:97], v1 offset0:63 offset1:64
	s_waitcnt vmcnt(11) lgkmcnt(1)
	v_mul_f32_e32 v114, v2, v121
	v_mul_f32_e32 v115, v3, v121
	s_waitcnt vmcnt(10)
	v_mul_f32_e32 v121, v4, v120
	v_mul_f32_e32 v120, v5, v120
	v_fmac_f32_e32 v114, v3, v119
	v_fma_f32 v115, v2, v119, -v115
	v_fmac_f32_e32 v121, v5, v117
	v_fma_f32 v117, v4, v117, -v120
	ds_read2_b64 v[2:5], v1 offset0:65 offset1:66
	s_waitcnt vmcnt(8) lgkmcnt(1)
	v_mul_f32_e32 v120, v96, v123
	v_mul_f32_e32 v122, v97, v123
	buffer_load_dword v123, off, s[0:3], 0 offset:204
	v_mul_f32_e32 v119, v94, v118
	v_mul_f32_e32 v118, v95, v118
	s_waitcnt vmcnt(5)
	v_fmac_f32_e32 v120, v97, v137
	v_fmac_f32_e32 v119, v95, v116
	v_fma_f32 v116, v94, v116, -v118
	v_fma_f32 v118, v96, v137, -v122
	ds_read2_b64 v[94:97], v1 offset0:67 offset1:68
	s_waitcnt vmcnt(4) lgkmcnt(1)
	v_mul_f32_e32 v122, v2, v138
	v_mul_f32_e32 v128, v3, v138
	s_waitcnt vmcnt(3)
	v_mul_f32_e32 v129, v4, v139
	v_mul_f32_e32 v130, v5, v139
	v_fmac_f32_e32 v122, v3, v136
	v_fma_f32 v128, v2, v136, -v128
	v_fmac_f32_e32 v129, v5, v135
	v_fma_f32 v130, v4, v135, -v130
	s_clause 0x4
	buffer_load_dword v135, off, s[0:3], 0 offset:232
	buffer_load_dword v136, off, s[0:3], 0 offset:224
	;; [unrolled: 1-line block ×5, first 2 shown]
	s_waitcnt vmcnt(6) lgkmcnt(0)
	v_mul_f32_e32 v4, v97, v131
	s_waitcnt vmcnt(5)
	v_mul_f32_e32 v138, v94, v123
	v_mul_f32_e32 v3, v95, v123
	;; [unrolled: 1-line block ×3, first 2 shown]
	v_fmac_f32_e32 v138, v95, v134
	v_fma_f32 v131, v94, v134, -v3
	buffer_load_dword v134, off, s[0:3], 0 offset:220
	v_add_f32_e32 v3, 0, v143
	v_add_f32_e32 v3, v3, v144
	;; [unrolled: 1-line block ×4, first 2 shown]
	s_waitcnt vmcnt(2)
	v_fmac_f32_e32 v123, v97, v2
	v_fma_f32 v139, v96, v2, -v4
	v_add_f32_e32 v2, 0, v140
	buffer_load_dword v140, off, s[0:3], 0 offset:236
	v_add_f32_e32 v3, v3, v124
	v_add_f32_e32 v2, v2, v141
	buffer_load_dword v141, off, s[0:3], 0 offset:244
	v_add_f32_e32 v3, v3, v125
	v_add_f32_e32 v2, v2, v145
	s_clause 0x3
	buffer_load_dword v143, off, s[0:3], 0 offset:264
	buffer_load_dword v144, off, s[0:3], 0 offset:256
	;; [unrolled: 1-line block ×4, first 2 shown]
	v_add_f32_e32 v3, v3, v99
	v_add_f32_e32 v2, v2, v146
	s_clause 0x1
	buffer_load_dword v133, off, s[0:3], 0 offset:252
	buffer_load_dword v146, off, s[0:3], 0 offset:260
	v_add_f32_e32 v3, v3, v107
	v_add_f32_e32 v2, v2, v132
	buffer_load_dword v132, off, s[0:3], 0 offset:268
	v_add_f32_e32 v3, v3, v103
	v_add_f32_e32 v2, v2, v147
	s_clause 0x3
	buffer_load_dword v124, off, s[0:3], 0 offset:276
	buffer_load_dword v147, off, s[0:3], 0 offset:284
	;; [unrolled: 1-line block ×4, first 2 shown]
	v_add_f32_e32 v3, v3, v6
	v_add_f32_e32 v2, v2, v126
	s_clause 0x1
	buffer_load_dword v125, off, s[0:3], 0 offset:308
	buffer_load_dword v126, off, s[0:3], 0 offset:316
	v_add_f32_e32 v3, v3, v100
	v_add_f32_e32 v2, v2, v8
	s_clause 0x1
	buffer_load_dword v8, off, s[0:3], 0 offset:324
	buffer_load_dword v152, off, s[0:3], 0 offset:332
	;; [unrolled: 5-line block ×3, first 2 shown]
	buffer_load_dword v154, off, s[0:3], 0 offset:280
	buffer_load_dword v155, off, s[0:3], 0 offset:272
	;; [unrolled: 1-line block ×7, first 2 shown]
	v_add_f32_e32 v3, v3, v106
	v_add_f32_e32 v2, v2, v105
	ds_read2_b64 v[94:97], v1 offset0:71 offset1:72
	v_add_f32_e32 v2, v2, v7
	v_add_f32_e32 v7, v3, v109
	v_add_f32_e32 v2, v2, v102
	v_add_f32_e32 v7, v7, v108
	v_add_f32_e32 v2, v2, v104
	v_add_f32_e32 v7, v7, v110
	v_add_f32_e32 v6, v2, v113
	ds_read2_b64 v[2:5], v1 offset0:69 offset1:70
	v_add_f32_e32 v7, v7, v115
	v_add_f32_e32 v6, v6, v111
	;; [unrolled: 1-line block ×6, first 2 shown]
	s_waitcnt vmcnt(27) lgkmcnt(0)
	v_mul_f32_e32 v111, v4, v148
	v_mul_f32_e32 v99, v5, v148
	v_add_f32_e32 v6, v6, v119
	v_fmac_f32_e32 v111, v5, v136
	v_fma_f32 v113, v4, v136, -v99
	v_add_f32_e32 v6, v6, v120
	v_add_f32_e32 v6, v6, v122
	;; [unrolled: 1-line block ×3, first 2 shown]
	s_waitcnt vmcnt(26)
	v_mul_f32_e32 v110, v2, v134
	v_mul_f32_e32 v98, v3, v134
	v_fmac_f32_e32 v110, v3, v137
	v_add_f32_e32 v3, v7, v116
	v_fma_f32 v112, v2, v137, -v98
	v_add_f32_e32 v7, v3, v118
	ds_read2_b64 v[2:5], v1 offset0:73 offset1:74
	ds_read2_b64 v[98:101], v1 offset0:75 offset1:76
	v_add_f32_e32 v118, v6, v138
	ds_read2_b64 v[102:105], v1 offset0:77 offset1:78
	v_add_f32_e32 v7, v7, v128
	v_add_f32_e32 v118, v118, v123
	;; [unrolled: 1-line block ×3, first 2 shown]
	s_waitcnt vmcnt(25)
	v_mul_f32_e32 v106, v95, v140
	v_mul_f32_e32 v114, v94, v140
	v_add_f32_e32 v110, v118, v110
	v_add_f32_e32 v7, v7, v131
	s_waitcnt vmcnt(24)
	v_mul_f32_e32 v116, v97, v141
	v_fma_f32 v117, v94, v135, -v106
	v_mul_f32_e32 v115, v96, v141
	v_fmac_f32_e32 v114, v95, v135
	v_add_f32_e32 v119, v7, v139
	v_add_f32_e32 v110, v110, v111
	s_waitcnt vmcnt(20)
	v_fma_f32 v116, v96, v149, -v116
	v_fmac_f32_e32 v115, v97, v149
	ds_read2_b64 v[106:109], v1 offset0:79 offset1:80
	v_add_f32_e32 v112, v119, v112
	s_waitcnt vmcnt(19) lgkmcnt(3)
	v_mul_f32_e32 v119, v3, v133
	v_mul_f32_e32 v120, v2, v133
	v_add_f32_e32 v110, v110, v114
	s_waitcnt vmcnt(18)
	v_mul_f32_e32 v122, v5, v146
	v_add_f32_e32 v112, v112, v113
	v_fma_f32 v2, v2, v145, -v119
	v_mul_f32_e32 v121, v4, v146
	v_fmac_f32_e32 v120, v3, v145
	v_add_f32_e32 v110, v110, v115
	v_add_f32_e32 v112, v112, v117
	s_waitcnt vmcnt(17) lgkmcnt(2)
	v_mul_f32_e32 v119, v99, v132
	v_fma_f32 v4, v4, v144, -v122
	v_mul_f32_e32 v118, v98, v132
	v_fmac_f32_e32 v121, v5, v144
	v_add_f32_e32 v112, v112, v116
	v_add_f32_e32 v5, v110, v120
	s_waitcnt vmcnt(16)
	v_mul_f32_e32 v110, v101, v124
	v_fma_f32 v98, v98, v143, -v119
	v_mul_f32_e32 v113, v100, v124
	v_add_f32_e32 v2, v112, v2
	v_fmac_f32_e32 v118, v99, v143
	ds_read2_b64 v[94:97], v1 offset0:81 offset1:82
	ds_read_b64 v[6:7], v1 offset:664
	s_waitcnt vmcnt(15) lgkmcnt(3)
	v_mul_f32_e32 v123, v102, v147
	s_waitcnt vmcnt(14)
	v_mul_f32_e32 v111, v104, v150
	v_add_f32_e32 v2, v2, v4
	v_add_f32_e32 v4, v5, v121
	v_mul_f32_e32 v5, v103, v147
	s_waitcnt vmcnt(5)
	v_fma_f32 v99, v100, v155, -v110
	v_fmac_f32_e32 v113, v101, v155
	v_add_f32_e32 v2, v2, v98
	v_add_f32_e32 v4, v4, v118
	v_mul_f32_e32 v98, v105, v150
	v_fma_f32 v5, v102, v154, -v5
	v_fmac_f32_e32 v123, v103, v154
	v_add_f32_e32 v2, v2, v99
	v_add_f32_e32 v4, v4, v113
	s_waitcnt lgkmcnt(2)
	v_mul_f32_e32 v99, v107, v151
	v_fma_f32 v98, v104, v153, -v98
	v_mul_f32_e32 v117, v106, v151
	v_add_f32_e32 v2, v2, v5
	v_fmac_f32_e32 v111, v105, v153
	v_add_f32_e32 v4, v4, v123
	v_mul_f32_e32 v5, v109, v125
	v_fma_f32 v99, v106, v127, -v99
	v_add_f32_e32 v2, v2, v98
	v_mul_f32_e32 v3, v108, v125
	v_fmac_f32_e32 v117, v107, v127
	v_add_f32_e32 v4, v4, v111
	s_waitcnt lgkmcnt(1)
	v_mul_f32_e32 v98, v95, v126
	s_waitcnt vmcnt(1)
	v_fma_f32 v5, v108, v159, -v5
	v_add_f32_e32 v2, v2, v99
	v_mul_f32_e32 v114, v94, v126
	v_fmac_f32_e32 v3, v109, v159
	v_add_f32_e32 v4, v4, v117
	v_mul_f32_e32 v116, v96, v8
	v_mul_f32_e32 v8, v97, v8
	v_fma_f32 v94, v94, v158, -v98
	v_add_f32_e32 v2, v2, v5
	v_fmac_f32_e32 v114, v95, v158
	v_add_f32_e32 v3, v4, v3
	s_waitcnt lgkmcnt(0)
	v_mul_f32_e32 v4, v7, v152
	v_fma_f32 v5, v96, v157, -v8
	v_add_f32_e32 v2, v2, v94
	v_mul_f32_e32 v115, v6, v152
	v_fmac_f32_e32 v116, v97, v157
	v_add_f32_e32 v3, v3, v114
	v_fma_f32 v4, v6, v156, -v4
	v_add_f32_e32 v2, v2, v5
	v_fmac_f32_e32 v115, v7, v156
	v_add_f32_e32 v3, v3, v116
	v_add_f32_e32 v2, v2, v4
	;; [unrolled: 1-line block ×3, first 2 shown]
	s_waitcnt vmcnt(0)
	v_sub_f32_e32 v2, v160, v2
	v_sub_f32_e32 v3, v142, v3
	buffer_store_dword v2, off, s[0:3], 0 offset:16
	buffer_store_dword v3, off, s[0:3], 0 offset:20
	v_cmpx_lt_u32_e32 1, v0
	s_cbranch_execz .LBB41_263
; %bb.262:
	s_clause 0x1
	buffer_load_dword v2, off, s[0:3], 0 offset:8
	buffer_load_dword v3, off, s[0:3], 0 offset:12
	buffer_store_dword v1, off, s[0:3], 0 offset:8
	buffer_store_dword v1, off, s[0:3], 0 offset:12
	s_waitcnt vmcnt(0)
	ds_write_b64 v93, v[2:3]
.LBB41_263:
	s_or_b32 exec_lo, exec_lo, s4
	s_waitcnt lgkmcnt(0)
	s_waitcnt_vscnt null, 0x0
	s_barrier
	buffer_gl0_inv
	s_clause 0x2c
	buffer_load_dword v124, off, s[0:3], 0 offset:20
	buffer_load_dword v125, off, s[0:3], 0 offset:28
	;; [unrolled: 1-line block ×45, first 2 shown]
	ds_read_b128 v[126:129], v1 offset:352
	ds_read_b128 v[130:133], v1 offset:368
	buffer_load_dword v142, off, s[0:3], 0 offset:12
	s_mov_b32 s4, exec_lo
	s_waitcnt vmcnt(45) lgkmcnt(1)
	v_mul_f32_e32 v140, v126, v124
	v_mul_f32_e32 v124, v127, v124
	s_waitcnt vmcnt(44)
	v_mul_f32_e32 v141, v128, v125
	v_mul_f32_e32 v125, v129, v125
	s_waitcnt vmcnt(41)
	v_fmac_f32_e32 v140, v127, v95
	v_fma_f32 v143, v126, v95, -v124
	s_waitcnt vmcnt(40) lgkmcnt(0)
	v_mul_f32_e32 v145, v130, v4
	v_fma_f32 v144, v128, v7, -v125
	ds_read_b128 v[124:127], v1 offset:384
	s_waitcnt vmcnt(39)
	v_mul_f32_e32 v146, v132, v5
	v_mul_f32_e32 v4, v131, v4
	;; [unrolled: 1-line block ×3, first 2 shown]
	v_fmac_f32_e32 v141, v129, v7
	v_fmac_f32_e32 v145, v131, v2
	s_waitcnt vmcnt(35)
	v_fmac_f32_e32 v146, v133, v98
	v_fma_f32 v133, v130, v2, -v4
	v_fma_f32 v98, v132, v98, -v5
	ds_read_b128 v[128:131], v1 offset:400
	s_waitcnt vmcnt(34) lgkmcnt(1)
	v_mul_f32_e32 v132, v124, v97
	s_waitcnt vmcnt(33)
	v_mul_f32_e32 v147, v126, v96
	v_mul_f32_e32 v4, v127, v96
	v_mul_f32_e32 v2, v125, v97
	v_fmac_f32_e32 v132, v125, v94
	v_fmac_f32_e32 v147, v127, v6
	v_fma_f32 v125, v126, v6, -v4
	ds_read_b128 v[4:7], v1 offset:416
	v_fma_f32 v124, v124, v94, -v2
	s_waitcnt vmcnt(32) lgkmcnt(1)
	v_mul_f32_e32 v126, v128, v8
	v_mul_f32_e32 v2, v129, v8
	s_waitcnt vmcnt(31)
	v_mul_f32_e32 v8, v130, v99
	v_mul_f32_e32 v94, v131, v99
	v_fmac_f32_e32 v126, v129, v3
	v_fma_f32 v99, v128, v3, -v2
	s_waitcnt vmcnt(27)
	v_fmac_f32_e32 v8, v131, v107
	v_fma_f32 v107, v130, v107, -v94
	ds_read_b128 v[94:97], v1 offset:432
	buffer_load_dword v131, off, s[0:3], 0 offset:204
	s_waitcnt vmcnt(27) lgkmcnt(1)
	v_mul_f32_e32 v127, v4, v105
	v_mul_f32_e32 v2, v5, v105
	s_waitcnt vmcnt(26)
	v_mul_f32_e32 v3, v7, v104
	v_mul_f32_e32 v105, v6, v104
	v_fmac_f32_e32 v127, v5, v103
	v_fma_f32 v103, v4, v103, -v2
	v_fma_f32 v6, v6, v101, -v3
	ds_read_b128 v[2:5], v1 offset:448
	v_fmac_f32_e32 v105, v7, v101
	s_waitcnt vmcnt(25) lgkmcnt(1)
	v_mul_f32_e32 v7, v94, v102
	v_mul_f32_e32 v101, v95, v102
	s_waitcnt vmcnt(24)
	v_mul_f32_e32 v102, v96, v106
	v_mul_f32_e32 v104, v97, v106
	v_fmac_f32_e32 v7, v95, v100
	v_fma_f32 v100, v94, v100, -v101
	s_waitcnt vmcnt(20)
	v_fmac_f32_e32 v102, v97, v115
	v_fma_f32 v101, v96, v115, -v104
	ds_read_b128 v[94:97], v1 offset:464
	s_waitcnt vmcnt(19) lgkmcnt(1)
	v_mul_f32_e32 v104, v2, v113
	v_mul_f32_e32 v106, v3, v113
	s_waitcnt vmcnt(18)
	v_mul_f32_e32 v113, v4, v112
	v_mul_f32_e32 v112, v5, v112
	v_fmac_f32_e32 v104, v3, v111
	v_fma_f32 v106, v2, v111, -v106
	v_fmac_f32_e32 v113, v5, v109
	v_fma_f32 v109, v4, v109, -v112
	ds_read_b128 v[2:5], v1 offset:480
	s_waitcnt vmcnt(17) lgkmcnt(1)
	v_mul_f32_e32 v111, v94, v110
	v_mul_f32_e32 v110, v95, v110
	s_waitcnt vmcnt(16)
	v_mul_f32_e32 v112, v96, v114
	v_mul_f32_e32 v114, v97, v114
	v_fmac_f32_e32 v111, v95, v108
	v_fma_f32 v108, v94, v108, -v110
	s_waitcnt vmcnt(12)
	v_fmac_f32_e32 v112, v97, v123
	v_fma_f32 v110, v96, v123, -v114
	ds_read_b128 v[94:97], v1 offset:496
	buffer_load_dword v123, off, s[0:3], 0 offset:196
	s_waitcnt vmcnt(12) lgkmcnt(1)
	v_mul_f32_e32 v114, v2, v121
	v_mul_f32_e32 v115, v3, v121
	s_waitcnt vmcnt(11)
	v_mul_f32_e32 v121, v4, v120
	v_mul_f32_e32 v120, v5, v120
	v_fmac_f32_e32 v114, v3, v119
	v_fma_f32 v115, v2, v119, -v115
	v_fmac_f32_e32 v121, v5, v117
	v_fma_f32 v117, v4, v117, -v120
	ds_read_b128 v[2:5], v1 offset:512
	s_waitcnt vmcnt(10) lgkmcnt(1)
	v_mul_f32_e32 v119, v94, v118
	v_mul_f32_e32 v118, v95, v118
	s_waitcnt vmcnt(9)
	v_mul_f32_e32 v120, v96, v122
	v_mul_f32_e32 v122, v97, v122
	v_fmac_f32_e32 v119, v95, v116
	v_fma_f32 v116, v94, v116, -v118
	s_waitcnt vmcnt(5)
	v_fmac_f32_e32 v120, v97, v137
	v_fma_f32 v118, v96, v137, -v122
	ds_read_b128 v[94:97], v1 offset:528
	s_waitcnt vmcnt(4) lgkmcnt(1)
	v_mul_f32_e32 v122, v2, v138
	v_mul_f32_e32 v128, v3, v138
	s_waitcnt vmcnt(3)
	v_mul_f32_e32 v129, v4, v139
	v_mul_f32_e32 v130, v5, v139
	v_fmac_f32_e32 v122, v3, v136
	v_fma_f32 v128, v2, v136, -v128
	v_fmac_f32_e32 v129, v5, v135
	v_fma_f32 v130, v4, v135, -v130
	s_clause 0x5
	buffer_load_dword v135, off, s[0:3], 0 offset:224
	buffer_load_dword v136, off, s[0:3], 0 offset:216
	;; [unrolled: 1-line block ×6, first 2 shown]
	v_add_f32_e32 v3, 0, v140
	buffer_load_dword v140, off, s[0:3], 0 offset:228
	v_add_f32_e32 v4, 0, v143
	v_add_f32_e32 v3, v3, v141
	;; [unrolled: 1-line block ×11, first 2 shown]
	s_waitcnt vmcnt(8) lgkmcnt(0)
	v_mul_f32_e32 v124, v96, v131
	s_waitcnt vmcnt(7)
	v_mul_f32_e32 v141, v94, v123
	v_mul_f32_e32 v5, v95, v123
	buffer_load_dword v123, off, s[0:3], 0 offset:236
	v_fmac_f32_e32 v141, v95, v134
	v_fma_f32 v133, v94, v134, -v5
	s_clause 0x6
	buffer_load_dword v134, off, s[0:3], 0 offset:256
	buffer_load_dword v143, off, s[0:3], 0 offset:248
	;; [unrolled: 1-line block ×7, first 2 shown]
	v_mul_f32_e32 v5, v97, v131
	buffer_load_dword v131, off, s[0:3], 0 offset:252
	s_waitcnt vmcnt(12)
	v_fmac_f32_e32 v124, v97, v2
	v_fma_f32 v146, v96, v2, -v5
	v_add_f32_e32 v2, v3, v126
	v_add_f32_e32 v3, v4, v99
	s_clause 0x2
	buffer_load_dword v126, off, s[0:3], 0 offset:276
	buffer_load_dword v148, off, s[0:3], 0 offset:284
	;; [unrolled: 1-line block ×3, first 2 shown]
	v_add_f32_e32 v2, v2, v8
	v_add_f32_e32 v3, v3, v107
	s_clause 0x3
	buffer_load_dword v8, off, s[0:3], 0 offset:300
	buffer_load_dword v150, off, s[0:3], 0 offset:308
	;; [unrolled: 1-line block ×4, first 2 shown]
	v_add_f32_e32 v2, v2, v127
	v_add_f32_e32 v3, v3, v103
	buffer_load_dword v127, off, s[0:3], 0 offset:332
	v_add_f32_e32 v2, v2, v105
	v_add_f32_e32 v3, v3, v6
	s_clause 0x3
	buffer_load_dword v6, off, s[0:3], 0 offset:288
	buffer_load_dword v153, off, s[0:3], 0 offset:280
	;; [unrolled: 1-line block ×4, first 2 shown]
	v_add_f32_e32 v2, v2, v7
	s_clause 0x5
	buffer_load_dword v7, off, s[0:3], 0 offset:320
	buffer_load_dword v156, off, s[0:3], 0 offset:312
	;; [unrolled: 1-line block ×6, first 2 shown]
	v_add_f32_e32 v3, v3, v100
	v_add_f32_e32 v2, v2, v102
	;; [unrolled: 1-line block ×9, first 2 shown]
	ds_read_b128 v[2:5], v1 offset:544
	v_add_f32_e32 v94, v94, v112
	v_add_f32_e32 v95, v95, v110
	;; [unrolled: 1-line block ×4, first 2 shown]
	ds_read_b128 v[94:97], v1 offset:560
	v_add_f32_e32 v98, v98, v121
	v_add_f32_e32 v99, v99, v117
	;; [unrolled: 1-line block ×4, first 2 shown]
	s_waitcnt vmcnt(29) lgkmcnt(1)
	v_mul_f32_e32 v110, v2, v138
	v_mul_f32_e32 v100, v3, v138
	s_waitcnt vmcnt(28)
	v_mul_f32_e32 v114, v4, v139
	v_mul_f32_e32 v101, v5, v139
	v_add_f32_e32 v103, v98, v120
	v_fmac_f32_e32 v110, v3, v137
	v_fma_f32 v115, v2, v137, -v100
	v_fmac_f32_e32 v114, v5, v136
	v_fma_f32 v117, v4, v136, -v101
	ds_read_b128 v[2:5], v1 offset:576
	ds_read_b128 v[98:101], v1 offset:592
	v_add_f32_e32 v102, v102, v118
	s_waitcnt vmcnt(27) lgkmcnt(2)
	v_mul_f32_e32 v116, v94, v140
	v_add_f32_e32 v103, v103, v122
	v_mul_f32_e32 v104, v95, v140
	v_add_f32_e32 v102, v102, v128
	v_fmac_f32_e32 v116, v95, v135
	v_add_f32_e32 v95, v103, v129
	v_fma_f32 v119, v94, v135, -v104
	v_add_f32_e32 v106, v102, v130
	v_add_f32_e32 v107, v95, v141
	;; [unrolled: 1-line block ×5, first 2 shown]
	s_waitcnt vmcnt(26)
	v_mul_f32_e32 v118, v96, v123
	v_mul_f32_e32 v105, v97, v123
	s_waitcnt vmcnt(22)
	v_fmac_f32_e32 v118, v97, v145
	s_waitcnt vmcnt(21) lgkmcnt(1)
	v_mul_f32_e32 v121, v2, v132
	v_mul_f32_e32 v112, v3, v132
	v_fma_f32 v120, v96, v145, -v105
	ds_read_b128 v[94:97], v1 offset:608
	ds_read_b128 v[102:105], v1 offset:624
	;; [unrolled: 1-line block ×3, first 2 shown]
	v_fmac_f32_e32 v121, v3, v144
	v_fma_f32 v2, v2, v144, -v112
	v_add_f32_e32 v3, v113, v110
	ds_read_b128 v[110:113], v1 offset:656
	v_add_f32_e32 v1, v122, v115
	s_waitcnt vmcnt(18)
	v_mul_f32_e32 v122, v5, v131
	v_mul_f32_e32 v115, v4, v131
	v_add_f32_e32 v3, v3, v114
	s_waitcnt lgkmcnt(4)
	v_mul_f32_e32 v123, v99, v125
	v_add_f32_e32 v1, v1, v117
	v_fma_f32 v4, v4, v143, -v122
	v_mul_f32_e32 v114, v98, v125
	v_add_f32_e32 v3, v3, v116
	v_fmac_f32_e32 v115, v5, v143
	v_add_f32_e32 v1, v1, v119
	v_fma_f32 v98, v98, v134, -v123
	v_mul_f32_e32 v117, v100, v147
	v_add_f32_e32 v3, v3, v118
	v_mul_f32_e32 v118, v101, v147
	v_add_f32_e32 v1, v1, v120
	v_fmac_f32_e32 v114, v99, v134
	v_add_f32_e32 v1, v1, v2
	v_add_f32_e32 v2, v3, v121
	;; [unrolled: 1-line block ×4, first 2 shown]
	s_waitcnt vmcnt(17) lgkmcnt(3)
	v_mul_f32_e32 v4, v95, v126
	v_mul_f32_e32 v5, v94, v126
	v_add_f32_e32 v1, v1, v98
	v_add_f32_e32 v2, v2, v114
	s_waitcnt vmcnt(16)
	v_mul_f32_e32 v98, v97, v148
	v_mul_f32_e32 v122, v96, v148
	s_waitcnt vmcnt(15) lgkmcnt(2)
	v_mul_f32_e32 v116, v102, v149
	s_waitcnt vmcnt(14)
	v_mul_f32_e32 v119, v104, v8
	s_waitcnt vmcnt(13) lgkmcnt(1)
	v_mul_f32_e32 v124, v106, v150
	s_waitcnt vmcnt(12)
	;; [unrolled: 4-line block ×3, first 2 shown]
	v_mul_f32_e32 v3, v112, v127
	s_waitcnt vmcnt(9)
	v_fmac_f32_e32 v116, v103, v6
	s_waitcnt vmcnt(8)
	v_fmac_f32_e32 v122, v97, v153
	s_waitcnt vmcnt(7)
	v_fma_f32 v4, v94, v154, -v4
	s_waitcnt vmcnt(6)
	v_fma_f32 v99, v100, v155, -v118
	v_fmac_f32_e32 v117, v101, v155
	v_fmac_f32_e32 v5, v95, v154
	v_mul_f32_e32 v94, v103, v149
	v_fma_f32 v95, v96, v153, -v98
	v_add_f32_e32 v1, v1, v99
	v_add_f32_e32 v2, v2, v117
	s_waitcnt vmcnt(2)
	v_fmac_f32_e32 v119, v105, v158
	v_fmac_f32_e32 v124, v107, v157
	;; [unrolled: 1-line block ×3, first 2 shown]
	v_add_f32_e32 v1, v1, v4
	v_add_f32_e32 v2, v2, v5
	v_mul_f32_e32 v4, v105, v8
	v_fma_f32 v5, v102, v6, -v94
	v_mul_f32_e32 v6, v107, v150
	v_add_f32_e32 v1, v1, v95
	v_add_f32_e32 v2, v2, v122
	v_fma_f32 v4, v104, v158, -v4
	v_fmac_f32_e32 v125, v111, v7
	v_fma_f32 v6, v106, v157, -v6
	v_add_f32_e32 v1, v1, v5
	v_add_f32_e32 v2, v2, v116
	v_mul_f32_e32 v5, v109, v151
	s_waitcnt vmcnt(1)
	v_fmac_f32_e32 v3, v113, v159
	v_add_f32_e32 v1, v1, v4
	v_add_f32_e32 v2, v2, v119
	v_mul_f32_e32 v4, v111, v152
	v_fma_f32 v5, v108, v156, -v5
	v_add_f32_e32 v1, v1, v6
	v_add_f32_e32 v2, v2, v124
	v_mul_f32_e32 v6, v113, v127
	v_fma_f32 v4, v110, v7, -v4
	v_add_f32_e32 v1, v1, v5
	v_add_f32_e32 v2, v2, v120
	v_fma_f32 v5, v112, v159, -v6
	v_add_f32_e32 v1, v1, v4
	v_add_f32_e32 v2, v2, v125
	;; [unrolled: 1-line block ×4, first 2 shown]
	s_waitcnt vmcnt(0)
	v_sub_f32_e32 v1, v160, v1
	v_sub_f32_e32 v2, v142, v2
	buffer_store_dword v1, off, s[0:3], 0 offset:8
	buffer_store_dword v2, off, s[0:3], 0 offset:12
	v_cmpx_ne_u32_e32 0, v0
	s_cbranch_execz .LBB41_265
; %bb.264:
	s_clause 0x1
	buffer_load_dword v0, off, s[0:3], 0
	buffer_load_dword v1, off, s[0:3], 0 offset:4
	v_mov_b32_e32 v2, 0
	buffer_store_dword v2, off, s[0:3], 0
	buffer_store_dword v2, off, s[0:3], 0 offset:4
	s_waitcnt vmcnt(0)
	ds_write_b64 v93, v[0:1]
.LBB41_265:
	s_or_b32 exec_lo, exec_lo, s4
	s_waitcnt lgkmcnt(0)
	s_waitcnt_vscnt null, 0x0
	s_barrier
	buffer_gl0_inv
	s_clause 0x24
	buffer_load_dword v95, off, s[0:3], 0 offset:12
	buffer_load_dword v96, off, s[0:3], 0 offset:20
	;; [unrolled: 1-line block ×37, first 2 shown]
	v_mov_b32_e32 v8, 0
	ds_read2_b64 v[0:3], v8 offset0:43 offset1:44
	ds_read2_b64 v[4:7], v8 offset0:45 offset1:46
	;; [unrolled: 1-line block ×3, first 2 shown]
	s_clause 0x2
	buffer_load_dword v138, off, s[0:3], 0 offset:156
	buffer_load_dword v139, off, s[0:3], 0 offset:164
	;; [unrolled: 1-line block ×3, first 2 shown]
	ds_read2_b64 v[134:137], v8 offset0:49 offset1:50
	s_and_b32 vcc_lo, exec_lo, s22
	s_waitcnt vmcnt(39) lgkmcnt(3)
	v_mul_f32_e32 v141, v0, v95
	v_mul_f32_e32 v95, v1, v95
	s_waitcnt vmcnt(38)
	v_mul_f32_e32 v142, v2, v96
	v_mul_f32_e32 v96, v3, v96
	s_waitcnt vmcnt(35)
	v_fmac_f32_e32 v141, v1, v105
	v_fma_f32 v105, v0, v105, -v95
	v_fmac_f32_e32 v142, v3, v101
	v_fma_f32 v101, v2, v101, -v96
	s_waitcnt vmcnt(34) lgkmcnt(2)
	v_mul_f32_e32 v143, v4, v97
	s_waitcnt vmcnt(33)
	v_mul_f32_e32 v144, v6, v98
	v_mul_f32_e32 v95, v5, v97
	;; [unrolled: 1-line block ×3, first 2 shown]
	s_waitcnt vmcnt(32) lgkmcnt(1)
	v_mul_f32_e32 v98, v130, v102
	v_mul_f32_e32 v97, v131, v102
	ds_read2_b64 v[0:3], v8 offset0:51 offset1:52
	v_fmac_f32_e32 v143, v5, v94
	v_fma_f32 v102, v4, v94, -v95
	s_waitcnt vmcnt(31)
	v_mul_f32_e32 v145, v132, v103
	v_mul_f32_e32 v94, v133, v103
	s_waitcnt vmcnt(27)
	v_fmac_f32_e32 v144, v7, v106
	v_fma_f32 v103, v6, v106, -v96
	v_fmac_f32_e32 v98, v131, v104
	v_fma_f32 v104, v130, v104, -v97
	s_waitcnt vmcnt(26) lgkmcnt(1)
	v_mul_f32_e32 v106, v134, v100
	v_mul_f32_e32 v100, v135, v100
	s_waitcnt vmcnt(25)
	v_mul_f32_e32 v130, v136, v107
	v_mul_f32_e32 v107, v137, v107
	ds_read2_b64 v[4:7], v8 offset0:53 offset1:54
	v_fmac_f32_e32 v145, v133, v99
	v_fma_f32 v99, v132, v99, -v94
	ds_read2_b64 v[94:97], v8 offset0:55 offset1:56
	v_fmac_f32_e32 v106, v135, v93
	v_fma_f32 v93, v134, v93, -v100
	s_waitcnt vmcnt(20)
	v_fmac_f32_e32 v130, v137, v115
	v_fma_f32 v100, v136, v115, -v107
	s_clause 0x4
	buffer_load_dword v107, off, s[0:3], 0 offset:184
	buffer_load_dword v115, off, s[0:3], 0 offset:176
	buffer_load_dword v132, off, s[0:3], 0 offset:168
	buffer_load_dword v133, off, s[0:3], 0 offset:160
	buffer_load_dword v134, off, s[0:3], 0 offset:172
	s_waitcnt vmcnt(24) lgkmcnt(2)
	v_mul_f32_e32 v135, v2, v113
	v_mul_f32_e32 v113, v3, v113
	;; [unrolled: 1-line block ×4, first 2 shown]
	v_fmac_f32_e32 v135, v3, v110
	v_fma_f32 v110, v2, v110, -v113
	v_fmac_f32_e32 v131, v1, v111
	v_fma_f32 v108, v0, v111, -v108
	ds_read2_b64 v[0:3], v8 offset0:57 offset1:58
	s_waitcnt vmcnt(22) lgkmcnt(2)
	v_mul_f32_e32 v113, v6, v114
	v_mul_f32_e32 v114, v7, v114
	;; [unrolled: 1-line block ×4, first 2 shown]
	s_waitcnt vmcnt(17)
	v_fmac_f32_e32 v113, v7, v123
	v_fma_f32 v114, v6, v123, -v114
	buffer_load_dword v123, off, s[0:3], 0 offset:180
	v_fmac_f32_e32 v111, v5, v109
	v_fma_f32 v109, v4, v109, -v112
	ds_read2_b64 v[4:7], v8 offset0:59 offset1:60
	s_waitcnt lgkmcnt(2)
	v_mul_f32_e32 v112, v94, v116
	v_mul_f32_e32 v116, v95, v116
	v_fmac_f32_e32 v112, v95, v120
	s_waitcnt vmcnt(17)
	v_mul_f32_e32 v95, v96, v121
	v_fma_f32 v94, v94, v120, -v116
	v_mul_f32_e32 v116, v97, v121
	s_waitcnt vmcnt(15) lgkmcnt(1)
	v_mul_f32_e32 v120, v3, v122
	buffer_load_dword v121, off, s[0:3], 0 offset:196
	v_fmac_f32_e32 v95, v97, v118
	buffer_load_dword v97, off, s[0:3], 0 offset:188
	v_fma_f32 v96, v96, v118, -v116
	v_mul_f32_e32 v116, v0, v119
	v_mul_f32_e32 v118, v1, v119
	;; [unrolled: 1-line block ×3, first 2 shown]
	v_fmac_f32_e32 v116, v1, v117
	v_fma_f32 v117, v0, v117, -v118
	s_waitcnt vmcnt(13)
	v_fma_f32 v118, v2, v129, -v120
	s_waitcnt vmcnt(12) lgkmcnt(0)
	v_mul_f32_e32 v120, v4, v128
	v_mul_f32_e32 v122, v5, v128
	s_waitcnt vmcnt(11)
	v_mul_f32_e32 v128, v6, v127
	v_mul_f32_e32 v127, v7, v127
	v_fmac_f32_e32 v119, v3, v129
	ds_read2_b64 v[0:3], v8 offset0:61 offset1:62
	v_fmac_f32_e32 v120, v5, v126
	v_fma_f32 v122, v4, v126, -v122
	v_fmac_f32_e32 v128, v7, v125
	v_fma_f32 v125, v6, v125, -v127
	s_clause 0x4
	buffer_load_dword v126, off, s[0:3], 0 offset:216
	buffer_load_dword v127, off, s[0:3], 0 offset:208
	;; [unrolled: 1-line block ×5, first 2 shown]
	v_add_f32_e32 v4, 0, v141
	v_add_f32_e32 v5, 0, v105
	buffer_load_dword v105, off, s[0:3], 0 offset:212
	v_add_f32_e32 v4, v4, v142
	v_add_f32_e32 v101, v5, v101
	;; [unrolled: 1-line block ×3, first 2 shown]
	ds_read2_b64 v[4:7], v8 offset0:63 offset1:64
	v_add_f32_e32 v101, v101, v102
	s_waitcnt vmcnt(16) lgkmcnt(1)
	v_mul_f32_e32 v102, v0, v138
	v_mul_f32_e32 v138, v1, v138
	v_add_f32_e32 v141, v141, v144
	v_add_f32_e32 v101, v101, v103
	s_waitcnt vmcnt(15)
	v_mul_f32_e32 v142, v2, v139
	v_mul_f32_e32 v139, v3, v139
	buffer_load_dword v103, off, s[0:3], 0 offset:220
	v_fmac_f32_e32 v102, v1, v124
	v_fma_f32 v124, v0, v124, -v138
	v_add_f32_e32 v0, v141, v98
	v_add_f32_e32 v98, v101, v104
	;; [unrolled: 1-line block ×4, first 2 shown]
	s_waitcnt vmcnt(11)
	v_fmac_f32_e32 v142, v3, v133
	v_fma_f32 v133, v2, v133, -v139
	s_clause 0x4
	buffer_load_dword v101, off, s[0:3], 0 offset:228
	buffer_load_dword v138, off, s[0:3], 0 offset:248
	;; [unrolled: 1-line block ×5, first 2 shown]
	s_waitcnt vmcnt(15) lgkmcnt(0)
	v_mul_f32_e32 v99, v4, v134
	v_mul_f32_e32 v134, v5, v134
	ds_read2_b64 v[0:3], v8 offset0:65 offset1:66
	v_fmac_f32_e32 v99, v5, v132
	v_fma_f32 v132, v4, v132, -v134
	v_add_f32_e32 v4, v143, v106
	s_clause 0x1
	buffer_load_dword v106, off, s[0:3], 0 offset:236
	buffer_load_dword v134, off, s[0:3], 0 offset:244
	v_add_f32_e32 v5, v98, v93
	v_add_f32_e32 v4, v4, v130
	;; [unrolled: 1-line block ×3, first 2 shown]
	s_waitcnt vmcnt(16)
	v_mul_f32_e32 v93, v7, v123
	v_mul_f32_e32 v143, v6, v123
	v_add_f32_e32 v100, v5, v108
	buffer_load_dword v123, off, s[0:3], 0 offset:252
	v_fma_f32 v98, v6, v115, -v93
	v_add_f32_e32 v93, v4, v131
	v_add_f32_e32 v100, v100, v110
	v_fmac_f32_e32 v143, v7, v115
	s_clause 0x3
	buffer_load_dword v115, off, s[0:3], 0 offset:260
	buffer_load_dword v130, off, s[0:3], 0 offset:268
	;; [unrolled: 1-line block ×4, first 2 shown]
	ds_read2_b64 v[4:7], v8 offset0:67 offset1:68
	v_add_f32_e32 v93, v93, v135
	s_waitcnt vmcnt(20) lgkmcnt(1)
	v_mul_f32_e32 v110, v2, v121
	s_waitcnt vmcnt(19)
	v_mul_f32_e32 v108, v0, v97
	v_mul_f32_e32 v97, v1, v97
	v_add_f32_e32 v93, v93, v111
	v_mul_f32_e32 v111, v3, v121
	v_fmac_f32_e32 v108, v1, v107
	v_fma_f32 v107, v0, v107, -v97
	v_add_f32_e32 v0, v100, v109
	v_add_f32_e32 v1, v93, v113
	s_clause 0x3
	buffer_load_dword v109, off, s[0:3], 0 offset:292
	buffer_load_dword v113, off, s[0:3], 0 offset:300
	;; [unrolled: 1-line block ×4, first 2 shown]
	v_add_f32_e32 v0, v0, v114
	v_add_f32_e32 v1, v1, v112
	;; [unrolled: 1-line block ×4, first 2 shown]
	s_waitcnt vmcnt(19)
	v_fmac_f32_e32 v110, v3, v136
	v_fma_f32 v111, v2, v136, -v111
	s_clause 0x5
	buffer_load_dword v136, off, s[0:3], 0 offset:324
	buffer_load_dword v112, off, s[0:3], 0 offset:280
	;; [unrolled: 1-line block ×6, first 2 shown]
	v_add_f32_e32 v94, v0, v96
	v_add_f32_e32 v93, v93, v116
	s_waitcnt vmcnt(24) lgkmcnt(0)
	v_mul_f32_e32 v116, v4, v137
	v_mul_f32_e32 v95, v5, v137
	ds_read2_b64 v[0:3], v8 offset0:69 offset1:70
	v_add_f32_e32 v94, v94, v117
	v_fmac_f32_e32 v116, v5, v129
	v_fma_f32 v117, v4, v129, -v95
	v_add_f32_e32 v4, v93, v119
	v_add_f32_e32 v5, v94, v118
	s_clause 0x3
	buffer_load_dword v118, off, s[0:3], 0 offset:312
	buffer_load_dword v119, off, s[0:3], 0 offset:304
	;; [unrolled: 1-line block ×4, first 2 shown]
	v_add_f32_e32 v4, v4, v120
	v_add_f32_e32 v5, v5, v122
	s_clause 0x1
	buffer_load_dword v120, off, s[0:3], 0 offset:328
	buffer_load_dword v122, off, s[0:3], 0 offset:320
	v_add_f32_e32 v93, v4, v128
	buffer_load_dword v128, off, s[0:3], 0
	v_add_f32_e32 v4, v5, v125
	s_waitcnt vmcnt(30)
	v_mul_f32_e32 v125, v6, v105
	v_mul_f32_e32 v5, v7, v105
	v_add_f32_e32 v93, v93, v102
	s_waitcnt vmcnt(29) lgkmcnt(0)
	v_mul_f32_e32 v97, v1, v103
	v_add_f32_e32 v94, v4, v124
	v_fmac_f32_e32 v125, v7, v127
	v_fma_f32 v124, v6, v127, -v5
	ds_read2_b64 v[4:7], v8 offset0:71 offset1:72
	v_add_f32_e32 v100, v93, v142
	v_add_f32_e32 v94, v94, v133
	v_mul_f32_e32 v127, v0, v103
	v_add_f32_e32 v103, v100, v99
	v_add_f32_e32 v102, v94, v132
	ds_read2_b64 v[93:96], v8 offset0:73 offset1:74
	v_fmac_f32_e32 v127, v1, v126
	v_fma_f32 v126, v0, v126, -v97
	s_waitcnt vmcnt(28)
	v_mul_f32_e32 v133, v2, v101
	v_mul_f32_e32 v101, v3, v101
	s_waitcnt vmcnt(24)
	v_fmac_f32_e32 v133, v3, v141
	v_fma_f32 v132, v2, v141, -v101
	v_add_f32_e32 v101, v102, v98
	v_add_f32_e32 v102, v103, v143
	ds_read2_b64 v[0:3], v8 offset0:75 offset1:76
	ds_read2_b64 v[97:100], v8 offset0:77 offset1:78
	s_waitcnt vmcnt(23) lgkmcnt(3)
	v_mul_f32_e32 v141, v4, v106
	v_add_f32_e32 v101, v101, v107
	v_mul_f32_e32 v103, v5, v106
	v_add_f32_e32 v102, v102, v108
	s_waitcnt vmcnt(22)
	v_mul_f32_e32 v105, v7, v134
	v_fmac_f32_e32 v141, v5, v104
	v_add_f32_e32 v5, v101, v111
	v_fma_f32 v108, v4, v104, -v103
	v_add_f32_e32 v4, v102, v110
	v_mul_f32_e32 v107, v6, v134
	v_fma_f32 v111, v6, v139, -v105
	v_add_f32_e32 v110, v5, v117
	ds_read2_b64 v[101:104], v8 offset0:79 offset1:80
	v_add_f32_e32 v116, v4, v116
	s_waitcnt vmcnt(21) lgkmcnt(3)
	v_mul_f32_e32 v117, v93, v123
	v_mul_f32_e32 v123, v94, v123
	v_add_f32_e32 v110, v110, v124
	v_fmac_f32_e32 v107, v7, v139
	v_add_f32_e32 v116, v116, v125
	s_waitcnt vmcnt(20)
	v_mul_f32_e32 v124, v95, v115
	v_mul_f32_e32 v115, v96, v115
	v_add_f32_e32 v110, v110, v126
	v_fma_f32 v93, v93, v138, -v123
	v_add_f32_e32 v116, v116, v127
	v_fmac_f32_e32 v117, v94, v138
	s_waitcnt vmcnt(19) lgkmcnt(2)
	v_mul_f32_e32 v125, v0, v130
	v_add_f32_e32 v110, v110, v132
	v_mul_f32_e32 v123, v1, v130
	v_add_f32_e32 v116, v116, v133
	s_waitcnt vmcnt(18)
	v_mul_f32_e32 v126, v2, v131
	ds_read2_b64 v[4:7], v8 offset0:81 offset1:82
	ds_read_b64 v[105:106], v8 offset:664
	v_add_f32_e32 v108, v110, v108
	s_waitcnt vmcnt(17) lgkmcnt(3)
	v_mul_f32_e32 v127, v97, v144
	v_add_f32_e32 v116, v116, v141
	s_waitcnt vmcnt(16)
	v_mul_f32_e32 v132, v99, v109
	s_waitcnt vmcnt(15) lgkmcnt(2)
	v_mul_f32_e32 v133, v101, v113
	v_add_f32_e32 v108, v108, v111
	s_waitcnt vmcnt(14)
	v_mul_f32_e32 v110, v103, v121
	v_add_f32_e32 v107, v116, v107
	v_add_f32_e32 v93, v108, v93
	s_waitcnt vmcnt(11)
	v_fmac_f32_e32 v127, v98, v112
	s_waitcnt vmcnt(10)
	v_fmac_f32_e32 v126, v3, v114
	;; [unrolled: 2-line block ×3, first 2 shown]
	s_waitcnt vmcnt(8)
	v_fma_f32 v95, v95, v146, -v115
	v_fmac_f32_e32 v124, v96, v146
	v_add_f32_e32 v96, v107, v117
	v_mul_f32_e32 v107, v3, v131
	v_fma_f32 v0, v0, v145, -v123
	v_add_f32_e32 v1, v93, v95
	v_mul_f32_e32 v95, v98, v144
	v_add_f32_e32 v93, v96, v124
	v_fma_f32 v2, v2, v114, -v107
	v_mul_f32_e32 v3, v100, v109
	v_add_f32_e32 v0, v1, v0
	s_waitcnt lgkmcnt(1)
	v_mul_f32_e32 v134, v4, v135
	v_add_f32_e32 v1, v93, v125
	v_fma_f32 v93, v97, v112, -v95
	s_waitcnt vmcnt(3)
	v_fma_f32 v3, v99, v137, -v3
	v_add_f32_e32 v0, v0, v2
	v_mul_f32_e32 v2, v102, v113
	v_add_f32_e32 v1, v1, v126
	v_fmac_f32_e32 v132, v100, v137
	v_fmac_f32_e32 v133, v102, v129
	v_add_f32_e32 v0, v0, v93
	v_mul_f32_e32 v93, v104, v121
	v_add_f32_e32 v1, v1, v127
	v_fma_f32 v2, v101, v129, -v2
	v_fmac_f32_e32 v110, v104, v119
	v_add_f32_e32 v0, v0, v3
	v_mul_f32_e32 v3, v5, v135
	v_add_f32_e32 v1, v1, v132
	v_fma_f32 v93, v103, v119, -v93
	v_mul_f32_e32 v94, v6, v136
	v_add_f32_e32 v0, v0, v2
	v_mul_f32_e32 v2, v7, v136
	v_add_f32_e32 v1, v1, v133
	v_fma_f32 v3, v4, v118, -v3
	v_fmac_f32_e32 v134, v5, v118
	v_add_f32_e32 v0, v0, v93
	s_waitcnt lgkmcnt(0)
	v_mul_f32_e32 v4, v106, v147
	v_add_f32_e32 v1, v1, v110
	s_waitcnt vmcnt(1)
	v_fma_f32 v2, v6, v122, -v2
	v_mul_f32_e32 v111, v105, v147
	v_add_f32_e32 v0, v0, v3
	v_fmac_f32_e32 v94, v7, v122
	v_add_f32_e32 v1, v1, v134
	v_fma_f32 v3, v105, v120, -v4
	v_fmac_f32_e32 v111, v106, v120
	v_add_f32_e32 v0, v0, v2
	v_add_f32_e32 v1, v1, v94
	;; [unrolled: 1-line block ×4, first 2 shown]
	s_waitcnt vmcnt(0)
	v_sub_f32_e32 v0, v128, v0
	v_sub_f32_e32 v1, v140, v1
	buffer_store_dword v0, off, s[0:3], 0
	buffer_store_dword v1, off, s[0:3], 0 offset:4
	s_cbranch_vccz .LBB41_348
; %bb.266:
	global_load_dword v0, v8, s[20:21] offset:160
	s_waitcnt vmcnt(0)
	v_add_nc_u32_e32 v0, -1, v0
	v_cmp_ne_u32_e32 vcc_lo, 40, v0
	s_cbranch_vccz .LBB41_268
; %bb.267:
	v_lshlrev_b32_e32 v0, 3, v0
	s_clause 0x3
	buffer_load_dword v1, v0, s[0:3], 0 offen
	buffer_load_dword v2, v0, s[0:3], 0 offen offset:4
	buffer_load_dword v3, off, s[0:3], 0 offset:324
	buffer_load_dword v4, off, s[0:3], 0 offset:320
	s_waitcnt vmcnt(3)
	buffer_store_dword v1, off, s[0:3], 0 offset:320
	s_waitcnt vmcnt(2)
	buffer_store_dword v2, off, s[0:3], 0 offset:324
	s_waitcnt vmcnt(1)
	buffer_store_dword v3, v0, s[0:3], 0 offen offset:4
	s_waitcnt vmcnt(0)
	buffer_store_dword v4, v0, s[0:3], 0 offen
.LBB41_268:
	v_mov_b32_e32 v0, 0
	global_load_dword v1, v0, s[20:21] offset:156
	s_waitcnt vmcnt(0)
	v_add_nc_u32_e32 v1, -1, v1
	v_cmp_eq_u32_e32 vcc_lo, 39, v1
	s_cbranch_vccnz .LBB41_270
; %bb.269:
	v_lshlrev_b32_e32 v1, 3, v1
	s_clause 0x3
	buffer_load_dword v2, v1, s[0:3], 0 offen
	buffer_load_dword v3, v1, s[0:3], 0 offen offset:4
	buffer_load_dword v4, off, s[0:3], 0 offset:312
	buffer_load_dword v5, off, s[0:3], 0 offset:316
	s_waitcnt vmcnt(3)
	buffer_store_dword v2, off, s[0:3], 0 offset:312
	s_waitcnt vmcnt(2)
	buffer_store_dword v3, off, s[0:3], 0 offset:316
	s_waitcnt vmcnt(1)
	buffer_store_dword v4, v1, s[0:3], 0 offen
	s_waitcnt vmcnt(0)
	buffer_store_dword v5, v1, s[0:3], 0 offen offset:4
.LBB41_270:
	global_load_dword v0, v0, s[20:21] offset:152
	s_waitcnt vmcnt(0)
	v_add_nc_u32_e32 v0, -1, v0
	v_cmp_eq_u32_e32 vcc_lo, 38, v0
	s_cbranch_vccnz .LBB41_272
; %bb.271:
	v_lshlrev_b32_e32 v0, 3, v0
	s_clause 0x3
	buffer_load_dword v1, v0, s[0:3], 0 offen
	buffer_load_dword v2, v0, s[0:3], 0 offen offset:4
	buffer_load_dword v3, off, s[0:3], 0 offset:308
	buffer_load_dword v4, off, s[0:3], 0 offset:304
	s_waitcnt vmcnt(3)
	buffer_store_dword v1, off, s[0:3], 0 offset:304
	s_waitcnt vmcnt(2)
	buffer_store_dword v2, off, s[0:3], 0 offset:308
	s_waitcnt vmcnt(1)
	buffer_store_dword v3, v0, s[0:3], 0 offen offset:4
	s_waitcnt vmcnt(0)
	buffer_store_dword v4, v0, s[0:3], 0 offen
.LBB41_272:
	v_mov_b32_e32 v0, 0
	global_load_dword v1, v0, s[20:21] offset:148
	s_waitcnt vmcnt(0)
	v_add_nc_u32_e32 v1, -1, v1
	v_cmp_eq_u32_e32 vcc_lo, 37, v1
	s_cbranch_vccnz .LBB41_274
; %bb.273:
	v_lshlrev_b32_e32 v1, 3, v1
	s_clause 0x3
	buffer_load_dword v2, v1, s[0:3], 0 offen
	buffer_load_dword v3, v1, s[0:3], 0 offen offset:4
	buffer_load_dword v4, off, s[0:3], 0 offset:296
	buffer_load_dword v5, off, s[0:3], 0 offset:300
	s_waitcnt vmcnt(3)
	buffer_store_dword v2, off, s[0:3], 0 offset:296
	s_waitcnt vmcnt(2)
	buffer_store_dword v3, off, s[0:3], 0 offset:300
	s_waitcnt vmcnt(1)
	buffer_store_dword v4, v1, s[0:3], 0 offen
	s_waitcnt vmcnt(0)
	buffer_store_dword v5, v1, s[0:3], 0 offen offset:4
.LBB41_274:
	global_load_dword v0, v0, s[20:21] offset:144
	s_waitcnt vmcnt(0)
	v_add_nc_u32_e32 v0, -1, v0
	v_cmp_eq_u32_e32 vcc_lo, 36, v0
	s_cbranch_vccnz .LBB41_276
; %bb.275:
	v_lshlrev_b32_e32 v0, 3, v0
	s_clause 0x3
	buffer_load_dword v1, v0, s[0:3], 0 offen
	buffer_load_dword v2, v0, s[0:3], 0 offen offset:4
	buffer_load_dword v3, off, s[0:3], 0 offset:292
	buffer_load_dword v4, off, s[0:3], 0 offset:288
	s_waitcnt vmcnt(3)
	buffer_store_dword v1, off, s[0:3], 0 offset:288
	s_waitcnt vmcnt(2)
	buffer_store_dword v2, off, s[0:3], 0 offset:292
	s_waitcnt vmcnt(1)
	buffer_store_dword v3, v0, s[0:3], 0 offen offset:4
	s_waitcnt vmcnt(0)
	buffer_store_dword v4, v0, s[0:3], 0 offen
.LBB41_276:
	v_mov_b32_e32 v0, 0
	global_load_dword v1, v0, s[20:21] offset:140
	s_waitcnt vmcnt(0)
	v_add_nc_u32_e32 v1, -1, v1
	v_cmp_eq_u32_e32 vcc_lo, 35, v1
	s_cbranch_vccnz .LBB41_278
; %bb.277:
	v_lshlrev_b32_e32 v1, 3, v1
	s_clause 0x3
	buffer_load_dword v2, v1, s[0:3], 0 offen
	buffer_load_dword v3, v1, s[0:3], 0 offen offset:4
	buffer_load_dword v4, off, s[0:3], 0 offset:280
	buffer_load_dword v5, off, s[0:3], 0 offset:284
	s_waitcnt vmcnt(3)
	buffer_store_dword v2, off, s[0:3], 0 offset:280
	s_waitcnt vmcnt(2)
	buffer_store_dword v3, off, s[0:3], 0 offset:284
	s_waitcnt vmcnt(1)
	buffer_store_dword v4, v1, s[0:3], 0 offen
	s_waitcnt vmcnt(0)
	buffer_store_dword v5, v1, s[0:3], 0 offen offset:4
.LBB41_278:
	global_load_dword v0, v0, s[20:21] offset:136
	s_waitcnt vmcnt(0)
	v_add_nc_u32_e32 v0, -1, v0
	v_cmp_eq_u32_e32 vcc_lo, 34, v0
	s_cbranch_vccnz .LBB41_280
; %bb.279:
	v_lshlrev_b32_e32 v0, 3, v0
	s_clause 0x3
	buffer_load_dword v1, v0, s[0:3], 0 offen
	buffer_load_dword v2, v0, s[0:3], 0 offen offset:4
	buffer_load_dword v3, off, s[0:3], 0 offset:276
	buffer_load_dword v4, off, s[0:3], 0 offset:272
	s_waitcnt vmcnt(3)
	buffer_store_dword v1, off, s[0:3], 0 offset:272
	s_waitcnt vmcnt(2)
	buffer_store_dword v2, off, s[0:3], 0 offset:276
	s_waitcnt vmcnt(1)
	buffer_store_dword v3, v0, s[0:3], 0 offen offset:4
	s_waitcnt vmcnt(0)
	buffer_store_dword v4, v0, s[0:3], 0 offen
.LBB41_280:
	v_mov_b32_e32 v0, 0
	global_load_dword v1, v0, s[20:21] offset:132
	s_waitcnt vmcnt(0)
	v_add_nc_u32_e32 v1, -1, v1
	v_cmp_eq_u32_e32 vcc_lo, 33, v1
	s_cbranch_vccnz .LBB41_282
; %bb.281:
	v_lshlrev_b32_e32 v1, 3, v1
	s_clause 0x3
	buffer_load_dword v2, v1, s[0:3], 0 offen
	buffer_load_dword v3, v1, s[0:3], 0 offen offset:4
	buffer_load_dword v4, off, s[0:3], 0 offset:264
	buffer_load_dword v5, off, s[0:3], 0 offset:268
	s_waitcnt vmcnt(3)
	buffer_store_dword v2, off, s[0:3], 0 offset:264
	s_waitcnt vmcnt(2)
	buffer_store_dword v3, off, s[0:3], 0 offset:268
	s_waitcnt vmcnt(1)
	buffer_store_dword v4, v1, s[0:3], 0 offen
	s_waitcnt vmcnt(0)
	buffer_store_dword v5, v1, s[0:3], 0 offen offset:4
.LBB41_282:
	global_load_dword v0, v0, s[20:21] offset:128
	s_waitcnt vmcnt(0)
	v_add_nc_u32_e32 v0, -1, v0
	v_cmp_eq_u32_e32 vcc_lo, 32, v0
	s_cbranch_vccnz .LBB41_284
; %bb.283:
	v_lshlrev_b32_e32 v0, 3, v0
	s_clause 0x3
	buffer_load_dword v1, v0, s[0:3], 0 offen
	buffer_load_dword v2, v0, s[0:3], 0 offen offset:4
	buffer_load_dword v3, off, s[0:3], 0 offset:260
	buffer_load_dword v4, off, s[0:3], 0 offset:256
	s_waitcnt vmcnt(3)
	buffer_store_dword v1, off, s[0:3], 0 offset:256
	s_waitcnt vmcnt(2)
	buffer_store_dword v2, off, s[0:3], 0 offset:260
	s_waitcnt vmcnt(1)
	buffer_store_dword v3, v0, s[0:3], 0 offen offset:4
	s_waitcnt vmcnt(0)
	buffer_store_dword v4, v0, s[0:3], 0 offen
.LBB41_284:
	v_mov_b32_e32 v0, 0
	global_load_dword v1, v0, s[20:21] offset:124
	s_waitcnt vmcnt(0)
	v_add_nc_u32_e32 v1, -1, v1
	v_cmp_eq_u32_e32 vcc_lo, 31, v1
	s_cbranch_vccnz .LBB41_286
; %bb.285:
	v_lshlrev_b32_e32 v1, 3, v1
	s_clause 0x3
	buffer_load_dword v2, v1, s[0:3], 0 offen
	buffer_load_dword v3, v1, s[0:3], 0 offen offset:4
	buffer_load_dword v4, off, s[0:3], 0 offset:248
	buffer_load_dword v5, off, s[0:3], 0 offset:252
	s_waitcnt vmcnt(3)
	buffer_store_dword v2, off, s[0:3], 0 offset:248
	s_waitcnt vmcnt(2)
	buffer_store_dword v3, off, s[0:3], 0 offset:252
	s_waitcnt vmcnt(1)
	buffer_store_dword v4, v1, s[0:3], 0 offen
	s_waitcnt vmcnt(0)
	buffer_store_dword v5, v1, s[0:3], 0 offen offset:4
.LBB41_286:
	global_load_dword v0, v0, s[20:21] offset:120
	s_waitcnt vmcnt(0)
	v_add_nc_u32_e32 v0, -1, v0
	v_cmp_eq_u32_e32 vcc_lo, 30, v0
	s_cbranch_vccnz .LBB41_288
; %bb.287:
	v_lshlrev_b32_e32 v0, 3, v0
	s_clause 0x3
	buffer_load_dword v1, v0, s[0:3], 0 offen
	buffer_load_dword v2, v0, s[0:3], 0 offen offset:4
	buffer_load_dword v3, off, s[0:3], 0 offset:244
	buffer_load_dword v4, off, s[0:3], 0 offset:240
	s_waitcnt vmcnt(3)
	buffer_store_dword v1, off, s[0:3], 0 offset:240
	s_waitcnt vmcnt(2)
	buffer_store_dword v2, off, s[0:3], 0 offset:244
	s_waitcnt vmcnt(1)
	buffer_store_dword v3, v0, s[0:3], 0 offen offset:4
	s_waitcnt vmcnt(0)
	buffer_store_dword v4, v0, s[0:3], 0 offen
.LBB41_288:
	v_mov_b32_e32 v0, 0
	global_load_dword v1, v0, s[20:21] offset:116
	s_waitcnt vmcnt(0)
	v_add_nc_u32_e32 v1, -1, v1
	v_cmp_eq_u32_e32 vcc_lo, 29, v1
	s_cbranch_vccnz .LBB41_290
; %bb.289:
	v_lshlrev_b32_e32 v1, 3, v1
	s_clause 0x3
	buffer_load_dword v2, v1, s[0:3], 0 offen
	buffer_load_dword v3, v1, s[0:3], 0 offen offset:4
	buffer_load_dword v4, off, s[0:3], 0 offset:232
	buffer_load_dword v5, off, s[0:3], 0 offset:236
	s_waitcnt vmcnt(3)
	buffer_store_dword v2, off, s[0:3], 0 offset:232
	s_waitcnt vmcnt(2)
	buffer_store_dword v3, off, s[0:3], 0 offset:236
	s_waitcnt vmcnt(1)
	buffer_store_dword v4, v1, s[0:3], 0 offen
	s_waitcnt vmcnt(0)
	buffer_store_dword v5, v1, s[0:3], 0 offen offset:4
.LBB41_290:
	global_load_dword v0, v0, s[20:21] offset:112
	s_waitcnt vmcnt(0)
	v_add_nc_u32_e32 v0, -1, v0
	v_cmp_eq_u32_e32 vcc_lo, 28, v0
	s_cbranch_vccnz .LBB41_292
; %bb.291:
	v_lshlrev_b32_e32 v0, 3, v0
	s_clause 0x3
	buffer_load_dword v1, v0, s[0:3], 0 offen
	buffer_load_dword v2, v0, s[0:3], 0 offen offset:4
	buffer_load_dword v3, off, s[0:3], 0 offset:228
	buffer_load_dword v4, off, s[0:3], 0 offset:224
	s_waitcnt vmcnt(3)
	buffer_store_dword v1, off, s[0:3], 0 offset:224
	s_waitcnt vmcnt(2)
	buffer_store_dword v2, off, s[0:3], 0 offset:228
	s_waitcnt vmcnt(1)
	buffer_store_dword v3, v0, s[0:3], 0 offen offset:4
	s_waitcnt vmcnt(0)
	buffer_store_dword v4, v0, s[0:3], 0 offen
.LBB41_292:
	v_mov_b32_e32 v0, 0
	global_load_dword v1, v0, s[20:21] offset:108
	s_waitcnt vmcnt(0)
	v_add_nc_u32_e32 v1, -1, v1
	v_cmp_eq_u32_e32 vcc_lo, 27, v1
	s_cbranch_vccnz .LBB41_294
; %bb.293:
	v_lshlrev_b32_e32 v1, 3, v1
	s_clause 0x3
	buffer_load_dword v2, v1, s[0:3], 0 offen
	buffer_load_dword v3, v1, s[0:3], 0 offen offset:4
	buffer_load_dword v4, off, s[0:3], 0 offset:216
	buffer_load_dword v5, off, s[0:3], 0 offset:220
	s_waitcnt vmcnt(3)
	buffer_store_dword v2, off, s[0:3], 0 offset:216
	s_waitcnt vmcnt(2)
	buffer_store_dword v3, off, s[0:3], 0 offset:220
	s_waitcnt vmcnt(1)
	buffer_store_dword v4, v1, s[0:3], 0 offen
	s_waitcnt vmcnt(0)
	buffer_store_dword v5, v1, s[0:3], 0 offen offset:4
.LBB41_294:
	global_load_dword v0, v0, s[20:21] offset:104
	s_waitcnt vmcnt(0)
	v_add_nc_u32_e32 v0, -1, v0
	v_cmp_eq_u32_e32 vcc_lo, 26, v0
	s_cbranch_vccnz .LBB41_296
; %bb.295:
	v_lshlrev_b32_e32 v0, 3, v0
	s_clause 0x3
	buffer_load_dword v1, v0, s[0:3], 0 offen
	buffer_load_dword v2, v0, s[0:3], 0 offen offset:4
	buffer_load_dword v3, off, s[0:3], 0 offset:212
	buffer_load_dword v4, off, s[0:3], 0 offset:208
	s_waitcnt vmcnt(3)
	buffer_store_dword v1, off, s[0:3], 0 offset:208
	s_waitcnt vmcnt(2)
	buffer_store_dword v2, off, s[0:3], 0 offset:212
	s_waitcnt vmcnt(1)
	buffer_store_dword v3, v0, s[0:3], 0 offen offset:4
	s_waitcnt vmcnt(0)
	buffer_store_dword v4, v0, s[0:3], 0 offen
.LBB41_296:
	v_mov_b32_e32 v0, 0
	global_load_dword v1, v0, s[20:21] offset:100
	s_waitcnt vmcnt(0)
	v_add_nc_u32_e32 v1, -1, v1
	v_cmp_eq_u32_e32 vcc_lo, 25, v1
	s_cbranch_vccnz .LBB41_298
; %bb.297:
	v_lshlrev_b32_e32 v1, 3, v1
	s_clause 0x3
	buffer_load_dword v2, v1, s[0:3], 0 offen
	buffer_load_dword v3, v1, s[0:3], 0 offen offset:4
	buffer_load_dword v4, off, s[0:3], 0 offset:200
	buffer_load_dword v5, off, s[0:3], 0 offset:204
	s_waitcnt vmcnt(3)
	buffer_store_dword v2, off, s[0:3], 0 offset:200
	s_waitcnt vmcnt(2)
	buffer_store_dword v3, off, s[0:3], 0 offset:204
	s_waitcnt vmcnt(1)
	buffer_store_dword v4, v1, s[0:3], 0 offen
	s_waitcnt vmcnt(0)
	buffer_store_dword v5, v1, s[0:3], 0 offen offset:4
.LBB41_298:
	global_load_dword v0, v0, s[20:21] offset:96
	s_waitcnt vmcnt(0)
	v_add_nc_u32_e32 v0, -1, v0
	v_cmp_eq_u32_e32 vcc_lo, 24, v0
	s_cbranch_vccnz .LBB41_300
; %bb.299:
	v_lshlrev_b32_e32 v0, 3, v0
	s_clause 0x3
	buffer_load_dword v1, v0, s[0:3], 0 offen
	buffer_load_dword v2, v0, s[0:3], 0 offen offset:4
	buffer_load_dword v3, off, s[0:3], 0 offset:196
	buffer_load_dword v4, off, s[0:3], 0 offset:192
	s_waitcnt vmcnt(3)
	buffer_store_dword v1, off, s[0:3], 0 offset:192
	s_waitcnt vmcnt(2)
	buffer_store_dword v2, off, s[0:3], 0 offset:196
	s_waitcnt vmcnt(1)
	buffer_store_dword v3, v0, s[0:3], 0 offen offset:4
	s_waitcnt vmcnt(0)
	buffer_store_dword v4, v0, s[0:3], 0 offen
.LBB41_300:
	v_mov_b32_e32 v0, 0
	global_load_dword v1, v0, s[20:21] offset:92
	s_waitcnt vmcnt(0)
	v_add_nc_u32_e32 v1, -1, v1
	v_cmp_eq_u32_e32 vcc_lo, 23, v1
	s_cbranch_vccnz .LBB41_302
; %bb.301:
	v_lshlrev_b32_e32 v1, 3, v1
	s_clause 0x3
	buffer_load_dword v2, v1, s[0:3], 0 offen
	buffer_load_dword v3, v1, s[0:3], 0 offen offset:4
	buffer_load_dword v4, off, s[0:3], 0 offset:184
	buffer_load_dword v5, off, s[0:3], 0 offset:188
	s_waitcnt vmcnt(3)
	buffer_store_dword v2, off, s[0:3], 0 offset:184
	s_waitcnt vmcnt(2)
	buffer_store_dword v3, off, s[0:3], 0 offset:188
	s_waitcnt vmcnt(1)
	buffer_store_dword v4, v1, s[0:3], 0 offen
	s_waitcnt vmcnt(0)
	buffer_store_dword v5, v1, s[0:3], 0 offen offset:4
.LBB41_302:
	global_load_dword v0, v0, s[20:21] offset:88
	s_waitcnt vmcnt(0)
	v_add_nc_u32_e32 v0, -1, v0
	v_cmp_eq_u32_e32 vcc_lo, 22, v0
	s_cbranch_vccnz .LBB41_304
; %bb.303:
	v_lshlrev_b32_e32 v0, 3, v0
	s_clause 0x3
	buffer_load_dword v1, v0, s[0:3], 0 offen
	buffer_load_dword v2, v0, s[0:3], 0 offen offset:4
	buffer_load_dword v3, off, s[0:3], 0 offset:180
	buffer_load_dword v4, off, s[0:3], 0 offset:176
	s_waitcnt vmcnt(3)
	buffer_store_dword v1, off, s[0:3], 0 offset:176
	s_waitcnt vmcnt(2)
	buffer_store_dword v2, off, s[0:3], 0 offset:180
	s_waitcnt vmcnt(1)
	buffer_store_dword v3, v0, s[0:3], 0 offen offset:4
	s_waitcnt vmcnt(0)
	buffer_store_dword v4, v0, s[0:3], 0 offen
.LBB41_304:
	v_mov_b32_e32 v0, 0
	global_load_dword v1, v0, s[20:21] offset:84
	s_waitcnt vmcnt(0)
	v_add_nc_u32_e32 v1, -1, v1
	v_cmp_eq_u32_e32 vcc_lo, 21, v1
	s_cbranch_vccnz .LBB41_306
; %bb.305:
	v_lshlrev_b32_e32 v1, 3, v1
	s_clause 0x3
	buffer_load_dword v2, v1, s[0:3], 0 offen
	buffer_load_dword v3, v1, s[0:3], 0 offen offset:4
	buffer_load_dword v4, off, s[0:3], 0 offset:168
	buffer_load_dword v5, off, s[0:3], 0 offset:172
	s_waitcnt vmcnt(3)
	buffer_store_dword v2, off, s[0:3], 0 offset:168
	s_waitcnt vmcnt(2)
	buffer_store_dword v3, off, s[0:3], 0 offset:172
	s_waitcnt vmcnt(1)
	buffer_store_dword v4, v1, s[0:3], 0 offen
	s_waitcnt vmcnt(0)
	buffer_store_dword v5, v1, s[0:3], 0 offen offset:4
.LBB41_306:
	global_load_dword v0, v0, s[20:21] offset:80
	s_waitcnt vmcnt(0)
	v_add_nc_u32_e32 v0, -1, v0
	v_cmp_eq_u32_e32 vcc_lo, 20, v0
	s_cbranch_vccnz .LBB41_308
; %bb.307:
	v_lshlrev_b32_e32 v0, 3, v0
	s_clause 0x3
	buffer_load_dword v1, v0, s[0:3], 0 offen
	buffer_load_dword v2, v0, s[0:3], 0 offen offset:4
	buffer_load_dword v3, off, s[0:3], 0 offset:164
	buffer_load_dword v4, off, s[0:3], 0 offset:160
	s_waitcnt vmcnt(3)
	buffer_store_dword v1, off, s[0:3], 0 offset:160
	s_waitcnt vmcnt(2)
	buffer_store_dword v2, off, s[0:3], 0 offset:164
	s_waitcnt vmcnt(1)
	buffer_store_dword v3, v0, s[0:3], 0 offen offset:4
	s_waitcnt vmcnt(0)
	buffer_store_dword v4, v0, s[0:3], 0 offen
.LBB41_308:
	v_mov_b32_e32 v0, 0
	global_load_dword v1, v0, s[20:21] offset:76
	s_waitcnt vmcnt(0)
	v_add_nc_u32_e32 v1, -1, v1
	v_cmp_eq_u32_e32 vcc_lo, 19, v1
	s_cbranch_vccnz .LBB41_310
; %bb.309:
	v_lshlrev_b32_e32 v1, 3, v1
	s_clause 0x3
	buffer_load_dword v2, v1, s[0:3], 0 offen
	buffer_load_dword v3, v1, s[0:3], 0 offen offset:4
	buffer_load_dword v4, off, s[0:3], 0 offset:152
	buffer_load_dword v5, off, s[0:3], 0 offset:156
	s_waitcnt vmcnt(3)
	buffer_store_dword v2, off, s[0:3], 0 offset:152
	s_waitcnt vmcnt(2)
	buffer_store_dword v3, off, s[0:3], 0 offset:156
	s_waitcnt vmcnt(1)
	buffer_store_dword v4, v1, s[0:3], 0 offen
	s_waitcnt vmcnt(0)
	buffer_store_dword v5, v1, s[0:3], 0 offen offset:4
.LBB41_310:
	global_load_dword v0, v0, s[20:21] offset:72
	s_waitcnt vmcnt(0)
	v_add_nc_u32_e32 v0, -1, v0
	v_cmp_eq_u32_e32 vcc_lo, 18, v0
	s_cbranch_vccnz .LBB41_312
; %bb.311:
	v_lshlrev_b32_e32 v0, 3, v0
	s_clause 0x3
	buffer_load_dword v1, v0, s[0:3], 0 offen
	buffer_load_dword v2, v0, s[0:3], 0 offen offset:4
	buffer_load_dword v3, off, s[0:3], 0 offset:148
	buffer_load_dword v4, off, s[0:3], 0 offset:144
	s_waitcnt vmcnt(3)
	buffer_store_dword v1, off, s[0:3], 0 offset:144
	s_waitcnt vmcnt(2)
	buffer_store_dword v2, off, s[0:3], 0 offset:148
	s_waitcnt vmcnt(1)
	buffer_store_dword v3, v0, s[0:3], 0 offen offset:4
	s_waitcnt vmcnt(0)
	buffer_store_dword v4, v0, s[0:3], 0 offen
.LBB41_312:
	v_mov_b32_e32 v0, 0
	global_load_dword v1, v0, s[20:21] offset:68
	s_waitcnt vmcnt(0)
	v_add_nc_u32_e32 v1, -1, v1
	v_cmp_eq_u32_e32 vcc_lo, 17, v1
	s_cbranch_vccnz .LBB41_314
; %bb.313:
	v_lshlrev_b32_e32 v1, 3, v1
	s_clause 0x3
	buffer_load_dword v2, v1, s[0:3], 0 offen
	buffer_load_dword v3, v1, s[0:3], 0 offen offset:4
	buffer_load_dword v4, off, s[0:3], 0 offset:136
	buffer_load_dword v5, off, s[0:3], 0 offset:140
	s_waitcnt vmcnt(3)
	buffer_store_dword v2, off, s[0:3], 0 offset:136
	s_waitcnt vmcnt(2)
	buffer_store_dword v3, off, s[0:3], 0 offset:140
	s_waitcnt vmcnt(1)
	buffer_store_dword v4, v1, s[0:3], 0 offen
	s_waitcnt vmcnt(0)
	buffer_store_dword v5, v1, s[0:3], 0 offen offset:4
.LBB41_314:
	global_load_dword v0, v0, s[20:21] offset:64
	s_waitcnt vmcnt(0)
	v_add_nc_u32_e32 v0, -1, v0
	v_cmp_eq_u32_e32 vcc_lo, 16, v0
	s_cbranch_vccnz .LBB41_316
; %bb.315:
	v_lshlrev_b32_e32 v0, 3, v0
	s_clause 0x3
	buffer_load_dword v1, v0, s[0:3], 0 offen
	buffer_load_dword v2, v0, s[0:3], 0 offen offset:4
	buffer_load_dword v3, off, s[0:3], 0 offset:132
	buffer_load_dword v4, off, s[0:3], 0 offset:128
	s_waitcnt vmcnt(3)
	buffer_store_dword v1, off, s[0:3], 0 offset:128
	s_waitcnt vmcnt(2)
	buffer_store_dword v2, off, s[0:3], 0 offset:132
	s_waitcnt vmcnt(1)
	buffer_store_dword v3, v0, s[0:3], 0 offen offset:4
	s_waitcnt vmcnt(0)
	buffer_store_dword v4, v0, s[0:3], 0 offen
.LBB41_316:
	v_mov_b32_e32 v0, 0
	global_load_dword v1, v0, s[20:21] offset:60
	s_waitcnt vmcnt(0)
	v_add_nc_u32_e32 v1, -1, v1
	v_cmp_eq_u32_e32 vcc_lo, 15, v1
	s_cbranch_vccnz .LBB41_318
; %bb.317:
	v_lshlrev_b32_e32 v1, 3, v1
	s_clause 0x3
	buffer_load_dword v2, v1, s[0:3], 0 offen
	buffer_load_dword v3, v1, s[0:3], 0 offen offset:4
	buffer_load_dword v4, off, s[0:3], 0 offset:120
	buffer_load_dword v5, off, s[0:3], 0 offset:124
	s_waitcnt vmcnt(3)
	buffer_store_dword v2, off, s[0:3], 0 offset:120
	s_waitcnt vmcnt(2)
	buffer_store_dword v3, off, s[0:3], 0 offset:124
	s_waitcnt vmcnt(1)
	buffer_store_dword v4, v1, s[0:3], 0 offen
	s_waitcnt vmcnt(0)
	buffer_store_dword v5, v1, s[0:3], 0 offen offset:4
.LBB41_318:
	global_load_dword v0, v0, s[20:21] offset:56
	s_waitcnt vmcnt(0)
	v_add_nc_u32_e32 v0, -1, v0
	v_cmp_eq_u32_e32 vcc_lo, 14, v0
	s_cbranch_vccnz .LBB41_320
; %bb.319:
	v_lshlrev_b32_e32 v0, 3, v0
	s_clause 0x3
	buffer_load_dword v1, v0, s[0:3], 0 offen
	buffer_load_dword v2, v0, s[0:3], 0 offen offset:4
	buffer_load_dword v3, off, s[0:3], 0 offset:116
	buffer_load_dword v4, off, s[0:3], 0 offset:112
	s_waitcnt vmcnt(3)
	buffer_store_dword v1, off, s[0:3], 0 offset:112
	s_waitcnt vmcnt(2)
	buffer_store_dword v2, off, s[0:3], 0 offset:116
	s_waitcnt vmcnt(1)
	buffer_store_dword v3, v0, s[0:3], 0 offen offset:4
	s_waitcnt vmcnt(0)
	buffer_store_dword v4, v0, s[0:3], 0 offen
.LBB41_320:
	v_mov_b32_e32 v0, 0
	global_load_dword v1, v0, s[20:21] offset:52
	s_waitcnt vmcnt(0)
	v_add_nc_u32_e32 v1, -1, v1
	v_cmp_eq_u32_e32 vcc_lo, 13, v1
	s_cbranch_vccnz .LBB41_322
; %bb.321:
	v_lshlrev_b32_e32 v1, 3, v1
	s_clause 0x3
	buffer_load_dword v2, v1, s[0:3], 0 offen
	buffer_load_dword v3, v1, s[0:3], 0 offen offset:4
	buffer_load_dword v4, off, s[0:3], 0 offset:104
	buffer_load_dword v5, off, s[0:3], 0 offset:108
	s_waitcnt vmcnt(3)
	buffer_store_dword v2, off, s[0:3], 0 offset:104
	s_waitcnt vmcnt(2)
	buffer_store_dword v3, off, s[0:3], 0 offset:108
	s_waitcnt vmcnt(1)
	buffer_store_dword v4, v1, s[0:3], 0 offen
	s_waitcnt vmcnt(0)
	buffer_store_dword v5, v1, s[0:3], 0 offen offset:4
.LBB41_322:
	global_load_dword v0, v0, s[20:21] offset:48
	s_waitcnt vmcnt(0)
	v_add_nc_u32_e32 v0, -1, v0
	v_cmp_eq_u32_e32 vcc_lo, 12, v0
	s_cbranch_vccnz .LBB41_324
; %bb.323:
	v_lshlrev_b32_e32 v0, 3, v0
	s_clause 0x3
	buffer_load_dword v1, v0, s[0:3], 0 offen
	buffer_load_dword v2, v0, s[0:3], 0 offen offset:4
	buffer_load_dword v3, off, s[0:3], 0 offset:100
	buffer_load_dword v4, off, s[0:3], 0 offset:96
	s_waitcnt vmcnt(3)
	buffer_store_dword v1, off, s[0:3], 0 offset:96
	s_waitcnt vmcnt(2)
	buffer_store_dword v2, off, s[0:3], 0 offset:100
	s_waitcnt vmcnt(1)
	buffer_store_dword v3, v0, s[0:3], 0 offen offset:4
	s_waitcnt vmcnt(0)
	buffer_store_dword v4, v0, s[0:3], 0 offen
.LBB41_324:
	v_mov_b32_e32 v0, 0
	global_load_dword v1, v0, s[20:21] offset:44
	s_waitcnt vmcnt(0)
	v_add_nc_u32_e32 v1, -1, v1
	v_cmp_eq_u32_e32 vcc_lo, 11, v1
	s_cbranch_vccnz .LBB41_326
; %bb.325:
	v_lshlrev_b32_e32 v1, 3, v1
	s_clause 0x3
	buffer_load_dword v2, v1, s[0:3], 0 offen
	buffer_load_dword v3, v1, s[0:3], 0 offen offset:4
	buffer_load_dword v4, off, s[0:3], 0 offset:88
	buffer_load_dword v5, off, s[0:3], 0 offset:92
	s_waitcnt vmcnt(3)
	buffer_store_dword v2, off, s[0:3], 0 offset:88
	s_waitcnt vmcnt(2)
	buffer_store_dword v3, off, s[0:3], 0 offset:92
	s_waitcnt vmcnt(1)
	buffer_store_dword v4, v1, s[0:3], 0 offen
	s_waitcnt vmcnt(0)
	buffer_store_dword v5, v1, s[0:3], 0 offen offset:4
.LBB41_326:
	global_load_dword v0, v0, s[20:21] offset:40
	s_waitcnt vmcnt(0)
	v_add_nc_u32_e32 v0, -1, v0
	v_cmp_eq_u32_e32 vcc_lo, 10, v0
	s_cbranch_vccnz .LBB41_328
; %bb.327:
	v_lshlrev_b32_e32 v0, 3, v0
	s_clause 0x3
	buffer_load_dword v1, v0, s[0:3], 0 offen
	buffer_load_dword v2, v0, s[0:3], 0 offen offset:4
	buffer_load_dword v3, off, s[0:3], 0 offset:84
	buffer_load_dword v4, off, s[0:3], 0 offset:80
	s_waitcnt vmcnt(3)
	buffer_store_dword v1, off, s[0:3], 0 offset:80
	s_waitcnt vmcnt(2)
	buffer_store_dword v2, off, s[0:3], 0 offset:84
	s_waitcnt vmcnt(1)
	buffer_store_dword v3, v0, s[0:3], 0 offen offset:4
	s_waitcnt vmcnt(0)
	buffer_store_dword v4, v0, s[0:3], 0 offen
.LBB41_328:
	v_mov_b32_e32 v0, 0
	global_load_dword v1, v0, s[20:21] offset:36
	s_waitcnt vmcnt(0)
	v_add_nc_u32_e32 v1, -1, v1
	v_cmp_eq_u32_e32 vcc_lo, 9, v1
	s_cbranch_vccnz .LBB41_330
; %bb.329:
	v_lshlrev_b32_e32 v1, 3, v1
	s_clause 0x3
	buffer_load_dword v2, v1, s[0:3], 0 offen
	buffer_load_dword v3, v1, s[0:3], 0 offen offset:4
	buffer_load_dword v4, off, s[0:3], 0 offset:72
	buffer_load_dword v5, off, s[0:3], 0 offset:76
	s_waitcnt vmcnt(3)
	buffer_store_dword v2, off, s[0:3], 0 offset:72
	s_waitcnt vmcnt(2)
	buffer_store_dword v3, off, s[0:3], 0 offset:76
	s_waitcnt vmcnt(1)
	buffer_store_dword v4, v1, s[0:3], 0 offen
	s_waitcnt vmcnt(0)
	buffer_store_dword v5, v1, s[0:3], 0 offen offset:4
.LBB41_330:
	global_load_dword v0, v0, s[20:21] offset:32
	s_waitcnt vmcnt(0)
	v_add_nc_u32_e32 v0, -1, v0
	v_cmp_eq_u32_e32 vcc_lo, 8, v0
	s_cbranch_vccnz .LBB41_332
; %bb.331:
	v_lshlrev_b32_e32 v0, 3, v0
	s_clause 0x3
	buffer_load_dword v1, v0, s[0:3], 0 offen
	buffer_load_dword v2, v0, s[0:3], 0 offen offset:4
	buffer_load_dword v3, off, s[0:3], 0 offset:68
	buffer_load_dword v4, off, s[0:3], 0 offset:64
	s_waitcnt vmcnt(3)
	buffer_store_dword v1, off, s[0:3], 0 offset:64
	s_waitcnt vmcnt(2)
	buffer_store_dword v2, off, s[0:3], 0 offset:68
	s_waitcnt vmcnt(1)
	buffer_store_dword v3, v0, s[0:3], 0 offen offset:4
	s_waitcnt vmcnt(0)
	buffer_store_dword v4, v0, s[0:3], 0 offen
.LBB41_332:
	v_mov_b32_e32 v0, 0
	global_load_dword v1, v0, s[20:21] offset:28
	s_waitcnt vmcnt(0)
	v_add_nc_u32_e32 v1, -1, v1
	v_cmp_eq_u32_e32 vcc_lo, 7, v1
	s_cbranch_vccnz .LBB41_334
; %bb.333:
	v_lshlrev_b32_e32 v1, 3, v1
	s_clause 0x3
	buffer_load_dword v2, v1, s[0:3], 0 offen
	buffer_load_dword v3, v1, s[0:3], 0 offen offset:4
	buffer_load_dword v4, off, s[0:3], 0 offset:56
	buffer_load_dword v5, off, s[0:3], 0 offset:60
	s_waitcnt vmcnt(3)
	buffer_store_dword v2, off, s[0:3], 0 offset:56
	s_waitcnt vmcnt(2)
	buffer_store_dword v3, off, s[0:3], 0 offset:60
	s_waitcnt vmcnt(1)
	buffer_store_dword v4, v1, s[0:3], 0 offen
	s_waitcnt vmcnt(0)
	buffer_store_dword v5, v1, s[0:3], 0 offen offset:4
.LBB41_334:
	global_load_dword v0, v0, s[20:21] offset:24
	s_waitcnt vmcnt(0)
	v_add_nc_u32_e32 v0, -1, v0
	v_cmp_eq_u32_e32 vcc_lo, 6, v0
	s_cbranch_vccnz .LBB41_336
; %bb.335:
	v_lshlrev_b32_e32 v0, 3, v0
	s_clause 0x3
	buffer_load_dword v1, v0, s[0:3], 0 offen
	buffer_load_dword v2, v0, s[0:3], 0 offen offset:4
	buffer_load_dword v3, off, s[0:3], 0 offset:52
	buffer_load_dword v4, off, s[0:3], 0 offset:48
	s_waitcnt vmcnt(3)
	buffer_store_dword v1, off, s[0:3], 0 offset:48
	s_waitcnt vmcnt(2)
	buffer_store_dword v2, off, s[0:3], 0 offset:52
	s_waitcnt vmcnt(1)
	buffer_store_dword v3, v0, s[0:3], 0 offen offset:4
	s_waitcnt vmcnt(0)
	buffer_store_dword v4, v0, s[0:3], 0 offen
.LBB41_336:
	v_mov_b32_e32 v0, 0
	global_load_dword v1, v0, s[20:21] offset:20
	s_waitcnt vmcnt(0)
	v_add_nc_u32_e32 v1, -1, v1
	v_cmp_eq_u32_e32 vcc_lo, 5, v1
	s_cbranch_vccnz .LBB41_338
; %bb.337:
	v_lshlrev_b32_e32 v1, 3, v1
	s_clause 0x3
	buffer_load_dword v2, v1, s[0:3], 0 offen
	buffer_load_dword v3, v1, s[0:3], 0 offen offset:4
	buffer_load_dword v4, off, s[0:3], 0 offset:40
	buffer_load_dword v5, off, s[0:3], 0 offset:44
	s_waitcnt vmcnt(3)
	buffer_store_dword v2, off, s[0:3], 0 offset:40
	s_waitcnt vmcnt(2)
	buffer_store_dword v3, off, s[0:3], 0 offset:44
	s_waitcnt vmcnt(1)
	buffer_store_dword v4, v1, s[0:3], 0 offen
	s_waitcnt vmcnt(0)
	buffer_store_dword v5, v1, s[0:3], 0 offen offset:4
.LBB41_338:
	global_load_dword v0, v0, s[20:21] offset:16
	s_waitcnt vmcnt(0)
	v_add_nc_u32_e32 v0, -1, v0
	v_cmp_eq_u32_e32 vcc_lo, 4, v0
	s_cbranch_vccnz .LBB41_340
; %bb.339:
	v_lshlrev_b32_e32 v0, 3, v0
	s_clause 0x3
	buffer_load_dword v1, v0, s[0:3], 0 offen
	buffer_load_dword v2, v0, s[0:3], 0 offen offset:4
	buffer_load_dword v3, off, s[0:3], 0 offset:36
	buffer_load_dword v4, off, s[0:3], 0 offset:32
	s_waitcnt vmcnt(3)
	buffer_store_dword v1, off, s[0:3], 0 offset:32
	s_waitcnt vmcnt(2)
	buffer_store_dword v2, off, s[0:3], 0 offset:36
	s_waitcnt vmcnt(1)
	buffer_store_dword v3, v0, s[0:3], 0 offen offset:4
	s_waitcnt vmcnt(0)
	buffer_store_dword v4, v0, s[0:3], 0 offen
.LBB41_340:
	v_mov_b32_e32 v0, 0
	global_load_dword v1, v0, s[20:21] offset:12
	s_waitcnt vmcnt(0)
	v_add_nc_u32_e32 v1, -1, v1
	v_cmp_eq_u32_e32 vcc_lo, 3, v1
	s_cbranch_vccnz .LBB41_342
; %bb.341:
	v_lshlrev_b32_e32 v1, 3, v1
	s_clause 0x3
	buffer_load_dword v2, v1, s[0:3], 0 offen
	buffer_load_dword v3, v1, s[0:3], 0 offen offset:4
	buffer_load_dword v4, off, s[0:3], 0 offset:24
	buffer_load_dword v5, off, s[0:3], 0 offset:28
	s_waitcnt vmcnt(3)
	buffer_store_dword v2, off, s[0:3], 0 offset:24
	s_waitcnt vmcnt(2)
	buffer_store_dword v3, off, s[0:3], 0 offset:28
	s_waitcnt vmcnt(1)
	buffer_store_dword v4, v1, s[0:3], 0 offen
	s_waitcnt vmcnt(0)
	buffer_store_dword v5, v1, s[0:3], 0 offen offset:4
.LBB41_342:
	global_load_dword v0, v0, s[20:21] offset:8
	s_waitcnt vmcnt(0)
	v_add_nc_u32_e32 v0, -1, v0
	v_cmp_eq_u32_e32 vcc_lo, 2, v0
	s_cbranch_vccnz .LBB41_344
; %bb.343:
	v_lshlrev_b32_e32 v0, 3, v0
	s_clause 0x3
	buffer_load_dword v1, v0, s[0:3], 0 offen
	buffer_load_dword v2, v0, s[0:3], 0 offen offset:4
	buffer_load_dword v3, off, s[0:3], 0 offset:20
	buffer_load_dword v4, off, s[0:3], 0 offset:16
	s_waitcnt vmcnt(3)
	buffer_store_dword v1, off, s[0:3], 0 offset:16
	s_waitcnt vmcnt(2)
	buffer_store_dword v2, off, s[0:3], 0 offset:20
	s_waitcnt vmcnt(1)
	buffer_store_dword v3, v0, s[0:3], 0 offen offset:4
	s_waitcnt vmcnt(0)
	buffer_store_dword v4, v0, s[0:3], 0 offen
.LBB41_344:
	v_mov_b32_e32 v0, 0
	global_load_dword v1, v0, s[20:21] offset:4
	s_waitcnt vmcnt(0)
	v_add_nc_u32_e32 v1, -1, v1
	v_cmp_eq_u32_e32 vcc_lo, 1, v1
	s_cbranch_vccnz .LBB41_346
; %bb.345:
	v_lshlrev_b32_e32 v1, 3, v1
	s_clause 0x3
	buffer_load_dword v2, v1, s[0:3], 0 offen
	buffer_load_dword v3, v1, s[0:3], 0 offen offset:4
	buffer_load_dword v4, off, s[0:3], 0 offset:8
	buffer_load_dword v5, off, s[0:3], 0 offset:12
	s_waitcnt vmcnt(3)
	buffer_store_dword v2, off, s[0:3], 0 offset:8
	s_waitcnt vmcnt(2)
	buffer_store_dword v3, off, s[0:3], 0 offset:12
	s_waitcnt vmcnt(1)
	buffer_store_dword v4, v1, s[0:3], 0 offen
	s_waitcnt vmcnt(0)
	buffer_store_dword v5, v1, s[0:3], 0 offen offset:4
.LBB41_346:
	global_load_dword v0, v0, s[20:21]
	s_waitcnt vmcnt(0)
	v_add_nc_u32_e32 v0, -1, v0
	v_cmp_eq_u32_e32 vcc_lo, 0, v0
	s_cbranch_vccnz .LBB41_348
; %bb.347:
	v_lshlrev_b32_e32 v0, 3, v0
	s_clause 0x3
	buffer_load_dword v1, v0, s[0:3], 0 offen
	buffer_load_dword v2, v0, s[0:3], 0 offen offset:4
	buffer_load_dword v3, off, s[0:3], 0 offset:4
	buffer_load_dword v4, off, s[0:3], 0
	s_waitcnt vmcnt(3)
	buffer_store_dword v1, off, s[0:3], 0
	s_waitcnt vmcnt(2)
	buffer_store_dword v2, off, s[0:3], 0 offset:4
	s_waitcnt vmcnt(1)
	buffer_store_dword v3, v0, s[0:3], 0 offen offset:4
	s_waitcnt vmcnt(0)
	buffer_store_dword v4, v0, s[0:3], 0 offen
.LBB41_348:
	s_clause 0x3e
	buffer_load_dword v0, off, s[0:3], 0
	buffer_load_dword v1, off, s[0:3], 0 offset:4
	buffer_load_dword v2, off, s[0:3], 0 offset:8
	;; [unrolled: 1-line block ×62, first 2 shown]
	s_clause 0x14
	buffer_load_dword v148, off, s[0:3], 0 offset:252
	buffer_load_dword v149, off, s[0:3], 0 offset:256
	;; [unrolled: 1-line block ×21, first 2 shown]
	s_waitcnt vmcnt(62)
	global_store_dwordx2 v[79:80], v[0:1], off
	global_store_dwordx2 v[81:82], v[2:3], off
	;; [unrolled: 1-line block ×8, first 2 shown]
	s_waitcnt vmcnt(60)
	global_store_dwordx2 v[21:22], v[101:102], off
	global_store_dwordx2 v[23:24], v[103:104], off
	;; [unrolled: 1-line block ×4, first 2 shown]
	s_waitcnt vmcnt(58)
	global_store_dwordx2 v[29:30], v[109:110], off
	s_waitcnt vmcnt(56)
	global_store_dwordx2 v[31:32], v[111:112], off
	;; [unrolled: 2-line block ×30, first 2 shown]
	s_endpgm
	.section	.rodata,"a",@progbits
	.p2align	6, 0x0
	.amdhsa_kernel _ZN9rocsolver6v33100L18getri_kernel_smallILi42E19rocblas_complex_numIfEPS3_EEvT1_iilPiilS6_bb
		.amdhsa_group_segment_fixed_size 676
		.amdhsa_private_segment_fixed_size 352
		.amdhsa_kernarg_size 60
		.amdhsa_user_sgpr_count 6
		.amdhsa_user_sgpr_private_segment_buffer 1
		.amdhsa_user_sgpr_dispatch_ptr 0
		.amdhsa_user_sgpr_queue_ptr 0
		.amdhsa_user_sgpr_kernarg_segment_ptr 1
		.amdhsa_user_sgpr_dispatch_id 0
		.amdhsa_user_sgpr_flat_scratch_init 0
		.amdhsa_user_sgpr_private_segment_size 0
		.amdhsa_wavefront_size32 1
		.amdhsa_uses_dynamic_stack 0
		.amdhsa_system_sgpr_private_segment_wavefront_offset 1
		.amdhsa_system_sgpr_workgroup_id_x 1
		.amdhsa_system_sgpr_workgroup_id_y 0
		.amdhsa_system_sgpr_workgroup_id_z 0
		.amdhsa_system_sgpr_workgroup_info 0
		.amdhsa_system_vgpr_workitem_id 0
		.amdhsa_next_free_vgpr 254
		.amdhsa_next_free_sgpr 23
		.amdhsa_reserve_vcc 1
		.amdhsa_reserve_flat_scratch 0
		.amdhsa_float_round_mode_32 0
		.amdhsa_float_round_mode_16_64 0
		.amdhsa_float_denorm_mode_32 3
		.amdhsa_float_denorm_mode_16_64 3
		.amdhsa_dx10_clamp 1
		.amdhsa_ieee_mode 1
		.amdhsa_fp16_overflow 0
		.amdhsa_workgroup_processor_mode 1
		.amdhsa_memory_ordered 1
		.amdhsa_forward_progress 1
		.amdhsa_shared_vgpr_count 0
		.amdhsa_exception_fp_ieee_invalid_op 0
		.amdhsa_exception_fp_denorm_src 0
		.amdhsa_exception_fp_ieee_div_zero 0
		.amdhsa_exception_fp_ieee_overflow 0
		.amdhsa_exception_fp_ieee_underflow 0
		.amdhsa_exception_fp_ieee_inexact 0
		.amdhsa_exception_int_div_zero 0
	.end_amdhsa_kernel
	.section	.text._ZN9rocsolver6v33100L18getri_kernel_smallILi42E19rocblas_complex_numIfEPS3_EEvT1_iilPiilS6_bb,"axG",@progbits,_ZN9rocsolver6v33100L18getri_kernel_smallILi42E19rocblas_complex_numIfEPS3_EEvT1_iilPiilS6_bb,comdat
.Lfunc_end41:
	.size	_ZN9rocsolver6v33100L18getri_kernel_smallILi42E19rocblas_complex_numIfEPS3_EEvT1_iilPiilS6_bb, .Lfunc_end41-_ZN9rocsolver6v33100L18getri_kernel_smallILi42E19rocblas_complex_numIfEPS3_EEvT1_iilPiilS6_bb
                                        ; -- End function
	.set _ZN9rocsolver6v33100L18getri_kernel_smallILi42E19rocblas_complex_numIfEPS3_EEvT1_iilPiilS6_bb.num_vgpr, 254
	.set _ZN9rocsolver6v33100L18getri_kernel_smallILi42E19rocblas_complex_numIfEPS3_EEvT1_iilPiilS6_bb.num_agpr, 0
	.set _ZN9rocsolver6v33100L18getri_kernel_smallILi42E19rocblas_complex_numIfEPS3_EEvT1_iilPiilS6_bb.numbered_sgpr, 23
	.set _ZN9rocsolver6v33100L18getri_kernel_smallILi42E19rocblas_complex_numIfEPS3_EEvT1_iilPiilS6_bb.num_named_barrier, 0
	.set _ZN9rocsolver6v33100L18getri_kernel_smallILi42E19rocblas_complex_numIfEPS3_EEvT1_iilPiilS6_bb.private_seg_size, 352
	.set _ZN9rocsolver6v33100L18getri_kernel_smallILi42E19rocblas_complex_numIfEPS3_EEvT1_iilPiilS6_bb.uses_vcc, 1
	.set _ZN9rocsolver6v33100L18getri_kernel_smallILi42E19rocblas_complex_numIfEPS3_EEvT1_iilPiilS6_bb.uses_flat_scratch, 0
	.set _ZN9rocsolver6v33100L18getri_kernel_smallILi42E19rocblas_complex_numIfEPS3_EEvT1_iilPiilS6_bb.has_dyn_sized_stack, 0
	.set _ZN9rocsolver6v33100L18getri_kernel_smallILi42E19rocblas_complex_numIfEPS3_EEvT1_iilPiilS6_bb.has_recursion, 0
	.set _ZN9rocsolver6v33100L18getri_kernel_smallILi42E19rocblas_complex_numIfEPS3_EEvT1_iilPiilS6_bb.has_indirect_call, 0
	.section	.AMDGPU.csdata,"",@progbits
; Kernel info:
; codeLenInByte = 72944
; TotalNumSgprs: 25
; NumVgprs: 254
; ScratchSize: 352
; MemoryBound: 0
; FloatMode: 240
; IeeeMode: 1
; LDSByteSize: 676 bytes/workgroup (compile time only)
; SGPRBlocks: 0
; VGPRBlocks: 31
; NumSGPRsForWavesPerEU: 25
; NumVGPRsForWavesPerEU: 254
; Occupancy: 4
; WaveLimiterHint : 1
; COMPUTE_PGM_RSRC2:SCRATCH_EN: 1
; COMPUTE_PGM_RSRC2:USER_SGPR: 6
; COMPUTE_PGM_RSRC2:TRAP_HANDLER: 0
; COMPUTE_PGM_RSRC2:TGID_X_EN: 1
; COMPUTE_PGM_RSRC2:TGID_Y_EN: 0
; COMPUTE_PGM_RSRC2:TGID_Z_EN: 0
; COMPUTE_PGM_RSRC2:TIDIG_COMP_CNT: 0
	.section	.text._ZN9rocsolver6v33100L18getri_kernel_smallILi43E19rocblas_complex_numIfEPS3_EEvT1_iilPiilS6_bb,"axG",@progbits,_ZN9rocsolver6v33100L18getri_kernel_smallILi43E19rocblas_complex_numIfEPS3_EEvT1_iilPiilS6_bb,comdat
	.globl	_ZN9rocsolver6v33100L18getri_kernel_smallILi43E19rocblas_complex_numIfEPS3_EEvT1_iilPiilS6_bb ; -- Begin function _ZN9rocsolver6v33100L18getri_kernel_smallILi43E19rocblas_complex_numIfEPS3_EEvT1_iilPiilS6_bb
	.p2align	8
	.type	_ZN9rocsolver6v33100L18getri_kernel_smallILi43E19rocblas_complex_numIfEPS3_EEvT1_iilPiilS6_bb,@function
_ZN9rocsolver6v33100L18getri_kernel_smallILi43E19rocblas_complex_numIfEPS3_EEvT1_iilPiilS6_bb: ; @_ZN9rocsolver6v33100L18getri_kernel_smallILi43E19rocblas_complex_numIfEPS3_EEvT1_iilPiilS6_bb
; %bb.0:
	s_add_u32 s0, s0, s7
	s_addc_u32 s1, s1, 0
	s_mov_b32 s7, exec_lo
	v_cmpx_gt_u32_e32 43, v0
	s_cbranch_execz .LBB42_186
; %bb.1:
	s_clause 0x2
	s_load_dword s7, s[4:5], 0x38
	s_load_dwordx4 s[16:19], s[4:5], 0x10
	s_load_dwordx4 s[8:11], s[4:5], 0x28
                                        ; implicit-def: $sgpr20_sgpr21
	s_waitcnt lgkmcnt(0)
	s_bitcmp1_b32 s7, 8
	s_cselect_b32 s22, -1, 0
	s_bfe_u32 s12, s7, 0x10008
	s_ashr_i32 s7, s6, 31
	s_cmp_eq_u32 s12, 0
	s_cbranch_scc1 .LBB42_3
; %bb.2:
	s_load_dword s12, s[4:5], 0x20
	s_mul_i32 s13, s8, s7
	s_mul_hi_u32 s14, s8, s6
	s_mul_i32 s9, s9, s6
	s_add_i32 s13, s14, s13
	s_mul_i32 s8, s8, s6
	s_add_i32 s9, s13, s9
	s_lshl_b64 s[8:9], s[8:9], 2
	s_waitcnt lgkmcnt(0)
	s_ashr_i32 s13, s12, 31
	s_add_u32 s14, s18, s8
	s_addc_u32 s15, s19, s9
	s_lshl_b64 s[8:9], s[12:13], 2
	s_add_u32 s20, s14, s8
	s_addc_u32 s21, s15, s9
.LBB42_3:
	s_clause 0x1
	s_load_dwordx4 s[12:15], s[4:5], 0x0
	s_load_dword s8, s[4:5], 0x38
	s_mul_i32 s4, s16, s7
	s_mul_hi_u32 s5, s16, s6
	s_mul_i32 s9, s17, s6
	s_add_i32 s5, s5, s4
	s_mul_i32 s4, s16, s6
	s_add_i32 s5, s5, s9
	s_lshl_b64 s[4:5], s[4:5], 3
	s_waitcnt lgkmcnt(0)
	v_add3_u32 v1, s15, s15, v0
	s_ashr_i32 s17, s14, 31
	s_mov_b32 s16, s14
	s_add_u32 s9, s12, s4
	s_addc_u32 s12, s13, s5
	v_add_nc_u32_e32 v3, s15, v1
	v_ashrrev_i32_e32 v2, 31, v1
	s_lshl_b64 s[4:5], s[16:17], 3
	s_add_u32 s4, s9, s4
	v_add_nc_u32_e32 v5, s15, v3
	v_ashrrev_i32_e32 v4, 31, v3
	v_lshlrev_b64 v[1:2], 3, v[1:2]
	s_addc_u32 s5, s12, s5
	s_mov_b32 s12, s15
	v_ashrrev_i32_e32 v6, 31, v5
	v_add_nc_u32_e32 v7, s15, v5
	v_lshlrev_b64 v[3:4], 3, v[3:4]
	v_add_co_u32 v9, vcc_lo, s4, v1
	v_add_co_ci_u32_e64 v10, null, s5, v2, vcc_lo
	v_lshlrev_b64 v[1:2], 3, v[5:6]
	v_ashrrev_i32_e32 v8, 31, v7
	v_add_nc_u32_e32 v5, s15, v7
	v_add_co_u32 v11, vcc_lo, s4, v3
	v_add_co_ci_u32_e64 v12, null, s5, v4, vcc_lo
	v_lshlrev_b64 v[3:4], 3, v[7:8]
	v_ashrrev_i32_e32 v6, 31, v5
	v_add_nc_u32_e32 v7, s15, v5
	;; [unrolled: 5-line block ×29, first 2 shown]
	v_add_co_u32 v67, vcc_lo, s4, v3
	v_add_co_ci_u32_e64 v68, null, s5, v4, vcc_lo
	v_lshlrev_b64 v[3:4], 3, v[7:8]
	v_add_nc_u32_e32 v7, s15, v5
	v_ashrrev_i32_e32 v6, 31, v5
	v_add_co_u32 v69, vcc_lo, s4, v1
	v_add_co_ci_u32_e64 v70, null, s5, v2, vcc_lo
	v_ashrrev_i32_e32 v8, 31, v7
	v_lshlrev_b64 v[1:2], 3, v[5:6]
	v_add_co_u32 v71, vcc_lo, s4, v3
	v_add_nc_u32_e32 v6, s15, v7
	v_add_co_ci_u32_e64 v72, null, s5, v4, vcc_lo
	v_lshlrev_b64 v[4:5], 3, v[7:8]
	v_add_co_u32 v73, vcc_lo, s4, v1
	v_ashrrev_i32_e32 v7, 31, v6
	v_add_nc_u32_e32 v1, s15, v6
	v_add_co_ci_u32_e64 v74, null, s5, v2, vcc_lo
	v_add_co_u32 v75, vcc_lo, s4, v4
	v_add_co_ci_u32_e64 v76, null, s5, v5, vcc_lo
	v_lshlrev_b64 v[4:5], 3, v[6:7]
	v_add_nc_u32_e32 v6, s15, v1
	v_lshlrev_b32_e32 v3, 3, v0
	v_ashrrev_i32_e32 v2, 31, v1
	s_ashr_i32 s13, s15, 31
	s_clause 0x2
	global_load_dwordx2 v[97:98], v[9:10], off
	global_load_dwordx2 v[99:100], v[11:12], off
	global_load_dwordx2 v[95:96], v3, s[4:5]
	v_add_nc_u32_e32 v87, s15, v6
	v_add_co_u32 v81, s9, s4, v3
	v_ashrrev_i32_e32 v7, 31, v6
	v_add_co_ci_u32_e64 v82, null, s5, 0, s9
	v_add_nc_u32_e32 v89, s15, v87
	v_ashrrev_i32_e32 v88, 31, v87
	s_lshl_b64 s[12:13], s[12:13], 3
	v_lshlrev_b64 v[1:2], 3, v[1:2]
	v_add_co_u32 v83, vcc_lo, v81, s12
	v_add_nc_u32_e32 v91, s15, v89
	v_ashrrev_i32_e32 v90, 31, v89
	v_lshlrev_b64 v[6:7], 3, v[6:7]
	v_add_co_ci_u32_e64 v84, null, s13, v82, vcc_lo
	v_add_nc_u32_e32 v93, s15, v91
	v_ashrrev_i32_e32 v92, 31, v91
	v_add_co_u32 v77, vcc_lo, s4, v4
	v_lshlrev_b64 v[87:88], 3, v[87:88]
	v_ashrrev_i32_e32 v94, 31, v93
	v_add_co_ci_u32_e64 v78, null, s5, v5, vcc_lo
	v_add_co_u32 v79, vcc_lo, s4, v1
	v_lshlrev_b64 v[89:90], 3, v[89:90]
	v_add_co_ci_u32_e64 v80, null, s5, v2, vcc_lo
	v_add_co_u32 v85, vcc_lo, s4, v6
	v_lshlrev_b64 v[91:92], 3, v[91:92]
	;; [unrolled: 3-line block ×3, first 2 shown]
	v_add_co_ci_u32_e64 v88, null, s5, v88, vcc_lo
	v_add_co_u32 v89, vcc_lo, s4, v89
	v_add_co_ci_u32_e64 v90, null, s5, v90, vcc_lo
	v_add_co_u32 v91, vcc_lo, s4, v91
	;; [unrolled: 2-line block ×3, first 2 shown]
	v_add_co_ci_u32_e64 v94, null, s5, v94, vcc_lo
	s_clause 0x27
	global_load_dwordx2 v[4:5], v[83:84], off
	global_load_dwordx2 v[101:102], v[13:14], off
	;; [unrolled: 1-line block ×40, first 2 shown]
	s_mov_b32 s5, -1
	s_bitcmp0_b32 s8, 0
	s_waitcnt vmcnt(40)
	buffer_store_dword v96, off, s[0:3], 0 offset:4
	buffer_store_dword v95, off, s[0:3], 0
	s_waitcnt vmcnt(39)
	buffer_store_dword v5, off, s[0:3], 0 offset:12
	buffer_store_dword v4, off, s[0:3], 0 offset:8
	;; [unrolled: 1-line block ×6, first 2 shown]
	s_waitcnt vmcnt(38)
	buffer_store_dword v102, off, s[0:3], 0 offset:36
	buffer_store_dword v101, off, s[0:3], 0 offset:32
	s_waitcnt vmcnt(37)
	buffer_store_dword v104, off, s[0:3], 0 offset:44
	buffer_store_dword v103, off, s[0:3], 0 offset:40
	;; [unrolled: 3-line block ×39, first 2 shown]
	s_cbranch_scc1 .LBB42_184
; %bb.4:
	v_cmp_eq_u32_e64 s4, 0, v0
	s_and_saveexec_b32 s5, s4
; %bb.5:
	v_mov_b32_e32 v1, 0
	ds_write_b32 v1, v1 offset:344
; %bb.6:
	s_or_b32 exec_lo, exec_lo, s5
	v_lshl_add_u32 v5, v0, 3, 0
	s_waitcnt lgkmcnt(0)
	s_waitcnt_vscnt null, 0x0
	s_barrier
	buffer_gl0_inv
	s_clause 0x1
	buffer_load_dword v1, v5, s[0:3], 0 offen
	buffer_load_dword v2, v5, s[0:3], 0 offen offset:4
	s_waitcnt vmcnt(1)
	v_cmp_eq_f32_e32 vcc_lo, 0, v1
	s_waitcnt vmcnt(0)
	v_cmp_eq_f32_e64 s5, 0, v2
	s_and_b32 s5, vcc_lo, s5
	s_and_saveexec_b32 s8, s5
	s_cbranch_execz .LBB42_10
; %bb.7:
	v_mov_b32_e32 v1, 0
	s_mov_b32 s9, 0
	ds_read_b32 v2, v1 offset:344
	s_waitcnt lgkmcnt(0)
	v_readfirstlane_b32 s5, v2
	v_add_nc_u32_e32 v2, 1, v0
	s_cmp_eq_u32 s5, 0
	v_cmp_gt_i32_e32 vcc_lo, s5, v2
	s_cselect_b32 s12, -1, 0
	s_or_b32 s12, s12, vcc_lo
	s_and_b32 exec_lo, exec_lo, s12
	s_cbranch_execz .LBB42_10
; %bb.8:
	v_mov_b32_e32 v4, s5
.LBB42_9:                               ; =>This Inner Loop Header: Depth=1
	ds_cmpst_rtn_b32 v4, v1, v4, v2 offset:344
	s_waitcnt lgkmcnt(0)
	v_cmp_ne_u32_e32 vcc_lo, 0, v4
	v_cmp_le_i32_e64 s5, v4, v2
	s_and_b32 s5, vcc_lo, s5
	s_and_b32 s5, exec_lo, s5
	s_or_b32 s9, s5, s9
	s_andn2_b32 exec_lo, exec_lo, s9
	s_cbranch_execnz .LBB42_9
.LBB42_10:
	s_or_b32 exec_lo, exec_lo, s8
	v_mov_b32_e32 v1, 0
	s_barrier
	buffer_gl0_inv
	ds_read_b32 v2, v1 offset:344
	s_and_saveexec_b32 s5, s4
	s_cbranch_execz .LBB42_12
; %bb.11:
	s_lshl_b64 s[8:9], s[6:7], 2
	s_add_u32 s8, s10, s8
	s_addc_u32 s9, s11, s9
	s_waitcnt lgkmcnt(0)
	global_store_dword v1, v2, s[8:9]
.LBB42_12:
	s_or_b32 exec_lo, exec_lo, s5
	s_waitcnt lgkmcnt(0)
	v_cmp_ne_u32_e32 vcc_lo, 0, v2
	s_mov_b32 s5, 0
	s_cbranch_vccnz .LBB42_184
; %bb.13:
	s_clause 0x1
	buffer_load_dword v2, v5, s[0:3], 0 offen
	buffer_load_dword v4, v5, s[0:3], 0 offen offset:4
                                        ; implicit-def: $vgpr7
                                        ; implicit-def: $vgpr6
                                        ; implicit-def: $vgpr1
	s_waitcnt vmcnt(0)
	v_cmp_ngt_f32_e64 s5, |v2|, |v4|
	s_and_saveexec_b32 s8, s5
	s_xor_b32 s5, exec_lo, s8
	s_cbranch_execz .LBB42_15
; %bb.14:
	v_div_scale_f32 v1, null, v4, v4, v2
	v_div_scale_f32 v8, vcc_lo, v2, v4, v2
	v_rcp_f32_e32 v6, v1
	v_fma_f32 v7, -v1, v6, 1.0
	v_fmac_f32_e32 v6, v7, v6
	v_mul_f32_e32 v7, v8, v6
	v_fma_f32 v95, -v1, v7, v8
	v_fmac_f32_e32 v7, v95, v6
	v_fma_f32 v1, -v1, v7, v8
	v_div_fmas_f32 v1, v1, v6, v7
	v_div_fixup_f32 v1, v1, v4, v2
	v_fmac_f32_e32 v4, v2, v1
	v_div_scale_f32 v2, null, v4, v4, 1.0
	v_rcp_f32_e32 v6, v2
	v_fma_f32 v7, -v2, v6, 1.0
	v_fmac_f32_e32 v6, v7, v6
	v_div_scale_f32 v7, vcc_lo, 1.0, v4, 1.0
	v_mul_f32_e32 v8, v7, v6
	v_fma_f32 v95, -v2, v8, v7
	v_fmac_f32_e32 v8, v95, v6
	v_fma_f32 v2, -v2, v8, v7
	v_div_fmas_f32 v2, v2, v6, v8
	v_div_fixup_f32 v2, v2, v4, 1.0
                                        ; implicit-def: $vgpr4
	v_mul_f32_e32 v7, v1, v2
	v_xor_b32_e32 v6, 0x80000000, v2
                                        ; implicit-def: $vgpr2
	v_xor_b32_e32 v1, 0x80000000, v7
.LBB42_15:
	s_andn2_saveexec_b32 s5, s5
	s_cbranch_execz .LBB42_17
; %bb.16:
	v_div_scale_f32 v1, null, v2, v2, v4
	v_div_scale_f32 v8, vcc_lo, v4, v2, v4
	v_rcp_f32_e32 v6, v1
	v_fma_f32 v7, -v1, v6, 1.0
	v_fmac_f32_e32 v6, v7, v6
	v_mul_f32_e32 v7, v8, v6
	v_fma_f32 v95, -v1, v7, v8
	v_fmac_f32_e32 v7, v95, v6
	v_fma_f32 v1, -v1, v7, v8
	v_div_fmas_f32 v1, v1, v6, v7
	v_div_fixup_f32 v6, v1, v2, v4
	v_fmac_f32_e32 v2, v4, v6
	v_div_scale_f32 v1, null, v2, v2, 1.0
	v_div_scale_f32 v8, vcc_lo, 1.0, v2, 1.0
	v_rcp_f32_e32 v4, v1
	v_fma_f32 v7, -v1, v4, 1.0
	v_fmac_f32_e32 v4, v7, v4
	v_mul_f32_e32 v7, v8, v4
	v_fma_f32 v95, -v1, v7, v8
	v_fmac_f32_e32 v7, v95, v4
	v_fma_f32 v1, -v1, v7, v8
	v_div_fmas_f32 v1, v1, v4, v7
	v_div_fixup_f32 v7, v1, v2, 1.0
	v_xor_b32_e32 v1, 0x80000000, v7
	v_mul_f32_e64 v6, v6, -v7
.LBB42_17:
	s_or_b32 exec_lo, exec_lo, s5
	buffer_store_dword v7, v5, s[0:3], 0 offen
	buffer_store_dword v6, v5, s[0:3], 0 offen offset:4
	s_clause 0x1
	buffer_load_dword v8, off, s[0:3], 0 offset:12
	buffer_load_dword v7, off, s[0:3], 0 offset:8
	v_xor_b32_e32 v2, 0x80000000, v6
	v_add_nc_u32_e32 v4, 0x160, v3
	s_waitcnt vmcnt(0)
	ds_write2_b64 v3, v[1:2], v[7:8] offset1:44
	s_waitcnt lgkmcnt(0)
	s_waitcnt_vscnt null, 0x0
	s_barrier
	buffer_gl0_inv
	s_and_saveexec_b32 s5, s4
	s_cbranch_execz .LBB42_19
; %bb.18:
	s_clause 0x1
	buffer_load_dword v8, v5, s[0:3], 0 offen offset:4
	buffer_load_dword v95, v5, s[0:3], 0 offen
	ds_read_b64 v[1:2], v4
	v_mov_b32_e32 v6, 0
	ds_read_b64 v[6:7], v6 offset:8
	s_waitcnt vmcnt(1) lgkmcnt(1)
	v_mul_f32_e32 v96, v1, v8
	v_mul_f32_e32 v8, v2, v8
	s_waitcnt vmcnt(0)
	v_fmac_f32_e32 v96, v2, v95
	v_fma_f32 v1, v1, v95, -v8
	v_add_f32_e32 v2, 0, v96
	v_add_f32_e32 v1, 0, v1
	s_waitcnt lgkmcnt(0)
	v_mul_f32_e32 v8, v2, v7
	v_mul_f32_e32 v7, v1, v7
	v_fma_f32 v1, v1, v6, -v8
	v_fmac_f32_e32 v7, v2, v6
	buffer_store_dword v1, off, s[0:3], 0 offset:8
	buffer_store_dword v7, off, s[0:3], 0 offset:12
.LBB42_19:
	s_or_b32 exec_lo, exec_lo, s5
	s_waitcnt_vscnt null, 0x0
	s_barrier
	buffer_gl0_inv
	s_clause 0x1
	buffer_load_dword v1, off, s[0:3], 0 offset:16
	buffer_load_dword v2, off, s[0:3], 0 offset:20
	s_mov_b32 s5, exec_lo
	s_waitcnt vmcnt(0)
	ds_write_b64 v4, v[1:2]
	s_waitcnt lgkmcnt(0)
	s_barrier
	buffer_gl0_inv
	v_cmpx_gt_u32_e32 2, v0
	s_cbranch_execz .LBB42_23
; %bb.20:
	s_clause 0x1
	buffer_load_dword v6, v5, s[0:3], 0 offen offset:4
	buffer_load_dword v5, v5, s[0:3], 0 offen
	ds_read_b64 v[1:2], v4
	s_waitcnt vmcnt(1) lgkmcnt(0)
	v_mul_f32_e32 v7, v2, v6
	v_mul_f32_e32 v6, v1, v6
	s_waitcnt vmcnt(0)
	v_fma_f32 v1, v1, v5, -v7
	v_fmac_f32_e32 v6, v2, v5
	v_add_f32_e32 v2, 0, v1
	v_add_f32_e32 v1, 0, v6
	s_and_saveexec_b32 s8, s4
	s_cbranch_execz .LBB42_22
; %bb.21:
	s_clause 0x1
	buffer_load_dword v7, off, s[0:3], 0 offset:12
	buffer_load_dword v8, off, s[0:3], 0 offset:8
	v_mov_b32_e32 v5, 0
	ds_read_b64 v[5:6], v5 offset:360
	s_waitcnt vmcnt(1) lgkmcnt(0)
	v_mul_f32_e32 v95, v5, v7
	v_mul_f32_e32 v7, v6, v7
	s_waitcnt vmcnt(0)
	v_fmac_f32_e32 v95, v6, v8
	v_fma_f32 v5, v5, v8, -v7
	v_add_f32_e32 v1, v1, v95
	v_add_f32_e32 v2, v2, v5
.LBB42_22:
	s_or_b32 exec_lo, exec_lo, s8
	v_mov_b32_e32 v5, 0
	ds_read_b64 v[5:6], v5 offset:16
	s_waitcnt lgkmcnt(0)
	v_mul_f32_e32 v7, v1, v6
	v_mul_f32_e32 v6, v2, v6
	v_fma_f32 v2, v2, v5, -v7
	v_fmac_f32_e32 v6, v1, v5
	buffer_store_dword v2, off, s[0:3], 0 offset:16
	buffer_store_dword v6, off, s[0:3], 0 offset:20
.LBB42_23:
	s_or_b32 exec_lo, exec_lo, s5
	s_waitcnt_vscnt null, 0x0
	s_barrier
	buffer_gl0_inv
	s_clause 0x1
	buffer_load_dword v5, off, s[0:3], 0 offset:24
	buffer_load_dword v6, off, s[0:3], 0 offset:28
	v_add_nc_u32_e32 v1, -1, v0
	s_mov_b32 s4, exec_lo
	s_waitcnt vmcnt(0)
	ds_write_b64 v4, v[5:6]
	s_waitcnt lgkmcnt(0)
	s_barrier
	buffer_gl0_inv
	v_cmpx_gt_u32_e32 3, v0
	s_cbranch_execz .LBB42_27
; %bb.24:
	v_add_nc_u32_e32 v5, -1, v0
	v_add_nc_u32_e32 v6, 0x160, v3
	v_mov_b32_e32 v7, v3
	v_mov_b32_e32 v2, 0
	;; [unrolled: 1-line block ×3, first 2 shown]
	s_mov_b32 s5, 0
	.p2align	6
.LBB42_25:                              ; =>This Inner Loop Header: Depth=1
	s_clause 0x1
	buffer_load_dword v97, v7, s[0:3], 0 offen offset:4
	buffer_load_dword v98, v7, s[0:3], 0 offen
	ds_read_b64 v[95:96], v6
	v_add_nc_u32_e32 v5, 1, v5
	v_add_nc_u32_e32 v6, 8, v6
	;; [unrolled: 1-line block ×3, first 2 shown]
	v_cmp_lt_u32_e32 vcc_lo, 1, v5
	s_or_b32 s5, vcc_lo, s5
	s_waitcnt vmcnt(1) lgkmcnt(0)
	v_mul_f32_e32 v99, v96, v97
	v_mul_f32_e32 v97, v95, v97
	s_waitcnt vmcnt(0)
	v_fma_f32 v95, v95, v98, -v99
	v_fmac_f32_e32 v97, v96, v98
	v_add_f32_e32 v8, v8, v95
	v_add_f32_e32 v2, v2, v97
	s_andn2_b32 exec_lo, exec_lo, s5
	s_cbranch_execnz .LBB42_25
; %bb.26:
	s_or_b32 exec_lo, exec_lo, s5
	v_mov_b32_e32 v5, 0
	ds_read_b64 v[5:6], v5 offset:24
	s_waitcnt lgkmcnt(0)
	v_mul_f32_e32 v7, v2, v6
	v_mul_f32_e32 v6, v8, v6
	v_fma_f32 v7, v8, v5, -v7
	v_fmac_f32_e32 v6, v2, v5
	buffer_store_dword v7, off, s[0:3], 0 offset:24
	buffer_store_dword v6, off, s[0:3], 0 offset:28
.LBB42_27:
	s_or_b32 exec_lo, exec_lo, s4
	s_waitcnt_vscnt null, 0x0
	s_barrier
	buffer_gl0_inv
	s_clause 0x1
	buffer_load_dword v5, off, s[0:3], 0 offset:32
	buffer_load_dword v6, off, s[0:3], 0 offset:36
	s_mov_b32 s4, exec_lo
	s_waitcnt vmcnt(0)
	ds_write_b64 v4, v[5:6]
	s_waitcnt lgkmcnt(0)
	s_barrier
	buffer_gl0_inv
	v_cmpx_gt_u32_e32 4, v0
	s_cbranch_execz .LBB42_31
; %bb.28:
	v_add_nc_u32_e32 v5, -1, v0
	v_add_nc_u32_e32 v6, 0x160, v3
	v_mov_b32_e32 v7, v3
	v_mov_b32_e32 v2, 0
	;; [unrolled: 1-line block ×3, first 2 shown]
	s_mov_b32 s5, 0
	.p2align	6
.LBB42_29:                              ; =>This Inner Loop Header: Depth=1
	s_clause 0x1
	buffer_load_dword v97, v7, s[0:3], 0 offen offset:4
	buffer_load_dword v98, v7, s[0:3], 0 offen
	ds_read_b64 v[95:96], v6
	v_add_nc_u32_e32 v5, 1, v5
	v_add_nc_u32_e32 v6, 8, v6
	;; [unrolled: 1-line block ×3, first 2 shown]
	v_cmp_lt_u32_e32 vcc_lo, 2, v5
	s_or_b32 s5, vcc_lo, s5
	s_waitcnt vmcnt(1) lgkmcnt(0)
	v_mul_f32_e32 v99, v96, v97
	v_mul_f32_e32 v97, v95, v97
	s_waitcnt vmcnt(0)
	v_fma_f32 v95, v95, v98, -v99
	v_fmac_f32_e32 v97, v96, v98
	v_add_f32_e32 v8, v8, v95
	v_add_f32_e32 v2, v2, v97
	s_andn2_b32 exec_lo, exec_lo, s5
	s_cbranch_execnz .LBB42_29
; %bb.30:
	s_or_b32 exec_lo, exec_lo, s5
	v_mov_b32_e32 v5, 0
	ds_read_b64 v[5:6], v5 offset:32
	s_waitcnt lgkmcnt(0)
	v_mul_f32_e32 v7, v2, v6
	v_mul_f32_e32 v6, v8, v6
	v_fma_f32 v7, v8, v5, -v7
	v_fmac_f32_e32 v6, v2, v5
	buffer_store_dword v7, off, s[0:3], 0 offset:32
	buffer_store_dword v6, off, s[0:3], 0 offset:36
.LBB42_31:
	s_or_b32 exec_lo, exec_lo, s4
	s_waitcnt_vscnt null, 0x0
	s_barrier
	buffer_gl0_inv
	s_clause 0x1
	buffer_load_dword v5, off, s[0:3], 0 offset:40
	buffer_load_dword v6, off, s[0:3], 0 offset:44
	s_mov_b32 s4, exec_lo
	s_waitcnt vmcnt(0)
	ds_write_b64 v4, v[5:6]
	s_waitcnt lgkmcnt(0)
	s_barrier
	buffer_gl0_inv
	v_cmpx_gt_u32_e32 5, v0
	s_cbranch_execz .LBB42_35
; %bb.32:
	v_add_nc_u32_e32 v5, -1, v0
	v_add_nc_u32_e32 v6, 0x160, v3
	v_mov_b32_e32 v7, v3
	v_mov_b32_e32 v2, 0
	v_mov_b32_e32 v8, 0
	s_mov_b32 s5, 0
	.p2align	6
.LBB42_33:                              ; =>This Inner Loop Header: Depth=1
	s_clause 0x1
	buffer_load_dword v97, v7, s[0:3], 0 offen offset:4
	buffer_load_dword v98, v7, s[0:3], 0 offen
	ds_read_b64 v[95:96], v6
	v_add_nc_u32_e32 v5, 1, v5
	v_add_nc_u32_e32 v6, 8, v6
	;; [unrolled: 1-line block ×3, first 2 shown]
	v_cmp_lt_u32_e32 vcc_lo, 3, v5
	s_or_b32 s5, vcc_lo, s5
	s_waitcnt vmcnt(1) lgkmcnt(0)
	v_mul_f32_e32 v99, v96, v97
	v_mul_f32_e32 v97, v95, v97
	s_waitcnt vmcnt(0)
	v_fma_f32 v95, v95, v98, -v99
	v_fmac_f32_e32 v97, v96, v98
	v_add_f32_e32 v8, v8, v95
	v_add_f32_e32 v2, v2, v97
	s_andn2_b32 exec_lo, exec_lo, s5
	s_cbranch_execnz .LBB42_33
; %bb.34:
	s_or_b32 exec_lo, exec_lo, s5
	v_mov_b32_e32 v5, 0
	ds_read_b64 v[5:6], v5 offset:40
	s_waitcnt lgkmcnt(0)
	v_mul_f32_e32 v7, v2, v6
	v_mul_f32_e32 v6, v8, v6
	v_fma_f32 v7, v8, v5, -v7
	v_fmac_f32_e32 v6, v2, v5
	buffer_store_dword v7, off, s[0:3], 0 offset:40
	buffer_store_dword v6, off, s[0:3], 0 offset:44
.LBB42_35:
	s_or_b32 exec_lo, exec_lo, s4
	s_waitcnt_vscnt null, 0x0
	s_barrier
	buffer_gl0_inv
	s_clause 0x1
	buffer_load_dword v5, off, s[0:3], 0 offset:48
	buffer_load_dword v6, off, s[0:3], 0 offset:52
	s_mov_b32 s4, exec_lo
	s_waitcnt vmcnt(0)
	ds_write_b64 v4, v[5:6]
	s_waitcnt lgkmcnt(0)
	s_barrier
	buffer_gl0_inv
	v_cmpx_gt_u32_e32 6, v0
	s_cbranch_execz .LBB42_39
; %bb.36:
	v_add_nc_u32_e32 v5, -1, v0
	v_add_nc_u32_e32 v6, 0x160, v3
	v_mov_b32_e32 v7, v3
	v_mov_b32_e32 v2, 0
	;; [unrolled: 1-line block ×3, first 2 shown]
	s_mov_b32 s5, 0
	.p2align	6
.LBB42_37:                              ; =>This Inner Loop Header: Depth=1
	s_clause 0x1
	buffer_load_dword v97, v7, s[0:3], 0 offen offset:4
	buffer_load_dword v98, v7, s[0:3], 0 offen
	ds_read_b64 v[95:96], v6
	v_add_nc_u32_e32 v5, 1, v5
	v_add_nc_u32_e32 v6, 8, v6
	;; [unrolled: 1-line block ×3, first 2 shown]
	v_cmp_lt_u32_e32 vcc_lo, 4, v5
	s_or_b32 s5, vcc_lo, s5
	s_waitcnt vmcnt(1) lgkmcnt(0)
	v_mul_f32_e32 v99, v96, v97
	v_mul_f32_e32 v97, v95, v97
	s_waitcnt vmcnt(0)
	v_fma_f32 v95, v95, v98, -v99
	v_fmac_f32_e32 v97, v96, v98
	v_add_f32_e32 v8, v8, v95
	v_add_f32_e32 v2, v2, v97
	s_andn2_b32 exec_lo, exec_lo, s5
	s_cbranch_execnz .LBB42_37
; %bb.38:
	s_or_b32 exec_lo, exec_lo, s5
	v_mov_b32_e32 v5, 0
	ds_read_b64 v[5:6], v5 offset:48
	s_waitcnt lgkmcnt(0)
	v_mul_f32_e32 v7, v2, v6
	v_mul_f32_e32 v6, v8, v6
	v_fma_f32 v7, v8, v5, -v7
	v_fmac_f32_e32 v6, v2, v5
	buffer_store_dword v7, off, s[0:3], 0 offset:48
	buffer_store_dword v6, off, s[0:3], 0 offset:52
.LBB42_39:
	s_or_b32 exec_lo, exec_lo, s4
	s_waitcnt_vscnt null, 0x0
	s_barrier
	buffer_gl0_inv
	s_clause 0x1
	buffer_load_dword v5, off, s[0:3], 0 offset:56
	buffer_load_dword v6, off, s[0:3], 0 offset:60
	s_mov_b32 s4, exec_lo
	s_waitcnt vmcnt(0)
	ds_write_b64 v4, v[5:6]
	s_waitcnt lgkmcnt(0)
	s_barrier
	buffer_gl0_inv
	v_cmpx_gt_u32_e32 7, v0
	s_cbranch_execz .LBB42_43
; %bb.40:
	v_add_nc_u32_e32 v5, -1, v0
	v_add_nc_u32_e32 v6, 0x160, v3
	v_mov_b32_e32 v7, v3
	v_mov_b32_e32 v2, 0
	;; [unrolled: 1-line block ×3, first 2 shown]
	s_mov_b32 s5, 0
	.p2align	6
.LBB42_41:                              ; =>This Inner Loop Header: Depth=1
	s_clause 0x1
	buffer_load_dword v97, v7, s[0:3], 0 offen offset:4
	buffer_load_dword v98, v7, s[0:3], 0 offen
	ds_read_b64 v[95:96], v6
	v_add_nc_u32_e32 v5, 1, v5
	v_add_nc_u32_e32 v6, 8, v6
	;; [unrolled: 1-line block ×3, first 2 shown]
	v_cmp_lt_u32_e32 vcc_lo, 5, v5
	s_or_b32 s5, vcc_lo, s5
	s_waitcnt vmcnt(1) lgkmcnt(0)
	v_mul_f32_e32 v99, v96, v97
	v_mul_f32_e32 v97, v95, v97
	s_waitcnt vmcnt(0)
	v_fma_f32 v95, v95, v98, -v99
	v_fmac_f32_e32 v97, v96, v98
	v_add_f32_e32 v8, v8, v95
	v_add_f32_e32 v2, v2, v97
	s_andn2_b32 exec_lo, exec_lo, s5
	s_cbranch_execnz .LBB42_41
; %bb.42:
	s_or_b32 exec_lo, exec_lo, s5
	v_mov_b32_e32 v5, 0
	ds_read_b64 v[5:6], v5 offset:56
	s_waitcnt lgkmcnt(0)
	v_mul_f32_e32 v7, v2, v6
	v_mul_f32_e32 v6, v8, v6
	v_fma_f32 v7, v8, v5, -v7
	v_fmac_f32_e32 v6, v2, v5
	buffer_store_dword v7, off, s[0:3], 0 offset:56
	buffer_store_dword v6, off, s[0:3], 0 offset:60
.LBB42_43:
	s_or_b32 exec_lo, exec_lo, s4
	s_waitcnt_vscnt null, 0x0
	s_barrier
	buffer_gl0_inv
	s_clause 0x1
	buffer_load_dword v5, off, s[0:3], 0 offset:64
	buffer_load_dword v6, off, s[0:3], 0 offset:68
	s_mov_b32 s4, exec_lo
	s_waitcnt vmcnt(0)
	ds_write_b64 v4, v[5:6]
	s_waitcnt lgkmcnt(0)
	s_barrier
	buffer_gl0_inv
	v_cmpx_gt_u32_e32 8, v0
	s_cbranch_execz .LBB42_47
; %bb.44:
	v_add_nc_u32_e32 v5, -1, v0
	v_add_nc_u32_e32 v6, 0x160, v3
	v_mov_b32_e32 v7, v3
	v_mov_b32_e32 v2, 0
	;; [unrolled: 1-line block ×3, first 2 shown]
	s_mov_b32 s5, 0
	.p2align	6
.LBB42_45:                              ; =>This Inner Loop Header: Depth=1
	s_clause 0x1
	buffer_load_dword v97, v7, s[0:3], 0 offen offset:4
	buffer_load_dword v98, v7, s[0:3], 0 offen
	ds_read_b64 v[95:96], v6
	v_add_nc_u32_e32 v5, 1, v5
	v_add_nc_u32_e32 v6, 8, v6
	;; [unrolled: 1-line block ×3, first 2 shown]
	v_cmp_lt_u32_e32 vcc_lo, 6, v5
	s_or_b32 s5, vcc_lo, s5
	s_waitcnt vmcnt(1) lgkmcnt(0)
	v_mul_f32_e32 v99, v96, v97
	v_mul_f32_e32 v97, v95, v97
	s_waitcnt vmcnt(0)
	v_fma_f32 v95, v95, v98, -v99
	v_fmac_f32_e32 v97, v96, v98
	v_add_f32_e32 v8, v8, v95
	v_add_f32_e32 v2, v2, v97
	s_andn2_b32 exec_lo, exec_lo, s5
	s_cbranch_execnz .LBB42_45
; %bb.46:
	s_or_b32 exec_lo, exec_lo, s5
	v_mov_b32_e32 v5, 0
	ds_read_b64 v[5:6], v5 offset:64
	s_waitcnt lgkmcnt(0)
	v_mul_f32_e32 v7, v2, v6
	v_mul_f32_e32 v6, v8, v6
	v_fma_f32 v7, v8, v5, -v7
	v_fmac_f32_e32 v6, v2, v5
	buffer_store_dword v7, off, s[0:3], 0 offset:64
	buffer_store_dword v6, off, s[0:3], 0 offset:68
.LBB42_47:
	s_or_b32 exec_lo, exec_lo, s4
	s_waitcnt_vscnt null, 0x0
	s_barrier
	buffer_gl0_inv
	s_clause 0x1
	buffer_load_dword v5, off, s[0:3], 0 offset:72
	buffer_load_dword v6, off, s[0:3], 0 offset:76
	s_mov_b32 s4, exec_lo
	s_waitcnt vmcnt(0)
	ds_write_b64 v4, v[5:6]
	s_waitcnt lgkmcnt(0)
	s_barrier
	buffer_gl0_inv
	v_cmpx_gt_u32_e32 9, v0
	s_cbranch_execz .LBB42_51
; %bb.48:
	v_add_nc_u32_e32 v5, -1, v0
	v_add_nc_u32_e32 v6, 0x160, v3
	v_mov_b32_e32 v7, v3
	v_mov_b32_e32 v2, 0
	v_mov_b32_e32 v8, 0
	s_mov_b32 s5, 0
	.p2align	6
.LBB42_49:                              ; =>This Inner Loop Header: Depth=1
	s_clause 0x1
	buffer_load_dword v97, v7, s[0:3], 0 offen offset:4
	buffer_load_dword v98, v7, s[0:3], 0 offen
	ds_read_b64 v[95:96], v6
	v_add_nc_u32_e32 v5, 1, v5
	v_add_nc_u32_e32 v6, 8, v6
	;; [unrolled: 1-line block ×3, first 2 shown]
	v_cmp_lt_u32_e32 vcc_lo, 7, v5
	s_or_b32 s5, vcc_lo, s5
	s_waitcnt vmcnt(1) lgkmcnt(0)
	v_mul_f32_e32 v99, v96, v97
	v_mul_f32_e32 v97, v95, v97
	s_waitcnt vmcnt(0)
	v_fma_f32 v95, v95, v98, -v99
	v_fmac_f32_e32 v97, v96, v98
	v_add_f32_e32 v8, v8, v95
	v_add_f32_e32 v2, v2, v97
	s_andn2_b32 exec_lo, exec_lo, s5
	s_cbranch_execnz .LBB42_49
; %bb.50:
	s_or_b32 exec_lo, exec_lo, s5
	v_mov_b32_e32 v5, 0
	ds_read_b64 v[5:6], v5 offset:72
	s_waitcnt lgkmcnt(0)
	v_mul_f32_e32 v7, v2, v6
	v_mul_f32_e32 v6, v8, v6
	v_fma_f32 v7, v8, v5, -v7
	v_fmac_f32_e32 v6, v2, v5
	buffer_store_dword v7, off, s[0:3], 0 offset:72
	buffer_store_dword v6, off, s[0:3], 0 offset:76
.LBB42_51:
	s_or_b32 exec_lo, exec_lo, s4
	s_waitcnt_vscnt null, 0x0
	s_barrier
	buffer_gl0_inv
	s_clause 0x1
	buffer_load_dword v5, off, s[0:3], 0 offset:80
	buffer_load_dword v6, off, s[0:3], 0 offset:84
	s_mov_b32 s4, exec_lo
	s_waitcnt vmcnt(0)
	ds_write_b64 v4, v[5:6]
	s_waitcnt lgkmcnt(0)
	s_barrier
	buffer_gl0_inv
	v_cmpx_gt_u32_e32 10, v0
	s_cbranch_execz .LBB42_55
; %bb.52:
	v_add_nc_u32_e32 v5, -1, v0
	v_add_nc_u32_e32 v6, 0x160, v3
	v_mov_b32_e32 v7, v3
	v_mov_b32_e32 v2, 0
	;; [unrolled: 1-line block ×3, first 2 shown]
	s_mov_b32 s5, 0
	.p2align	6
.LBB42_53:                              ; =>This Inner Loop Header: Depth=1
	s_clause 0x1
	buffer_load_dword v97, v7, s[0:3], 0 offen offset:4
	buffer_load_dword v98, v7, s[0:3], 0 offen
	ds_read_b64 v[95:96], v6
	v_add_nc_u32_e32 v5, 1, v5
	v_add_nc_u32_e32 v6, 8, v6
	v_add_nc_u32_e32 v7, 8, v7
	v_cmp_lt_u32_e32 vcc_lo, 8, v5
	s_or_b32 s5, vcc_lo, s5
	s_waitcnt vmcnt(1) lgkmcnt(0)
	v_mul_f32_e32 v99, v96, v97
	v_mul_f32_e32 v97, v95, v97
	s_waitcnt vmcnt(0)
	v_fma_f32 v95, v95, v98, -v99
	v_fmac_f32_e32 v97, v96, v98
	v_add_f32_e32 v8, v8, v95
	v_add_f32_e32 v2, v2, v97
	s_andn2_b32 exec_lo, exec_lo, s5
	s_cbranch_execnz .LBB42_53
; %bb.54:
	s_or_b32 exec_lo, exec_lo, s5
	v_mov_b32_e32 v5, 0
	ds_read_b64 v[5:6], v5 offset:80
	s_waitcnt lgkmcnt(0)
	v_mul_f32_e32 v7, v2, v6
	v_mul_f32_e32 v6, v8, v6
	v_fma_f32 v7, v8, v5, -v7
	v_fmac_f32_e32 v6, v2, v5
	buffer_store_dword v7, off, s[0:3], 0 offset:80
	buffer_store_dword v6, off, s[0:3], 0 offset:84
.LBB42_55:
	s_or_b32 exec_lo, exec_lo, s4
	s_waitcnt_vscnt null, 0x0
	s_barrier
	buffer_gl0_inv
	s_clause 0x1
	buffer_load_dword v5, off, s[0:3], 0 offset:88
	buffer_load_dword v6, off, s[0:3], 0 offset:92
	s_mov_b32 s4, exec_lo
	s_waitcnt vmcnt(0)
	ds_write_b64 v4, v[5:6]
	s_waitcnt lgkmcnt(0)
	s_barrier
	buffer_gl0_inv
	v_cmpx_gt_u32_e32 11, v0
	s_cbranch_execz .LBB42_59
; %bb.56:
	v_add_nc_u32_e32 v5, -1, v0
	v_add_nc_u32_e32 v6, 0x160, v3
	v_mov_b32_e32 v7, v3
	v_mov_b32_e32 v2, 0
	;; [unrolled: 1-line block ×3, first 2 shown]
	s_mov_b32 s5, 0
	.p2align	6
.LBB42_57:                              ; =>This Inner Loop Header: Depth=1
	s_clause 0x1
	buffer_load_dword v97, v7, s[0:3], 0 offen offset:4
	buffer_load_dword v98, v7, s[0:3], 0 offen
	ds_read_b64 v[95:96], v6
	v_add_nc_u32_e32 v5, 1, v5
	v_add_nc_u32_e32 v6, 8, v6
	;; [unrolled: 1-line block ×3, first 2 shown]
	v_cmp_lt_u32_e32 vcc_lo, 9, v5
	s_or_b32 s5, vcc_lo, s5
	s_waitcnt vmcnt(1) lgkmcnt(0)
	v_mul_f32_e32 v99, v96, v97
	v_mul_f32_e32 v97, v95, v97
	s_waitcnt vmcnt(0)
	v_fma_f32 v95, v95, v98, -v99
	v_fmac_f32_e32 v97, v96, v98
	v_add_f32_e32 v8, v8, v95
	v_add_f32_e32 v2, v2, v97
	s_andn2_b32 exec_lo, exec_lo, s5
	s_cbranch_execnz .LBB42_57
; %bb.58:
	s_or_b32 exec_lo, exec_lo, s5
	v_mov_b32_e32 v5, 0
	ds_read_b64 v[5:6], v5 offset:88
	s_waitcnt lgkmcnt(0)
	v_mul_f32_e32 v7, v2, v6
	v_mul_f32_e32 v6, v8, v6
	v_fma_f32 v7, v8, v5, -v7
	v_fmac_f32_e32 v6, v2, v5
	buffer_store_dword v7, off, s[0:3], 0 offset:88
	buffer_store_dword v6, off, s[0:3], 0 offset:92
.LBB42_59:
	s_or_b32 exec_lo, exec_lo, s4
	s_waitcnt_vscnt null, 0x0
	s_barrier
	buffer_gl0_inv
	s_clause 0x1
	buffer_load_dword v5, off, s[0:3], 0 offset:96
	buffer_load_dword v6, off, s[0:3], 0 offset:100
	s_mov_b32 s4, exec_lo
	s_waitcnt vmcnt(0)
	ds_write_b64 v4, v[5:6]
	s_waitcnt lgkmcnt(0)
	s_barrier
	buffer_gl0_inv
	v_cmpx_gt_u32_e32 12, v0
	s_cbranch_execz .LBB42_63
; %bb.60:
	v_add_nc_u32_e32 v5, -1, v0
	v_add_nc_u32_e32 v6, 0x160, v3
	v_mov_b32_e32 v7, v3
	v_mov_b32_e32 v2, 0
	;; [unrolled: 1-line block ×3, first 2 shown]
	s_mov_b32 s5, 0
	.p2align	6
.LBB42_61:                              ; =>This Inner Loop Header: Depth=1
	s_clause 0x1
	buffer_load_dword v97, v7, s[0:3], 0 offen offset:4
	buffer_load_dword v98, v7, s[0:3], 0 offen
	ds_read_b64 v[95:96], v6
	v_add_nc_u32_e32 v5, 1, v5
	v_add_nc_u32_e32 v6, 8, v6
	;; [unrolled: 1-line block ×3, first 2 shown]
	v_cmp_lt_u32_e32 vcc_lo, 10, v5
	s_or_b32 s5, vcc_lo, s5
	s_waitcnt vmcnt(1) lgkmcnt(0)
	v_mul_f32_e32 v99, v96, v97
	v_mul_f32_e32 v97, v95, v97
	s_waitcnt vmcnt(0)
	v_fma_f32 v95, v95, v98, -v99
	v_fmac_f32_e32 v97, v96, v98
	v_add_f32_e32 v8, v8, v95
	v_add_f32_e32 v2, v2, v97
	s_andn2_b32 exec_lo, exec_lo, s5
	s_cbranch_execnz .LBB42_61
; %bb.62:
	s_or_b32 exec_lo, exec_lo, s5
	v_mov_b32_e32 v5, 0
	ds_read_b64 v[5:6], v5 offset:96
	s_waitcnt lgkmcnt(0)
	v_mul_f32_e32 v7, v2, v6
	v_mul_f32_e32 v6, v8, v6
	v_fma_f32 v7, v8, v5, -v7
	v_fmac_f32_e32 v6, v2, v5
	buffer_store_dword v7, off, s[0:3], 0 offset:96
	buffer_store_dword v6, off, s[0:3], 0 offset:100
.LBB42_63:
	s_or_b32 exec_lo, exec_lo, s4
	s_waitcnt_vscnt null, 0x0
	s_barrier
	buffer_gl0_inv
	s_clause 0x1
	buffer_load_dword v5, off, s[0:3], 0 offset:104
	buffer_load_dword v6, off, s[0:3], 0 offset:108
	s_mov_b32 s4, exec_lo
	s_waitcnt vmcnt(0)
	ds_write_b64 v4, v[5:6]
	s_waitcnt lgkmcnt(0)
	s_barrier
	buffer_gl0_inv
	v_cmpx_gt_u32_e32 13, v0
	s_cbranch_execz .LBB42_67
; %bb.64:
	v_add_nc_u32_e32 v5, -1, v0
	v_add_nc_u32_e32 v6, 0x160, v3
	v_mov_b32_e32 v7, v3
	v_mov_b32_e32 v2, 0
	;; [unrolled: 1-line block ×3, first 2 shown]
	s_mov_b32 s5, 0
	.p2align	6
.LBB42_65:                              ; =>This Inner Loop Header: Depth=1
	s_clause 0x1
	buffer_load_dword v97, v7, s[0:3], 0 offen offset:4
	buffer_load_dword v98, v7, s[0:3], 0 offen
	ds_read_b64 v[95:96], v6
	v_add_nc_u32_e32 v5, 1, v5
	v_add_nc_u32_e32 v6, 8, v6
	;; [unrolled: 1-line block ×3, first 2 shown]
	v_cmp_lt_u32_e32 vcc_lo, 11, v5
	s_or_b32 s5, vcc_lo, s5
	s_waitcnt vmcnt(1) lgkmcnt(0)
	v_mul_f32_e32 v99, v96, v97
	v_mul_f32_e32 v97, v95, v97
	s_waitcnt vmcnt(0)
	v_fma_f32 v95, v95, v98, -v99
	v_fmac_f32_e32 v97, v96, v98
	v_add_f32_e32 v8, v8, v95
	v_add_f32_e32 v2, v2, v97
	s_andn2_b32 exec_lo, exec_lo, s5
	s_cbranch_execnz .LBB42_65
; %bb.66:
	s_or_b32 exec_lo, exec_lo, s5
	v_mov_b32_e32 v5, 0
	ds_read_b64 v[5:6], v5 offset:104
	s_waitcnt lgkmcnt(0)
	v_mul_f32_e32 v7, v2, v6
	v_mul_f32_e32 v6, v8, v6
	v_fma_f32 v7, v8, v5, -v7
	v_fmac_f32_e32 v6, v2, v5
	buffer_store_dword v7, off, s[0:3], 0 offset:104
	buffer_store_dword v6, off, s[0:3], 0 offset:108
.LBB42_67:
	s_or_b32 exec_lo, exec_lo, s4
	s_waitcnt_vscnt null, 0x0
	s_barrier
	buffer_gl0_inv
	s_clause 0x1
	buffer_load_dword v5, off, s[0:3], 0 offset:112
	buffer_load_dword v6, off, s[0:3], 0 offset:116
	s_mov_b32 s4, exec_lo
	s_waitcnt vmcnt(0)
	ds_write_b64 v4, v[5:6]
	s_waitcnt lgkmcnt(0)
	s_barrier
	buffer_gl0_inv
	v_cmpx_gt_u32_e32 14, v0
	s_cbranch_execz .LBB42_71
; %bb.68:
	v_add_nc_u32_e32 v5, -1, v0
	v_add_nc_u32_e32 v6, 0x160, v3
	v_mov_b32_e32 v7, v3
	v_mov_b32_e32 v2, 0
	;; [unrolled: 1-line block ×3, first 2 shown]
	s_mov_b32 s5, 0
	.p2align	6
.LBB42_69:                              ; =>This Inner Loop Header: Depth=1
	s_clause 0x1
	buffer_load_dword v97, v7, s[0:3], 0 offen offset:4
	buffer_load_dword v98, v7, s[0:3], 0 offen
	ds_read_b64 v[95:96], v6
	v_add_nc_u32_e32 v5, 1, v5
	v_add_nc_u32_e32 v6, 8, v6
	;; [unrolled: 1-line block ×3, first 2 shown]
	v_cmp_lt_u32_e32 vcc_lo, 12, v5
	s_or_b32 s5, vcc_lo, s5
	s_waitcnt vmcnt(1) lgkmcnt(0)
	v_mul_f32_e32 v99, v96, v97
	v_mul_f32_e32 v97, v95, v97
	s_waitcnt vmcnt(0)
	v_fma_f32 v95, v95, v98, -v99
	v_fmac_f32_e32 v97, v96, v98
	v_add_f32_e32 v8, v8, v95
	v_add_f32_e32 v2, v2, v97
	s_andn2_b32 exec_lo, exec_lo, s5
	s_cbranch_execnz .LBB42_69
; %bb.70:
	s_or_b32 exec_lo, exec_lo, s5
	v_mov_b32_e32 v5, 0
	ds_read_b64 v[5:6], v5 offset:112
	s_waitcnt lgkmcnt(0)
	v_mul_f32_e32 v7, v2, v6
	v_mul_f32_e32 v6, v8, v6
	v_fma_f32 v7, v8, v5, -v7
	v_fmac_f32_e32 v6, v2, v5
	buffer_store_dword v7, off, s[0:3], 0 offset:112
	buffer_store_dword v6, off, s[0:3], 0 offset:116
.LBB42_71:
	s_or_b32 exec_lo, exec_lo, s4
	s_waitcnt_vscnt null, 0x0
	s_barrier
	buffer_gl0_inv
	s_clause 0x1
	buffer_load_dword v5, off, s[0:3], 0 offset:120
	buffer_load_dword v6, off, s[0:3], 0 offset:124
	s_mov_b32 s4, exec_lo
	s_waitcnt vmcnt(0)
	ds_write_b64 v4, v[5:6]
	s_waitcnt lgkmcnt(0)
	s_barrier
	buffer_gl0_inv
	v_cmpx_gt_u32_e32 15, v0
	s_cbranch_execz .LBB42_75
; %bb.72:
	v_add_nc_u32_e32 v5, -1, v0
	v_add_nc_u32_e32 v6, 0x160, v3
	v_mov_b32_e32 v7, v3
	v_mov_b32_e32 v2, 0
	;; [unrolled: 1-line block ×3, first 2 shown]
	s_mov_b32 s5, 0
	.p2align	6
.LBB42_73:                              ; =>This Inner Loop Header: Depth=1
	s_clause 0x1
	buffer_load_dword v97, v7, s[0:3], 0 offen offset:4
	buffer_load_dword v98, v7, s[0:3], 0 offen
	ds_read_b64 v[95:96], v6
	v_add_nc_u32_e32 v5, 1, v5
	v_add_nc_u32_e32 v6, 8, v6
	;; [unrolled: 1-line block ×3, first 2 shown]
	v_cmp_lt_u32_e32 vcc_lo, 13, v5
	s_or_b32 s5, vcc_lo, s5
	s_waitcnt vmcnt(1) lgkmcnt(0)
	v_mul_f32_e32 v99, v96, v97
	v_mul_f32_e32 v97, v95, v97
	s_waitcnt vmcnt(0)
	v_fma_f32 v95, v95, v98, -v99
	v_fmac_f32_e32 v97, v96, v98
	v_add_f32_e32 v8, v8, v95
	v_add_f32_e32 v2, v2, v97
	s_andn2_b32 exec_lo, exec_lo, s5
	s_cbranch_execnz .LBB42_73
; %bb.74:
	s_or_b32 exec_lo, exec_lo, s5
	v_mov_b32_e32 v5, 0
	ds_read_b64 v[5:6], v5 offset:120
	s_waitcnt lgkmcnt(0)
	v_mul_f32_e32 v7, v2, v6
	v_mul_f32_e32 v6, v8, v6
	v_fma_f32 v7, v8, v5, -v7
	v_fmac_f32_e32 v6, v2, v5
	buffer_store_dword v7, off, s[0:3], 0 offset:120
	buffer_store_dword v6, off, s[0:3], 0 offset:124
.LBB42_75:
	s_or_b32 exec_lo, exec_lo, s4
	s_waitcnt_vscnt null, 0x0
	s_barrier
	buffer_gl0_inv
	s_clause 0x1
	buffer_load_dword v5, off, s[0:3], 0 offset:128
	buffer_load_dword v6, off, s[0:3], 0 offset:132
	s_mov_b32 s4, exec_lo
	s_waitcnt vmcnt(0)
	ds_write_b64 v4, v[5:6]
	s_waitcnt lgkmcnt(0)
	s_barrier
	buffer_gl0_inv
	v_cmpx_gt_u32_e32 16, v0
	s_cbranch_execz .LBB42_79
; %bb.76:
	v_add_nc_u32_e32 v5, -1, v0
	v_add_nc_u32_e32 v6, 0x160, v3
	v_mov_b32_e32 v7, v3
	v_mov_b32_e32 v2, 0
	;; [unrolled: 1-line block ×3, first 2 shown]
	s_mov_b32 s5, 0
	.p2align	6
.LBB42_77:                              ; =>This Inner Loop Header: Depth=1
	s_clause 0x1
	buffer_load_dword v97, v7, s[0:3], 0 offen offset:4
	buffer_load_dword v98, v7, s[0:3], 0 offen
	ds_read_b64 v[95:96], v6
	v_add_nc_u32_e32 v5, 1, v5
	v_add_nc_u32_e32 v6, 8, v6
	;; [unrolled: 1-line block ×3, first 2 shown]
	v_cmp_lt_u32_e32 vcc_lo, 14, v5
	s_or_b32 s5, vcc_lo, s5
	s_waitcnt vmcnt(1) lgkmcnt(0)
	v_mul_f32_e32 v99, v96, v97
	v_mul_f32_e32 v97, v95, v97
	s_waitcnt vmcnt(0)
	v_fma_f32 v95, v95, v98, -v99
	v_fmac_f32_e32 v97, v96, v98
	v_add_f32_e32 v8, v8, v95
	v_add_f32_e32 v2, v2, v97
	s_andn2_b32 exec_lo, exec_lo, s5
	s_cbranch_execnz .LBB42_77
; %bb.78:
	s_or_b32 exec_lo, exec_lo, s5
	v_mov_b32_e32 v5, 0
	ds_read_b64 v[5:6], v5 offset:128
	s_waitcnt lgkmcnt(0)
	v_mul_f32_e32 v7, v2, v6
	v_mul_f32_e32 v6, v8, v6
	v_fma_f32 v7, v8, v5, -v7
	v_fmac_f32_e32 v6, v2, v5
	buffer_store_dword v7, off, s[0:3], 0 offset:128
	buffer_store_dword v6, off, s[0:3], 0 offset:132
.LBB42_79:
	s_or_b32 exec_lo, exec_lo, s4
	s_waitcnt_vscnt null, 0x0
	s_barrier
	buffer_gl0_inv
	s_clause 0x1
	buffer_load_dword v5, off, s[0:3], 0 offset:136
	buffer_load_dword v6, off, s[0:3], 0 offset:140
	s_mov_b32 s4, exec_lo
	s_waitcnt vmcnt(0)
	ds_write_b64 v4, v[5:6]
	s_waitcnt lgkmcnt(0)
	s_barrier
	buffer_gl0_inv
	v_cmpx_gt_u32_e32 17, v0
	s_cbranch_execz .LBB42_83
; %bb.80:
	v_add_nc_u32_e32 v5, -1, v0
	v_add_nc_u32_e32 v6, 0x160, v3
	v_mov_b32_e32 v7, v3
	v_mov_b32_e32 v2, 0
	;; [unrolled: 1-line block ×3, first 2 shown]
	s_mov_b32 s5, 0
	.p2align	6
.LBB42_81:                              ; =>This Inner Loop Header: Depth=1
	s_clause 0x1
	buffer_load_dword v97, v7, s[0:3], 0 offen offset:4
	buffer_load_dword v98, v7, s[0:3], 0 offen
	ds_read_b64 v[95:96], v6
	v_add_nc_u32_e32 v5, 1, v5
	v_add_nc_u32_e32 v6, 8, v6
	;; [unrolled: 1-line block ×3, first 2 shown]
	v_cmp_lt_u32_e32 vcc_lo, 15, v5
	s_or_b32 s5, vcc_lo, s5
	s_waitcnt vmcnt(1) lgkmcnt(0)
	v_mul_f32_e32 v99, v96, v97
	v_mul_f32_e32 v97, v95, v97
	s_waitcnt vmcnt(0)
	v_fma_f32 v95, v95, v98, -v99
	v_fmac_f32_e32 v97, v96, v98
	v_add_f32_e32 v8, v8, v95
	v_add_f32_e32 v2, v2, v97
	s_andn2_b32 exec_lo, exec_lo, s5
	s_cbranch_execnz .LBB42_81
; %bb.82:
	s_or_b32 exec_lo, exec_lo, s5
	v_mov_b32_e32 v5, 0
	ds_read_b64 v[5:6], v5 offset:136
	s_waitcnt lgkmcnt(0)
	v_mul_f32_e32 v7, v2, v6
	v_mul_f32_e32 v6, v8, v6
	v_fma_f32 v7, v8, v5, -v7
	v_fmac_f32_e32 v6, v2, v5
	buffer_store_dword v7, off, s[0:3], 0 offset:136
	buffer_store_dword v6, off, s[0:3], 0 offset:140
.LBB42_83:
	s_or_b32 exec_lo, exec_lo, s4
	s_waitcnt_vscnt null, 0x0
	s_barrier
	buffer_gl0_inv
	s_clause 0x1
	buffer_load_dword v5, off, s[0:3], 0 offset:144
	buffer_load_dword v6, off, s[0:3], 0 offset:148
	s_mov_b32 s4, exec_lo
	s_waitcnt vmcnt(0)
	ds_write_b64 v4, v[5:6]
	s_waitcnt lgkmcnt(0)
	s_barrier
	buffer_gl0_inv
	v_cmpx_gt_u32_e32 18, v0
	s_cbranch_execz .LBB42_87
; %bb.84:
	v_add_nc_u32_e32 v5, -1, v0
	v_add_nc_u32_e32 v6, 0x160, v3
	v_mov_b32_e32 v7, v3
	v_mov_b32_e32 v2, 0
	;; [unrolled: 1-line block ×3, first 2 shown]
	s_mov_b32 s5, 0
	.p2align	6
.LBB42_85:                              ; =>This Inner Loop Header: Depth=1
	s_clause 0x1
	buffer_load_dword v97, v7, s[0:3], 0 offen offset:4
	buffer_load_dword v98, v7, s[0:3], 0 offen
	ds_read_b64 v[95:96], v6
	v_add_nc_u32_e32 v5, 1, v5
	v_add_nc_u32_e32 v6, 8, v6
	;; [unrolled: 1-line block ×3, first 2 shown]
	v_cmp_lt_u32_e32 vcc_lo, 16, v5
	s_or_b32 s5, vcc_lo, s5
	s_waitcnt vmcnt(1) lgkmcnt(0)
	v_mul_f32_e32 v99, v96, v97
	v_mul_f32_e32 v97, v95, v97
	s_waitcnt vmcnt(0)
	v_fma_f32 v95, v95, v98, -v99
	v_fmac_f32_e32 v97, v96, v98
	v_add_f32_e32 v8, v8, v95
	v_add_f32_e32 v2, v2, v97
	s_andn2_b32 exec_lo, exec_lo, s5
	s_cbranch_execnz .LBB42_85
; %bb.86:
	s_or_b32 exec_lo, exec_lo, s5
	v_mov_b32_e32 v5, 0
	ds_read_b64 v[5:6], v5 offset:144
	s_waitcnt lgkmcnt(0)
	v_mul_f32_e32 v7, v2, v6
	v_mul_f32_e32 v6, v8, v6
	v_fma_f32 v7, v8, v5, -v7
	v_fmac_f32_e32 v6, v2, v5
	buffer_store_dword v7, off, s[0:3], 0 offset:144
	buffer_store_dword v6, off, s[0:3], 0 offset:148
.LBB42_87:
	s_or_b32 exec_lo, exec_lo, s4
	s_waitcnt_vscnt null, 0x0
	s_barrier
	buffer_gl0_inv
	s_clause 0x1
	buffer_load_dword v5, off, s[0:3], 0 offset:152
	buffer_load_dword v6, off, s[0:3], 0 offset:156
	s_mov_b32 s4, exec_lo
	s_waitcnt vmcnt(0)
	ds_write_b64 v4, v[5:6]
	s_waitcnt lgkmcnt(0)
	s_barrier
	buffer_gl0_inv
	v_cmpx_gt_u32_e32 19, v0
	s_cbranch_execz .LBB42_91
; %bb.88:
	v_add_nc_u32_e32 v5, -1, v0
	v_add_nc_u32_e32 v6, 0x160, v3
	v_mov_b32_e32 v7, v3
	v_mov_b32_e32 v2, 0
	;; [unrolled: 1-line block ×3, first 2 shown]
	s_mov_b32 s5, 0
	.p2align	6
.LBB42_89:                              ; =>This Inner Loop Header: Depth=1
	s_clause 0x1
	buffer_load_dword v97, v7, s[0:3], 0 offen offset:4
	buffer_load_dword v98, v7, s[0:3], 0 offen
	ds_read_b64 v[95:96], v6
	v_add_nc_u32_e32 v5, 1, v5
	v_add_nc_u32_e32 v6, 8, v6
	;; [unrolled: 1-line block ×3, first 2 shown]
	v_cmp_lt_u32_e32 vcc_lo, 17, v5
	s_or_b32 s5, vcc_lo, s5
	s_waitcnt vmcnt(1) lgkmcnt(0)
	v_mul_f32_e32 v99, v96, v97
	v_mul_f32_e32 v97, v95, v97
	s_waitcnt vmcnt(0)
	v_fma_f32 v95, v95, v98, -v99
	v_fmac_f32_e32 v97, v96, v98
	v_add_f32_e32 v8, v8, v95
	v_add_f32_e32 v2, v2, v97
	s_andn2_b32 exec_lo, exec_lo, s5
	s_cbranch_execnz .LBB42_89
; %bb.90:
	s_or_b32 exec_lo, exec_lo, s5
	v_mov_b32_e32 v5, 0
	ds_read_b64 v[5:6], v5 offset:152
	s_waitcnt lgkmcnt(0)
	v_mul_f32_e32 v7, v2, v6
	v_mul_f32_e32 v6, v8, v6
	v_fma_f32 v7, v8, v5, -v7
	v_fmac_f32_e32 v6, v2, v5
	buffer_store_dword v7, off, s[0:3], 0 offset:152
	buffer_store_dword v6, off, s[0:3], 0 offset:156
.LBB42_91:
	s_or_b32 exec_lo, exec_lo, s4
	s_waitcnt_vscnt null, 0x0
	s_barrier
	buffer_gl0_inv
	s_clause 0x1
	buffer_load_dword v5, off, s[0:3], 0 offset:160
	buffer_load_dword v6, off, s[0:3], 0 offset:164
	s_mov_b32 s4, exec_lo
	s_waitcnt vmcnt(0)
	ds_write_b64 v4, v[5:6]
	s_waitcnt lgkmcnt(0)
	s_barrier
	buffer_gl0_inv
	v_cmpx_gt_u32_e32 20, v0
	s_cbranch_execz .LBB42_95
; %bb.92:
	v_add_nc_u32_e32 v5, -1, v0
	v_add_nc_u32_e32 v6, 0x160, v3
	v_mov_b32_e32 v7, v3
	v_mov_b32_e32 v2, 0
	;; [unrolled: 1-line block ×3, first 2 shown]
	s_mov_b32 s5, 0
	.p2align	6
.LBB42_93:                              ; =>This Inner Loop Header: Depth=1
	s_clause 0x1
	buffer_load_dword v97, v7, s[0:3], 0 offen offset:4
	buffer_load_dword v98, v7, s[0:3], 0 offen
	ds_read_b64 v[95:96], v6
	v_add_nc_u32_e32 v5, 1, v5
	v_add_nc_u32_e32 v6, 8, v6
	;; [unrolled: 1-line block ×3, first 2 shown]
	v_cmp_lt_u32_e32 vcc_lo, 18, v5
	s_or_b32 s5, vcc_lo, s5
	s_waitcnt vmcnt(1) lgkmcnt(0)
	v_mul_f32_e32 v99, v96, v97
	v_mul_f32_e32 v97, v95, v97
	s_waitcnt vmcnt(0)
	v_fma_f32 v95, v95, v98, -v99
	v_fmac_f32_e32 v97, v96, v98
	v_add_f32_e32 v8, v8, v95
	v_add_f32_e32 v2, v2, v97
	s_andn2_b32 exec_lo, exec_lo, s5
	s_cbranch_execnz .LBB42_93
; %bb.94:
	s_or_b32 exec_lo, exec_lo, s5
	v_mov_b32_e32 v5, 0
	ds_read_b64 v[5:6], v5 offset:160
	s_waitcnt lgkmcnt(0)
	v_mul_f32_e32 v7, v2, v6
	v_mul_f32_e32 v6, v8, v6
	v_fma_f32 v7, v8, v5, -v7
	v_fmac_f32_e32 v6, v2, v5
	buffer_store_dword v7, off, s[0:3], 0 offset:160
	buffer_store_dword v6, off, s[0:3], 0 offset:164
.LBB42_95:
	s_or_b32 exec_lo, exec_lo, s4
	s_waitcnt_vscnt null, 0x0
	s_barrier
	buffer_gl0_inv
	s_clause 0x1
	buffer_load_dword v5, off, s[0:3], 0 offset:168
	buffer_load_dword v6, off, s[0:3], 0 offset:172
	s_mov_b32 s4, exec_lo
	s_waitcnt vmcnt(0)
	ds_write_b64 v4, v[5:6]
	s_waitcnt lgkmcnt(0)
	s_barrier
	buffer_gl0_inv
	v_cmpx_gt_u32_e32 21, v0
	s_cbranch_execz .LBB42_99
; %bb.96:
	v_add_nc_u32_e32 v5, -1, v0
	v_add_nc_u32_e32 v6, 0x160, v3
	v_mov_b32_e32 v7, v3
	v_mov_b32_e32 v2, 0
	;; [unrolled: 1-line block ×3, first 2 shown]
	s_mov_b32 s5, 0
	.p2align	6
.LBB42_97:                              ; =>This Inner Loop Header: Depth=1
	s_clause 0x1
	buffer_load_dword v97, v7, s[0:3], 0 offen offset:4
	buffer_load_dword v98, v7, s[0:3], 0 offen
	ds_read_b64 v[95:96], v6
	v_add_nc_u32_e32 v5, 1, v5
	v_add_nc_u32_e32 v6, 8, v6
	;; [unrolled: 1-line block ×3, first 2 shown]
	v_cmp_lt_u32_e32 vcc_lo, 19, v5
	s_or_b32 s5, vcc_lo, s5
	s_waitcnt vmcnt(1) lgkmcnt(0)
	v_mul_f32_e32 v99, v96, v97
	v_mul_f32_e32 v97, v95, v97
	s_waitcnt vmcnt(0)
	v_fma_f32 v95, v95, v98, -v99
	v_fmac_f32_e32 v97, v96, v98
	v_add_f32_e32 v8, v8, v95
	v_add_f32_e32 v2, v2, v97
	s_andn2_b32 exec_lo, exec_lo, s5
	s_cbranch_execnz .LBB42_97
; %bb.98:
	s_or_b32 exec_lo, exec_lo, s5
	v_mov_b32_e32 v5, 0
	ds_read_b64 v[5:6], v5 offset:168
	s_waitcnt lgkmcnt(0)
	v_mul_f32_e32 v7, v2, v6
	v_mul_f32_e32 v6, v8, v6
	v_fma_f32 v7, v8, v5, -v7
	v_fmac_f32_e32 v6, v2, v5
	buffer_store_dword v7, off, s[0:3], 0 offset:168
	buffer_store_dword v6, off, s[0:3], 0 offset:172
.LBB42_99:
	s_or_b32 exec_lo, exec_lo, s4
	s_waitcnt_vscnt null, 0x0
	s_barrier
	buffer_gl0_inv
	s_clause 0x1
	buffer_load_dword v5, off, s[0:3], 0 offset:176
	buffer_load_dword v6, off, s[0:3], 0 offset:180
	s_mov_b32 s4, exec_lo
	s_waitcnt vmcnt(0)
	ds_write_b64 v4, v[5:6]
	s_waitcnt lgkmcnt(0)
	s_barrier
	buffer_gl0_inv
	v_cmpx_gt_u32_e32 22, v0
	s_cbranch_execz .LBB42_103
; %bb.100:
	v_add_nc_u32_e32 v5, -1, v0
	v_add_nc_u32_e32 v6, 0x160, v3
	v_mov_b32_e32 v7, v3
	v_mov_b32_e32 v2, 0
	;; [unrolled: 1-line block ×3, first 2 shown]
	s_mov_b32 s5, 0
	.p2align	6
.LBB42_101:                             ; =>This Inner Loop Header: Depth=1
	s_clause 0x1
	buffer_load_dword v97, v7, s[0:3], 0 offen offset:4
	buffer_load_dword v98, v7, s[0:3], 0 offen
	ds_read_b64 v[95:96], v6
	v_add_nc_u32_e32 v5, 1, v5
	v_add_nc_u32_e32 v6, 8, v6
	;; [unrolled: 1-line block ×3, first 2 shown]
	v_cmp_lt_u32_e32 vcc_lo, 20, v5
	s_or_b32 s5, vcc_lo, s5
	s_waitcnt vmcnt(1) lgkmcnt(0)
	v_mul_f32_e32 v99, v96, v97
	v_mul_f32_e32 v97, v95, v97
	s_waitcnt vmcnt(0)
	v_fma_f32 v95, v95, v98, -v99
	v_fmac_f32_e32 v97, v96, v98
	v_add_f32_e32 v8, v8, v95
	v_add_f32_e32 v2, v2, v97
	s_andn2_b32 exec_lo, exec_lo, s5
	s_cbranch_execnz .LBB42_101
; %bb.102:
	s_or_b32 exec_lo, exec_lo, s5
	v_mov_b32_e32 v5, 0
	ds_read_b64 v[5:6], v5 offset:176
	s_waitcnt lgkmcnt(0)
	v_mul_f32_e32 v7, v2, v6
	v_mul_f32_e32 v6, v8, v6
	v_fma_f32 v7, v8, v5, -v7
	v_fmac_f32_e32 v6, v2, v5
	buffer_store_dword v7, off, s[0:3], 0 offset:176
	buffer_store_dword v6, off, s[0:3], 0 offset:180
.LBB42_103:
	s_or_b32 exec_lo, exec_lo, s4
	s_waitcnt_vscnt null, 0x0
	s_barrier
	buffer_gl0_inv
	s_clause 0x1
	buffer_load_dword v5, off, s[0:3], 0 offset:184
	buffer_load_dword v6, off, s[0:3], 0 offset:188
	s_mov_b32 s4, exec_lo
	s_waitcnt vmcnt(0)
	ds_write_b64 v4, v[5:6]
	s_waitcnt lgkmcnt(0)
	s_barrier
	buffer_gl0_inv
	v_cmpx_gt_u32_e32 23, v0
	s_cbranch_execz .LBB42_107
; %bb.104:
	v_add_nc_u32_e32 v5, -1, v0
	v_add_nc_u32_e32 v6, 0x160, v3
	v_mov_b32_e32 v7, v3
	v_mov_b32_e32 v2, 0
	;; [unrolled: 1-line block ×3, first 2 shown]
	s_mov_b32 s5, 0
	.p2align	6
.LBB42_105:                             ; =>This Inner Loop Header: Depth=1
	s_clause 0x1
	buffer_load_dword v97, v7, s[0:3], 0 offen offset:4
	buffer_load_dword v98, v7, s[0:3], 0 offen
	ds_read_b64 v[95:96], v6
	v_add_nc_u32_e32 v5, 1, v5
	v_add_nc_u32_e32 v6, 8, v6
	v_add_nc_u32_e32 v7, 8, v7
	v_cmp_lt_u32_e32 vcc_lo, 21, v5
	s_or_b32 s5, vcc_lo, s5
	s_waitcnt vmcnt(1) lgkmcnt(0)
	v_mul_f32_e32 v99, v96, v97
	v_mul_f32_e32 v97, v95, v97
	s_waitcnt vmcnt(0)
	v_fma_f32 v95, v95, v98, -v99
	v_fmac_f32_e32 v97, v96, v98
	v_add_f32_e32 v8, v8, v95
	v_add_f32_e32 v2, v2, v97
	s_andn2_b32 exec_lo, exec_lo, s5
	s_cbranch_execnz .LBB42_105
; %bb.106:
	s_or_b32 exec_lo, exec_lo, s5
	v_mov_b32_e32 v5, 0
	ds_read_b64 v[5:6], v5 offset:184
	s_waitcnt lgkmcnt(0)
	v_mul_f32_e32 v7, v2, v6
	v_mul_f32_e32 v6, v8, v6
	v_fma_f32 v7, v8, v5, -v7
	v_fmac_f32_e32 v6, v2, v5
	buffer_store_dword v7, off, s[0:3], 0 offset:184
	buffer_store_dword v6, off, s[0:3], 0 offset:188
.LBB42_107:
	s_or_b32 exec_lo, exec_lo, s4
	s_waitcnt_vscnt null, 0x0
	s_barrier
	buffer_gl0_inv
	s_clause 0x1
	buffer_load_dword v5, off, s[0:3], 0 offset:192
	buffer_load_dword v6, off, s[0:3], 0 offset:196
	s_mov_b32 s4, exec_lo
	s_waitcnt vmcnt(0)
	ds_write_b64 v4, v[5:6]
	s_waitcnt lgkmcnt(0)
	s_barrier
	buffer_gl0_inv
	v_cmpx_gt_u32_e32 24, v0
	s_cbranch_execz .LBB42_111
; %bb.108:
	v_add_nc_u32_e32 v5, -1, v0
	v_add_nc_u32_e32 v6, 0x160, v3
	v_mov_b32_e32 v7, v3
	v_mov_b32_e32 v2, 0
	;; [unrolled: 1-line block ×3, first 2 shown]
	s_mov_b32 s5, 0
	.p2align	6
.LBB42_109:                             ; =>This Inner Loop Header: Depth=1
	s_clause 0x1
	buffer_load_dword v97, v7, s[0:3], 0 offen offset:4
	buffer_load_dword v98, v7, s[0:3], 0 offen
	ds_read_b64 v[95:96], v6
	v_add_nc_u32_e32 v5, 1, v5
	v_add_nc_u32_e32 v6, 8, v6
	v_add_nc_u32_e32 v7, 8, v7
	v_cmp_lt_u32_e32 vcc_lo, 22, v5
	s_or_b32 s5, vcc_lo, s5
	s_waitcnt vmcnt(1) lgkmcnt(0)
	v_mul_f32_e32 v99, v96, v97
	v_mul_f32_e32 v97, v95, v97
	s_waitcnt vmcnt(0)
	v_fma_f32 v95, v95, v98, -v99
	v_fmac_f32_e32 v97, v96, v98
	v_add_f32_e32 v8, v8, v95
	v_add_f32_e32 v2, v2, v97
	s_andn2_b32 exec_lo, exec_lo, s5
	s_cbranch_execnz .LBB42_109
; %bb.110:
	s_or_b32 exec_lo, exec_lo, s5
	v_mov_b32_e32 v5, 0
	ds_read_b64 v[5:6], v5 offset:192
	s_waitcnt lgkmcnt(0)
	v_mul_f32_e32 v7, v2, v6
	v_mul_f32_e32 v6, v8, v6
	v_fma_f32 v7, v8, v5, -v7
	v_fmac_f32_e32 v6, v2, v5
	buffer_store_dword v7, off, s[0:3], 0 offset:192
	buffer_store_dword v6, off, s[0:3], 0 offset:196
.LBB42_111:
	s_or_b32 exec_lo, exec_lo, s4
	s_waitcnt_vscnt null, 0x0
	s_barrier
	buffer_gl0_inv
	s_clause 0x1
	buffer_load_dword v5, off, s[0:3], 0 offset:200
	buffer_load_dword v6, off, s[0:3], 0 offset:204
	s_mov_b32 s4, exec_lo
	s_waitcnt vmcnt(0)
	ds_write_b64 v4, v[5:6]
	s_waitcnt lgkmcnt(0)
	s_barrier
	buffer_gl0_inv
	v_cmpx_gt_u32_e32 25, v0
	s_cbranch_execz .LBB42_115
; %bb.112:
	v_add_nc_u32_e32 v5, -1, v0
	v_add_nc_u32_e32 v6, 0x160, v3
	v_mov_b32_e32 v7, v3
	v_mov_b32_e32 v2, 0
	;; [unrolled: 1-line block ×3, first 2 shown]
	s_mov_b32 s5, 0
	.p2align	6
.LBB42_113:                             ; =>This Inner Loop Header: Depth=1
	s_clause 0x1
	buffer_load_dword v97, v7, s[0:3], 0 offen offset:4
	buffer_load_dword v98, v7, s[0:3], 0 offen
	ds_read_b64 v[95:96], v6
	v_add_nc_u32_e32 v5, 1, v5
	v_add_nc_u32_e32 v6, 8, v6
	;; [unrolled: 1-line block ×3, first 2 shown]
	v_cmp_lt_u32_e32 vcc_lo, 23, v5
	s_or_b32 s5, vcc_lo, s5
	s_waitcnt vmcnt(1) lgkmcnt(0)
	v_mul_f32_e32 v99, v96, v97
	v_mul_f32_e32 v97, v95, v97
	s_waitcnt vmcnt(0)
	v_fma_f32 v95, v95, v98, -v99
	v_fmac_f32_e32 v97, v96, v98
	v_add_f32_e32 v8, v8, v95
	v_add_f32_e32 v2, v2, v97
	s_andn2_b32 exec_lo, exec_lo, s5
	s_cbranch_execnz .LBB42_113
; %bb.114:
	s_or_b32 exec_lo, exec_lo, s5
	v_mov_b32_e32 v5, 0
	ds_read_b64 v[5:6], v5 offset:200
	s_waitcnt lgkmcnt(0)
	v_mul_f32_e32 v7, v2, v6
	v_mul_f32_e32 v6, v8, v6
	v_fma_f32 v7, v8, v5, -v7
	v_fmac_f32_e32 v6, v2, v5
	buffer_store_dword v7, off, s[0:3], 0 offset:200
	buffer_store_dword v6, off, s[0:3], 0 offset:204
.LBB42_115:
	s_or_b32 exec_lo, exec_lo, s4
	s_waitcnt_vscnt null, 0x0
	s_barrier
	buffer_gl0_inv
	s_clause 0x1
	buffer_load_dword v5, off, s[0:3], 0 offset:208
	buffer_load_dword v6, off, s[0:3], 0 offset:212
	s_mov_b32 s4, exec_lo
	s_waitcnt vmcnt(0)
	ds_write_b64 v4, v[5:6]
	s_waitcnt lgkmcnt(0)
	s_barrier
	buffer_gl0_inv
	v_cmpx_gt_u32_e32 26, v0
	s_cbranch_execz .LBB42_119
; %bb.116:
	v_add_nc_u32_e32 v5, -1, v0
	v_add_nc_u32_e32 v6, 0x160, v3
	v_mov_b32_e32 v7, v3
	v_mov_b32_e32 v2, 0
	;; [unrolled: 1-line block ×3, first 2 shown]
	s_mov_b32 s5, 0
	.p2align	6
.LBB42_117:                             ; =>This Inner Loop Header: Depth=1
	s_clause 0x1
	buffer_load_dword v97, v7, s[0:3], 0 offen offset:4
	buffer_load_dword v98, v7, s[0:3], 0 offen
	ds_read_b64 v[95:96], v6
	v_add_nc_u32_e32 v5, 1, v5
	v_add_nc_u32_e32 v6, 8, v6
	;; [unrolled: 1-line block ×3, first 2 shown]
	v_cmp_lt_u32_e32 vcc_lo, 24, v5
	s_or_b32 s5, vcc_lo, s5
	s_waitcnt vmcnt(1) lgkmcnt(0)
	v_mul_f32_e32 v99, v96, v97
	v_mul_f32_e32 v97, v95, v97
	s_waitcnt vmcnt(0)
	v_fma_f32 v95, v95, v98, -v99
	v_fmac_f32_e32 v97, v96, v98
	v_add_f32_e32 v8, v8, v95
	v_add_f32_e32 v2, v2, v97
	s_andn2_b32 exec_lo, exec_lo, s5
	s_cbranch_execnz .LBB42_117
; %bb.118:
	s_or_b32 exec_lo, exec_lo, s5
	v_mov_b32_e32 v5, 0
	ds_read_b64 v[5:6], v5 offset:208
	s_waitcnt lgkmcnt(0)
	v_mul_f32_e32 v7, v2, v6
	v_mul_f32_e32 v6, v8, v6
	v_fma_f32 v7, v8, v5, -v7
	v_fmac_f32_e32 v6, v2, v5
	buffer_store_dword v7, off, s[0:3], 0 offset:208
	buffer_store_dword v6, off, s[0:3], 0 offset:212
.LBB42_119:
	s_or_b32 exec_lo, exec_lo, s4
	s_waitcnt_vscnt null, 0x0
	s_barrier
	buffer_gl0_inv
	s_clause 0x1
	buffer_load_dword v5, off, s[0:3], 0 offset:216
	buffer_load_dword v6, off, s[0:3], 0 offset:220
	s_mov_b32 s4, exec_lo
	s_waitcnt vmcnt(0)
	ds_write_b64 v4, v[5:6]
	s_waitcnt lgkmcnt(0)
	s_barrier
	buffer_gl0_inv
	v_cmpx_gt_u32_e32 27, v0
	s_cbranch_execz .LBB42_123
; %bb.120:
	v_add_nc_u32_e32 v5, -1, v0
	v_add_nc_u32_e32 v6, 0x160, v3
	v_mov_b32_e32 v7, v3
	v_mov_b32_e32 v2, 0
	;; [unrolled: 1-line block ×3, first 2 shown]
	s_mov_b32 s5, 0
	.p2align	6
.LBB42_121:                             ; =>This Inner Loop Header: Depth=1
	s_clause 0x1
	buffer_load_dword v97, v7, s[0:3], 0 offen offset:4
	buffer_load_dword v98, v7, s[0:3], 0 offen
	ds_read_b64 v[95:96], v6
	v_add_nc_u32_e32 v5, 1, v5
	v_add_nc_u32_e32 v6, 8, v6
	;; [unrolled: 1-line block ×3, first 2 shown]
	v_cmp_lt_u32_e32 vcc_lo, 25, v5
	s_or_b32 s5, vcc_lo, s5
	s_waitcnt vmcnt(1) lgkmcnt(0)
	v_mul_f32_e32 v99, v96, v97
	v_mul_f32_e32 v97, v95, v97
	s_waitcnt vmcnt(0)
	v_fma_f32 v95, v95, v98, -v99
	v_fmac_f32_e32 v97, v96, v98
	v_add_f32_e32 v8, v8, v95
	v_add_f32_e32 v2, v2, v97
	s_andn2_b32 exec_lo, exec_lo, s5
	s_cbranch_execnz .LBB42_121
; %bb.122:
	s_or_b32 exec_lo, exec_lo, s5
	v_mov_b32_e32 v5, 0
	ds_read_b64 v[5:6], v5 offset:216
	s_waitcnt lgkmcnt(0)
	v_mul_f32_e32 v7, v2, v6
	v_mul_f32_e32 v6, v8, v6
	v_fma_f32 v7, v8, v5, -v7
	v_fmac_f32_e32 v6, v2, v5
	buffer_store_dword v7, off, s[0:3], 0 offset:216
	buffer_store_dword v6, off, s[0:3], 0 offset:220
.LBB42_123:
	s_or_b32 exec_lo, exec_lo, s4
	s_waitcnt_vscnt null, 0x0
	s_barrier
	buffer_gl0_inv
	s_clause 0x1
	buffer_load_dword v5, off, s[0:3], 0 offset:224
	buffer_load_dword v6, off, s[0:3], 0 offset:228
	s_mov_b32 s4, exec_lo
	s_waitcnt vmcnt(0)
	ds_write_b64 v4, v[5:6]
	s_waitcnt lgkmcnt(0)
	s_barrier
	buffer_gl0_inv
	v_cmpx_gt_u32_e32 28, v0
	s_cbranch_execz .LBB42_127
; %bb.124:
	v_add_nc_u32_e32 v5, -1, v0
	v_add_nc_u32_e32 v6, 0x160, v3
	v_mov_b32_e32 v7, v3
	v_mov_b32_e32 v2, 0
	;; [unrolled: 1-line block ×3, first 2 shown]
	s_mov_b32 s5, 0
	.p2align	6
.LBB42_125:                             ; =>This Inner Loop Header: Depth=1
	s_clause 0x1
	buffer_load_dword v97, v7, s[0:3], 0 offen offset:4
	buffer_load_dword v98, v7, s[0:3], 0 offen
	ds_read_b64 v[95:96], v6
	v_add_nc_u32_e32 v5, 1, v5
	v_add_nc_u32_e32 v6, 8, v6
	;; [unrolled: 1-line block ×3, first 2 shown]
	v_cmp_lt_u32_e32 vcc_lo, 26, v5
	s_or_b32 s5, vcc_lo, s5
	s_waitcnt vmcnt(1) lgkmcnt(0)
	v_mul_f32_e32 v99, v96, v97
	v_mul_f32_e32 v97, v95, v97
	s_waitcnt vmcnt(0)
	v_fma_f32 v95, v95, v98, -v99
	v_fmac_f32_e32 v97, v96, v98
	v_add_f32_e32 v8, v8, v95
	v_add_f32_e32 v2, v2, v97
	s_andn2_b32 exec_lo, exec_lo, s5
	s_cbranch_execnz .LBB42_125
; %bb.126:
	s_or_b32 exec_lo, exec_lo, s5
	v_mov_b32_e32 v5, 0
	ds_read_b64 v[5:6], v5 offset:224
	s_waitcnt lgkmcnt(0)
	v_mul_f32_e32 v7, v2, v6
	v_mul_f32_e32 v6, v8, v6
	v_fma_f32 v7, v8, v5, -v7
	v_fmac_f32_e32 v6, v2, v5
	buffer_store_dword v7, off, s[0:3], 0 offset:224
	buffer_store_dword v6, off, s[0:3], 0 offset:228
.LBB42_127:
	s_or_b32 exec_lo, exec_lo, s4
	s_waitcnt_vscnt null, 0x0
	s_barrier
	buffer_gl0_inv
	s_clause 0x1
	buffer_load_dword v5, off, s[0:3], 0 offset:232
	buffer_load_dword v6, off, s[0:3], 0 offset:236
	s_mov_b32 s4, exec_lo
	s_waitcnt vmcnt(0)
	ds_write_b64 v4, v[5:6]
	s_waitcnt lgkmcnt(0)
	s_barrier
	buffer_gl0_inv
	v_cmpx_gt_u32_e32 29, v0
	s_cbranch_execz .LBB42_131
; %bb.128:
	v_add_nc_u32_e32 v5, -1, v0
	v_add_nc_u32_e32 v6, 0x160, v3
	v_mov_b32_e32 v7, v3
	v_mov_b32_e32 v2, 0
	;; [unrolled: 1-line block ×3, first 2 shown]
	s_mov_b32 s5, 0
	.p2align	6
.LBB42_129:                             ; =>This Inner Loop Header: Depth=1
	s_clause 0x1
	buffer_load_dword v97, v7, s[0:3], 0 offen offset:4
	buffer_load_dword v98, v7, s[0:3], 0 offen
	ds_read_b64 v[95:96], v6
	v_add_nc_u32_e32 v5, 1, v5
	v_add_nc_u32_e32 v6, 8, v6
	;; [unrolled: 1-line block ×3, first 2 shown]
	v_cmp_lt_u32_e32 vcc_lo, 27, v5
	s_or_b32 s5, vcc_lo, s5
	s_waitcnt vmcnt(1) lgkmcnt(0)
	v_mul_f32_e32 v99, v96, v97
	v_mul_f32_e32 v97, v95, v97
	s_waitcnt vmcnt(0)
	v_fma_f32 v95, v95, v98, -v99
	v_fmac_f32_e32 v97, v96, v98
	v_add_f32_e32 v8, v8, v95
	v_add_f32_e32 v2, v2, v97
	s_andn2_b32 exec_lo, exec_lo, s5
	s_cbranch_execnz .LBB42_129
; %bb.130:
	s_or_b32 exec_lo, exec_lo, s5
	v_mov_b32_e32 v5, 0
	ds_read_b64 v[5:6], v5 offset:232
	s_waitcnt lgkmcnt(0)
	v_mul_f32_e32 v7, v2, v6
	v_mul_f32_e32 v6, v8, v6
	v_fma_f32 v7, v8, v5, -v7
	v_fmac_f32_e32 v6, v2, v5
	buffer_store_dword v7, off, s[0:3], 0 offset:232
	buffer_store_dword v6, off, s[0:3], 0 offset:236
.LBB42_131:
	s_or_b32 exec_lo, exec_lo, s4
	s_waitcnt_vscnt null, 0x0
	s_barrier
	buffer_gl0_inv
	s_clause 0x1
	buffer_load_dword v5, off, s[0:3], 0 offset:240
	buffer_load_dword v6, off, s[0:3], 0 offset:244
	s_mov_b32 s4, exec_lo
	s_waitcnt vmcnt(0)
	ds_write_b64 v4, v[5:6]
	s_waitcnt lgkmcnt(0)
	s_barrier
	buffer_gl0_inv
	v_cmpx_gt_u32_e32 30, v0
	s_cbranch_execz .LBB42_135
; %bb.132:
	v_add_nc_u32_e32 v5, -1, v0
	v_add_nc_u32_e32 v6, 0x160, v3
	v_mov_b32_e32 v7, v3
	v_mov_b32_e32 v2, 0
	;; [unrolled: 1-line block ×3, first 2 shown]
	s_mov_b32 s5, 0
	.p2align	6
.LBB42_133:                             ; =>This Inner Loop Header: Depth=1
	s_clause 0x1
	buffer_load_dword v97, v7, s[0:3], 0 offen offset:4
	buffer_load_dword v98, v7, s[0:3], 0 offen
	ds_read_b64 v[95:96], v6
	v_add_nc_u32_e32 v5, 1, v5
	v_add_nc_u32_e32 v6, 8, v6
	;; [unrolled: 1-line block ×3, first 2 shown]
	v_cmp_lt_u32_e32 vcc_lo, 28, v5
	s_or_b32 s5, vcc_lo, s5
	s_waitcnt vmcnt(1) lgkmcnt(0)
	v_mul_f32_e32 v99, v96, v97
	v_mul_f32_e32 v97, v95, v97
	s_waitcnt vmcnt(0)
	v_fma_f32 v95, v95, v98, -v99
	v_fmac_f32_e32 v97, v96, v98
	v_add_f32_e32 v8, v8, v95
	v_add_f32_e32 v2, v2, v97
	s_andn2_b32 exec_lo, exec_lo, s5
	s_cbranch_execnz .LBB42_133
; %bb.134:
	s_or_b32 exec_lo, exec_lo, s5
	v_mov_b32_e32 v5, 0
	ds_read_b64 v[5:6], v5 offset:240
	s_waitcnt lgkmcnt(0)
	v_mul_f32_e32 v7, v2, v6
	v_mul_f32_e32 v6, v8, v6
	v_fma_f32 v7, v8, v5, -v7
	v_fmac_f32_e32 v6, v2, v5
	buffer_store_dword v7, off, s[0:3], 0 offset:240
	buffer_store_dword v6, off, s[0:3], 0 offset:244
.LBB42_135:
	s_or_b32 exec_lo, exec_lo, s4
	s_waitcnt_vscnt null, 0x0
	s_barrier
	buffer_gl0_inv
	s_clause 0x1
	buffer_load_dword v5, off, s[0:3], 0 offset:248
	buffer_load_dword v6, off, s[0:3], 0 offset:252
	s_mov_b32 s4, exec_lo
	s_waitcnt vmcnt(0)
	ds_write_b64 v4, v[5:6]
	s_waitcnt lgkmcnt(0)
	s_barrier
	buffer_gl0_inv
	v_cmpx_gt_u32_e32 31, v0
	s_cbranch_execz .LBB42_139
; %bb.136:
	v_add_nc_u32_e32 v5, -1, v0
	v_add_nc_u32_e32 v6, 0x160, v3
	v_mov_b32_e32 v7, v3
	v_mov_b32_e32 v2, 0
	;; [unrolled: 1-line block ×3, first 2 shown]
	s_mov_b32 s5, 0
	.p2align	6
.LBB42_137:                             ; =>This Inner Loop Header: Depth=1
	s_clause 0x1
	buffer_load_dword v97, v7, s[0:3], 0 offen offset:4
	buffer_load_dword v98, v7, s[0:3], 0 offen
	ds_read_b64 v[95:96], v6
	v_add_nc_u32_e32 v5, 1, v5
	v_add_nc_u32_e32 v6, 8, v6
	;; [unrolled: 1-line block ×3, first 2 shown]
	v_cmp_lt_u32_e32 vcc_lo, 29, v5
	s_or_b32 s5, vcc_lo, s5
	s_waitcnt vmcnt(1) lgkmcnt(0)
	v_mul_f32_e32 v99, v96, v97
	v_mul_f32_e32 v97, v95, v97
	s_waitcnt vmcnt(0)
	v_fma_f32 v95, v95, v98, -v99
	v_fmac_f32_e32 v97, v96, v98
	v_add_f32_e32 v8, v8, v95
	v_add_f32_e32 v2, v2, v97
	s_andn2_b32 exec_lo, exec_lo, s5
	s_cbranch_execnz .LBB42_137
; %bb.138:
	s_or_b32 exec_lo, exec_lo, s5
	v_mov_b32_e32 v5, 0
	ds_read_b64 v[5:6], v5 offset:248
	s_waitcnt lgkmcnt(0)
	v_mul_f32_e32 v7, v2, v6
	v_mul_f32_e32 v6, v8, v6
	v_fma_f32 v7, v8, v5, -v7
	v_fmac_f32_e32 v6, v2, v5
	buffer_store_dword v7, off, s[0:3], 0 offset:248
	buffer_store_dword v6, off, s[0:3], 0 offset:252
.LBB42_139:
	s_or_b32 exec_lo, exec_lo, s4
	s_waitcnt_vscnt null, 0x0
	s_barrier
	buffer_gl0_inv
	s_clause 0x1
	buffer_load_dword v5, off, s[0:3], 0 offset:256
	buffer_load_dword v6, off, s[0:3], 0 offset:260
	s_mov_b32 s4, exec_lo
	s_waitcnt vmcnt(0)
	ds_write_b64 v4, v[5:6]
	s_waitcnt lgkmcnt(0)
	s_barrier
	buffer_gl0_inv
	v_cmpx_gt_u32_e32 32, v0
	s_cbranch_execz .LBB42_143
; %bb.140:
	v_add_nc_u32_e32 v5, -1, v0
	v_add_nc_u32_e32 v6, 0x160, v3
	v_mov_b32_e32 v7, v3
	v_mov_b32_e32 v2, 0
	;; [unrolled: 1-line block ×3, first 2 shown]
	s_mov_b32 s5, 0
	.p2align	6
.LBB42_141:                             ; =>This Inner Loop Header: Depth=1
	s_clause 0x1
	buffer_load_dword v97, v7, s[0:3], 0 offen offset:4
	buffer_load_dword v98, v7, s[0:3], 0 offen
	ds_read_b64 v[95:96], v6
	v_add_nc_u32_e32 v5, 1, v5
	v_add_nc_u32_e32 v6, 8, v6
	;; [unrolled: 1-line block ×3, first 2 shown]
	v_cmp_lt_u32_e32 vcc_lo, 30, v5
	s_or_b32 s5, vcc_lo, s5
	s_waitcnt vmcnt(1) lgkmcnt(0)
	v_mul_f32_e32 v99, v96, v97
	v_mul_f32_e32 v97, v95, v97
	s_waitcnt vmcnt(0)
	v_fma_f32 v95, v95, v98, -v99
	v_fmac_f32_e32 v97, v96, v98
	v_add_f32_e32 v8, v8, v95
	v_add_f32_e32 v2, v2, v97
	s_andn2_b32 exec_lo, exec_lo, s5
	s_cbranch_execnz .LBB42_141
; %bb.142:
	s_or_b32 exec_lo, exec_lo, s5
	v_mov_b32_e32 v5, 0
	ds_read_b64 v[5:6], v5 offset:256
	s_waitcnt lgkmcnt(0)
	v_mul_f32_e32 v7, v2, v6
	v_mul_f32_e32 v6, v8, v6
	v_fma_f32 v7, v8, v5, -v7
	v_fmac_f32_e32 v6, v2, v5
	buffer_store_dword v7, off, s[0:3], 0 offset:256
	buffer_store_dword v6, off, s[0:3], 0 offset:260
.LBB42_143:
	s_or_b32 exec_lo, exec_lo, s4
	s_waitcnt_vscnt null, 0x0
	s_barrier
	buffer_gl0_inv
	s_clause 0x1
	buffer_load_dword v5, off, s[0:3], 0 offset:264
	buffer_load_dword v6, off, s[0:3], 0 offset:268
	s_mov_b32 s4, exec_lo
	s_waitcnt vmcnt(0)
	ds_write_b64 v4, v[5:6]
	s_waitcnt lgkmcnt(0)
	s_barrier
	buffer_gl0_inv
	v_cmpx_gt_u32_e32 33, v0
	s_cbranch_execz .LBB42_147
; %bb.144:
	v_add_nc_u32_e32 v5, -1, v0
	v_add_nc_u32_e32 v6, 0x160, v3
	v_mov_b32_e32 v7, v3
	v_mov_b32_e32 v2, 0
	;; [unrolled: 1-line block ×3, first 2 shown]
	s_mov_b32 s5, 0
	.p2align	6
.LBB42_145:                             ; =>This Inner Loop Header: Depth=1
	s_clause 0x1
	buffer_load_dword v97, v7, s[0:3], 0 offen offset:4
	buffer_load_dword v98, v7, s[0:3], 0 offen
	ds_read_b64 v[95:96], v6
	v_add_nc_u32_e32 v5, 1, v5
	v_add_nc_u32_e32 v6, 8, v6
	;; [unrolled: 1-line block ×3, first 2 shown]
	v_cmp_lt_u32_e32 vcc_lo, 31, v5
	s_or_b32 s5, vcc_lo, s5
	s_waitcnt vmcnt(1) lgkmcnt(0)
	v_mul_f32_e32 v99, v96, v97
	v_mul_f32_e32 v97, v95, v97
	s_waitcnt vmcnt(0)
	v_fma_f32 v95, v95, v98, -v99
	v_fmac_f32_e32 v97, v96, v98
	v_add_f32_e32 v8, v8, v95
	v_add_f32_e32 v2, v2, v97
	s_andn2_b32 exec_lo, exec_lo, s5
	s_cbranch_execnz .LBB42_145
; %bb.146:
	s_or_b32 exec_lo, exec_lo, s5
	v_mov_b32_e32 v5, 0
	ds_read_b64 v[5:6], v5 offset:264
	s_waitcnt lgkmcnt(0)
	v_mul_f32_e32 v7, v2, v6
	v_mul_f32_e32 v6, v8, v6
	v_fma_f32 v7, v8, v5, -v7
	v_fmac_f32_e32 v6, v2, v5
	buffer_store_dword v7, off, s[0:3], 0 offset:264
	buffer_store_dword v6, off, s[0:3], 0 offset:268
.LBB42_147:
	s_or_b32 exec_lo, exec_lo, s4
	s_waitcnt_vscnt null, 0x0
	s_barrier
	buffer_gl0_inv
	s_clause 0x1
	buffer_load_dword v5, off, s[0:3], 0 offset:272
	buffer_load_dword v6, off, s[0:3], 0 offset:276
	s_mov_b32 s4, exec_lo
	s_waitcnt vmcnt(0)
	ds_write_b64 v4, v[5:6]
	s_waitcnt lgkmcnt(0)
	s_barrier
	buffer_gl0_inv
	v_cmpx_gt_u32_e32 34, v0
	s_cbranch_execz .LBB42_151
; %bb.148:
	v_add_nc_u32_e32 v5, -1, v0
	v_add_nc_u32_e32 v6, 0x160, v3
	v_mov_b32_e32 v7, v3
	v_mov_b32_e32 v2, 0
	;; [unrolled: 1-line block ×3, first 2 shown]
	s_mov_b32 s5, 0
	.p2align	6
.LBB42_149:                             ; =>This Inner Loop Header: Depth=1
	s_clause 0x1
	buffer_load_dword v97, v7, s[0:3], 0 offen offset:4
	buffer_load_dword v98, v7, s[0:3], 0 offen
	ds_read_b64 v[95:96], v6
	v_add_nc_u32_e32 v5, 1, v5
	v_add_nc_u32_e32 v6, 8, v6
	;; [unrolled: 1-line block ×3, first 2 shown]
	v_cmp_lt_u32_e32 vcc_lo, 32, v5
	s_or_b32 s5, vcc_lo, s5
	s_waitcnt vmcnt(1) lgkmcnt(0)
	v_mul_f32_e32 v99, v96, v97
	v_mul_f32_e32 v97, v95, v97
	s_waitcnt vmcnt(0)
	v_fma_f32 v95, v95, v98, -v99
	v_fmac_f32_e32 v97, v96, v98
	v_add_f32_e32 v8, v8, v95
	v_add_f32_e32 v2, v2, v97
	s_andn2_b32 exec_lo, exec_lo, s5
	s_cbranch_execnz .LBB42_149
; %bb.150:
	s_or_b32 exec_lo, exec_lo, s5
	v_mov_b32_e32 v5, 0
	ds_read_b64 v[5:6], v5 offset:272
	s_waitcnt lgkmcnt(0)
	v_mul_f32_e32 v7, v2, v6
	v_mul_f32_e32 v6, v8, v6
	v_fma_f32 v7, v8, v5, -v7
	v_fmac_f32_e32 v6, v2, v5
	buffer_store_dword v7, off, s[0:3], 0 offset:272
	buffer_store_dword v6, off, s[0:3], 0 offset:276
.LBB42_151:
	s_or_b32 exec_lo, exec_lo, s4
	s_waitcnt_vscnt null, 0x0
	s_barrier
	buffer_gl0_inv
	s_clause 0x1
	buffer_load_dword v5, off, s[0:3], 0 offset:280
	buffer_load_dword v6, off, s[0:3], 0 offset:284
	s_mov_b32 s4, exec_lo
	s_waitcnt vmcnt(0)
	ds_write_b64 v4, v[5:6]
	s_waitcnt lgkmcnt(0)
	s_barrier
	buffer_gl0_inv
	v_cmpx_gt_u32_e32 35, v0
	s_cbranch_execz .LBB42_155
; %bb.152:
	v_add_nc_u32_e32 v5, -1, v0
	v_add_nc_u32_e32 v6, 0x160, v3
	v_mov_b32_e32 v7, v3
	v_mov_b32_e32 v2, 0
	;; [unrolled: 1-line block ×3, first 2 shown]
	s_mov_b32 s5, 0
	.p2align	6
.LBB42_153:                             ; =>This Inner Loop Header: Depth=1
	s_clause 0x1
	buffer_load_dword v97, v7, s[0:3], 0 offen offset:4
	buffer_load_dword v98, v7, s[0:3], 0 offen
	ds_read_b64 v[95:96], v6
	v_add_nc_u32_e32 v5, 1, v5
	v_add_nc_u32_e32 v6, 8, v6
	v_add_nc_u32_e32 v7, 8, v7
	v_cmp_lt_u32_e32 vcc_lo, 33, v5
	s_or_b32 s5, vcc_lo, s5
	s_waitcnt vmcnt(1) lgkmcnt(0)
	v_mul_f32_e32 v99, v96, v97
	v_mul_f32_e32 v97, v95, v97
	s_waitcnt vmcnt(0)
	v_fma_f32 v95, v95, v98, -v99
	v_fmac_f32_e32 v97, v96, v98
	v_add_f32_e32 v8, v8, v95
	v_add_f32_e32 v2, v2, v97
	s_andn2_b32 exec_lo, exec_lo, s5
	s_cbranch_execnz .LBB42_153
; %bb.154:
	s_or_b32 exec_lo, exec_lo, s5
	v_mov_b32_e32 v5, 0
	ds_read_b64 v[5:6], v5 offset:280
	s_waitcnt lgkmcnt(0)
	v_mul_f32_e32 v7, v2, v6
	v_mul_f32_e32 v6, v8, v6
	v_fma_f32 v7, v8, v5, -v7
	v_fmac_f32_e32 v6, v2, v5
	buffer_store_dword v7, off, s[0:3], 0 offset:280
	buffer_store_dword v6, off, s[0:3], 0 offset:284
.LBB42_155:
	s_or_b32 exec_lo, exec_lo, s4
	s_waitcnt_vscnt null, 0x0
	s_barrier
	buffer_gl0_inv
	s_clause 0x1
	buffer_load_dword v5, off, s[0:3], 0 offset:288
	buffer_load_dword v6, off, s[0:3], 0 offset:292
	s_mov_b32 s4, exec_lo
	s_waitcnt vmcnt(0)
	ds_write_b64 v4, v[5:6]
	s_waitcnt lgkmcnt(0)
	s_barrier
	buffer_gl0_inv
	v_cmpx_gt_u32_e32 36, v0
	s_cbranch_execz .LBB42_159
; %bb.156:
	v_add_nc_u32_e32 v5, -1, v0
	v_add_nc_u32_e32 v6, 0x160, v3
	v_mov_b32_e32 v7, v3
	v_mov_b32_e32 v2, 0
	;; [unrolled: 1-line block ×3, first 2 shown]
	s_mov_b32 s5, 0
	.p2align	6
.LBB42_157:                             ; =>This Inner Loop Header: Depth=1
	s_clause 0x1
	buffer_load_dword v97, v7, s[0:3], 0 offen offset:4
	buffer_load_dword v98, v7, s[0:3], 0 offen
	ds_read_b64 v[95:96], v6
	v_add_nc_u32_e32 v5, 1, v5
	v_add_nc_u32_e32 v6, 8, v6
	;; [unrolled: 1-line block ×3, first 2 shown]
	v_cmp_lt_u32_e32 vcc_lo, 34, v5
	s_or_b32 s5, vcc_lo, s5
	s_waitcnt vmcnt(1) lgkmcnt(0)
	v_mul_f32_e32 v99, v96, v97
	v_mul_f32_e32 v97, v95, v97
	s_waitcnt vmcnt(0)
	v_fma_f32 v95, v95, v98, -v99
	v_fmac_f32_e32 v97, v96, v98
	v_add_f32_e32 v8, v8, v95
	v_add_f32_e32 v2, v2, v97
	s_andn2_b32 exec_lo, exec_lo, s5
	s_cbranch_execnz .LBB42_157
; %bb.158:
	s_or_b32 exec_lo, exec_lo, s5
	v_mov_b32_e32 v5, 0
	ds_read_b64 v[5:6], v5 offset:288
	s_waitcnt lgkmcnt(0)
	v_mul_f32_e32 v7, v2, v6
	v_mul_f32_e32 v6, v8, v6
	v_fma_f32 v7, v8, v5, -v7
	v_fmac_f32_e32 v6, v2, v5
	buffer_store_dword v7, off, s[0:3], 0 offset:288
	buffer_store_dword v6, off, s[0:3], 0 offset:292
.LBB42_159:
	s_or_b32 exec_lo, exec_lo, s4
	s_waitcnt_vscnt null, 0x0
	s_barrier
	buffer_gl0_inv
	s_clause 0x1
	buffer_load_dword v5, off, s[0:3], 0 offset:296
	buffer_load_dword v6, off, s[0:3], 0 offset:300
	s_mov_b32 s4, exec_lo
	s_waitcnt vmcnt(0)
	ds_write_b64 v4, v[5:6]
	s_waitcnt lgkmcnt(0)
	s_barrier
	buffer_gl0_inv
	v_cmpx_gt_u32_e32 37, v0
	s_cbranch_execz .LBB42_163
; %bb.160:
	v_add_nc_u32_e32 v5, -1, v0
	v_add_nc_u32_e32 v6, 0x160, v3
	v_mov_b32_e32 v7, v3
	v_mov_b32_e32 v2, 0
	;; [unrolled: 1-line block ×3, first 2 shown]
	s_mov_b32 s5, 0
	.p2align	6
.LBB42_161:                             ; =>This Inner Loop Header: Depth=1
	s_clause 0x1
	buffer_load_dword v97, v7, s[0:3], 0 offen offset:4
	buffer_load_dword v98, v7, s[0:3], 0 offen
	ds_read_b64 v[95:96], v6
	v_add_nc_u32_e32 v5, 1, v5
	v_add_nc_u32_e32 v6, 8, v6
	;; [unrolled: 1-line block ×3, first 2 shown]
	v_cmp_lt_u32_e32 vcc_lo, 35, v5
	s_or_b32 s5, vcc_lo, s5
	s_waitcnt vmcnt(1) lgkmcnt(0)
	v_mul_f32_e32 v99, v96, v97
	v_mul_f32_e32 v97, v95, v97
	s_waitcnt vmcnt(0)
	v_fma_f32 v95, v95, v98, -v99
	v_fmac_f32_e32 v97, v96, v98
	v_add_f32_e32 v8, v8, v95
	v_add_f32_e32 v2, v2, v97
	s_andn2_b32 exec_lo, exec_lo, s5
	s_cbranch_execnz .LBB42_161
; %bb.162:
	s_or_b32 exec_lo, exec_lo, s5
	v_mov_b32_e32 v5, 0
	ds_read_b64 v[5:6], v5 offset:296
	s_waitcnt lgkmcnt(0)
	v_mul_f32_e32 v7, v2, v6
	v_mul_f32_e32 v6, v8, v6
	v_fma_f32 v7, v8, v5, -v7
	v_fmac_f32_e32 v6, v2, v5
	buffer_store_dword v7, off, s[0:3], 0 offset:296
	buffer_store_dword v6, off, s[0:3], 0 offset:300
.LBB42_163:
	s_or_b32 exec_lo, exec_lo, s4
	s_waitcnt_vscnt null, 0x0
	s_barrier
	buffer_gl0_inv
	s_clause 0x1
	buffer_load_dword v5, off, s[0:3], 0 offset:304
	buffer_load_dword v6, off, s[0:3], 0 offset:308
	s_mov_b32 s4, exec_lo
	s_waitcnt vmcnt(0)
	ds_write_b64 v4, v[5:6]
	s_waitcnt lgkmcnt(0)
	s_barrier
	buffer_gl0_inv
	v_cmpx_gt_u32_e32 38, v0
	s_cbranch_execz .LBB42_167
; %bb.164:
	v_add_nc_u32_e32 v5, -1, v0
	v_add_nc_u32_e32 v6, 0x160, v3
	v_mov_b32_e32 v7, v3
	v_mov_b32_e32 v2, 0
	;; [unrolled: 1-line block ×3, first 2 shown]
	s_mov_b32 s5, 0
	.p2align	6
.LBB42_165:                             ; =>This Inner Loop Header: Depth=1
	s_clause 0x1
	buffer_load_dword v97, v7, s[0:3], 0 offen offset:4
	buffer_load_dword v98, v7, s[0:3], 0 offen
	ds_read_b64 v[95:96], v6
	v_add_nc_u32_e32 v5, 1, v5
	v_add_nc_u32_e32 v6, 8, v6
	;; [unrolled: 1-line block ×3, first 2 shown]
	v_cmp_lt_u32_e32 vcc_lo, 36, v5
	s_or_b32 s5, vcc_lo, s5
	s_waitcnt vmcnt(1) lgkmcnt(0)
	v_mul_f32_e32 v99, v96, v97
	v_mul_f32_e32 v97, v95, v97
	s_waitcnt vmcnt(0)
	v_fma_f32 v95, v95, v98, -v99
	v_fmac_f32_e32 v97, v96, v98
	v_add_f32_e32 v8, v8, v95
	v_add_f32_e32 v2, v2, v97
	s_andn2_b32 exec_lo, exec_lo, s5
	s_cbranch_execnz .LBB42_165
; %bb.166:
	s_or_b32 exec_lo, exec_lo, s5
	v_mov_b32_e32 v5, 0
	ds_read_b64 v[5:6], v5 offset:304
	s_waitcnt lgkmcnt(0)
	v_mul_f32_e32 v7, v2, v6
	v_mul_f32_e32 v6, v8, v6
	v_fma_f32 v7, v8, v5, -v7
	v_fmac_f32_e32 v6, v2, v5
	buffer_store_dword v7, off, s[0:3], 0 offset:304
	buffer_store_dword v6, off, s[0:3], 0 offset:308
.LBB42_167:
	s_or_b32 exec_lo, exec_lo, s4
	s_waitcnt_vscnt null, 0x0
	s_barrier
	buffer_gl0_inv
	s_clause 0x1
	buffer_load_dword v5, off, s[0:3], 0 offset:312
	buffer_load_dword v6, off, s[0:3], 0 offset:316
	s_mov_b32 s4, exec_lo
	s_waitcnt vmcnt(0)
	ds_write_b64 v4, v[5:6]
	s_waitcnt lgkmcnt(0)
	s_barrier
	buffer_gl0_inv
	v_cmpx_gt_u32_e32 39, v0
	s_cbranch_execz .LBB42_171
; %bb.168:
	v_add_nc_u32_e32 v5, -1, v0
	v_add_nc_u32_e32 v6, 0x160, v3
	v_mov_b32_e32 v7, v3
	v_mov_b32_e32 v2, 0
	;; [unrolled: 1-line block ×3, first 2 shown]
	s_mov_b32 s5, 0
	.p2align	6
.LBB42_169:                             ; =>This Inner Loop Header: Depth=1
	s_clause 0x1
	buffer_load_dword v97, v7, s[0:3], 0 offen offset:4
	buffer_load_dword v98, v7, s[0:3], 0 offen
	ds_read_b64 v[95:96], v6
	v_add_nc_u32_e32 v5, 1, v5
	v_add_nc_u32_e32 v6, 8, v6
	;; [unrolled: 1-line block ×3, first 2 shown]
	v_cmp_lt_u32_e32 vcc_lo, 37, v5
	s_or_b32 s5, vcc_lo, s5
	s_waitcnt vmcnt(1) lgkmcnt(0)
	v_mul_f32_e32 v99, v96, v97
	v_mul_f32_e32 v97, v95, v97
	s_waitcnt vmcnt(0)
	v_fma_f32 v95, v95, v98, -v99
	v_fmac_f32_e32 v97, v96, v98
	v_add_f32_e32 v8, v8, v95
	v_add_f32_e32 v2, v2, v97
	s_andn2_b32 exec_lo, exec_lo, s5
	s_cbranch_execnz .LBB42_169
; %bb.170:
	s_or_b32 exec_lo, exec_lo, s5
	v_mov_b32_e32 v5, 0
	ds_read_b64 v[5:6], v5 offset:312
	s_waitcnt lgkmcnt(0)
	v_mul_f32_e32 v7, v2, v6
	v_mul_f32_e32 v6, v8, v6
	v_fma_f32 v7, v8, v5, -v7
	v_fmac_f32_e32 v6, v2, v5
	buffer_store_dword v7, off, s[0:3], 0 offset:312
	buffer_store_dword v6, off, s[0:3], 0 offset:316
.LBB42_171:
	s_or_b32 exec_lo, exec_lo, s4
	s_waitcnt_vscnt null, 0x0
	s_barrier
	buffer_gl0_inv
	s_clause 0x1
	buffer_load_dword v5, off, s[0:3], 0 offset:320
	buffer_load_dword v6, off, s[0:3], 0 offset:324
	s_mov_b32 s4, exec_lo
	s_waitcnt vmcnt(0)
	ds_write_b64 v4, v[5:6]
	s_waitcnt lgkmcnt(0)
	s_barrier
	buffer_gl0_inv
	v_cmpx_gt_u32_e32 40, v0
	s_cbranch_execz .LBB42_175
; %bb.172:
	v_add_nc_u32_e32 v5, -1, v0
	v_add_nc_u32_e32 v6, 0x160, v3
	v_mov_b32_e32 v7, v3
	v_mov_b32_e32 v2, 0
	;; [unrolled: 1-line block ×3, first 2 shown]
	s_mov_b32 s5, 0
	.p2align	6
.LBB42_173:                             ; =>This Inner Loop Header: Depth=1
	s_clause 0x1
	buffer_load_dword v97, v7, s[0:3], 0 offen offset:4
	buffer_load_dword v98, v7, s[0:3], 0 offen
	ds_read_b64 v[95:96], v6
	v_add_nc_u32_e32 v5, 1, v5
	v_add_nc_u32_e32 v6, 8, v6
	;; [unrolled: 1-line block ×3, first 2 shown]
	v_cmp_lt_u32_e32 vcc_lo, 38, v5
	s_or_b32 s5, vcc_lo, s5
	s_waitcnt vmcnt(1) lgkmcnt(0)
	v_mul_f32_e32 v99, v96, v97
	v_mul_f32_e32 v97, v95, v97
	s_waitcnt vmcnt(0)
	v_fma_f32 v95, v95, v98, -v99
	v_fmac_f32_e32 v97, v96, v98
	v_add_f32_e32 v8, v8, v95
	v_add_f32_e32 v2, v2, v97
	s_andn2_b32 exec_lo, exec_lo, s5
	s_cbranch_execnz .LBB42_173
; %bb.174:
	s_or_b32 exec_lo, exec_lo, s5
	v_mov_b32_e32 v5, 0
	ds_read_b64 v[5:6], v5 offset:320
	s_waitcnt lgkmcnt(0)
	v_mul_f32_e32 v7, v2, v6
	v_mul_f32_e32 v6, v8, v6
	v_fma_f32 v7, v8, v5, -v7
	v_fmac_f32_e32 v6, v2, v5
	buffer_store_dword v7, off, s[0:3], 0 offset:320
	buffer_store_dword v6, off, s[0:3], 0 offset:324
.LBB42_175:
	s_or_b32 exec_lo, exec_lo, s4
	s_waitcnt_vscnt null, 0x0
	s_barrier
	buffer_gl0_inv
	s_clause 0x1
	buffer_load_dword v5, off, s[0:3], 0 offset:328
	buffer_load_dword v6, off, s[0:3], 0 offset:332
	s_mov_b32 s4, exec_lo
	s_waitcnt vmcnt(0)
	ds_write_b64 v4, v[5:6]
	s_waitcnt lgkmcnt(0)
	s_barrier
	buffer_gl0_inv
	v_cmpx_gt_u32_e32 41, v0
	s_cbranch_execz .LBB42_179
; %bb.176:
	v_add_nc_u32_e32 v5, -1, v0
	v_add_nc_u32_e32 v6, 0x160, v3
	v_mov_b32_e32 v7, v3
	v_mov_b32_e32 v2, 0
	;; [unrolled: 1-line block ×3, first 2 shown]
	s_mov_b32 s5, 0
	.p2align	6
.LBB42_177:                             ; =>This Inner Loop Header: Depth=1
	s_clause 0x1
	buffer_load_dword v97, v7, s[0:3], 0 offen offset:4
	buffer_load_dword v98, v7, s[0:3], 0 offen
	ds_read_b64 v[95:96], v6
	v_add_nc_u32_e32 v5, 1, v5
	v_add_nc_u32_e32 v6, 8, v6
	;; [unrolled: 1-line block ×3, first 2 shown]
	v_cmp_lt_u32_e32 vcc_lo, 39, v5
	s_or_b32 s5, vcc_lo, s5
	s_waitcnt vmcnt(1) lgkmcnt(0)
	v_mul_f32_e32 v99, v96, v97
	v_mul_f32_e32 v97, v95, v97
	s_waitcnt vmcnt(0)
	v_fma_f32 v95, v95, v98, -v99
	v_fmac_f32_e32 v97, v96, v98
	v_add_f32_e32 v8, v8, v95
	v_add_f32_e32 v2, v2, v97
	s_andn2_b32 exec_lo, exec_lo, s5
	s_cbranch_execnz .LBB42_177
; %bb.178:
	s_or_b32 exec_lo, exec_lo, s5
	v_mov_b32_e32 v5, 0
	ds_read_b64 v[5:6], v5 offset:328
	s_waitcnt lgkmcnt(0)
	v_mul_f32_e32 v7, v2, v6
	v_mul_f32_e32 v6, v8, v6
	v_fma_f32 v7, v8, v5, -v7
	v_fmac_f32_e32 v6, v2, v5
	buffer_store_dword v7, off, s[0:3], 0 offset:328
	buffer_store_dword v6, off, s[0:3], 0 offset:332
.LBB42_179:
	s_or_b32 exec_lo, exec_lo, s4
	s_waitcnt_vscnt null, 0x0
	s_barrier
	buffer_gl0_inv
	s_clause 0x1
	buffer_load_dword v5, off, s[0:3], 0 offset:336
	buffer_load_dword v6, off, s[0:3], 0 offset:340
	s_mov_b32 s4, exec_lo
	s_waitcnt vmcnt(0)
	ds_write_b64 v4, v[5:6]
	s_waitcnt lgkmcnt(0)
	s_barrier
	buffer_gl0_inv
	v_cmpx_ne_u32_e32 42, v0
	s_cbranch_execz .LBB42_183
; %bb.180:
	v_mov_b32_e32 v2, 0
	v_mov_b32_e32 v5, 0
	s_mov_b32 s5, 0
	.p2align	6
.LBB42_181:                             ; =>This Inner Loop Header: Depth=1
	s_clause 0x1
	buffer_load_dword v8, v3, s[0:3], 0 offen offset:4
	buffer_load_dword v95, v3, s[0:3], 0 offen
	ds_read_b64 v[6:7], v4
	v_add_nc_u32_e32 v1, 1, v1
	v_add_nc_u32_e32 v4, 8, v4
	;; [unrolled: 1-line block ×3, first 2 shown]
	v_cmp_lt_u32_e32 vcc_lo, 40, v1
	s_or_b32 s5, vcc_lo, s5
	s_waitcnt vmcnt(1) lgkmcnt(0)
	v_mul_f32_e32 v96, v7, v8
	v_mul_f32_e32 v8, v6, v8
	s_waitcnt vmcnt(0)
	v_fma_f32 v6, v6, v95, -v96
	v_fmac_f32_e32 v8, v7, v95
	v_add_f32_e32 v5, v5, v6
	v_add_f32_e32 v2, v2, v8
	s_andn2_b32 exec_lo, exec_lo, s5
	s_cbranch_execnz .LBB42_181
; %bb.182:
	s_or_b32 exec_lo, exec_lo, s5
	v_mov_b32_e32 v1, 0
	ds_read_b64 v[3:4], v1 offset:336
	s_waitcnt lgkmcnt(0)
	v_mul_f32_e32 v1, v2, v4
	v_mul_f32_e32 v4, v5, v4
	v_fma_f32 v1, v5, v3, -v1
	v_fmac_f32_e32 v4, v2, v3
	buffer_store_dword v1, off, s[0:3], 0 offset:336
	buffer_store_dword v4, off, s[0:3], 0 offset:340
.LBB42_183:
	s_or_b32 exec_lo, exec_lo, s4
	s_mov_b32 s5, -1
	s_waitcnt_vscnt null, 0x0
	s_barrier
	buffer_gl0_inv
.LBB42_184:
	s_and_b32 vcc_lo, exec_lo, s5
	s_cbranch_vccz .LBB42_186
; %bb.185:
	s_lshl_b64 s[4:5], s[6:7], 2
	v_mov_b32_e32 v1, 0
	s_add_u32 s4, s10, s4
	s_addc_u32 s5, s11, s5
	global_load_dword v1, v1, s[4:5]
	s_waitcnt vmcnt(0)
	v_cmp_ne_u32_e32 vcc_lo, 0, v1
	s_cbranch_vccz .LBB42_187
.LBB42_186:
	s_endpgm
.LBB42_187:
	v_lshl_add_u32 v95, v0, 3, 0x160
	s_mov_b32 s4, exec_lo
	v_cmpx_eq_u32_e32 42, v0
	s_cbranch_execz .LBB42_189
; %bb.188:
	s_clause 0x1
	buffer_load_dword v1, off, s[0:3], 0 offset:328
	buffer_load_dword v2, off, s[0:3], 0 offset:332
	v_mov_b32_e32 v3, 0
	buffer_store_dword v3, off, s[0:3], 0 offset:328
	buffer_store_dword v3, off, s[0:3], 0 offset:332
	s_waitcnt vmcnt(0)
	ds_write_b64 v95, v[1:2]
.LBB42_189:
	s_or_b32 exec_lo, exec_lo, s4
	s_waitcnt lgkmcnt(0)
	s_waitcnt_vscnt null, 0x0
	s_barrier
	buffer_gl0_inv
	s_clause 0x3
	buffer_load_dword v4, off, s[0:3], 0 offset:340
	buffer_load_dword v5, off, s[0:3], 0 offset:336
	;; [unrolled: 1-line block ×4, first 2 shown]
	v_mov_b32_e32 v1, 0
	s_mov_b32 s4, exec_lo
	ds_read_b64 v[2:3], v1 offset:688
	s_waitcnt vmcnt(3) lgkmcnt(0)
	v_mul_f32_e32 v8, v3, v4
	v_mul_f32_e32 v4, v2, v4
	s_waitcnt vmcnt(2)
	v_fma_f32 v2, v2, v5, -v8
	v_fmac_f32_e32 v4, v3, v5
	v_add_f32_e32 v2, 0, v2
	v_add_f32_e32 v3, 0, v4
	s_waitcnt vmcnt(1)
	v_sub_f32_e32 v2, v6, v2
	s_waitcnt vmcnt(0)
	v_sub_f32_e32 v3, v7, v3
	buffer_store_dword v2, off, s[0:3], 0 offset:328
	buffer_store_dword v3, off, s[0:3], 0 offset:332
	v_cmpx_lt_u32_e32 40, v0
	s_cbranch_execz .LBB42_191
; %bb.190:
	s_clause 0x1
	buffer_load_dword v2, off, s[0:3], 0 offset:320
	buffer_load_dword v3, off, s[0:3], 0 offset:324
	buffer_store_dword v1, off, s[0:3], 0 offset:320
	buffer_store_dword v1, off, s[0:3], 0 offset:324
	s_waitcnt vmcnt(0)
	ds_write_b64 v95, v[2:3]
.LBB42_191:
	s_or_b32 exec_lo, exec_lo, s4
	s_waitcnt lgkmcnt(0)
	s_waitcnt_vscnt null, 0x0
	s_barrier
	buffer_gl0_inv
	s_clause 0x5
	buffer_load_dword v5, off, s[0:3], 0 offset:332
	buffer_load_dword v6, off, s[0:3], 0 offset:340
	;; [unrolled: 1-line block ×6, first 2 shown]
	ds_read2_b64 v[1:4], v1 offset0:85 offset1:86
	s_mov_b32 s4, exec_lo
	s_waitcnt vmcnt(5) lgkmcnt(0)
	v_mul_f32_e32 v98, v2, v5
	v_mul_f32_e32 v5, v1, v5
	s_waitcnt vmcnt(4)
	v_mul_f32_e32 v99, v3, v6
	v_mul_f32_e32 v6, v4, v6
	s_waitcnt vmcnt(3)
	v_fma_f32 v1, v1, v7, -v98
	v_fmac_f32_e32 v5, v2, v7
	s_waitcnt vmcnt(2)
	v_fmac_f32_e32 v99, v4, v8
	v_fma_f32 v2, v3, v8, -v6
	v_add_f32_e32 v1, 0, v1
	v_add_f32_e32 v3, 0, v5
	;; [unrolled: 1-line block ×4, first 2 shown]
	s_waitcnt vmcnt(1)
	v_sub_f32_e32 v1, v96, v1
	s_waitcnt vmcnt(0)
	v_sub_f32_e32 v2, v97, v2
	buffer_store_dword v1, off, s[0:3], 0 offset:320
	buffer_store_dword v2, off, s[0:3], 0 offset:324
	v_cmpx_lt_u32_e32 39, v0
	s_cbranch_execz .LBB42_193
; %bb.192:
	s_clause 0x1
	buffer_load_dword v1, off, s[0:3], 0 offset:312
	buffer_load_dword v2, off, s[0:3], 0 offset:316
	v_mov_b32_e32 v3, 0
	buffer_store_dword v3, off, s[0:3], 0 offset:312
	buffer_store_dword v3, off, s[0:3], 0 offset:316
	s_waitcnt vmcnt(0)
	ds_write_b64 v95, v[1:2]
.LBB42_193:
	s_or_b32 exec_lo, exec_lo, s4
	s_waitcnt lgkmcnt(0)
	s_waitcnt_vscnt null, 0x0
	s_barrier
	buffer_gl0_inv
	s_clause 0x7
	buffer_load_dword v8, off, s[0:3], 0 offset:324
	buffer_load_dword v96, off, s[0:3], 0 offset:332
	;; [unrolled: 1-line block ×8, first 2 shown]
	v_mov_b32_e32 v1, 0
	ds_read_b128 v[2:5], v1 offset:672
	ds_read_b64 v[6:7], v1 offset:688
	s_mov_b32 s4, exec_lo
	s_waitcnt vmcnt(7) lgkmcnt(1)
	v_mul_f32_e32 v103, v3, v8
	v_mul_f32_e32 v8, v2, v8
	s_waitcnt vmcnt(6)
	v_mul_f32_e32 v104, v4, v96
	v_mul_f32_e32 v96, v5, v96
	s_waitcnt vmcnt(5) lgkmcnt(0)
	v_mul_f32_e32 v105, v6, v97
	s_waitcnt vmcnt(4)
	v_fma_f32 v2, v2, v98, -v103
	v_fmac_f32_e32 v8, v3, v98
	v_mul_f32_e32 v3, v7, v97
	s_waitcnt vmcnt(3)
	v_fma_f32 v4, v4, v99, -v96
	v_fmac_f32_e32 v104, v5, v99
	v_add_f32_e32 v2, 0, v2
	v_add_f32_e32 v5, 0, v8
	s_waitcnt vmcnt(2)
	v_fma_f32 v3, v6, v100, -v3
	v_fmac_f32_e32 v105, v7, v100
	v_add_f32_e32 v2, v2, v4
	v_add_f32_e32 v4, v5, v104
	v_add_f32_e32 v2, v2, v3
	v_add_f32_e32 v3, v4, v105
	s_waitcnt vmcnt(1)
	v_sub_f32_e32 v2, v101, v2
	s_waitcnt vmcnt(0)
	v_sub_f32_e32 v3, v102, v3
	buffer_store_dword v2, off, s[0:3], 0 offset:312
	buffer_store_dword v3, off, s[0:3], 0 offset:316
	v_cmpx_lt_u32_e32 38, v0
	s_cbranch_execz .LBB42_195
; %bb.194:
	s_clause 0x1
	buffer_load_dword v2, off, s[0:3], 0 offset:304
	buffer_load_dword v3, off, s[0:3], 0 offset:308
	buffer_store_dword v1, off, s[0:3], 0 offset:304
	buffer_store_dword v1, off, s[0:3], 0 offset:308
	s_waitcnt vmcnt(0)
	ds_write_b64 v95, v[2:3]
.LBB42_195:
	s_or_b32 exec_lo, exec_lo, s4
	s_waitcnt lgkmcnt(0)
	s_waitcnt_vscnt null, 0x0
	s_barrier
	buffer_gl0_inv
	s_clause 0x9
	buffer_load_dword v6, off, s[0:3], 0 offset:316
	buffer_load_dword v7, off, s[0:3], 0 offset:324
	;; [unrolled: 1-line block ×10, first 2 shown]
	ds_read2_b64 v[2:5], v1 offset0:83 offset1:84
	ds_read2_b64 v[96:99], v1 offset0:85 offset1:86
	s_mov_b32 s4, exec_lo
	s_waitcnt vmcnt(9) lgkmcnt(1)
	v_mul_f32_e32 v1, v2, v6
	v_mul_f32_e32 v6, v3, v6
	s_waitcnt vmcnt(8)
	v_mul_f32_e32 v107, v4, v7
	v_mul_f32_e32 v7, v5, v7
	s_waitcnt vmcnt(7) lgkmcnt(0)
	v_mul_f32_e32 v108, v96, v8
	s_waitcnt vmcnt(5)
	v_fmac_f32_e32 v1, v3, v101
	v_fma_f32 v2, v2, v101, -v6
	v_mul_f32_e32 v3, v97, v8
	s_waitcnt vmcnt(4)
	v_fma_f32 v4, v4, v102, -v7
	v_fmac_f32_e32 v107, v5, v102
	v_add_f32_e32 v1, 0, v1
	v_add_f32_e32 v2, 0, v2
	v_mul_f32_e32 v5, v99, v100
	s_waitcnt vmcnt(3)
	v_fma_f32 v3, v96, v103, -v3
	v_mul_f32_e32 v109, v98, v100
	v_fmac_f32_e32 v108, v97, v103
	v_add_f32_e32 v2, v2, v4
	v_add_f32_e32 v1, v1, v107
	s_waitcnt vmcnt(2)
	v_fma_f32 v4, v98, v104, -v5
	v_fmac_f32_e32 v109, v99, v104
	v_add_f32_e32 v2, v2, v3
	v_add_f32_e32 v1, v1, v108
	;; [unrolled: 1-line block ×4, first 2 shown]
	s_waitcnt vmcnt(1)
	v_sub_f32_e32 v2, v105, v2
	s_waitcnt vmcnt(0)
	v_sub_f32_e32 v1, v106, v1
	buffer_store_dword v2, off, s[0:3], 0 offset:304
	buffer_store_dword v1, off, s[0:3], 0 offset:308
	v_cmpx_lt_u32_e32 37, v0
	s_cbranch_execz .LBB42_197
; %bb.196:
	s_clause 0x1
	buffer_load_dword v1, off, s[0:3], 0 offset:296
	buffer_load_dword v2, off, s[0:3], 0 offset:300
	v_mov_b32_e32 v3, 0
	buffer_store_dword v3, off, s[0:3], 0 offset:296
	buffer_store_dword v3, off, s[0:3], 0 offset:300
	s_waitcnt vmcnt(0)
	ds_write_b64 v95, v[1:2]
.LBB42_197:
	s_or_b32 exec_lo, exec_lo, s4
	s_waitcnt lgkmcnt(0)
	s_waitcnt_vscnt null, 0x0
	s_barrier
	buffer_gl0_inv
	s_clause 0xb
	buffer_load_dword v8, off, s[0:3], 0 offset:308
	buffer_load_dword v100, off, s[0:3], 0 offset:316
	;; [unrolled: 1-line block ×12, first 2 shown]
	v_mov_b32_e32 v1, 0
	ds_read_b128 v[2:5], v1 offset:656
	ds_read_b128 v[96:99], v1 offset:672
	ds_read_b64 v[6:7], v1 offset:688
	s_mov_b32 s4, exec_lo
	s_waitcnt vmcnt(11) lgkmcnt(2)
	v_mul_f32_e32 v111, v2, v8
	v_mul_f32_e32 v8, v3, v8
	s_waitcnt vmcnt(10)
	v_mul_f32_e32 v112, v4, v100
	v_mul_f32_e32 v100, v5, v100
	s_waitcnt vmcnt(9) lgkmcnt(1)
	v_mul_f32_e32 v113, v96, v101
	s_waitcnt vmcnt(6)
	v_fmac_f32_e32 v111, v3, v104
	v_fma_f32 v2, v2, v104, -v8
	v_mul_f32_e32 v3, v97, v101
	s_waitcnt vmcnt(5)
	v_fma_f32 v4, v4, v105, -v100
	v_fmac_f32_e32 v112, v5, v105
	v_add_f32_e32 v5, 0, v111
	v_add_f32_e32 v2, 0, v2
	v_mul_f32_e32 v8, v99, v102
	s_waitcnt vmcnt(4)
	v_fma_f32 v3, v96, v106, -v3
	v_mul_f32_e32 v114, v98, v102
	v_fmac_f32_e32 v113, v97, v106
	v_add_f32_e32 v2, v2, v4
	v_add_f32_e32 v4, v5, v112
	s_waitcnt lgkmcnt(0)
	v_mul_f32_e32 v5, v7, v103
	s_waitcnt vmcnt(3)
	v_fma_f32 v8, v98, v107, -v8
	v_mul_f32_e32 v115, v6, v103
	v_add_f32_e32 v2, v2, v3
	v_fmac_f32_e32 v114, v99, v107
	v_add_f32_e32 v3, v4, v113
	s_waitcnt vmcnt(2)
	v_fma_f32 v4, v6, v108, -v5
	v_fmac_f32_e32 v115, v7, v108
	v_add_f32_e32 v2, v2, v8
	v_add_f32_e32 v3, v3, v114
	;; [unrolled: 1-line block ×4, first 2 shown]
	s_waitcnt vmcnt(1)
	v_sub_f32_e32 v2, v109, v2
	s_waitcnt vmcnt(0)
	v_sub_f32_e32 v3, v110, v3
	buffer_store_dword v2, off, s[0:3], 0 offset:296
	buffer_store_dword v3, off, s[0:3], 0 offset:300
	v_cmpx_lt_u32_e32 36, v0
	s_cbranch_execz .LBB42_199
; %bb.198:
	s_clause 0x1
	buffer_load_dword v2, off, s[0:3], 0 offset:288
	buffer_load_dword v3, off, s[0:3], 0 offset:292
	buffer_store_dword v1, off, s[0:3], 0 offset:288
	buffer_store_dword v1, off, s[0:3], 0 offset:292
	s_waitcnt vmcnt(0)
	ds_write_b64 v95, v[2:3]
.LBB42_199:
	s_or_b32 exec_lo, exec_lo, s4
	s_waitcnt lgkmcnt(0)
	s_waitcnt_vscnt null, 0x0
	s_barrier
	buffer_gl0_inv
	s_clause 0xd
	buffer_load_dword v6, off, s[0:3], 0 offset:300
	buffer_load_dword v7, off, s[0:3], 0 offset:308
	;; [unrolled: 1-line block ×14, first 2 shown]
	ds_read2_b64 v[2:5], v1 offset0:81 offset1:82
	ds_read2_b64 v[96:99], v1 offset0:83 offset1:84
	;; [unrolled: 1-line block ×3, first 2 shown]
	s_mov_b32 s4, exec_lo
	s_waitcnt vmcnt(13) lgkmcnt(2)
	v_mul_f32_e32 v1, v2, v6
	v_mul_f32_e32 v6, v3, v6
	s_waitcnt vmcnt(12)
	v_mul_f32_e32 v115, v4, v7
	v_mul_f32_e32 v7, v5, v7
	s_waitcnt vmcnt(11) lgkmcnt(1)
	v_mul_f32_e32 v116, v96, v8
	s_waitcnt vmcnt(10)
	v_mul_f32_e32 v117, v98, v104
	s_waitcnt vmcnt(7)
	v_fma_f32 v2, v2, v107, -v6
	v_fmac_f32_e32 v1, v3, v107
	v_mul_f32_e32 v3, v97, v8
	s_waitcnt vmcnt(6)
	v_fma_f32 v4, v4, v108, -v7
	v_fmac_f32_e32 v115, v5, v108
	v_add_f32_e32 v2, 0, v2
	v_add_f32_e32 v1, 0, v1
	v_mul_f32_e32 v5, v99, v104
	s_waitcnt vmcnt(5)
	v_fma_f32 v3, v96, v109, -v3
	v_fmac_f32_e32 v116, v97, v109
	v_add_f32_e32 v2, v2, v4
	v_add_f32_e32 v1, v1, v115
	s_waitcnt lgkmcnt(0)
	v_mul_f32_e32 v4, v101, v105
	s_waitcnt vmcnt(4)
	v_fma_f32 v5, v98, v110, -v5
	v_mul_f32_e32 v118, v100, v105
	v_add_f32_e32 v2, v2, v3
	v_fmac_f32_e32 v117, v99, v110
	v_add_f32_e32 v1, v1, v116
	v_mul_f32_e32 v3, v103, v106
	s_waitcnt vmcnt(3)
	v_fma_f32 v4, v100, v111, -v4
	v_add_f32_e32 v2, v2, v5
	v_mul_f32_e32 v119, v102, v106
	v_fmac_f32_e32 v118, v101, v111
	v_add_f32_e32 v1, v1, v117
	s_waitcnt vmcnt(2)
	v_fma_f32 v3, v102, v112, -v3
	v_add_f32_e32 v2, v2, v4
	v_fmac_f32_e32 v119, v103, v112
	v_add_f32_e32 v1, v1, v118
	v_add_f32_e32 v2, v2, v3
	v_add_f32_e32 v1, v1, v119
	s_waitcnt vmcnt(1)
	v_sub_f32_e32 v2, v113, v2
	s_waitcnt vmcnt(0)
	v_sub_f32_e32 v1, v114, v1
	buffer_store_dword v2, off, s[0:3], 0 offset:288
	buffer_store_dword v1, off, s[0:3], 0 offset:292
	v_cmpx_lt_u32_e32 35, v0
	s_cbranch_execz .LBB42_201
; %bb.200:
	s_clause 0x1
	buffer_load_dword v1, off, s[0:3], 0 offset:280
	buffer_load_dword v2, off, s[0:3], 0 offset:284
	v_mov_b32_e32 v3, 0
	buffer_store_dword v3, off, s[0:3], 0 offset:280
	buffer_store_dword v3, off, s[0:3], 0 offset:284
	s_waitcnt vmcnt(0)
	ds_write_b64 v95, v[1:2]
.LBB42_201:
	s_or_b32 exec_lo, exec_lo, s4
	s_waitcnt lgkmcnt(0)
	s_waitcnt_vscnt null, 0x0
	s_barrier
	buffer_gl0_inv
	s_clause 0xf
	buffer_load_dword v8, off, s[0:3], 0 offset:292
	buffer_load_dword v104, off, s[0:3], 0 offset:300
	;; [unrolled: 1-line block ×16, first 2 shown]
	v_mov_b32_e32 v1, 0
	ds_read_b128 v[2:5], v1 offset:640
	ds_read_b128 v[96:99], v1 offset:656
	;; [unrolled: 1-line block ×3, first 2 shown]
	ds_read_b64 v[6:7], v1 offset:688
	s_mov_b32 s4, exec_lo
	s_waitcnt vmcnt(15) lgkmcnt(3)
	v_mul_f32_e32 v119, v2, v8
	v_mul_f32_e32 v8, v3, v8
	s_waitcnt vmcnt(14)
	v_mul_f32_e32 v120, v4, v104
	v_mul_f32_e32 v104, v5, v104
	s_waitcnt vmcnt(13) lgkmcnt(2)
	v_mul_f32_e32 v121, v96, v105
	s_waitcnt vmcnt(12)
	v_mul_f32_e32 v122, v98, v106
	s_waitcnt vmcnt(11) lgkmcnt(1)
	v_mul_f32_e32 v123, v100, v107
	s_waitcnt vmcnt(8)
	v_fma_f32 v2, v2, v110, -v8
	v_fmac_f32_e32 v119, v3, v110
	v_mul_f32_e32 v3, v97, v105
	s_waitcnt vmcnt(7)
	v_fma_f32 v4, v4, v111, -v104
	v_fmac_f32_e32 v120, v5, v111
	v_add_f32_e32 v2, 0, v2
	v_add_f32_e32 v5, 0, v119
	v_mul_f32_e32 v8, v99, v106
	s_waitcnt vmcnt(6)
	v_fma_f32 v3, v96, v112, -v3
	v_fmac_f32_e32 v121, v97, v112
	v_add_f32_e32 v2, v2, v4
	v_add_f32_e32 v4, v5, v120
	;; [unrolled: 6-line block ×3, first 2 shown]
	v_mul_f32_e32 v4, v103, v108
	s_waitcnt vmcnt(4)
	v_fma_f32 v5, v100, v114, -v5
	v_mul_f32_e32 v124, v102, v108
	v_add_f32_e32 v2, v2, v8
	v_fmac_f32_e32 v123, v101, v114
	v_add_f32_e32 v3, v3, v122
	s_waitcnt lgkmcnt(0)
	v_mul_f32_e32 v8, v7, v109
	s_waitcnt vmcnt(3)
	v_fma_f32 v4, v102, v115, -v4
	v_add_f32_e32 v2, v2, v5
	v_mul_f32_e32 v125, v6, v109
	v_fmac_f32_e32 v124, v103, v115
	v_add_f32_e32 v3, v3, v123
	s_waitcnt vmcnt(2)
	v_fma_f32 v5, v6, v116, -v8
	v_add_f32_e32 v2, v2, v4
	v_fmac_f32_e32 v125, v7, v116
	v_add_f32_e32 v3, v3, v124
	v_add_f32_e32 v2, v2, v5
	;; [unrolled: 1-line block ×3, first 2 shown]
	s_waitcnt vmcnt(1)
	v_sub_f32_e32 v2, v117, v2
	s_waitcnt vmcnt(0)
	v_sub_f32_e32 v3, v118, v3
	buffer_store_dword v2, off, s[0:3], 0 offset:280
	buffer_store_dword v3, off, s[0:3], 0 offset:284
	v_cmpx_lt_u32_e32 34, v0
	s_cbranch_execz .LBB42_203
; %bb.202:
	s_clause 0x1
	buffer_load_dword v2, off, s[0:3], 0 offset:272
	buffer_load_dword v3, off, s[0:3], 0 offset:276
	buffer_store_dword v1, off, s[0:3], 0 offset:272
	buffer_store_dword v1, off, s[0:3], 0 offset:276
	s_waitcnt vmcnt(0)
	ds_write_b64 v95, v[2:3]
.LBB42_203:
	s_or_b32 exec_lo, exec_lo, s4
	s_waitcnt lgkmcnt(0)
	s_waitcnt_vscnt null, 0x0
	s_barrier
	buffer_gl0_inv
	s_clause 0x11
	buffer_load_dword v6, off, s[0:3], 0 offset:284
	buffer_load_dword v7, off, s[0:3], 0 offset:292
	;; [unrolled: 1-line block ×18, first 2 shown]
	ds_read2_b64 v[2:5], v1 offset0:79 offset1:80
	ds_read2_b64 v[96:99], v1 offset0:81 offset1:82
	;; [unrolled: 1-line block ×4, first 2 shown]
	s_mov_b32 s4, exec_lo
	s_waitcnt vmcnt(17) lgkmcnt(3)
	v_mul_f32_e32 v1, v2, v6
	v_mul_f32_e32 v6, v3, v6
	s_waitcnt vmcnt(16)
	v_mul_f32_e32 v123, v4, v7
	v_mul_f32_e32 v7, v5, v7
	s_waitcnt vmcnt(15) lgkmcnt(2)
	v_mul_f32_e32 v124, v96, v8
	s_waitcnt vmcnt(14)
	v_mul_f32_e32 v125, v98, v108
	s_waitcnt vmcnt(13) lgkmcnt(1)
	v_mul_f32_e32 v126, v100, v109
	s_waitcnt vmcnt(12)
	v_mul_f32_e32 v127, v102, v110
	s_waitcnt vmcnt(9)
	v_fma_f32 v2, v2, v113, -v6
	v_fmac_f32_e32 v1, v3, v113
	v_mul_f32_e32 v3, v97, v8
	s_waitcnt vmcnt(8)
	v_fma_f32 v4, v4, v114, -v7
	v_fmac_f32_e32 v123, v5, v114
	v_add_f32_e32 v2, 0, v2
	v_add_f32_e32 v1, 0, v1
	v_mul_f32_e32 v5, v99, v108
	s_waitcnt vmcnt(7)
	v_fma_f32 v3, v96, v115, -v3
	v_fmac_f32_e32 v124, v97, v115
	v_add_f32_e32 v2, v2, v4
	v_add_f32_e32 v1, v1, v123
	v_mul_f32_e32 v4, v101, v109
	s_waitcnt vmcnt(6)
	v_fma_f32 v5, v98, v116, -v5
	v_fmac_f32_e32 v125, v99, v116
	v_add_f32_e32 v2, v2, v3
	v_add_f32_e32 v1, v1, v124
	v_mul_f32_e32 v3, v103, v110
	s_waitcnt vmcnt(5)
	v_fma_f32 v4, v100, v117, -v4
	v_fmac_f32_e32 v126, v101, v117
	v_add_f32_e32 v2, v2, v5
	v_add_f32_e32 v1, v1, v125
	s_waitcnt lgkmcnt(0)
	v_mul_f32_e32 v5, v105, v111
	s_waitcnt vmcnt(4)
	v_fma_f32 v3, v102, v118, -v3
	v_mul_f32_e32 v128, v104, v111
	v_add_f32_e32 v2, v2, v4
	v_fmac_f32_e32 v127, v103, v118
	v_add_f32_e32 v1, v1, v126
	v_mul_f32_e32 v4, v107, v112
	s_waitcnt vmcnt(3)
	v_fma_f32 v5, v104, v119, -v5
	v_add_f32_e32 v2, v2, v3
	v_mul_f32_e32 v129, v106, v112
	v_fmac_f32_e32 v128, v105, v119
	v_add_f32_e32 v1, v1, v127
	s_waitcnt vmcnt(2)
	v_fma_f32 v3, v106, v120, -v4
	v_add_f32_e32 v2, v2, v5
	v_fmac_f32_e32 v129, v107, v120
	v_add_f32_e32 v1, v1, v128
	v_add_f32_e32 v2, v2, v3
	;; [unrolled: 1-line block ×3, first 2 shown]
	s_waitcnt vmcnt(1)
	v_sub_f32_e32 v2, v121, v2
	s_waitcnt vmcnt(0)
	v_sub_f32_e32 v1, v122, v1
	buffer_store_dword v2, off, s[0:3], 0 offset:272
	buffer_store_dword v1, off, s[0:3], 0 offset:276
	v_cmpx_lt_u32_e32 33, v0
	s_cbranch_execz .LBB42_205
; %bb.204:
	s_clause 0x1
	buffer_load_dword v1, off, s[0:3], 0 offset:264
	buffer_load_dword v2, off, s[0:3], 0 offset:268
	v_mov_b32_e32 v3, 0
	buffer_store_dword v3, off, s[0:3], 0 offset:264
	buffer_store_dword v3, off, s[0:3], 0 offset:268
	s_waitcnt vmcnt(0)
	ds_write_b64 v95, v[1:2]
.LBB42_205:
	s_or_b32 exec_lo, exec_lo, s4
	s_waitcnt lgkmcnt(0)
	s_waitcnt_vscnt null, 0x0
	s_barrier
	buffer_gl0_inv
	s_clause 0x13
	buffer_load_dword v8, off, s[0:3], 0 offset:276
	buffer_load_dword v108, off, s[0:3], 0 offset:284
	;; [unrolled: 1-line block ×20, first 2 shown]
	v_mov_b32_e32 v1, 0
	ds_read_b128 v[2:5], v1 offset:624
	ds_read_b128 v[96:99], v1 offset:640
	;; [unrolled: 1-line block ×4, first 2 shown]
	ds_read_b64 v[6:7], v1 offset:688
	s_mov_b32 s4, exec_lo
	s_waitcnt vmcnt(19) lgkmcnt(4)
	v_mul_f32_e32 v127, v2, v8
	v_mul_f32_e32 v8, v3, v8
	s_waitcnt vmcnt(18)
	v_mul_f32_e32 v128, v4, v108
	v_mul_f32_e32 v108, v5, v108
	s_waitcnt vmcnt(17) lgkmcnt(3)
	v_mul_f32_e32 v129, v96, v109
	s_waitcnt vmcnt(16)
	v_mul_f32_e32 v130, v98, v110
	s_waitcnt vmcnt(15) lgkmcnt(2)
	v_mul_f32_e32 v131, v100, v111
	s_waitcnt vmcnt(14)
	v_mul_f32_e32 v132, v102, v112
	s_waitcnt vmcnt(13) lgkmcnt(1)
	v_mul_f32_e32 v133, v104, v113
	s_waitcnt vmcnt(10)
	v_fma_f32 v2, v2, v116, -v8
	v_fmac_f32_e32 v127, v3, v116
	v_mul_f32_e32 v3, v97, v109
	s_waitcnt vmcnt(9)
	v_fma_f32 v4, v4, v117, -v108
	v_fmac_f32_e32 v128, v5, v117
	v_add_f32_e32 v2, 0, v2
	v_add_f32_e32 v5, 0, v127
	v_mul_f32_e32 v8, v99, v110
	s_waitcnt vmcnt(8)
	v_fma_f32 v3, v96, v118, -v3
	v_fmac_f32_e32 v129, v97, v118
	v_add_f32_e32 v2, v2, v4
	v_add_f32_e32 v4, v5, v128
	;; [unrolled: 6-line block ×5, first 2 shown]
	v_mul_f32_e32 v5, v107, v114
	s_waitcnt vmcnt(4)
	v_fma_f32 v8, v104, v122, -v8
	v_mul_f32_e32 v134, v106, v114
	v_add_f32_e32 v2, v2, v4
	v_fmac_f32_e32 v133, v105, v122
	v_add_f32_e32 v3, v3, v132
	s_waitcnt lgkmcnt(0)
	v_mul_f32_e32 v4, v7, v115
	s_waitcnt vmcnt(3)
	v_fma_f32 v5, v106, v123, -v5
	v_add_f32_e32 v2, v2, v8
	v_mul_f32_e32 v135, v6, v115
	v_fmac_f32_e32 v134, v107, v123
	v_add_f32_e32 v3, v3, v133
	s_waitcnt vmcnt(2)
	v_fma_f32 v4, v6, v124, -v4
	v_add_f32_e32 v2, v2, v5
	v_fmac_f32_e32 v135, v7, v124
	v_add_f32_e32 v3, v3, v134
	v_add_f32_e32 v2, v2, v4
	;; [unrolled: 1-line block ×3, first 2 shown]
	s_waitcnt vmcnt(1)
	v_sub_f32_e32 v2, v125, v2
	s_waitcnt vmcnt(0)
	v_sub_f32_e32 v3, v126, v3
	buffer_store_dword v2, off, s[0:3], 0 offset:264
	buffer_store_dword v3, off, s[0:3], 0 offset:268
	v_cmpx_lt_u32_e32 32, v0
	s_cbranch_execz .LBB42_207
; %bb.206:
	s_clause 0x1
	buffer_load_dword v2, off, s[0:3], 0 offset:256
	buffer_load_dword v3, off, s[0:3], 0 offset:260
	buffer_store_dword v1, off, s[0:3], 0 offset:256
	buffer_store_dword v1, off, s[0:3], 0 offset:260
	s_waitcnt vmcnt(0)
	ds_write_b64 v95, v[2:3]
.LBB42_207:
	s_or_b32 exec_lo, exec_lo, s4
	s_waitcnt lgkmcnt(0)
	s_waitcnt_vscnt null, 0x0
	s_barrier
	buffer_gl0_inv
	s_clause 0x15
	buffer_load_dword v6, off, s[0:3], 0 offset:268
	buffer_load_dword v7, off, s[0:3], 0 offset:276
	;; [unrolled: 1-line block ×22, first 2 shown]
	ds_read2_b64 v[2:5], v1 offset0:77 offset1:78
	ds_read2_b64 v[96:99], v1 offset0:79 offset1:80
	;; [unrolled: 1-line block ×5, first 2 shown]
	s_mov_b32 s4, exec_lo
	s_waitcnt vmcnt(21) lgkmcnt(4)
	v_mul_f32_e32 v1, v2, v6
	v_mul_f32_e32 v6, v3, v6
	s_waitcnt vmcnt(20)
	v_mul_f32_e32 v131, v4, v7
	v_mul_f32_e32 v7, v5, v7
	s_waitcnt vmcnt(19) lgkmcnt(3)
	v_mul_f32_e32 v132, v96, v8
	s_waitcnt vmcnt(18)
	v_mul_f32_e32 v133, v98, v112
	s_waitcnt vmcnt(17) lgkmcnt(2)
	v_mul_f32_e32 v134, v100, v113
	s_waitcnt vmcnt(16)
	;; [unrolled: 4-line block ×3, first 2 shown]
	v_mul_f32_e32 v137, v106, v116
	s_waitcnt vmcnt(11)
	v_fma_f32 v2, v2, v119, -v6
	v_fmac_f32_e32 v1, v3, v119
	v_mul_f32_e32 v3, v97, v8
	s_waitcnt vmcnt(10)
	v_fma_f32 v4, v4, v120, -v7
	v_fmac_f32_e32 v131, v5, v120
	v_add_f32_e32 v2, 0, v2
	v_add_f32_e32 v1, 0, v1
	v_mul_f32_e32 v5, v99, v112
	s_waitcnt vmcnt(9)
	v_fma_f32 v3, v96, v121, -v3
	v_fmac_f32_e32 v132, v97, v121
	v_add_f32_e32 v2, v2, v4
	v_add_f32_e32 v1, v1, v131
	;; [unrolled: 6-line block ×6, first 2 shown]
	s_waitcnt lgkmcnt(0)
	v_mul_f32_e32 v3, v109, v117
	s_waitcnt vmcnt(4)
	v_fma_f32 v4, v106, v126, -v4
	v_mul_f32_e32 v138, v108, v117
	v_add_f32_e32 v2, v2, v5
	v_fmac_f32_e32 v137, v107, v126
	v_add_f32_e32 v1, v1, v136
	v_mul_f32_e32 v5, v111, v118
	s_waitcnt vmcnt(3)
	v_fma_f32 v3, v108, v127, -v3
	v_add_f32_e32 v2, v2, v4
	v_mul_f32_e32 v139, v110, v118
	v_fmac_f32_e32 v138, v109, v127
	v_add_f32_e32 v1, v1, v137
	s_waitcnt vmcnt(2)
	v_fma_f32 v4, v110, v128, -v5
	v_add_f32_e32 v2, v2, v3
	v_fmac_f32_e32 v139, v111, v128
	v_add_f32_e32 v1, v1, v138
	v_add_f32_e32 v2, v2, v4
	;; [unrolled: 1-line block ×3, first 2 shown]
	s_waitcnt vmcnt(1)
	v_sub_f32_e32 v2, v129, v2
	s_waitcnt vmcnt(0)
	v_sub_f32_e32 v1, v130, v1
	buffer_store_dword v2, off, s[0:3], 0 offset:256
	buffer_store_dword v1, off, s[0:3], 0 offset:260
	v_cmpx_lt_u32_e32 31, v0
	s_cbranch_execz .LBB42_209
; %bb.208:
	s_clause 0x1
	buffer_load_dword v1, off, s[0:3], 0 offset:248
	buffer_load_dword v2, off, s[0:3], 0 offset:252
	v_mov_b32_e32 v3, 0
	buffer_store_dword v3, off, s[0:3], 0 offset:248
	buffer_store_dword v3, off, s[0:3], 0 offset:252
	s_waitcnt vmcnt(0)
	ds_write_b64 v95, v[1:2]
.LBB42_209:
	s_or_b32 exec_lo, exec_lo, s4
	s_waitcnt lgkmcnt(0)
	s_waitcnt_vscnt null, 0x0
	s_barrier
	buffer_gl0_inv
	s_clause 0x17
	buffer_load_dword v8, off, s[0:3], 0 offset:260
	buffer_load_dword v112, off, s[0:3], 0 offset:268
	;; [unrolled: 1-line block ×24, first 2 shown]
	v_mov_b32_e32 v1, 0
	ds_read_b128 v[2:5], v1 offset:608
	ds_read_b128 v[96:99], v1 offset:624
	;; [unrolled: 1-line block ×5, first 2 shown]
	ds_read_b64 v[6:7], v1 offset:688
	s_mov_b32 s4, exec_lo
	s_waitcnt vmcnt(23) lgkmcnt(5)
	v_mul_f32_e32 v135, v2, v8
	v_mul_f32_e32 v8, v3, v8
	s_waitcnt vmcnt(22)
	v_mul_f32_e32 v136, v4, v112
	v_mul_f32_e32 v112, v5, v112
	s_waitcnt vmcnt(21) lgkmcnt(4)
	v_mul_f32_e32 v137, v96, v113
	s_waitcnt vmcnt(20)
	v_mul_f32_e32 v138, v98, v114
	s_waitcnt vmcnt(19) lgkmcnt(3)
	v_mul_f32_e32 v139, v100, v115
	s_waitcnt vmcnt(18)
	;; [unrolled: 4-line block ×4, first 2 shown]
	v_fma_f32 v2, v2, v122, -v8
	v_fmac_f32_e32 v135, v3, v122
	v_mul_f32_e32 v3, v97, v113
	s_waitcnt vmcnt(11)
	v_fma_f32 v4, v4, v123, -v112
	v_fmac_f32_e32 v136, v5, v123
	v_add_f32_e32 v2, 0, v2
	v_add_f32_e32 v5, 0, v135
	v_mul_f32_e32 v8, v99, v114
	s_waitcnt vmcnt(10)
	v_fma_f32 v3, v96, v124, -v3
	v_fmac_f32_e32 v137, v97, v124
	v_add_f32_e32 v2, v2, v4
	v_add_f32_e32 v4, v5, v136
	;; [unrolled: 6-line block ×7, first 2 shown]
	v_mul_f32_e32 v8, v111, v120
	s_waitcnt vmcnt(4)
	v_fma_f32 v4, v108, v130, -v4
	v_mul_f32_e32 v144, v110, v120
	v_add_f32_e32 v2, v2, v5
	v_fmac_f32_e32 v143, v109, v130
	v_add_f32_e32 v3, v3, v142
	s_waitcnt lgkmcnt(0)
	v_mul_f32_e32 v5, v7, v121
	s_waitcnt vmcnt(3)
	v_fma_f32 v8, v110, v131, -v8
	v_add_f32_e32 v2, v2, v4
	v_mul_f32_e32 v145, v6, v121
	v_fmac_f32_e32 v144, v111, v131
	v_add_f32_e32 v3, v3, v143
	s_waitcnt vmcnt(2)
	v_fma_f32 v4, v6, v132, -v5
	v_add_f32_e32 v2, v2, v8
	v_fmac_f32_e32 v145, v7, v132
	v_add_f32_e32 v3, v3, v144
	v_add_f32_e32 v2, v2, v4
	;; [unrolled: 1-line block ×3, first 2 shown]
	s_waitcnt vmcnt(1)
	v_sub_f32_e32 v2, v133, v2
	s_waitcnt vmcnt(0)
	v_sub_f32_e32 v3, v134, v3
	buffer_store_dword v2, off, s[0:3], 0 offset:248
	buffer_store_dword v3, off, s[0:3], 0 offset:252
	v_cmpx_lt_u32_e32 30, v0
	s_cbranch_execz .LBB42_211
; %bb.210:
	s_clause 0x1
	buffer_load_dword v2, off, s[0:3], 0 offset:240
	buffer_load_dword v3, off, s[0:3], 0 offset:244
	buffer_store_dword v1, off, s[0:3], 0 offset:240
	buffer_store_dword v1, off, s[0:3], 0 offset:244
	s_waitcnt vmcnt(0)
	ds_write_b64 v95, v[2:3]
.LBB42_211:
	s_or_b32 exec_lo, exec_lo, s4
	s_waitcnt lgkmcnt(0)
	s_waitcnt_vscnt null, 0x0
	s_barrier
	buffer_gl0_inv
	s_clause 0x19
	buffer_load_dword v6, off, s[0:3], 0 offset:252
	buffer_load_dword v7, off, s[0:3], 0 offset:260
	;; [unrolled: 1-line block ×26, first 2 shown]
	ds_read2_b64 v[2:5], v1 offset0:75 offset1:76
	ds_read2_b64 v[96:99], v1 offset0:77 offset1:78
	;; [unrolled: 1-line block ×6, first 2 shown]
	s_mov_b32 s4, exec_lo
	s_waitcnt vmcnt(25) lgkmcnt(5)
	v_mul_f32_e32 v1, v2, v6
	v_mul_f32_e32 v6, v3, v6
	s_waitcnt vmcnt(24)
	v_mul_f32_e32 v139, v4, v7
	v_mul_f32_e32 v7, v5, v7
	s_waitcnt vmcnt(23) lgkmcnt(4)
	v_mul_f32_e32 v140, v96, v8
	s_waitcnt vmcnt(22)
	v_mul_f32_e32 v141, v98, v116
	s_waitcnt vmcnt(21) lgkmcnt(3)
	v_mul_f32_e32 v142, v100, v117
	s_waitcnt vmcnt(20)
	;; [unrolled: 4-line block ×4, first 2 shown]
	v_mul_f32_e32 v147, v110, v122
	s_waitcnt vmcnt(13)
	v_fma_f32 v2, v2, v125, -v6
	v_fmac_f32_e32 v1, v3, v125
	v_mul_f32_e32 v3, v97, v8
	s_waitcnt vmcnt(12)
	v_fma_f32 v4, v4, v126, -v7
	v_fmac_f32_e32 v139, v5, v126
	v_add_f32_e32 v2, 0, v2
	v_add_f32_e32 v1, 0, v1
	v_mul_f32_e32 v5, v99, v116
	s_waitcnt vmcnt(11)
	v_fma_f32 v3, v96, v127, -v3
	v_fmac_f32_e32 v140, v97, v127
	v_add_f32_e32 v2, v2, v4
	v_add_f32_e32 v1, v1, v139
	;; [unrolled: 6-line block ×8, first 2 shown]
	s_waitcnt lgkmcnt(0)
	v_mul_f32_e32 v4, v113, v123
	s_waitcnt vmcnt(4)
	v_fma_f32 v5, v110, v134, -v5
	v_mul_f32_e32 v148, v112, v123
	v_add_f32_e32 v2, v2, v3
	v_fmac_f32_e32 v147, v111, v134
	v_add_f32_e32 v1, v1, v146
	v_mul_f32_e32 v3, v115, v124
	s_waitcnt vmcnt(3)
	v_fma_f32 v4, v112, v135, -v4
	v_add_f32_e32 v2, v2, v5
	v_mul_f32_e32 v149, v114, v124
	v_fmac_f32_e32 v148, v113, v135
	v_add_f32_e32 v1, v1, v147
	s_waitcnt vmcnt(2)
	v_fma_f32 v3, v114, v136, -v3
	v_add_f32_e32 v2, v2, v4
	v_fmac_f32_e32 v149, v115, v136
	v_add_f32_e32 v1, v1, v148
	v_add_f32_e32 v2, v2, v3
	;; [unrolled: 1-line block ×3, first 2 shown]
	s_waitcnt vmcnt(1)
	v_sub_f32_e32 v2, v137, v2
	s_waitcnt vmcnt(0)
	v_sub_f32_e32 v1, v138, v1
	buffer_store_dword v2, off, s[0:3], 0 offset:240
	buffer_store_dword v1, off, s[0:3], 0 offset:244
	v_cmpx_lt_u32_e32 29, v0
	s_cbranch_execz .LBB42_213
; %bb.212:
	s_clause 0x1
	buffer_load_dword v1, off, s[0:3], 0 offset:232
	buffer_load_dword v2, off, s[0:3], 0 offset:236
	v_mov_b32_e32 v3, 0
	buffer_store_dword v3, off, s[0:3], 0 offset:232
	buffer_store_dword v3, off, s[0:3], 0 offset:236
	s_waitcnt vmcnt(0)
	ds_write_b64 v95, v[1:2]
.LBB42_213:
	s_or_b32 exec_lo, exec_lo, s4
	s_waitcnt lgkmcnt(0)
	s_waitcnt_vscnt null, 0x0
	s_barrier
	buffer_gl0_inv
	s_clause 0x1b
	buffer_load_dword v8, off, s[0:3], 0 offset:244
	buffer_load_dword v116, off, s[0:3], 0 offset:252
	;; [unrolled: 1-line block ×28, first 2 shown]
	v_mov_b32_e32 v1, 0
	ds_read_b128 v[2:5], v1 offset:592
	ds_read_b128 v[96:99], v1 offset:608
	;; [unrolled: 1-line block ×6, first 2 shown]
	ds_read_b64 v[6:7], v1 offset:688
	s_mov_b32 s4, exec_lo
	s_waitcnt vmcnt(27) lgkmcnt(6)
	v_mul_f32_e32 v143, v2, v8
	v_mul_f32_e32 v8, v3, v8
	s_waitcnt vmcnt(26)
	v_mul_f32_e32 v144, v4, v116
	v_mul_f32_e32 v116, v5, v116
	s_waitcnt vmcnt(25) lgkmcnt(5)
	v_mul_f32_e32 v145, v96, v117
	s_waitcnt vmcnt(24)
	v_mul_f32_e32 v146, v98, v118
	s_waitcnt vmcnt(23) lgkmcnt(4)
	v_mul_f32_e32 v147, v100, v119
	s_waitcnt vmcnt(22)
	;; [unrolled: 4-line block ×5, first 2 shown]
	v_fma_f32 v2, v2, v128, -v8
	v_fmac_f32_e32 v143, v3, v128
	v_mul_f32_e32 v3, v97, v117
	s_waitcnt vmcnt(13)
	v_fma_f32 v4, v4, v129, -v116
	v_fmac_f32_e32 v144, v5, v129
	v_add_f32_e32 v2, 0, v2
	v_add_f32_e32 v5, 0, v143
	v_mul_f32_e32 v8, v99, v118
	s_waitcnt vmcnt(12)
	v_fma_f32 v3, v96, v130, -v3
	v_fmac_f32_e32 v145, v97, v130
	v_add_f32_e32 v2, v2, v4
	v_add_f32_e32 v4, v5, v144
	;; [unrolled: 6-line block ×9, first 2 shown]
	v_mul_f32_e32 v4, v115, v126
	s_waitcnt vmcnt(4)
	v_fma_f32 v5, v112, v138, -v5
	v_mul_f32_e32 v154, v114, v126
	v_add_f32_e32 v2, v2, v8
	v_fmac_f32_e32 v153, v113, v138
	v_add_f32_e32 v3, v3, v152
	s_waitcnt lgkmcnt(0)
	v_mul_f32_e32 v8, v7, v127
	s_waitcnt vmcnt(3)
	v_fma_f32 v4, v114, v139, -v4
	v_add_f32_e32 v2, v2, v5
	v_mul_f32_e32 v155, v6, v127
	v_fmac_f32_e32 v154, v115, v139
	v_add_f32_e32 v3, v3, v153
	s_waitcnt vmcnt(2)
	v_fma_f32 v5, v6, v140, -v8
	v_add_f32_e32 v2, v2, v4
	v_fmac_f32_e32 v155, v7, v140
	v_add_f32_e32 v3, v3, v154
	v_add_f32_e32 v2, v2, v5
	v_add_f32_e32 v3, v3, v155
	s_waitcnt vmcnt(1)
	v_sub_f32_e32 v2, v141, v2
	s_waitcnt vmcnt(0)
	v_sub_f32_e32 v3, v142, v3
	buffer_store_dword v2, off, s[0:3], 0 offset:232
	buffer_store_dword v3, off, s[0:3], 0 offset:236
	v_cmpx_lt_u32_e32 28, v0
	s_cbranch_execz .LBB42_215
; %bb.214:
	s_clause 0x1
	buffer_load_dword v2, off, s[0:3], 0 offset:224
	buffer_load_dword v3, off, s[0:3], 0 offset:228
	buffer_store_dword v1, off, s[0:3], 0 offset:224
	buffer_store_dword v1, off, s[0:3], 0 offset:228
	s_waitcnt vmcnt(0)
	ds_write_b64 v95, v[2:3]
.LBB42_215:
	s_or_b32 exec_lo, exec_lo, s4
	s_waitcnt lgkmcnt(0)
	s_waitcnt_vscnt null, 0x0
	s_barrier
	buffer_gl0_inv
	s_clause 0x1d
	buffer_load_dword v6, off, s[0:3], 0 offset:236
	buffer_load_dword v7, off, s[0:3], 0 offset:244
	;; [unrolled: 1-line block ×30, first 2 shown]
	ds_read2_b64 v[2:5], v1 offset0:73 offset1:74
	ds_read2_b64 v[96:99], v1 offset0:75 offset1:76
	;; [unrolled: 1-line block ×7, first 2 shown]
	s_mov_b32 s4, exec_lo
	s_waitcnt vmcnt(29) lgkmcnt(6)
	v_mul_f32_e32 v1, v2, v6
	v_mul_f32_e32 v6, v3, v6
	s_waitcnt vmcnt(28)
	v_mul_f32_e32 v147, v4, v7
	v_mul_f32_e32 v7, v5, v7
	s_waitcnt vmcnt(27) lgkmcnt(5)
	v_mul_f32_e32 v148, v96, v8
	s_waitcnt vmcnt(26)
	v_mul_f32_e32 v149, v98, v120
	s_waitcnt vmcnt(25) lgkmcnt(4)
	v_mul_f32_e32 v150, v100, v121
	s_waitcnt vmcnt(24)
	;; [unrolled: 4-line block ×5, first 2 shown]
	v_mul_f32_e32 v157, v114, v128
	s_waitcnt vmcnt(15)
	v_fma_f32 v2, v2, v131, -v6
	v_fmac_f32_e32 v1, v3, v131
	v_mul_f32_e32 v3, v97, v8
	s_waitcnt vmcnt(14)
	v_fma_f32 v4, v4, v132, -v7
	v_fmac_f32_e32 v147, v5, v132
	v_add_f32_e32 v2, 0, v2
	v_add_f32_e32 v1, 0, v1
	v_mul_f32_e32 v5, v99, v120
	s_waitcnt vmcnt(13)
	v_fma_f32 v3, v96, v133, -v3
	v_fmac_f32_e32 v148, v97, v133
	v_add_f32_e32 v2, v2, v4
	v_add_f32_e32 v1, v1, v147
	;; [unrolled: 6-line block ×10, first 2 shown]
	s_waitcnt lgkmcnt(0)
	v_mul_f32_e32 v5, v117, v129
	s_waitcnt vmcnt(4)
	v_fma_f32 v3, v114, v142, -v3
	v_mul_f32_e32 v158, v116, v129
	v_add_f32_e32 v2, v2, v4
	v_fmac_f32_e32 v157, v115, v142
	v_add_f32_e32 v1, v1, v156
	v_mul_f32_e32 v4, v119, v130
	s_waitcnt vmcnt(3)
	v_fma_f32 v5, v116, v143, -v5
	v_add_f32_e32 v2, v2, v3
	v_mul_f32_e32 v159, v118, v130
	v_fmac_f32_e32 v158, v117, v143
	v_add_f32_e32 v1, v1, v157
	s_waitcnt vmcnt(2)
	v_fma_f32 v3, v118, v144, -v4
	v_add_f32_e32 v2, v2, v5
	v_fmac_f32_e32 v159, v119, v144
	v_add_f32_e32 v1, v1, v158
	v_add_f32_e32 v2, v2, v3
	;; [unrolled: 1-line block ×3, first 2 shown]
	s_waitcnt vmcnt(1)
	v_sub_f32_e32 v2, v145, v2
	s_waitcnt vmcnt(0)
	v_sub_f32_e32 v1, v146, v1
	buffer_store_dword v2, off, s[0:3], 0 offset:224
	buffer_store_dword v1, off, s[0:3], 0 offset:228
	v_cmpx_lt_u32_e32 27, v0
	s_cbranch_execz .LBB42_217
; %bb.216:
	s_clause 0x1
	buffer_load_dword v1, off, s[0:3], 0 offset:216
	buffer_load_dword v2, off, s[0:3], 0 offset:220
	v_mov_b32_e32 v3, 0
	buffer_store_dword v3, off, s[0:3], 0 offset:216
	buffer_store_dword v3, off, s[0:3], 0 offset:220
	s_waitcnt vmcnt(0)
	ds_write_b64 v95, v[1:2]
.LBB42_217:
	s_or_b32 exec_lo, exec_lo, s4
	s_waitcnt lgkmcnt(0)
	s_waitcnt_vscnt null, 0x0
	s_barrier
	buffer_gl0_inv
	s_clause 0x1f
	buffer_load_dword v8, off, s[0:3], 0 offset:228
	buffer_load_dword v120, off, s[0:3], 0 offset:236
	;; [unrolled: 1-line block ×32, first 2 shown]
	v_mov_b32_e32 v1, 0
	ds_read_b128 v[2:5], v1 offset:576
	ds_read_b128 v[96:99], v1 offset:592
	;; [unrolled: 1-line block ×7, first 2 shown]
	ds_read_b64 v[6:7], v1 offset:688
	s_mov_b32 s4, exec_lo
	s_waitcnt vmcnt(31) lgkmcnt(7)
	v_mul_f32_e32 v151, v2, v8
	v_mul_f32_e32 v8, v3, v8
	s_waitcnt vmcnt(30)
	v_mul_f32_e32 v152, v4, v120
	v_mul_f32_e32 v120, v5, v120
	s_waitcnt vmcnt(29) lgkmcnt(6)
	v_mul_f32_e32 v153, v96, v121
	s_waitcnt vmcnt(28)
	v_mul_f32_e32 v154, v98, v122
	s_waitcnt vmcnt(27) lgkmcnt(5)
	v_mul_f32_e32 v155, v100, v123
	s_waitcnt vmcnt(26)
	;; [unrolled: 4-line block ×6, first 2 shown]
	v_fma_f32 v2, v2, v134, -v8
	v_fmac_f32_e32 v151, v3, v134
	v_mul_f32_e32 v3, v97, v121
	s_waitcnt vmcnt(15)
	v_fma_f32 v4, v4, v135, -v120
	v_fmac_f32_e32 v152, v5, v135
	v_add_f32_e32 v2, 0, v2
	v_add_f32_e32 v5, 0, v151
	v_mul_f32_e32 v8, v99, v122
	s_waitcnt vmcnt(14)
	v_fma_f32 v3, v96, v136, -v3
	v_fmac_f32_e32 v153, v97, v136
	v_add_f32_e32 v2, v2, v4
	v_add_f32_e32 v4, v5, v152
	;; [unrolled: 6-line block ×11, first 2 shown]
	v_mul_f32_e32 v5, v119, v132
	s_waitcnt vmcnt(4)
	v_fma_f32 v8, v116, v146, -v8
	v_mul_f32_e32 v164, v118, v132
	v_add_f32_e32 v2, v2, v4
	v_fmac_f32_e32 v163, v117, v146
	v_add_f32_e32 v3, v3, v162
	s_waitcnt lgkmcnt(0)
	v_mul_f32_e32 v4, v7, v133
	s_waitcnt vmcnt(3)
	v_fma_f32 v5, v118, v147, -v5
	v_add_f32_e32 v2, v2, v8
	v_mul_f32_e32 v165, v6, v133
	v_fmac_f32_e32 v164, v119, v147
	v_add_f32_e32 v3, v3, v163
	s_waitcnt vmcnt(2)
	v_fma_f32 v4, v6, v148, -v4
	v_add_f32_e32 v2, v2, v5
	v_fmac_f32_e32 v165, v7, v148
	v_add_f32_e32 v3, v3, v164
	v_add_f32_e32 v2, v2, v4
	;; [unrolled: 1-line block ×3, first 2 shown]
	s_waitcnt vmcnt(1)
	v_sub_f32_e32 v2, v149, v2
	s_waitcnt vmcnt(0)
	v_sub_f32_e32 v3, v150, v3
	buffer_store_dword v2, off, s[0:3], 0 offset:216
	buffer_store_dword v3, off, s[0:3], 0 offset:220
	v_cmpx_lt_u32_e32 26, v0
	s_cbranch_execz .LBB42_219
; %bb.218:
	s_clause 0x1
	buffer_load_dword v2, off, s[0:3], 0 offset:208
	buffer_load_dword v3, off, s[0:3], 0 offset:212
	buffer_store_dword v1, off, s[0:3], 0 offset:208
	buffer_store_dword v1, off, s[0:3], 0 offset:212
	s_waitcnt vmcnt(0)
	ds_write_b64 v95, v[2:3]
.LBB42_219:
	s_or_b32 exec_lo, exec_lo, s4
	s_waitcnt lgkmcnt(0)
	s_waitcnt_vscnt null, 0x0
	s_barrier
	buffer_gl0_inv
	s_clause 0x21
	buffer_load_dword v6, off, s[0:3], 0 offset:220
	buffer_load_dword v7, off, s[0:3], 0 offset:228
	;; [unrolled: 1-line block ×34, first 2 shown]
	ds_read2_b64 v[2:5], v1 offset0:71 offset1:72
	ds_read2_b64 v[96:99], v1 offset0:73 offset1:74
	;; [unrolled: 1-line block ×8, first 2 shown]
	s_mov_b32 s4, exec_lo
	s_waitcnt vmcnt(33) lgkmcnt(7)
	v_mul_f32_e32 v1, v2, v6
	v_mul_f32_e32 v6, v3, v6
	s_waitcnt vmcnt(32)
	v_mul_f32_e32 v155, v4, v7
	v_mul_f32_e32 v7, v5, v7
	s_waitcnt vmcnt(31) lgkmcnt(6)
	v_mul_f32_e32 v156, v96, v8
	s_waitcnt vmcnt(30)
	v_mul_f32_e32 v157, v98, v124
	s_waitcnt vmcnt(29) lgkmcnt(5)
	v_mul_f32_e32 v158, v100, v125
	s_waitcnt vmcnt(28)
	;; [unrolled: 4-line block ×6, first 2 shown]
	v_mul_f32_e32 v167, v118, v134
	s_waitcnt vmcnt(17)
	v_fma_f32 v2, v2, v137, -v6
	v_fmac_f32_e32 v1, v3, v137
	v_mul_f32_e32 v3, v97, v8
	s_waitcnt vmcnt(16)
	v_fma_f32 v4, v4, v138, -v7
	v_fmac_f32_e32 v155, v5, v138
	v_add_f32_e32 v2, 0, v2
	v_add_f32_e32 v1, 0, v1
	v_mul_f32_e32 v5, v99, v124
	s_waitcnt vmcnt(15)
	v_fma_f32 v3, v96, v139, -v3
	v_fmac_f32_e32 v156, v97, v139
	v_add_f32_e32 v2, v2, v4
	v_add_f32_e32 v1, v1, v155
	;; [unrolled: 6-line block ×12, first 2 shown]
	s_waitcnt lgkmcnt(0)
	v_mul_f32_e32 v3, v121, v135
	s_waitcnt vmcnt(4)
	v_fma_f32 v4, v118, v150, -v4
	v_mul_f32_e32 v168, v120, v135
	v_add_f32_e32 v2, v2, v5
	v_fmac_f32_e32 v167, v119, v150
	v_add_f32_e32 v1, v1, v166
	v_mul_f32_e32 v5, v123, v136
	s_waitcnt vmcnt(3)
	v_fma_f32 v3, v120, v151, -v3
	v_add_f32_e32 v2, v2, v4
	v_mul_f32_e32 v169, v122, v136
	v_fmac_f32_e32 v168, v121, v151
	v_add_f32_e32 v1, v1, v167
	s_waitcnt vmcnt(2)
	v_fma_f32 v4, v122, v152, -v5
	v_add_f32_e32 v2, v2, v3
	v_fmac_f32_e32 v169, v123, v152
	v_add_f32_e32 v1, v1, v168
	v_add_f32_e32 v2, v2, v4
	;; [unrolled: 1-line block ×3, first 2 shown]
	s_waitcnt vmcnt(1)
	v_sub_f32_e32 v2, v153, v2
	s_waitcnt vmcnt(0)
	v_sub_f32_e32 v1, v154, v1
	buffer_store_dword v2, off, s[0:3], 0 offset:208
	buffer_store_dword v1, off, s[0:3], 0 offset:212
	v_cmpx_lt_u32_e32 25, v0
	s_cbranch_execz .LBB42_221
; %bb.220:
	s_clause 0x1
	buffer_load_dword v1, off, s[0:3], 0 offset:200
	buffer_load_dword v2, off, s[0:3], 0 offset:204
	v_mov_b32_e32 v3, 0
	buffer_store_dword v3, off, s[0:3], 0 offset:200
	buffer_store_dword v3, off, s[0:3], 0 offset:204
	s_waitcnt vmcnt(0)
	ds_write_b64 v95, v[1:2]
.LBB42_221:
	s_or_b32 exec_lo, exec_lo, s4
	s_waitcnt lgkmcnt(0)
	s_waitcnt_vscnt null, 0x0
	s_barrier
	buffer_gl0_inv
	s_clause 0x23
	buffer_load_dword v8, off, s[0:3], 0 offset:212
	buffer_load_dword v124, off, s[0:3], 0 offset:220
	;; [unrolled: 1-line block ×36, first 2 shown]
	v_mov_b32_e32 v1, 0
	ds_read_b128 v[2:5], v1 offset:560
	ds_read_b128 v[96:99], v1 offset:576
	;; [unrolled: 1-line block ×8, first 2 shown]
	ds_read_b64 v[6:7], v1 offset:688
	s_mov_b32 s4, exec_lo
	s_waitcnt vmcnt(35) lgkmcnt(8)
	v_mul_f32_e32 v159, v2, v8
	v_mul_f32_e32 v8, v3, v8
	s_waitcnt vmcnt(34)
	v_mul_f32_e32 v160, v4, v124
	v_mul_f32_e32 v124, v5, v124
	s_waitcnt vmcnt(33) lgkmcnt(7)
	v_mul_f32_e32 v161, v96, v125
	s_waitcnt vmcnt(32)
	v_mul_f32_e32 v162, v98, v126
	s_waitcnt vmcnt(31) lgkmcnt(6)
	v_mul_f32_e32 v163, v100, v127
	s_waitcnt vmcnt(30)
	v_mul_f32_e32 v164, v102, v128
	s_waitcnt vmcnt(29) lgkmcnt(5)
	v_mul_f32_e32 v165, v104, v129
	s_waitcnt vmcnt(28)
	v_mul_f32_e32 v166, v106, v130
	s_waitcnt vmcnt(27) lgkmcnt(4)
	v_mul_f32_e32 v167, v108, v131
	s_waitcnt vmcnt(26)
	v_mul_f32_e32 v168, v110, v132
	s_waitcnt vmcnt(25) lgkmcnt(3)
	v_mul_f32_e32 v169, v112, v133
	s_waitcnt vmcnt(24)
	v_mul_f32_e32 v170, v114, v134
	s_waitcnt vmcnt(23) lgkmcnt(2)
	v_mul_f32_e32 v171, v116, v135
	s_waitcnt vmcnt(22)
	v_mul_f32_e32 v172, v118, v136
	s_waitcnt vmcnt(21) lgkmcnt(1)
	v_mul_f32_e32 v173, v120, v137
	s_waitcnt vmcnt(18)
	v_fma_f32 v2, v2, v140, -v8
	v_fmac_f32_e32 v159, v3, v140
	v_mul_f32_e32 v3, v97, v125
	s_waitcnt vmcnt(17)
	v_fma_f32 v4, v4, v141, -v124
	v_fmac_f32_e32 v160, v5, v141
	v_add_f32_e32 v2, 0, v2
	v_add_f32_e32 v5, 0, v159
	v_mul_f32_e32 v8, v99, v126
	s_waitcnt vmcnt(16)
	v_fma_f32 v3, v96, v142, -v3
	v_fmac_f32_e32 v161, v97, v142
	v_add_f32_e32 v2, v2, v4
	v_add_f32_e32 v4, v5, v160
	;; [unrolled: 6-line block ×13, first 2 shown]
	v_mul_f32_e32 v8, v123, v138
	s_waitcnt vmcnt(4)
	v_fma_f32 v4, v120, v154, -v4
	v_mul_f32_e32 v174, v122, v138
	v_add_f32_e32 v2, v2, v5
	v_fmac_f32_e32 v173, v121, v154
	v_add_f32_e32 v3, v3, v172
	s_waitcnt lgkmcnt(0)
	v_mul_f32_e32 v5, v7, v139
	s_waitcnt vmcnt(3)
	v_fma_f32 v8, v122, v155, -v8
	v_add_f32_e32 v2, v2, v4
	v_mul_f32_e32 v175, v6, v139
	v_fmac_f32_e32 v174, v123, v155
	v_add_f32_e32 v3, v3, v173
	s_waitcnt vmcnt(2)
	v_fma_f32 v4, v6, v156, -v5
	v_add_f32_e32 v2, v2, v8
	v_fmac_f32_e32 v175, v7, v156
	v_add_f32_e32 v3, v3, v174
	v_add_f32_e32 v2, v2, v4
	;; [unrolled: 1-line block ×3, first 2 shown]
	s_waitcnt vmcnt(1)
	v_sub_f32_e32 v2, v157, v2
	s_waitcnt vmcnt(0)
	v_sub_f32_e32 v3, v158, v3
	buffer_store_dword v2, off, s[0:3], 0 offset:200
	buffer_store_dword v3, off, s[0:3], 0 offset:204
	v_cmpx_lt_u32_e32 24, v0
	s_cbranch_execz .LBB42_223
; %bb.222:
	s_clause 0x1
	buffer_load_dword v2, off, s[0:3], 0 offset:192
	buffer_load_dword v3, off, s[0:3], 0 offset:196
	buffer_store_dword v1, off, s[0:3], 0 offset:192
	buffer_store_dword v1, off, s[0:3], 0 offset:196
	s_waitcnt vmcnt(0)
	ds_write_b64 v95, v[2:3]
.LBB42_223:
	s_or_b32 exec_lo, exec_lo, s4
	s_waitcnt lgkmcnt(0)
	s_waitcnt_vscnt null, 0x0
	s_barrier
	buffer_gl0_inv
	s_clause 0x25
	buffer_load_dword v6, off, s[0:3], 0 offset:204
	buffer_load_dword v7, off, s[0:3], 0 offset:212
	;; [unrolled: 1-line block ×38, first 2 shown]
	ds_read2_b64 v[2:5], v1 offset0:69 offset1:70
	ds_read2_b64 v[96:99], v1 offset0:71 offset1:72
	ds_read2_b64 v[100:103], v1 offset0:73 offset1:74
	ds_read2_b64 v[104:107], v1 offset0:75 offset1:76
	ds_read2_b64 v[108:111], v1 offset0:77 offset1:78
	ds_read2_b64 v[112:115], v1 offset0:79 offset1:80
	ds_read2_b64 v[116:119], v1 offset0:81 offset1:82
	ds_read2_b64 v[120:123], v1 offset0:83 offset1:84
	ds_read2_b64 v[124:127], v1 offset0:85 offset1:86
	s_mov_b32 s4, exec_lo
	s_waitcnt vmcnt(37) lgkmcnt(8)
	v_mul_f32_e32 v1, v2, v6
	v_mul_f32_e32 v6, v3, v6
	s_waitcnt vmcnt(36)
	v_mul_f32_e32 v163, v4, v7
	v_mul_f32_e32 v7, v5, v7
	s_waitcnt vmcnt(35) lgkmcnt(7)
	v_mul_f32_e32 v164, v96, v8
	s_waitcnt vmcnt(34)
	v_mul_f32_e32 v165, v98, v128
	s_waitcnt vmcnt(33) lgkmcnt(6)
	v_mul_f32_e32 v166, v100, v129
	s_waitcnt vmcnt(32)
	;; [unrolled: 4-line block ×7, first 2 shown]
	v_mul_f32_e32 v177, v122, v140
	s_waitcnt vmcnt(19)
	v_fma_f32 v2, v2, v143, -v6
	v_fmac_f32_e32 v1, v3, v143
	v_mul_f32_e32 v3, v97, v8
	s_waitcnt vmcnt(18)
	v_fma_f32 v4, v4, v144, -v7
	v_fmac_f32_e32 v163, v5, v144
	v_add_f32_e32 v2, 0, v2
	v_add_f32_e32 v1, 0, v1
	v_mul_f32_e32 v5, v99, v128
	s_waitcnt vmcnt(17)
	v_fma_f32 v3, v96, v145, -v3
	v_fmac_f32_e32 v164, v97, v145
	v_add_f32_e32 v2, v2, v4
	v_add_f32_e32 v1, v1, v163
	;; [unrolled: 6-line block ×14, first 2 shown]
	s_waitcnt lgkmcnt(0)
	v_mul_f32_e32 v4, v125, v141
	s_waitcnt vmcnt(4)
	v_fma_f32 v5, v122, v158, -v5
	v_mul_f32_e32 v178, v124, v141
	v_add_f32_e32 v2, v2, v3
	v_fmac_f32_e32 v177, v123, v158
	v_add_f32_e32 v1, v1, v176
	v_mul_f32_e32 v3, v127, v142
	s_waitcnt vmcnt(3)
	v_fma_f32 v4, v124, v159, -v4
	v_add_f32_e32 v2, v2, v5
	v_mul_f32_e32 v179, v126, v142
	v_fmac_f32_e32 v178, v125, v159
	v_add_f32_e32 v1, v1, v177
	s_waitcnt vmcnt(2)
	v_fma_f32 v3, v126, v160, -v3
	v_add_f32_e32 v2, v2, v4
	v_fmac_f32_e32 v179, v127, v160
	v_add_f32_e32 v1, v1, v178
	v_add_f32_e32 v2, v2, v3
	;; [unrolled: 1-line block ×3, first 2 shown]
	s_waitcnt vmcnt(1)
	v_sub_f32_e32 v2, v161, v2
	s_waitcnt vmcnt(0)
	v_sub_f32_e32 v1, v162, v1
	buffer_store_dword v2, off, s[0:3], 0 offset:192
	buffer_store_dword v1, off, s[0:3], 0 offset:196
	v_cmpx_lt_u32_e32 23, v0
	s_cbranch_execz .LBB42_225
; %bb.224:
	s_clause 0x1
	buffer_load_dword v1, off, s[0:3], 0 offset:184
	buffer_load_dword v2, off, s[0:3], 0 offset:188
	v_mov_b32_e32 v3, 0
	buffer_store_dword v3, off, s[0:3], 0 offset:184
	buffer_store_dword v3, off, s[0:3], 0 offset:188
	s_waitcnt vmcnt(0)
	ds_write_b64 v95, v[1:2]
.LBB42_225:
	s_or_b32 exec_lo, exec_lo, s4
	s_waitcnt lgkmcnt(0)
	s_waitcnt_vscnt null, 0x0
	s_barrier
	buffer_gl0_inv
	s_clause 0x27
	buffer_load_dword v8, off, s[0:3], 0 offset:196
	buffer_load_dword v128, off, s[0:3], 0 offset:204
	;; [unrolled: 1-line block ×40, first 2 shown]
	v_mov_b32_e32 v1, 0
	ds_read_b128 v[2:5], v1 offset:544
	ds_read_b128 v[96:99], v1 offset:560
	ds_read_b128 v[100:103], v1 offset:576
	ds_read_b128 v[104:107], v1 offset:592
	ds_read_b128 v[108:111], v1 offset:608
	ds_read_b128 v[112:115], v1 offset:624
	ds_read_b128 v[116:119], v1 offset:640
	ds_read_b128 v[120:123], v1 offset:656
	ds_read_b128 v[124:127], v1 offset:672
	ds_read_b64 v[6:7], v1 offset:688
	s_mov_b32 s4, exec_lo
	s_waitcnt vmcnt(39) lgkmcnt(9)
	v_mul_f32_e32 v167, v2, v8
	v_mul_f32_e32 v8, v3, v8
	s_waitcnt vmcnt(38)
	v_mul_f32_e32 v168, v4, v128
	v_mul_f32_e32 v128, v5, v128
	s_waitcnt vmcnt(37) lgkmcnt(8)
	v_mul_f32_e32 v169, v96, v129
	s_waitcnt vmcnt(36)
	v_mul_f32_e32 v170, v98, v130
	s_waitcnt vmcnt(35) lgkmcnt(7)
	v_mul_f32_e32 v171, v100, v131
	s_waitcnt vmcnt(34)
	;; [unrolled: 4-line block ×8, first 2 shown]
	v_fma_f32 v2, v2, v146, -v8
	v_fmac_f32_e32 v167, v3, v146
	v_mul_f32_e32 v3, v97, v129
	s_waitcnt vmcnt(19)
	v_fma_f32 v4, v4, v147, -v128
	v_fmac_f32_e32 v168, v5, v147
	v_add_f32_e32 v2, 0, v2
	v_add_f32_e32 v5, 0, v167
	v_mul_f32_e32 v8, v99, v130
	s_waitcnt vmcnt(18)
	v_fma_f32 v3, v96, v148, -v3
	v_fmac_f32_e32 v169, v97, v148
	v_add_f32_e32 v2, v2, v4
	v_add_f32_e32 v4, v5, v168
	;; [unrolled: 6-line block ×15, first 2 shown]
	v_mul_f32_e32 v4, v127, v144
	s_waitcnt vmcnt(4)
	v_fma_f32 v5, v124, v162, -v5
	v_mul_f32_e32 v184, v126, v144
	v_add_f32_e32 v2, v2, v8
	v_fmac_f32_e32 v183, v125, v162
	v_add_f32_e32 v3, v3, v182
	s_waitcnt lgkmcnt(0)
	v_mul_f32_e32 v8, v7, v145
	s_waitcnt vmcnt(3)
	v_fma_f32 v4, v126, v163, -v4
	v_add_f32_e32 v2, v2, v5
	v_mul_f32_e32 v185, v6, v145
	v_fmac_f32_e32 v184, v127, v163
	v_add_f32_e32 v3, v3, v183
	s_waitcnt vmcnt(2)
	v_fma_f32 v5, v6, v164, -v8
	v_add_f32_e32 v2, v2, v4
	v_fmac_f32_e32 v185, v7, v164
	v_add_f32_e32 v3, v3, v184
	v_add_f32_e32 v2, v2, v5
	;; [unrolled: 1-line block ×3, first 2 shown]
	s_waitcnt vmcnt(1)
	v_sub_f32_e32 v2, v165, v2
	s_waitcnt vmcnt(0)
	v_sub_f32_e32 v3, v166, v3
	buffer_store_dword v2, off, s[0:3], 0 offset:184
	buffer_store_dword v3, off, s[0:3], 0 offset:188
	v_cmpx_lt_u32_e32 22, v0
	s_cbranch_execz .LBB42_227
; %bb.226:
	s_clause 0x1
	buffer_load_dword v2, off, s[0:3], 0 offset:176
	buffer_load_dword v3, off, s[0:3], 0 offset:180
	buffer_store_dword v1, off, s[0:3], 0 offset:176
	buffer_store_dword v1, off, s[0:3], 0 offset:180
	s_waitcnt vmcnt(0)
	ds_write_b64 v95, v[2:3]
.LBB42_227:
	s_or_b32 exec_lo, exec_lo, s4
	s_waitcnt lgkmcnt(0)
	s_waitcnt_vscnt null, 0x0
	s_barrier
	buffer_gl0_inv
	s_clause 0x29
	buffer_load_dword v6, off, s[0:3], 0 offset:188
	buffer_load_dword v7, off, s[0:3], 0 offset:196
	;; [unrolled: 1-line block ×42, first 2 shown]
	ds_read2_b64 v[2:5], v1 offset0:67 offset1:68
	ds_read2_b64 v[96:99], v1 offset0:69 offset1:70
	;; [unrolled: 1-line block ×10, first 2 shown]
	s_mov_b32 s4, exec_lo
	s_waitcnt vmcnt(41) lgkmcnt(9)
	v_mul_f32_e32 v1, v2, v6
	v_mul_f32_e32 v6, v3, v6
	s_waitcnt vmcnt(40)
	v_mul_f32_e32 v171, v4, v7
	v_mul_f32_e32 v7, v5, v7
	s_waitcnt vmcnt(39) lgkmcnt(8)
	v_mul_f32_e32 v172, v96, v8
	s_waitcnt vmcnt(38)
	v_mul_f32_e32 v173, v98, v132
	s_waitcnt vmcnt(37) lgkmcnt(7)
	v_mul_f32_e32 v174, v100, v133
	s_waitcnt vmcnt(36)
	;; [unrolled: 4-line block ×8, first 2 shown]
	v_mul_f32_e32 v187, v126, v146
	s_waitcnt vmcnt(21)
	v_fma_f32 v2, v2, v149, -v6
	v_fmac_f32_e32 v1, v3, v149
	v_mul_f32_e32 v3, v97, v8
	s_waitcnt vmcnt(20)
	v_fma_f32 v4, v4, v150, -v7
	v_fmac_f32_e32 v171, v5, v150
	v_add_f32_e32 v2, 0, v2
	v_add_f32_e32 v1, 0, v1
	v_mul_f32_e32 v5, v99, v132
	s_waitcnt vmcnt(19)
	v_fma_f32 v3, v96, v151, -v3
	v_fmac_f32_e32 v172, v97, v151
	v_add_f32_e32 v2, v2, v4
	v_add_f32_e32 v1, v1, v171
	;; [unrolled: 6-line block ×16, first 2 shown]
	s_waitcnt lgkmcnt(0)
	v_mul_f32_e32 v5, v129, v147
	s_waitcnt vmcnt(4)
	v_fma_f32 v3, v126, v166, -v3
	v_mul_f32_e32 v188, v128, v147
	v_add_f32_e32 v2, v2, v4
	v_fmac_f32_e32 v187, v127, v166
	v_add_f32_e32 v1, v1, v186
	v_mul_f32_e32 v4, v131, v148
	s_waitcnt vmcnt(3)
	v_fma_f32 v5, v128, v167, -v5
	v_add_f32_e32 v2, v2, v3
	v_mul_f32_e32 v189, v130, v148
	v_fmac_f32_e32 v188, v129, v167
	v_add_f32_e32 v1, v1, v187
	s_waitcnt vmcnt(2)
	v_fma_f32 v3, v130, v168, -v4
	v_add_f32_e32 v2, v2, v5
	v_fmac_f32_e32 v189, v131, v168
	v_add_f32_e32 v1, v1, v188
	v_add_f32_e32 v2, v2, v3
	;; [unrolled: 1-line block ×3, first 2 shown]
	s_waitcnt vmcnt(1)
	v_sub_f32_e32 v2, v169, v2
	s_waitcnt vmcnt(0)
	v_sub_f32_e32 v1, v170, v1
	buffer_store_dword v2, off, s[0:3], 0 offset:176
	buffer_store_dword v1, off, s[0:3], 0 offset:180
	v_cmpx_lt_u32_e32 21, v0
	s_cbranch_execz .LBB42_229
; %bb.228:
	s_clause 0x1
	buffer_load_dword v1, off, s[0:3], 0 offset:168
	buffer_load_dword v2, off, s[0:3], 0 offset:172
	v_mov_b32_e32 v3, 0
	buffer_store_dword v3, off, s[0:3], 0 offset:168
	buffer_store_dword v3, off, s[0:3], 0 offset:172
	s_waitcnt vmcnt(0)
	ds_write_b64 v95, v[1:2]
.LBB42_229:
	s_or_b32 exec_lo, exec_lo, s4
	s_waitcnt lgkmcnt(0)
	s_waitcnt_vscnt null, 0x0
	s_barrier
	buffer_gl0_inv
	s_clause 0x2b
	buffer_load_dword v8, off, s[0:3], 0 offset:180
	buffer_load_dword v132, off, s[0:3], 0 offset:188
	buffer_load_dword v133, off, s[0:3], 0 offset:196
	buffer_load_dword v134, off, s[0:3], 0 offset:204
	buffer_load_dword v135, off, s[0:3], 0 offset:212
	buffer_load_dword v136, off, s[0:3], 0 offset:220
	buffer_load_dword v137, off, s[0:3], 0 offset:228
	buffer_load_dword v138, off, s[0:3], 0 offset:236
	buffer_load_dword v139, off, s[0:3], 0 offset:244
	buffer_load_dword v140, off, s[0:3], 0 offset:252
	buffer_load_dword v141, off, s[0:3], 0 offset:260
	buffer_load_dword v142, off, s[0:3], 0 offset:268
	buffer_load_dword v143, off, s[0:3], 0 offset:276
	buffer_load_dword v144, off, s[0:3], 0 offset:284
	buffer_load_dword v145, off, s[0:3], 0 offset:292
	buffer_load_dword v146, off, s[0:3], 0 offset:300
	buffer_load_dword v147, off, s[0:3], 0 offset:308
	buffer_load_dword v148, off, s[0:3], 0 offset:316
	buffer_load_dword v149, off, s[0:3], 0 offset:324
	buffer_load_dword v150, off, s[0:3], 0 offset:332
	buffer_load_dword v151, off, s[0:3], 0 offset:340
	buffer_load_dword v152, off, s[0:3], 0 offset:176
	buffer_load_dword v153, off, s[0:3], 0 offset:184
	buffer_load_dword v154, off, s[0:3], 0 offset:192
	buffer_load_dword v155, off, s[0:3], 0 offset:200
	buffer_load_dword v156, off, s[0:3], 0 offset:208
	buffer_load_dword v157, off, s[0:3], 0 offset:216
	buffer_load_dword v158, off, s[0:3], 0 offset:224
	buffer_load_dword v159, off, s[0:3], 0 offset:232
	buffer_load_dword v160, off, s[0:3], 0 offset:240
	buffer_load_dword v161, off, s[0:3], 0 offset:248
	buffer_load_dword v162, off, s[0:3], 0 offset:256
	buffer_load_dword v163, off, s[0:3], 0 offset:264
	buffer_load_dword v164, off, s[0:3], 0 offset:272
	buffer_load_dword v165, off, s[0:3], 0 offset:280
	buffer_load_dword v166, off, s[0:3], 0 offset:288
	buffer_load_dword v167, off, s[0:3], 0 offset:296
	buffer_load_dword v168, off, s[0:3], 0 offset:304
	buffer_load_dword v169, off, s[0:3], 0 offset:312
	buffer_load_dword v170, off, s[0:3], 0 offset:320
	buffer_load_dword v171, off, s[0:3], 0 offset:328
	buffer_load_dword v172, off, s[0:3], 0 offset:336
	buffer_load_dword v173, off, s[0:3], 0 offset:168
	buffer_load_dword v174, off, s[0:3], 0 offset:172
	v_mov_b32_e32 v1, 0
	ds_read_b128 v[2:5], v1 offset:528
	ds_read_b128 v[96:99], v1 offset:544
	ds_read_b128 v[100:103], v1 offset:560
	ds_read_b128 v[104:107], v1 offset:576
	ds_read_b128 v[108:111], v1 offset:592
	ds_read_b128 v[112:115], v1 offset:608
	ds_read_b128 v[116:119], v1 offset:624
	ds_read_b128 v[120:123], v1 offset:640
	ds_read_b128 v[124:127], v1 offset:656
	ds_read_b128 v[128:131], v1 offset:672
	ds_read_b64 v[6:7], v1 offset:688
	s_mov_b32 s4, exec_lo
	s_waitcnt vmcnt(43) lgkmcnt(10)
	v_mul_f32_e32 v175, v2, v8
	v_mul_f32_e32 v8, v3, v8
	s_waitcnt vmcnt(42)
	v_mul_f32_e32 v176, v4, v132
	v_mul_f32_e32 v132, v5, v132
	s_waitcnt vmcnt(41) lgkmcnt(9)
	v_mul_f32_e32 v177, v96, v133
	s_waitcnt vmcnt(40)
	v_mul_f32_e32 v178, v98, v134
	s_waitcnt vmcnt(39) lgkmcnt(8)
	v_mul_f32_e32 v179, v100, v135
	s_waitcnt vmcnt(38)
	;; [unrolled: 4-line block ×9, first 2 shown]
	v_fma_f32 v2, v2, v152, -v8
	v_fmac_f32_e32 v175, v3, v152
	v_mul_f32_e32 v3, v97, v133
	s_waitcnt vmcnt(21)
	v_fma_f32 v4, v4, v153, -v132
	v_fmac_f32_e32 v176, v5, v153
	v_add_f32_e32 v2, 0, v2
	v_add_f32_e32 v5, 0, v175
	v_mul_f32_e32 v8, v99, v134
	s_waitcnt vmcnt(20)
	v_fma_f32 v3, v96, v154, -v3
	v_fmac_f32_e32 v177, v97, v154
	v_add_f32_e32 v2, v2, v4
	v_add_f32_e32 v4, v5, v176
	;; [unrolled: 6-line block ×17, first 2 shown]
	v_mul_f32_e32 v5, v131, v150
	s_waitcnt vmcnt(4)
	v_fma_f32 v8, v128, v170, -v8
	v_mul_f32_e32 v194, v130, v150
	v_add_f32_e32 v2, v2, v4
	v_fmac_f32_e32 v193, v129, v170
	v_add_f32_e32 v3, v3, v192
	s_waitcnt lgkmcnt(0)
	v_mul_f32_e32 v4, v7, v151
	s_waitcnt vmcnt(3)
	v_fma_f32 v5, v130, v171, -v5
	v_add_f32_e32 v2, v2, v8
	v_mul_f32_e32 v195, v6, v151
	v_fmac_f32_e32 v194, v131, v171
	v_add_f32_e32 v3, v3, v193
	s_waitcnt vmcnt(2)
	v_fma_f32 v4, v6, v172, -v4
	v_add_f32_e32 v2, v2, v5
	v_fmac_f32_e32 v195, v7, v172
	v_add_f32_e32 v3, v3, v194
	v_add_f32_e32 v2, v2, v4
	;; [unrolled: 1-line block ×3, first 2 shown]
	s_waitcnt vmcnt(1)
	v_sub_f32_e32 v2, v173, v2
	s_waitcnt vmcnt(0)
	v_sub_f32_e32 v3, v174, v3
	buffer_store_dword v2, off, s[0:3], 0 offset:168
	buffer_store_dword v3, off, s[0:3], 0 offset:172
	v_cmpx_lt_u32_e32 20, v0
	s_cbranch_execz .LBB42_231
; %bb.230:
	s_clause 0x1
	buffer_load_dword v2, off, s[0:3], 0 offset:160
	buffer_load_dword v3, off, s[0:3], 0 offset:164
	buffer_store_dword v1, off, s[0:3], 0 offset:160
	buffer_store_dword v1, off, s[0:3], 0 offset:164
	s_waitcnt vmcnt(0)
	ds_write_b64 v95, v[2:3]
.LBB42_231:
	s_or_b32 exec_lo, exec_lo, s4
	s_waitcnt lgkmcnt(0)
	s_waitcnt_vscnt null, 0x0
	s_barrier
	buffer_gl0_inv
	s_clause 0x2d
	buffer_load_dword v6, off, s[0:3], 0 offset:172
	buffer_load_dword v7, off, s[0:3], 0 offset:180
	;; [unrolled: 1-line block ×46, first 2 shown]
	ds_read2_b64 v[2:5], v1 offset0:65 offset1:66
	ds_read2_b64 v[96:99], v1 offset0:67 offset1:68
	;; [unrolled: 1-line block ×11, first 2 shown]
	s_mov_b32 s4, exec_lo
	s_waitcnt vmcnt(45) lgkmcnt(10)
	v_mul_f32_e32 v1, v2, v6
	v_mul_f32_e32 v6, v3, v6
	s_waitcnt vmcnt(44)
	v_mul_f32_e32 v179, v4, v7
	v_mul_f32_e32 v7, v5, v7
	s_waitcnt vmcnt(43) lgkmcnt(9)
	v_mul_f32_e32 v180, v96, v8
	s_waitcnt vmcnt(42)
	v_mul_f32_e32 v181, v98, v136
	s_waitcnt vmcnt(41) lgkmcnt(8)
	v_mul_f32_e32 v182, v100, v137
	s_waitcnt vmcnt(40)
	v_mul_f32_e32 v183, v102, v138
	s_waitcnt vmcnt(39) lgkmcnt(7)
	v_mul_f32_e32 v184, v104, v139
	s_waitcnt vmcnt(38)
	v_mul_f32_e32 v185, v106, v140
	s_waitcnt vmcnt(37) lgkmcnt(6)
	v_mul_f32_e32 v186, v108, v141
	s_waitcnt vmcnt(36)
	v_mul_f32_e32 v187, v110, v142
	s_waitcnt vmcnt(35) lgkmcnt(5)
	v_mul_f32_e32 v188, v112, v143
	s_waitcnt vmcnt(34)
	v_mul_f32_e32 v189, v114, v144
	s_waitcnt vmcnt(33) lgkmcnt(4)
	v_mul_f32_e32 v190, v116, v145
	s_waitcnt vmcnt(32)
	v_mul_f32_e32 v191, v118, v146
	s_waitcnt vmcnt(31) lgkmcnt(3)
	v_mul_f32_e32 v192, v120, v147
	s_waitcnt vmcnt(30)
	v_mul_f32_e32 v193, v122, v148
	s_waitcnt vmcnt(29) lgkmcnt(2)
	v_mul_f32_e32 v194, v124, v149
	s_waitcnt vmcnt(28)
	v_mul_f32_e32 v195, v126, v150
	s_waitcnt vmcnt(27) lgkmcnt(1)
	v_mul_f32_e32 v196, v128, v151
	s_waitcnt vmcnt(26)
	v_mul_f32_e32 v197, v130, v152
	s_waitcnt vmcnt(23)
	v_fma_f32 v2, v2, v155, -v6
	v_fmac_f32_e32 v1, v3, v155
	v_mul_f32_e32 v3, v97, v8
	s_waitcnt vmcnt(22)
	v_fma_f32 v4, v4, v156, -v7
	v_fmac_f32_e32 v179, v5, v156
	v_add_f32_e32 v2, 0, v2
	v_add_f32_e32 v1, 0, v1
	v_mul_f32_e32 v5, v99, v136
	s_waitcnt vmcnt(21)
	v_fma_f32 v3, v96, v157, -v3
	v_fmac_f32_e32 v180, v97, v157
	v_add_f32_e32 v2, v2, v4
	v_add_f32_e32 v1, v1, v179
	;; [unrolled: 6-line block ×18, first 2 shown]
	s_waitcnt lgkmcnt(0)
	v_mul_f32_e32 v3, v133, v153
	s_waitcnt vmcnt(4)
	v_fma_f32 v4, v130, v174, -v4
	v_mul_f32_e32 v198, v132, v153
	v_add_f32_e32 v2, v2, v5
	v_fmac_f32_e32 v197, v131, v174
	v_add_f32_e32 v1, v1, v196
	v_mul_f32_e32 v5, v135, v154
	s_waitcnt vmcnt(3)
	v_fma_f32 v3, v132, v175, -v3
	v_add_f32_e32 v2, v2, v4
	v_mul_f32_e32 v199, v134, v154
	v_fmac_f32_e32 v198, v133, v175
	v_add_f32_e32 v1, v1, v197
	s_waitcnt vmcnt(2)
	v_fma_f32 v4, v134, v176, -v5
	v_add_f32_e32 v2, v2, v3
	v_fmac_f32_e32 v199, v135, v176
	v_add_f32_e32 v1, v1, v198
	v_add_f32_e32 v2, v2, v4
	;; [unrolled: 1-line block ×3, first 2 shown]
	s_waitcnt vmcnt(1)
	v_sub_f32_e32 v2, v177, v2
	s_waitcnt vmcnt(0)
	v_sub_f32_e32 v1, v178, v1
	buffer_store_dword v2, off, s[0:3], 0 offset:160
	buffer_store_dword v1, off, s[0:3], 0 offset:164
	v_cmpx_lt_u32_e32 19, v0
	s_cbranch_execz .LBB42_233
; %bb.232:
	s_clause 0x1
	buffer_load_dword v1, off, s[0:3], 0 offset:152
	buffer_load_dword v2, off, s[0:3], 0 offset:156
	v_mov_b32_e32 v3, 0
	buffer_store_dword v3, off, s[0:3], 0 offset:152
	buffer_store_dword v3, off, s[0:3], 0 offset:156
	s_waitcnt vmcnt(0)
	ds_write_b64 v95, v[1:2]
.LBB42_233:
	s_or_b32 exec_lo, exec_lo, s4
	s_waitcnt lgkmcnt(0)
	s_waitcnt_vscnt null, 0x0
	s_barrier
	buffer_gl0_inv
	s_clause 0x2f
	buffer_load_dword v8, off, s[0:3], 0 offset:164
	buffer_load_dword v136, off, s[0:3], 0 offset:172
	;; [unrolled: 1-line block ×48, first 2 shown]
	v_mov_b32_e32 v1, 0
	ds_read_b128 v[2:5], v1 offset:512
	ds_read_b128 v[96:99], v1 offset:528
	;; [unrolled: 1-line block ×11, first 2 shown]
	ds_read_b64 v[6:7], v1 offset:688
	s_mov_b32 s4, exec_lo
	s_waitcnt vmcnt(47) lgkmcnt(11)
	v_mul_f32_e32 v183, v2, v8
	v_mul_f32_e32 v8, v3, v8
	s_waitcnt vmcnt(46)
	v_mul_f32_e32 v184, v4, v136
	v_mul_f32_e32 v136, v5, v136
	s_waitcnt vmcnt(45) lgkmcnt(10)
	v_mul_f32_e32 v185, v96, v137
	s_waitcnt vmcnt(44)
	v_mul_f32_e32 v186, v98, v138
	s_waitcnt vmcnt(43) lgkmcnt(9)
	v_mul_f32_e32 v187, v100, v139
	s_waitcnt vmcnt(42)
	;; [unrolled: 4-line block ×10, first 2 shown]
	v_fma_f32 v2, v2, v158, -v8
	v_fmac_f32_e32 v183, v3, v158
	v_mul_f32_e32 v3, v97, v137
	s_waitcnt vmcnt(23)
	v_fma_f32 v4, v4, v159, -v136
	v_fmac_f32_e32 v184, v5, v159
	v_add_f32_e32 v2, 0, v2
	v_add_f32_e32 v5, 0, v183
	v_mul_f32_e32 v8, v99, v138
	s_waitcnt vmcnt(22)
	v_fma_f32 v3, v96, v160, -v3
	v_fmac_f32_e32 v185, v97, v160
	v_add_f32_e32 v2, v2, v4
	v_add_f32_e32 v4, v5, v184
	;; [unrolled: 6-line block ×19, first 2 shown]
	v_mul_f32_e32 v8, v135, v156
	s_waitcnt vmcnt(4)
	v_fma_f32 v4, v132, v178, -v4
	v_mul_f32_e32 v204, v134, v156
	v_add_f32_e32 v2, v2, v5
	v_fmac_f32_e32 v203, v133, v178
	v_add_f32_e32 v3, v3, v202
	s_waitcnt lgkmcnt(0)
	v_mul_f32_e32 v5, v7, v157
	s_waitcnt vmcnt(3)
	v_fma_f32 v8, v134, v179, -v8
	v_add_f32_e32 v2, v2, v4
	v_mul_f32_e32 v205, v6, v157
	v_fmac_f32_e32 v204, v135, v179
	v_add_f32_e32 v3, v3, v203
	s_waitcnt vmcnt(2)
	v_fma_f32 v4, v6, v180, -v5
	v_add_f32_e32 v2, v2, v8
	v_fmac_f32_e32 v205, v7, v180
	v_add_f32_e32 v3, v3, v204
	v_add_f32_e32 v2, v2, v4
	;; [unrolled: 1-line block ×3, first 2 shown]
	s_waitcnt vmcnt(1)
	v_sub_f32_e32 v2, v181, v2
	s_waitcnt vmcnt(0)
	v_sub_f32_e32 v3, v182, v3
	buffer_store_dword v2, off, s[0:3], 0 offset:152
	buffer_store_dword v3, off, s[0:3], 0 offset:156
	v_cmpx_lt_u32_e32 18, v0
	s_cbranch_execz .LBB42_235
; %bb.234:
	s_clause 0x1
	buffer_load_dword v2, off, s[0:3], 0 offset:144
	buffer_load_dword v3, off, s[0:3], 0 offset:148
	buffer_store_dword v1, off, s[0:3], 0 offset:144
	buffer_store_dword v1, off, s[0:3], 0 offset:148
	s_waitcnt vmcnt(0)
	ds_write_b64 v95, v[2:3]
.LBB42_235:
	s_or_b32 exec_lo, exec_lo, s4
	s_waitcnt lgkmcnt(0)
	s_waitcnt_vscnt null, 0x0
	s_barrier
	buffer_gl0_inv
	s_clause 0x31
	buffer_load_dword v6, off, s[0:3], 0 offset:156
	buffer_load_dword v7, off, s[0:3], 0 offset:164
	;; [unrolled: 1-line block ×50, first 2 shown]
	ds_read2_b64 v[2:5], v1 offset0:63 offset1:64
	ds_read2_b64 v[96:99], v1 offset0:65 offset1:66
	;; [unrolled: 1-line block ×12, first 2 shown]
	s_mov_b32 s4, exec_lo
	s_waitcnt vmcnt(49) lgkmcnt(11)
	v_mul_f32_e32 v1, v2, v6
	v_mul_f32_e32 v6, v3, v6
	s_waitcnt vmcnt(48)
	v_mul_f32_e32 v187, v4, v7
	v_mul_f32_e32 v7, v5, v7
	s_waitcnt vmcnt(47) lgkmcnt(10)
	v_mul_f32_e32 v188, v96, v8
	s_waitcnt vmcnt(46)
	v_mul_f32_e32 v189, v98, v140
	s_waitcnt vmcnt(45) lgkmcnt(9)
	v_mul_f32_e32 v190, v100, v141
	s_waitcnt vmcnt(44)
	;; [unrolled: 4-line block ×10, first 2 shown]
	v_mul_f32_e32 v207, v134, v158
	s_waitcnt vmcnt(25)
	v_fma_f32 v2, v2, v161, -v6
	v_fmac_f32_e32 v1, v3, v161
	v_mul_f32_e32 v3, v97, v8
	s_waitcnt vmcnt(24)
	v_fma_f32 v4, v4, v162, -v7
	v_fmac_f32_e32 v187, v5, v162
	v_add_f32_e32 v2, 0, v2
	v_add_f32_e32 v1, 0, v1
	v_mul_f32_e32 v5, v99, v140
	s_waitcnt vmcnt(23)
	v_fma_f32 v3, v96, v163, -v3
	v_fmac_f32_e32 v188, v97, v163
	v_add_f32_e32 v2, v2, v4
	v_add_f32_e32 v1, v1, v187
	;; [unrolled: 6-line block ×20, first 2 shown]
	s_waitcnt lgkmcnt(0)
	v_mul_f32_e32 v4, v137, v159
	s_waitcnt vmcnt(4)
	v_fma_f32 v5, v134, v182, -v5
	v_mul_f32_e32 v208, v136, v159
	v_add_f32_e32 v2, v2, v3
	v_fmac_f32_e32 v207, v135, v182
	v_add_f32_e32 v1, v1, v206
	v_mul_f32_e32 v3, v139, v160
	s_waitcnt vmcnt(3)
	v_fma_f32 v4, v136, v183, -v4
	v_add_f32_e32 v2, v2, v5
	v_mul_f32_e32 v209, v138, v160
	v_fmac_f32_e32 v208, v137, v183
	v_add_f32_e32 v1, v1, v207
	s_waitcnt vmcnt(2)
	v_fma_f32 v3, v138, v184, -v3
	v_add_f32_e32 v2, v2, v4
	v_fmac_f32_e32 v209, v139, v184
	v_add_f32_e32 v1, v1, v208
	v_add_f32_e32 v2, v2, v3
	;; [unrolled: 1-line block ×3, first 2 shown]
	s_waitcnt vmcnt(1)
	v_sub_f32_e32 v2, v185, v2
	s_waitcnt vmcnt(0)
	v_sub_f32_e32 v1, v186, v1
	buffer_store_dword v2, off, s[0:3], 0 offset:144
	buffer_store_dword v1, off, s[0:3], 0 offset:148
	v_cmpx_lt_u32_e32 17, v0
	s_cbranch_execz .LBB42_237
; %bb.236:
	s_clause 0x1
	buffer_load_dword v1, off, s[0:3], 0 offset:136
	buffer_load_dword v2, off, s[0:3], 0 offset:140
	v_mov_b32_e32 v3, 0
	buffer_store_dword v3, off, s[0:3], 0 offset:136
	buffer_store_dword v3, off, s[0:3], 0 offset:140
	s_waitcnt vmcnt(0)
	ds_write_b64 v95, v[1:2]
.LBB42_237:
	s_or_b32 exec_lo, exec_lo, s4
	s_waitcnt lgkmcnt(0)
	s_waitcnt_vscnt null, 0x0
	s_barrier
	buffer_gl0_inv
	s_clause 0x33
	buffer_load_dword v8, off, s[0:3], 0 offset:148
	buffer_load_dword v140, off, s[0:3], 0 offset:156
	buffer_load_dword v141, off, s[0:3], 0 offset:164
	buffer_load_dword v142, off, s[0:3], 0 offset:172
	buffer_load_dword v143, off, s[0:3], 0 offset:180
	buffer_load_dword v144, off, s[0:3], 0 offset:188
	buffer_load_dword v145, off, s[0:3], 0 offset:196
	buffer_load_dword v146, off, s[0:3], 0 offset:204
	buffer_load_dword v147, off, s[0:3], 0 offset:212
	buffer_load_dword v148, off, s[0:3], 0 offset:220
	buffer_load_dword v149, off, s[0:3], 0 offset:228
	buffer_load_dword v150, off, s[0:3], 0 offset:236
	buffer_load_dword v151, off, s[0:3], 0 offset:244
	buffer_load_dword v152, off, s[0:3], 0 offset:252
	buffer_load_dword v153, off, s[0:3], 0 offset:260
	buffer_load_dword v154, off, s[0:3], 0 offset:268
	buffer_load_dword v155, off, s[0:3], 0 offset:276
	buffer_load_dword v156, off, s[0:3], 0 offset:284
	buffer_load_dword v157, off, s[0:3], 0 offset:292
	buffer_load_dword v158, off, s[0:3], 0 offset:300
	buffer_load_dword v159, off, s[0:3], 0 offset:308
	buffer_load_dword v160, off, s[0:3], 0 offset:316
	buffer_load_dword v161, off, s[0:3], 0 offset:324
	buffer_load_dword v162, off, s[0:3], 0 offset:332
	buffer_load_dword v163, off, s[0:3], 0 offset:340
	buffer_load_dword v164, off, s[0:3], 0 offset:144
	buffer_load_dword v165, off, s[0:3], 0 offset:152
	buffer_load_dword v166, off, s[0:3], 0 offset:160
	buffer_load_dword v167, off, s[0:3], 0 offset:168
	buffer_load_dword v168, off, s[0:3], 0 offset:176
	buffer_load_dword v169, off, s[0:3], 0 offset:184
	buffer_load_dword v170, off, s[0:3], 0 offset:192
	buffer_load_dword v171, off, s[0:3], 0 offset:200
	buffer_load_dword v172, off, s[0:3], 0 offset:208
	buffer_load_dword v173, off, s[0:3], 0 offset:216
	buffer_load_dword v174, off, s[0:3], 0 offset:224
	buffer_load_dword v175, off, s[0:3], 0 offset:232
	buffer_load_dword v176, off, s[0:3], 0 offset:240
	buffer_load_dword v177, off, s[0:3], 0 offset:248
	buffer_load_dword v178, off, s[0:3], 0 offset:256
	buffer_load_dword v179, off, s[0:3], 0 offset:264
	buffer_load_dword v180, off, s[0:3], 0 offset:272
	buffer_load_dword v181, off, s[0:3], 0 offset:280
	buffer_load_dword v182, off, s[0:3], 0 offset:288
	buffer_load_dword v183, off, s[0:3], 0 offset:296
	buffer_load_dword v184, off, s[0:3], 0 offset:304
	buffer_load_dword v185, off, s[0:3], 0 offset:312
	buffer_load_dword v186, off, s[0:3], 0 offset:320
	buffer_load_dword v187, off, s[0:3], 0 offset:328
	buffer_load_dword v188, off, s[0:3], 0 offset:336
	buffer_load_dword v189, off, s[0:3], 0 offset:136
	buffer_load_dword v190, off, s[0:3], 0 offset:140
	v_mov_b32_e32 v1, 0
	ds_read_b128 v[2:5], v1 offset:496
	ds_read_b128 v[96:99], v1 offset:512
	;; [unrolled: 1-line block ×12, first 2 shown]
	ds_read_b64 v[6:7], v1 offset:688
	s_mov_b32 s4, exec_lo
	s_waitcnt vmcnt(51) lgkmcnt(12)
	v_mul_f32_e32 v191, v2, v8
	v_mul_f32_e32 v8, v3, v8
	s_waitcnt vmcnt(50)
	v_mul_f32_e32 v192, v4, v140
	v_mul_f32_e32 v140, v5, v140
	s_waitcnt vmcnt(49) lgkmcnt(11)
	v_mul_f32_e32 v193, v96, v141
	s_waitcnt vmcnt(48)
	v_mul_f32_e32 v194, v98, v142
	s_waitcnt vmcnt(47) lgkmcnt(10)
	v_mul_f32_e32 v195, v100, v143
	s_waitcnt vmcnt(46)
	;; [unrolled: 4-line block ×11, first 2 shown]
	v_fma_f32 v2, v2, v164, -v8
	v_fmac_f32_e32 v191, v3, v164
	v_mul_f32_e32 v3, v97, v141
	s_waitcnt vmcnt(25)
	v_fma_f32 v4, v4, v165, -v140
	v_fmac_f32_e32 v192, v5, v165
	v_add_f32_e32 v2, 0, v2
	v_add_f32_e32 v5, 0, v191
	v_mul_f32_e32 v8, v99, v142
	s_waitcnt vmcnt(24)
	v_fma_f32 v3, v96, v166, -v3
	v_fmac_f32_e32 v193, v97, v166
	v_add_f32_e32 v2, v2, v4
	v_add_f32_e32 v4, v5, v192
	;; [unrolled: 6-line block ×21, first 2 shown]
	v_mul_f32_e32 v4, v139, v162
	s_waitcnt vmcnt(4)
	v_fma_f32 v5, v136, v186, -v5
	v_mul_f32_e32 v214, v138, v162
	v_add_f32_e32 v2, v2, v8
	v_fmac_f32_e32 v213, v137, v186
	v_add_f32_e32 v3, v3, v212
	s_waitcnt lgkmcnt(0)
	v_mul_f32_e32 v8, v7, v163
	s_waitcnt vmcnt(3)
	v_fma_f32 v4, v138, v187, -v4
	v_add_f32_e32 v2, v2, v5
	v_mul_f32_e32 v215, v6, v163
	v_fmac_f32_e32 v214, v139, v187
	v_add_f32_e32 v3, v3, v213
	s_waitcnt vmcnt(2)
	v_fma_f32 v5, v6, v188, -v8
	v_add_f32_e32 v2, v2, v4
	v_fmac_f32_e32 v215, v7, v188
	v_add_f32_e32 v3, v3, v214
	v_add_f32_e32 v2, v2, v5
	;; [unrolled: 1-line block ×3, first 2 shown]
	s_waitcnt vmcnt(1)
	v_sub_f32_e32 v2, v189, v2
	s_waitcnt vmcnt(0)
	v_sub_f32_e32 v3, v190, v3
	buffer_store_dword v2, off, s[0:3], 0 offset:136
	buffer_store_dword v3, off, s[0:3], 0 offset:140
	v_cmpx_lt_u32_e32 16, v0
	s_cbranch_execz .LBB42_239
; %bb.238:
	s_clause 0x1
	buffer_load_dword v2, off, s[0:3], 0 offset:128
	buffer_load_dword v3, off, s[0:3], 0 offset:132
	buffer_store_dword v1, off, s[0:3], 0 offset:128
	buffer_store_dword v1, off, s[0:3], 0 offset:132
	s_waitcnt vmcnt(0)
	ds_write_b64 v95, v[2:3]
.LBB42_239:
	s_or_b32 exec_lo, exec_lo, s4
	s_waitcnt lgkmcnt(0)
	s_waitcnt_vscnt null, 0x0
	s_barrier
	buffer_gl0_inv
	s_clause 0x35
	buffer_load_dword v6, off, s[0:3], 0 offset:140
	buffer_load_dword v7, off, s[0:3], 0 offset:148
	;; [unrolled: 1-line block ×54, first 2 shown]
	ds_read2_b64 v[2:5], v1 offset0:61 offset1:62
	ds_read2_b64 v[96:99], v1 offset0:63 offset1:64
	;; [unrolled: 1-line block ×13, first 2 shown]
	s_mov_b32 s4, exec_lo
	s_waitcnt vmcnt(53) lgkmcnt(12)
	v_mul_f32_e32 v1, v2, v6
	v_mul_f32_e32 v6, v3, v6
	s_waitcnt vmcnt(52)
	v_mul_f32_e32 v195, v4, v7
	v_mul_f32_e32 v7, v5, v7
	s_waitcnt vmcnt(51) lgkmcnt(11)
	v_mul_f32_e32 v196, v96, v8
	s_waitcnt vmcnt(50)
	v_mul_f32_e32 v197, v98, v144
	s_waitcnt vmcnt(49) lgkmcnt(10)
	v_mul_f32_e32 v198, v100, v145
	s_waitcnt vmcnt(48)
	;; [unrolled: 4-line block ×11, first 2 shown]
	v_mul_f32_e32 v217, v138, v164
	s_waitcnt vmcnt(27)
	v_fma_f32 v2, v2, v167, -v6
	v_fmac_f32_e32 v1, v3, v167
	v_mul_f32_e32 v3, v97, v8
	s_waitcnt vmcnt(26)
	v_fma_f32 v4, v4, v168, -v7
	v_fmac_f32_e32 v195, v5, v168
	v_add_f32_e32 v2, 0, v2
	v_add_f32_e32 v1, 0, v1
	v_mul_f32_e32 v5, v99, v144
	s_waitcnt vmcnt(25)
	v_fma_f32 v3, v96, v169, -v3
	v_fmac_f32_e32 v196, v97, v169
	v_add_f32_e32 v2, v2, v4
	v_add_f32_e32 v1, v1, v195
	;; [unrolled: 6-line block ×22, first 2 shown]
	s_waitcnt lgkmcnt(0)
	v_mul_f32_e32 v5, v141, v165
	s_waitcnt vmcnt(4)
	v_fma_f32 v3, v138, v190, -v3
	v_mul_f32_e32 v218, v140, v165
	v_add_f32_e32 v2, v2, v4
	v_fmac_f32_e32 v217, v139, v190
	v_add_f32_e32 v1, v1, v216
	v_mul_f32_e32 v4, v143, v166
	s_waitcnt vmcnt(3)
	v_fma_f32 v5, v140, v191, -v5
	v_add_f32_e32 v2, v2, v3
	v_mul_f32_e32 v219, v142, v166
	v_fmac_f32_e32 v218, v141, v191
	v_add_f32_e32 v1, v1, v217
	s_waitcnt vmcnt(2)
	v_fma_f32 v3, v142, v192, -v4
	v_add_f32_e32 v2, v2, v5
	v_fmac_f32_e32 v219, v143, v192
	v_add_f32_e32 v1, v1, v218
	v_add_f32_e32 v2, v2, v3
	;; [unrolled: 1-line block ×3, first 2 shown]
	s_waitcnt vmcnt(1)
	v_sub_f32_e32 v2, v193, v2
	s_waitcnt vmcnt(0)
	v_sub_f32_e32 v1, v194, v1
	buffer_store_dword v2, off, s[0:3], 0 offset:128
	buffer_store_dword v1, off, s[0:3], 0 offset:132
	v_cmpx_lt_u32_e32 15, v0
	s_cbranch_execz .LBB42_241
; %bb.240:
	s_clause 0x1
	buffer_load_dword v1, off, s[0:3], 0 offset:120
	buffer_load_dword v2, off, s[0:3], 0 offset:124
	v_mov_b32_e32 v3, 0
	buffer_store_dword v3, off, s[0:3], 0 offset:120
	buffer_store_dword v3, off, s[0:3], 0 offset:124
	s_waitcnt vmcnt(0)
	ds_write_b64 v95, v[1:2]
.LBB42_241:
	s_or_b32 exec_lo, exec_lo, s4
	s_waitcnt lgkmcnt(0)
	s_waitcnt_vscnt null, 0x0
	s_barrier
	buffer_gl0_inv
	s_clause 0x37
	buffer_load_dword v8, off, s[0:3], 0 offset:132
	buffer_load_dword v144, off, s[0:3], 0 offset:140
	;; [unrolled: 1-line block ×56, first 2 shown]
	v_mov_b32_e32 v1, 0
	ds_read_b128 v[2:5], v1 offset:480
	ds_read_b128 v[96:99], v1 offset:496
	;; [unrolled: 1-line block ×13, first 2 shown]
	ds_read_b64 v[6:7], v1 offset:688
	s_mov_b32 s4, exec_lo
	s_waitcnt vmcnt(55) lgkmcnt(13)
	v_mul_f32_e32 v199, v2, v8
	v_mul_f32_e32 v8, v3, v8
	s_waitcnt vmcnt(54)
	v_mul_f32_e32 v200, v4, v144
	v_mul_f32_e32 v144, v5, v144
	s_waitcnt vmcnt(53) lgkmcnt(12)
	v_mul_f32_e32 v201, v96, v145
	s_waitcnt vmcnt(52)
	v_mul_f32_e32 v202, v98, v146
	s_waitcnt vmcnt(51) lgkmcnt(11)
	v_mul_f32_e32 v203, v100, v147
	s_waitcnt vmcnt(50)
	;; [unrolled: 4-line block ×12, first 2 shown]
	v_fma_f32 v2, v2, v170, -v8
	v_fmac_f32_e32 v199, v3, v170
	v_mul_f32_e32 v3, v97, v145
	s_waitcnt vmcnt(27)
	v_fma_f32 v4, v4, v171, -v144
	v_fmac_f32_e32 v200, v5, v171
	v_add_f32_e32 v2, 0, v2
	v_add_f32_e32 v5, 0, v199
	v_mul_f32_e32 v8, v99, v146
	s_waitcnt vmcnt(26)
	v_fma_f32 v3, v96, v172, -v3
	v_fmac_f32_e32 v201, v97, v172
	v_add_f32_e32 v2, v2, v4
	v_add_f32_e32 v4, v5, v200
	;; [unrolled: 6-line block ×23, first 2 shown]
	v_mul_f32_e32 v5, v143, v168
	s_waitcnt vmcnt(4)
	v_fma_f32 v8, v140, v194, -v8
	v_mul_f32_e32 v224, v142, v168
	v_add_f32_e32 v2, v2, v4
	v_fmac_f32_e32 v223, v141, v194
	v_add_f32_e32 v3, v3, v222
	s_waitcnt lgkmcnt(0)
	v_mul_f32_e32 v4, v7, v169
	s_waitcnt vmcnt(3)
	v_fma_f32 v5, v142, v195, -v5
	v_add_f32_e32 v2, v2, v8
	v_mul_f32_e32 v225, v6, v169
	v_fmac_f32_e32 v224, v143, v195
	v_add_f32_e32 v3, v3, v223
	s_waitcnt vmcnt(2)
	v_fma_f32 v4, v6, v196, -v4
	v_add_f32_e32 v2, v2, v5
	v_fmac_f32_e32 v225, v7, v196
	v_add_f32_e32 v3, v3, v224
	v_add_f32_e32 v2, v2, v4
	;; [unrolled: 1-line block ×3, first 2 shown]
	s_waitcnt vmcnt(1)
	v_sub_f32_e32 v2, v197, v2
	s_waitcnt vmcnt(0)
	v_sub_f32_e32 v3, v198, v3
	buffer_store_dword v2, off, s[0:3], 0 offset:120
	buffer_store_dword v3, off, s[0:3], 0 offset:124
	v_cmpx_lt_u32_e32 14, v0
	s_cbranch_execz .LBB42_243
; %bb.242:
	s_clause 0x1
	buffer_load_dword v2, off, s[0:3], 0 offset:112
	buffer_load_dword v3, off, s[0:3], 0 offset:116
	buffer_store_dword v1, off, s[0:3], 0 offset:112
	buffer_store_dword v1, off, s[0:3], 0 offset:116
	s_waitcnt vmcnt(0)
	ds_write_b64 v95, v[2:3]
.LBB42_243:
	s_or_b32 exec_lo, exec_lo, s4
	s_waitcnt lgkmcnt(0)
	s_waitcnt_vscnt null, 0x0
	s_barrier
	buffer_gl0_inv
	s_clause 0x39
	buffer_load_dword v6, off, s[0:3], 0 offset:124
	buffer_load_dword v7, off, s[0:3], 0 offset:132
	;; [unrolled: 1-line block ×58, first 2 shown]
	ds_read2_b64 v[2:5], v1 offset0:59 offset1:60
	ds_read2_b64 v[96:99], v1 offset0:61 offset1:62
	;; [unrolled: 1-line block ×14, first 2 shown]
	s_mov_b32 s4, exec_lo
	s_waitcnt vmcnt(57) lgkmcnt(13)
	v_mul_f32_e32 v1, v2, v6
	v_mul_f32_e32 v6, v3, v6
	s_waitcnt vmcnt(56)
	v_mul_f32_e32 v203, v4, v7
	v_mul_f32_e32 v7, v5, v7
	s_waitcnt vmcnt(55) lgkmcnt(12)
	v_mul_f32_e32 v204, v96, v8
	s_waitcnt vmcnt(54)
	v_mul_f32_e32 v205, v98, v148
	s_waitcnt vmcnt(53) lgkmcnt(11)
	v_mul_f32_e32 v206, v100, v149
	s_waitcnt vmcnt(52)
	;; [unrolled: 4-line block ×12, first 2 shown]
	v_mul_f32_e32 v227, v142, v170
	s_waitcnt vmcnt(29)
	v_fma_f32 v2, v2, v173, -v6
	v_fmac_f32_e32 v1, v3, v173
	v_mul_f32_e32 v3, v97, v8
	s_waitcnt vmcnt(28)
	v_fma_f32 v4, v4, v174, -v7
	v_fmac_f32_e32 v203, v5, v174
	v_add_f32_e32 v2, 0, v2
	v_add_f32_e32 v1, 0, v1
	v_mul_f32_e32 v5, v99, v148
	s_waitcnt vmcnt(27)
	v_fma_f32 v3, v96, v175, -v3
	v_fmac_f32_e32 v204, v97, v175
	v_add_f32_e32 v2, v2, v4
	v_add_f32_e32 v1, v1, v203
	;; [unrolled: 6-line block ×24, first 2 shown]
	s_waitcnt lgkmcnt(0)
	v_mul_f32_e32 v3, v145, v171
	s_waitcnt vmcnt(4)
	v_fma_f32 v4, v142, v198, -v4
	v_mul_f32_e32 v228, v144, v171
	v_add_f32_e32 v2, v2, v5
	v_fmac_f32_e32 v227, v143, v198
	v_add_f32_e32 v1, v1, v226
	v_mul_f32_e32 v5, v147, v172
	s_waitcnt vmcnt(3)
	v_fma_f32 v3, v144, v199, -v3
	v_add_f32_e32 v2, v2, v4
	v_mul_f32_e32 v229, v146, v172
	v_fmac_f32_e32 v228, v145, v199
	v_add_f32_e32 v1, v1, v227
	s_waitcnt vmcnt(2)
	v_fma_f32 v4, v146, v200, -v5
	v_add_f32_e32 v2, v2, v3
	v_fmac_f32_e32 v229, v147, v200
	v_add_f32_e32 v1, v1, v228
	v_add_f32_e32 v2, v2, v4
	v_add_f32_e32 v1, v1, v229
	s_waitcnt vmcnt(1)
	v_sub_f32_e32 v2, v201, v2
	s_waitcnt vmcnt(0)
	v_sub_f32_e32 v1, v202, v1
	buffer_store_dword v2, off, s[0:3], 0 offset:112
	buffer_store_dword v1, off, s[0:3], 0 offset:116
	v_cmpx_lt_u32_e32 13, v0
	s_cbranch_execz .LBB42_245
; %bb.244:
	s_clause 0x1
	buffer_load_dword v1, off, s[0:3], 0 offset:104
	buffer_load_dword v2, off, s[0:3], 0 offset:108
	v_mov_b32_e32 v3, 0
	buffer_store_dword v3, off, s[0:3], 0 offset:104
	buffer_store_dword v3, off, s[0:3], 0 offset:108
	s_waitcnt vmcnt(0)
	ds_write_b64 v95, v[1:2]
.LBB42_245:
	s_or_b32 exec_lo, exec_lo, s4
	s_waitcnt lgkmcnt(0)
	s_waitcnt_vscnt null, 0x0
	s_barrier
	buffer_gl0_inv
	s_clause 0x3b
	buffer_load_dword v8, off, s[0:3], 0 offset:116
	buffer_load_dword v148, off, s[0:3], 0 offset:124
	;; [unrolled: 1-line block ×60, first 2 shown]
	v_mov_b32_e32 v1, 0
	ds_read_b128 v[2:5], v1 offset:464
	ds_read_b128 v[96:99], v1 offset:480
	;; [unrolled: 1-line block ×14, first 2 shown]
	ds_read_b64 v[6:7], v1 offset:688
	s_mov_b32 s4, exec_lo
	s_waitcnt vmcnt(59) lgkmcnt(14)
	v_mul_f32_e32 v207, v2, v8
	v_mul_f32_e32 v8, v3, v8
	s_waitcnt vmcnt(58)
	v_mul_f32_e32 v208, v4, v148
	v_mul_f32_e32 v148, v5, v148
	s_waitcnt vmcnt(57) lgkmcnt(13)
	v_mul_f32_e32 v209, v96, v149
	s_waitcnt vmcnt(56)
	v_mul_f32_e32 v210, v98, v150
	s_waitcnt vmcnt(55) lgkmcnt(12)
	v_mul_f32_e32 v211, v100, v151
	s_waitcnt vmcnt(54)
	;; [unrolled: 4-line block ×13, first 2 shown]
	v_fma_f32 v2, v2, v176, -v8
	v_fmac_f32_e32 v207, v3, v176
	v_mul_f32_e32 v3, v97, v149
	s_waitcnt vmcnt(29)
	v_fma_f32 v4, v4, v177, -v148
	v_fmac_f32_e32 v208, v5, v177
	v_add_f32_e32 v2, 0, v2
	v_add_f32_e32 v5, 0, v207
	v_mul_f32_e32 v8, v99, v150
	s_waitcnt vmcnt(28)
	v_fma_f32 v3, v96, v178, -v3
	v_fmac_f32_e32 v209, v97, v178
	v_add_f32_e32 v2, v2, v4
	v_add_f32_e32 v4, v5, v208
	;; [unrolled: 6-line block ×25, first 2 shown]
	v_mul_f32_e32 v8, v147, v174
	s_waitcnt vmcnt(4)
	v_fma_f32 v4, v144, v202, -v4
	v_mul_f32_e32 v234, v146, v174
	v_add_f32_e32 v2, v2, v5
	v_fmac_f32_e32 v233, v145, v202
	v_add_f32_e32 v3, v3, v232
	s_waitcnt lgkmcnt(0)
	v_mul_f32_e32 v5, v7, v175
	s_waitcnt vmcnt(3)
	v_fma_f32 v8, v146, v203, -v8
	v_add_f32_e32 v2, v2, v4
	v_mul_f32_e32 v235, v6, v175
	v_fmac_f32_e32 v234, v147, v203
	v_add_f32_e32 v3, v3, v233
	s_waitcnt vmcnt(2)
	v_fma_f32 v4, v6, v204, -v5
	v_add_f32_e32 v2, v2, v8
	v_fmac_f32_e32 v235, v7, v204
	v_add_f32_e32 v3, v3, v234
	v_add_f32_e32 v2, v2, v4
	;; [unrolled: 1-line block ×3, first 2 shown]
	s_waitcnt vmcnt(1)
	v_sub_f32_e32 v2, v205, v2
	s_waitcnt vmcnt(0)
	v_sub_f32_e32 v3, v206, v3
	buffer_store_dword v2, off, s[0:3], 0 offset:104
	buffer_store_dword v3, off, s[0:3], 0 offset:108
	v_cmpx_lt_u32_e32 12, v0
	s_cbranch_execz .LBB42_247
; %bb.246:
	s_clause 0x1
	buffer_load_dword v2, off, s[0:3], 0 offset:96
	buffer_load_dword v3, off, s[0:3], 0 offset:100
	buffer_store_dword v1, off, s[0:3], 0 offset:96
	buffer_store_dword v1, off, s[0:3], 0 offset:100
	s_waitcnt vmcnt(0)
	ds_write_b64 v95, v[2:3]
.LBB42_247:
	s_or_b32 exec_lo, exec_lo, s4
	s_waitcnt lgkmcnt(0)
	s_waitcnt_vscnt null, 0x0
	s_barrier
	buffer_gl0_inv
	s_clause 0x3d
	buffer_load_dword v6, off, s[0:3], 0 offset:108
	buffer_load_dword v7, off, s[0:3], 0 offset:116
	;; [unrolled: 1-line block ×62, first 2 shown]
	ds_read2_b64 v[2:5], v1 offset0:57 offset1:58
	ds_read2_b64 v[96:99], v1 offset0:59 offset1:60
	;; [unrolled: 1-line block ×15, first 2 shown]
	s_mov_b32 s4, exec_lo
	s_waitcnt vmcnt(61) lgkmcnt(14)
	v_mul_f32_e32 v1, v2, v6
	v_mul_f32_e32 v6, v3, v6
	s_waitcnt vmcnt(60)
	v_mul_f32_e32 v211, v4, v7
	v_mul_f32_e32 v7, v5, v7
	s_waitcnt vmcnt(59) lgkmcnt(13)
	v_mul_f32_e32 v212, v96, v8
	s_waitcnt vmcnt(58)
	v_mul_f32_e32 v213, v98, v152
	s_waitcnt vmcnt(57) lgkmcnt(12)
	v_mul_f32_e32 v214, v100, v153
	s_waitcnt vmcnt(56)
	;; [unrolled: 4-line block ×13, first 2 shown]
	v_mul_f32_e32 v237, v146, v176
	s_waitcnt vmcnt(31)
	v_fma_f32 v2, v2, v179, -v6
	v_fmac_f32_e32 v1, v3, v179
	v_mul_f32_e32 v3, v97, v8
	s_waitcnt vmcnt(30)
	v_fma_f32 v4, v4, v180, -v7
	v_fmac_f32_e32 v211, v5, v180
	v_add_f32_e32 v2, 0, v2
	v_add_f32_e32 v1, 0, v1
	v_mul_f32_e32 v5, v99, v152
	s_waitcnt vmcnt(29)
	v_fma_f32 v3, v96, v181, -v3
	v_fmac_f32_e32 v212, v97, v181
	v_add_f32_e32 v2, v2, v4
	v_add_f32_e32 v1, v1, v211
	v_mul_f32_e32 v4, v101, v153
	s_waitcnt vmcnt(28)
	v_fma_f32 v5, v98, v182, -v5
	v_fmac_f32_e32 v213, v99, v182
	v_add_f32_e32 v2, v2, v3
	v_add_f32_e32 v1, v1, v212
	v_mul_f32_e32 v3, v103, v154
	s_waitcnt vmcnt(27)
	v_fma_f32 v4, v100, v183, -v4
	v_fmac_f32_e32 v214, v101, v183
	v_add_f32_e32 v2, v2, v5
	v_add_f32_e32 v1, v1, v213
	v_mul_f32_e32 v5, v105, v155
	s_waitcnt vmcnt(26)
	v_fma_f32 v3, v102, v184, -v3
	v_fmac_f32_e32 v215, v103, v184
	v_add_f32_e32 v2, v2, v4
	v_add_f32_e32 v1, v1, v214
	v_mul_f32_e32 v4, v107, v156
	s_waitcnt vmcnt(25)
	v_fma_f32 v5, v104, v185, -v5
	v_fmac_f32_e32 v216, v105, v185
	v_add_f32_e32 v2, v2, v3
	v_add_f32_e32 v1, v1, v215
	v_mul_f32_e32 v3, v109, v157
	s_waitcnt vmcnt(24)
	v_fma_f32 v4, v106, v186, -v4
	v_fmac_f32_e32 v217, v107, v186
	v_add_f32_e32 v2, v2, v5
	v_add_f32_e32 v1, v1, v216
	v_mul_f32_e32 v5, v111, v158
	s_waitcnt vmcnt(23)
	v_fma_f32 v3, v108, v187, -v3
	v_fmac_f32_e32 v218, v109, v187
	v_add_f32_e32 v2, v2, v4
	v_add_f32_e32 v1, v1, v217
	v_mul_f32_e32 v4, v113, v159
	s_waitcnt vmcnt(22)
	v_fma_f32 v5, v110, v188, -v5
	v_fmac_f32_e32 v219, v111, v188
	v_add_f32_e32 v2, v2, v3
	v_add_f32_e32 v1, v1, v218
	v_mul_f32_e32 v3, v115, v160
	s_waitcnt vmcnt(21)
	v_fma_f32 v4, v112, v189, -v4
	v_fmac_f32_e32 v220, v113, v189
	v_add_f32_e32 v2, v2, v5
	v_add_f32_e32 v1, v1, v219
	v_mul_f32_e32 v5, v117, v161
	s_waitcnt vmcnt(20)
	v_fma_f32 v3, v114, v190, -v3
	v_fmac_f32_e32 v221, v115, v190
	v_add_f32_e32 v2, v2, v4
	v_add_f32_e32 v1, v1, v220
	v_mul_f32_e32 v4, v119, v162
	s_waitcnt vmcnt(19)
	v_fma_f32 v5, v116, v191, -v5
	v_fmac_f32_e32 v222, v117, v191
	v_add_f32_e32 v2, v2, v3
	v_add_f32_e32 v1, v1, v221
	v_mul_f32_e32 v3, v121, v163
	s_waitcnt vmcnt(18)
	v_fma_f32 v4, v118, v192, -v4
	v_fmac_f32_e32 v223, v119, v192
	v_add_f32_e32 v2, v2, v5
	v_add_f32_e32 v1, v1, v222
	v_mul_f32_e32 v5, v123, v164
	s_waitcnt vmcnt(17)
	v_fma_f32 v3, v120, v193, -v3
	v_fmac_f32_e32 v224, v121, v193
	v_add_f32_e32 v2, v2, v4
	v_add_f32_e32 v1, v1, v223
	v_mul_f32_e32 v4, v125, v165
	s_waitcnt vmcnt(16)
	v_fma_f32 v5, v122, v194, -v5
	v_fmac_f32_e32 v225, v123, v194
	v_add_f32_e32 v2, v2, v3
	v_add_f32_e32 v1, v1, v224
	v_mul_f32_e32 v3, v127, v166
	s_waitcnt vmcnt(15)
	v_fma_f32 v4, v124, v195, -v4
	v_fmac_f32_e32 v226, v125, v195
	v_add_f32_e32 v2, v2, v5
	v_add_f32_e32 v1, v1, v225
	v_mul_f32_e32 v5, v129, v167
	s_waitcnt vmcnt(14)
	v_fma_f32 v3, v126, v196, -v3
	v_fmac_f32_e32 v227, v127, v196
	v_add_f32_e32 v2, v2, v4
	v_add_f32_e32 v1, v1, v226
	v_mul_f32_e32 v4, v131, v168
	s_waitcnt vmcnt(13)
	v_fma_f32 v5, v128, v197, -v5
	v_fmac_f32_e32 v228, v129, v197
	v_add_f32_e32 v2, v2, v3
	v_add_f32_e32 v1, v1, v227
	v_mul_f32_e32 v3, v133, v169
	s_waitcnt vmcnt(12)
	v_fma_f32 v4, v130, v198, -v4
	v_fmac_f32_e32 v229, v131, v198
	v_add_f32_e32 v2, v2, v5
	v_add_f32_e32 v1, v1, v228
	v_mul_f32_e32 v5, v135, v170
	s_waitcnt vmcnt(11)
	v_fma_f32 v3, v132, v199, -v3
	v_fmac_f32_e32 v230, v133, v199
	v_add_f32_e32 v2, v2, v4
	v_add_f32_e32 v1, v1, v229
	v_mul_f32_e32 v4, v137, v171
	s_waitcnt vmcnt(10)
	v_fma_f32 v5, v134, v200, -v5
	v_fmac_f32_e32 v231, v135, v200
	v_add_f32_e32 v2, v2, v3
	v_add_f32_e32 v1, v1, v230
	v_mul_f32_e32 v3, v139, v172
	s_waitcnt vmcnt(9)
	v_fma_f32 v4, v136, v201, -v4
	v_fmac_f32_e32 v232, v137, v201
	v_add_f32_e32 v2, v2, v5
	v_add_f32_e32 v1, v1, v231
	v_mul_f32_e32 v5, v141, v173
	s_waitcnt vmcnt(8)
	v_fma_f32 v3, v138, v202, -v3
	v_fmac_f32_e32 v233, v139, v202
	v_add_f32_e32 v2, v2, v4
	v_add_f32_e32 v1, v1, v232
	v_mul_f32_e32 v4, v143, v174
	s_waitcnt vmcnt(7)
	v_fma_f32 v5, v140, v203, -v5
	v_fmac_f32_e32 v234, v141, v203
	v_add_f32_e32 v2, v2, v3
	v_add_f32_e32 v1, v1, v233
	v_mul_f32_e32 v3, v145, v175
	s_waitcnt vmcnt(6)
	v_fma_f32 v4, v142, v204, -v4
	v_fmac_f32_e32 v235, v143, v204
	v_add_f32_e32 v2, v2, v5
	v_add_f32_e32 v1, v1, v234
	v_mul_f32_e32 v5, v147, v176
	s_waitcnt vmcnt(5)
	v_fma_f32 v3, v144, v205, -v3
	v_fmac_f32_e32 v236, v145, v205
	v_add_f32_e32 v2, v2, v4
	v_add_f32_e32 v1, v1, v235
	s_waitcnt lgkmcnt(0)
	v_mul_f32_e32 v4, v149, v177
	s_waitcnt vmcnt(4)
	v_fma_f32 v5, v146, v206, -v5
	v_mul_f32_e32 v238, v148, v177
	v_add_f32_e32 v2, v2, v3
	v_fmac_f32_e32 v237, v147, v206
	v_add_f32_e32 v1, v1, v236
	v_mul_f32_e32 v3, v151, v178
	s_waitcnt vmcnt(3)
	v_fma_f32 v4, v148, v207, -v4
	v_add_f32_e32 v2, v2, v5
	v_mul_f32_e32 v239, v150, v178
	v_fmac_f32_e32 v238, v149, v207
	v_add_f32_e32 v1, v1, v237
	s_waitcnt vmcnt(2)
	v_fma_f32 v3, v150, v208, -v3
	v_add_f32_e32 v2, v2, v4
	v_fmac_f32_e32 v239, v151, v208
	v_add_f32_e32 v1, v1, v238
	v_add_f32_e32 v2, v2, v3
	;; [unrolled: 1-line block ×3, first 2 shown]
	s_waitcnt vmcnt(1)
	v_sub_f32_e32 v2, v209, v2
	s_waitcnt vmcnt(0)
	v_sub_f32_e32 v1, v210, v1
	buffer_store_dword v2, off, s[0:3], 0 offset:96
	buffer_store_dword v1, off, s[0:3], 0 offset:100
	v_cmpx_lt_u32_e32 11, v0
	s_cbranch_execz .LBB42_249
; %bb.248:
	s_clause 0x1
	buffer_load_dword v1, off, s[0:3], 0 offset:88
	buffer_load_dword v2, off, s[0:3], 0 offset:92
	v_mov_b32_e32 v3, 0
	buffer_store_dword v3, off, s[0:3], 0 offset:88
	buffer_store_dword v3, off, s[0:3], 0 offset:92
	s_waitcnt vmcnt(0)
	ds_write_b64 v95, v[1:2]
.LBB42_249:
	s_or_b32 exec_lo, exec_lo, s4
	s_waitcnt lgkmcnt(0)
	s_waitcnt_vscnt null, 0x0
	s_barrier
	buffer_gl0_inv
	s_clause 0x3e
	buffer_load_dword v8, off, s[0:3], 0 offset:100
	buffer_load_dword v152, off, s[0:3], 0 offset:108
	;; [unrolled: 1-line block ×64, first 2 shown]
	v_mov_b32_e32 v1, 0
	ds_read_b128 v[2:5], v1 offset:448
	ds_read_b128 v[96:99], v1 offset:464
	;; [unrolled: 1-line block ×15, first 2 shown]
	ds_read_b64 v[6:7], v1 offset:688
	s_mov_b32 s4, exec_lo
	s_waitcnt vmcnt(62) lgkmcnt(15)
	v_mul_f32_e32 v215, v2, v8
	v_mul_f32_e32 v8, v3, v8
	;; [unrolled: 1-line block ×4, first 2 shown]
	s_waitcnt vmcnt(61) lgkmcnt(14)
	v_mul_f32_e32 v217, v96, v153
	s_waitcnt vmcnt(60)
	v_mul_f32_e32 v218, v98, v154
	s_waitcnt vmcnt(59) lgkmcnt(13)
	v_mul_f32_e32 v219, v100, v155
	s_waitcnt vmcnt(58)
	v_mul_f32_e32 v220, v102, v156
	;; [unrolled: 4-line block ×13, first 2 shown]
	s_waitcnt vmcnt(35) lgkmcnt(1)
	v_mul_f32_e32 v243, v148, v179
	s_waitcnt vmcnt(32)
	v_fma_f32 v2, v2, v182, -v8
	v_fmac_f32_e32 v215, v3, v182
	v_mul_f32_e32 v3, v97, v153
	s_waitcnt vmcnt(31)
	v_fma_f32 v4, v4, v183, -v152
	v_fmac_f32_e32 v216, v5, v183
	v_add_f32_e32 v2, 0, v2
	v_add_f32_e32 v5, 0, v215
	v_mul_f32_e32 v8, v99, v154
	s_waitcnt vmcnt(30)
	v_fma_f32 v3, v96, v184, -v3
	v_fmac_f32_e32 v217, v97, v184
	v_add_f32_e32 v2, v2, v4
	v_add_f32_e32 v4, v5, v216
	;; [unrolled: 6-line block ×27, first 2 shown]
	v_mul_f32_e32 v4, v151, v180
	s_waitcnt vmcnt(4)
	v_fma_f32 v5, v148, v210, -v5
	v_mul_f32_e32 v244, v150, v180
	v_add_f32_e32 v2, v2, v8
	v_fmac_f32_e32 v243, v149, v210
	v_add_f32_e32 v3, v3, v242
	s_waitcnt lgkmcnt(0)
	v_mul_f32_e32 v8, v7, v181
	s_waitcnt vmcnt(3)
	v_fma_f32 v4, v150, v211, -v4
	v_add_f32_e32 v2, v2, v5
	v_mul_f32_e32 v245, v6, v181
	v_fmac_f32_e32 v244, v151, v211
	v_add_f32_e32 v3, v3, v243
	s_waitcnt vmcnt(2)
	v_fma_f32 v5, v6, v212, -v8
	v_add_f32_e32 v2, v2, v4
	v_fmac_f32_e32 v245, v7, v212
	v_add_f32_e32 v3, v3, v244
	v_add_f32_e32 v2, v2, v5
	;; [unrolled: 1-line block ×3, first 2 shown]
	s_waitcnt vmcnt(1)
	v_sub_f32_e32 v2, v213, v2
	s_waitcnt vmcnt(0)
	v_sub_f32_e32 v3, v214, v3
	buffer_store_dword v2, off, s[0:3], 0 offset:88
	buffer_store_dword v3, off, s[0:3], 0 offset:92
	v_cmpx_lt_u32_e32 10, v0
	s_cbranch_execz .LBB42_251
; %bb.250:
	s_clause 0x1
	buffer_load_dword v2, off, s[0:3], 0 offset:80
	buffer_load_dword v3, off, s[0:3], 0 offset:84
	buffer_store_dword v1, off, s[0:3], 0 offset:80
	buffer_store_dword v1, off, s[0:3], 0 offset:84
	s_waitcnt vmcnt(0)
	ds_write_b64 v95, v[2:3]
.LBB42_251:
	s_or_b32 exec_lo, exec_lo, s4
	s_waitcnt lgkmcnt(0)
	s_waitcnt_vscnt null, 0x0
	s_barrier
	buffer_gl0_inv
	s_clause 0x3e
	buffer_load_dword v6, off, s[0:3], 0 offset:92
	buffer_load_dword v7, off, s[0:3], 0 offset:100
	buffer_load_dword v8, off, s[0:3], 0 offset:108
	buffer_load_dword v156, off, s[0:3], 0 offset:116
	buffer_load_dword v157, off, s[0:3], 0 offset:124
	buffer_load_dword v158, off, s[0:3], 0 offset:132
	buffer_load_dword v159, off, s[0:3], 0 offset:140
	buffer_load_dword v160, off, s[0:3], 0 offset:148
	buffer_load_dword v161, off, s[0:3], 0 offset:156
	buffer_load_dword v162, off, s[0:3], 0 offset:164
	buffer_load_dword v163, off, s[0:3], 0 offset:172
	buffer_load_dword v164, off, s[0:3], 0 offset:180
	buffer_load_dword v165, off, s[0:3], 0 offset:188
	buffer_load_dword v166, off, s[0:3], 0 offset:196
	buffer_load_dword v167, off, s[0:3], 0 offset:204
	buffer_load_dword v168, off, s[0:3], 0 offset:212
	buffer_load_dword v169, off, s[0:3], 0 offset:220
	buffer_load_dword v170, off, s[0:3], 0 offset:228
	buffer_load_dword v171, off, s[0:3], 0 offset:236
	buffer_load_dword v172, off, s[0:3], 0 offset:244
	buffer_load_dword v173, off, s[0:3], 0 offset:252
	buffer_load_dword v174, off, s[0:3], 0 offset:260
	buffer_load_dword v175, off, s[0:3], 0 offset:268
	buffer_load_dword v176, off, s[0:3], 0 offset:276
	buffer_load_dword v177, off, s[0:3], 0 offset:284
	buffer_load_dword v178, off, s[0:3], 0 offset:292
	buffer_load_dword v179, off, s[0:3], 0 offset:300
	buffer_load_dword v180, off, s[0:3], 0 offset:308
	buffer_load_dword v181, off, s[0:3], 0 offset:316
	buffer_load_dword v182, off, s[0:3], 0 offset:324
	buffer_load_dword v183, off, s[0:3], 0 offset:332
	buffer_load_dword v184, off, s[0:3], 0 offset:340
	buffer_load_dword v185, off, s[0:3], 0 offset:88
	buffer_load_dword v186, off, s[0:3], 0 offset:96
	buffer_load_dword v187, off, s[0:3], 0 offset:104
	buffer_load_dword v188, off, s[0:3], 0 offset:112
	buffer_load_dword v189, off, s[0:3], 0 offset:120
	buffer_load_dword v190, off, s[0:3], 0 offset:128
	buffer_load_dword v191, off, s[0:3], 0 offset:136
	buffer_load_dword v192, off, s[0:3], 0 offset:144
	buffer_load_dword v193, off, s[0:3], 0 offset:152
	buffer_load_dword v194, off, s[0:3], 0 offset:160
	buffer_load_dword v195, off, s[0:3], 0 offset:168
	buffer_load_dword v196, off, s[0:3], 0 offset:176
	buffer_load_dword v197, off, s[0:3], 0 offset:184
	buffer_load_dword v198, off, s[0:3], 0 offset:192
	buffer_load_dword v199, off, s[0:3], 0 offset:200
	buffer_load_dword v200, off, s[0:3], 0 offset:208
	buffer_load_dword v201, off, s[0:3], 0 offset:216
	buffer_load_dword v202, off, s[0:3], 0 offset:224
	buffer_load_dword v203, off, s[0:3], 0 offset:232
	buffer_load_dword v204, off, s[0:3], 0 offset:240
	buffer_load_dword v205, off, s[0:3], 0 offset:248
	buffer_load_dword v206, off, s[0:3], 0 offset:256
	buffer_load_dword v207, off, s[0:3], 0 offset:264
	buffer_load_dword v208, off, s[0:3], 0 offset:272
	buffer_load_dword v209, off, s[0:3], 0 offset:280
	buffer_load_dword v210, off, s[0:3], 0 offset:288
	buffer_load_dword v211, off, s[0:3], 0 offset:296
	buffer_load_dword v212, off, s[0:3], 0 offset:304
	buffer_load_dword v213, off, s[0:3], 0 offset:312
	buffer_load_dword v214, off, s[0:3], 0 offset:320
	buffer_load_dword v215, off, s[0:3], 0 offset:328
	s_clause 0x2
	buffer_load_dword v216, off, s[0:3], 0 offset:336
	buffer_load_dword v217, off, s[0:3], 0 offset:80
	;; [unrolled: 1-line block ×3, first 2 shown]
	ds_read2_b64 v[2:5], v1 offset0:55 offset1:56
	ds_read2_b64 v[96:99], v1 offset0:57 offset1:58
	;; [unrolled: 1-line block ×16, first 2 shown]
	s_mov_b32 s4, exec_lo
	s_waitcnt vmcnt(62) lgkmcnt(15)
	v_mul_f32_e32 v1, v2, v6
	v_mul_f32_e32 v6, v3, v6
	;; [unrolled: 1-line block ×4, first 2 shown]
	s_waitcnt lgkmcnt(14)
	v_mul_f32_e32 v220, v96, v8
	v_mul_f32_e32 v221, v98, v156
	s_waitcnt vmcnt(61) lgkmcnt(13)
	v_mul_f32_e32 v222, v100, v157
	s_waitcnt vmcnt(60)
	v_mul_f32_e32 v223, v102, v158
	s_waitcnt vmcnt(59) lgkmcnt(12)
	v_mul_f32_e32 v224, v104, v159
	s_waitcnt vmcnt(58)
	v_mul_f32_e32 v225, v106, v160
	s_waitcnt vmcnt(57) lgkmcnt(11)
	v_mul_f32_e32 v226, v108, v161
	s_waitcnt vmcnt(56)
	v_mul_f32_e32 v227, v110, v162
	s_waitcnt vmcnt(55) lgkmcnt(10)
	v_mul_f32_e32 v228, v112, v163
	s_waitcnt vmcnt(54)
	v_mul_f32_e32 v229, v114, v164
	s_waitcnt vmcnt(53) lgkmcnt(9)
	v_mul_f32_e32 v230, v116, v165
	s_waitcnt vmcnt(52)
	v_mul_f32_e32 v231, v118, v166
	s_waitcnt vmcnt(51) lgkmcnt(8)
	v_mul_f32_e32 v232, v120, v167
	s_waitcnt vmcnt(50)
	v_mul_f32_e32 v233, v122, v168
	s_waitcnt vmcnt(49) lgkmcnt(7)
	v_mul_f32_e32 v234, v124, v169
	s_waitcnt vmcnt(48)
	v_mul_f32_e32 v235, v126, v170
	s_waitcnt vmcnt(47) lgkmcnt(6)
	v_mul_f32_e32 v236, v128, v171
	s_waitcnt vmcnt(46)
	v_mul_f32_e32 v237, v130, v172
	s_waitcnt vmcnt(45) lgkmcnt(5)
	v_mul_f32_e32 v238, v132, v173
	s_waitcnt vmcnt(44)
	v_mul_f32_e32 v239, v134, v174
	s_waitcnt vmcnt(43) lgkmcnt(4)
	v_mul_f32_e32 v240, v136, v175
	s_waitcnt vmcnt(42)
	v_mul_f32_e32 v241, v138, v176
	s_waitcnt vmcnt(41) lgkmcnt(3)
	v_mul_f32_e32 v242, v140, v177
	s_waitcnt vmcnt(40)
	v_mul_f32_e32 v243, v142, v178
	s_waitcnt vmcnt(39) lgkmcnt(2)
	v_mul_f32_e32 v244, v144, v179
	s_waitcnt vmcnt(38)
	v_mul_f32_e32 v245, v146, v180
	s_waitcnt vmcnt(37) lgkmcnt(1)
	v_mul_f32_e32 v246, v148, v181
	s_waitcnt vmcnt(36)
	v_mul_f32_e32 v247, v150, v182
	s_waitcnt vmcnt(33)
	v_fma_f32 v2, v2, v185, -v6
	v_fmac_f32_e32 v1, v3, v185
	v_mul_f32_e32 v3, v97, v8
	s_waitcnt vmcnt(32)
	v_fma_f32 v4, v4, v186, -v7
	v_fmac_f32_e32 v219, v5, v186
	v_add_f32_e32 v2, 0, v2
	v_add_f32_e32 v1, 0, v1
	v_mul_f32_e32 v5, v99, v156
	s_waitcnt vmcnt(31)
	v_fma_f32 v3, v96, v187, -v3
	v_fmac_f32_e32 v220, v97, v187
	v_add_f32_e32 v2, v2, v4
	v_add_f32_e32 v1, v1, v219
	;; [unrolled: 6-line block ×28, first 2 shown]
	s_waitcnt lgkmcnt(0)
	v_mul_f32_e32 v5, v153, v183
	s_waitcnt vmcnt(4)
	v_fma_f32 v3, v150, v214, -v3
	v_mul_f32_e32 v248, v152, v183
	v_add_f32_e32 v2, v2, v4
	v_fmac_f32_e32 v247, v151, v214
	v_add_f32_e32 v1, v1, v246
	v_mul_f32_e32 v4, v155, v184
	s_waitcnt vmcnt(3)
	v_fma_f32 v5, v152, v215, -v5
	v_add_f32_e32 v2, v2, v3
	v_mul_f32_e32 v249, v154, v184
	v_fmac_f32_e32 v248, v153, v215
	v_add_f32_e32 v1, v1, v247
	s_waitcnt vmcnt(2)
	v_fma_f32 v3, v154, v216, -v4
	v_add_f32_e32 v2, v2, v5
	v_fmac_f32_e32 v249, v155, v216
	v_add_f32_e32 v1, v1, v248
	v_add_f32_e32 v2, v2, v3
	;; [unrolled: 1-line block ×3, first 2 shown]
	s_waitcnt vmcnt(1)
	v_sub_f32_e32 v2, v217, v2
	s_waitcnt vmcnt(0)
	v_sub_f32_e32 v1, v218, v1
	buffer_store_dword v2, off, s[0:3], 0 offset:80
	buffer_store_dword v1, off, s[0:3], 0 offset:84
	v_cmpx_lt_u32_e32 9, v0
	s_cbranch_execz .LBB42_253
; %bb.252:
	s_clause 0x1
	buffer_load_dword v1, off, s[0:3], 0 offset:72
	buffer_load_dword v2, off, s[0:3], 0 offset:76
	v_mov_b32_e32 v3, 0
	buffer_store_dword v3, off, s[0:3], 0 offset:72
	buffer_store_dword v3, off, s[0:3], 0 offset:76
	s_waitcnt vmcnt(0)
	ds_write_b64 v95, v[1:2]
.LBB42_253:
	s_or_b32 exec_lo, exec_lo, s4
	s_waitcnt lgkmcnt(0)
	s_waitcnt_vscnt null, 0x0
	s_barrier
	buffer_gl0_inv
	s_clause 0x23
	buffer_load_dword v97, off, s[0:3], 0 offset:84
	buffer_load_dword v99, off, s[0:3], 0 offset:92
	;; [unrolled: 1-line block ×36, first 2 shown]
	v_mov_b32_e32 v96, 0
	ds_read_b128 v[5:8], v96 offset:432
	ds_read_b128 v[1:4], v96 offset:448
	buffer_load_dword v141, off, s[0:3], 0 offset:76
	ds_read_b128 v[133:136], v96 offset:464
	ds_read_b128 v[137:140], v96 offset:480
	s_mov_b32 s4, exec_lo
	s_waitcnt vmcnt(36) lgkmcnt(3)
	v_mul_f32_e32 v142, v5, v97
	s_waitcnt vmcnt(35)
	v_mul_f32_e32 v143, v7, v99
	v_mul_f32_e32 v97, v6, v97
	;; [unrolled: 1-line block ×3, first 2 shown]
	s_waitcnt vmcnt(34) lgkmcnt(2)
	v_mul_f32_e32 v144, v1, v100
	v_mul_f32_e32 v100, v2, v100
	s_waitcnt vmcnt(30)
	v_mul_f32_e32 v145, v3, v101
	v_mul_f32_e32 v101, v4, v101
	v_fmac_f32_e32 v142, v6, v103
	v_fmac_f32_e32 v143, v8, v102
	v_fma_f32 v103, v5, v103, -v97
	v_fma_f32 v102, v7, v102, -v99
	ds_read_b128 v[5:8], v96 offset:496
	v_fmac_f32_e32 v144, v2, v98
	v_fma_f32 v146, v1, v98, -v100
	ds_read_b128 v[97:100], v96 offset:512
	s_waitcnt vmcnt(26)
	v_fmac_f32_e32 v145, v4, v112
	v_fma_f32 v101, v3, v112, -v101
	s_waitcnt vmcnt(25) lgkmcnt(3)
	v_mul_f32_e32 v112, v133, v110
	s_waitcnt vmcnt(24)
	v_mul_f32_e32 v147, v135, v111
	v_mul_f32_e32 v1, v134, v110
	;; [unrolled: 1-line block ×3, first 2 shown]
	s_clause 0x1
	buffer_load_dword v110, off, s[0:3], 0 offset:220
	buffer_load_dword v111, off, s[0:3], 0 offset:228
	v_fmac_f32_e32 v112, v134, v107
	v_fmac_f32_e32 v147, v136, v105
	v_fma_f32 v107, v133, v107, -v1
	v_fma_f32 v105, v135, v105, -v2
	ds_read_b128 v[1:4], v96 offset:528
	s_waitcnt vmcnt(25) lgkmcnt(3)
	v_mul_f32_e32 v133, v137, v108
	v_mul_f32_e32 v108, v138, v108
	s_waitcnt vmcnt(24)
	v_mul_f32_e32 v134, v139, v106
	v_mul_f32_e32 v106, v140, v106
	s_waitcnt vmcnt(23) lgkmcnt(2)
	v_mul_f32_e32 v135, v5, v109
	v_fmac_f32_e32 v133, v138, v104
	v_fma_f32 v104, v137, v104, -v108
	s_waitcnt vmcnt(22)
	v_mul_f32_e32 v108, v7, v113
	v_mul_f32_e32 v109, v6, v109
	v_mul_f32_e32 v113, v8, v113
	s_waitcnt vmcnt(18)
	v_fma_f32 v106, v139, v120, -v106
	v_fmac_f32_e32 v135, v6, v118
	v_fmac_f32_e32 v108, v8, v117
	v_fma_f32 v109, v5, v118, -v109
	v_fma_f32 v113, v7, v117, -v113
	s_clause 0x5
	buffer_load_dword v117, off, s[0:3], 0 offset:236
	buffer_load_dword v118, off, s[0:3], 0 offset:244
	buffer_load_dword v136, off, s[0:3], 0 offset:256
	buffer_load_dword v137, off, s[0:3], 0 offset:248
	buffer_load_dword v138, off, s[0:3], 0 offset:240
	buffer_load_dword v139, off, s[0:3], 0 offset:232
	v_fmac_f32_e32 v134, v140, v120
	s_waitcnt vmcnt(23) lgkmcnt(1)
	v_mul_f32_e32 v120, v97, v119
	v_mul_f32_e32 v119, v98, v119
	s_waitcnt vmcnt(22)
	v_mul_f32_e32 v140, v99, v115
	v_mul_f32_e32 v115, v100, v115
	ds_read_b128 v[5:8], v96 offset:544
	v_fmac_f32_e32 v120, v98, v114
	v_fma_f32 v97, v97, v114, -v119
	s_waitcnt vmcnt(18)
	v_fmac_f32_e32 v140, v100, v131
	v_fma_f32 v98, v99, v131, -v115
	s_waitcnt vmcnt(17) lgkmcnt(1)
	v_mul_f32_e32 v99, v1, v129
	v_mul_f32_e32 v100, v2, v129
	s_clause 0x1
	buffer_load_dword v119, off, s[0:3], 0 offset:252
	buffer_load_dword v129, off, s[0:3], 0 offset:260
	v_add_f32_e32 v103, 0, v103
	s_waitcnt vmcnt(18)
	v_mul_f32_e32 v114, v3, v130
	v_mul_f32_e32 v115, v4, v130
	v_fma_f32 v100, v1, v126, -v100
	v_add_f32_e32 v1, 0, v142
	v_add_f32_e32 v102, v103, v102
	v_fmac_f32_e32 v99, v2, v126
	v_fmac_f32_e32 v114, v4, v125
	v_fma_f32 v115, v3, v125, -v115
	v_add_f32_e32 v142, v1, v143
	s_clause 0x3
	buffer_load_dword v125, off, s[0:3], 0 offset:268
	buffer_load_dword v126, off, s[0:3], 0 offset:276
	;; [unrolled: 1-line block ×4, first 2 shown]
	ds_read_b128 v[1:4], v96 offset:560
	s_waitcnt vmcnt(21) lgkmcnt(1)
	v_mul_f32_e32 v143, v5, v124
	v_mul_f32_e32 v103, v6, v124
	v_add_f32_e32 v124, v142, v144
	s_waitcnt vmcnt(20)
	v_mul_f32_e32 v142, v7, v123
	v_mul_f32_e32 v123, v8, v123
	v_fmac_f32_e32 v143, v6, v121
	v_fma_f32 v121, v5, v121, -v103
	v_add_f32_e32 v5, v124, v145
	v_add_f32_e32 v102, v102, v146
	s_clause 0x3
	buffer_load_dword v124, off, s[0:3], 0 offset:300
	buffer_load_dword v144, off, s[0:3], 0 offset:308
	;; [unrolled: 1-line block ×4, first 2 shown]
	s_waitcnt vmcnt(20)
	v_fmac_f32_e32 v142, v8, v132
	v_fma_f32 v123, v7, v132, -v123
	v_add_f32_e32 v5, v5, v112
	s_clause 0x5
	buffer_load_dword v132, off, s[0:3], 0 offset:332
	buffer_load_dword v112, off, s[0:3], 0 offset:288
	;; [unrolled: 1-line block ×6, first 2 shown]
	v_add_f32_e32 v6, v102, v101
	v_add_f32_e32 v5, v5, v147
	s_waitcnt vmcnt(25) lgkmcnt(0)
	v_mul_f32_e32 v103, v2, v128
	v_add_f32_e32 v6, v6, v107
	v_add_f32_e32 v102, v5, v133
	v_mul_f32_e32 v133, v1, v128
	v_add_f32_e32 v101, v6, v105
	ds_read_b128 v[5:8], v96 offset:576
	v_add_f32_e32 v102, v102, v134
	v_fmac_f32_e32 v133, v2, v127
	v_fma_f32 v105, v1, v127, -v103
	v_add_f32_e32 v101, v101, v104
	v_add_f32_e32 v2, v102, v135
	s_clause 0x5
	buffer_load_dword v127, off, s[0:3], 0 offset:320
	buffer_load_dword v128, off, s[0:3], 0 offset:312
	;; [unrolled: 1-line block ×6, first 2 shown]
	v_add_f32_e32 v1, v101, v106
	v_add_f32_e32 v2, v2, v108
	;; [unrolled: 1-line block ×5, first 2 shown]
	buffer_load_dword v113, off, s[0:3], 0 offset:72
	v_add_f32_e32 v101, v101, v140
	v_add_f32_e32 v97, v1, v97
	v_add_f32_e32 v101, v101, v99
	v_add_f32_e32 v97, v97, v98
	v_add_f32_e32 v107, v101, v114
	v_add_f32_e32 v103, v97, v100
	ds_read_b128 v[97:100], v96 offset:608
	v_add_f32_e32 v107, v107, v143
	v_add_f32_e32 v106, v103, v115
	;; [unrolled: 1-line block ×4, first 2 shown]
	s_waitcnt vmcnt(30)
	v_mul_f32_e32 v120, v3, v110
	v_mul_f32_e32 v2, v4, v110
	s_waitcnt vmcnt(29) lgkmcnt(1)
	v_mul_f32_e32 v102, v6, v111
	v_fmac_f32_e32 v120, v4, v122
	v_fma_f32 v109, v3, v122, -v2
	ds_read_b128 v[1:4], v96 offset:592
	v_mul_f32_e32 v122, v5, v111
	v_fmac_f32_e32 v122, v6, v116
	v_fma_f32 v116, v5, v116, -v102
	s_waitcnt vmcnt(28)
	v_mul_f32_e32 v111, v7, v117
	v_mul_f32_e32 v104, v8, v117
	s_waitcnt vmcnt(23)
	v_fmac_f32_e32 v111, v8, v139
	v_fma_f32 v115, v7, v139, -v104
	ds_read_b128 v[5:8], v96 offset:624
	ds_read_b128 v[101:104], v96 offset:640
	s_waitcnt lgkmcnt(2)
	v_mul_f32_e32 v108, v2, v118
	v_mul_f32_e32 v114, v1, v118
	v_fma_f32 v118, v1, v138, -v108
	v_add_f32_e32 v1, v107, v142
	s_waitcnt vmcnt(22)
	v_mul_f32_e32 v117, v3, v119
	v_mul_f32_e32 v110, v4, v119
	v_add_f32_e32 v119, v106, v105
	v_fmac_f32_e32 v114, v2, v138
	v_add_f32_e32 v123, v1, v133
	v_fmac_f32_e32 v117, v4, v137
	v_fma_f32 v121, v3, v137, -v110
	v_add_f32_e32 v119, v119, v109
	s_waitcnt vmcnt(21)
	v_mul_f32_e32 v133, v97, v129
	v_add_f32_e32 v120, v123, v120
	s_waitcnt vmcnt(20)
	v_mul_f32_e32 v123, v99, v125
	v_mul_f32_e32 v125, v100, v125
	v_add_f32_e32 v116, v119, v116
	v_mul_f32_e32 v119, v98, v129
	v_add_f32_e32 v120, v120, v122
	v_fmac_f32_e32 v133, v98, v136
	ds_read_b128 v[105:108], v96 offset:656
	ds_read_b128 v[1:4], v96 offset:672
	v_add_f32_e32 v115, v116, v115
	v_add_f32_e32 v111, v120, v111
	v_fma_f32 v97, v97, v136, -v119
	s_waitcnt vmcnt(19) lgkmcnt(3)
	v_mul_f32_e32 v122, v5, v126
	s_waitcnt vmcnt(18)
	v_mul_f32_e32 v116, v7, v130
	v_add_f32_e32 v115, v115, v118
	v_add_f32_e32 v111, v111, v114
	s_waitcnt vmcnt(17) lgkmcnt(2)
	v_mul_f32_e32 v129, v101, v131
	s_waitcnt vmcnt(9)
	v_fmac_f32_e32 v122, v6, v149
	s_waitcnt vmcnt(8)
	v_fma_f32 v99, v99, v150, -v125
	v_add_f32_e32 v115, v115, v121
	v_add_f32_e32 v111, v111, v117
	v_mul_f32_e32 v121, v6, v126
	v_fmac_f32_e32 v123, v100, v150
	v_fmac_f32_e32 v116, v8, v148
	v_add_f32_e32 v97, v115, v97
	v_add_f32_e32 v100, v111, v133
	v_mul_f32_e32 v111, v8, v130
	v_fma_f32 v5, v5, v149, -v121
	v_mul_f32_e32 v8, v104, v124
	v_add_f32_e32 v6, v97, v99
	v_add_f32_e32 v97, v100, v123
	v_mul_f32_e32 v99, v102, v131
	v_fma_f32 v7, v7, v148, -v111
	v_mul_f32_e32 v120, v103, v124
	v_add_f32_e32 v5, v6, v5
	v_add_f32_e32 v6, v97, v122
	v_fma_f32 v97, v101, v112, -v99
	v_fmac_f32_e32 v129, v102, v112
	ds_read_b64 v[109:110], v96 offset:688
	v_add_f32_e32 v5, v5, v7
	v_add_f32_e32 v6, v6, v116
	s_waitcnt lgkmcnt(2)
	v_mul_f32_e32 v7, v106, v144
	s_waitcnt vmcnt(3)
	v_fma_f32 v8, v103, v135, -v8
	v_mul_f32_e32 v118, v105, v144
	v_add_f32_e32 v5, v5, v97
	v_fmac_f32_e32 v120, v104, v135
	v_add_f32_e32 v6, v6, v129
	v_mul_f32_e32 v97, v108, v145
	v_fma_f32 v7, v105, v134, -v7
	v_add_f32_e32 v5, v5, v8
	v_mul_f32_e32 v98, v107, v145
	v_fmac_f32_e32 v118, v106, v134
	v_add_f32_e32 v6, v6, v120
	s_waitcnt lgkmcnt(1)
	v_mul_f32_e32 v114, v1, v146
	v_mul_f32_e32 v8, v2, v146
	v_fma_f32 v97, v107, v128, -v97
	v_add_f32_e32 v5, v5, v7
	v_fmac_f32_e32 v98, v108, v128
	v_add_f32_e32 v6, v6, v118
	v_mul_f32_e32 v7, v4, v132
	v_fmac_f32_e32 v114, v2, v127
	v_fma_f32 v1, v1, v127, -v8
	v_add_f32_e32 v2, v5, v97
	v_mul_f32_e32 v119, v3, v132
	v_add_f32_e32 v5, v6, v98
	s_waitcnt lgkmcnt(0)
	v_mul_f32_e32 v6, v110, v151
	s_waitcnt vmcnt(1)
	v_fma_f32 v3, v3, v152, -v7
	v_add_f32_e32 v1, v2, v1
	v_mul_f32_e32 v117, v109, v151
	v_fmac_f32_e32 v119, v4, v152
	v_add_f32_e32 v2, v5, v114
	v_fma_f32 v4, v109, v147, -v6
	v_add_f32_e32 v1, v1, v3
	v_fmac_f32_e32 v117, v110, v147
	v_add_f32_e32 v2, v2, v119
	v_add_f32_e32 v1, v1, v4
	v_add_f32_e32 v2, v2, v117
	s_waitcnt vmcnt(0)
	v_sub_f32_e32 v1, v113, v1
	v_sub_f32_e32 v2, v141, v2
	buffer_store_dword v1, off, s[0:3], 0 offset:72
	buffer_store_dword v2, off, s[0:3], 0 offset:76
	v_cmpx_lt_u32_e32 8, v0
	s_cbranch_execz .LBB42_255
; %bb.254:
	s_clause 0x1
	buffer_load_dword v1, off, s[0:3], 0 offset:64
	buffer_load_dword v2, off, s[0:3], 0 offset:68
	buffer_store_dword v96, off, s[0:3], 0 offset:64
	buffer_store_dword v96, off, s[0:3], 0 offset:68
	s_waitcnt vmcnt(0)
	ds_write_b64 v95, v[1:2]
.LBB42_255:
	s_or_b32 exec_lo, exec_lo, s4
	s_waitcnt lgkmcnt(0)
	s_waitcnt_vscnt null, 0x0
	s_barrier
	buffer_gl0_inv
	s_clause 0x23
	buffer_load_dword v131, off, s[0:3], 0 offset:76
	buffer_load_dword v132, off, s[0:3], 0 offset:84
	;; [unrolled: 1-line block ×36, first 2 shown]
	ds_read2_b64 v[5:8], v96 offset0:53 offset1:54
	ds_read2_b64 v[1:4], v96 offset0:55 offset1:56
	;; [unrolled: 1-line block ×3, first 2 shown]
	s_clause 0x1
	buffer_load_dword v141, off, s[0:3], 0 offset:212
	buffer_load_dword v142, off, s[0:3], 0 offset:220
	ds_read2_b64 v[137:140], v96 offset0:59 offset1:60
	buffer_load_dword v145, off, s[0:3], 0 offset:68
	s_mov_b32 s4, exec_lo
	s_waitcnt vmcnt(38) lgkmcnt(3)
	v_mul_f32_e32 v143, v5, v131
	s_waitcnt vmcnt(37)
	v_mul_f32_e32 v144, v7, v132
	v_mul_f32_e32 v131, v6, v131
	;; [unrolled: 1-line block ×3, first 2 shown]
	s_waitcnt vmcnt(34)
	v_fmac_f32_e32 v143, v6, v103
	v_fmac_f32_e32 v144, v8, v102
	v_fma_f32 v103, v5, v103, -v131
	v_fma_f32 v102, v7, v102, -v132
	ds_read2_b64 v[5:8], v96 offset0:61 offset1:62
	s_waitcnt vmcnt(33) lgkmcnt(3)
	v_mul_f32_e32 v131, v1, v100
	v_mul_f32_e32 v100, v2, v100
	s_waitcnt vmcnt(32)
	v_mul_f32_e32 v132, v3, v99
	v_mul_f32_e32 v99, v4, v99
	s_waitcnt vmcnt(31) lgkmcnt(2)
	v_mul_f32_e32 v146, v133, v98
	v_fmac_f32_e32 v131, v2, v97
	v_fma_f32 v147, v1, v97, -v100
	s_waitcnt vmcnt(30)
	v_mul_f32_e32 v148, v135, v101
	v_mul_f32_e32 v97, v134, v98
	;; [unrolled: 1-line block ×3, first 2 shown]
	s_waitcnt vmcnt(26)
	v_fmac_f32_e32 v132, v4, v109
	v_fma_f32 v101, v3, v109, -v99
	ds_read2_b64 v[1:4], v96 offset0:63 offset1:64
	v_fmac_f32_e32 v146, v134, v108
	v_fma_f32 v108, v133, v108, -v97
	s_waitcnt vmcnt(25) lgkmcnt(2)
	v_mul_f32_e32 v109, v137, v105
	s_waitcnt vmcnt(24)
	v_mul_f32_e32 v133, v139, v106
	v_mul_f32_e32 v105, v138, v105
	;; [unrolled: 1-line block ×3, first 2 shown]
	v_fmac_f32_e32 v148, v136, v107
	v_fma_f32 v107, v135, v107, -v98
	ds_read2_b64 v[97:100], v96 offset0:65 offset1:66
	v_fmac_f32_e32 v109, v138, v104
	s_waitcnt vmcnt(19)
	v_fmac_f32_e32 v133, v140, v120
	v_fma_f32 v104, v137, v104, -v105
	v_fma_f32 v105, v139, v120, -v106
	s_clause 0x4
	buffer_load_dword v106, off, s[0:3], 0 offset:228
	buffer_load_dword v120, off, s[0:3], 0 offset:248
	;; [unrolled: 1-line block ×5, first 2 shown]
	s_waitcnt lgkmcnt(2)
	v_mul_f32_e32 v134, v5, v110
	v_mul_f32_e32 v110, v6, v110
	s_waitcnt vmcnt(23)
	v_mul_f32_e32 v138, v7, v116
	v_mul_f32_e32 v116, v8, v116
	v_fmac_f32_e32 v134, v6, v115
	v_fma_f32 v5, v5, v115, -v110
	s_waitcnt vmcnt(22) lgkmcnt(1)
	v_mul_f32_e32 v110, v1, v113
	v_fmac_f32_e32 v138, v8, v112
	v_fma_f32 v112, v7, v112, -v116
	s_waitcnt vmcnt(21)
	v_mul_f32_e32 v115, v3, v114
	v_mul_f32_e32 v6, v2, v113
	;; [unrolled: 1-line block ×3, first 2 shown]
	s_clause 0x2
	buffer_load_dword v113, off, s[0:3], 0 offset:236
	buffer_load_dword v114, off, s[0:3], 0 offset:244
	buffer_load_dword v116, off, s[0:3], 0 offset:252
	v_fmac_f32_e32 v110, v2, v111
	s_waitcnt vmcnt(20)
	v_fmac_f32_e32 v115, v4, v129
	v_fma_f32 v111, v1, v111, -v6
	v_fma_f32 v129, v3, v129, -v7
	ds_read2_b64 v[1:4], v96 offset0:67 offset1:68
	v_add_f32_e32 v6, 0, v143
	v_add_f32_e32 v7, 0, v103
	s_waitcnt vmcnt(19) lgkmcnt(1)
	v_mul_f32_e32 v139, v97, v126
	s_waitcnt vmcnt(18)
	v_mul_f32_e32 v140, v99, v127
	v_mul_f32_e32 v8, v98, v126
	v_add_f32_e32 v6, v6, v144
	v_mul_f32_e32 v103, v100, v127
	v_add_f32_e32 v7, v7, v102
	v_fmac_f32_e32 v139, v98, v124
	v_fmac_f32_e32 v140, v100, v123
	v_add_f32_e32 v6, v6, v131
	v_fma_f32 v97, v97, v124, -v8
	v_fma_f32 v102, v99, v123, -v103
	v_add_f32_e32 v7, v7, v147
	s_clause 0x7
	buffer_load_dword v123, off, s[0:3], 0 offset:260
	buffer_load_dword v124, off, s[0:3], 0 offset:268
	;; [unrolled: 1-line block ×8, first 2 shown]
	v_add_f32_e32 v6, v6, v132
	v_add_f32_e32 v7, v7, v101
	s_waitcnt vmcnt(25) lgkmcnt(0)
	v_mul_f32_e32 v8, v2, v121
	v_mul_f32_e32 v103, v1, v121
	s_clause 0x3
	buffer_load_dword v121, off, s[0:3], 0 offset:292
	buffer_load_dword v132, off, s[0:3], 0 offset:300
	;; [unrolled: 1-line block ×4, first 2 shown]
	v_fma_f32 v101, v1, v118, -v8
	v_add_f32_e32 v1, v6, v146
	v_fmac_f32_e32 v103, v2, v118
	v_add_f32_e32 v6, v7, v108
	s_waitcnt vmcnt(28)
	v_mul_f32_e32 v108, v3, v119
	v_mul_f32_e32 v2, v4, v119
	v_add_f32_e32 v7, v1, v148
	s_clause 0x2
	buffer_load_dword v118, off, s[0:3], 0 offset:324
	buffer_load_dword v146, off, s[0:3], 0 offset:332
	;; [unrolled: 1-line block ×3, first 2 shown]
	s_waitcnt vmcnt(27)
	v_fmac_f32_e32 v108, v4, v130
	v_fma_f32 v130, v3, v130, -v2
	ds_read2_b64 v[1:4], v96 offset0:69 offset1:70
	v_add_f32_e32 v7, v7, v109
	v_add_f32_e32 v6, v6, v107
	;; [unrolled: 1-line block ×3, first 2 shown]
	s_clause 0x3
	buffer_load_dword v133, off, s[0:3], 0 offset:312
	buffer_load_dword v148, off, s[0:3], 0 offset:304
	buffer_load_dword v151, off, s[0:3], 0 offset:296
	buffer_load_dword v152, off, s[0:3], 0 offset:288
	v_add_f32_e32 v6, v6, v104
	v_add_f32_e32 v98, v7, v134
	;; [unrolled: 1-line block ×5, first 2 shown]
	ds_read2_b64 v[5:8], v96 offset0:71 offset1:72
	s_waitcnt vmcnt(30) lgkmcnt(1)
	v_mul_f32_e32 v105, v1, v128
	v_mul_f32_e32 v100, v2, v128
	s_waitcnt vmcnt(29)
	v_mul_f32_e32 v109, v3, v141
	v_fmac_f32_e32 v105, v2, v125
	v_fma_f32 v107, v1, v125, -v100
	s_clause 0x3
	buffer_load_dword v125, off, s[0:3], 0 offset:336
	buffer_load_dword v128, off, s[0:3], 0 offset:328
	;; [unrolled: 1-line block ×4, first 2 shown]
	v_add_f32_e32 v1, v99, v112
	v_add_f32_e32 v2, v98, v110
	v_mul_f32_e32 v98, v4, v141
	v_fmac_f32_e32 v109, v4, v122
	v_add_f32_e32 v1, v1, v111
	v_add_f32_e32 v2, v2, v115
	v_fma_f32 v110, v3, v122, -v98
	v_add_f32_e32 v99, v1, v129
	v_add_f32_e32 v104, v2, v139
	ds_read2_b64 v[1:4], v96 offset0:73 offset1:74
	s_waitcnt vmcnt(32) lgkmcnt(1)
	v_mul_f32_e32 v112, v5, v142
	v_mul_f32_e32 v115, v6, v142
	v_add_f32_e32 v111, v99, v97
	ds_read2_b64 v[97:100], v96 offset0:75 offset1:76
	v_add_f32_e32 v104, v104, v140
	v_fmac_f32_e32 v112, v6, v117
	v_fma_f32 v115, v5, v117, -v115
	v_add_f32_e32 v102, v111, v102
	v_add_f32_e32 v111, v104, v103
	;; [unrolled: 1-line block ×5, first 2 shown]
	s_waitcnt vmcnt(30)
	v_mul_f32_e32 v122, v7, v106
	v_mul_f32_e32 v106, v8, v106
	s_waitcnt vmcnt(26)
	v_fmac_f32_e32 v122, v8, v137
	v_fma_f32 v117, v7, v137, -v106
	v_add_f32_e32 v106, v102, v101
	ds_read2_b64 v[5:8], v96 offset0:77 offset1:78
	ds_read2_b64 v[101:104], v96 offset0:79 offset1:80
	v_add_f32_e32 v106, v106, v130
	s_waitcnt vmcnt(25) lgkmcnt(3)
	v_mul_f32_e32 v129, v1, v113
	v_mul_f32_e32 v111, v2, v113
	s_waitcnt vmcnt(24)
	v_mul_f32_e32 v130, v3, v114
	v_mul_f32_e32 v113, v4, v114
	s_waitcnt vmcnt(23) lgkmcnt(2)
	v_mul_f32_e32 v114, v97, v116
	v_fmac_f32_e32 v129, v2, v136
	v_fma_f32 v136, v1, v136, -v111
	v_add_f32_e32 v111, v106, v107
	v_fmac_f32_e32 v130, v4, v135
	v_fma_f32 v113, v3, v135, -v113
	v_mul_f32_e32 v116, v98, v116
	ds_read2_b64 v[1:4], v96 offset0:81 offset1:82
	ds_read2_b64 v[105:108], v96 offset0:83 offset1:84
	v_add_f32_e32 v135, v111, v110
	v_fmac_f32_e32 v114, v98, v120
	v_add_f32_e32 v98, v109, v112
	ds_read2_b64 v[109:112], v96 offset0:85 offset1:86
	v_fma_f32 v97, v97, v120, -v116
	v_add_f32_e32 v96, v135, v115
	s_waitcnt vmcnt(22)
	v_mul_f32_e32 v116, v100, v123
	v_add_f32_e32 v98, v98, v122
	v_mul_f32_e32 v115, v99, v123
	s_waitcnt vmcnt(21) lgkmcnt(4)
	v_mul_f32_e32 v120, v5, v124
	v_add_f32_e32 v96, v96, v117
	v_mul_f32_e32 v122, v6, v124
	v_add_f32_e32 v98, v98, v129
	s_waitcnt vmcnt(15)
	v_fma_f32 v99, v99, v147, -v116
	v_fmac_f32_e32 v115, v100, v147
	v_add_f32_e32 v96, v96, v136
	v_fmac_f32_e32 v120, v6, v144
	v_add_f32_e32 v98, v98, v130
	v_fma_f32 v5, v5, v144, -v122
	v_mul_f32_e32 v117, v7, v126
	v_add_f32_e32 v96, v96, v113
	v_mul_f32_e32 v113, v8, v126
	s_waitcnt lgkmcnt(3)
	v_mul_f32_e32 v100, v101, v127
	s_waitcnt vmcnt(14)
	v_mul_f32_e32 v116, v103, v121
	v_fmac_f32_e32 v117, v8, v143
	v_add_f32_e32 v96, v96, v97
	v_add_f32_e32 v97, v98, v114
	v_fma_f32 v7, v7, v143, -v113
	v_mul_f32_e32 v8, v104, v121
	v_fmac_f32_e32 v100, v102, v131
	v_add_f32_e32 v6, v96, v99
	v_add_f32_e32 v96, v97, v115
	v_mul_f32_e32 v97, v102, v127
	s_waitcnt vmcnt(13) lgkmcnt(2)
	v_mul_f32_e32 v123, v1, v132
	s_waitcnt vmcnt(12)
	v_mul_f32_e32 v124, v3, v149
	v_add_f32_e32 v5, v6, v5
	v_add_f32_e32 v6, v96, v120
	v_fma_f32 v96, v101, v131, -v97
	s_waitcnt vmcnt(4)
	v_fma_f32 v8, v103, v152, -v8
	v_fmac_f32_e32 v116, v104, v152
	v_add_f32_e32 v5, v5, v7
	v_add_f32_e32 v6, v6, v117
	v_mul_f32_e32 v7, v2, v132
	v_fmac_f32_e32 v123, v2, v151
	s_waitcnt lgkmcnt(1)
	v_mul_f32_e32 v129, v105, v150
	v_add_f32_e32 v5, v5, v96
	v_add_f32_e32 v6, v6, v100
	v_mul_f32_e32 v96, v4, v149
	v_fma_f32 v1, v1, v151, -v7
	v_fmac_f32_e32 v124, v4, v148
	v_add_f32_e32 v2, v5, v8
	v_add_f32_e32 v5, v6, v116
	v_mul_f32_e32 v6, v106, v150
	v_fma_f32 v3, v3, v148, -v96
	v_mul_f32_e32 v4, v108, v118
	v_add_f32_e32 v1, v2, v1
	v_add_f32_e32 v2, v5, v123
	v_fma_f32 v5, v105, v133, -v6
	v_mul_f32_e32 v126, v107, v118
	v_fmac_f32_e32 v129, v106, v133
	v_add_f32_e32 v1, v1, v3
	v_add_f32_e32 v2, v2, v124
	s_waitcnt lgkmcnt(0)
	v_mul_f32_e32 v3, v110, v146
	s_waitcnt vmcnt(1)
	v_fma_f32 v4, v107, v134, -v4
	v_mul_f32_e32 v130, v109, v146
	v_add_f32_e32 v1, v1, v5
	v_fmac_f32_e32 v126, v108, v134
	v_add_f32_e32 v2, v2, v129
	v_mul_f32_e32 v5, v112, v119
	v_fma_f32 v3, v109, v128, -v3
	v_add_f32_e32 v1, v1, v4
	v_mul_f32_e32 v98, v111, v119
	v_fmac_f32_e32 v130, v110, v128
	v_add_f32_e32 v2, v2, v126
	v_fma_f32 v4, v111, v125, -v5
	v_add_f32_e32 v1, v1, v3
	v_fmac_f32_e32 v98, v112, v125
	v_add_f32_e32 v2, v2, v130
	v_add_f32_e32 v1, v1, v4
	;; [unrolled: 1-line block ×3, first 2 shown]
	s_waitcnt vmcnt(0)
	v_sub_f32_e32 v1, v138, v1
	v_sub_f32_e32 v2, v145, v2
	buffer_store_dword v1, off, s[0:3], 0 offset:64
	buffer_store_dword v2, off, s[0:3], 0 offset:68
	v_cmpx_lt_u32_e32 7, v0
	s_cbranch_execz .LBB42_257
; %bb.256:
	s_clause 0x1
	buffer_load_dword v1, off, s[0:3], 0 offset:56
	buffer_load_dword v2, off, s[0:3], 0 offset:60
	v_mov_b32_e32 v3, 0
	buffer_store_dword v3, off, s[0:3], 0 offset:56
	buffer_store_dword v3, off, s[0:3], 0 offset:60
	s_waitcnt vmcnt(0)
	ds_write_b64 v95, v[1:2]
.LBB42_257:
	s_or_b32 exec_lo, exec_lo, s4
	s_waitcnt lgkmcnt(0)
	s_waitcnt_vscnt null, 0x0
	s_barrier
	buffer_gl0_inv
	s_clause 0x2a
	buffer_load_dword v7, off, s[0:3], 0 offset:68
	buffer_load_dword v8, off, s[0:3], 0 offset:76
	;; [unrolled: 1-line block ×43, first 2 shown]
	v_mov_b32_e32 v1, 0
	ds_read_b128 v[128:131], v1 offset:416
	ds_read_b128 v[132:135], v1 offset:432
	;; [unrolled: 1-line block ×3, first 2 shown]
	buffer_load_dword v146, off, s[0:3], 0 offset:60
	s_mov_b32 s4, exec_lo
	s_waitcnt vmcnt(43) lgkmcnt(2)
	v_mul_f32_e32 v144, v128, v7
	s_waitcnt vmcnt(42)
	v_mul_f32_e32 v145, v130, v8
	v_mul_f32_e32 v7, v129, v7
	;; [unrolled: 1-line block ×3, first 2 shown]
	s_waitcnt vmcnt(39)
	v_fmac_f32_e32 v144, v129, v6
	v_fmac_f32_e32 v145, v131, v5
	v_fma_f32 v147, v128, v6, -v7
	v_fma_f32 v148, v130, v5, -v8
	ds_read_b128 v[5:8], v1 offset:464
	ds_read_b128 v[128:131], v1 offset:480
	s_waitcnt vmcnt(38) lgkmcnt(3)
	v_mul_f32_e32 v149, v132, v3
	v_mul_f32_e32 v3, v133, v3
	s_waitcnt vmcnt(37)
	v_mul_f32_e32 v150, v134, v4
	v_mul_f32_e32 v4, v135, v4
	s_waitcnt vmcnt(32) lgkmcnt(2)
	v_mul_f32_e32 v152, v136, v103
	v_fmac_f32_e32 v149, v133, v2
	v_fma_f32 v151, v132, v2, -v3
	v_mul_f32_e32 v2, v137, v103
	s_waitcnt vmcnt(31)
	v_mul_f32_e32 v153, v138, v102
	v_mul_f32_e32 v3, v139, v102
	v_fmac_f32_e32 v150, v135, v104
	v_fma_f32 v104, v134, v104, -v4
	v_fmac_f32_e32 v152, v137, v99
	v_fma_f32 v136, v136, v99, -v2
	;; [unrolled: 2-line block ×3, first 2 shown]
	ds_read_b128 v[132:135], v1 offset:496
	s_waitcnt vmcnt(30) lgkmcnt(2)
	v_mul_f32_e32 v137, v5, v100
	v_mul_f32_e32 v2, v6, v100
	s_waitcnt vmcnt(29)
	v_mul_f32_e32 v139, v7, v98
	v_mul_f32_e32 v3, v8, v98
	s_waitcnt vmcnt(28) lgkmcnt(1)
	v_mul_f32_e32 v154, v128, v101
	v_fmac_f32_e32 v137, v6, v96
	v_fma_f32 v6, v5, v96, -v2
	s_waitcnt vmcnt(24)
	v_fmac_f32_e32 v139, v8, v111
	v_fma_f32 v7, v7, v111, -v3
	s_waitcnt vmcnt(23)
	v_mul_f32_e32 v8, v130, v110
	v_mul_f32_e32 v96, v129, v101
	;; [unrolled: 1-line block ×3, first 2 shown]
	ds_read_b128 v[2:5], v1 offset:512
	v_fmac_f32_e32 v154, v129, v109
	v_fmac_f32_e32 v8, v131, v106
	v_fma_f32 v109, v128, v109, -v96
	v_fma_f32 v106, v130, v106, -v97
	ds_read_b128 v[96:99], v1 offset:528
	s_waitcnt vmcnt(22) lgkmcnt(2)
	v_mul_f32_e32 v110, v132, v108
	v_mul_f32_e32 v100, v133, v108
	s_waitcnt vmcnt(21)
	v_mul_f32_e32 v108, v134, v107
	v_mul_f32_e32 v101, v135, v107
	buffer_load_dword v107, off, s[0:3], 0 offset:228
	v_fmac_f32_e32 v110, v133, v105
	v_fma_f32 v105, v132, v105, -v100
	s_waitcnt vmcnt(18)
	v_fmac_f32_e32 v108, v135, v119
	v_fma_f32 v111, v134, v119, -v101
	s_waitcnt vmcnt(17) lgkmcnt(1)
	v_mul_f32_e32 v119, v2, v117
	s_waitcnt vmcnt(16)
	v_mul_f32_e32 v128, v4, v118
	v_mul_f32_e32 v100, v3, v117
	;; [unrolled: 1-line block ×3, first 2 shown]
	v_fmac_f32_e32 v119, v3, v114
	v_fmac_f32_e32 v128, v5, v113
	v_fma_f32 v114, v2, v114, -v100
	v_fma_f32 v113, v4, v113, -v101
	ds_read_b128 v[2:5], v1 offset:544
	s_waitcnt vmcnt(15) lgkmcnt(1)
	v_mul_f32_e32 v117, v96, v116
	v_mul_f32_e32 v102, v97, v116
	s_waitcnt vmcnt(14)
	v_mul_f32_e32 v116, v98, v115
	v_mul_f32_e32 v115, v99, v115
	v_fmac_f32_e32 v117, v97, v112
	v_fma_f32 v112, v96, v112, -v102
	ds_read_b128 v[100:103], v1 offset:560
	s_waitcnt vmcnt(10)
	v_fmac_f32_e32 v116, v99, v127
	v_fma_f32 v115, v98, v127, -v115
	s_clause 0x1
	buffer_load_dword v118, off, s[0:3], 0 offset:236
	buffer_load_dword v127, off, s[0:3], 0 offset:244
	s_waitcnt vmcnt(11) lgkmcnt(1)
	v_mul_f32_e32 v129, v2, v126
	v_mul_f32_e32 v96, v3, v126
	s_waitcnt vmcnt(10)
	v_mul_f32_e32 v130, v4, v125
	v_mul_f32_e32 v97, v5, v125
	buffer_load_dword v126, off, s[0:3], 0 offset:252
	v_fmac_f32_e32 v129, v3, v123
	v_fma_f32 v123, v2, v123, -v96
	v_fmac_f32_e32 v130, v5, v121
	s_waitcnt vmcnt(10) lgkmcnt(0)
	v_mul_f32_e32 v125, v100, v124
	v_mul_f32_e32 v2, v101, v124
	s_waitcnt vmcnt(9)
	v_mul_f32_e32 v3, v103, v122
	s_clause 0x3
	buffer_load_dword v124, off, s[0:3], 0 offset:272
	buffer_load_dword v131, off, s[0:3], 0 offset:264
	;; [unrolled: 1-line block ×4, first 2 shown]
	v_mul_f32_e32 v134, v102, v122
	v_fmac_f32_e32 v125, v101, v120
	v_fma_f32 v120, v100, v120, -v2
	v_add_f32_e32 v2, 0, v144
	s_clause 0x1
	buffer_load_dword v122, off, s[0:3], 0 offset:260
	buffer_load_dword v144, off, s[0:3], 0 offset:276
	s_waitcnt vmcnt(11)
	v_fma_f32 v135, v102, v143, -v3
	v_add_f32_e32 v3, 0, v147
	v_add_f32_e32 v2, v2, v145
	v_fmac_f32_e32 v134, v103, v143
	s_clause 0x4
	buffer_load_dword v143, off, s[0:3], 0 offset:268
	buffer_load_dword v145, off, s[0:3], 0 offset:284
	;; [unrolled: 1-line block ×5, first 2 shown]
	v_add_f32_e32 v3, v3, v148
	v_add_f32_e32 v2, v2, v149
	s_clause 0x1
	buffer_load_dword v148, off, s[0:3], 0 offset:316
	buffer_load_dword v149, off, s[0:3], 0 offset:324
	v_fma_f32 v121, v4, v121, -v97
	v_add_f32_e32 v3, v3, v151
	v_add_f32_e32 v2, v2, v150
	s_clause 0x1
	buffer_load_dword v150, off, s[0:3], 0 offset:332
	buffer_load_dword v151, off, s[0:3], 0 offset:340
	v_add_f32_e32 v3, v3, v104
	v_add_f32_e32 v2, v2, v152
	;; [unrolled: 1-line block ×4, first 2 shown]
	s_clause 0x3
	buffer_load_dword v136, off, s[0:3], 0 offset:304
	buffer_load_dword v152, off, s[0:3], 0 offset:296
	;; [unrolled: 1-line block ×4, first 2 shown]
	v_add_f32_e32 v3, v3, v138
	v_add_f32_e32 v2, v2, v137
	;; [unrolled: 1-line block ×4, first 2 shown]
	s_clause 0x4
	buffer_load_dword v137, off, s[0:3], 0 offset:336
	buffer_load_dword v138, off, s[0:3], 0 offset:328
	;; [unrolled: 1-line block ×5, first 2 shown]
	ds_read_b128 v[96:99], v1 offset:592
	v_add_f32_e32 v3, v3, v7
	v_add_f32_e32 v2, v2, v154
	;; [unrolled: 1-line block ×5, first 2 shown]
	ds_read_b128 v[2:5], v1 offset:576
	v_add_f32_e32 v6, v6, v110
	v_add_f32_e32 v7, v7, v105
	;; [unrolled: 1-line block ×14, first 2 shown]
	s_waitcnt vmcnt(27) lgkmcnt(0)
	v_mul_f32_e32 v8, v2, v107
	v_mul_f32_e32 v100, v3, v107
	v_fmac_f32_e32 v8, v3, v142
	v_add_f32_e32 v3, v7, v112
	v_fma_f32 v112, v2, v142, -v100
	v_add_f32_e32 v8, v119, v8
	v_add_f32_e32 v7, v3, v115
	;; [unrolled: 1-line block ×5, first 2 shown]
	s_waitcnt vmcnt(26)
	v_mul_f32_e32 v113, v4, v118
	v_mul_f32_e32 v101, v5, v118
	v_add_f32_e32 v120, v7, v135
	s_waitcnt vmcnt(25)
	v_mul_f32_e32 v108, v97, v127
	v_mul_f32_e32 v115, v96, v127
	v_fmac_f32_e32 v113, v5, v141
	v_fma_f32 v114, v4, v141, -v101
	ds_read_b128 v[2:5], v1 offset:608
	ds_read_b128 v[100:103], v1 offset:624
	v_add_f32_e32 v112, v120, v112
	v_fma_f32 v118, v96, v140, -v108
	v_fmac_f32_e32 v115, v97, v140
	v_add_f32_e32 v8, v8, v113
	ds_read_b128 v[104:107], v1 offset:640
	ds_read_b128 v[108:111], v1 offset:656
	s_waitcnt vmcnt(24)
	v_mul_f32_e32 v117, v99, v126
	v_add_f32_e32 v112, v112, v114
	v_mul_f32_e32 v116, v98, v126
	v_add_f32_e32 v8, v8, v115
	v_add_f32_e32 v112, v112, v118
	s_waitcnt vmcnt(20)
	v_fma_f32 v117, v98, v133, -v117
	v_fmac_f32_e32 v116, v99, v133
	ds_read_b128 v[96:99], v1 offset:672
	ds_read_b64 v[6:7], v1 offset:688
	s_waitcnt vmcnt(19) lgkmcnt(5)
	v_mul_f32_e32 v120, v3, v122
	v_mul_f32_e32 v121, v2, v122
	v_add_f32_e32 v112, v112, v117
	v_add_f32_e32 v8, v8, v116
	s_waitcnt vmcnt(18) lgkmcnt(4)
	v_mul_f32_e32 v119, v100, v144
	v_fma_f32 v2, v2, v132, -v120
	s_waitcnt vmcnt(17)
	v_mul_f32_e32 v122, v5, v143
	v_mul_f32_e32 v123, v4, v143
	v_fmac_f32_e32 v121, v3, v132
	v_mul_f32_e32 v120, v101, v144
	v_add_f32_e32 v2, v112, v2
	v_fma_f32 v4, v4, v131, -v122
	v_fmac_f32_e32 v123, v5, v131
	v_add_f32_e32 v5, v8, v121
	s_waitcnt vmcnt(16)
	v_mul_f32_e32 v8, v103, v145
	v_fma_f32 v100, v100, v124, -v120
	v_add_f32_e32 v2, v2, v4
	v_mul_f32_e32 v114, v102, v145
	v_fmac_f32_e32 v119, v101, v124
	v_add_f32_e32 v4, v5, v123
	s_waitcnt vmcnt(15) lgkmcnt(3)
	v_mul_f32_e32 v5, v105, v147
	v_add_f32_e32 v2, v2, v100
	v_mul_f32_e32 v125, v104, v147
	s_waitcnt vmcnt(14)
	v_mul_f32_e32 v100, v107, v155
	v_add_f32_e32 v4, v4, v119
	s_waitcnt vmcnt(5)
	v_fma_f32 v8, v102, v157, -v8
	v_fmac_f32_e32 v114, v103, v157
	v_fma_f32 v5, v104, v153, -v5
	v_mul_f32_e32 v113, v106, v155
	v_fmac_f32_e32 v125, v105, v153
	v_add_f32_e32 v2, v2, v8
	v_add_f32_e32 v4, v4, v114
	s_waitcnt lgkmcnt(2)
	v_mul_f32_e32 v8, v109, v156
	v_fma_f32 v100, v106, v152, -v100
	v_mul_f32_e32 v118, v108, v156
	v_add_f32_e32 v2, v2, v5
	v_fmac_f32_e32 v113, v107, v152
	v_add_f32_e32 v4, v4, v125
	v_mul_f32_e32 v5, v111, v148
	v_fma_f32 v8, v108, v136, -v8
	v_add_f32_e32 v2, v2, v100
	v_mul_f32_e32 v3, v110, v148
	v_fmac_f32_e32 v118, v109, v136
	v_add_f32_e32 v4, v4, v113
	s_waitcnt lgkmcnt(1)
	v_mul_f32_e32 v100, v97, v149
	s_waitcnt vmcnt(1)
	v_fma_f32 v5, v110, v158, -v5
	v_add_f32_e32 v2, v2, v8
	v_mul_f32_e32 v115, v96, v149
	v_fmac_f32_e32 v3, v111, v158
	v_add_f32_e32 v4, v4, v118
	v_mul_f32_e32 v8, v99, v150
	v_fma_f32 v96, v96, v139, -v100
	v_add_f32_e32 v2, v2, v5
	v_mul_f32_e32 v117, v98, v150
	v_fmac_f32_e32 v115, v97, v139
	v_add_f32_e32 v3, v4, v3
	s_waitcnt lgkmcnt(0)
	v_mul_f32_e32 v4, v7, v151
	v_fma_f32 v5, v98, v138, -v8
	v_add_f32_e32 v2, v2, v96
	v_mul_f32_e32 v116, v6, v151
	v_fmac_f32_e32 v117, v99, v138
	v_add_f32_e32 v3, v3, v115
	v_fma_f32 v4, v6, v137, -v4
	v_add_f32_e32 v2, v2, v5
	v_fmac_f32_e32 v116, v7, v137
	v_add_f32_e32 v3, v3, v117
	v_add_f32_e32 v2, v2, v4
	;; [unrolled: 1-line block ×3, first 2 shown]
	s_waitcnt vmcnt(0)
	v_sub_f32_e32 v2, v159, v2
	v_sub_f32_e32 v3, v146, v3
	buffer_store_dword v2, off, s[0:3], 0 offset:56
	buffer_store_dword v3, off, s[0:3], 0 offset:60
	v_cmpx_lt_u32_e32 6, v0
	s_cbranch_execz .LBB42_259
; %bb.258:
	s_clause 0x1
	buffer_load_dword v2, off, s[0:3], 0 offset:48
	buffer_load_dword v3, off, s[0:3], 0 offset:52
	buffer_store_dword v1, off, s[0:3], 0 offset:48
	buffer_store_dword v1, off, s[0:3], 0 offset:52
	s_waitcnt vmcnt(0)
	ds_write_b64 v95, v[2:3]
.LBB42_259:
	s_or_b32 exec_lo, exec_lo, s4
	s_waitcnt lgkmcnt(0)
	s_waitcnt_vscnt null, 0x0
	s_barrier
	buffer_gl0_inv
	s_clause 0x2a
	buffer_load_dword v7, off, s[0:3], 0 offset:60
	buffer_load_dword v8, off, s[0:3], 0 offset:68
	;; [unrolled: 1-line block ×43, first 2 shown]
	ds_read2_b64 v[128:131], v1 offset0:51 offset1:52
	ds_read2_b64 v[132:135], v1 offset0:53 offset1:54
	;; [unrolled: 1-line block ×3, first 2 shown]
	buffer_load_dword v146, off, s[0:3], 0 offset:52
	s_mov_b32 s4, exec_lo
	s_waitcnt vmcnt(43) lgkmcnt(2)
	v_mul_f32_e32 v144, v128, v7
	s_waitcnt vmcnt(42)
	v_mul_f32_e32 v145, v130, v8
	v_mul_f32_e32 v7, v129, v7
	;; [unrolled: 1-line block ×3, first 2 shown]
	s_waitcnt vmcnt(39)
	v_fmac_f32_e32 v144, v129, v6
	v_fmac_f32_e32 v145, v131, v5
	v_fma_f32 v147, v128, v6, -v7
	v_fma_f32 v148, v130, v5, -v8
	ds_read2_b64 v[5:8], v1 offset0:57 offset1:58
	ds_read2_b64 v[128:131], v1 offset0:59 offset1:60
	s_waitcnt vmcnt(38) lgkmcnt(3)
	v_mul_f32_e32 v149, v132, v3
	s_waitcnt vmcnt(37)
	v_mul_f32_e32 v150, v134, v4
	v_mul_f32_e32 v3, v133, v3
	;; [unrolled: 1-line block ×3, first 2 shown]
	v_fmac_f32_e32 v149, v133, v2
	s_waitcnt vmcnt(33)
	v_fmac_f32_e32 v150, v135, v103
	v_fma_f32 v132, v132, v2, -v3
	v_fma_f32 v133, v134, v103, -v4
	s_waitcnt vmcnt(32) lgkmcnt(2)
	v_mul_f32_e32 v134, v136, v101
	v_mul_f32_e32 v2, v137, v101
	s_waitcnt vmcnt(31)
	v_mul_f32_e32 v3, v139, v102
	v_mul_f32_e32 v135, v138, v102
	v_fmac_f32_e32 v134, v137, v100
	v_fma_f32 v136, v136, v100, -v2
	v_fma_f32 v137, v138, v97, -v3
	ds_read2_b64 v[100:103], v1 offset0:61 offset1:62
	s_waitcnt vmcnt(30) lgkmcnt(2)
	v_mul_f32_e32 v138, v5, v98
	v_mul_f32_e32 v2, v6, v98
	s_waitcnt vmcnt(29)
	v_mul_f32_e32 v3, v8, v99
	v_fmac_f32_e32 v135, v139, v97
	v_mul_f32_e32 v139, v7, v99
	v_fmac_f32_e32 v138, v6, v96
	v_fma_f32 v6, v5, v96, -v2
	s_waitcnt vmcnt(25)
	v_fma_f32 v7, v7, v111, -v3
	ds_read2_b64 v[2:5], v1 offset0:63 offset1:64
	v_fmac_f32_e32 v139, v8, v111
	s_waitcnt vmcnt(24) lgkmcnt(2)
	v_mul_f32_e32 v8, v128, v109
	s_waitcnt vmcnt(23)
	v_mul_f32_e32 v111, v130, v110
	v_mul_f32_e32 v96, v129, v109
	;; [unrolled: 1-line block ×3, first 2 shown]
	v_fmac_f32_e32 v8, v129, v108
	v_fmac_f32_e32 v111, v131, v105
	v_fma_f32 v108, v128, v108, -v96
	v_fma_f32 v105, v130, v105, -v97
	ds_read2_b64 v[96:99], v1 offset0:65 offset1:66
	s_waitcnt vmcnt(22) lgkmcnt(2)
	v_mul_f32_e32 v109, v100, v106
	s_waitcnt vmcnt(21)
	v_mul_f32_e32 v110, v102, v107
	v_mul_f32_e32 v106, v101, v106
	;; [unrolled: 1-line block ×3, first 2 shown]
	v_fmac_f32_e32 v109, v101, v104
	s_waitcnt vmcnt(17)
	v_fmac_f32_e32 v110, v103, v119
	v_fma_f32 v104, v100, v104, -v106
	v_fma_f32 v106, v102, v119, -v107
	s_waitcnt vmcnt(16) lgkmcnt(1)
	v_mul_f32_e32 v107, v2, v117
	s_waitcnt vmcnt(15)
	v_mul_f32_e32 v119, v4, v118
	v_mul_f32_e32 v117, v3, v117
	;; [unrolled: 1-line block ×3, first 2 shown]
	ds_read2_b64 v[100:103], v1 offset0:67 offset1:68
	v_fmac_f32_e32 v107, v3, v116
	v_fmac_f32_e32 v119, v5, v113
	v_fma_f32 v116, v2, v116, -v117
	v_fma_f32 v113, v4, v113, -v118
	s_clause 0x1
	buffer_load_dword v117, off, s[0:3], 0 offset:220
	buffer_load_dword v118, off, s[0:3], 0 offset:228
	s_waitcnt vmcnt(16) lgkmcnt(1)
	v_mul_f32_e32 v128, v96, v114
	v_mul_f32_e32 v2, v97, v114
	s_waitcnt vmcnt(15)
	v_mul_f32_e32 v3, v99, v115
	v_mul_f32_e32 v129, v98, v115
	buffer_load_dword v115, off, s[0:3], 0 offset:236
	v_fmac_f32_e32 v128, v97, v112
	v_fma_f32 v112, v96, v112, -v2
	s_waitcnt vmcnt(12)
	v_fma_f32 v114, v98, v127, -v3
	ds_read2_b64 v[2:5], v1 offset0:69 offset1:70
	v_fmac_f32_e32 v129, v99, v127
	s_waitcnt vmcnt(11) lgkmcnt(1)
	v_mul_f32_e32 v127, v100, v125
	s_waitcnt vmcnt(10)
	v_mul_f32_e32 v130, v102, v126
	v_mul_f32_e32 v96, v101, v125
	;; [unrolled: 1-line block ×3, first 2 shown]
	s_clause 0x5
	buffer_load_dword v125, off, s[0:3], 0 offset:244
	buffer_load_dword v126, off, s[0:3], 0 offset:264
	;; [unrolled: 1-line block ×6, first 2 shown]
	v_fmac_f32_e32 v127, v101, v124
	v_fma_f32 v124, v100, v124, -v96
	v_fmac_f32_e32 v130, v103, v123
	v_fma_f32 v123, v102, v123, -v97
	s_waitcnt vmcnt(15) lgkmcnt(0)
	v_mul_f32_e32 v153, v2, v122
	v_mul_f32_e32 v96, v3, v122
	s_waitcnt vmcnt(14)
	v_mul_f32_e32 v122, v4, v121
	v_fmac_f32_e32 v153, v3, v120
	v_add_f32_e32 v3, 0, v144
	v_fma_f32 v120, v2, v120, -v96
	v_add_f32_e32 v2, 0, v147
	v_mul_f32_e32 v96, v5, v121
	s_clause 0x1
	buffer_load_dword v121, off, s[0:3], 0 offset:260
	buffer_load_dword v144, off, s[0:3], 0 offset:268
	v_add_f32_e32 v3, v3, v145
	v_add_f32_e32 v2, v2, v148
	buffer_load_dword v145, off, s[0:3], 0 offset:276
	s_waitcnt vmcnt(13)
	v_fmac_f32_e32 v122, v5, v143
	v_fma_f32 v143, v4, v143, -v96
	v_add_f32_e32 v3, v3, v149
	v_add_f32_e32 v2, v2, v132
	s_clause 0x2
	buffer_load_dword v132, off, s[0:3], 0 offset:284
	buffer_load_dword v147, off, s[0:3], 0 offset:292
	;; [unrolled: 1-line block ×3, first 2 shown]
	v_add_f32_e32 v3, v3, v150
	v_add_f32_e32 v2, v2, v133
	s_clause 0x3
	buffer_load_dword v133, off, s[0:3], 0 offset:308
	buffer_load_dword v149, off, s[0:3], 0 offset:316
	;; [unrolled: 1-line block ×4, first 2 shown]
	v_add_f32_e32 v3, v3, v134
	v_add_f32_e32 v2, v2, v136
	buffer_load_dword v134, off, s[0:3], 0 offset:340
	v_add_f32_e32 v3, v3, v135
	v_add_f32_e32 v2, v2, v137
	s_clause 0x3
	buffer_load_dword v135, off, s[0:3], 0 offset:296
	buffer_load_dword v136, off, s[0:3], 0 offset:288
	;; [unrolled: 1-line block ×4, first 2 shown]
	v_add_f32_e32 v3, v3, v138
	v_add_f32_e32 v2, v2, v6
	v_add_f32_e32 v3, v3, v139
	v_add_f32_e32 v2, v2, v7
	s_clause 0x4
	buffer_load_dword v6, off, s[0:3], 0 offset:328
	buffer_load_dword v7, off, s[0:3], 0 offset:320
	;; [unrolled: 1-line block ×5, first 2 shown]
	v_add_f32_e32 v3, v3, v8
	buffer_load_dword v8, off, s[0:3], 0 offset:336
	v_add_f32_e32 v2, v2, v108
	v_add_f32_e32 v3, v3, v111
	v_add_f32_e32 v2, v2, v105
	v_add_f32_e32 v96, v3, v109
	v_add_f32_e32 v97, v2, v104
	ds_read2_b64 v[2:5], v1 offset0:71 offset1:72
	v_add_f32_e32 v96, v96, v110
	v_add_f32_e32 v97, v97, v106
	;; [unrolled: 1-line block ×4, first 2 shown]
	ds_read2_b64 v[96:99], v1 offset0:73 offset1:74
	v_add_f32_e32 v100, v100, v119
	v_add_f32_e32 v101, v101, v113
	;; [unrolled: 1-line block ×10, first 2 shown]
	s_waitcnt vmcnt(29) lgkmcnt(1)
	v_mul_f32_e32 v116, v2, v117
	v_mul_f32_e32 v102, v3, v117
	s_waitcnt vmcnt(28)
	v_mul_f32_e32 v117, v4, v118
	v_mul_f32_e32 v103, v5, v118
	v_fmac_f32_e32 v116, v3, v142
	v_fma_f32 v118, v2, v142, -v102
	v_fmac_f32_e32 v117, v5, v141
	v_fma_f32 v119, v4, v141, -v103
	ds_read2_b64 v[2:5], v1 offset0:75 offset1:76
	ds_read2_b64 v[100:103], v1 offset0:77 offset1:78
	s_waitcnt vmcnt(27) lgkmcnt(2)
	v_mul_f32_e32 v128, v96, v115
	v_mul_f32_e32 v106, v97, v115
	v_fmac_f32_e32 v128, v97, v140
	v_add_f32_e32 v97, v105, v130
	v_fma_f32 v124, v96, v140, -v106
	s_waitcnt vmcnt(26)
	v_mul_f32_e32 v129, v98, v125
	v_mul_f32_e32 v107, v99, v125
	v_add_f32_e32 v109, v97, v153
	s_waitcnt vmcnt(22)
	v_fmac_f32_e32 v129, v99, v152
	v_fma_f32 v123, v98, v152, -v107
	v_add_f32_e32 v114, v109, v122
	v_add_f32_e32 v122, v112, v143
	s_waitcnt vmcnt(21) lgkmcnt(1)
	v_mul_f32_e32 v120, v2, v154
	v_mul_f32_e32 v113, v3, v154
	ds_read2_b64 v[96:99], v1 offset0:79 offset1:80
	ds_read2_b64 v[104:107], v1 offset0:81 offset1:82
	;; [unrolled: 1-line block ×3, first 2 shown]
	v_fmac_f32_e32 v120, v3, v151
	v_fma_f32 v2, v2, v151, -v113
	v_add_f32_e32 v3, v114, v116
	ds_read2_b64 v[112:115], v1 offset0:85 offset1:86
	v_add_f32_e32 v1, v122, v118
	s_waitcnt vmcnt(20)
	v_mul_f32_e32 v118, v5, v121
	v_add_f32_e32 v3, v3, v117
	v_mul_f32_e32 v116, v4, v121
	v_add_f32_e32 v1, v1, v119
	s_waitcnt vmcnt(19) lgkmcnt(4)
	v_mul_f32_e32 v121, v101, v144
	v_fma_f32 v4, v4, v131, -v118
	v_add_f32_e32 v3, v3, v128
	v_mul_f32_e32 v117, v100, v144
	v_add_f32_e32 v1, v1, v124
	v_fmac_f32_e32 v116, v5, v131
	v_fma_f32 v100, v100, v126, -v121
	v_add_f32_e32 v3, v3, v129
	s_waitcnt vmcnt(18)
	v_mul_f32_e32 v119, v102, v145
	v_add_f32_e32 v1, v1, v123
	v_mul_f32_e32 v123, v103, v145
	v_fmac_f32_e32 v117, v101, v126
	s_waitcnt vmcnt(17) lgkmcnt(3)
	v_mul_f32_e32 v5, v96, v132
	s_waitcnt vmcnt(16)
	v_mul_f32_e32 v118, v98, v147
	v_add_f32_e32 v1, v1, v2
	v_add_f32_e32 v2, v3, v120
	s_waitcnt vmcnt(15) lgkmcnt(2)
	v_mul_f32_e32 v122, v104, v148
	s_waitcnt vmcnt(14)
	v_mul_f32_e32 v124, v106, v133
	s_waitcnt vmcnt(8)
	v_fmac_f32_e32 v118, v99, v136
	v_add_f32_e32 v1, v1, v4
	v_add_f32_e32 v2, v2, v116
	v_mul_f32_e32 v4, v97, v132
	s_waitcnt vmcnt(6)
	v_fma_f32 v101, v102, v156, -v123
	v_fmac_f32_e32 v119, v103, v156
	v_add_f32_e32 v1, v1, v100
	v_add_f32_e32 v2, v2, v117
	v_mul_f32_e32 v100, v99, v147
	v_fma_f32 v4, v96, v137, -v4
	v_fmac_f32_e32 v5, v97, v137
	v_add_f32_e32 v1, v1, v101
	v_add_f32_e32 v2, v2, v119
	v_mul_f32_e32 v96, v105, v148
	;; [unrolled: 5-line block ×3, first 2 shown]
	v_fma_f32 v5, v104, v135, -v96
	s_waitcnt lgkmcnt(1)
	v_mul_f32_e32 v96, v109, v149
	v_add_f32_e32 v1, v1, v97
	v_add_f32_e32 v2, v2, v118
	s_waitcnt vmcnt(2)
	v_fma_f32 v4, v106, v139, -v4
	v_mul_f32_e32 v125, v108, v149
	v_fmac_f32_e32 v124, v107, v139
	v_add_f32_e32 v1, v1, v5
	v_add_f32_e32 v2, v2, v122
	v_mul_f32_e32 v5, v111, v150
	v_fma_f32 v96, v108, v138, -v96
	v_mul_f32_e32 v127, v110, v150
	v_add_f32_e32 v1, v1, v4
	v_fmac_f32_e32 v125, v109, v138
	v_add_f32_e32 v2, v2, v124
	s_waitcnt lgkmcnt(0)
	v_mul_f32_e32 v4, v113, v155
	v_fma_f32 v5, v110, v7, -v5
	v_add_f32_e32 v1, v1, v96
	v_mul_f32_e32 v128, v112, v155
	v_fmac_f32_e32 v127, v111, v7
	v_add_f32_e32 v2, v2, v125
	v_mul_f32_e32 v7, v115, v134
	v_fma_f32 v4, v112, v6, -v4
	v_add_f32_e32 v1, v1, v5
	v_mul_f32_e32 v3, v114, v134
	v_fmac_f32_e32 v128, v113, v6
	v_add_f32_e32 v2, v2, v127
	s_waitcnt vmcnt(0)
	v_fma_f32 v5, v114, v8, -v7
	v_add_f32_e32 v1, v1, v4
	v_fmac_f32_e32 v3, v115, v8
	v_add_f32_e32 v2, v2, v128
	v_add_f32_e32 v1, v1, v5
	;; [unrolled: 1-line block ×3, first 2 shown]
	v_sub_f32_e32 v1, v157, v1
	v_sub_f32_e32 v2, v146, v2
	buffer_store_dword v1, off, s[0:3], 0 offset:48
	buffer_store_dword v2, off, s[0:3], 0 offset:52
	v_cmpx_lt_u32_e32 5, v0
	s_cbranch_execz .LBB42_261
; %bb.260:
	s_clause 0x1
	buffer_load_dword v1, off, s[0:3], 0 offset:40
	buffer_load_dword v2, off, s[0:3], 0 offset:44
	v_mov_b32_e32 v3, 0
	buffer_store_dword v3, off, s[0:3], 0 offset:40
	buffer_store_dword v3, off, s[0:3], 0 offset:44
	s_waitcnt vmcnt(0)
	ds_write_b64 v95, v[1:2]
.LBB42_261:
	s_or_b32 exec_lo, exec_lo, s4
	s_waitcnt lgkmcnt(0)
	s_waitcnt_vscnt null, 0x0
	s_barrier
	buffer_gl0_inv
	s_clause 0x2b
	buffer_load_dword v127, off, s[0:3], 0 offset:52
	buffer_load_dword v2, off, s[0:3], 0 offset:64
	buffer_load_dword v5, off, s[0:3], 0 offset:56
	buffer_load_dword v97, off, s[0:3], 0 offset:48
	buffer_load_dword v96, off, s[0:3], 0 offset:60
	buffer_load_dword v7, off, s[0:3], 0 offset:68
	buffer_load_dword v4, off, s[0:3], 0 offset:76
	buffer_load_dword v3, off, s[0:3], 0 offset:96
	buffer_load_dword v6, off, s[0:3], 0 offset:88
	buffer_load_dword v98, off, s[0:3], 0 offset:80
	buffer_load_dword v101, off, s[0:3], 0 offset:72
	buffer_load_dword v100, off, s[0:3], 0 offset:84
	buffer_load_dword v99, off, s[0:3], 0 offset:92
	buffer_load_dword v8, off, s[0:3], 0 offset:100
	buffer_load_dword v102, off, s[0:3], 0 offset:108
	buffer_load_dword v103, off, s[0:3], 0 offset:128
	buffer_load_dword v104, off, s[0:3], 0 offset:120
	buffer_load_dword v106, off, s[0:3], 0 offset:112
	buffer_load_dword v110, off, s[0:3], 0 offset:104
	buffer_load_dword v109, off, s[0:3], 0 offset:116
	buffer_load_dword v107, off, s[0:3], 0 offset:124
	buffer_load_dword v105, off, s[0:3], 0 offset:132
	buffer_load_dword v108, off, s[0:3], 0 offset:140
	buffer_load_dword v111, off, s[0:3], 0 offset:160
	buffer_load_dword v112, off, s[0:3], 0 offset:152
	buffer_load_dword v115, off, s[0:3], 0 offset:144
	buffer_load_dword v119, off, s[0:3], 0 offset:136
	buffer_load_dword v118, off, s[0:3], 0 offset:148
	buffer_load_dword v117, off, s[0:3], 0 offset:156
	buffer_load_dword v113, off, s[0:3], 0 offset:164
	buffer_load_dword v116, off, s[0:3], 0 offset:172
	buffer_load_dword v114, off, s[0:3], 0 offset:192
	buffer_load_dword v121, off, s[0:3], 0 offset:184
	buffer_load_dword v124, off, s[0:3], 0 offset:176
	buffer_load_dword v126, off, s[0:3], 0 offset:168
	buffer_load_dword v125, off, s[0:3], 0 offset:180
	buffer_load_dword v123, off, s[0:3], 0 offset:188
	buffer_load_dword v120, off, s[0:3], 0 offset:196
	buffer_load_dword v122, off, s[0:3], 0 offset:204
	buffer_load_dword v140, off, s[0:3], 0 offset:224
	buffer_load_dword v141, off, s[0:3], 0 offset:216
	buffer_load_dword v142, off, s[0:3], 0 offset:208
	buffer_load_dword v143, off, s[0:3], 0 offset:200
	buffer_load_dword v144, off, s[0:3], 0 offset:212
	v_mov_b32_e32 v1, 0
	ds_read_b128 v[128:131], v1 offset:400
	ds_read_b128 v[132:135], v1 offset:416
	;; [unrolled: 1-line block ×3, first 2 shown]
	buffer_load_dword v146, off, s[0:3], 0 offset:44
	s_mov_b32 s4, exec_lo
	s_waitcnt vmcnt(44) lgkmcnt(2)
	v_mul_f32_e32 v145, v128, v127
	v_mul_f32_e32 v127, v129, v127
	s_waitcnt vmcnt(40)
	v_mul_f32_e32 v148, v130, v96
	v_mul_f32_e32 v96, v131, v96
	v_fmac_f32_e32 v145, v129, v97
	v_fma_f32 v147, v128, v97, -v127
	s_waitcnt vmcnt(39) lgkmcnt(1)
	v_mul_f32_e32 v150, v132, v7
	v_fmac_f32_e32 v148, v131, v5
	v_fma_f32 v149, v130, v5, -v96
	v_mul_f32_e32 v5, v133, v7
	ds_read_b128 v[127:130], v1 offset:448
	v_fmac_f32_e32 v150, v133, v2
	s_waitcnt vmcnt(38)
	v_mul_f32_e32 v152, v134, v4
	v_fma_f32 v151, v132, v2, -v5
	v_mul_f32_e32 v2, v135, v4
	s_waitcnt vmcnt(34)
	v_fmac_f32_e32 v152, v135, v101
	s_waitcnt vmcnt(33) lgkmcnt(1)
	v_mul_f32_e32 v135, v136, v100
	v_fma_f32 v101, v134, v101, -v2
	v_mul_f32_e32 v2, v137, v100
	ds_read_b128 v[131:134], v1 offset:464
	v_fmac_f32_e32 v135, v137, v98
	v_fma_f32 v100, v136, v98, -v2
	s_waitcnt vmcnt(32)
	v_mul_f32_e32 v136, v138, v99
	v_mul_f32_e32 v2, v139, v99
	ds_read_b128 v[96:99], v1 offset:496
	v_fmac_f32_e32 v136, v139, v6
	v_fma_f32 v137, v138, v6, -v2
	s_waitcnt vmcnt(31) lgkmcnt(2)
	v_mul_f32_e32 v2, v128, v8
	ds_read_b128 v[4:7], v1 offset:480
	v_mul_f32_e32 v138, v127, v8
	v_fma_f32 v8, v127, v3, -v2
	s_waitcnt vmcnt(30)
	v_mul_f32_e32 v2, v130, v102
	v_mul_f32_e32 v127, v129, v102
	v_fmac_f32_e32 v138, v128, v3
	s_waitcnt vmcnt(24) lgkmcnt(2)
	v_mul_f32_e32 v128, v133, v107
	v_fma_f32 v102, v129, v110, -v2
	v_mul_f32_e32 v2, v132, v109
	v_fmac_f32_e32 v127, v130, v110
	v_mul_f32_e32 v110, v131, v109
	v_fmac_f32_e32 v128, v134, v104
	v_fma_f32 v109, v131, v106, -v2
	v_mul_f32_e32 v2, v134, v107
	v_fmac_f32_e32 v110, v132, v106
	s_waitcnt vmcnt(23) lgkmcnt(0)
	v_mul_f32_e32 v130, v4, v105
	s_waitcnt vmcnt(22)
	v_mul_f32_e32 v131, v6, v108
	v_fma_f32 v129, v133, v104, -v2
	v_mul_f32_e32 v2, v5, v105
	ds_read_b128 v[104:107], v1 offset:512
	v_fmac_f32_e32 v130, v5, v103
	s_waitcnt vmcnt(18)
	v_fmac_f32_e32 v131, v7, v119
	v_fma_f32 v103, v4, v103, -v2
	v_mul_f32_e32 v2, v7, v108
	s_waitcnt vmcnt(17)
	v_mul_f32_e32 v7, v96, v118
	s_waitcnt vmcnt(16)
	v_mul_f32_e32 v108, v98, v117
	v_mul_f32_e32 v117, v99, v117
	v_fma_f32 v6, v6, v119, -v2
	v_mul_f32_e32 v2, v97, v118
	v_fmac_f32_e32 v7, v97, v115
	v_fmac_f32_e32 v108, v99, v112
	v_fma_f32 v112, v98, v112, -v117
	v_add_f32_e32 v98, 0, v145
	v_fma_f32 v115, v96, v115, -v2
	ds_read_b128 v[2:5], v1 offset:528
	s_clause 0x2
	buffer_load_dword v117, off, s[0:3], 0 offset:220
	buffer_load_dword v118, off, s[0:3], 0 offset:228
	buffer_load_dword v132, off, s[0:3], 0 offset:236
	s_waitcnt vmcnt(18) lgkmcnt(1)
	v_mul_f32_e32 v119, v104, v113
	v_mul_f32_e32 v96, v105, v113
	s_waitcnt vmcnt(17)
	v_mul_f32_e32 v113, v106, v116
	v_mul_f32_e32 v97, v107, v116
	v_fmac_f32_e32 v119, v105, v111
	v_fma_f32 v104, v104, v111, -v96
	s_waitcnt vmcnt(13)
	v_fmac_f32_e32 v113, v107, v126
	v_fma_f32 v105, v106, v126, -v97
	v_add_f32_e32 v107, v98, v148
	ds_read_b128 v[96:99], v1 offset:544
	v_add_f32_e32 v106, 0, v147
	v_add_f32_e32 v107, v107, v150
	;; [unrolled: 1-line block ×3, first 2 shown]
	s_waitcnt vmcnt(12) lgkmcnt(1)
	v_mul_f32_e32 v111, v2, v125
	v_mul_f32_e32 v116, v3, v125
	s_clause 0x3
	buffer_load_dword v125, off, s[0:3], 0 offset:256
	buffer_load_dword v126, off, s[0:3], 0 offset:248
	;; [unrolled: 1-line block ×4, first 2 shown]
	v_fmac_f32_e32 v111, v3, v124
	v_fma_f32 v116, v2, v124, -v116
	s_clause 0x1
	buffer_load_dword v124, off, s[0:3], 0 offset:244
	buffer_load_dword v139, off, s[0:3], 0 offset:252
	v_add_f32_e32 v2, v106, v151
	v_add_f32_e32 v3, v107, v152
	s_waitcnt vmcnt(17)
	v_mul_f32_e32 v106, v4, v123
	v_mul_f32_e32 v107, v5, v123
	buffer_load_dword v123, off, s[0:3], 0 offset:260
	v_add_f32_e32 v2, v2, v101
	v_add_f32_e32 v3, v3, v135
	v_fmac_f32_e32 v106, v5, v121
	v_fma_f32 v107, v4, v121, -v107
	s_clause 0x3
	buffer_load_dword v121, off, s[0:3], 0 offset:268
	buffer_load_dword v135, off, s[0:3], 0 offset:276
	buffer_load_dword v145, off, s[0:3], 0 offset:284
	buffer_load_dword v147, off, s[0:3], 0 offset:292
	v_add_f32_e32 v100, v2, v100
	v_add_f32_e32 v101, v3, v136
	ds_read_b128 v[2:5], v1 offset:560
	s_waitcnt vmcnt(21) lgkmcnt(1)
	v_mul_f32_e32 v136, v96, v120
	v_mul_f32_e32 v120, v97, v120
	v_add_f32_e32 v100, v100, v137
	v_add_f32_e32 v101, v101, v138
	s_waitcnt vmcnt(20)
	v_mul_f32_e32 v137, v98, v122
	v_fmac_f32_e32 v136, v97, v114
	v_fma_f32 v114, v96, v114, -v120
	v_add_f32_e32 v8, v100, v8
	v_add_f32_e32 v96, v101, v127
	v_mul_f32_e32 v100, v99, v122
	s_clause 0x4
	buffer_load_dword v120, off, s[0:3], 0 offset:300
	buffer_load_dword v122, off, s[0:3], 0 offset:308
	;; [unrolled: 1-line block ×5, first 2 shown]
	v_add_f32_e32 v8, v8, v102
	s_clause 0x4
	buffer_load_dword v149, off, s[0:3], 0 offset:288
	buffer_load_dword v150, off, s[0:3], 0 offset:280
	;; [unrolled: 1-line block ×5, first 2 shown]
	v_add_f32_e32 v96, v96, v110
	s_waitcnt vmcnt(26)
	v_fmac_f32_e32 v137, v99, v143
	v_fma_f32 v143, v98, v143, -v100
	v_add_f32_e32 v8, v8, v109
	v_add_f32_e32 v96, v96, v128
	s_waitcnt vmcnt(25) lgkmcnt(0)
	v_mul_f32_e32 v101, v3, v144
	v_mul_f32_e32 v128, v2, v144
	v_add_f32_e32 v8, v8, v129
	v_add_f32_e32 v100, v96, v130
	ds_read_b128 v[96:99], v1 offset:576
	v_fma_f32 v109, v2, v142, -v101
	v_add_f32_e32 v8, v8, v103
	v_fmac_f32_e32 v128, v3, v142
	v_add_f32_e32 v100, v100, v131
	v_add_f32_e32 v2, v8, v6
	s_clause 0x3
	buffer_load_dword v8, off, s[0:3], 0 offset:320
	buffer_load_dword v129, off, s[0:3], 0 offset:312
	;; [unrolled: 1-line block ×4, first 2 shown]
	v_add_f32_e32 v3, v100, v7
	v_add_f32_e32 v2, v2, v115
	s_clause 0x1
	buffer_load_dword v115, off, s[0:3], 0 offset:336
	buffer_load_dword v142, off, s[0:3], 0 offset:328
	v_add_f32_e32 v3, v3, v108
	ds_read_b128 v[100:103], v1 offset:608
	v_add_f32_e32 v2, v2, v112
	buffer_load_dword v112, off, s[0:3], 0 offset:40
	v_add_f32_e32 v6, v3, v119
	v_add_f32_e32 v7, v2, v104
	;; [unrolled: 1-line block ×11, first 2 shown]
	s_waitcnt vmcnt(30)
	v_mul_f32_e32 v119, v4, v117
	v_mul_f32_e32 v3, v5, v117
	s_waitcnt vmcnt(29) lgkmcnt(1)
	v_mul_f32_e32 v104, v97, v118
	v_mul_f32_e32 v113, v96, v118
	s_waitcnt vmcnt(28)
	v_mul_f32_e32 v105, v99, v132
	v_fmac_f32_e32 v119, v5, v141
	v_fma_f32 v117, v4, v141, -v3
	ds_read_b128 v[2:5], v1 offset:592
	v_fma_f32 v116, v96, v140, -v104
	v_mul_f32_e32 v118, v98, v132
	v_fmac_f32_e32 v113, v97, v140
	s_waitcnt vmcnt(24)
	v_fma_f32 v132, v98, v134, -v105
	v_fmac_f32_e32 v118, v99, v134
	ds_read_b128 v[96:99], v1 offset:624
	ds_read_b128 v[104:107], v1 offset:640
	s_waitcnt vmcnt(23) lgkmcnt(2)
	v_mul_f32_e32 v114, v2, v124
	v_mul_f32_e32 v108, v3, v124
	s_waitcnt vmcnt(22)
	v_mul_f32_e32 v124, v4, v139
	v_mul_f32_e32 v134, v5, v139
	v_fmac_f32_e32 v114, v3, v133
	v_fma_f32 v133, v2, v133, -v108
	v_add_f32_e32 v2, v6, v137
	v_add_f32_e32 v6, v7, v109
	v_fmac_f32_e32 v124, v5, v126
	v_fma_f32 v126, v4, v126, -v134
	s_waitcnt vmcnt(21)
	v_mul_f32_e32 v134, v100, v123
	v_add_f32_e32 v128, v2, v128
	v_add_f32_e32 v117, v6, v117
	ds_read_b128 v[108:111], v1 offset:656
	ds_read_b128 v[2:5], v1 offset:672
	v_fmac_f32_e32 v134, v101, v125
	v_add_f32_e32 v119, v128, v119
	v_add_f32_e32 v116, v117, v116
	v_mul_f32_e32 v117, v101, v123
	s_waitcnt vmcnt(20)
	v_mul_f32_e32 v128, v102, v121
	v_mul_f32_e32 v121, v103, v121
	v_add_f32_e32 v113, v119, v113
	v_add_f32_e32 v116, v116, v132
	v_fma_f32 v100, v100, v125, -v117
	s_waitcnt vmcnt(19) lgkmcnt(3)
	v_mul_f32_e32 v119, v96, v135
	v_mul_f32_e32 v125, v97, v135
	v_add_f32_e32 v113, v113, v118
	v_add_f32_e32 v116, v116, v133
	s_waitcnt vmcnt(8)
	v_fma_f32 v102, v102, v152, -v121
	v_fmac_f32_e32 v128, v103, v152
	v_fmac_f32_e32 v119, v97, v151
	v_add_f32_e32 v113, v113, v114
	v_add_f32_e32 v116, v116, v126
	v_fma_f32 v96, v96, v151, -v125
	v_mul_f32_e32 v123, v98, v145
	s_waitcnt lgkmcnt(2)
	v_mul_f32_e32 v132, v104, v147
	v_add_f32_e32 v113, v113, v124
	v_add_f32_e32 v100, v116, v100
	v_mul_f32_e32 v118, v106, v120
	v_fmac_f32_e32 v123, v99, v150
	v_fmac_f32_e32 v132, v105, v149
	v_add_f32_e32 v103, v113, v134
	v_mul_f32_e32 v113, v99, v145
	v_add_f32_e32 v97, v100, v102
	v_mul_f32_e32 v102, v105, v147
	v_mul_f32_e32 v99, v107, v120
	v_add_f32_e32 v100, v103, v128
	v_fma_f32 v98, v98, v150, -v113
	v_add_f32_e32 v96, v97, v96
	ds_read_b64 v[6:7], v1 offset:688
	s_waitcnt vmcnt(3)
	v_fma_f32 v99, v106, v131, -v99
	v_add_f32_e32 v97, v100, v119
	v_fma_f32 v100, v104, v149, -v102
	v_add_f32_e32 v96, v96, v98
	s_waitcnt lgkmcnt(2)
	v_mul_f32_e32 v98, v109, v122
	v_mul_f32_e32 v133, v108, v122
	v_add_f32_e32 v97, v97, v123
	v_fmac_f32_e32 v118, v107, v131
	v_add_f32_e32 v96, v96, v100
	v_mul_f32_e32 v100, v111, v127
	v_fma_f32 v98, v108, v130, -v98
	v_add_f32_e32 v97, v97, v132
	v_mul_f32_e32 v101, v110, v127
	v_add_f32_e32 v96, v96, v99
	v_fmac_f32_e32 v133, v109, v130
	s_waitcnt lgkmcnt(1)
	v_mul_f32_e32 v114, v2, v138
	v_add_f32_e32 v97, v97, v118
	v_mul_f32_e32 v99, v3, v138
	v_fma_f32 v100, v110, v129, -v100
	v_add_f32_e32 v96, v96, v98
	v_fmac_f32_e32 v101, v111, v129
	v_add_f32_e32 v97, v97, v133
	v_mul_f32_e32 v98, v5, v148
	v_fmac_f32_e32 v114, v3, v8
	v_fma_f32 v2, v2, v8, -v99
	v_add_f32_e32 v3, v96, v100
	v_mul_f32_e32 v117, v4, v148
	v_add_f32_e32 v8, v97, v101
	s_waitcnt lgkmcnt(0)
	v_mul_f32_e32 v96, v7, v153
	s_waitcnt vmcnt(1)
	v_fma_f32 v4, v4, v142, -v98
	v_add_f32_e32 v2, v3, v2
	v_mul_f32_e32 v124, v6, v153
	v_fmac_f32_e32 v117, v5, v142
	v_add_f32_e32 v3, v8, v114
	v_fma_f32 v5, v6, v115, -v96
	v_add_f32_e32 v2, v2, v4
	v_fmac_f32_e32 v124, v7, v115
	v_add_f32_e32 v3, v3, v117
	v_add_f32_e32 v2, v2, v5
	;; [unrolled: 1-line block ×3, first 2 shown]
	s_waitcnt vmcnt(0)
	v_sub_f32_e32 v2, v112, v2
	v_sub_f32_e32 v3, v146, v3
	buffer_store_dword v2, off, s[0:3], 0 offset:40
	buffer_store_dword v3, off, s[0:3], 0 offset:44
	v_cmpx_lt_u32_e32 4, v0
	s_cbranch_execz .LBB42_263
; %bb.262:
	s_clause 0x1
	buffer_load_dword v2, off, s[0:3], 0 offset:32
	buffer_load_dword v3, off, s[0:3], 0 offset:36
	buffer_store_dword v1, off, s[0:3], 0 offset:32
	buffer_store_dword v1, off, s[0:3], 0 offset:36
	s_waitcnt vmcnt(0)
	ds_write_b64 v95, v[2:3]
.LBB42_263:
	s_or_b32 exec_lo, exec_lo, s4
	s_waitcnt lgkmcnt(0)
	s_waitcnt_vscnt null, 0x0
	s_barrier
	buffer_gl0_inv
	s_clause 0x2b
	buffer_load_dword v127, off, s[0:3], 0 offset:44
	buffer_load_dword v2, off, s[0:3], 0 offset:56
	;; [unrolled: 1-line block ×44, first 2 shown]
	ds_read2_b64 v[128:131], v1 offset0:49 offset1:50
	ds_read2_b64 v[132:135], v1 offset0:51 offset1:52
	;; [unrolled: 1-line block ×3, first 2 shown]
	buffer_load_dword v146, off, s[0:3], 0 offset:36
	s_mov_b32 s4, exec_lo
	s_waitcnt vmcnt(44) lgkmcnt(2)
	v_mul_f32_e32 v145, v128, v127
	v_mul_f32_e32 v127, v129, v127
	s_waitcnt vmcnt(40)
	v_mul_f32_e32 v148, v130, v96
	v_mul_f32_e32 v96, v131, v96
	s_waitcnt vmcnt(39) lgkmcnt(1)
	v_mul_f32_e32 v150, v132, v7
	v_fmac_f32_e32 v145, v129, v97
	v_fma_f32 v147, v128, v97, -v127
	v_fmac_f32_e32 v148, v131, v5
	v_fma_f32 v149, v130, v5, -v96
	v_mul_f32_e32 v5, v133, v7
	ds_read2_b64 v[127:130], v1 offset0:55 offset1:56
	v_fmac_f32_e32 v150, v133, v2
	s_waitcnt vmcnt(38)
	v_mul_f32_e32 v152, v134, v4
	v_fma_f32 v151, v132, v2, -v5
	v_mul_f32_e32 v2, v135, v4
	s_waitcnt vmcnt(34)
	v_fmac_f32_e32 v152, v135, v101
	s_waitcnt vmcnt(33) lgkmcnt(1)
	v_mul_f32_e32 v135, v136, v100
	v_fma_f32 v101, v134, v101, -v2
	v_mul_f32_e32 v2, v137, v100
	ds_read2_b64 v[131:134], v1 offset0:57 offset1:58
	v_fmac_f32_e32 v135, v137, v98
	v_fma_f32 v100, v136, v98, -v2
	s_waitcnt vmcnt(32)
	v_mul_f32_e32 v136, v138, v99
	v_mul_f32_e32 v2, v139, v99
	ds_read2_b64 v[96:99], v1 offset0:61 offset1:62
	v_fmac_f32_e32 v136, v139, v6
	v_fma_f32 v137, v138, v6, -v2
	ds_read2_b64 v[4:7], v1 offset0:59 offset1:60
	s_waitcnt vmcnt(31) lgkmcnt(3)
	v_mul_f32_e32 v2, v128, v8
	v_mul_f32_e32 v138, v127, v8
	s_waitcnt vmcnt(30)
	v_mul_f32_e32 v139, v129, v102
	v_fma_f32 v8, v127, v3, -v2
	v_mul_f32_e32 v2, v130, v102
	s_waitcnt vmcnt(26)
	v_fmac_f32_e32 v139, v130, v110
	v_fmac_f32_e32 v138, v128, v3
	s_waitcnt vmcnt(24) lgkmcnt(2)
	v_mul_f32_e32 v3, v134, v108
	v_fma_f32 v102, v129, v110, -v2
	v_mul_f32_e32 v110, v131, v109
	v_mul_f32_e32 v2, v132, v109
	;; [unrolled: 1-line block ×3, first 2 shown]
	ds_read2_b64 v[127:130], v1 offset0:63 offset1:64
	v_fmac_f32_e32 v110, v132, v106
	v_fma_f32 v106, v131, v106, -v2
	s_waitcnt vmcnt(23) lgkmcnt(1)
	v_mul_f32_e32 v108, v4, v105
	v_mul_f32_e32 v2, v5, v105
	s_waitcnt vmcnt(22)
	v_mul_f32_e32 v105, v6, v107
	v_fmac_f32_e32 v109, v134, v104
	v_fma_f32 v104, v133, v104, -v3
	v_fmac_f32_e32 v108, v5, v103
	v_fma_f32 v103, v4, v103, -v2
	v_mul_f32_e32 v2, v7, v107
	s_waitcnt vmcnt(18)
	v_fmac_f32_e32 v105, v7, v120
	s_clause 0x1
	buffer_load_dword v7, off, s[0:3], 0 offset:212
	buffer_load_dword v107, off, s[0:3], 0 offset:220
	s_waitcnt vmcnt(18)
	v_mul_f32_e32 v3, v99, v117
	v_fma_f32 v6, v6, v120, -v2
	v_mul_f32_e32 v120, v96, v118
	v_mul_f32_e32 v2, v97, v118
	;; [unrolled: 1-line block ×3, first 2 shown]
	s_waitcnt vmcnt(17) lgkmcnt(0)
	v_mul_f32_e32 v117, v127, v116
	v_mul_f32_e32 v116, v128, v116
	v_fmac_f32_e32 v120, v97, v114
	v_fma_f32 v114, v96, v114, -v2
	s_waitcnt vmcnt(16)
	v_mul_f32_e32 v131, v129, v121
	v_mul_f32_e32 v96, v130, v121
	v_fmac_f32_e32 v118, v99, v113
	v_fma_f32 v113, v98, v113, -v3
	ds_read2_b64 v[2:5], v1 offset0:65 offset1:66
	v_fmac_f32_e32 v117, v128, v111
	v_fma_f32 v111, v127, v111, -v116
	s_waitcnt vmcnt(12)
	v_fmac_f32_e32 v131, v130, v126
	v_fma_f32 v116, v129, v126, -v96
	s_clause 0x7
	buffer_load_dword v121, off, s[0:3], 0 offset:228
	buffer_load_dword v126, off, s[0:3], 0 offset:248
	buffer_load_dword v127, off, s[0:3], 0 offset:240
	buffer_load_dword v128, off, s[0:3], 0 offset:232
	buffer_load_dword v129, off, s[0:3], 0 offset:224
	buffer_load_dword v130, off, s[0:3], 0 offset:236
	buffer_load_dword v132, off, s[0:3], 0 offset:244
	buffer_load_dword v133, off, s[0:3], 0 offset:252
	v_add_f32_e32 v96, 0, v145
	v_add_f32_e32 v97, 0, v147
	;; [unrolled: 1-line block ×6, first 2 shown]
	s_waitcnt vmcnt(19) lgkmcnt(0)
	v_mul_f32_e32 v145, v2, v125
	v_mul_f32_e32 v125, v3, v125
	v_add_f32_e32 v134, v96, v152
	v_add_f32_e32 v101, v97, v101
	ds_read2_b64 v[96:99], v1 offset0:67 offset1:68
	v_fmac_f32_e32 v145, v3, v123
	v_fma_f32 v123, v2, v123, -v125
	v_add_f32_e32 v134, v134, v135
	v_add_f32_e32 v100, v101, v100
	s_waitcnt vmcnt(18)
	v_mul_f32_e32 v135, v4, v124
	v_mul_f32_e32 v101, v5, v124
	v_add_f32_e32 v3, v134, v136
	v_add_f32_e32 v100, v100, v137
	v_fmac_f32_e32 v135, v5, v122
	v_fma_f32 v122, v4, v122, -v101
	v_add_f32_e32 v2, v3, v138
	v_add_f32_e32 v3, v100, v8
	s_clause 0x7
	buffer_load_dword v8, off, s[0:3], 0 offset:260
	buffer_load_dword v124, off, s[0:3], 0 offset:268
	;; [unrolled: 1-line block ×8, first 2 shown]
	v_add_f32_e32 v2, v2, v139
	v_add_f32_e32 v3, v3, v102
	s_waitcnt vmcnt(25) lgkmcnt(0)
	v_mul_f32_e32 v148, v96, v119
	v_mul_f32_e32 v4, v97, v119
	s_clause 0x3
	buffer_load_dword v119, off, s[0:3], 0 offset:292
	buffer_load_dword v139, off, s[0:3], 0 offset:300
	;; [unrolled: 1-line block ×4, first 2 shown]
	v_add_f32_e32 v2, v2, v110
	s_clause 0x1
	buffer_load_dword v151, off, s[0:3], 0 offset:324
	buffer_load_dword v152, off, s[0:3], 0 offset:332
	v_fmac_f32_e32 v148, v97, v112
	v_fma_f32 v112, v96, v112, -v4
	v_add_f32_e32 v96, v3, v106
	s_waitcnt vmcnt(30)
	v_mul_f32_e32 v3, v99, v115
	v_mul_f32_e32 v110, v98, v115
	v_add_f32_e32 v97, v2, v109
	buffer_load_dword v153, off, s[0:3], 0 offset:340
	v_add_f32_e32 v96, v96, v104
	s_waitcnt vmcnt(27)
	v_fma_f32 v109, v98, v143, -v3
	ds_read2_b64 v[2:5], v1 offset0:69 offset1:70
	v_fmac_f32_e32 v110, v99, v143
	v_add_f32_e32 v97, v97, v108
	s_clause 0x3
	buffer_load_dword v143, off, s[0:3], 0 offset:312
	buffer_load_dword v154, off, s[0:3], 0 offset:304
	buffer_load_dword v155, off, s[0:3], 0 offset:296
	buffer_load_dword v156, off, s[0:3], 0 offset:288
	v_add_f32_e32 v96, v96, v103
	v_add_f32_e32 v97, v97, v105
	;; [unrolled: 1-line block ×4, first 2 shown]
	ds_read2_b64 v[96:99], v1 offset0:71 offset1:72
	v_add_f32_e32 v6, v6, v114
	v_add_f32_e32 v100, v100, v118
	s_waitcnt vmcnt(30) lgkmcnt(1)
	v_mul_f32_e32 v108, v2, v144
	v_mul_f32_e32 v101, v3, v144
	v_fmac_f32_e32 v108, v3, v142
	v_fma_f32 v114, v2, v142, -v101
	v_add_f32_e32 v2, v6, v113
	v_add_f32_e32 v3, v100, v117
	s_clause 0x3
	buffer_load_dword v6, off, s[0:3], 0 offset:336
	buffer_load_dword v117, off, s[0:3], 0 offset:328
	buffer_load_dword v118, off, s[0:3], 0 offset:320
	buffer_load_dword v120, off, s[0:3], 0 offset:32
	v_add_f32_e32 v2, v2, v111
	v_add_f32_e32 v3, v3, v131
	;; [unrolled: 1-line block ×6, first 2 shown]
	ds_read2_b64 v[100:103], v1 offset0:75 offset1:76
	v_add_f32_e32 v105, v105, v122
	v_add_f32_e32 v115, v104, v148
	;; [unrolled: 1-line block ×6, first 2 shown]
	s_waitcnt vmcnt(32)
	v_mul_f32_e32 v111, v4, v7
	v_mul_f32_e32 v7, v5, v7
	s_waitcnt vmcnt(31) lgkmcnt(1)
	v_mul_f32_e32 v113, v96, v107
	v_mul_f32_e32 v106, v97, v107
	v_fmac_f32_e32 v111, v5, v141
	v_fma_f32 v7, v4, v141, -v7
	ds_read2_b64 v[2:5], v1 offset0:73 offset1:74
	v_fmac_f32_e32 v113, v97, v140
	s_waitcnt vmcnt(30)
	v_mul_f32_e32 v116, v98, v121
	v_mul_f32_e32 v107, v99, v121
	v_fma_f32 v121, v96, v140, -v106
	s_waitcnt vmcnt(26)
	v_fmac_f32_e32 v116, v99, v129
	v_fma_f32 v122, v98, v129, -v107
	ds_read2_b64 v[96:99], v1 offset0:77 offset1:78
	ds_read2_b64 v[104:107], v1 offset0:79 offset1:80
	s_waitcnt vmcnt(23) lgkmcnt(3)
	v_mul_f32_e32 v131, v101, v133
	s_waitcnt lgkmcnt(2)
	v_mul_f32_e32 v123, v2, v130
	v_mul_f32_e32 v112, v3, v130
	;; [unrolled: 1-line block ×5, first 2 shown]
	v_fmac_f32_e32 v123, v3, v128
	v_fma_f32 v128, v2, v128, -v112
	v_add_f32_e32 v112, v109, v114
	v_add_f32_e32 v114, v108, v111
	v_fmac_f32_e32 v129, v5, v127
	v_fma_f32 v127, v4, v127, -v115
	ds_read2_b64 v[2:5], v1 offset0:81 offset1:82
	ds_read2_b64 v[108:111], v1 offset0:83 offset1:84
	v_add_f32_e32 v7, v112, v7
	v_fmac_f32_e32 v130, v101, v126
	v_add_f32_e32 v101, v114, v113
	ds_read2_b64 v[112:115], v1 offset0:85 offset1:86
	v_fma_f32 v100, v100, v126, -v131
	v_add_f32_e32 v1, v7, v121
	v_add_f32_e32 v101, v101, v116
	s_waitcnt vmcnt(22)
	v_mul_f32_e32 v7, v102, v8
	v_add_f32_e32 v1, v1, v122
	v_mul_f32_e32 v8, v103, v8
	v_add_f32_e32 v101, v101, v123
	s_waitcnt vmcnt(21) lgkmcnt(4)
	v_mul_f32_e32 v122, v97, v124
	v_mul_f32_e32 v116, v96, v124
	v_add_f32_e32 v1, v1, v128
	s_waitcnt vmcnt(15)
	v_fma_f32 v8, v102, v147, -v8
	v_add_f32_e32 v101, v101, v129
	v_fmac_f32_e32 v7, v103, v147
	v_mul_f32_e32 v121, v98, v125
	v_add_f32_e32 v1, v1, v127
	v_mul_f32_e32 v125, v99, v125
	v_fma_f32 v96, v96, v138, -v122
	v_fmac_f32_e32 v116, v97, v138
	s_waitcnt lgkmcnt(3)
	v_mul_f32_e32 v102, v104, v134
	v_add_f32_e32 v1, v1, v100
	v_add_f32_e32 v100, v101, v130
	v_fma_f32 v97, v98, v137, -v125
	v_fmac_f32_e32 v121, v99, v137
	s_waitcnt vmcnt(14)
	v_mul_f32_e32 v103, v106, v119
	v_add_f32_e32 v1, v1, v8
	v_add_f32_e32 v7, v100, v7
	v_mul_f32_e32 v8, v105, v134
	v_fmac_f32_e32 v102, v105, v136
	s_waitcnt vmcnt(13) lgkmcnt(2)
	v_mul_f32_e32 v123, v2, v139
	v_add_f32_e32 v1, v1, v96
	v_add_f32_e32 v7, v7, v116
	v_mul_f32_e32 v96, v107, v119
	v_fma_f32 v8, v104, v136, -v8
	s_waitcnt vmcnt(4)
	v_fmac_f32_e32 v103, v107, v156
	v_add_f32_e32 v1, v1, v97
	v_add_f32_e32 v7, v7, v121
	v_mul_f32_e32 v97, v3, v139
	v_fma_f32 v96, v106, v156, -v96
	v_mul_f32_e32 v124, v4, v149
	v_add_f32_e32 v1, v1, v8
	v_add_f32_e32 v7, v7, v102
	v_mul_f32_e32 v8, v5, v149
	v_fma_f32 v2, v2, v155, -v97
	v_fmac_f32_e32 v123, v3, v155
	v_add_f32_e32 v1, v1, v96
	v_add_f32_e32 v3, v7, v103
	s_waitcnt lgkmcnt(1)
	v_mul_f32_e32 v7, v109, v150
	v_fma_f32 v4, v4, v154, -v8
	v_mul_f32_e32 v126, v108, v150
	v_add_f32_e32 v1, v1, v2
	v_fmac_f32_e32 v124, v5, v154
	v_add_f32_e32 v2, v3, v123
	v_mul_f32_e32 v3, v111, v151
	v_fma_f32 v5, v108, v143, -v7
	v_add_f32_e32 v1, v1, v4
	v_mul_f32_e32 v127, v110, v151
	v_fmac_f32_e32 v126, v109, v143
	v_add_f32_e32 v2, v2, v124
	s_waitcnt lgkmcnt(0)
	v_mul_f32_e32 v4, v113, v152
	s_waitcnt vmcnt(1)
	v_fma_f32 v3, v110, v118, -v3
	v_add_f32_e32 v1, v1, v5
	v_mul_f32_e32 v128, v112, v152
	v_fmac_f32_e32 v127, v111, v118
	v_add_f32_e32 v2, v2, v126
	v_mul_f32_e32 v5, v115, v153
	v_fma_f32 v4, v112, v117, -v4
	v_add_f32_e32 v1, v1, v3
	v_mul_f32_e32 v101, v114, v153
	v_fmac_f32_e32 v128, v113, v117
	v_add_f32_e32 v2, v2, v127
	v_fma_f32 v3, v114, v6, -v5
	v_add_f32_e32 v1, v1, v4
	v_fmac_f32_e32 v101, v115, v6
	v_add_f32_e32 v2, v2, v128
	v_add_f32_e32 v1, v1, v3
	;; [unrolled: 1-line block ×3, first 2 shown]
	s_waitcnt vmcnt(0)
	v_sub_f32_e32 v1, v120, v1
	v_sub_f32_e32 v2, v146, v2
	buffer_store_dword v1, off, s[0:3], 0 offset:32
	buffer_store_dword v2, off, s[0:3], 0 offset:36
	v_cmpx_lt_u32_e32 3, v0
	s_cbranch_execz .LBB42_265
; %bb.264:
	s_clause 0x1
	buffer_load_dword v1, off, s[0:3], 0 offset:24
	buffer_load_dword v2, off, s[0:3], 0 offset:28
	v_mov_b32_e32 v3, 0
	buffer_store_dword v3, off, s[0:3], 0 offset:24
	buffer_store_dword v3, off, s[0:3], 0 offset:28
	s_waitcnt vmcnt(0)
	ds_write_b64 v95, v[1:2]
.LBB42_265:
	s_or_b32 exec_lo, exec_lo, s4
	s_waitcnt lgkmcnt(0)
	s_waitcnt_vscnt null, 0x0
	s_barrier
	buffer_gl0_inv
	s_clause 0x2c
	buffer_load_dword v126, off, s[0:3], 0 offset:36
	buffer_load_dword v127, off, s[0:3], 0 offset:44
	;; [unrolled: 1-line block ×45, first 2 shown]
	v_mov_b32_e32 v1, 0
	ds_read_b128 v[128:131], v1 offset:384
	ds_read_b128 v[132:135], v1 offset:400
	buffer_load_dword v144, off, s[0:3], 0 offset:28
	s_mov_b32 s4, exec_lo
	s_waitcnt vmcnt(45) lgkmcnt(1)
	v_mul_f32_e32 v142, v128, v126
	v_mul_f32_e32 v126, v129, v126
	s_waitcnt vmcnt(44)
	v_mul_f32_e32 v143, v130, v127
	v_mul_f32_e32 v127, v131, v127
	s_waitcnt vmcnt(41)
	v_fmac_f32_e32 v142, v129, v97
	v_fma_f32 v145, v128, v97, -v126
	s_waitcnt vmcnt(40) lgkmcnt(0)
	v_mul_f32_e32 v147, v132, v4
	v_fma_f32 v146, v130, v7, -v127
	ds_read_b128 v[126:129], v1 offset:416
	s_waitcnt vmcnt(39)
	v_mul_f32_e32 v148, v134, v5
	v_mul_f32_e32 v4, v133, v4
	v_fmac_f32_e32 v143, v131, v7
	v_mul_f32_e32 v5, v135, v5
	v_fmac_f32_e32 v147, v133, v2
	s_waitcnt vmcnt(35)
	v_fmac_f32_e32 v148, v135, v100
	v_fma_f32 v135, v132, v2, -v4
	ds_read_b128 v[130:133], v1 offset:432
	v_fma_f32 v100, v134, v100, -v5
	s_waitcnt vmcnt(34) lgkmcnt(1)
	v_mul_f32_e32 v134, v126, v99
	v_mul_f32_e32 v2, v127, v99
	s_waitcnt vmcnt(33)
	v_mul_f32_e32 v149, v128, v98
	v_mul_f32_e32 v4, v129, v98
	v_fmac_f32_e32 v134, v127, v96
	v_fma_f32 v126, v126, v96, -v2
	v_fmac_f32_e32 v149, v129, v6
	v_fma_f32 v127, v128, v6, -v4
	ds_read_b128 v[4:7], v1 offset:448
	s_waitcnt vmcnt(32) lgkmcnt(1)
	v_mul_f32_e32 v128, v130, v8
	v_mul_f32_e32 v2, v131, v8
	s_waitcnt vmcnt(31)
	v_mul_f32_e32 v8, v132, v101
	v_mul_f32_e32 v96, v133, v101
	v_fmac_f32_e32 v128, v131, v3
	v_fma_f32 v101, v130, v3, -v2
	s_waitcnt vmcnt(27)
	v_fmac_f32_e32 v8, v133, v109
	v_fma_f32 v109, v132, v109, -v96
	ds_read_b128 v[96:99], v1 offset:464
	buffer_load_dword v133, off, s[0:3], 0 offset:220
	s_waitcnt vmcnt(27) lgkmcnt(1)
	v_mul_f32_e32 v129, v4, v107
	v_mul_f32_e32 v2, v5, v107
	s_waitcnt vmcnt(26)
	v_mul_f32_e32 v107, v6, v106
	v_mul_f32_e32 v3, v7, v106
	v_fmac_f32_e32 v129, v5, v105
	v_fma_f32 v105, v4, v105, -v2
	v_fmac_f32_e32 v107, v7, v103
	v_fma_f32 v6, v6, v103, -v3
	ds_read_b128 v[2:5], v1 offset:480
	s_waitcnt vmcnt(25) lgkmcnt(1)
	v_mul_f32_e32 v7, v96, v104
	v_mul_f32_e32 v103, v97, v104
	s_waitcnt vmcnt(24)
	v_mul_f32_e32 v104, v98, v108
	v_mul_f32_e32 v106, v99, v108
	v_fmac_f32_e32 v7, v97, v102
	v_fma_f32 v102, v96, v102, -v103
	s_waitcnt vmcnt(20)
	v_fmac_f32_e32 v104, v99, v117
	v_fma_f32 v103, v98, v117, -v106
	ds_read_b128 v[96:99], v1 offset:496
	s_waitcnt vmcnt(19) lgkmcnt(1)
	v_mul_f32_e32 v106, v2, v115
	v_mul_f32_e32 v108, v3, v115
	s_waitcnt vmcnt(18)
	v_mul_f32_e32 v115, v4, v114
	v_mul_f32_e32 v114, v5, v114
	v_fmac_f32_e32 v106, v3, v113
	v_fma_f32 v108, v2, v113, -v108
	v_fmac_f32_e32 v115, v5, v111
	v_fma_f32 v111, v4, v111, -v114
	ds_read_b128 v[2:5], v1 offset:512
	s_waitcnt vmcnt(17) lgkmcnt(1)
	v_mul_f32_e32 v113, v96, v112
	v_mul_f32_e32 v112, v97, v112
	s_waitcnt vmcnt(16)
	v_mul_f32_e32 v114, v98, v116
	v_mul_f32_e32 v116, v99, v116
	v_fmac_f32_e32 v113, v97, v110
	v_fma_f32 v110, v96, v110, -v112
	s_waitcnt vmcnt(12)
	v_fmac_f32_e32 v114, v99, v124
	v_fma_f32 v112, v98, v124, -v116
	ds_read_b128 v[96:99], v1 offset:528
	s_waitcnt vmcnt(11) lgkmcnt(1)
	v_mul_f32_e32 v116, v2, v123
	v_mul_f32_e32 v117, v3, v123
	s_waitcnt vmcnt(10)
	v_mul_f32_e32 v123, v4, v122
	v_mul_f32_e32 v122, v5, v122
	v_fmac_f32_e32 v116, v3, v121
	v_fma_f32 v117, v2, v121, -v117
	v_fmac_f32_e32 v123, v5, v119
	v_fma_f32 v119, v4, v119, -v122
	ds_read_b128 v[2:5], v1 offset:544
	s_waitcnt vmcnt(8) lgkmcnt(1)
	v_mul_f32_e32 v122, v98, v125
	v_mul_f32_e32 v124, v99, v125
	buffer_load_dword v125, off, s[0:3], 0 offset:212
	v_mul_f32_e32 v121, v96, v120
	v_mul_f32_e32 v120, v97, v120
	s_waitcnt vmcnt(5)
	v_fmac_f32_e32 v122, v99, v139
	v_fmac_f32_e32 v121, v97, v118
	v_fma_f32 v118, v96, v118, -v120
	v_fma_f32 v120, v98, v139, -v124
	ds_read_b128 v[96:99], v1 offset:560
	s_waitcnt vmcnt(4) lgkmcnt(1)
	v_mul_f32_e32 v124, v2, v140
	v_mul_f32_e32 v130, v3, v140
	s_waitcnt vmcnt(3)
	v_mul_f32_e32 v131, v4, v141
	v_mul_f32_e32 v132, v5, v141
	v_fmac_f32_e32 v124, v3, v138
	v_fma_f32 v130, v2, v138, -v130
	v_fmac_f32_e32 v131, v5, v137
	v_fma_f32 v132, v4, v137, -v132
	s_clause 0x4
	buffer_load_dword v137, off, s[0:3], 0 offset:240
	buffer_load_dword v138, off, s[0:3], 0 offset:232
	;; [unrolled: 1-line block ×5, first 2 shown]
	s_waitcnt vmcnt(6) lgkmcnt(0)
	v_mul_f32_e32 v4, v99, v133
	s_waitcnt vmcnt(5)
	v_mul_f32_e32 v140, v96, v125
	v_mul_f32_e32 v3, v97, v125
	;; [unrolled: 1-line block ×3, first 2 shown]
	v_fmac_f32_e32 v140, v97, v136
	v_fma_f32 v133, v96, v136, -v3
	buffer_load_dword v136, off, s[0:3], 0 offset:228
	v_add_f32_e32 v3, 0, v145
	v_add_f32_e32 v3, v3, v146
	v_add_f32_e32 v3, v3, v135
	v_add_f32_e32 v3, v3, v100
	s_waitcnt vmcnt(2)
	v_fmac_f32_e32 v125, v99, v2
	v_fma_f32 v141, v98, v2, -v4
	v_add_f32_e32 v2, 0, v142
	buffer_load_dword v142, off, s[0:3], 0 offset:244
	v_add_f32_e32 v3, v3, v126
	v_add_f32_e32 v2, v2, v143
	buffer_load_dword v143, off, s[0:3], 0 offset:252
	v_add_f32_e32 v3, v3, v127
	v_add_f32_e32 v2, v2, v147
	s_clause 0x3
	buffer_load_dword v145, off, s[0:3], 0 offset:272
	buffer_load_dword v146, off, s[0:3], 0 offset:264
	;; [unrolled: 1-line block ×4, first 2 shown]
	v_add_f32_e32 v3, v3, v101
	v_add_f32_e32 v2, v2, v148
	s_clause 0x1
	buffer_load_dword v135, off, s[0:3], 0 offset:260
	buffer_load_dword v148, off, s[0:3], 0 offset:268
	v_add_f32_e32 v3, v3, v109
	v_add_f32_e32 v2, v2, v134
	buffer_load_dword v134, off, s[0:3], 0 offset:276
	v_add_f32_e32 v3, v3, v105
	v_add_f32_e32 v2, v2, v149
	s_clause 0x3
	buffer_load_dword v126, off, s[0:3], 0 offset:284
	buffer_load_dword v149, off, s[0:3], 0 offset:292
	;; [unrolled: 1-line block ×4, first 2 shown]
	v_add_f32_e32 v3, v3, v6
	v_add_f32_e32 v2, v2, v128
	s_clause 0x1
	buffer_load_dword v127, off, s[0:3], 0 offset:316
	buffer_load_dword v128, off, s[0:3], 0 offset:324
	v_add_f32_e32 v3, v3, v102
	v_add_f32_e32 v2, v2, v8
	s_clause 0x1
	buffer_load_dword v8, off, s[0:3], 0 offset:332
	buffer_load_dword v154, off, s[0:3], 0 offset:340
	;; [unrolled: 5-line block ×3, first 2 shown]
	buffer_load_dword v156, off, s[0:3], 0 offset:288
	buffer_load_dword v157, off, s[0:3], 0 offset:280
	;; [unrolled: 1-line block ×7, first 2 shown]
	v_add_f32_e32 v3, v3, v108
	v_add_f32_e32 v2, v2, v107
	ds_read_b128 v[96:99], v1 offset:592
	v_add_f32_e32 v2, v2, v7
	v_add_f32_e32 v7, v3, v111
	;; [unrolled: 1-line block ×7, first 2 shown]
	ds_read_b128 v[2:5], v1 offset:576
	v_add_f32_e32 v7, v7, v117
	v_add_f32_e32 v6, v6, v113
	;; [unrolled: 1-line block ×6, first 2 shown]
	s_waitcnt vmcnt(27) lgkmcnt(0)
	v_mul_f32_e32 v113, v4, v150
	v_mul_f32_e32 v101, v5, v150
	v_add_f32_e32 v6, v6, v121
	v_fmac_f32_e32 v113, v5, v138
	v_fma_f32 v115, v4, v138, -v101
	v_add_f32_e32 v6, v6, v122
	v_add_f32_e32 v6, v6, v124
	;; [unrolled: 1-line block ×3, first 2 shown]
	s_waitcnt vmcnt(26)
	v_mul_f32_e32 v112, v2, v136
	v_mul_f32_e32 v100, v3, v136
	v_fmac_f32_e32 v112, v3, v139
	v_add_f32_e32 v3, v7, v118
	v_fma_f32 v114, v2, v139, -v100
	v_add_f32_e32 v7, v3, v120
	ds_read_b128 v[2:5], v1 offset:608
	ds_read_b128 v[100:103], v1 offset:624
	v_add_f32_e32 v120, v6, v140
	ds_read_b128 v[104:107], v1 offset:640
	v_add_f32_e32 v7, v7, v130
	v_add_f32_e32 v120, v120, v125
	;; [unrolled: 1-line block ×3, first 2 shown]
	s_waitcnt vmcnt(25)
	v_mul_f32_e32 v108, v97, v142
	v_mul_f32_e32 v116, v96, v142
	v_add_f32_e32 v112, v120, v112
	v_add_f32_e32 v7, v7, v133
	s_waitcnt vmcnt(24)
	v_mul_f32_e32 v118, v99, v143
	v_fma_f32 v119, v96, v137, -v108
	v_mul_f32_e32 v117, v98, v143
	v_fmac_f32_e32 v116, v97, v137
	v_add_f32_e32 v121, v7, v141
	v_add_f32_e32 v112, v112, v113
	s_waitcnt vmcnt(20)
	v_fma_f32 v118, v98, v151, -v118
	v_fmac_f32_e32 v117, v99, v151
	ds_read_b128 v[108:111], v1 offset:656
	v_add_f32_e32 v114, v121, v114
	s_waitcnt vmcnt(19) lgkmcnt(3)
	v_mul_f32_e32 v121, v3, v135
	v_mul_f32_e32 v122, v2, v135
	v_add_f32_e32 v112, v112, v116
	s_waitcnt vmcnt(18)
	v_mul_f32_e32 v124, v5, v148
	v_add_f32_e32 v114, v114, v115
	v_fma_f32 v2, v2, v147, -v121
	v_mul_f32_e32 v123, v4, v148
	v_fmac_f32_e32 v122, v3, v147
	v_add_f32_e32 v112, v112, v117
	v_add_f32_e32 v114, v114, v119
	s_waitcnt vmcnt(17) lgkmcnt(2)
	v_mul_f32_e32 v121, v101, v134
	v_fma_f32 v4, v4, v146, -v124
	v_mul_f32_e32 v120, v100, v134
	v_fmac_f32_e32 v123, v5, v146
	v_add_f32_e32 v114, v114, v118
	v_add_f32_e32 v5, v112, v122
	s_waitcnt vmcnt(16)
	v_mul_f32_e32 v112, v103, v126
	v_fma_f32 v100, v100, v145, -v121
	v_mul_f32_e32 v115, v102, v126
	v_add_f32_e32 v2, v114, v2
	v_fmac_f32_e32 v120, v101, v145
	ds_read_b128 v[96:99], v1 offset:672
	ds_read_b64 v[6:7], v1 offset:688
	s_waitcnt vmcnt(15) lgkmcnt(3)
	v_mul_f32_e32 v125, v104, v149
	s_waitcnt vmcnt(14)
	v_mul_f32_e32 v113, v106, v152
	v_add_f32_e32 v2, v2, v4
	v_add_f32_e32 v4, v5, v123
	v_mul_f32_e32 v5, v105, v149
	s_waitcnt vmcnt(5)
	v_fma_f32 v101, v102, v157, -v112
	v_fmac_f32_e32 v115, v103, v157
	v_add_f32_e32 v2, v2, v100
	v_add_f32_e32 v4, v4, v120
	v_mul_f32_e32 v100, v107, v152
	v_fma_f32 v5, v104, v156, -v5
	v_fmac_f32_e32 v125, v105, v156
	v_add_f32_e32 v2, v2, v101
	v_add_f32_e32 v4, v4, v115
	s_waitcnt lgkmcnt(2)
	v_mul_f32_e32 v101, v109, v153
	v_fma_f32 v100, v106, v155, -v100
	v_mul_f32_e32 v119, v108, v153
	v_add_f32_e32 v2, v2, v5
	v_fmac_f32_e32 v113, v107, v155
	v_add_f32_e32 v4, v4, v125
	v_mul_f32_e32 v5, v111, v127
	v_fma_f32 v101, v108, v129, -v101
	v_add_f32_e32 v2, v2, v100
	v_mul_f32_e32 v3, v110, v127
	v_fmac_f32_e32 v119, v109, v129
	v_add_f32_e32 v4, v4, v113
	s_waitcnt lgkmcnt(1)
	v_mul_f32_e32 v100, v97, v128
	s_waitcnt vmcnt(1)
	v_fma_f32 v5, v110, v161, -v5
	v_add_f32_e32 v2, v2, v101
	v_mul_f32_e32 v116, v96, v128
	v_fmac_f32_e32 v3, v111, v161
	v_add_f32_e32 v4, v4, v119
	v_mul_f32_e32 v118, v98, v8
	v_mul_f32_e32 v8, v99, v8
	v_fma_f32 v96, v96, v160, -v100
	v_add_f32_e32 v2, v2, v5
	v_fmac_f32_e32 v116, v97, v160
	v_add_f32_e32 v3, v4, v3
	s_waitcnt lgkmcnt(0)
	v_mul_f32_e32 v4, v7, v154
	v_fma_f32 v5, v98, v159, -v8
	v_add_f32_e32 v2, v2, v96
	v_mul_f32_e32 v117, v6, v154
	v_fmac_f32_e32 v118, v99, v159
	v_add_f32_e32 v3, v3, v116
	v_fma_f32 v4, v6, v158, -v4
	v_add_f32_e32 v2, v2, v5
	v_fmac_f32_e32 v117, v7, v158
	v_add_f32_e32 v3, v3, v118
	v_add_f32_e32 v2, v2, v4
	;; [unrolled: 1-line block ×3, first 2 shown]
	s_waitcnt vmcnt(0)
	v_sub_f32_e32 v2, v162, v2
	v_sub_f32_e32 v3, v144, v3
	buffer_store_dword v2, off, s[0:3], 0 offset:24
	buffer_store_dword v3, off, s[0:3], 0 offset:28
	v_cmpx_lt_u32_e32 2, v0
	s_cbranch_execz .LBB42_267
; %bb.266:
	s_clause 0x1
	buffer_load_dword v2, off, s[0:3], 0 offset:16
	buffer_load_dword v3, off, s[0:3], 0 offset:20
	buffer_store_dword v1, off, s[0:3], 0 offset:16
	buffer_store_dword v1, off, s[0:3], 0 offset:20
	s_waitcnt vmcnt(0)
	ds_write_b64 v95, v[2:3]
.LBB42_267:
	s_or_b32 exec_lo, exec_lo, s4
	s_waitcnt lgkmcnt(0)
	s_waitcnt_vscnt null, 0x0
	s_barrier
	buffer_gl0_inv
	s_clause 0x2c
	buffer_load_dword v126, off, s[0:3], 0 offset:28
	buffer_load_dword v127, off, s[0:3], 0 offset:36
	;; [unrolled: 1-line block ×45, first 2 shown]
	ds_read2_b64 v[128:131], v1 offset0:47 offset1:48
	ds_read2_b64 v[132:135], v1 offset0:49 offset1:50
	buffer_load_dword v144, off, s[0:3], 0 offset:20
	s_mov_b32 s4, exec_lo
	s_waitcnt vmcnt(45) lgkmcnt(1)
	v_mul_f32_e32 v142, v128, v126
	v_mul_f32_e32 v126, v129, v126
	s_waitcnt vmcnt(44)
	v_mul_f32_e32 v143, v130, v127
	v_mul_f32_e32 v127, v131, v127
	s_waitcnt vmcnt(41)
	v_fmac_f32_e32 v142, v129, v97
	v_fma_f32 v145, v128, v97, -v126
	s_waitcnt vmcnt(40) lgkmcnt(0)
	v_mul_f32_e32 v147, v132, v4
	v_fma_f32 v146, v130, v7, -v127
	ds_read2_b64 v[126:129], v1 offset0:51 offset1:52
	s_waitcnt vmcnt(39)
	v_mul_f32_e32 v148, v134, v5
	v_mul_f32_e32 v4, v133, v4
	;; [unrolled: 1-line block ×3, first 2 shown]
	v_fmac_f32_e32 v143, v131, v7
	v_fmac_f32_e32 v147, v133, v2
	s_waitcnt vmcnt(35)
	v_fmac_f32_e32 v148, v135, v100
	v_fma_f32 v135, v132, v2, -v4
	v_fma_f32 v100, v134, v100, -v5
	ds_read2_b64 v[130:133], v1 offset0:53 offset1:54
	s_waitcnt vmcnt(34) lgkmcnt(1)
	v_mul_f32_e32 v134, v126, v99
	s_waitcnt vmcnt(33)
	v_mul_f32_e32 v149, v128, v98
	v_mul_f32_e32 v4, v129, v98
	;; [unrolled: 1-line block ×3, first 2 shown]
	v_fmac_f32_e32 v134, v127, v96
	v_fmac_f32_e32 v149, v129, v6
	v_fma_f32 v127, v128, v6, -v4
	ds_read2_b64 v[4:7], v1 offset0:55 offset1:56
	v_fma_f32 v126, v126, v96, -v2
	s_waitcnt vmcnt(32) lgkmcnt(1)
	v_mul_f32_e32 v128, v130, v8
	v_mul_f32_e32 v2, v131, v8
	s_waitcnt vmcnt(31)
	v_mul_f32_e32 v8, v132, v101
	v_mul_f32_e32 v96, v133, v101
	v_fmac_f32_e32 v128, v131, v3
	v_fma_f32 v101, v130, v3, -v2
	s_waitcnt vmcnt(27)
	v_fmac_f32_e32 v8, v133, v109
	v_fma_f32 v109, v132, v109, -v96
	ds_read2_b64 v[96:99], v1 offset0:57 offset1:58
	buffer_load_dword v133, off, s[0:3], 0 offset:212
	s_waitcnt vmcnt(27) lgkmcnt(1)
	v_mul_f32_e32 v129, v4, v107
	v_mul_f32_e32 v2, v5, v107
	s_waitcnt vmcnt(26)
	v_mul_f32_e32 v3, v7, v106
	v_mul_f32_e32 v107, v6, v106
	v_fmac_f32_e32 v129, v5, v105
	v_fma_f32 v105, v4, v105, -v2
	v_fma_f32 v6, v6, v103, -v3
	ds_read2_b64 v[2:5], v1 offset0:59 offset1:60
	v_fmac_f32_e32 v107, v7, v103
	s_waitcnt vmcnt(25) lgkmcnt(1)
	v_mul_f32_e32 v7, v96, v104
	v_mul_f32_e32 v103, v97, v104
	s_waitcnt vmcnt(24)
	v_mul_f32_e32 v104, v98, v108
	v_mul_f32_e32 v106, v99, v108
	v_fmac_f32_e32 v7, v97, v102
	v_fma_f32 v102, v96, v102, -v103
	s_waitcnt vmcnt(20)
	v_fmac_f32_e32 v104, v99, v117
	v_fma_f32 v103, v98, v117, -v106
	ds_read2_b64 v[96:99], v1 offset0:61 offset1:62
	s_waitcnt vmcnt(19) lgkmcnt(1)
	v_mul_f32_e32 v106, v2, v115
	v_mul_f32_e32 v108, v3, v115
	s_waitcnt vmcnt(18)
	v_mul_f32_e32 v115, v4, v114
	v_mul_f32_e32 v114, v5, v114
	v_fmac_f32_e32 v106, v3, v113
	v_fma_f32 v108, v2, v113, -v108
	v_fmac_f32_e32 v115, v5, v111
	v_fma_f32 v111, v4, v111, -v114
	ds_read2_b64 v[2:5], v1 offset0:63 offset1:64
	s_waitcnt vmcnt(17) lgkmcnt(1)
	v_mul_f32_e32 v113, v96, v112
	v_mul_f32_e32 v112, v97, v112
	s_waitcnt vmcnt(16)
	v_mul_f32_e32 v114, v98, v116
	v_mul_f32_e32 v116, v99, v116
	v_fmac_f32_e32 v113, v97, v110
	v_fma_f32 v110, v96, v110, -v112
	s_waitcnt vmcnt(12)
	v_fmac_f32_e32 v114, v99, v125
	v_fma_f32 v112, v98, v125, -v116
	ds_read2_b64 v[96:99], v1 offset0:65 offset1:66
	buffer_load_dword v125, off, s[0:3], 0 offset:204
	s_waitcnt vmcnt(12) lgkmcnt(1)
	v_mul_f32_e32 v116, v2, v123
	v_mul_f32_e32 v117, v3, v123
	s_waitcnt vmcnt(11)
	v_mul_f32_e32 v123, v4, v122
	v_mul_f32_e32 v122, v5, v122
	v_fmac_f32_e32 v116, v3, v121
	v_fma_f32 v117, v2, v121, -v117
	v_fmac_f32_e32 v123, v5, v119
	v_fma_f32 v119, v4, v119, -v122
	ds_read2_b64 v[2:5], v1 offset0:67 offset1:68
	s_waitcnt vmcnt(10) lgkmcnt(1)
	v_mul_f32_e32 v121, v96, v120
	v_mul_f32_e32 v120, v97, v120
	s_waitcnt vmcnt(9)
	v_mul_f32_e32 v122, v98, v124
	v_mul_f32_e32 v124, v99, v124
	v_fmac_f32_e32 v121, v97, v118
	v_fma_f32 v118, v96, v118, -v120
	s_waitcnt vmcnt(5)
	v_fmac_f32_e32 v122, v99, v139
	v_fma_f32 v120, v98, v139, -v124
	ds_read2_b64 v[96:99], v1 offset0:69 offset1:70
	s_waitcnt vmcnt(4) lgkmcnt(1)
	v_mul_f32_e32 v124, v2, v140
	v_mul_f32_e32 v130, v3, v140
	s_waitcnt vmcnt(3)
	v_mul_f32_e32 v131, v4, v141
	v_mul_f32_e32 v132, v5, v141
	v_fmac_f32_e32 v124, v3, v138
	v_fma_f32 v130, v2, v138, -v130
	v_fmac_f32_e32 v131, v5, v137
	v_fma_f32 v132, v4, v137, -v132
	s_clause 0x5
	buffer_load_dword v137, off, s[0:3], 0 offset:232
	buffer_load_dword v138, off, s[0:3], 0 offset:224
	;; [unrolled: 1-line block ×6, first 2 shown]
	v_add_f32_e32 v3, 0, v142
	buffer_load_dword v142, off, s[0:3], 0 offset:236
	v_add_f32_e32 v4, 0, v145
	v_add_f32_e32 v3, v3, v143
	;; [unrolled: 1-line block ×11, first 2 shown]
	s_waitcnt vmcnt(8) lgkmcnt(0)
	v_mul_f32_e32 v126, v98, v133
	s_waitcnt vmcnt(7)
	v_mul_f32_e32 v143, v96, v125
	v_mul_f32_e32 v5, v97, v125
	buffer_load_dword v125, off, s[0:3], 0 offset:244
	v_fmac_f32_e32 v143, v97, v136
	v_fma_f32 v135, v96, v136, -v5
	s_clause 0x6
	buffer_load_dword v136, off, s[0:3], 0 offset:264
	buffer_load_dword v145, off, s[0:3], 0 offset:256
	;; [unrolled: 1-line block ×7, first 2 shown]
	v_mul_f32_e32 v5, v99, v133
	buffer_load_dword v133, off, s[0:3], 0 offset:260
	s_waitcnt vmcnt(12)
	v_fmac_f32_e32 v126, v99, v2
	v_fma_f32 v148, v98, v2, -v5
	v_add_f32_e32 v2, v3, v128
	v_add_f32_e32 v3, v4, v101
	s_clause 0x2
	buffer_load_dword v128, off, s[0:3], 0 offset:284
	buffer_load_dword v150, off, s[0:3], 0 offset:292
	;; [unrolled: 1-line block ×3, first 2 shown]
	v_add_f32_e32 v2, v2, v8
	v_add_f32_e32 v3, v3, v109
	s_clause 0x3
	buffer_load_dword v8, off, s[0:3], 0 offset:308
	buffer_load_dword v152, off, s[0:3], 0 offset:316
	;; [unrolled: 1-line block ×4, first 2 shown]
	v_add_f32_e32 v2, v2, v129
	v_add_f32_e32 v3, v3, v105
	buffer_load_dword v129, off, s[0:3], 0 offset:340
	v_add_f32_e32 v2, v2, v107
	v_add_f32_e32 v3, v3, v6
	s_clause 0x3
	buffer_load_dword v6, off, s[0:3], 0 offset:296
	buffer_load_dword v155, off, s[0:3], 0 offset:288
	;; [unrolled: 1-line block ×4, first 2 shown]
	v_add_f32_e32 v2, v2, v7
	s_clause 0x5
	buffer_load_dword v7, off, s[0:3], 0 offset:328
	buffer_load_dword v158, off, s[0:3], 0 offset:320
	;; [unrolled: 1-line block ×6, first 2 shown]
	v_add_f32_e32 v3, v3, v102
	v_add_f32_e32 v2, v2, v104
	;; [unrolled: 1-line block ×9, first 2 shown]
	ds_read2_b64 v[2:5], v1 offset0:71 offset1:72
	v_add_f32_e32 v96, v96, v114
	v_add_f32_e32 v97, v97, v112
	v_add_f32_e32 v100, v96, v116
	v_add_f32_e32 v101, v97, v117
	ds_read2_b64 v[96:99], v1 offset0:73 offset1:74
	v_add_f32_e32 v100, v100, v123
	v_add_f32_e32 v101, v101, v119
	;; [unrolled: 1-line block ×4, first 2 shown]
	s_waitcnt vmcnt(29) lgkmcnt(1)
	v_mul_f32_e32 v112, v2, v140
	v_mul_f32_e32 v102, v3, v140
	s_waitcnt vmcnt(28)
	v_mul_f32_e32 v116, v4, v141
	v_mul_f32_e32 v103, v5, v141
	v_add_f32_e32 v105, v100, v122
	v_fmac_f32_e32 v112, v3, v139
	v_fma_f32 v117, v2, v139, -v102
	v_fmac_f32_e32 v116, v5, v138
	v_fma_f32 v119, v4, v138, -v103
	ds_read2_b64 v[2:5], v1 offset0:75 offset1:76
	ds_read2_b64 v[100:103], v1 offset0:77 offset1:78
	v_add_f32_e32 v104, v104, v120
	s_waitcnt vmcnt(27) lgkmcnt(2)
	v_mul_f32_e32 v118, v96, v142
	v_add_f32_e32 v105, v105, v124
	v_mul_f32_e32 v106, v97, v142
	v_add_f32_e32 v104, v104, v130
	v_fmac_f32_e32 v118, v97, v137
	v_add_f32_e32 v97, v105, v131
	v_fma_f32 v121, v96, v137, -v106
	v_add_f32_e32 v108, v104, v132
	v_add_f32_e32 v109, v97, v143
	;; [unrolled: 1-line block ×5, first 2 shown]
	s_waitcnt vmcnt(26)
	v_mul_f32_e32 v120, v98, v125
	v_mul_f32_e32 v107, v99, v125
	s_waitcnt vmcnt(22)
	v_fmac_f32_e32 v120, v99, v147
	s_waitcnt vmcnt(21) lgkmcnt(1)
	v_mul_f32_e32 v123, v2, v134
	v_mul_f32_e32 v114, v3, v134
	v_fma_f32 v122, v98, v147, -v107
	ds_read2_b64 v[96:99], v1 offset0:79 offset1:80
	ds_read2_b64 v[104:107], v1 offset0:81 offset1:82
	;; [unrolled: 1-line block ×3, first 2 shown]
	v_fmac_f32_e32 v123, v3, v146
	v_fma_f32 v2, v2, v146, -v114
	v_add_f32_e32 v3, v115, v112
	ds_read2_b64 v[112:115], v1 offset0:85 offset1:86
	v_add_f32_e32 v1, v124, v117
	s_waitcnt vmcnt(18)
	v_mul_f32_e32 v124, v5, v133
	v_mul_f32_e32 v117, v4, v133
	v_add_f32_e32 v3, v3, v116
	s_waitcnt lgkmcnt(4)
	v_mul_f32_e32 v125, v101, v127
	v_add_f32_e32 v1, v1, v119
	v_fma_f32 v4, v4, v145, -v124
	v_mul_f32_e32 v116, v100, v127
	v_add_f32_e32 v3, v3, v118
	v_fmac_f32_e32 v117, v5, v145
	v_add_f32_e32 v1, v1, v121
	v_fma_f32 v100, v100, v136, -v125
	v_mul_f32_e32 v119, v102, v149
	v_add_f32_e32 v3, v3, v120
	v_mul_f32_e32 v120, v103, v149
	v_add_f32_e32 v1, v1, v122
	v_fmac_f32_e32 v116, v101, v136
	v_add_f32_e32 v1, v1, v2
	v_add_f32_e32 v2, v3, v123
	v_add_f32_e32 v1, v1, v4
	v_add_f32_e32 v2, v2, v117
	s_waitcnt vmcnt(17) lgkmcnt(3)
	v_mul_f32_e32 v4, v97, v128
	v_mul_f32_e32 v5, v96, v128
	v_add_f32_e32 v1, v1, v100
	v_add_f32_e32 v2, v2, v116
	s_waitcnt vmcnt(16)
	v_mul_f32_e32 v100, v99, v150
	v_mul_f32_e32 v124, v98, v150
	s_waitcnt vmcnt(15) lgkmcnt(2)
	v_mul_f32_e32 v118, v104, v151
	s_waitcnt vmcnt(14)
	v_mul_f32_e32 v121, v106, v8
	s_waitcnt vmcnt(13) lgkmcnt(1)
	v_mul_f32_e32 v126, v108, v152
	s_waitcnt vmcnt(12)
	v_mul_f32_e32 v122, v110, v153
	s_waitcnt vmcnt(11) lgkmcnt(0)
	v_mul_f32_e32 v127, v112, v154
	s_waitcnt vmcnt(10)
	v_mul_f32_e32 v3, v114, v129
	s_waitcnt vmcnt(9)
	v_fmac_f32_e32 v118, v105, v6
	s_waitcnt vmcnt(8)
	v_fmac_f32_e32 v124, v99, v155
	s_waitcnt vmcnt(7)
	v_fma_f32 v4, v96, v156, -v4
	s_waitcnt vmcnt(6)
	v_fma_f32 v101, v102, v157, -v120
	v_fmac_f32_e32 v119, v103, v157
	v_fmac_f32_e32 v5, v97, v156
	v_mul_f32_e32 v96, v105, v151
	v_fma_f32 v97, v98, v155, -v100
	v_add_f32_e32 v1, v1, v101
	v_add_f32_e32 v2, v2, v119
	s_waitcnt vmcnt(2)
	v_fmac_f32_e32 v121, v107, v160
	v_fmac_f32_e32 v126, v109, v159
	;; [unrolled: 1-line block ×3, first 2 shown]
	v_add_f32_e32 v1, v1, v4
	v_add_f32_e32 v2, v2, v5
	v_mul_f32_e32 v4, v107, v8
	v_fma_f32 v5, v104, v6, -v96
	v_mul_f32_e32 v6, v109, v152
	v_add_f32_e32 v1, v1, v97
	v_add_f32_e32 v2, v2, v124
	v_fma_f32 v4, v106, v160, -v4
	v_fmac_f32_e32 v127, v113, v7
	v_fma_f32 v6, v108, v159, -v6
	v_add_f32_e32 v1, v1, v5
	v_add_f32_e32 v2, v2, v118
	v_mul_f32_e32 v5, v111, v153
	s_waitcnt vmcnt(1)
	v_fmac_f32_e32 v3, v115, v161
	v_add_f32_e32 v1, v1, v4
	v_add_f32_e32 v2, v2, v121
	v_mul_f32_e32 v4, v113, v154
	v_fma_f32 v5, v110, v158, -v5
	v_add_f32_e32 v1, v1, v6
	v_add_f32_e32 v2, v2, v126
	v_mul_f32_e32 v6, v115, v129
	v_fma_f32 v4, v112, v7, -v4
	v_add_f32_e32 v1, v1, v5
	v_add_f32_e32 v2, v2, v122
	v_fma_f32 v5, v114, v161, -v6
	v_add_f32_e32 v1, v1, v4
	v_add_f32_e32 v2, v2, v127
	;; [unrolled: 1-line block ×4, first 2 shown]
	s_waitcnt vmcnt(0)
	v_sub_f32_e32 v1, v162, v1
	v_sub_f32_e32 v2, v144, v2
	buffer_store_dword v1, off, s[0:3], 0 offset:16
	buffer_store_dword v2, off, s[0:3], 0 offset:20
	v_cmpx_lt_u32_e32 1, v0
	s_cbranch_execz .LBB42_269
; %bb.268:
	s_clause 0x1
	buffer_load_dword v1, off, s[0:3], 0 offset:8
	buffer_load_dword v2, off, s[0:3], 0 offset:12
	v_mov_b32_e32 v3, 0
	buffer_store_dword v3, off, s[0:3], 0 offset:8
	buffer_store_dword v3, off, s[0:3], 0 offset:12
	s_waitcnt vmcnt(0)
	ds_write_b64 v95, v[1:2]
.LBB42_269:
	s_or_b32 exec_lo, exec_lo, s4
	s_waitcnt lgkmcnt(0)
	s_waitcnt_vscnt null, 0x0
	s_barrier
	buffer_gl0_inv
	s_clause 0x24
	buffer_load_dword v2, off, s[0:3], 0 offset:20
	buffer_load_dword v3, off, s[0:3], 0 offset:28
	;; [unrolled: 1-line block ×37, first 2 shown]
	v_mov_b32_e32 v1, 0
	ds_read_b128 v[104:107], v1 offset:368
	ds_read_b128 v[108:111], v1 offset:384
	;; [unrolled: 1-line block ×3, first 2 shown]
	s_clause 0x1
	buffer_load_dword v142, off, s[0:3], 0 offset:164
	buffer_load_dword v143, off, s[0:3], 0 offset:12
	ds_read_b128 v[116:119], v1 offset:416
	s_mov_b32 s4, exec_lo
	s_waitcnt vmcnt(38) lgkmcnt(3)
	v_mul_f32_e32 v144, v105, v2
	v_mul_f32_e32 v2, v104, v2
	s_waitcnt vmcnt(37)
	v_mul_f32_e32 v145, v106, v3
	v_mul_f32_e32 v3, v107, v3
	s_waitcnt vmcnt(34)
	v_fma_f32 v144, v104, v122, -v144
	v_fmac_f32_e32 v2, v105, v122
	v_fmac_f32_e32 v145, v107, v121
	v_fma_f32 v3, v106, v121, -v3
	ds_read_b128 v[104:107], v1 offset:432
	s_waitcnt vmcnt(33) lgkmcnt(3)
	v_mul_f32_e32 v121, v108, v123
	v_mul_f32_e32 v122, v109, v123
	s_waitcnt vmcnt(32)
	v_mul_f32_e32 v123, v110, v124
	v_mul_f32_e32 v124, v111, v124
	s_waitcnt vmcnt(31) lgkmcnt(2)
	v_mul_f32_e32 v146, v112, v125
	v_fmac_f32_e32 v121, v109, v120
	v_fma_f32 v120, v108, v120, -v122
	s_waitcnt vmcnt(26)
	v_fmac_f32_e32 v123, v111, v130
	v_fma_f32 v124, v110, v130, -v124
	ds_read_b128 v[108:111], v1 offset:448
	v_mul_f32_e32 v125, v113, v125
	v_mul_f32_e32 v122, v114, v126
	;; [unrolled: 1-line block ×3, first 2 shown]
	v_fmac_f32_e32 v146, v113, v129
	s_waitcnt vmcnt(24) lgkmcnt(2)
	v_mul_f32_e32 v130, v118, v132
	v_fma_f32 v125, v112, v129, -v125
	v_fmac_f32_e32 v122, v115, v128
	v_fma_f32 v126, v114, v128, -v126
	v_mul_f32_e32 v128, v116, v131
	v_mul_f32_e32 v129, v117, v131
	;; [unrolled: 1-line block ×3, first 2 shown]
	ds_read_b128 v[112:115], v1 offset:464
	s_waitcnt vmcnt(19)
	v_fmac_f32_e32 v130, v119, v135
	v_fmac_f32_e32 v128, v117, v127
	v_fma_f32 v116, v116, v127, -v129
	v_fma_f32 v117, v118, v135, -v131
	s_clause 0x4
	buffer_load_dword v118, off, s[0:3], 0 offset:172
	buffer_load_dword v119, off, s[0:3], 0 offset:192
	;; [unrolled: 1-line block ×5, first 2 shown]
	s_waitcnt lgkmcnt(2)
	v_mul_f32_e32 v132, v104, v133
	v_mul_f32_e32 v133, v105, v133
	s_waitcnt vmcnt(23)
	v_mul_f32_e32 v135, v106, v136
	v_mul_f32_e32 v136, v107, v136
	s_waitcnt vmcnt(21) lgkmcnt(1)
	v_mul_f32_e32 v147, v110, v138
	v_fmac_f32_e32 v132, v105, v134
	v_fma_f32 v133, v104, v134, -v133
	v_mul_f32_e32 v134, v108, v137
	v_mul_f32_e32 v104, v109, v137
	buffer_load_dword v137, off, s[0:3], 0 offset:180
	v_fmac_f32_e32 v135, v107, v101
	v_fma_f32 v136, v106, v101, -v136
	v_mul_f32_e32 v101, v111, v138
	v_fmac_f32_e32 v134, v109, v8
	v_fma_f32 v8, v108, v8, -v104
	ds_read_b128 v[104:107], v1 offset:480
	s_waitcnt vmcnt(18)
	v_fmac_f32_e32 v147, v111, v139
	v_fma_f32 v138, v110, v139, -v101
	ds_read_b128 v[108:111], v1 offset:496
	s_waitcnt vmcnt(17) lgkmcnt(2)
	v_mul_f32_e32 v139, v112, v140
	v_mul_f32_e32 v101, v113, v140
	s_waitcnt vmcnt(16)
	v_mul_f32_e32 v140, v114, v141
	v_mul_f32_e32 v141, v115, v141
	v_add_f32_e32 v2, 0, v2
	v_fmac_f32_e32 v139, v113, v102
	v_fma_f32 v112, v112, v102, -v101
	v_fmac_f32_e32 v140, v115, v96
	v_fma_f32 v113, v114, v96, -v141
	s_clause 0x2
	buffer_load_dword v114, off, s[0:3], 0 offset:188
	buffer_load_dword v115, off, s[0:3], 0 offset:196
	;; [unrolled: 1-line block ×3, first 2 shown]
	s_waitcnt vmcnt(18) lgkmcnt(1)
	v_mul_f32_e32 v141, v104, v98
	v_mul_f32_e32 v96, v105, v98
	s_waitcnt vmcnt(17)
	v_mul_f32_e32 v148, v106, v97
	v_mul_f32_e32 v97, v107, v97
	v_fmac_f32_e32 v141, v105, v5
	v_fma_f32 v105, v104, v5, -v96
	s_waitcnt vmcnt(13)
	v_fmac_f32_e32 v148, v107, v103
	s_waitcnt vmcnt(12) lgkmcnt(0)
	v_mul_f32_e32 v107, v108, v100
	v_mul_f32_e32 v5, v109, v100
	s_waitcnt vmcnt(11)
	v_mul_f32_e32 v100, v110, v99
	v_mul_f32_e32 v96, v111, v99
	v_fma_f32 v106, v106, v103, -v97
	ds_read_b128 v[101:104], v1 offset:512
	v_fmac_f32_e32 v107, v109, v7
	v_fma_f32 v7, v108, v7, -v5
	v_fmac_f32_e32 v100, v111, v6
	v_fma_f32 v6, v110, v6, -v96
	s_clause 0x4
	buffer_load_dword v108, off, s[0:3], 0 offset:224
	buffer_load_dword v109, off, s[0:3], 0 offset:216
	;; [unrolled: 1-line block ×5, first 2 shown]
	v_add_f32_e32 v5, 0, v144
	v_add_f32_e32 v3, v5, v3
	;; [unrolled: 1-line block ×3, first 2 shown]
	s_waitcnt vmcnt(15) lgkmcnt(0)
	v_mul_f32_e32 v144, v101, v142
	v_mul_f32_e32 v96, v102, v142
	v_add_f32_e32 v97, v97, v124
	v_fmac_f32_e32 v144, v102, v4
	buffer_load_dword v102, off, s[0:3], 0 offset:220
	v_fma_f32 v101, v101, v4, -v96
	v_add_f32_e32 v96, v2, v145
	ds_read_b128 v[2:5], v1 offset:528
	v_add_f32_e32 v97, v97, v125
	v_add_f32_e32 v96, v96, v121
	buffer_load_dword v121, off, s[0:3], 0 offset:236
	v_add_f32_e32 v96, v96, v123
	v_add_f32_e32 v123, v97, v126
	;; [unrolled: 1-line block ×3, first 2 shown]
	s_waitcnt vmcnt(15)
	v_mul_f32_e32 v120, v103, v118
	v_mul_f32_e32 v98, v104, v118
	buffer_load_dword v118, off, s[0:3], 0 offset:228
	s_waitcnt vmcnt(12)
	v_fmac_f32_e32 v120, v104, v131
	v_add_f32_e32 v104, v96, v146
	v_fma_f32 v103, v103, v131, -v98
	ds_read_b128 v[96:99], v1 offset:544
	v_add_f32_e32 v104, v104, v122
	s_clause 0x3
	buffer_load_dword v122, off, s[0:3], 0 offset:256
	buffer_load_dword v123, off, s[0:3], 0 offset:248
	;; [unrolled: 1-line block ×4, first 2 shown]
	s_waitcnt vmcnt(15) lgkmcnt(1)
	v_mul_f32_e32 v124, v2, v137
	v_mul_f32_e32 v125, v3, v137
	v_fmac_f32_e32 v124, v3, v129
	v_fma_f32 v125, v2, v129, -v125
	v_add_f32_e32 v2, v104, v128
	s_clause 0x1
	buffer_load_dword v128, off, s[0:3], 0 offset:244
	buffer_load_dword v129, off, s[0:3], 0 offset:252
	v_add_f32_e32 v3, v116, v117
	buffer_load_dword v116, off, s[0:3], 0 offset:260
	v_add_f32_e32 v2, v2, v130
	v_add_f32_e32 v3, v3, v133
	;; [unrolled: 1-line block ×3, first 2 shown]
	s_waitcnt vmcnt(17)
	v_mul_f32_e32 v104, v4, v114
	v_add_f32_e32 v136, v3, v136
	v_mul_f32_e32 v114, v5, v114
	v_add_f32_e32 v117, v117, v135
	s_waitcnt vmcnt(16) lgkmcnt(0)
	v_mul_f32_e32 v135, v96, v115
	v_add_f32_e32 v8, v136, v8
	v_mul_f32_e32 v115, v97, v115
	v_fmac_f32_e32 v104, v5, v127
	v_add_f32_e32 v117, v117, v134
	v_fma_f32 v114, v4, v127, -v114
	s_clause 0x3
	buffer_load_dword v127, off, s[0:3], 0 offset:268
	buffer_load_dword v130, off, s[0:3], 0 offset:276
	buffer_load_dword v132, off, s[0:3], 0 offset:284
	buffer_load_dword v133, off, s[0:3], 0 offset:292
	ds_read_b128 v[2:5], v1 offset:560
	v_add_f32_e32 v8, v8, v138
	s_waitcnt vmcnt(19)
	v_mul_f32_e32 v136, v98, v149
	v_mul_f32_e32 v134, v99, v149
	v_fma_f32 v115, v96, v119, -v115
	v_add_f32_e32 v96, v117, v147
	v_add_f32_e32 v8, v8, v112
	v_fmac_f32_e32 v135, v97, v119
	s_clause 0x3
	buffer_load_dword v117, off, s[0:3], 0 offset:300
	buffer_load_dword v119, off, s[0:3], 0 offset:308
	;; [unrolled: 1-line block ×4, first 2 shown]
	v_add_f32_e32 v96, v96, v139
	v_add_f32_e32 v8, v8, v113
	s_waitcnt vmcnt(19)
	v_fmac_f32_e32 v136, v99, v111
	v_fma_f32 v111, v98, v111, -v134
	s_clause 0x5
	buffer_load_dword v134, off, s[0:3], 0 offset:332
	buffer_load_dword v112, off, s[0:3], 0 offset:288
	;; [unrolled: 1-line block ×6, first 2 shown]
	v_add_f32_e32 v113, v96, v140
	v_add_f32_e32 v8, v8, v105
	ds_read_b128 v[96:99], v1 offset:576
	s_waitcnt vmcnt(24) lgkmcnt(1)
	v_mul_f32_e32 v140, v3, v150
	v_add_f32_e32 v105, v113, v141
	v_mul_f32_e32 v113, v2, v150
	v_add_f32_e32 v8, v8, v106
	v_fmac_f32_e32 v113, v3, v110
	v_fma_f32 v110, v2, v110, -v140
	v_add_f32_e32 v3, v8, v7
	s_clause 0x3
	buffer_load_dword v8, off, s[0:3], 0 offset:320
	buffer_load_dword v140, off, s[0:3], 0 offset:312
	;; [unrolled: 1-line block ×4, first 2 shown]
	v_add_f32_e32 v2, v105, v148
	s_clause 0x2
	buffer_load_dword v148, off, s[0:3], 0 offset:336
	buffer_load_dword v149, off, s[0:3], 0 offset:328
	;; [unrolled: 1-line block ×3, first 2 shown]
	v_add_f32_e32 v3, v3, v6
	s_waitcnt vmcnt(30)
	v_mul_f32_e32 v151, v4, v102
	v_add_f32_e32 v2, v2, v107
	v_add_f32_e32 v6, v3, v101
	v_mul_f32_e32 v3, v5, v102
	v_add_f32_e32 v2, v2, v100
	v_fmac_f32_e32 v151, v5, v109
	s_waitcnt vmcnt(29) lgkmcnt(0)
	v_mul_f32_e32 v106, v99, v121
	v_add_f32_e32 v6, v6, v103
	ds_read_b128 v[100:103], v1 offset:608
	v_add_f32_e32 v7, v2, v144
	v_fma_f32 v144, v4, v109, -v3
	ds_read_b128 v[2:5], v1 offset:592
	v_add_f32_e32 v6, v6, v125
	v_add_f32_e32 v7, v7, v120
	;; [unrolled: 1-line block ×9, first 2 shown]
	s_waitcnt vmcnt(28)
	v_mul_f32_e32 v120, v96, v118
	v_mul_f32_e32 v105, v97, v118
	;; [unrolled: 1-line block ×3, first 2 shown]
	v_fmac_f32_e32 v120, v97, v108
	v_fma_f32 v121, v96, v108, -v105
	s_waitcnt vmcnt(24)
	v_fma_f32 v114, v98, v131, -v106
	v_fmac_f32_e32 v118, v99, v131
	ds_read_b128 v[96:99], v1 offset:624
	ds_read_b128 v[104:107], v1 offset:640
	s_waitcnt vmcnt(23) lgkmcnt(2)
	v_mul_f32_e32 v115, v2, v128
	v_mul_f32_e32 v108, v3, v128
	s_waitcnt vmcnt(22)
	v_mul_f32_e32 v124, v4, v129
	v_mul_f32_e32 v125, v5, v129
	s_waitcnt vmcnt(21)
	v_mul_f32_e32 v128, v100, v116
	v_fmac_f32_e32 v115, v3, v126
	v_fma_f32 v126, v2, v126, -v108
	v_add_f32_e32 v2, v7, v136
	v_fmac_f32_e32 v124, v5, v123
	v_fma_f32 v123, v4, v123, -v125
	v_add_f32_e32 v125, v6, v144
	v_mul_f32_e32 v116, v101, v116
	v_add_f32_e32 v113, v2, v113
	v_fmac_f32_e32 v128, v101, v122
	ds_read_b128 v[108:111], v1 offset:656
	ds_read_b128 v[2:5], v1 offset:672
	v_add_f32_e32 v121, v125, v121
	v_add_f32_e32 v113, v113, v151
	v_fma_f32 v100, v100, v122, -v116
	s_waitcnt vmcnt(20)
	v_mul_f32_e32 v125, v103, v127
	v_mul_f32_e32 v129, v102, v127
	v_add_f32_e32 v114, v121, v114
	v_add_f32_e32 v113, v113, v120
	s_waitcnt vmcnt(19) lgkmcnt(3)
	v_mul_f32_e32 v120, v96, v130
	v_mul_f32_e32 v122, v97, v130
	s_waitcnt vmcnt(18)
	v_mul_f32_e32 v121, v98, v132
	v_add_f32_e32 v114, v114, v126
	v_add_f32_e32 v113, v113, v118
	s_waitcnt vmcnt(17) lgkmcnt(2)
	v_mul_f32_e32 v127, v104, v133
	s_waitcnt vmcnt(16)
	v_mul_f32_e32 v118, v106, v117
	ds_read_b64 v[6:7], v1 offset:688
	v_add_f32_e32 v114, v114, v123
	v_add_f32_e32 v113, v113, v115
	s_waitcnt vmcnt(15) lgkmcnt(2)
	v_mul_f32_e32 v126, v108, v119
	s_waitcnt vmcnt(11)
	v_fmac_f32_e32 v127, v105, v112
	v_add_f32_e32 v100, v114, v100
	v_add_f32_e32 v113, v113, v124
	s_waitcnt vmcnt(8)
	v_fma_f32 v102, v102, v145, -v125
	v_fmac_f32_e32 v129, v103, v145
	v_fmac_f32_e32 v120, v97, v142
	v_fma_f32 v96, v96, v142, -v122
	v_add_f32_e32 v103, v113, v128
	v_mul_f32_e32 v113, v99, v132
	v_add_f32_e32 v97, v100, v102
	v_mul_f32_e32 v102, v105, v133
	v_fmac_f32_e32 v121, v99, v139
	v_add_f32_e32 v100, v103, v129
	v_fma_f32 v98, v98, v139, -v113
	v_add_f32_e32 v96, v97, v96
	v_mul_f32_e32 v99, v107, v117
	v_mul_f32_e32 v101, v110, v137
	v_add_f32_e32 v97, v100, v120
	v_fma_f32 v100, v104, v112, -v102
	v_add_f32_e32 v96, v96, v98
	v_mul_f32_e32 v98, v109, v119
	s_waitcnt vmcnt(3)
	v_fma_f32 v99, v106, v147, -v99
	v_add_f32_e32 v97, v97, v121
	v_fmac_f32_e32 v118, v107, v147
	v_add_f32_e32 v96, v96, v100
	v_mul_f32_e32 v100, v111, v137
	v_fma_f32 v98, v108, v141, -v98
	v_add_f32_e32 v97, v97, v127
	v_fmac_f32_e32 v126, v109, v141
	v_add_f32_e32 v96, v96, v99
	s_waitcnt lgkmcnt(1)
	v_mul_f32_e32 v115, v2, v138
	v_mul_f32_e32 v99, v3, v138
	v_add_f32_e32 v97, v97, v118
	v_fma_f32 v100, v110, v140, -v100
	v_add_f32_e32 v96, v96, v98
	v_fmac_f32_e32 v101, v111, v140
	v_mul_f32_e32 v98, v5, v134
	v_add_f32_e32 v97, v97, v126
	v_fmac_f32_e32 v115, v3, v8
	v_fma_f32 v2, v2, v8, -v99
	v_add_f32_e32 v3, v96, v100
	v_mul_f32_e32 v116, v4, v134
	v_add_f32_e32 v8, v97, v101
	s_waitcnt lgkmcnt(0)
	v_mul_f32_e32 v96, v7, v146
	s_waitcnt vmcnt(1)
	v_fma_f32 v4, v4, v149, -v98
	v_add_f32_e32 v2, v3, v2
	v_mul_f32_e32 v123, v6, v146
	v_fmac_f32_e32 v116, v5, v149
	v_add_f32_e32 v3, v8, v115
	v_fma_f32 v5, v6, v148, -v96
	v_add_f32_e32 v2, v2, v4
	v_fmac_f32_e32 v123, v7, v148
	v_add_f32_e32 v3, v3, v116
	v_add_f32_e32 v2, v2, v5
	;; [unrolled: 1-line block ×3, first 2 shown]
	s_waitcnt vmcnt(0)
	v_sub_f32_e32 v2, v150, v2
	v_sub_f32_e32 v3, v143, v3
	buffer_store_dword v2, off, s[0:3], 0 offset:8
	buffer_store_dword v3, off, s[0:3], 0 offset:12
	v_cmpx_ne_u32_e32 0, v0
	s_cbranch_execz .LBB42_271
; %bb.270:
	s_clause 0x1
	buffer_load_dword v2, off, s[0:3], 0
	buffer_load_dword v3, off, s[0:3], 0 offset:4
	buffer_store_dword v1, off, s[0:3], 0
	buffer_store_dword v1, off, s[0:3], 0 offset:4
	s_waitcnt vmcnt(0)
	ds_write_b64 v95, v[2:3]
.LBB42_271:
	s_or_b32 exec_lo, exec_lo, s4
	s_waitcnt lgkmcnt(0)
	s_waitcnt_vscnt null, 0x0
	s_barrier
	buffer_gl0_inv
	s_clause 0x24
	buffer_load_dword v0, off, s[0:3], 0 offset:12
	buffer_load_dword v2, off, s[0:3], 0 offset:20
	;; [unrolled: 1-line block ×37, first 2 shown]
	ds_read2_b64 v[105:108], v1 offset0:45 offset1:46
	ds_read2_b64 v[109:112], v1 offset0:47 offset1:48
	;; [unrolled: 1-line block ×4, first 2 shown]
	s_clause 0x1
	buffer_load_dword v140, off, s[0:3], 0 offset:156
	buffer_load_dword v141, off, s[0:3], 0 offset:4
	s_and_b32 vcc_lo, exec_lo, s22
	s_waitcnt vmcnt(38) lgkmcnt(3)
	v_mul_f32_e32 v142, v106, v0
	v_mul_f32_e32 v0, v105, v0
	s_waitcnt vmcnt(37)
	v_mul_f32_e32 v143, v107, v2
	v_mul_f32_e32 v2, v108, v2
	s_waitcnt vmcnt(36) lgkmcnt(2)
	v_mul_f32_e32 v144, v109, v121
	v_mul_f32_e32 v121, v110, v121
	s_waitcnt vmcnt(35)
	v_mul_f32_e32 v145, v111, v122
	v_mul_f32_e32 v122, v112, v122
	s_waitcnt vmcnt(32)
	v_fma_f32 v142, v105, v125, -v142
	v_fmac_f32_e32 v0, v106, v125
	s_waitcnt vmcnt(31) lgkmcnt(1)
	v_mul_f32_e32 v125, v113, v126
	v_mul_f32_e32 v126, v114, v126
	v_fmac_f32_e32 v143, v108, v124
	v_fma_f32 v2, v107, v124, -v2
	s_waitcnt vmcnt(30)
	v_mul_f32_e32 v124, v115, v127
	v_mul_f32_e32 v127, v116, v127
	v_fmac_f32_e32 v144, v110, v123
	v_fma_f32 v121, v109, v123, -v121
	s_waitcnt vmcnt(26)
	v_fmac_f32_e32 v145, v112, v130
	v_fma_f32 v122, v111, v130, -v122
	ds_read2_b64 v[105:108], v1 offset0:53 offset1:54
	ds_read2_b64 v[109:112], v1 offset0:55 offset1:56
	v_fmac_f32_e32 v125, v114, v129
	v_fma_f32 v123, v113, v129, -v126
	v_fmac_f32_e32 v124, v116, v128
	v_fma_f32 v126, v115, v128, -v127
	s_clause 0x4
	buffer_load_dword v127, off, s[0:3], 0 offset:164
	buffer_load_dword v128, off, s[0:3], 0 offset:184
	buffer_load_dword v129, off, s[0:3], 0 offset:176
	buffer_load_dword v130, off, s[0:3], 0 offset:168
	buffer_load_dword v146, off, s[0:3], 0 offset:160
	s_waitcnt vmcnt(30) lgkmcnt(2)
	v_mul_f32_e32 v147, v117, v131
	v_mul_f32_e32 v113, v118, v131
	s_waitcnt vmcnt(29)
	v_mul_f32_e32 v114, v120, v132
	v_mul_f32_e32 v131, v119, v132
	v_add_f32_e32 v0, 0, v0
	v_fmac_f32_e32 v147, v118, v98
	v_fma_f32 v117, v117, v98, -v113
	s_waitcnt vmcnt(25)
	v_fma_f32 v118, v119, v134, -v114
	ds_read2_b64 v[113:116], v1 offset0:57 offset1:58
	v_fmac_f32_e32 v131, v120, v134
	buffer_load_dword v120, off, s[0:3], 0 offset:172
	v_add_f32_e32 v0, v0, v143
	s_waitcnt vmcnt(25) lgkmcnt(2)
	v_mul_f32_e32 v119, v105, v135
	v_mul_f32_e32 v98, v106, v135
	s_waitcnt vmcnt(24)
	v_mul_f32_e32 v132, v107, v136
	v_mul_f32_e32 v134, v108, v136
	s_waitcnt vmcnt(23) lgkmcnt(1)
	v_mul_f32_e32 v135, v109, v137
	v_fmac_f32_e32 v119, v106, v133
	v_fma_f32 v133, v105, v133, -v98
	v_fmac_f32_e32 v132, v108, v97
	v_fma_f32 v134, v107, v97, -v134
	ds_read2_b64 v[105:108], v1 offset0:59 offset1:60
	v_mul_f32_e32 v98, v110, v137
	s_waitcnt vmcnt(22)
	v_mul_f32_e32 v136, v111, v102
	v_mul_f32_e32 v97, v112, v102
	v_fmac_f32_e32 v135, v110, v6
	buffer_load_dword v102, off, s[0:3], 0 offset:180
	v_fma_f32 v6, v109, v6, -v98
	s_waitcnt vmcnt(19)
	v_fmac_f32_e32 v136, v112, v138
	v_fma_f32 v137, v111, v138, -v97
	ds_read2_b64 v[109:112], v1 offset0:61 offset1:62
	s_waitcnt vmcnt(18) lgkmcnt(2)
	v_mul_f32_e32 v138, v113, v139
	v_mul_f32_e32 v97, v114, v139
	v_add_f32_e32 v0, v0, v144
	v_fmac_f32_e32 v138, v114, v100
	v_fma_f32 v100, v113, v100, -v97
	s_waitcnt vmcnt(17)
	v_mul_f32_e32 v113, v115, v103
	v_mul_f32_e32 v97, v116, v103
	buffer_load_dword v103, off, s[0:3], 0 offset:188
	s_waitcnt vmcnt(17) lgkmcnt(1)
	v_mul_f32_e32 v114, v105, v96
	v_mul_f32_e32 v96, v106, v96
	v_fmac_f32_e32 v113, v116, v8
	v_fma_f32 v8, v115, v8, -v97
	s_waitcnt vmcnt(16)
	v_mul_f32_e32 v115, v107, v95
	v_mul_f32_e32 v95, v108, v95
	v_fmac_f32_e32 v114, v106, v4
	v_fma_f32 v105, v105, v4, -v96
	v_add_f32_e32 v0, v0, v145
	s_waitcnt vmcnt(12)
	v_fmac_f32_e32 v115, v108, v104
	v_fma_f32 v104, v107, v104, -v95
	buffer_load_dword v107, off, s[0:3], 0 offset:196
	ds_read2_b64 v[95:98], v1 offset0:63 offset1:64
	s_waitcnt vmcnt(12) lgkmcnt(1)
	v_mul_f32_e32 v106, v109, v101
	v_mul_f32_e32 v4, v110, v101
	s_waitcnt vmcnt(11)
	v_mul_f32_e32 v101, v111, v99
	v_mul_f32_e32 v99, v112, v99
	v_add_f32_e32 v0, v0, v125
	v_fmac_f32_e32 v106, v110, v7
	v_fma_f32 v7, v109, v7, -v4
	v_fmac_f32_e32 v101, v112, v5
	v_fma_f32 v99, v111, v5, -v99
	s_clause 0x6
	buffer_load_dword v108, off, s[0:3], 0 offset:216
	buffer_load_dword v109, off, s[0:3], 0 offset:208
	;; [unrolled: 1-line block ×7, first 2 shown]
	v_add_f32_e32 v4, 0, v142
	buffer_load_dword v142, off, s[0:3], 0 offset:228
	v_add_f32_e32 v0, v0, v124
	v_add_f32_e32 v2, v4, v2
	;; [unrolled: 1-line block ×3, first 2 shown]
	s_waitcnt vmcnt(18) lgkmcnt(0)
	v_mul_f32_e32 v4, v96, v140
	v_mul_f32_e32 v143, v95, v140
	v_add_f32_e32 v2, v2, v121
	v_add_f32_e32 v0, v0, v131
	v_fmac_f32_e32 v143, v96, v3
	v_add_f32_e32 v0, v0, v119
	v_add_f32_e32 v0, v0, v132
	;; [unrolled: 1-line block ×11, first 2 shown]
	s_waitcnt vmcnt(16)
	v_mul_f32_e32 v121, v97, v127
	v_mul_f32_e32 v5, v98, v127
	v_fma_f32 v127, v95, v3, -v4
	v_add_f32_e32 v95, v2, v122
	s_waitcnt vmcnt(12)
	v_fmac_f32_e32 v121, v98, v146
	v_fma_f32 v122, v97, v146, -v5
	ds_read2_b64 v[2:5], v1 offset0:65 offset1:66
	v_add_f32_e32 v95, v95, v123
	s_clause 0x4
	buffer_load_dword v123, off, s[0:3], 0 offset:248
	buffer_load_dword v140, off, s[0:3], 0 offset:240
	;; [unrolled: 1-line block ×5, first 2 shown]
	v_add_f32_e32 v0, v0, v121
	v_add_f32_e32 v95, v95, v126
	s_clause 0x1
	buffer_load_dword v125, off, s[0:3], 0 offset:244
	buffer_load_dword v126, off, s[0:3], 0 offset:252
	v_add_f32_e32 v117, v95, v117
	ds_read2_b64 v[95:98], v1 offset0:67 offset1:68
	v_add_f32_e32 v117, v117, v118
	s_waitcnt vmcnt(18) lgkmcnt(1)
	v_mul_f32_e32 v118, v2, v120
	v_mul_f32_e32 v120, v3, v120
	v_fmac_f32_e32 v118, v3, v130
	v_add_f32_e32 v3, v117, v133
	s_waitcnt vmcnt(17)
	v_mul_f32_e32 v131, v4, v102
	v_mul_f32_e32 v102, v5, v102
	v_fma_f32 v117, v2, v130, -v120
	v_add_f32_e32 v0, v0, v118
	v_add_f32_e32 v2, v3, v134
	v_fmac_f32_e32 v131, v5, v129
	v_fma_f32 v102, v4, v129, -v102
	s_clause 0x7
	buffer_load_dword v119, off, s[0:3], 0 offset:260
	buffer_load_dword v120, off, s[0:3], 0 offset:268
	;; [unrolled: 1-line block ×8, first 2 shown]
	v_add_f32_e32 v2, v2, v6
	buffer_load_dword v6, off, s[0:3], 0 offset:292
	v_add_f32_e32 v0, v0, v131
	s_waitcnt vmcnt(25) lgkmcnt(0)
	v_mul_f32_e32 v3, v96, v103
	v_mul_f32_e32 v132, v95, v103
	v_add_f32_e32 v2, v2, v137
	s_clause 0x2
	buffer_load_dword v135, off, s[0:3], 0 offset:300
	buffer_load_dword v137, off, s[0:3], 0 offset:308
	;; [unrolled: 1-line block ×3, first 2 shown]
	v_fma_f32 v103, v95, v128, -v3
	v_fmac_f32_e32 v132, v96, v128
	v_add_f32_e32 v95, v2, v100
	s_clause 0x2
	buffer_load_dword v128, off, s[0:3], 0 offset:324
	buffer_load_dword v136, off, s[0:3], 0 offset:332
	;; [unrolled: 1-line block ×3, first 2 shown]
	v_add_f32_e32 v0, v0, v132
	s_waitcnt vmcnt(30)
	v_mul_f32_e32 v2, v98, v107
	v_mul_f32_e32 v149, v97, v107
	v_add_f32_e32 v8, v95, v8
	v_add_f32_e32 v8, v8, v105
	s_waitcnt vmcnt(26)
	v_fma_f32 v107, v97, v111, -v2
	ds_read2_b64 v[2:5], v1 offset0:69 offset1:70
	s_clause 0x3
	buffer_load_dword v150, off, s[0:3], 0 offset:312
	buffer_load_dword v151, off, s[0:3], 0 offset:304
	;; [unrolled: 1-line block ×4, first 2 shown]
	v_add_f32_e32 v8, v8, v104
	v_fmac_f32_e32 v149, v98, v111
	ds_read2_b64 v[95:98], v1 offset0:71 offset1:72
	v_add_f32_e32 v7, v8, v7
	v_add_f32_e32 v0, v0, v149
	s_waitcnt vmcnt(29) lgkmcnt(1)
	v_mul_f32_e32 v8, v2, v112
	v_mul_f32_e32 v100, v3, v112
	s_waitcnt vmcnt(28)
	v_mul_f32_e32 v111, v4, v116
	s_waitcnt vmcnt(27) lgkmcnt(0)
	v_mul_f32_e32 v104, v96, v139
	v_fmac_f32_e32 v8, v3, v110
	v_fma_f32 v110, v2, v110, -v100
	v_add_f32_e32 v2, v7, v99
	s_clause 0x2
	buffer_load_dword v7, off, s[0:3], 0 offset:336
	buffer_load_dword v115, off, s[0:3], 0 offset:328
	;; [unrolled: 1-line block ×3, first 2 shown]
	v_mul_f32_e32 v3, v5, v116
	v_fmac_f32_e32 v111, v5, v109
	v_mul_f32_e32 v116, v95, v139
	v_add_f32_e32 v2, v2, v127
	buffer_load_dword v127, off, s[0:3], 0
	v_fma_f32 v109, v4, v109, -v3
	v_fma_f32 v118, v95, v108, -v104
	v_fmac_f32_e32 v116, v96, v108
	v_add_f32_e32 v99, v2, v122
	ds_read2_b64 v[2:5], v1 offset0:73 offset1:74
	v_add_f32_e32 v0, v0, v8
	s_waitcnt vmcnt(30)
	v_mul_f32_e32 v106, v98, v142
	v_add_f32_e32 v99, v99, v117
	v_mul_f32_e32 v117, v97, v142
	v_add_f32_e32 v0, v0, v111
	v_add_f32_e32 v105, v99, v102
	ds_read2_b64 v[99:102], v1 offset0:75 offset1:76
	v_add_f32_e32 v0, v0, v116
	v_add_f32_e32 v108, v105, v103
	;; [unrolled: 1-line block ×3, first 2 shown]
	s_waitcnt vmcnt(26)
	v_fmac_f32_e32 v117, v98, v145
	s_waitcnt vmcnt(25) lgkmcnt(1)
	v_mul_f32_e32 v122, v2, v124
	v_mul_f32_e32 v112, v3, v124
	v_fma_f32 v121, v97, v145, -v106
	s_waitcnt vmcnt(24)
	v_mul_f32_e32 v124, v4, v125
	v_mul_f32_e32 v108, v5, v125
	v_fmac_f32_e32 v122, v3, v144
	v_add_f32_e32 v3, v107, v110
	ds_read2_b64 v[95:98], v1 offset0:77 offset1:78
	ds_read2_b64 v[103:106], v1 offset0:79 offset1:80
	v_fma_f32 v125, v2, v144, -v112
	v_fmac_f32_e32 v124, v5, v140
	v_fma_f32 v8, v4, v140, -v108
	v_add_f32_e32 v131, v3, v109
	ds_read2_b64 v[2:5], v1 offset0:81 offset1:82
	ds_read2_b64 v[107:110], v1 offset0:83 offset1:84
	;; [unrolled: 1-line block ×3, first 2 shown]
	v_add_f32_e32 v0, v0, v117
	v_add_f32_e32 v1, v131, v118
	s_waitcnt vmcnt(23) lgkmcnt(5)
	v_mul_f32_e32 v118, v99, v126
	v_mul_f32_e32 v126, v100, v126
	v_add_f32_e32 v0, v0, v122
	v_add_f32_e32 v1, v1, v121
	v_fmac_f32_e32 v118, v100, v123
	v_fma_f32 v99, v99, v123, -v126
	s_waitcnt vmcnt(22)
	v_mul_f32_e32 v116, v101, v119
	v_mul_f32_e32 v119, v102, v119
	v_add_f32_e32 v1, v1, v125
	v_add_f32_e32 v0, v0, v124
	s_waitcnt vmcnt(21) lgkmcnt(4)
	v_mul_f32_e32 v121, v95, v120
	v_mul_f32_e32 v120, v96, v120
	s_waitcnt vmcnt(20)
	v_mul_f32_e32 v125, v98, v129
	v_add_f32_e32 v1, v1, v8
	s_waitcnt vmcnt(15)
	v_fma_f32 v101, v101, v147, -v119
	v_fmac_f32_e32 v116, v102, v147
	v_add_f32_e32 v0, v0, v118
	v_fma_f32 v95, v95, v146, -v120
	v_add_f32_e32 v1, v1, v99
	v_mul_f32_e32 v100, v97, v129
	v_fmac_f32_e32 v121, v96, v146
	v_add_f32_e32 v0, v0, v116
	s_waitcnt lgkmcnt(3)
	v_mul_f32_e32 v96, v104, v130
	v_add_f32_e32 v1, v1, v101
	v_fma_f32 v97, v97, v134, -v125
	v_mul_f32_e32 v117, v103, v130
	v_fmac_f32_e32 v100, v98, v134
	v_add_f32_e32 v0, v0, v121
	v_add_f32_e32 v1, v1, v95
	s_waitcnt vmcnt(14)
	v_mul_f32_e32 v123, v105, v6
	v_mul_f32_e32 v6, v106, v6
	v_fma_f32 v95, v103, v133, -v96
	v_fmac_f32_e32 v117, v104, v133
	v_add_f32_e32 v1, v1, v97
	v_add_f32_e32 v0, v0, v100
	s_waitcnt vmcnt(13) lgkmcnt(2)
	v_mul_f32_e32 v96, v3, v135
	v_mul_f32_e32 v122, v2, v135
	s_waitcnt vmcnt(12)
	v_mul_f32_e32 v102, v4, v137
	v_add_f32_e32 v1, v1, v95
	v_add_f32_e32 v0, v0, v117
	v_mul_f32_e32 v95, v5, v137
	s_waitcnt vmcnt(5)
	v_fma_f32 v2, v2, v152, -v96
	s_waitcnt vmcnt(4)
	v_fma_f32 v6, v105, v153, -v6
	v_fmac_f32_e32 v123, v106, v153
	v_fmac_f32_e32 v122, v3, v152
	s_waitcnt lgkmcnt(1)
	v_mul_f32_e32 v3, v108, v148
	v_fma_f32 v4, v4, v151, -v95
	v_add_f32_e32 v1, v1, v6
	v_add_f32_e32 v0, v0, v123
	v_mul_f32_e32 v119, v107, v148
	v_fmac_f32_e32 v102, v5, v151
	v_fma_f32 v3, v107, v150, -v3
	v_add_f32_e32 v1, v1, v2
	v_add_f32_e32 v0, v0, v122
	v_mul_f32_e32 v2, v110, v128
	v_mul_f32_e32 v8, v109, v128
	v_fmac_f32_e32 v119, v108, v150
	v_add_f32_e32 v1, v1, v4
	v_add_f32_e32 v0, v0, v102
	s_waitcnt lgkmcnt(0)
	v_mul_f32_e32 v4, v112, v136
	v_mul_f32_e32 v124, v111, v136
	;; [unrolled: 1-line block ×3, first 2 shown]
	v_add_f32_e32 v1, v1, v3
	v_add_f32_e32 v0, v0, v119
	v_mul_f32_e32 v3, v114, v138
	s_waitcnt vmcnt(3)
	v_fmac_f32_e32 v99, v114, v7
	s_waitcnt vmcnt(2)
	v_fma_f32 v4, v111, v115, -v4
	s_waitcnt vmcnt(1)
	v_fma_f32 v2, v109, v154, -v2
	v_fmac_f32_e32 v8, v110, v154
	v_fmac_f32_e32 v124, v112, v115
	v_add_f32_e32 v1, v1, v2
	v_add_f32_e32 v0, v0, v8
	v_fma_f32 v2, v113, v7, -v3
	v_add_f32_e32 v1, v1, v4
	v_add_f32_e32 v0, v0, v124
	v_add_f32_e32 v1, v1, v2
	v_add_f32_e32 v0, v0, v99
	s_waitcnt vmcnt(0)
	v_sub_f32_e32 v1, v127, v1
	v_sub_f32_e32 v0, v141, v0
	buffer_store_dword v1, off, s[0:3], 0
	buffer_store_dword v0, off, s[0:3], 0 offset:4
	s_cbranch_vccz .LBB42_356
; %bb.272:
	v_mov_b32_e32 v0, 0
	global_load_dword v1, v0, s[20:21] offset:164
	s_waitcnt vmcnt(0)
	v_add_nc_u32_e32 v1, -1, v1
	v_cmp_ne_u32_e32 vcc_lo, 41, v1
	s_cbranch_vccz .LBB42_274
; %bb.273:
	v_lshlrev_b32_e32 v1, 3, v1
	s_clause 0x3
	buffer_load_dword v2, v1, s[0:3], 0 offen
	buffer_load_dword v3, v1, s[0:3], 0 offen offset:4
	buffer_load_dword v4, off, s[0:3], 0 offset:328
	buffer_load_dword v5, off, s[0:3], 0 offset:332
	s_waitcnt vmcnt(3)
	buffer_store_dword v2, off, s[0:3], 0 offset:328
	s_waitcnt vmcnt(2)
	buffer_store_dword v3, off, s[0:3], 0 offset:332
	s_waitcnt vmcnt(1)
	buffer_store_dword v4, v1, s[0:3], 0 offen
	s_waitcnt vmcnt(0)
	buffer_store_dword v5, v1, s[0:3], 0 offen offset:4
.LBB42_274:
	global_load_dword v0, v0, s[20:21] offset:160
	s_waitcnt vmcnt(0)
	v_add_nc_u32_e32 v0, -1, v0
	v_cmp_eq_u32_e32 vcc_lo, 40, v0
	s_cbranch_vccnz .LBB42_276
; %bb.275:
	v_lshlrev_b32_e32 v0, 3, v0
	s_clause 0x3
	buffer_load_dword v1, v0, s[0:3], 0 offen
	buffer_load_dword v2, v0, s[0:3], 0 offen offset:4
	buffer_load_dword v3, off, s[0:3], 0 offset:324
	buffer_load_dword v4, off, s[0:3], 0 offset:320
	s_waitcnt vmcnt(3)
	buffer_store_dword v1, off, s[0:3], 0 offset:320
	s_waitcnt vmcnt(2)
	buffer_store_dword v2, off, s[0:3], 0 offset:324
	s_waitcnt vmcnt(1)
	buffer_store_dword v3, v0, s[0:3], 0 offen offset:4
	s_waitcnt vmcnt(0)
	buffer_store_dword v4, v0, s[0:3], 0 offen
.LBB42_276:
	v_mov_b32_e32 v0, 0
	global_load_dword v1, v0, s[20:21] offset:156
	s_waitcnt vmcnt(0)
	v_add_nc_u32_e32 v1, -1, v1
	v_cmp_eq_u32_e32 vcc_lo, 39, v1
	s_cbranch_vccnz .LBB42_278
; %bb.277:
	v_lshlrev_b32_e32 v1, 3, v1
	s_clause 0x3
	buffer_load_dword v2, v1, s[0:3], 0 offen
	buffer_load_dword v3, v1, s[0:3], 0 offen offset:4
	buffer_load_dword v4, off, s[0:3], 0 offset:312
	buffer_load_dword v5, off, s[0:3], 0 offset:316
	s_waitcnt vmcnt(3)
	buffer_store_dword v2, off, s[0:3], 0 offset:312
	s_waitcnt vmcnt(2)
	buffer_store_dword v3, off, s[0:3], 0 offset:316
	s_waitcnt vmcnt(1)
	buffer_store_dword v4, v1, s[0:3], 0 offen
	s_waitcnt vmcnt(0)
	buffer_store_dword v5, v1, s[0:3], 0 offen offset:4
.LBB42_278:
	global_load_dword v0, v0, s[20:21] offset:152
	s_waitcnt vmcnt(0)
	v_add_nc_u32_e32 v0, -1, v0
	v_cmp_eq_u32_e32 vcc_lo, 38, v0
	s_cbranch_vccnz .LBB42_280
; %bb.279:
	v_lshlrev_b32_e32 v0, 3, v0
	s_clause 0x3
	buffer_load_dword v1, v0, s[0:3], 0 offen
	buffer_load_dword v2, v0, s[0:3], 0 offen offset:4
	buffer_load_dword v3, off, s[0:3], 0 offset:308
	buffer_load_dword v4, off, s[0:3], 0 offset:304
	s_waitcnt vmcnt(3)
	buffer_store_dword v1, off, s[0:3], 0 offset:304
	s_waitcnt vmcnt(2)
	buffer_store_dword v2, off, s[0:3], 0 offset:308
	s_waitcnt vmcnt(1)
	buffer_store_dword v3, v0, s[0:3], 0 offen offset:4
	s_waitcnt vmcnt(0)
	buffer_store_dword v4, v0, s[0:3], 0 offen
.LBB42_280:
	v_mov_b32_e32 v0, 0
	global_load_dword v1, v0, s[20:21] offset:148
	s_waitcnt vmcnt(0)
	v_add_nc_u32_e32 v1, -1, v1
	v_cmp_eq_u32_e32 vcc_lo, 37, v1
	s_cbranch_vccnz .LBB42_282
; %bb.281:
	v_lshlrev_b32_e32 v1, 3, v1
	s_clause 0x3
	buffer_load_dword v2, v1, s[0:3], 0 offen
	buffer_load_dword v3, v1, s[0:3], 0 offen offset:4
	buffer_load_dword v4, off, s[0:3], 0 offset:296
	buffer_load_dword v5, off, s[0:3], 0 offset:300
	s_waitcnt vmcnt(3)
	buffer_store_dword v2, off, s[0:3], 0 offset:296
	s_waitcnt vmcnt(2)
	buffer_store_dword v3, off, s[0:3], 0 offset:300
	s_waitcnt vmcnt(1)
	buffer_store_dword v4, v1, s[0:3], 0 offen
	s_waitcnt vmcnt(0)
	buffer_store_dword v5, v1, s[0:3], 0 offen offset:4
.LBB42_282:
	;; [unrolled: 43-line block ×20, first 2 shown]
	global_load_dword v0, v0, s[20:21]
	s_waitcnt vmcnt(0)
	v_add_nc_u32_e32 v0, -1, v0
	v_cmp_eq_u32_e32 vcc_lo, 0, v0
	s_cbranch_vccnz .LBB42_356
; %bb.355:
	v_lshlrev_b32_e32 v0, 3, v0
	s_clause 0x3
	buffer_load_dword v1, v0, s[0:3], 0 offen
	buffer_load_dword v2, v0, s[0:3], 0 offen offset:4
	buffer_load_dword v3, off, s[0:3], 0 offset:4
	buffer_load_dword v4, off, s[0:3], 0
	s_waitcnt vmcnt(3)
	buffer_store_dword v1, off, s[0:3], 0
	s_waitcnt vmcnt(2)
	buffer_store_dword v2, off, s[0:3], 0 offset:4
	s_waitcnt vmcnt(1)
	buffer_store_dword v3, v0, s[0:3], 0 offen offset:4
	s_waitcnt vmcnt(0)
	buffer_store_dword v4, v0, s[0:3], 0 offen
.LBB42_356:
	s_clause 0x3e
	buffer_load_dword v0, off, s[0:3], 0
	buffer_load_dword v1, off, s[0:3], 0 offset:4
	buffer_load_dword v2, off, s[0:3], 0 offset:8
	buffer_load_dword v3, off, s[0:3], 0 offset:12
	buffer_load_dword v4, off, s[0:3], 0 offset:16
	buffer_load_dword v5, off, s[0:3], 0 offset:20
	buffer_load_dword v6, off, s[0:3], 0 offset:24
	buffer_load_dword v7, off, s[0:3], 0 offset:28
	buffer_load_dword v95, off, s[0:3], 0 offset:32
	buffer_load_dword v96, off, s[0:3], 0 offset:36
	buffer_load_dword v97, off, s[0:3], 0 offset:40
	buffer_load_dword v98, off, s[0:3], 0 offset:44
	buffer_load_dword v99, off, s[0:3], 0 offset:48
	buffer_load_dword v100, off, s[0:3], 0 offset:52
	buffer_load_dword v101, off, s[0:3], 0 offset:56
	buffer_load_dword v102, off, s[0:3], 0 offset:60
	buffer_load_dword v104, off, s[0:3], 0 offset:68
	buffer_load_dword v105, off, s[0:3], 0 offset:72
	buffer_load_dword v106, off, s[0:3], 0 offset:76
	buffer_load_dword v107, off, s[0:3], 0 offset:80
	buffer_load_dword v108, off, s[0:3], 0 offset:84
	buffer_load_dword v109, off, s[0:3], 0 offset:88
	buffer_load_dword v110, off, s[0:3], 0 offset:92
	buffer_load_dword v103, off, s[0:3], 0 offset:64
	buffer_load_dword v111, off, s[0:3], 0 offset:96
	buffer_load_dword v112, off, s[0:3], 0 offset:100
	buffer_load_dword v113, off, s[0:3], 0 offset:104
	buffer_load_dword v114, off, s[0:3], 0 offset:108
	buffer_load_dword v115, off, s[0:3], 0 offset:112
	buffer_load_dword v116, off, s[0:3], 0 offset:116
	buffer_load_dword v117, off, s[0:3], 0 offset:120
	buffer_load_dword v118, off, s[0:3], 0 offset:124
	buffer_load_dword v119, off, s[0:3], 0 offset:128
	buffer_load_dword v120, off, s[0:3], 0 offset:132
	buffer_load_dword v121, off, s[0:3], 0 offset:136
	buffer_load_dword v122, off, s[0:3], 0 offset:140
	buffer_load_dword v123, off, s[0:3], 0 offset:144
	buffer_load_dword v124, off, s[0:3], 0 offset:148
	buffer_load_dword v125, off, s[0:3], 0 offset:152
	buffer_load_dword v126, off, s[0:3], 0 offset:156
	buffer_load_dword v127, off, s[0:3], 0 offset:160
	buffer_load_dword v128, off, s[0:3], 0 offset:164
	buffer_load_dword v129, off, s[0:3], 0 offset:168
	buffer_load_dword v130, off, s[0:3], 0 offset:172
	buffer_load_dword v131, off, s[0:3], 0 offset:176
	buffer_load_dword v132, off, s[0:3], 0 offset:180
	buffer_load_dword v133, off, s[0:3], 0 offset:184
	buffer_load_dword v134, off, s[0:3], 0 offset:188
	buffer_load_dword v135, off, s[0:3], 0 offset:192
	buffer_load_dword v136, off, s[0:3], 0 offset:196
	buffer_load_dword v137, off, s[0:3], 0 offset:200
	buffer_load_dword v138, off, s[0:3], 0 offset:204
	buffer_load_dword v139, off, s[0:3], 0 offset:208
	buffer_load_dword v140, off, s[0:3], 0 offset:212
	buffer_load_dword v141, off, s[0:3], 0 offset:216
	buffer_load_dword v142, off, s[0:3], 0 offset:220
	buffer_load_dword v143, off, s[0:3], 0 offset:224
	buffer_load_dword v144, off, s[0:3], 0 offset:228
	buffer_load_dword v145, off, s[0:3], 0 offset:232
	buffer_load_dword v146, off, s[0:3], 0 offset:236
	buffer_load_dword v147, off, s[0:3], 0 offset:240
	buffer_load_dword v148, off, s[0:3], 0 offset:244
	buffer_load_dword v149, off, s[0:3], 0 offset:248
	s_clause 0x16
	buffer_load_dword v150, off, s[0:3], 0 offset:252
	buffer_load_dword v151, off, s[0:3], 0 offset:256
	;; [unrolled: 1-line block ×23, first 2 shown]
	s_waitcnt vmcnt(62)
	global_store_dwordx2 v[81:82], v[0:1], off
	global_store_dwordx2 v[83:84], v[2:3], off
	;; [unrolled: 1-line block ×12, first 2 shown]
	s_waitcnt vmcnt(60)
	global_store_dwordx2 v[29:30], v[111:112], off
	s_waitcnt vmcnt(58)
	global_store_dwordx2 v[31:32], v[113:114], off
	;; [unrolled: 2-line block ×31, first 2 shown]
	s_endpgm
	.section	.rodata,"a",@progbits
	.p2align	6, 0x0
	.amdhsa_kernel _ZN9rocsolver6v33100L18getri_kernel_smallILi43E19rocblas_complex_numIfEPS3_EEvT1_iilPiilS6_bb
		.amdhsa_group_segment_fixed_size 696
		.amdhsa_private_segment_fixed_size 352
		.amdhsa_kernarg_size 60
		.amdhsa_user_sgpr_count 6
		.amdhsa_user_sgpr_private_segment_buffer 1
		.amdhsa_user_sgpr_dispatch_ptr 0
		.amdhsa_user_sgpr_queue_ptr 0
		.amdhsa_user_sgpr_kernarg_segment_ptr 1
		.amdhsa_user_sgpr_dispatch_id 0
		.amdhsa_user_sgpr_flat_scratch_init 0
		.amdhsa_user_sgpr_private_segment_size 0
		.amdhsa_wavefront_size32 1
		.amdhsa_uses_dynamic_stack 0
		.amdhsa_system_sgpr_private_segment_wavefront_offset 1
		.amdhsa_system_sgpr_workgroup_id_x 1
		.amdhsa_system_sgpr_workgroup_id_y 0
		.amdhsa_system_sgpr_workgroup_id_z 0
		.amdhsa_system_sgpr_workgroup_info 0
		.amdhsa_system_vgpr_workitem_id 0
		.amdhsa_next_free_vgpr 250
		.amdhsa_next_free_sgpr 23
		.amdhsa_reserve_vcc 1
		.amdhsa_reserve_flat_scratch 0
		.amdhsa_float_round_mode_32 0
		.amdhsa_float_round_mode_16_64 0
		.amdhsa_float_denorm_mode_32 3
		.amdhsa_float_denorm_mode_16_64 3
		.amdhsa_dx10_clamp 1
		.amdhsa_ieee_mode 1
		.amdhsa_fp16_overflow 0
		.amdhsa_workgroup_processor_mode 1
		.amdhsa_memory_ordered 1
		.amdhsa_forward_progress 1
		.amdhsa_shared_vgpr_count 0
		.amdhsa_exception_fp_ieee_invalid_op 0
		.amdhsa_exception_fp_denorm_src 0
		.amdhsa_exception_fp_ieee_div_zero 0
		.amdhsa_exception_fp_ieee_overflow 0
		.amdhsa_exception_fp_ieee_underflow 0
		.amdhsa_exception_fp_ieee_inexact 0
		.amdhsa_exception_int_div_zero 0
	.end_amdhsa_kernel
	.section	.text._ZN9rocsolver6v33100L18getri_kernel_smallILi43E19rocblas_complex_numIfEPS3_EEvT1_iilPiilS6_bb,"axG",@progbits,_ZN9rocsolver6v33100L18getri_kernel_smallILi43E19rocblas_complex_numIfEPS3_EEvT1_iilPiilS6_bb,comdat
.Lfunc_end42:
	.size	_ZN9rocsolver6v33100L18getri_kernel_smallILi43E19rocblas_complex_numIfEPS3_EEvT1_iilPiilS6_bb, .Lfunc_end42-_ZN9rocsolver6v33100L18getri_kernel_smallILi43E19rocblas_complex_numIfEPS3_EEvT1_iilPiilS6_bb
                                        ; -- End function
	.set _ZN9rocsolver6v33100L18getri_kernel_smallILi43E19rocblas_complex_numIfEPS3_EEvT1_iilPiilS6_bb.num_vgpr, 250
	.set _ZN9rocsolver6v33100L18getri_kernel_smallILi43E19rocblas_complex_numIfEPS3_EEvT1_iilPiilS6_bb.num_agpr, 0
	.set _ZN9rocsolver6v33100L18getri_kernel_smallILi43E19rocblas_complex_numIfEPS3_EEvT1_iilPiilS6_bb.numbered_sgpr, 23
	.set _ZN9rocsolver6v33100L18getri_kernel_smallILi43E19rocblas_complex_numIfEPS3_EEvT1_iilPiilS6_bb.num_named_barrier, 0
	.set _ZN9rocsolver6v33100L18getri_kernel_smallILi43E19rocblas_complex_numIfEPS3_EEvT1_iilPiilS6_bb.private_seg_size, 352
	.set _ZN9rocsolver6v33100L18getri_kernel_smallILi43E19rocblas_complex_numIfEPS3_EEvT1_iilPiilS6_bb.uses_vcc, 1
	.set _ZN9rocsolver6v33100L18getri_kernel_smallILi43E19rocblas_complex_numIfEPS3_EEvT1_iilPiilS6_bb.uses_flat_scratch, 0
	.set _ZN9rocsolver6v33100L18getri_kernel_smallILi43E19rocblas_complex_numIfEPS3_EEvT1_iilPiilS6_bb.has_dyn_sized_stack, 0
	.set _ZN9rocsolver6v33100L18getri_kernel_smallILi43E19rocblas_complex_numIfEPS3_EEvT1_iilPiilS6_bb.has_recursion, 0
	.set _ZN9rocsolver6v33100L18getri_kernel_smallILi43E19rocblas_complex_numIfEPS3_EEvT1_iilPiilS6_bb.has_indirect_call, 0
	.section	.AMDGPU.csdata,"",@progbits
; Kernel info:
; codeLenInByte = 75744
; TotalNumSgprs: 25
; NumVgprs: 250
; ScratchSize: 352
; MemoryBound: 0
; FloatMode: 240
; IeeeMode: 1
; LDSByteSize: 696 bytes/workgroup (compile time only)
; SGPRBlocks: 0
; VGPRBlocks: 31
; NumSGPRsForWavesPerEU: 25
; NumVGPRsForWavesPerEU: 250
; Occupancy: 4
; WaveLimiterHint : 1
; COMPUTE_PGM_RSRC2:SCRATCH_EN: 1
; COMPUTE_PGM_RSRC2:USER_SGPR: 6
; COMPUTE_PGM_RSRC2:TRAP_HANDLER: 0
; COMPUTE_PGM_RSRC2:TGID_X_EN: 1
; COMPUTE_PGM_RSRC2:TGID_Y_EN: 0
; COMPUTE_PGM_RSRC2:TGID_Z_EN: 0
; COMPUTE_PGM_RSRC2:TIDIG_COMP_CNT: 0
	.section	.text._ZN9rocsolver6v33100L18getri_kernel_smallILi44E19rocblas_complex_numIfEPS3_EEvT1_iilPiilS6_bb,"axG",@progbits,_ZN9rocsolver6v33100L18getri_kernel_smallILi44E19rocblas_complex_numIfEPS3_EEvT1_iilPiilS6_bb,comdat
	.globl	_ZN9rocsolver6v33100L18getri_kernel_smallILi44E19rocblas_complex_numIfEPS3_EEvT1_iilPiilS6_bb ; -- Begin function _ZN9rocsolver6v33100L18getri_kernel_smallILi44E19rocblas_complex_numIfEPS3_EEvT1_iilPiilS6_bb
	.p2align	8
	.type	_ZN9rocsolver6v33100L18getri_kernel_smallILi44E19rocblas_complex_numIfEPS3_EEvT1_iilPiilS6_bb,@function
_ZN9rocsolver6v33100L18getri_kernel_smallILi44E19rocblas_complex_numIfEPS3_EEvT1_iilPiilS6_bb: ; @_ZN9rocsolver6v33100L18getri_kernel_smallILi44E19rocblas_complex_numIfEPS3_EEvT1_iilPiilS6_bb
; %bb.0:
	s_add_u32 s0, s0, s7
	s_addc_u32 s1, s1, 0
	s_mov_b32 s7, exec_lo
	v_cmpx_gt_u32_e32 44, v0
	s_cbranch_execz .LBB43_190
; %bb.1:
	s_clause 0x2
	s_load_dword s7, s[4:5], 0x38
	s_load_dwordx4 s[16:19], s[4:5], 0x10
	s_load_dwordx4 s[8:11], s[4:5], 0x28
                                        ; implicit-def: $sgpr20_sgpr21
	s_waitcnt lgkmcnt(0)
	s_bitcmp1_b32 s7, 8
	s_cselect_b32 s22, -1, 0
	s_bfe_u32 s12, s7, 0x10008
	s_ashr_i32 s7, s6, 31
	s_cmp_eq_u32 s12, 0
	s_cbranch_scc1 .LBB43_3
; %bb.2:
	s_load_dword s12, s[4:5], 0x20
	s_mul_i32 s13, s8, s7
	s_mul_hi_u32 s14, s8, s6
	s_mul_i32 s9, s9, s6
	s_add_i32 s13, s14, s13
	s_mul_i32 s8, s8, s6
	s_add_i32 s9, s13, s9
	s_lshl_b64 s[8:9], s[8:9], 2
	s_waitcnt lgkmcnt(0)
	s_ashr_i32 s13, s12, 31
	s_add_u32 s14, s18, s8
	s_addc_u32 s15, s19, s9
	s_lshl_b64 s[8:9], s[12:13], 2
	s_add_u32 s20, s14, s8
	s_addc_u32 s21, s15, s9
.LBB43_3:
	s_clause 0x1
	s_load_dwordx4 s[12:15], s[4:5], 0x0
	s_load_dword s8, s[4:5], 0x38
	s_mul_i32 s4, s16, s7
	s_mul_hi_u32 s5, s16, s6
	s_mul_i32 s9, s17, s6
	s_add_i32 s5, s5, s4
	s_mul_i32 s4, s16, s6
	s_add_i32 s5, s5, s9
	s_lshl_b64 s[4:5], s[4:5], 3
	s_waitcnt lgkmcnt(0)
	v_add3_u32 v1, s15, s15, v0
	s_ashr_i32 s17, s14, 31
	s_mov_b32 s16, s14
	s_add_u32 s9, s12, s4
	s_addc_u32 s12, s13, s5
	v_add_nc_u32_e32 v3, s15, v1
	v_ashrrev_i32_e32 v2, 31, v1
	s_lshl_b64 s[4:5], s[16:17], 3
	s_add_u32 s4, s9, s4
	v_add_nc_u32_e32 v5, s15, v3
	v_ashrrev_i32_e32 v4, 31, v3
	v_lshlrev_b64 v[1:2], 3, v[1:2]
	s_addc_u32 s5, s12, s5
	s_mov_b32 s12, s15
	v_ashrrev_i32_e32 v6, 31, v5
	v_add_nc_u32_e32 v7, s15, v5
	v_lshlrev_b64 v[3:4], 3, v[3:4]
	v_add_co_u32 v9, vcc_lo, s4, v1
	v_add_co_ci_u32_e64 v10, null, s5, v2, vcc_lo
	v_lshlrev_b64 v[1:2], 3, v[5:6]
	v_ashrrev_i32_e32 v8, 31, v7
	v_add_nc_u32_e32 v5, s15, v7
	v_add_co_u32 v11, vcc_lo, s4, v3
	v_add_co_ci_u32_e64 v12, null, s5, v4, vcc_lo
	v_lshlrev_b64 v[3:4], 3, v[7:8]
	v_ashrrev_i32_e32 v6, 31, v5
	v_add_nc_u32_e32 v7, s15, v5
	v_add_co_u32 v13, vcc_lo, s4, v1
	v_add_co_ci_u32_e64 v14, null, s5, v2, vcc_lo
	v_lshlrev_b64 v[1:2], 3, v[5:6]
	v_ashrrev_i32_e32 v8, 31, v7
	v_add_nc_u32_e32 v5, s15, v7
	v_add_co_u32 v15, vcc_lo, s4, v3
	v_add_co_ci_u32_e64 v16, null, s5, v4, vcc_lo
	v_lshlrev_b64 v[3:4], 3, v[7:8]
	v_ashrrev_i32_e32 v6, 31, v5
	v_add_nc_u32_e32 v7, s15, v5
	v_add_co_u32 v17, vcc_lo, s4, v1
	v_add_co_ci_u32_e64 v18, null, s5, v2, vcc_lo
	v_lshlrev_b64 v[1:2], 3, v[5:6]
	v_ashrrev_i32_e32 v8, 31, v7
	v_add_nc_u32_e32 v5, s15, v7
	v_add_co_u32 v19, vcc_lo, s4, v3
	v_add_co_ci_u32_e64 v20, null, s5, v4, vcc_lo
	v_lshlrev_b64 v[3:4], 3, v[7:8]
	v_ashrrev_i32_e32 v6, 31, v5
	v_add_nc_u32_e32 v7, s15, v5
	v_add_co_u32 v21, vcc_lo, s4, v1
	v_add_co_ci_u32_e64 v22, null, s5, v2, vcc_lo
	v_lshlrev_b64 v[1:2], 3, v[5:6]
	v_ashrrev_i32_e32 v8, 31, v7
	v_add_nc_u32_e32 v5, s15, v7
	v_add_co_u32 v23, vcc_lo, s4, v3
	v_add_co_ci_u32_e64 v24, null, s5, v4, vcc_lo
	v_lshlrev_b64 v[3:4], 3, v[7:8]
	v_ashrrev_i32_e32 v6, 31, v5
	v_add_nc_u32_e32 v7, s15, v5
	v_add_co_u32 v25, vcc_lo, s4, v1
	v_add_co_ci_u32_e64 v26, null, s5, v2, vcc_lo
	v_lshlrev_b64 v[1:2], 3, v[5:6]
	v_ashrrev_i32_e32 v8, 31, v7
	v_add_nc_u32_e32 v5, s15, v7
	v_add_co_u32 v27, vcc_lo, s4, v3
	v_add_co_ci_u32_e64 v28, null, s5, v4, vcc_lo
	v_lshlrev_b64 v[3:4], 3, v[7:8]
	v_ashrrev_i32_e32 v6, 31, v5
	v_add_nc_u32_e32 v7, s15, v5
	v_add_co_u32 v29, vcc_lo, s4, v1
	v_add_co_ci_u32_e64 v30, null, s5, v2, vcc_lo
	v_lshlrev_b64 v[1:2], 3, v[5:6]
	v_ashrrev_i32_e32 v8, 31, v7
	v_add_nc_u32_e32 v5, s15, v7
	v_add_co_u32 v31, vcc_lo, s4, v3
	v_add_co_ci_u32_e64 v32, null, s5, v4, vcc_lo
	v_lshlrev_b64 v[3:4], 3, v[7:8]
	v_ashrrev_i32_e32 v6, 31, v5
	v_add_nc_u32_e32 v7, s15, v5
	v_add_co_u32 v33, vcc_lo, s4, v1
	v_add_co_ci_u32_e64 v34, null, s5, v2, vcc_lo
	v_lshlrev_b64 v[1:2], 3, v[5:6]
	v_ashrrev_i32_e32 v8, 31, v7
	v_add_nc_u32_e32 v5, s15, v7
	v_add_co_u32 v35, vcc_lo, s4, v3
	v_add_co_ci_u32_e64 v36, null, s5, v4, vcc_lo
	v_lshlrev_b64 v[3:4], 3, v[7:8]
	v_ashrrev_i32_e32 v6, 31, v5
	v_add_nc_u32_e32 v7, s15, v5
	v_add_co_u32 v37, vcc_lo, s4, v1
	v_add_co_ci_u32_e64 v38, null, s5, v2, vcc_lo
	v_lshlrev_b64 v[1:2], 3, v[5:6]
	v_ashrrev_i32_e32 v8, 31, v7
	v_add_nc_u32_e32 v5, s15, v7
	v_add_co_u32 v39, vcc_lo, s4, v3
	v_add_co_ci_u32_e64 v40, null, s5, v4, vcc_lo
	v_lshlrev_b64 v[3:4], 3, v[7:8]
	v_ashrrev_i32_e32 v6, 31, v5
	v_add_nc_u32_e32 v7, s15, v5
	v_add_co_u32 v41, vcc_lo, s4, v1
	v_add_co_ci_u32_e64 v42, null, s5, v2, vcc_lo
	v_lshlrev_b64 v[1:2], 3, v[5:6]
	v_ashrrev_i32_e32 v8, 31, v7
	v_add_nc_u32_e32 v5, s15, v7
	v_add_co_u32 v43, vcc_lo, s4, v3
	v_add_co_ci_u32_e64 v44, null, s5, v4, vcc_lo
	v_lshlrev_b64 v[3:4], 3, v[7:8]
	v_ashrrev_i32_e32 v6, 31, v5
	v_add_nc_u32_e32 v7, s15, v5
	v_add_co_u32 v45, vcc_lo, s4, v1
	v_add_co_ci_u32_e64 v46, null, s5, v2, vcc_lo
	v_lshlrev_b64 v[1:2], 3, v[5:6]
	v_ashrrev_i32_e32 v8, 31, v7
	v_add_nc_u32_e32 v5, s15, v7
	v_add_co_u32 v47, vcc_lo, s4, v3
	v_add_co_ci_u32_e64 v48, null, s5, v4, vcc_lo
	v_lshlrev_b64 v[3:4], 3, v[7:8]
	v_ashrrev_i32_e32 v6, 31, v5
	v_add_nc_u32_e32 v7, s15, v5
	v_add_co_u32 v49, vcc_lo, s4, v1
	v_add_co_ci_u32_e64 v50, null, s5, v2, vcc_lo
	v_lshlrev_b64 v[1:2], 3, v[5:6]
	v_ashrrev_i32_e32 v8, 31, v7
	v_add_nc_u32_e32 v5, s15, v7
	v_add_co_u32 v51, vcc_lo, s4, v3
	v_add_co_ci_u32_e64 v52, null, s5, v4, vcc_lo
	v_lshlrev_b64 v[3:4], 3, v[7:8]
	v_ashrrev_i32_e32 v6, 31, v5
	v_add_nc_u32_e32 v7, s15, v5
	v_add_co_u32 v53, vcc_lo, s4, v1
	v_add_co_ci_u32_e64 v54, null, s5, v2, vcc_lo
	v_lshlrev_b64 v[1:2], 3, v[5:6]
	v_ashrrev_i32_e32 v8, 31, v7
	v_add_nc_u32_e32 v5, s15, v7
	v_add_co_u32 v55, vcc_lo, s4, v3
	v_add_co_ci_u32_e64 v56, null, s5, v4, vcc_lo
	v_lshlrev_b64 v[3:4], 3, v[7:8]
	v_ashrrev_i32_e32 v6, 31, v5
	v_add_nc_u32_e32 v7, s15, v5
	v_add_co_u32 v57, vcc_lo, s4, v1
	v_add_co_ci_u32_e64 v58, null, s5, v2, vcc_lo
	v_lshlrev_b64 v[1:2], 3, v[5:6]
	v_ashrrev_i32_e32 v8, 31, v7
	v_add_nc_u32_e32 v5, s15, v7
	v_add_co_u32 v59, vcc_lo, s4, v3
	v_add_co_ci_u32_e64 v60, null, s5, v4, vcc_lo
	v_lshlrev_b64 v[3:4], 3, v[7:8]
	v_ashrrev_i32_e32 v6, 31, v5
	v_add_nc_u32_e32 v7, s15, v5
	v_add_co_u32 v61, vcc_lo, s4, v1
	v_add_co_ci_u32_e64 v62, null, s5, v2, vcc_lo
	v_lshlrev_b64 v[1:2], 3, v[5:6]
	v_ashrrev_i32_e32 v8, 31, v7
	v_add_nc_u32_e32 v5, s15, v7
	v_add_co_u32 v63, vcc_lo, s4, v3
	v_add_co_ci_u32_e64 v64, null, s5, v4, vcc_lo
	v_lshlrev_b64 v[3:4], 3, v[7:8]
	v_ashrrev_i32_e32 v6, 31, v5
	v_add_nc_u32_e32 v7, s15, v5
	v_add_co_u32 v65, vcc_lo, s4, v1
	v_add_co_ci_u32_e64 v66, null, s5, v2, vcc_lo
	v_lshlrev_b64 v[1:2], 3, v[5:6]
	v_ashrrev_i32_e32 v8, 31, v7
	v_add_nc_u32_e32 v5, s15, v7
	v_add_co_u32 v67, vcc_lo, s4, v3
	v_add_co_ci_u32_e64 v68, null, s5, v4, vcc_lo
	v_lshlrev_b64 v[3:4], 3, v[7:8]
	v_add_nc_u32_e32 v7, s15, v5
	v_ashrrev_i32_e32 v6, 31, v5
	v_add_co_u32 v69, vcc_lo, s4, v1
	v_add_co_ci_u32_e64 v70, null, s5, v2, vcc_lo
	v_ashrrev_i32_e32 v8, 31, v7
	v_lshlrev_b64 v[1:2], 3, v[5:6]
	v_add_nc_u32_e32 v5, s15, v7
	v_add_co_u32 v71, vcc_lo, s4, v3
	v_add_co_ci_u32_e64 v72, null, s5, v4, vcc_lo
	v_lshlrev_b64 v[3:4], 3, v[7:8]
	v_ashrrev_i32_e32 v6, 31, v5
	v_add_co_u32 v73, vcc_lo, s4, v1
	v_add_co_ci_u32_e64 v74, null, s5, v2, vcc_lo
	v_add_co_u32 v75, vcc_lo, s4, v3
	v_lshlrev_b64 v[1:2], 3, v[5:6]
	v_add_co_ci_u32_e64 v76, null, s5, v4, vcc_lo
	v_add_nc_u32_e32 v4, s15, v5
	v_lshlrev_b32_e32 v3, 3, v0
	s_ashr_i32 s13, s15, 31
	v_add_co_u32 v77, vcc_lo, s4, v1
	v_add_nc_u32_e32 v1, s15, v4
	v_ashrrev_i32_e32 v5, 31, v4
	v_add_co_ci_u32_e64 v78, null, s5, v2, vcc_lo
	v_add_co_u32 v83, s9, s4, v3
	v_add_nc_u32_e32 v6, s15, v1
	v_ashrrev_i32_e32 v2, 31, v1
	v_lshlrev_b64 v[4:5], 3, v[4:5]
	v_add_co_ci_u32_e64 v84, null, s5, 0, s9
	v_add_nc_u32_e32 v89, s15, v6
	v_ashrrev_i32_e32 v7, 31, v6
	s_lshl_b64 s[12:13], s[12:13], 3
	v_lshlrev_b64 v[1:2], 3, v[1:2]
	v_add_co_u32 v85, vcc_lo, v83, s12
	v_add_nc_u32_e32 v91, s15, v89
	v_ashrrev_i32_e32 v90, 31, v89
	v_lshlrev_b64 v[6:7], 3, v[6:7]
	v_add_co_ci_u32_e64 v86, null, s13, v84, vcc_lo
	v_add_nc_u32_e32 v93, s15, v91
	v_ashrrev_i32_e32 v92, 31, v91
	v_add_co_u32 v79, vcc_lo, s4, v4
	v_lshlrev_b64 v[89:90], 3, v[89:90]
	v_add_nc_u32_e32 v95, s15, v93
	v_ashrrev_i32_e32 v94, 31, v93
	v_add_co_ci_u32_e64 v80, null, s5, v5, vcc_lo
	v_add_co_u32 v81, vcc_lo, s4, v1
	v_ashrrev_i32_e32 v96, 31, v95
	v_lshlrev_b64 v[91:92], 3, v[91:92]
	v_add_co_ci_u32_e64 v82, null, s5, v2, vcc_lo
	v_add_co_u32 v87, vcc_lo, s4, v6
	v_lshlrev_b64 v[93:94], 3, v[93:94]
	v_add_co_ci_u32_e64 v88, null, s5, v7, vcc_lo
	v_add_co_u32 v89, vcc_lo, s4, v89
	;; [unrolled: 3-line block ×3, first 2 shown]
	v_add_co_ci_u32_e64 v92, null, s5, v92, vcc_lo
	v_add_co_u32 v93, vcc_lo, s4, v93
	v_add_co_ci_u32_e64 v94, null, s5, v94, vcc_lo
	v_add_co_u32 v95, vcc_lo, s4, v95
	v_add_co_ci_u32_e64 v96, null, s5, v96, vcc_lo
	s_clause 0x2b
	global_load_dwordx2 v[97:98], v3, s[4:5]
	global_load_dwordx2 v[99:100], v[85:86], off
	global_load_dwordx2 v[4:5], v[9:10], off
	;; [unrolled: 1-line block ×43, first 2 shown]
	s_mov_b32 s5, -1
	s_bitcmp0_b32 s8, 0
	s_waitcnt vmcnt(43)
	buffer_store_dword v98, off, s[0:3], 0 offset:4
	buffer_store_dword v97, off, s[0:3], 0
	s_waitcnt vmcnt(42)
	buffer_store_dword v100, off, s[0:3], 0 offset:12
	buffer_store_dword v99, off, s[0:3], 0 offset:8
	s_waitcnt vmcnt(41)
	buffer_store_dword v5, off, s[0:3], 0 offset:20
	buffer_store_dword v4, off, s[0:3], 0 offset:16
	s_waitcnt vmcnt(40)
	buffer_store_dword v102, off, s[0:3], 0 offset:28
	buffer_store_dword v101, off, s[0:3], 0 offset:24
	s_waitcnt vmcnt(39)
	buffer_store_dword v104, off, s[0:3], 0 offset:36
	buffer_store_dword v103, off, s[0:3], 0 offset:32
	s_waitcnt vmcnt(38)
	buffer_store_dword v106, off, s[0:3], 0 offset:44
	buffer_store_dword v105, off, s[0:3], 0 offset:40
	s_waitcnt vmcnt(37)
	buffer_store_dword v108, off, s[0:3], 0 offset:52
	buffer_store_dword v107, off, s[0:3], 0 offset:48
	s_waitcnt vmcnt(36)
	buffer_store_dword v110, off, s[0:3], 0 offset:60
	buffer_store_dword v109, off, s[0:3], 0 offset:56
	s_waitcnt vmcnt(35)
	buffer_store_dword v112, off, s[0:3], 0 offset:68
	buffer_store_dword v111, off, s[0:3], 0 offset:64
	s_waitcnt vmcnt(34)
	buffer_store_dword v1, off, s[0:3], 0 offset:72
	buffer_store_dword v2, off, s[0:3], 0 offset:76
	s_waitcnt vmcnt(33)
	buffer_store_dword v113, off, s[0:3], 0 offset:80
	buffer_store_dword v114, off, s[0:3], 0 offset:84
	s_waitcnt vmcnt(32)
	buffer_store_dword v115, off, s[0:3], 0 offset:88
	buffer_store_dword v116, off, s[0:3], 0 offset:92
	s_waitcnt vmcnt(31)
	buffer_store_dword v117, off, s[0:3], 0 offset:96
	buffer_store_dword v118, off, s[0:3], 0 offset:100
	s_waitcnt vmcnt(30)
	buffer_store_dword v119, off, s[0:3], 0 offset:104
	buffer_store_dword v120, off, s[0:3], 0 offset:108
	s_waitcnt vmcnt(29)
	buffer_store_dword v122, off, s[0:3], 0 offset:116
	buffer_store_dword v121, off, s[0:3], 0 offset:112
	s_waitcnt vmcnt(28)
	buffer_store_dword v123, off, s[0:3], 0 offset:120
	buffer_store_dword v124, off, s[0:3], 0 offset:124
	s_waitcnt vmcnt(27)
	buffer_store_dword v6, off, s[0:3], 0 offset:128
	buffer_store_dword v7, off, s[0:3], 0 offset:132
	s_waitcnt vmcnt(26)
	buffer_store_dword v125, off, s[0:3], 0 offset:136
	buffer_store_dword v126, off, s[0:3], 0 offset:140
	s_waitcnt vmcnt(25)
	buffer_store_dword v127, off, s[0:3], 0 offset:144
	buffer_store_dword v128, off, s[0:3], 0 offset:148
	s_waitcnt vmcnt(24)
	buffer_store_dword v130, off, s[0:3], 0 offset:156
	buffer_store_dword v129, off, s[0:3], 0 offset:152
	s_waitcnt vmcnt(23)
	buffer_store_dword v132, off, s[0:3], 0 offset:164
	buffer_store_dword v131, off, s[0:3], 0 offset:160
	s_waitcnt vmcnt(22)
	buffer_store_dword v133, off, s[0:3], 0 offset:168
	buffer_store_dword v134, off, s[0:3], 0 offset:172
	s_waitcnt vmcnt(21)
	buffer_store_dword v135, off, s[0:3], 0 offset:176
	buffer_store_dword v136, off, s[0:3], 0 offset:180
	s_waitcnt vmcnt(20)
	buffer_store_dword v137, off, s[0:3], 0 offset:184
	buffer_store_dword v138, off, s[0:3], 0 offset:188
	s_waitcnt vmcnt(19)
	buffer_store_dword v139, off, s[0:3], 0 offset:192
	buffer_store_dword v140, off, s[0:3], 0 offset:196
	s_waitcnt vmcnt(18)
	buffer_store_dword v142, off, s[0:3], 0 offset:204
	buffer_store_dword v141, off, s[0:3], 0 offset:200
	s_waitcnt vmcnt(17)
	buffer_store_dword v144, off, s[0:3], 0 offset:212
	buffer_store_dword v143, off, s[0:3], 0 offset:208
	s_waitcnt vmcnt(16)
	buffer_store_dword v145, off, s[0:3], 0 offset:216
	buffer_store_dword v146, off, s[0:3], 0 offset:220
	s_waitcnt vmcnt(15)
	buffer_store_dword v147, off, s[0:3], 0 offset:224
	buffer_store_dword v148, off, s[0:3], 0 offset:228
	s_waitcnt vmcnt(14)
	buffer_store_dword v149, off, s[0:3], 0 offset:232
	buffer_store_dword v150, off, s[0:3], 0 offset:236
	s_waitcnt vmcnt(13)
	buffer_store_dword v151, off, s[0:3], 0 offset:240
	buffer_store_dword v152, off, s[0:3], 0 offset:244
	s_waitcnt vmcnt(12)
	buffer_store_dword v154, off, s[0:3], 0 offset:252
	buffer_store_dword v153, off, s[0:3], 0 offset:248
	s_waitcnt vmcnt(11)
	buffer_store_dword v156, off, s[0:3], 0 offset:260
	buffer_store_dword v155, off, s[0:3], 0 offset:256
	s_waitcnt vmcnt(10)
	buffer_store_dword v157, off, s[0:3], 0 offset:264
	buffer_store_dword v158, off, s[0:3], 0 offset:268
	s_waitcnt vmcnt(9)
	buffer_store_dword v159, off, s[0:3], 0 offset:272
	buffer_store_dword v160, off, s[0:3], 0 offset:276
	s_waitcnt vmcnt(8)
	buffer_store_dword v161, off, s[0:3], 0 offset:280
	buffer_store_dword v162, off, s[0:3], 0 offset:284
	s_waitcnt vmcnt(7)
	buffer_store_dword v163, off, s[0:3], 0 offset:288
	buffer_store_dword v164, off, s[0:3], 0 offset:292
	s_waitcnt vmcnt(6)
	buffer_store_dword v166, off, s[0:3], 0 offset:300
	buffer_store_dword v165, off, s[0:3], 0 offset:296
	s_waitcnt vmcnt(5)
	buffer_store_dword v168, off, s[0:3], 0 offset:308
	buffer_store_dword v167, off, s[0:3], 0 offset:304
	s_waitcnt vmcnt(4)
	buffer_store_dword v169, off, s[0:3], 0 offset:312
	buffer_store_dword v170, off, s[0:3], 0 offset:316
	s_waitcnt vmcnt(3)
	buffer_store_dword v171, off, s[0:3], 0 offset:320
	buffer_store_dword v172, off, s[0:3], 0 offset:324
	s_waitcnt vmcnt(2)
	buffer_store_dword v173, off, s[0:3], 0 offset:328
	buffer_store_dword v174, off, s[0:3], 0 offset:332
	s_waitcnt vmcnt(1)
	buffer_store_dword v175, off, s[0:3], 0 offset:336
	buffer_store_dword v176, off, s[0:3], 0 offset:340
	s_waitcnt vmcnt(0)
	buffer_store_dword v178, off, s[0:3], 0 offset:348
	buffer_store_dword v177, off, s[0:3], 0 offset:344
	s_cbranch_scc1 .LBB43_188
; %bb.4:
	v_cmp_eq_u32_e64 s4, 0, v0
	s_and_saveexec_b32 s5, s4
; %bb.5:
	v_mov_b32_e32 v1, 0
	ds_write_b32 v1, v1 offset:704
; %bb.6:
	s_or_b32 exec_lo, exec_lo, s5
	v_lshl_add_u32 v5, v0, 3, 0
	s_waitcnt lgkmcnt(0)
	s_waitcnt_vscnt null, 0x0
	s_barrier
	buffer_gl0_inv
	s_clause 0x1
	buffer_load_dword v1, v5, s[0:3], 0 offen
	buffer_load_dword v2, v5, s[0:3], 0 offen offset:4
	s_waitcnt vmcnt(1)
	v_cmp_eq_f32_e32 vcc_lo, 0, v1
	s_waitcnt vmcnt(0)
	v_cmp_eq_f32_e64 s5, 0, v2
	s_and_b32 s5, vcc_lo, s5
	s_and_saveexec_b32 s8, s5
	s_cbranch_execz .LBB43_10
; %bb.7:
	v_mov_b32_e32 v1, 0
	s_mov_b32 s9, 0
	ds_read_b32 v2, v1 offset:704
	s_waitcnt lgkmcnt(0)
	v_readfirstlane_b32 s5, v2
	v_add_nc_u32_e32 v2, 1, v0
	s_cmp_eq_u32 s5, 0
	v_cmp_gt_i32_e32 vcc_lo, s5, v2
	s_cselect_b32 s12, -1, 0
	s_or_b32 s12, s12, vcc_lo
	s_and_b32 exec_lo, exec_lo, s12
	s_cbranch_execz .LBB43_10
; %bb.8:
	v_mov_b32_e32 v4, s5
.LBB43_9:                               ; =>This Inner Loop Header: Depth=1
	ds_cmpst_rtn_b32 v4, v1, v4, v2 offset:704
	s_waitcnt lgkmcnt(0)
	v_cmp_ne_u32_e32 vcc_lo, 0, v4
	v_cmp_le_i32_e64 s5, v4, v2
	s_and_b32 s5, vcc_lo, s5
	s_and_b32 s5, exec_lo, s5
	s_or_b32 s9, s5, s9
	s_andn2_b32 exec_lo, exec_lo, s9
	s_cbranch_execnz .LBB43_9
.LBB43_10:
	s_or_b32 exec_lo, exec_lo, s8
	v_mov_b32_e32 v1, 0
	s_barrier
	buffer_gl0_inv
	ds_read_b32 v2, v1 offset:704
	s_and_saveexec_b32 s5, s4
	s_cbranch_execz .LBB43_12
; %bb.11:
	s_lshl_b64 s[8:9], s[6:7], 2
	s_add_u32 s8, s10, s8
	s_addc_u32 s9, s11, s9
	s_waitcnt lgkmcnt(0)
	global_store_dword v1, v2, s[8:9]
.LBB43_12:
	s_or_b32 exec_lo, exec_lo, s5
	s_waitcnt lgkmcnt(0)
	v_cmp_ne_u32_e32 vcc_lo, 0, v2
	s_mov_b32 s5, 0
	s_cbranch_vccnz .LBB43_188
; %bb.13:
	s_clause 0x1
	buffer_load_dword v2, v5, s[0:3], 0 offen
	buffer_load_dword v4, v5, s[0:3], 0 offen offset:4
                                        ; implicit-def: $vgpr7
                                        ; implicit-def: $vgpr6
                                        ; implicit-def: $vgpr1
	s_waitcnt vmcnt(0)
	v_cmp_ngt_f32_e64 s5, |v2|, |v4|
	s_and_saveexec_b32 s8, s5
	s_xor_b32 s5, exec_lo, s8
	s_cbranch_execz .LBB43_15
; %bb.14:
	v_div_scale_f32 v1, null, v4, v4, v2
	v_div_scale_f32 v8, vcc_lo, v2, v4, v2
	v_rcp_f32_e32 v6, v1
	v_fma_f32 v7, -v1, v6, 1.0
	v_fmac_f32_e32 v6, v7, v6
	v_mul_f32_e32 v7, v8, v6
	v_fma_f32 v97, -v1, v7, v8
	v_fmac_f32_e32 v7, v97, v6
	v_fma_f32 v1, -v1, v7, v8
	v_div_fmas_f32 v1, v1, v6, v7
	v_div_fixup_f32 v1, v1, v4, v2
	v_fmac_f32_e32 v4, v2, v1
	v_div_scale_f32 v2, null, v4, v4, 1.0
	v_rcp_f32_e32 v6, v2
	v_fma_f32 v7, -v2, v6, 1.0
	v_fmac_f32_e32 v6, v7, v6
	v_div_scale_f32 v7, vcc_lo, 1.0, v4, 1.0
	v_mul_f32_e32 v8, v7, v6
	v_fma_f32 v97, -v2, v8, v7
	v_fmac_f32_e32 v8, v97, v6
	v_fma_f32 v2, -v2, v8, v7
	v_div_fmas_f32 v2, v2, v6, v8
	v_div_fixup_f32 v2, v2, v4, 1.0
                                        ; implicit-def: $vgpr4
	v_mul_f32_e32 v7, v1, v2
	v_xor_b32_e32 v6, 0x80000000, v2
                                        ; implicit-def: $vgpr2
	v_xor_b32_e32 v1, 0x80000000, v7
.LBB43_15:
	s_andn2_saveexec_b32 s5, s5
	s_cbranch_execz .LBB43_17
; %bb.16:
	v_div_scale_f32 v1, null, v2, v2, v4
	v_div_scale_f32 v8, vcc_lo, v4, v2, v4
	v_rcp_f32_e32 v6, v1
	v_fma_f32 v7, -v1, v6, 1.0
	v_fmac_f32_e32 v6, v7, v6
	v_mul_f32_e32 v7, v8, v6
	v_fma_f32 v97, -v1, v7, v8
	v_fmac_f32_e32 v7, v97, v6
	v_fma_f32 v1, -v1, v7, v8
	v_div_fmas_f32 v1, v1, v6, v7
	v_div_fixup_f32 v6, v1, v2, v4
	v_fmac_f32_e32 v2, v4, v6
	v_div_scale_f32 v1, null, v2, v2, 1.0
	v_div_scale_f32 v8, vcc_lo, 1.0, v2, 1.0
	v_rcp_f32_e32 v4, v1
	v_fma_f32 v7, -v1, v4, 1.0
	v_fmac_f32_e32 v4, v7, v4
	v_mul_f32_e32 v7, v8, v4
	v_fma_f32 v97, -v1, v7, v8
	v_fmac_f32_e32 v7, v97, v4
	v_fma_f32 v1, -v1, v7, v8
	v_div_fmas_f32 v1, v1, v4, v7
	v_div_fixup_f32 v7, v1, v2, 1.0
	v_xor_b32_e32 v1, 0x80000000, v7
	v_mul_f32_e64 v6, v6, -v7
.LBB43_17:
	s_or_b32 exec_lo, exec_lo, s5
	buffer_store_dword v7, v5, s[0:3], 0 offen
	buffer_store_dword v6, v5, s[0:3], 0 offen offset:4
	s_clause 0x1
	buffer_load_dword v8, off, s[0:3], 0 offset:12
	buffer_load_dword v7, off, s[0:3], 0 offset:8
	v_xor_b32_e32 v2, 0x80000000, v6
	v_add_nc_u32_e32 v4, 0x160, v3
	s_waitcnt vmcnt(0)
	ds_write2_b64 v3, v[1:2], v[7:8] offset1:44
	s_waitcnt lgkmcnt(0)
	s_waitcnt_vscnt null, 0x0
	s_barrier
	buffer_gl0_inv
	s_and_saveexec_b32 s5, s4
	s_cbranch_execz .LBB43_19
; %bb.18:
	s_clause 0x1
	buffer_load_dword v8, v5, s[0:3], 0 offen offset:4
	buffer_load_dword v97, v5, s[0:3], 0 offen
	ds_read_b64 v[1:2], v4
	v_mov_b32_e32 v6, 0
	ds_read_b64 v[6:7], v6 offset:8
	s_waitcnt vmcnt(1) lgkmcnt(1)
	v_mul_f32_e32 v98, v1, v8
	v_mul_f32_e32 v8, v2, v8
	s_waitcnt vmcnt(0)
	v_fmac_f32_e32 v98, v2, v97
	v_fma_f32 v1, v1, v97, -v8
	v_add_f32_e32 v2, 0, v98
	v_add_f32_e32 v1, 0, v1
	s_waitcnt lgkmcnt(0)
	v_mul_f32_e32 v8, v2, v7
	v_mul_f32_e32 v7, v1, v7
	v_fma_f32 v1, v1, v6, -v8
	v_fmac_f32_e32 v7, v2, v6
	buffer_store_dword v1, off, s[0:3], 0 offset:8
	buffer_store_dword v7, off, s[0:3], 0 offset:12
.LBB43_19:
	s_or_b32 exec_lo, exec_lo, s5
	s_waitcnt_vscnt null, 0x0
	s_barrier
	buffer_gl0_inv
	s_clause 0x1
	buffer_load_dword v1, off, s[0:3], 0 offset:16
	buffer_load_dword v2, off, s[0:3], 0 offset:20
	s_mov_b32 s5, exec_lo
	s_waitcnt vmcnt(0)
	ds_write_b64 v4, v[1:2]
	s_waitcnt lgkmcnt(0)
	s_barrier
	buffer_gl0_inv
	v_cmpx_gt_u32_e32 2, v0
	s_cbranch_execz .LBB43_23
; %bb.20:
	s_clause 0x1
	buffer_load_dword v6, v5, s[0:3], 0 offen offset:4
	buffer_load_dword v5, v5, s[0:3], 0 offen
	ds_read_b64 v[1:2], v4
	s_waitcnt vmcnt(1) lgkmcnt(0)
	v_mul_f32_e32 v7, v2, v6
	v_mul_f32_e32 v6, v1, v6
	s_waitcnt vmcnt(0)
	v_fma_f32 v1, v1, v5, -v7
	v_fmac_f32_e32 v6, v2, v5
	v_add_f32_e32 v2, 0, v1
	v_add_f32_e32 v1, 0, v6
	s_and_saveexec_b32 s8, s4
	s_cbranch_execz .LBB43_22
; %bb.21:
	s_clause 0x1
	buffer_load_dword v7, off, s[0:3], 0 offset:12
	buffer_load_dword v8, off, s[0:3], 0 offset:8
	v_mov_b32_e32 v5, 0
	ds_read_b64 v[5:6], v5 offset:360
	s_waitcnt vmcnt(1) lgkmcnt(0)
	v_mul_f32_e32 v97, v5, v7
	v_mul_f32_e32 v7, v6, v7
	s_waitcnt vmcnt(0)
	v_fmac_f32_e32 v97, v6, v8
	v_fma_f32 v5, v5, v8, -v7
	v_add_f32_e32 v1, v1, v97
	v_add_f32_e32 v2, v2, v5
.LBB43_22:
	s_or_b32 exec_lo, exec_lo, s8
	v_mov_b32_e32 v5, 0
	ds_read_b64 v[5:6], v5 offset:16
	s_waitcnt lgkmcnt(0)
	v_mul_f32_e32 v7, v1, v6
	v_mul_f32_e32 v6, v2, v6
	v_fma_f32 v2, v2, v5, -v7
	v_fmac_f32_e32 v6, v1, v5
	buffer_store_dword v2, off, s[0:3], 0 offset:16
	buffer_store_dword v6, off, s[0:3], 0 offset:20
.LBB43_23:
	s_or_b32 exec_lo, exec_lo, s5
	s_waitcnt_vscnt null, 0x0
	s_barrier
	buffer_gl0_inv
	s_clause 0x1
	buffer_load_dword v5, off, s[0:3], 0 offset:24
	buffer_load_dword v6, off, s[0:3], 0 offset:28
	v_add_nc_u32_e32 v1, -1, v0
	s_mov_b32 s4, exec_lo
	s_waitcnt vmcnt(0)
	ds_write_b64 v4, v[5:6]
	s_waitcnt lgkmcnt(0)
	s_barrier
	buffer_gl0_inv
	v_cmpx_gt_u32_e32 3, v0
	s_cbranch_execz .LBB43_27
; %bb.24:
	v_add_nc_u32_e32 v5, -1, v0
	v_add_nc_u32_e32 v6, 0x160, v3
	v_mov_b32_e32 v7, v3
	v_mov_b32_e32 v2, 0
	;; [unrolled: 1-line block ×3, first 2 shown]
	s_mov_b32 s5, 0
	.p2align	6
.LBB43_25:                              ; =>This Inner Loop Header: Depth=1
	s_clause 0x1
	buffer_load_dword v99, v7, s[0:3], 0 offen offset:4
	buffer_load_dword v100, v7, s[0:3], 0 offen
	ds_read_b64 v[97:98], v6
	v_add_nc_u32_e32 v5, 1, v5
	v_add_nc_u32_e32 v6, 8, v6
	;; [unrolled: 1-line block ×3, first 2 shown]
	v_cmp_lt_u32_e32 vcc_lo, 1, v5
	s_or_b32 s5, vcc_lo, s5
	s_waitcnt vmcnt(1) lgkmcnt(0)
	v_mul_f32_e32 v101, v98, v99
	v_mul_f32_e32 v99, v97, v99
	s_waitcnt vmcnt(0)
	v_fma_f32 v97, v97, v100, -v101
	v_fmac_f32_e32 v99, v98, v100
	v_add_f32_e32 v8, v8, v97
	v_add_f32_e32 v2, v2, v99
	s_andn2_b32 exec_lo, exec_lo, s5
	s_cbranch_execnz .LBB43_25
; %bb.26:
	s_or_b32 exec_lo, exec_lo, s5
	v_mov_b32_e32 v5, 0
	ds_read_b64 v[5:6], v5 offset:24
	s_waitcnt lgkmcnt(0)
	v_mul_f32_e32 v7, v2, v6
	v_mul_f32_e32 v6, v8, v6
	v_fma_f32 v7, v8, v5, -v7
	v_fmac_f32_e32 v6, v2, v5
	buffer_store_dword v7, off, s[0:3], 0 offset:24
	buffer_store_dword v6, off, s[0:3], 0 offset:28
.LBB43_27:
	s_or_b32 exec_lo, exec_lo, s4
	s_waitcnt_vscnt null, 0x0
	s_barrier
	buffer_gl0_inv
	s_clause 0x1
	buffer_load_dword v5, off, s[0:3], 0 offset:32
	buffer_load_dword v6, off, s[0:3], 0 offset:36
	s_mov_b32 s4, exec_lo
	s_waitcnt vmcnt(0)
	ds_write_b64 v4, v[5:6]
	s_waitcnt lgkmcnt(0)
	s_barrier
	buffer_gl0_inv
	v_cmpx_gt_u32_e32 4, v0
	s_cbranch_execz .LBB43_31
; %bb.28:
	v_add_nc_u32_e32 v5, -1, v0
	v_add_nc_u32_e32 v6, 0x160, v3
	v_mov_b32_e32 v7, v3
	v_mov_b32_e32 v2, 0
	;; [unrolled: 1-line block ×3, first 2 shown]
	s_mov_b32 s5, 0
	.p2align	6
.LBB43_29:                              ; =>This Inner Loop Header: Depth=1
	s_clause 0x1
	buffer_load_dword v99, v7, s[0:3], 0 offen offset:4
	buffer_load_dword v100, v7, s[0:3], 0 offen
	ds_read_b64 v[97:98], v6
	v_add_nc_u32_e32 v5, 1, v5
	v_add_nc_u32_e32 v6, 8, v6
	;; [unrolled: 1-line block ×3, first 2 shown]
	v_cmp_lt_u32_e32 vcc_lo, 2, v5
	s_or_b32 s5, vcc_lo, s5
	s_waitcnt vmcnt(1) lgkmcnt(0)
	v_mul_f32_e32 v101, v98, v99
	v_mul_f32_e32 v99, v97, v99
	s_waitcnt vmcnt(0)
	v_fma_f32 v97, v97, v100, -v101
	v_fmac_f32_e32 v99, v98, v100
	v_add_f32_e32 v8, v8, v97
	v_add_f32_e32 v2, v2, v99
	s_andn2_b32 exec_lo, exec_lo, s5
	s_cbranch_execnz .LBB43_29
; %bb.30:
	s_or_b32 exec_lo, exec_lo, s5
	v_mov_b32_e32 v5, 0
	ds_read_b64 v[5:6], v5 offset:32
	s_waitcnt lgkmcnt(0)
	v_mul_f32_e32 v7, v2, v6
	v_mul_f32_e32 v6, v8, v6
	v_fma_f32 v7, v8, v5, -v7
	v_fmac_f32_e32 v6, v2, v5
	buffer_store_dword v7, off, s[0:3], 0 offset:32
	buffer_store_dword v6, off, s[0:3], 0 offset:36
.LBB43_31:
	s_or_b32 exec_lo, exec_lo, s4
	s_waitcnt_vscnt null, 0x0
	s_barrier
	buffer_gl0_inv
	s_clause 0x1
	buffer_load_dword v5, off, s[0:3], 0 offset:40
	buffer_load_dword v6, off, s[0:3], 0 offset:44
	s_mov_b32 s4, exec_lo
	s_waitcnt vmcnt(0)
	ds_write_b64 v4, v[5:6]
	s_waitcnt lgkmcnt(0)
	s_barrier
	buffer_gl0_inv
	v_cmpx_gt_u32_e32 5, v0
	s_cbranch_execz .LBB43_35
; %bb.32:
	v_add_nc_u32_e32 v5, -1, v0
	v_add_nc_u32_e32 v6, 0x160, v3
	v_mov_b32_e32 v7, v3
	v_mov_b32_e32 v2, 0
	;; [unrolled: 1-line block ×3, first 2 shown]
	s_mov_b32 s5, 0
	.p2align	6
.LBB43_33:                              ; =>This Inner Loop Header: Depth=1
	s_clause 0x1
	buffer_load_dword v99, v7, s[0:3], 0 offen offset:4
	buffer_load_dword v100, v7, s[0:3], 0 offen
	ds_read_b64 v[97:98], v6
	v_add_nc_u32_e32 v5, 1, v5
	v_add_nc_u32_e32 v6, 8, v6
	;; [unrolled: 1-line block ×3, first 2 shown]
	v_cmp_lt_u32_e32 vcc_lo, 3, v5
	s_or_b32 s5, vcc_lo, s5
	s_waitcnt vmcnt(1) lgkmcnt(0)
	v_mul_f32_e32 v101, v98, v99
	v_mul_f32_e32 v99, v97, v99
	s_waitcnt vmcnt(0)
	v_fma_f32 v97, v97, v100, -v101
	v_fmac_f32_e32 v99, v98, v100
	v_add_f32_e32 v8, v8, v97
	v_add_f32_e32 v2, v2, v99
	s_andn2_b32 exec_lo, exec_lo, s5
	s_cbranch_execnz .LBB43_33
; %bb.34:
	s_or_b32 exec_lo, exec_lo, s5
	v_mov_b32_e32 v5, 0
	ds_read_b64 v[5:6], v5 offset:40
	s_waitcnt lgkmcnt(0)
	v_mul_f32_e32 v7, v2, v6
	v_mul_f32_e32 v6, v8, v6
	v_fma_f32 v7, v8, v5, -v7
	v_fmac_f32_e32 v6, v2, v5
	buffer_store_dword v7, off, s[0:3], 0 offset:40
	buffer_store_dword v6, off, s[0:3], 0 offset:44
.LBB43_35:
	s_or_b32 exec_lo, exec_lo, s4
	s_waitcnt_vscnt null, 0x0
	s_barrier
	buffer_gl0_inv
	s_clause 0x1
	buffer_load_dword v5, off, s[0:3], 0 offset:48
	buffer_load_dword v6, off, s[0:3], 0 offset:52
	s_mov_b32 s4, exec_lo
	s_waitcnt vmcnt(0)
	ds_write_b64 v4, v[5:6]
	s_waitcnt lgkmcnt(0)
	s_barrier
	buffer_gl0_inv
	v_cmpx_gt_u32_e32 6, v0
	s_cbranch_execz .LBB43_39
; %bb.36:
	v_add_nc_u32_e32 v5, -1, v0
	v_add_nc_u32_e32 v6, 0x160, v3
	v_mov_b32_e32 v7, v3
	v_mov_b32_e32 v2, 0
	;; [unrolled: 1-line block ×3, first 2 shown]
	s_mov_b32 s5, 0
	.p2align	6
.LBB43_37:                              ; =>This Inner Loop Header: Depth=1
	s_clause 0x1
	buffer_load_dword v99, v7, s[0:3], 0 offen offset:4
	buffer_load_dword v100, v7, s[0:3], 0 offen
	ds_read_b64 v[97:98], v6
	v_add_nc_u32_e32 v5, 1, v5
	v_add_nc_u32_e32 v6, 8, v6
	;; [unrolled: 1-line block ×3, first 2 shown]
	v_cmp_lt_u32_e32 vcc_lo, 4, v5
	s_or_b32 s5, vcc_lo, s5
	s_waitcnt vmcnt(1) lgkmcnt(0)
	v_mul_f32_e32 v101, v98, v99
	v_mul_f32_e32 v99, v97, v99
	s_waitcnt vmcnt(0)
	v_fma_f32 v97, v97, v100, -v101
	v_fmac_f32_e32 v99, v98, v100
	v_add_f32_e32 v8, v8, v97
	v_add_f32_e32 v2, v2, v99
	s_andn2_b32 exec_lo, exec_lo, s5
	s_cbranch_execnz .LBB43_37
; %bb.38:
	s_or_b32 exec_lo, exec_lo, s5
	v_mov_b32_e32 v5, 0
	ds_read_b64 v[5:6], v5 offset:48
	s_waitcnt lgkmcnt(0)
	v_mul_f32_e32 v7, v2, v6
	v_mul_f32_e32 v6, v8, v6
	v_fma_f32 v7, v8, v5, -v7
	v_fmac_f32_e32 v6, v2, v5
	buffer_store_dword v7, off, s[0:3], 0 offset:48
	buffer_store_dword v6, off, s[0:3], 0 offset:52
.LBB43_39:
	s_or_b32 exec_lo, exec_lo, s4
	s_waitcnt_vscnt null, 0x0
	s_barrier
	buffer_gl0_inv
	s_clause 0x1
	buffer_load_dword v5, off, s[0:3], 0 offset:56
	buffer_load_dword v6, off, s[0:3], 0 offset:60
	s_mov_b32 s4, exec_lo
	s_waitcnt vmcnt(0)
	ds_write_b64 v4, v[5:6]
	s_waitcnt lgkmcnt(0)
	s_barrier
	buffer_gl0_inv
	v_cmpx_gt_u32_e32 7, v0
	s_cbranch_execz .LBB43_43
; %bb.40:
	v_add_nc_u32_e32 v5, -1, v0
	v_add_nc_u32_e32 v6, 0x160, v3
	v_mov_b32_e32 v7, v3
	v_mov_b32_e32 v2, 0
	v_mov_b32_e32 v8, 0
	s_mov_b32 s5, 0
	.p2align	6
.LBB43_41:                              ; =>This Inner Loop Header: Depth=1
	s_clause 0x1
	buffer_load_dword v99, v7, s[0:3], 0 offen offset:4
	buffer_load_dword v100, v7, s[0:3], 0 offen
	ds_read_b64 v[97:98], v6
	v_add_nc_u32_e32 v5, 1, v5
	v_add_nc_u32_e32 v6, 8, v6
	;; [unrolled: 1-line block ×3, first 2 shown]
	v_cmp_lt_u32_e32 vcc_lo, 5, v5
	s_or_b32 s5, vcc_lo, s5
	s_waitcnt vmcnt(1) lgkmcnt(0)
	v_mul_f32_e32 v101, v98, v99
	v_mul_f32_e32 v99, v97, v99
	s_waitcnt vmcnt(0)
	v_fma_f32 v97, v97, v100, -v101
	v_fmac_f32_e32 v99, v98, v100
	v_add_f32_e32 v8, v8, v97
	v_add_f32_e32 v2, v2, v99
	s_andn2_b32 exec_lo, exec_lo, s5
	s_cbranch_execnz .LBB43_41
; %bb.42:
	s_or_b32 exec_lo, exec_lo, s5
	v_mov_b32_e32 v5, 0
	ds_read_b64 v[5:6], v5 offset:56
	s_waitcnt lgkmcnt(0)
	v_mul_f32_e32 v7, v2, v6
	v_mul_f32_e32 v6, v8, v6
	v_fma_f32 v7, v8, v5, -v7
	v_fmac_f32_e32 v6, v2, v5
	buffer_store_dword v7, off, s[0:3], 0 offset:56
	buffer_store_dword v6, off, s[0:3], 0 offset:60
.LBB43_43:
	s_or_b32 exec_lo, exec_lo, s4
	s_waitcnt_vscnt null, 0x0
	s_barrier
	buffer_gl0_inv
	s_clause 0x1
	buffer_load_dword v5, off, s[0:3], 0 offset:64
	buffer_load_dword v6, off, s[0:3], 0 offset:68
	s_mov_b32 s4, exec_lo
	s_waitcnt vmcnt(0)
	ds_write_b64 v4, v[5:6]
	s_waitcnt lgkmcnt(0)
	s_barrier
	buffer_gl0_inv
	v_cmpx_gt_u32_e32 8, v0
	s_cbranch_execz .LBB43_47
; %bb.44:
	v_add_nc_u32_e32 v5, -1, v0
	v_add_nc_u32_e32 v6, 0x160, v3
	v_mov_b32_e32 v7, v3
	v_mov_b32_e32 v2, 0
	;; [unrolled: 1-line block ×3, first 2 shown]
	s_mov_b32 s5, 0
	.p2align	6
.LBB43_45:                              ; =>This Inner Loop Header: Depth=1
	s_clause 0x1
	buffer_load_dword v99, v7, s[0:3], 0 offen offset:4
	buffer_load_dword v100, v7, s[0:3], 0 offen
	ds_read_b64 v[97:98], v6
	v_add_nc_u32_e32 v5, 1, v5
	v_add_nc_u32_e32 v6, 8, v6
	;; [unrolled: 1-line block ×3, first 2 shown]
	v_cmp_lt_u32_e32 vcc_lo, 6, v5
	s_or_b32 s5, vcc_lo, s5
	s_waitcnt vmcnt(1) lgkmcnt(0)
	v_mul_f32_e32 v101, v98, v99
	v_mul_f32_e32 v99, v97, v99
	s_waitcnt vmcnt(0)
	v_fma_f32 v97, v97, v100, -v101
	v_fmac_f32_e32 v99, v98, v100
	v_add_f32_e32 v8, v8, v97
	v_add_f32_e32 v2, v2, v99
	s_andn2_b32 exec_lo, exec_lo, s5
	s_cbranch_execnz .LBB43_45
; %bb.46:
	s_or_b32 exec_lo, exec_lo, s5
	v_mov_b32_e32 v5, 0
	ds_read_b64 v[5:6], v5 offset:64
	s_waitcnt lgkmcnt(0)
	v_mul_f32_e32 v7, v2, v6
	v_mul_f32_e32 v6, v8, v6
	v_fma_f32 v7, v8, v5, -v7
	v_fmac_f32_e32 v6, v2, v5
	buffer_store_dword v7, off, s[0:3], 0 offset:64
	buffer_store_dword v6, off, s[0:3], 0 offset:68
.LBB43_47:
	s_or_b32 exec_lo, exec_lo, s4
	s_waitcnt_vscnt null, 0x0
	s_barrier
	buffer_gl0_inv
	s_clause 0x1
	buffer_load_dword v5, off, s[0:3], 0 offset:72
	buffer_load_dword v6, off, s[0:3], 0 offset:76
	s_mov_b32 s4, exec_lo
	s_waitcnt vmcnt(0)
	ds_write_b64 v4, v[5:6]
	s_waitcnt lgkmcnt(0)
	s_barrier
	buffer_gl0_inv
	v_cmpx_gt_u32_e32 9, v0
	s_cbranch_execz .LBB43_51
; %bb.48:
	v_add_nc_u32_e32 v5, -1, v0
	v_add_nc_u32_e32 v6, 0x160, v3
	v_mov_b32_e32 v7, v3
	v_mov_b32_e32 v2, 0
	;; [unrolled: 1-line block ×3, first 2 shown]
	s_mov_b32 s5, 0
	.p2align	6
.LBB43_49:                              ; =>This Inner Loop Header: Depth=1
	s_clause 0x1
	buffer_load_dword v99, v7, s[0:3], 0 offen offset:4
	buffer_load_dword v100, v7, s[0:3], 0 offen
	ds_read_b64 v[97:98], v6
	v_add_nc_u32_e32 v5, 1, v5
	v_add_nc_u32_e32 v6, 8, v6
	;; [unrolled: 1-line block ×3, first 2 shown]
	v_cmp_lt_u32_e32 vcc_lo, 7, v5
	s_or_b32 s5, vcc_lo, s5
	s_waitcnt vmcnt(1) lgkmcnt(0)
	v_mul_f32_e32 v101, v98, v99
	v_mul_f32_e32 v99, v97, v99
	s_waitcnt vmcnt(0)
	v_fma_f32 v97, v97, v100, -v101
	v_fmac_f32_e32 v99, v98, v100
	v_add_f32_e32 v8, v8, v97
	v_add_f32_e32 v2, v2, v99
	s_andn2_b32 exec_lo, exec_lo, s5
	s_cbranch_execnz .LBB43_49
; %bb.50:
	s_or_b32 exec_lo, exec_lo, s5
	v_mov_b32_e32 v5, 0
	ds_read_b64 v[5:6], v5 offset:72
	s_waitcnt lgkmcnt(0)
	v_mul_f32_e32 v7, v2, v6
	v_mul_f32_e32 v6, v8, v6
	v_fma_f32 v7, v8, v5, -v7
	v_fmac_f32_e32 v6, v2, v5
	buffer_store_dword v7, off, s[0:3], 0 offset:72
	buffer_store_dword v6, off, s[0:3], 0 offset:76
.LBB43_51:
	s_or_b32 exec_lo, exec_lo, s4
	s_waitcnt_vscnt null, 0x0
	s_barrier
	buffer_gl0_inv
	s_clause 0x1
	buffer_load_dword v5, off, s[0:3], 0 offset:80
	buffer_load_dword v6, off, s[0:3], 0 offset:84
	s_mov_b32 s4, exec_lo
	s_waitcnt vmcnt(0)
	ds_write_b64 v4, v[5:6]
	s_waitcnt lgkmcnt(0)
	s_barrier
	buffer_gl0_inv
	v_cmpx_gt_u32_e32 10, v0
	s_cbranch_execz .LBB43_55
; %bb.52:
	v_add_nc_u32_e32 v5, -1, v0
	v_add_nc_u32_e32 v6, 0x160, v3
	v_mov_b32_e32 v7, v3
	v_mov_b32_e32 v2, 0
	;; [unrolled: 1-line block ×3, first 2 shown]
	s_mov_b32 s5, 0
	.p2align	6
.LBB43_53:                              ; =>This Inner Loop Header: Depth=1
	s_clause 0x1
	buffer_load_dword v99, v7, s[0:3], 0 offen offset:4
	buffer_load_dword v100, v7, s[0:3], 0 offen
	ds_read_b64 v[97:98], v6
	v_add_nc_u32_e32 v5, 1, v5
	v_add_nc_u32_e32 v6, 8, v6
	;; [unrolled: 1-line block ×3, first 2 shown]
	v_cmp_lt_u32_e32 vcc_lo, 8, v5
	s_or_b32 s5, vcc_lo, s5
	s_waitcnt vmcnt(1) lgkmcnt(0)
	v_mul_f32_e32 v101, v98, v99
	v_mul_f32_e32 v99, v97, v99
	s_waitcnt vmcnt(0)
	v_fma_f32 v97, v97, v100, -v101
	v_fmac_f32_e32 v99, v98, v100
	v_add_f32_e32 v8, v8, v97
	v_add_f32_e32 v2, v2, v99
	s_andn2_b32 exec_lo, exec_lo, s5
	s_cbranch_execnz .LBB43_53
; %bb.54:
	s_or_b32 exec_lo, exec_lo, s5
	v_mov_b32_e32 v5, 0
	ds_read_b64 v[5:6], v5 offset:80
	s_waitcnt lgkmcnt(0)
	v_mul_f32_e32 v7, v2, v6
	v_mul_f32_e32 v6, v8, v6
	v_fma_f32 v7, v8, v5, -v7
	v_fmac_f32_e32 v6, v2, v5
	buffer_store_dword v7, off, s[0:3], 0 offset:80
	buffer_store_dword v6, off, s[0:3], 0 offset:84
.LBB43_55:
	s_or_b32 exec_lo, exec_lo, s4
	s_waitcnt_vscnt null, 0x0
	s_barrier
	buffer_gl0_inv
	s_clause 0x1
	buffer_load_dword v5, off, s[0:3], 0 offset:88
	buffer_load_dword v6, off, s[0:3], 0 offset:92
	s_mov_b32 s4, exec_lo
	s_waitcnt vmcnt(0)
	ds_write_b64 v4, v[5:6]
	s_waitcnt lgkmcnt(0)
	s_barrier
	buffer_gl0_inv
	v_cmpx_gt_u32_e32 11, v0
	s_cbranch_execz .LBB43_59
; %bb.56:
	v_add_nc_u32_e32 v5, -1, v0
	v_add_nc_u32_e32 v6, 0x160, v3
	v_mov_b32_e32 v7, v3
	v_mov_b32_e32 v2, 0
	;; [unrolled: 1-line block ×3, first 2 shown]
	s_mov_b32 s5, 0
	.p2align	6
.LBB43_57:                              ; =>This Inner Loop Header: Depth=1
	s_clause 0x1
	buffer_load_dword v99, v7, s[0:3], 0 offen offset:4
	buffer_load_dword v100, v7, s[0:3], 0 offen
	ds_read_b64 v[97:98], v6
	v_add_nc_u32_e32 v5, 1, v5
	v_add_nc_u32_e32 v6, 8, v6
	;; [unrolled: 1-line block ×3, first 2 shown]
	v_cmp_lt_u32_e32 vcc_lo, 9, v5
	s_or_b32 s5, vcc_lo, s5
	s_waitcnt vmcnt(1) lgkmcnt(0)
	v_mul_f32_e32 v101, v98, v99
	v_mul_f32_e32 v99, v97, v99
	s_waitcnt vmcnt(0)
	v_fma_f32 v97, v97, v100, -v101
	v_fmac_f32_e32 v99, v98, v100
	v_add_f32_e32 v8, v8, v97
	v_add_f32_e32 v2, v2, v99
	s_andn2_b32 exec_lo, exec_lo, s5
	s_cbranch_execnz .LBB43_57
; %bb.58:
	s_or_b32 exec_lo, exec_lo, s5
	v_mov_b32_e32 v5, 0
	ds_read_b64 v[5:6], v5 offset:88
	s_waitcnt lgkmcnt(0)
	v_mul_f32_e32 v7, v2, v6
	v_mul_f32_e32 v6, v8, v6
	v_fma_f32 v7, v8, v5, -v7
	v_fmac_f32_e32 v6, v2, v5
	buffer_store_dword v7, off, s[0:3], 0 offset:88
	buffer_store_dword v6, off, s[0:3], 0 offset:92
.LBB43_59:
	s_or_b32 exec_lo, exec_lo, s4
	s_waitcnt_vscnt null, 0x0
	s_barrier
	buffer_gl0_inv
	s_clause 0x1
	buffer_load_dword v5, off, s[0:3], 0 offset:96
	buffer_load_dword v6, off, s[0:3], 0 offset:100
	s_mov_b32 s4, exec_lo
	s_waitcnt vmcnt(0)
	ds_write_b64 v4, v[5:6]
	s_waitcnt lgkmcnt(0)
	s_barrier
	buffer_gl0_inv
	v_cmpx_gt_u32_e32 12, v0
	s_cbranch_execz .LBB43_63
; %bb.60:
	v_add_nc_u32_e32 v5, -1, v0
	v_add_nc_u32_e32 v6, 0x160, v3
	v_mov_b32_e32 v7, v3
	v_mov_b32_e32 v2, 0
	;; [unrolled: 1-line block ×3, first 2 shown]
	s_mov_b32 s5, 0
	.p2align	6
.LBB43_61:                              ; =>This Inner Loop Header: Depth=1
	s_clause 0x1
	buffer_load_dword v99, v7, s[0:3], 0 offen offset:4
	buffer_load_dword v100, v7, s[0:3], 0 offen
	ds_read_b64 v[97:98], v6
	v_add_nc_u32_e32 v5, 1, v5
	v_add_nc_u32_e32 v6, 8, v6
	;; [unrolled: 1-line block ×3, first 2 shown]
	v_cmp_lt_u32_e32 vcc_lo, 10, v5
	s_or_b32 s5, vcc_lo, s5
	s_waitcnt vmcnt(1) lgkmcnt(0)
	v_mul_f32_e32 v101, v98, v99
	v_mul_f32_e32 v99, v97, v99
	s_waitcnt vmcnt(0)
	v_fma_f32 v97, v97, v100, -v101
	v_fmac_f32_e32 v99, v98, v100
	v_add_f32_e32 v8, v8, v97
	v_add_f32_e32 v2, v2, v99
	s_andn2_b32 exec_lo, exec_lo, s5
	s_cbranch_execnz .LBB43_61
; %bb.62:
	s_or_b32 exec_lo, exec_lo, s5
	v_mov_b32_e32 v5, 0
	ds_read_b64 v[5:6], v5 offset:96
	s_waitcnt lgkmcnt(0)
	v_mul_f32_e32 v7, v2, v6
	v_mul_f32_e32 v6, v8, v6
	v_fma_f32 v7, v8, v5, -v7
	v_fmac_f32_e32 v6, v2, v5
	buffer_store_dword v7, off, s[0:3], 0 offset:96
	buffer_store_dword v6, off, s[0:3], 0 offset:100
.LBB43_63:
	s_or_b32 exec_lo, exec_lo, s4
	s_waitcnt_vscnt null, 0x0
	s_barrier
	buffer_gl0_inv
	s_clause 0x1
	buffer_load_dword v5, off, s[0:3], 0 offset:104
	buffer_load_dword v6, off, s[0:3], 0 offset:108
	s_mov_b32 s4, exec_lo
	s_waitcnt vmcnt(0)
	ds_write_b64 v4, v[5:6]
	s_waitcnt lgkmcnt(0)
	s_barrier
	buffer_gl0_inv
	v_cmpx_gt_u32_e32 13, v0
	s_cbranch_execz .LBB43_67
; %bb.64:
	v_add_nc_u32_e32 v5, -1, v0
	v_add_nc_u32_e32 v6, 0x160, v3
	v_mov_b32_e32 v7, v3
	v_mov_b32_e32 v2, 0
	;; [unrolled: 1-line block ×3, first 2 shown]
	s_mov_b32 s5, 0
	.p2align	6
.LBB43_65:                              ; =>This Inner Loop Header: Depth=1
	s_clause 0x1
	buffer_load_dword v99, v7, s[0:3], 0 offen offset:4
	buffer_load_dword v100, v7, s[0:3], 0 offen
	ds_read_b64 v[97:98], v6
	v_add_nc_u32_e32 v5, 1, v5
	v_add_nc_u32_e32 v6, 8, v6
	;; [unrolled: 1-line block ×3, first 2 shown]
	v_cmp_lt_u32_e32 vcc_lo, 11, v5
	s_or_b32 s5, vcc_lo, s5
	s_waitcnt vmcnt(1) lgkmcnt(0)
	v_mul_f32_e32 v101, v98, v99
	v_mul_f32_e32 v99, v97, v99
	s_waitcnt vmcnt(0)
	v_fma_f32 v97, v97, v100, -v101
	v_fmac_f32_e32 v99, v98, v100
	v_add_f32_e32 v8, v8, v97
	v_add_f32_e32 v2, v2, v99
	s_andn2_b32 exec_lo, exec_lo, s5
	s_cbranch_execnz .LBB43_65
; %bb.66:
	s_or_b32 exec_lo, exec_lo, s5
	v_mov_b32_e32 v5, 0
	ds_read_b64 v[5:6], v5 offset:104
	s_waitcnt lgkmcnt(0)
	v_mul_f32_e32 v7, v2, v6
	v_mul_f32_e32 v6, v8, v6
	v_fma_f32 v7, v8, v5, -v7
	v_fmac_f32_e32 v6, v2, v5
	buffer_store_dword v7, off, s[0:3], 0 offset:104
	buffer_store_dword v6, off, s[0:3], 0 offset:108
.LBB43_67:
	s_or_b32 exec_lo, exec_lo, s4
	s_waitcnt_vscnt null, 0x0
	s_barrier
	buffer_gl0_inv
	s_clause 0x1
	buffer_load_dword v5, off, s[0:3], 0 offset:112
	buffer_load_dword v6, off, s[0:3], 0 offset:116
	s_mov_b32 s4, exec_lo
	s_waitcnt vmcnt(0)
	ds_write_b64 v4, v[5:6]
	s_waitcnt lgkmcnt(0)
	s_barrier
	buffer_gl0_inv
	v_cmpx_gt_u32_e32 14, v0
	s_cbranch_execz .LBB43_71
; %bb.68:
	v_add_nc_u32_e32 v5, -1, v0
	v_add_nc_u32_e32 v6, 0x160, v3
	v_mov_b32_e32 v7, v3
	v_mov_b32_e32 v2, 0
	;; [unrolled: 1-line block ×3, first 2 shown]
	s_mov_b32 s5, 0
	.p2align	6
.LBB43_69:                              ; =>This Inner Loop Header: Depth=1
	s_clause 0x1
	buffer_load_dword v99, v7, s[0:3], 0 offen offset:4
	buffer_load_dword v100, v7, s[0:3], 0 offen
	ds_read_b64 v[97:98], v6
	v_add_nc_u32_e32 v5, 1, v5
	v_add_nc_u32_e32 v6, 8, v6
	;; [unrolled: 1-line block ×3, first 2 shown]
	v_cmp_lt_u32_e32 vcc_lo, 12, v5
	s_or_b32 s5, vcc_lo, s5
	s_waitcnt vmcnt(1) lgkmcnt(0)
	v_mul_f32_e32 v101, v98, v99
	v_mul_f32_e32 v99, v97, v99
	s_waitcnt vmcnt(0)
	v_fma_f32 v97, v97, v100, -v101
	v_fmac_f32_e32 v99, v98, v100
	v_add_f32_e32 v8, v8, v97
	v_add_f32_e32 v2, v2, v99
	s_andn2_b32 exec_lo, exec_lo, s5
	s_cbranch_execnz .LBB43_69
; %bb.70:
	s_or_b32 exec_lo, exec_lo, s5
	v_mov_b32_e32 v5, 0
	ds_read_b64 v[5:6], v5 offset:112
	s_waitcnt lgkmcnt(0)
	v_mul_f32_e32 v7, v2, v6
	v_mul_f32_e32 v6, v8, v6
	v_fma_f32 v7, v8, v5, -v7
	v_fmac_f32_e32 v6, v2, v5
	buffer_store_dword v7, off, s[0:3], 0 offset:112
	buffer_store_dword v6, off, s[0:3], 0 offset:116
.LBB43_71:
	s_or_b32 exec_lo, exec_lo, s4
	s_waitcnt_vscnt null, 0x0
	s_barrier
	buffer_gl0_inv
	s_clause 0x1
	buffer_load_dword v5, off, s[0:3], 0 offset:120
	buffer_load_dword v6, off, s[0:3], 0 offset:124
	s_mov_b32 s4, exec_lo
	s_waitcnt vmcnt(0)
	ds_write_b64 v4, v[5:6]
	s_waitcnt lgkmcnt(0)
	s_barrier
	buffer_gl0_inv
	v_cmpx_gt_u32_e32 15, v0
	s_cbranch_execz .LBB43_75
; %bb.72:
	v_add_nc_u32_e32 v5, -1, v0
	v_add_nc_u32_e32 v6, 0x160, v3
	v_mov_b32_e32 v7, v3
	v_mov_b32_e32 v2, 0
	;; [unrolled: 1-line block ×3, first 2 shown]
	s_mov_b32 s5, 0
	.p2align	6
.LBB43_73:                              ; =>This Inner Loop Header: Depth=1
	s_clause 0x1
	buffer_load_dword v99, v7, s[0:3], 0 offen offset:4
	buffer_load_dword v100, v7, s[0:3], 0 offen
	ds_read_b64 v[97:98], v6
	v_add_nc_u32_e32 v5, 1, v5
	v_add_nc_u32_e32 v6, 8, v6
	;; [unrolled: 1-line block ×3, first 2 shown]
	v_cmp_lt_u32_e32 vcc_lo, 13, v5
	s_or_b32 s5, vcc_lo, s5
	s_waitcnt vmcnt(1) lgkmcnt(0)
	v_mul_f32_e32 v101, v98, v99
	v_mul_f32_e32 v99, v97, v99
	s_waitcnt vmcnt(0)
	v_fma_f32 v97, v97, v100, -v101
	v_fmac_f32_e32 v99, v98, v100
	v_add_f32_e32 v8, v8, v97
	v_add_f32_e32 v2, v2, v99
	s_andn2_b32 exec_lo, exec_lo, s5
	s_cbranch_execnz .LBB43_73
; %bb.74:
	s_or_b32 exec_lo, exec_lo, s5
	v_mov_b32_e32 v5, 0
	ds_read_b64 v[5:6], v5 offset:120
	s_waitcnt lgkmcnt(0)
	v_mul_f32_e32 v7, v2, v6
	v_mul_f32_e32 v6, v8, v6
	v_fma_f32 v7, v8, v5, -v7
	v_fmac_f32_e32 v6, v2, v5
	buffer_store_dword v7, off, s[0:3], 0 offset:120
	buffer_store_dword v6, off, s[0:3], 0 offset:124
.LBB43_75:
	s_or_b32 exec_lo, exec_lo, s4
	s_waitcnt_vscnt null, 0x0
	s_barrier
	buffer_gl0_inv
	s_clause 0x1
	buffer_load_dword v5, off, s[0:3], 0 offset:128
	buffer_load_dword v6, off, s[0:3], 0 offset:132
	s_mov_b32 s4, exec_lo
	s_waitcnt vmcnt(0)
	ds_write_b64 v4, v[5:6]
	s_waitcnt lgkmcnt(0)
	s_barrier
	buffer_gl0_inv
	v_cmpx_gt_u32_e32 16, v0
	s_cbranch_execz .LBB43_79
; %bb.76:
	v_add_nc_u32_e32 v5, -1, v0
	v_add_nc_u32_e32 v6, 0x160, v3
	v_mov_b32_e32 v7, v3
	v_mov_b32_e32 v2, 0
	;; [unrolled: 1-line block ×3, first 2 shown]
	s_mov_b32 s5, 0
	.p2align	6
.LBB43_77:                              ; =>This Inner Loop Header: Depth=1
	s_clause 0x1
	buffer_load_dword v99, v7, s[0:3], 0 offen offset:4
	buffer_load_dword v100, v7, s[0:3], 0 offen
	ds_read_b64 v[97:98], v6
	v_add_nc_u32_e32 v5, 1, v5
	v_add_nc_u32_e32 v6, 8, v6
	;; [unrolled: 1-line block ×3, first 2 shown]
	v_cmp_lt_u32_e32 vcc_lo, 14, v5
	s_or_b32 s5, vcc_lo, s5
	s_waitcnt vmcnt(1) lgkmcnt(0)
	v_mul_f32_e32 v101, v98, v99
	v_mul_f32_e32 v99, v97, v99
	s_waitcnt vmcnt(0)
	v_fma_f32 v97, v97, v100, -v101
	v_fmac_f32_e32 v99, v98, v100
	v_add_f32_e32 v8, v8, v97
	v_add_f32_e32 v2, v2, v99
	s_andn2_b32 exec_lo, exec_lo, s5
	s_cbranch_execnz .LBB43_77
; %bb.78:
	s_or_b32 exec_lo, exec_lo, s5
	v_mov_b32_e32 v5, 0
	ds_read_b64 v[5:6], v5 offset:128
	s_waitcnt lgkmcnt(0)
	v_mul_f32_e32 v7, v2, v6
	v_mul_f32_e32 v6, v8, v6
	v_fma_f32 v7, v8, v5, -v7
	v_fmac_f32_e32 v6, v2, v5
	buffer_store_dword v7, off, s[0:3], 0 offset:128
	buffer_store_dword v6, off, s[0:3], 0 offset:132
.LBB43_79:
	s_or_b32 exec_lo, exec_lo, s4
	s_waitcnt_vscnt null, 0x0
	s_barrier
	buffer_gl0_inv
	s_clause 0x1
	buffer_load_dword v5, off, s[0:3], 0 offset:136
	buffer_load_dword v6, off, s[0:3], 0 offset:140
	s_mov_b32 s4, exec_lo
	s_waitcnt vmcnt(0)
	ds_write_b64 v4, v[5:6]
	s_waitcnt lgkmcnt(0)
	s_barrier
	buffer_gl0_inv
	v_cmpx_gt_u32_e32 17, v0
	s_cbranch_execz .LBB43_83
; %bb.80:
	v_add_nc_u32_e32 v5, -1, v0
	v_add_nc_u32_e32 v6, 0x160, v3
	v_mov_b32_e32 v7, v3
	v_mov_b32_e32 v2, 0
	v_mov_b32_e32 v8, 0
	s_mov_b32 s5, 0
	.p2align	6
.LBB43_81:                              ; =>This Inner Loop Header: Depth=1
	s_clause 0x1
	buffer_load_dword v99, v7, s[0:3], 0 offen offset:4
	buffer_load_dword v100, v7, s[0:3], 0 offen
	ds_read_b64 v[97:98], v6
	v_add_nc_u32_e32 v5, 1, v5
	v_add_nc_u32_e32 v6, 8, v6
	;; [unrolled: 1-line block ×3, first 2 shown]
	v_cmp_lt_u32_e32 vcc_lo, 15, v5
	s_or_b32 s5, vcc_lo, s5
	s_waitcnt vmcnt(1) lgkmcnt(0)
	v_mul_f32_e32 v101, v98, v99
	v_mul_f32_e32 v99, v97, v99
	s_waitcnt vmcnt(0)
	v_fma_f32 v97, v97, v100, -v101
	v_fmac_f32_e32 v99, v98, v100
	v_add_f32_e32 v8, v8, v97
	v_add_f32_e32 v2, v2, v99
	s_andn2_b32 exec_lo, exec_lo, s5
	s_cbranch_execnz .LBB43_81
; %bb.82:
	s_or_b32 exec_lo, exec_lo, s5
	v_mov_b32_e32 v5, 0
	ds_read_b64 v[5:6], v5 offset:136
	s_waitcnt lgkmcnt(0)
	v_mul_f32_e32 v7, v2, v6
	v_mul_f32_e32 v6, v8, v6
	v_fma_f32 v7, v8, v5, -v7
	v_fmac_f32_e32 v6, v2, v5
	buffer_store_dword v7, off, s[0:3], 0 offset:136
	buffer_store_dword v6, off, s[0:3], 0 offset:140
.LBB43_83:
	s_or_b32 exec_lo, exec_lo, s4
	s_waitcnt_vscnt null, 0x0
	s_barrier
	buffer_gl0_inv
	s_clause 0x1
	buffer_load_dword v5, off, s[0:3], 0 offset:144
	buffer_load_dword v6, off, s[0:3], 0 offset:148
	s_mov_b32 s4, exec_lo
	s_waitcnt vmcnt(0)
	ds_write_b64 v4, v[5:6]
	s_waitcnt lgkmcnt(0)
	s_barrier
	buffer_gl0_inv
	v_cmpx_gt_u32_e32 18, v0
	s_cbranch_execz .LBB43_87
; %bb.84:
	v_add_nc_u32_e32 v5, -1, v0
	v_add_nc_u32_e32 v6, 0x160, v3
	v_mov_b32_e32 v7, v3
	v_mov_b32_e32 v2, 0
	;; [unrolled: 1-line block ×3, first 2 shown]
	s_mov_b32 s5, 0
	.p2align	6
.LBB43_85:                              ; =>This Inner Loop Header: Depth=1
	s_clause 0x1
	buffer_load_dword v99, v7, s[0:3], 0 offen offset:4
	buffer_load_dword v100, v7, s[0:3], 0 offen
	ds_read_b64 v[97:98], v6
	v_add_nc_u32_e32 v5, 1, v5
	v_add_nc_u32_e32 v6, 8, v6
	;; [unrolled: 1-line block ×3, first 2 shown]
	v_cmp_lt_u32_e32 vcc_lo, 16, v5
	s_or_b32 s5, vcc_lo, s5
	s_waitcnt vmcnt(1) lgkmcnt(0)
	v_mul_f32_e32 v101, v98, v99
	v_mul_f32_e32 v99, v97, v99
	s_waitcnt vmcnt(0)
	v_fma_f32 v97, v97, v100, -v101
	v_fmac_f32_e32 v99, v98, v100
	v_add_f32_e32 v8, v8, v97
	v_add_f32_e32 v2, v2, v99
	s_andn2_b32 exec_lo, exec_lo, s5
	s_cbranch_execnz .LBB43_85
; %bb.86:
	s_or_b32 exec_lo, exec_lo, s5
	v_mov_b32_e32 v5, 0
	ds_read_b64 v[5:6], v5 offset:144
	s_waitcnt lgkmcnt(0)
	v_mul_f32_e32 v7, v2, v6
	v_mul_f32_e32 v6, v8, v6
	v_fma_f32 v7, v8, v5, -v7
	v_fmac_f32_e32 v6, v2, v5
	buffer_store_dword v7, off, s[0:3], 0 offset:144
	buffer_store_dword v6, off, s[0:3], 0 offset:148
.LBB43_87:
	s_or_b32 exec_lo, exec_lo, s4
	s_waitcnt_vscnt null, 0x0
	s_barrier
	buffer_gl0_inv
	s_clause 0x1
	buffer_load_dword v5, off, s[0:3], 0 offset:152
	buffer_load_dword v6, off, s[0:3], 0 offset:156
	s_mov_b32 s4, exec_lo
	s_waitcnt vmcnt(0)
	ds_write_b64 v4, v[5:6]
	s_waitcnt lgkmcnt(0)
	s_barrier
	buffer_gl0_inv
	v_cmpx_gt_u32_e32 19, v0
	s_cbranch_execz .LBB43_91
; %bb.88:
	v_add_nc_u32_e32 v5, -1, v0
	v_add_nc_u32_e32 v6, 0x160, v3
	v_mov_b32_e32 v7, v3
	v_mov_b32_e32 v2, 0
	;; [unrolled: 1-line block ×3, first 2 shown]
	s_mov_b32 s5, 0
	.p2align	6
.LBB43_89:                              ; =>This Inner Loop Header: Depth=1
	s_clause 0x1
	buffer_load_dword v99, v7, s[0:3], 0 offen offset:4
	buffer_load_dword v100, v7, s[0:3], 0 offen
	ds_read_b64 v[97:98], v6
	v_add_nc_u32_e32 v5, 1, v5
	v_add_nc_u32_e32 v6, 8, v6
	;; [unrolled: 1-line block ×3, first 2 shown]
	v_cmp_lt_u32_e32 vcc_lo, 17, v5
	s_or_b32 s5, vcc_lo, s5
	s_waitcnt vmcnt(1) lgkmcnt(0)
	v_mul_f32_e32 v101, v98, v99
	v_mul_f32_e32 v99, v97, v99
	s_waitcnt vmcnt(0)
	v_fma_f32 v97, v97, v100, -v101
	v_fmac_f32_e32 v99, v98, v100
	v_add_f32_e32 v8, v8, v97
	v_add_f32_e32 v2, v2, v99
	s_andn2_b32 exec_lo, exec_lo, s5
	s_cbranch_execnz .LBB43_89
; %bb.90:
	s_or_b32 exec_lo, exec_lo, s5
	v_mov_b32_e32 v5, 0
	ds_read_b64 v[5:6], v5 offset:152
	s_waitcnt lgkmcnt(0)
	v_mul_f32_e32 v7, v2, v6
	v_mul_f32_e32 v6, v8, v6
	v_fma_f32 v7, v8, v5, -v7
	v_fmac_f32_e32 v6, v2, v5
	buffer_store_dword v7, off, s[0:3], 0 offset:152
	buffer_store_dword v6, off, s[0:3], 0 offset:156
.LBB43_91:
	s_or_b32 exec_lo, exec_lo, s4
	s_waitcnt_vscnt null, 0x0
	s_barrier
	buffer_gl0_inv
	s_clause 0x1
	buffer_load_dword v5, off, s[0:3], 0 offset:160
	buffer_load_dword v6, off, s[0:3], 0 offset:164
	s_mov_b32 s4, exec_lo
	s_waitcnt vmcnt(0)
	ds_write_b64 v4, v[5:6]
	s_waitcnt lgkmcnt(0)
	s_barrier
	buffer_gl0_inv
	v_cmpx_gt_u32_e32 20, v0
	s_cbranch_execz .LBB43_95
; %bb.92:
	v_add_nc_u32_e32 v5, -1, v0
	v_add_nc_u32_e32 v6, 0x160, v3
	v_mov_b32_e32 v7, v3
	v_mov_b32_e32 v2, 0
	;; [unrolled: 1-line block ×3, first 2 shown]
	s_mov_b32 s5, 0
	.p2align	6
.LBB43_93:                              ; =>This Inner Loop Header: Depth=1
	s_clause 0x1
	buffer_load_dword v99, v7, s[0:3], 0 offen offset:4
	buffer_load_dword v100, v7, s[0:3], 0 offen
	ds_read_b64 v[97:98], v6
	v_add_nc_u32_e32 v5, 1, v5
	v_add_nc_u32_e32 v6, 8, v6
	;; [unrolled: 1-line block ×3, first 2 shown]
	v_cmp_lt_u32_e32 vcc_lo, 18, v5
	s_or_b32 s5, vcc_lo, s5
	s_waitcnt vmcnt(1) lgkmcnt(0)
	v_mul_f32_e32 v101, v98, v99
	v_mul_f32_e32 v99, v97, v99
	s_waitcnt vmcnt(0)
	v_fma_f32 v97, v97, v100, -v101
	v_fmac_f32_e32 v99, v98, v100
	v_add_f32_e32 v8, v8, v97
	v_add_f32_e32 v2, v2, v99
	s_andn2_b32 exec_lo, exec_lo, s5
	s_cbranch_execnz .LBB43_93
; %bb.94:
	s_or_b32 exec_lo, exec_lo, s5
	v_mov_b32_e32 v5, 0
	ds_read_b64 v[5:6], v5 offset:160
	s_waitcnt lgkmcnt(0)
	v_mul_f32_e32 v7, v2, v6
	v_mul_f32_e32 v6, v8, v6
	v_fma_f32 v7, v8, v5, -v7
	v_fmac_f32_e32 v6, v2, v5
	buffer_store_dword v7, off, s[0:3], 0 offset:160
	buffer_store_dword v6, off, s[0:3], 0 offset:164
.LBB43_95:
	s_or_b32 exec_lo, exec_lo, s4
	s_waitcnt_vscnt null, 0x0
	s_barrier
	buffer_gl0_inv
	s_clause 0x1
	buffer_load_dword v5, off, s[0:3], 0 offset:168
	buffer_load_dword v6, off, s[0:3], 0 offset:172
	s_mov_b32 s4, exec_lo
	s_waitcnt vmcnt(0)
	ds_write_b64 v4, v[5:6]
	s_waitcnt lgkmcnt(0)
	s_barrier
	buffer_gl0_inv
	v_cmpx_gt_u32_e32 21, v0
	s_cbranch_execz .LBB43_99
; %bb.96:
	v_add_nc_u32_e32 v5, -1, v0
	v_add_nc_u32_e32 v6, 0x160, v3
	v_mov_b32_e32 v7, v3
	v_mov_b32_e32 v2, 0
	;; [unrolled: 1-line block ×3, first 2 shown]
	s_mov_b32 s5, 0
	.p2align	6
.LBB43_97:                              ; =>This Inner Loop Header: Depth=1
	s_clause 0x1
	buffer_load_dword v99, v7, s[0:3], 0 offen offset:4
	buffer_load_dword v100, v7, s[0:3], 0 offen
	ds_read_b64 v[97:98], v6
	v_add_nc_u32_e32 v5, 1, v5
	v_add_nc_u32_e32 v6, 8, v6
	;; [unrolled: 1-line block ×3, first 2 shown]
	v_cmp_lt_u32_e32 vcc_lo, 19, v5
	s_or_b32 s5, vcc_lo, s5
	s_waitcnt vmcnt(1) lgkmcnt(0)
	v_mul_f32_e32 v101, v98, v99
	v_mul_f32_e32 v99, v97, v99
	s_waitcnt vmcnt(0)
	v_fma_f32 v97, v97, v100, -v101
	v_fmac_f32_e32 v99, v98, v100
	v_add_f32_e32 v8, v8, v97
	v_add_f32_e32 v2, v2, v99
	s_andn2_b32 exec_lo, exec_lo, s5
	s_cbranch_execnz .LBB43_97
; %bb.98:
	s_or_b32 exec_lo, exec_lo, s5
	v_mov_b32_e32 v5, 0
	ds_read_b64 v[5:6], v5 offset:168
	s_waitcnt lgkmcnt(0)
	v_mul_f32_e32 v7, v2, v6
	v_mul_f32_e32 v6, v8, v6
	v_fma_f32 v7, v8, v5, -v7
	v_fmac_f32_e32 v6, v2, v5
	buffer_store_dword v7, off, s[0:3], 0 offset:168
	buffer_store_dword v6, off, s[0:3], 0 offset:172
.LBB43_99:
	s_or_b32 exec_lo, exec_lo, s4
	s_waitcnt_vscnt null, 0x0
	s_barrier
	buffer_gl0_inv
	s_clause 0x1
	buffer_load_dword v5, off, s[0:3], 0 offset:176
	buffer_load_dword v6, off, s[0:3], 0 offset:180
	s_mov_b32 s4, exec_lo
	s_waitcnt vmcnt(0)
	ds_write_b64 v4, v[5:6]
	s_waitcnt lgkmcnt(0)
	s_barrier
	buffer_gl0_inv
	v_cmpx_gt_u32_e32 22, v0
	s_cbranch_execz .LBB43_103
; %bb.100:
	v_add_nc_u32_e32 v5, -1, v0
	v_add_nc_u32_e32 v6, 0x160, v3
	v_mov_b32_e32 v7, v3
	v_mov_b32_e32 v2, 0
	;; [unrolled: 1-line block ×3, first 2 shown]
	s_mov_b32 s5, 0
	.p2align	6
.LBB43_101:                             ; =>This Inner Loop Header: Depth=1
	s_clause 0x1
	buffer_load_dword v99, v7, s[0:3], 0 offen offset:4
	buffer_load_dword v100, v7, s[0:3], 0 offen
	ds_read_b64 v[97:98], v6
	v_add_nc_u32_e32 v5, 1, v5
	v_add_nc_u32_e32 v6, 8, v6
	;; [unrolled: 1-line block ×3, first 2 shown]
	v_cmp_lt_u32_e32 vcc_lo, 20, v5
	s_or_b32 s5, vcc_lo, s5
	s_waitcnt vmcnt(1) lgkmcnt(0)
	v_mul_f32_e32 v101, v98, v99
	v_mul_f32_e32 v99, v97, v99
	s_waitcnt vmcnt(0)
	v_fma_f32 v97, v97, v100, -v101
	v_fmac_f32_e32 v99, v98, v100
	v_add_f32_e32 v8, v8, v97
	v_add_f32_e32 v2, v2, v99
	s_andn2_b32 exec_lo, exec_lo, s5
	s_cbranch_execnz .LBB43_101
; %bb.102:
	s_or_b32 exec_lo, exec_lo, s5
	v_mov_b32_e32 v5, 0
	ds_read_b64 v[5:6], v5 offset:176
	s_waitcnt lgkmcnt(0)
	v_mul_f32_e32 v7, v2, v6
	v_mul_f32_e32 v6, v8, v6
	v_fma_f32 v7, v8, v5, -v7
	v_fmac_f32_e32 v6, v2, v5
	buffer_store_dword v7, off, s[0:3], 0 offset:176
	buffer_store_dword v6, off, s[0:3], 0 offset:180
.LBB43_103:
	s_or_b32 exec_lo, exec_lo, s4
	s_waitcnt_vscnt null, 0x0
	s_barrier
	buffer_gl0_inv
	s_clause 0x1
	buffer_load_dword v5, off, s[0:3], 0 offset:184
	buffer_load_dword v6, off, s[0:3], 0 offset:188
	s_mov_b32 s4, exec_lo
	s_waitcnt vmcnt(0)
	ds_write_b64 v4, v[5:6]
	s_waitcnt lgkmcnt(0)
	s_barrier
	buffer_gl0_inv
	v_cmpx_gt_u32_e32 23, v0
	s_cbranch_execz .LBB43_107
; %bb.104:
	v_add_nc_u32_e32 v5, -1, v0
	v_add_nc_u32_e32 v6, 0x160, v3
	v_mov_b32_e32 v7, v3
	v_mov_b32_e32 v2, 0
	;; [unrolled: 1-line block ×3, first 2 shown]
	s_mov_b32 s5, 0
	.p2align	6
.LBB43_105:                             ; =>This Inner Loop Header: Depth=1
	s_clause 0x1
	buffer_load_dword v99, v7, s[0:3], 0 offen offset:4
	buffer_load_dword v100, v7, s[0:3], 0 offen
	ds_read_b64 v[97:98], v6
	v_add_nc_u32_e32 v5, 1, v5
	v_add_nc_u32_e32 v6, 8, v6
	;; [unrolled: 1-line block ×3, first 2 shown]
	v_cmp_lt_u32_e32 vcc_lo, 21, v5
	s_or_b32 s5, vcc_lo, s5
	s_waitcnt vmcnt(1) lgkmcnt(0)
	v_mul_f32_e32 v101, v98, v99
	v_mul_f32_e32 v99, v97, v99
	s_waitcnt vmcnt(0)
	v_fma_f32 v97, v97, v100, -v101
	v_fmac_f32_e32 v99, v98, v100
	v_add_f32_e32 v8, v8, v97
	v_add_f32_e32 v2, v2, v99
	s_andn2_b32 exec_lo, exec_lo, s5
	s_cbranch_execnz .LBB43_105
; %bb.106:
	s_or_b32 exec_lo, exec_lo, s5
	v_mov_b32_e32 v5, 0
	ds_read_b64 v[5:6], v5 offset:184
	s_waitcnt lgkmcnt(0)
	v_mul_f32_e32 v7, v2, v6
	v_mul_f32_e32 v6, v8, v6
	v_fma_f32 v7, v8, v5, -v7
	v_fmac_f32_e32 v6, v2, v5
	buffer_store_dword v7, off, s[0:3], 0 offset:184
	buffer_store_dword v6, off, s[0:3], 0 offset:188
.LBB43_107:
	s_or_b32 exec_lo, exec_lo, s4
	s_waitcnt_vscnt null, 0x0
	s_barrier
	buffer_gl0_inv
	s_clause 0x1
	buffer_load_dword v5, off, s[0:3], 0 offset:192
	buffer_load_dword v6, off, s[0:3], 0 offset:196
	s_mov_b32 s4, exec_lo
	s_waitcnt vmcnt(0)
	ds_write_b64 v4, v[5:6]
	s_waitcnt lgkmcnt(0)
	s_barrier
	buffer_gl0_inv
	v_cmpx_gt_u32_e32 24, v0
	s_cbranch_execz .LBB43_111
; %bb.108:
	v_add_nc_u32_e32 v5, -1, v0
	v_add_nc_u32_e32 v6, 0x160, v3
	v_mov_b32_e32 v7, v3
	v_mov_b32_e32 v2, 0
	;; [unrolled: 1-line block ×3, first 2 shown]
	s_mov_b32 s5, 0
	.p2align	6
.LBB43_109:                             ; =>This Inner Loop Header: Depth=1
	s_clause 0x1
	buffer_load_dword v99, v7, s[0:3], 0 offen offset:4
	buffer_load_dword v100, v7, s[0:3], 0 offen
	ds_read_b64 v[97:98], v6
	v_add_nc_u32_e32 v5, 1, v5
	v_add_nc_u32_e32 v6, 8, v6
	;; [unrolled: 1-line block ×3, first 2 shown]
	v_cmp_lt_u32_e32 vcc_lo, 22, v5
	s_or_b32 s5, vcc_lo, s5
	s_waitcnt vmcnt(1) lgkmcnt(0)
	v_mul_f32_e32 v101, v98, v99
	v_mul_f32_e32 v99, v97, v99
	s_waitcnt vmcnt(0)
	v_fma_f32 v97, v97, v100, -v101
	v_fmac_f32_e32 v99, v98, v100
	v_add_f32_e32 v8, v8, v97
	v_add_f32_e32 v2, v2, v99
	s_andn2_b32 exec_lo, exec_lo, s5
	s_cbranch_execnz .LBB43_109
; %bb.110:
	s_or_b32 exec_lo, exec_lo, s5
	v_mov_b32_e32 v5, 0
	ds_read_b64 v[5:6], v5 offset:192
	s_waitcnt lgkmcnt(0)
	v_mul_f32_e32 v7, v2, v6
	v_mul_f32_e32 v6, v8, v6
	v_fma_f32 v7, v8, v5, -v7
	v_fmac_f32_e32 v6, v2, v5
	buffer_store_dword v7, off, s[0:3], 0 offset:192
	buffer_store_dword v6, off, s[0:3], 0 offset:196
.LBB43_111:
	s_or_b32 exec_lo, exec_lo, s4
	s_waitcnt_vscnt null, 0x0
	s_barrier
	buffer_gl0_inv
	s_clause 0x1
	buffer_load_dword v5, off, s[0:3], 0 offset:200
	buffer_load_dword v6, off, s[0:3], 0 offset:204
	s_mov_b32 s4, exec_lo
	s_waitcnt vmcnt(0)
	ds_write_b64 v4, v[5:6]
	s_waitcnt lgkmcnt(0)
	s_barrier
	buffer_gl0_inv
	v_cmpx_gt_u32_e32 25, v0
	s_cbranch_execz .LBB43_115
; %bb.112:
	v_add_nc_u32_e32 v5, -1, v0
	v_add_nc_u32_e32 v6, 0x160, v3
	v_mov_b32_e32 v7, v3
	v_mov_b32_e32 v2, 0
	;; [unrolled: 1-line block ×3, first 2 shown]
	s_mov_b32 s5, 0
	.p2align	6
.LBB43_113:                             ; =>This Inner Loop Header: Depth=1
	s_clause 0x1
	buffer_load_dword v99, v7, s[0:3], 0 offen offset:4
	buffer_load_dword v100, v7, s[0:3], 0 offen
	ds_read_b64 v[97:98], v6
	v_add_nc_u32_e32 v5, 1, v5
	v_add_nc_u32_e32 v6, 8, v6
	;; [unrolled: 1-line block ×3, first 2 shown]
	v_cmp_lt_u32_e32 vcc_lo, 23, v5
	s_or_b32 s5, vcc_lo, s5
	s_waitcnt vmcnt(1) lgkmcnt(0)
	v_mul_f32_e32 v101, v98, v99
	v_mul_f32_e32 v99, v97, v99
	s_waitcnt vmcnt(0)
	v_fma_f32 v97, v97, v100, -v101
	v_fmac_f32_e32 v99, v98, v100
	v_add_f32_e32 v8, v8, v97
	v_add_f32_e32 v2, v2, v99
	s_andn2_b32 exec_lo, exec_lo, s5
	s_cbranch_execnz .LBB43_113
; %bb.114:
	s_or_b32 exec_lo, exec_lo, s5
	v_mov_b32_e32 v5, 0
	ds_read_b64 v[5:6], v5 offset:200
	s_waitcnt lgkmcnt(0)
	v_mul_f32_e32 v7, v2, v6
	v_mul_f32_e32 v6, v8, v6
	v_fma_f32 v7, v8, v5, -v7
	v_fmac_f32_e32 v6, v2, v5
	buffer_store_dword v7, off, s[0:3], 0 offset:200
	buffer_store_dword v6, off, s[0:3], 0 offset:204
.LBB43_115:
	s_or_b32 exec_lo, exec_lo, s4
	s_waitcnt_vscnt null, 0x0
	s_barrier
	buffer_gl0_inv
	s_clause 0x1
	buffer_load_dword v5, off, s[0:3], 0 offset:208
	buffer_load_dword v6, off, s[0:3], 0 offset:212
	s_mov_b32 s4, exec_lo
	s_waitcnt vmcnt(0)
	ds_write_b64 v4, v[5:6]
	s_waitcnt lgkmcnt(0)
	s_barrier
	buffer_gl0_inv
	v_cmpx_gt_u32_e32 26, v0
	s_cbranch_execz .LBB43_119
; %bb.116:
	v_add_nc_u32_e32 v5, -1, v0
	v_add_nc_u32_e32 v6, 0x160, v3
	v_mov_b32_e32 v7, v3
	v_mov_b32_e32 v2, 0
	;; [unrolled: 1-line block ×3, first 2 shown]
	s_mov_b32 s5, 0
	.p2align	6
.LBB43_117:                             ; =>This Inner Loop Header: Depth=1
	s_clause 0x1
	buffer_load_dword v99, v7, s[0:3], 0 offen offset:4
	buffer_load_dword v100, v7, s[0:3], 0 offen
	ds_read_b64 v[97:98], v6
	v_add_nc_u32_e32 v5, 1, v5
	v_add_nc_u32_e32 v6, 8, v6
	;; [unrolled: 1-line block ×3, first 2 shown]
	v_cmp_lt_u32_e32 vcc_lo, 24, v5
	s_or_b32 s5, vcc_lo, s5
	s_waitcnt vmcnt(1) lgkmcnt(0)
	v_mul_f32_e32 v101, v98, v99
	v_mul_f32_e32 v99, v97, v99
	s_waitcnt vmcnt(0)
	v_fma_f32 v97, v97, v100, -v101
	v_fmac_f32_e32 v99, v98, v100
	v_add_f32_e32 v8, v8, v97
	v_add_f32_e32 v2, v2, v99
	s_andn2_b32 exec_lo, exec_lo, s5
	s_cbranch_execnz .LBB43_117
; %bb.118:
	s_or_b32 exec_lo, exec_lo, s5
	v_mov_b32_e32 v5, 0
	ds_read_b64 v[5:6], v5 offset:208
	s_waitcnt lgkmcnt(0)
	v_mul_f32_e32 v7, v2, v6
	v_mul_f32_e32 v6, v8, v6
	v_fma_f32 v7, v8, v5, -v7
	v_fmac_f32_e32 v6, v2, v5
	buffer_store_dword v7, off, s[0:3], 0 offset:208
	buffer_store_dword v6, off, s[0:3], 0 offset:212
.LBB43_119:
	s_or_b32 exec_lo, exec_lo, s4
	s_waitcnt_vscnt null, 0x0
	s_barrier
	buffer_gl0_inv
	s_clause 0x1
	buffer_load_dword v5, off, s[0:3], 0 offset:216
	buffer_load_dword v6, off, s[0:3], 0 offset:220
	s_mov_b32 s4, exec_lo
	s_waitcnt vmcnt(0)
	ds_write_b64 v4, v[5:6]
	s_waitcnt lgkmcnt(0)
	s_barrier
	buffer_gl0_inv
	v_cmpx_gt_u32_e32 27, v0
	s_cbranch_execz .LBB43_123
; %bb.120:
	v_add_nc_u32_e32 v5, -1, v0
	v_add_nc_u32_e32 v6, 0x160, v3
	v_mov_b32_e32 v7, v3
	v_mov_b32_e32 v2, 0
	;; [unrolled: 1-line block ×3, first 2 shown]
	s_mov_b32 s5, 0
	.p2align	6
.LBB43_121:                             ; =>This Inner Loop Header: Depth=1
	s_clause 0x1
	buffer_load_dword v99, v7, s[0:3], 0 offen offset:4
	buffer_load_dword v100, v7, s[0:3], 0 offen
	ds_read_b64 v[97:98], v6
	v_add_nc_u32_e32 v5, 1, v5
	v_add_nc_u32_e32 v6, 8, v6
	;; [unrolled: 1-line block ×3, first 2 shown]
	v_cmp_lt_u32_e32 vcc_lo, 25, v5
	s_or_b32 s5, vcc_lo, s5
	s_waitcnt vmcnt(1) lgkmcnt(0)
	v_mul_f32_e32 v101, v98, v99
	v_mul_f32_e32 v99, v97, v99
	s_waitcnt vmcnt(0)
	v_fma_f32 v97, v97, v100, -v101
	v_fmac_f32_e32 v99, v98, v100
	v_add_f32_e32 v8, v8, v97
	v_add_f32_e32 v2, v2, v99
	s_andn2_b32 exec_lo, exec_lo, s5
	s_cbranch_execnz .LBB43_121
; %bb.122:
	s_or_b32 exec_lo, exec_lo, s5
	v_mov_b32_e32 v5, 0
	ds_read_b64 v[5:6], v5 offset:216
	s_waitcnt lgkmcnt(0)
	v_mul_f32_e32 v7, v2, v6
	v_mul_f32_e32 v6, v8, v6
	v_fma_f32 v7, v8, v5, -v7
	v_fmac_f32_e32 v6, v2, v5
	buffer_store_dword v7, off, s[0:3], 0 offset:216
	buffer_store_dword v6, off, s[0:3], 0 offset:220
.LBB43_123:
	s_or_b32 exec_lo, exec_lo, s4
	s_waitcnt_vscnt null, 0x0
	s_barrier
	buffer_gl0_inv
	s_clause 0x1
	buffer_load_dword v5, off, s[0:3], 0 offset:224
	buffer_load_dword v6, off, s[0:3], 0 offset:228
	s_mov_b32 s4, exec_lo
	s_waitcnt vmcnt(0)
	ds_write_b64 v4, v[5:6]
	s_waitcnt lgkmcnt(0)
	s_barrier
	buffer_gl0_inv
	v_cmpx_gt_u32_e32 28, v0
	s_cbranch_execz .LBB43_127
; %bb.124:
	v_add_nc_u32_e32 v5, -1, v0
	v_add_nc_u32_e32 v6, 0x160, v3
	v_mov_b32_e32 v7, v3
	v_mov_b32_e32 v2, 0
	;; [unrolled: 1-line block ×3, first 2 shown]
	s_mov_b32 s5, 0
	.p2align	6
.LBB43_125:                             ; =>This Inner Loop Header: Depth=1
	s_clause 0x1
	buffer_load_dword v99, v7, s[0:3], 0 offen offset:4
	buffer_load_dword v100, v7, s[0:3], 0 offen
	ds_read_b64 v[97:98], v6
	v_add_nc_u32_e32 v5, 1, v5
	v_add_nc_u32_e32 v6, 8, v6
	;; [unrolled: 1-line block ×3, first 2 shown]
	v_cmp_lt_u32_e32 vcc_lo, 26, v5
	s_or_b32 s5, vcc_lo, s5
	s_waitcnt vmcnt(1) lgkmcnt(0)
	v_mul_f32_e32 v101, v98, v99
	v_mul_f32_e32 v99, v97, v99
	s_waitcnt vmcnt(0)
	v_fma_f32 v97, v97, v100, -v101
	v_fmac_f32_e32 v99, v98, v100
	v_add_f32_e32 v8, v8, v97
	v_add_f32_e32 v2, v2, v99
	s_andn2_b32 exec_lo, exec_lo, s5
	s_cbranch_execnz .LBB43_125
; %bb.126:
	s_or_b32 exec_lo, exec_lo, s5
	v_mov_b32_e32 v5, 0
	ds_read_b64 v[5:6], v5 offset:224
	s_waitcnt lgkmcnt(0)
	v_mul_f32_e32 v7, v2, v6
	v_mul_f32_e32 v6, v8, v6
	v_fma_f32 v7, v8, v5, -v7
	v_fmac_f32_e32 v6, v2, v5
	buffer_store_dword v7, off, s[0:3], 0 offset:224
	buffer_store_dword v6, off, s[0:3], 0 offset:228
.LBB43_127:
	s_or_b32 exec_lo, exec_lo, s4
	s_waitcnt_vscnt null, 0x0
	s_barrier
	buffer_gl0_inv
	s_clause 0x1
	buffer_load_dword v5, off, s[0:3], 0 offset:232
	buffer_load_dword v6, off, s[0:3], 0 offset:236
	s_mov_b32 s4, exec_lo
	s_waitcnt vmcnt(0)
	ds_write_b64 v4, v[5:6]
	s_waitcnt lgkmcnt(0)
	s_barrier
	buffer_gl0_inv
	v_cmpx_gt_u32_e32 29, v0
	s_cbranch_execz .LBB43_131
; %bb.128:
	v_add_nc_u32_e32 v5, -1, v0
	v_add_nc_u32_e32 v6, 0x160, v3
	v_mov_b32_e32 v7, v3
	v_mov_b32_e32 v2, 0
	v_mov_b32_e32 v8, 0
	s_mov_b32 s5, 0
	.p2align	6
.LBB43_129:                             ; =>This Inner Loop Header: Depth=1
	s_clause 0x1
	buffer_load_dword v99, v7, s[0:3], 0 offen offset:4
	buffer_load_dword v100, v7, s[0:3], 0 offen
	ds_read_b64 v[97:98], v6
	v_add_nc_u32_e32 v5, 1, v5
	v_add_nc_u32_e32 v6, 8, v6
	;; [unrolled: 1-line block ×3, first 2 shown]
	v_cmp_lt_u32_e32 vcc_lo, 27, v5
	s_or_b32 s5, vcc_lo, s5
	s_waitcnt vmcnt(1) lgkmcnt(0)
	v_mul_f32_e32 v101, v98, v99
	v_mul_f32_e32 v99, v97, v99
	s_waitcnt vmcnt(0)
	v_fma_f32 v97, v97, v100, -v101
	v_fmac_f32_e32 v99, v98, v100
	v_add_f32_e32 v8, v8, v97
	v_add_f32_e32 v2, v2, v99
	s_andn2_b32 exec_lo, exec_lo, s5
	s_cbranch_execnz .LBB43_129
; %bb.130:
	s_or_b32 exec_lo, exec_lo, s5
	v_mov_b32_e32 v5, 0
	ds_read_b64 v[5:6], v5 offset:232
	s_waitcnt lgkmcnt(0)
	v_mul_f32_e32 v7, v2, v6
	v_mul_f32_e32 v6, v8, v6
	v_fma_f32 v7, v8, v5, -v7
	v_fmac_f32_e32 v6, v2, v5
	buffer_store_dword v7, off, s[0:3], 0 offset:232
	buffer_store_dword v6, off, s[0:3], 0 offset:236
.LBB43_131:
	s_or_b32 exec_lo, exec_lo, s4
	s_waitcnt_vscnt null, 0x0
	s_barrier
	buffer_gl0_inv
	s_clause 0x1
	buffer_load_dword v5, off, s[0:3], 0 offset:240
	buffer_load_dword v6, off, s[0:3], 0 offset:244
	s_mov_b32 s4, exec_lo
	s_waitcnt vmcnt(0)
	ds_write_b64 v4, v[5:6]
	s_waitcnt lgkmcnt(0)
	s_barrier
	buffer_gl0_inv
	v_cmpx_gt_u32_e32 30, v0
	s_cbranch_execz .LBB43_135
; %bb.132:
	v_add_nc_u32_e32 v5, -1, v0
	v_add_nc_u32_e32 v6, 0x160, v3
	v_mov_b32_e32 v7, v3
	v_mov_b32_e32 v2, 0
	;; [unrolled: 1-line block ×3, first 2 shown]
	s_mov_b32 s5, 0
	.p2align	6
.LBB43_133:                             ; =>This Inner Loop Header: Depth=1
	s_clause 0x1
	buffer_load_dword v99, v7, s[0:3], 0 offen offset:4
	buffer_load_dword v100, v7, s[0:3], 0 offen
	ds_read_b64 v[97:98], v6
	v_add_nc_u32_e32 v5, 1, v5
	v_add_nc_u32_e32 v6, 8, v6
	v_add_nc_u32_e32 v7, 8, v7
	v_cmp_lt_u32_e32 vcc_lo, 28, v5
	s_or_b32 s5, vcc_lo, s5
	s_waitcnt vmcnt(1) lgkmcnt(0)
	v_mul_f32_e32 v101, v98, v99
	v_mul_f32_e32 v99, v97, v99
	s_waitcnt vmcnt(0)
	v_fma_f32 v97, v97, v100, -v101
	v_fmac_f32_e32 v99, v98, v100
	v_add_f32_e32 v8, v8, v97
	v_add_f32_e32 v2, v2, v99
	s_andn2_b32 exec_lo, exec_lo, s5
	s_cbranch_execnz .LBB43_133
; %bb.134:
	s_or_b32 exec_lo, exec_lo, s5
	v_mov_b32_e32 v5, 0
	ds_read_b64 v[5:6], v5 offset:240
	s_waitcnt lgkmcnt(0)
	v_mul_f32_e32 v7, v2, v6
	v_mul_f32_e32 v6, v8, v6
	v_fma_f32 v7, v8, v5, -v7
	v_fmac_f32_e32 v6, v2, v5
	buffer_store_dword v7, off, s[0:3], 0 offset:240
	buffer_store_dword v6, off, s[0:3], 0 offset:244
.LBB43_135:
	s_or_b32 exec_lo, exec_lo, s4
	s_waitcnt_vscnt null, 0x0
	s_barrier
	buffer_gl0_inv
	s_clause 0x1
	buffer_load_dword v5, off, s[0:3], 0 offset:248
	buffer_load_dword v6, off, s[0:3], 0 offset:252
	s_mov_b32 s4, exec_lo
	s_waitcnt vmcnt(0)
	ds_write_b64 v4, v[5:6]
	s_waitcnt lgkmcnt(0)
	s_barrier
	buffer_gl0_inv
	v_cmpx_gt_u32_e32 31, v0
	s_cbranch_execz .LBB43_139
; %bb.136:
	v_add_nc_u32_e32 v5, -1, v0
	v_add_nc_u32_e32 v6, 0x160, v3
	v_mov_b32_e32 v7, v3
	v_mov_b32_e32 v2, 0
	;; [unrolled: 1-line block ×3, first 2 shown]
	s_mov_b32 s5, 0
	.p2align	6
.LBB43_137:                             ; =>This Inner Loop Header: Depth=1
	s_clause 0x1
	buffer_load_dword v99, v7, s[0:3], 0 offen offset:4
	buffer_load_dword v100, v7, s[0:3], 0 offen
	ds_read_b64 v[97:98], v6
	v_add_nc_u32_e32 v5, 1, v5
	v_add_nc_u32_e32 v6, 8, v6
	;; [unrolled: 1-line block ×3, first 2 shown]
	v_cmp_lt_u32_e32 vcc_lo, 29, v5
	s_or_b32 s5, vcc_lo, s5
	s_waitcnt vmcnt(1) lgkmcnt(0)
	v_mul_f32_e32 v101, v98, v99
	v_mul_f32_e32 v99, v97, v99
	s_waitcnt vmcnt(0)
	v_fma_f32 v97, v97, v100, -v101
	v_fmac_f32_e32 v99, v98, v100
	v_add_f32_e32 v8, v8, v97
	v_add_f32_e32 v2, v2, v99
	s_andn2_b32 exec_lo, exec_lo, s5
	s_cbranch_execnz .LBB43_137
; %bb.138:
	s_or_b32 exec_lo, exec_lo, s5
	v_mov_b32_e32 v5, 0
	ds_read_b64 v[5:6], v5 offset:248
	s_waitcnt lgkmcnt(0)
	v_mul_f32_e32 v7, v2, v6
	v_mul_f32_e32 v6, v8, v6
	v_fma_f32 v7, v8, v5, -v7
	v_fmac_f32_e32 v6, v2, v5
	buffer_store_dword v7, off, s[0:3], 0 offset:248
	buffer_store_dword v6, off, s[0:3], 0 offset:252
.LBB43_139:
	s_or_b32 exec_lo, exec_lo, s4
	s_waitcnt_vscnt null, 0x0
	s_barrier
	buffer_gl0_inv
	s_clause 0x1
	buffer_load_dword v5, off, s[0:3], 0 offset:256
	buffer_load_dword v6, off, s[0:3], 0 offset:260
	s_mov_b32 s4, exec_lo
	s_waitcnt vmcnt(0)
	ds_write_b64 v4, v[5:6]
	s_waitcnt lgkmcnt(0)
	s_barrier
	buffer_gl0_inv
	v_cmpx_gt_u32_e32 32, v0
	s_cbranch_execz .LBB43_143
; %bb.140:
	v_add_nc_u32_e32 v5, -1, v0
	v_add_nc_u32_e32 v6, 0x160, v3
	v_mov_b32_e32 v7, v3
	v_mov_b32_e32 v2, 0
	;; [unrolled: 1-line block ×3, first 2 shown]
	s_mov_b32 s5, 0
	.p2align	6
.LBB43_141:                             ; =>This Inner Loop Header: Depth=1
	s_clause 0x1
	buffer_load_dword v99, v7, s[0:3], 0 offen offset:4
	buffer_load_dword v100, v7, s[0:3], 0 offen
	ds_read_b64 v[97:98], v6
	v_add_nc_u32_e32 v5, 1, v5
	v_add_nc_u32_e32 v6, 8, v6
	;; [unrolled: 1-line block ×3, first 2 shown]
	v_cmp_lt_u32_e32 vcc_lo, 30, v5
	s_or_b32 s5, vcc_lo, s5
	s_waitcnt vmcnt(1) lgkmcnt(0)
	v_mul_f32_e32 v101, v98, v99
	v_mul_f32_e32 v99, v97, v99
	s_waitcnt vmcnt(0)
	v_fma_f32 v97, v97, v100, -v101
	v_fmac_f32_e32 v99, v98, v100
	v_add_f32_e32 v8, v8, v97
	v_add_f32_e32 v2, v2, v99
	s_andn2_b32 exec_lo, exec_lo, s5
	s_cbranch_execnz .LBB43_141
; %bb.142:
	s_or_b32 exec_lo, exec_lo, s5
	v_mov_b32_e32 v5, 0
	ds_read_b64 v[5:6], v5 offset:256
	s_waitcnt lgkmcnt(0)
	v_mul_f32_e32 v7, v2, v6
	v_mul_f32_e32 v6, v8, v6
	v_fma_f32 v7, v8, v5, -v7
	v_fmac_f32_e32 v6, v2, v5
	buffer_store_dword v7, off, s[0:3], 0 offset:256
	buffer_store_dword v6, off, s[0:3], 0 offset:260
.LBB43_143:
	s_or_b32 exec_lo, exec_lo, s4
	s_waitcnt_vscnt null, 0x0
	s_barrier
	buffer_gl0_inv
	s_clause 0x1
	buffer_load_dword v5, off, s[0:3], 0 offset:264
	buffer_load_dword v6, off, s[0:3], 0 offset:268
	s_mov_b32 s4, exec_lo
	s_waitcnt vmcnt(0)
	ds_write_b64 v4, v[5:6]
	s_waitcnt lgkmcnt(0)
	s_barrier
	buffer_gl0_inv
	v_cmpx_gt_u32_e32 33, v0
	s_cbranch_execz .LBB43_147
; %bb.144:
	v_add_nc_u32_e32 v5, -1, v0
	v_add_nc_u32_e32 v6, 0x160, v3
	v_mov_b32_e32 v7, v3
	v_mov_b32_e32 v2, 0
	;; [unrolled: 1-line block ×3, first 2 shown]
	s_mov_b32 s5, 0
	.p2align	6
.LBB43_145:                             ; =>This Inner Loop Header: Depth=1
	s_clause 0x1
	buffer_load_dword v99, v7, s[0:3], 0 offen offset:4
	buffer_load_dword v100, v7, s[0:3], 0 offen
	ds_read_b64 v[97:98], v6
	v_add_nc_u32_e32 v5, 1, v5
	v_add_nc_u32_e32 v6, 8, v6
	;; [unrolled: 1-line block ×3, first 2 shown]
	v_cmp_lt_u32_e32 vcc_lo, 31, v5
	s_or_b32 s5, vcc_lo, s5
	s_waitcnt vmcnt(1) lgkmcnt(0)
	v_mul_f32_e32 v101, v98, v99
	v_mul_f32_e32 v99, v97, v99
	s_waitcnt vmcnt(0)
	v_fma_f32 v97, v97, v100, -v101
	v_fmac_f32_e32 v99, v98, v100
	v_add_f32_e32 v8, v8, v97
	v_add_f32_e32 v2, v2, v99
	s_andn2_b32 exec_lo, exec_lo, s5
	s_cbranch_execnz .LBB43_145
; %bb.146:
	s_or_b32 exec_lo, exec_lo, s5
	v_mov_b32_e32 v5, 0
	ds_read_b64 v[5:6], v5 offset:264
	s_waitcnt lgkmcnt(0)
	v_mul_f32_e32 v7, v2, v6
	v_mul_f32_e32 v6, v8, v6
	v_fma_f32 v7, v8, v5, -v7
	v_fmac_f32_e32 v6, v2, v5
	buffer_store_dword v7, off, s[0:3], 0 offset:264
	buffer_store_dword v6, off, s[0:3], 0 offset:268
.LBB43_147:
	s_or_b32 exec_lo, exec_lo, s4
	s_waitcnt_vscnt null, 0x0
	s_barrier
	buffer_gl0_inv
	s_clause 0x1
	buffer_load_dword v5, off, s[0:3], 0 offset:272
	buffer_load_dword v6, off, s[0:3], 0 offset:276
	s_mov_b32 s4, exec_lo
	s_waitcnt vmcnt(0)
	ds_write_b64 v4, v[5:6]
	s_waitcnt lgkmcnt(0)
	s_barrier
	buffer_gl0_inv
	v_cmpx_gt_u32_e32 34, v0
	s_cbranch_execz .LBB43_151
; %bb.148:
	v_add_nc_u32_e32 v5, -1, v0
	v_add_nc_u32_e32 v6, 0x160, v3
	v_mov_b32_e32 v7, v3
	v_mov_b32_e32 v2, 0
	v_mov_b32_e32 v8, 0
	s_mov_b32 s5, 0
	.p2align	6
.LBB43_149:                             ; =>This Inner Loop Header: Depth=1
	s_clause 0x1
	buffer_load_dword v99, v7, s[0:3], 0 offen offset:4
	buffer_load_dword v100, v7, s[0:3], 0 offen
	ds_read_b64 v[97:98], v6
	v_add_nc_u32_e32 v5, 1, v5
	v_add_nc_u32_e32 v6, 8, v6
	;; [unrolled: 1-line block ×3, first 2 shown]
	v_cmp_lt_u32_e32 vcc_lo, 32, v5
	s_or_b32 s5, vcc_lo, s5
	s_waitcnt vmcnt(1) lgkmcnt(0)
	v_mul_f32_e32 v101, v98, v99
	v_mul_f32_e32 v99, v97, v99
	s_waitcnt vmcnt(0)
	v_fma_f32 v97, v97, v100, -v101
	v_fmac_f32_e32 v99, v98, v100
	v_add_f32_e32 v8, v8, v97
	v_add_f32_e32 v2, v2, v99
	s_andn2_b32 exec_lo, exec_lo, s5
	s_cbranch_execnz .LBB43_149
; %bb.150:
	s_or_b32 exec_lo, exec_lo, s5
	v_mov_b32_e32 v5, 0
	ds_read_b64 v[5:6], v5 offset:272
	s_waitcnt lgkmcnt(0)
	v_mul_f32_e32 v7, v2, v6
	v_mul_f32_e32 v6, v8, v6
	v_fma_f32 v7, v8, v5, -v7
	v_fmac_f32_e32 v6, v2, v5
	buffer_store_dword v7, off, s[0:3], 0 offset:272
	buffer_store_dword v6, off, s[0:3], 0 offset:276
.LBB43_151:
	s_or_b32 exec_lo, exec_lo, s4
	s_waitcnt_vscnt null, 0x0
	s_barrier
	buffer_gl0_inv
	s_clause 0x1
	buffer_load_dword v5, off, s[0:3], 0 offset:280
	buffer_load_dword v6, off, s[0:3], 0 offset:284
	s_mov_b32 s4, exec_lo
	s_waitcnt vmcnt(0)
	ds_write_b64 v4, v[5:6]
	s_waitcnt lgkmcnt(0)
	s_barrier
	buffer_gl0_inv
	v_cmpx_gt_u32_e32 35, v0
	s_cbranch_execz .LBB43_155
; %bb.152:
	v_add_nc_u32_e32 v5, -1, v0
	v_add_nc_u32_e32 v6, 0x160, v3
	v_mov_b32_e32 v7, v3
	v_mov_b32_e32 v2, 0
	;; [unrolled: 1-line block ×3, first 2 shown]
	s_mov_b32 s5, 0
	.p2align	6
.LBB43_153:                             ; =>This Inner Loop Header: Depth=1
	s_clause 0x1
	buffer_load_dword v99, v7, s[0:3], 0 offen offset:4
	buffer_load_dword v100, v7, s[0:3], 0 offen
	ds_read_b64 v[97:98], v6
	v_add_nc_u32_e32 v5, 1, v5
	v_add_nc_u32_e32 v6, 8, v6
	;; [unrolled: 1-line block ×3, first 2 shown]
	v_cmp_lt_u32_e32 vcc_lo, 33, v5
	s_or_b32 s5, vcc_lo, s5
	s_waitcnt vmcnt(1) lgkmcnt(0)
	v_mul_f32_e32 v101, v98, v99
	v_mul_f32_e32 v99, v97, v99
	s_waitcnt vmcnt(0)
	v_fma_f32 v97, v97, v100, -v101
	v_fmac_f32_e32 v99, v98, v100
	v_add_f32_e32 v8, v8, v97
	v_add_f32_e32 v2, v2, v99
	s_andn2_b32 exec_lo, exec_lo, s5
	s_cbranch_execnz .LBB43_153
; %bb.154:
	s_or_b32 exec_lo, exec_lo, s5
	v_mov_b32_e32 v5, 0
	ds_read_b64 v[5:6], v5 offset:280
	s_waitcnt lgkmcnt(0)
	v_mul_f32_e32 v7, v2, v6
	v_mul_f32_e32 v6, v8, v6
	v_fma_f32 v7, v8, v5, -v7
	v_fmac_f32_e32 v6, v2, v5
	buffer_store_dword v7, off, s[0:3], 0 offset:280
	buffer_store_dword v6, off, s[0:3], 0 offset:284
.LBB43_155:
	s_or_b32 exec_lo, exec_lo, s4
	s_waitcnt_vscnt null, 0x0
	s_barrier
	buffer_gl0_inv
	s_clause 0x1
	buffer_load_dword v5, off, s[0:3], 0 offset:288
	buffer_load_dword v6, off, s[0:3], 0 offset:292
	s_mov_b32 s4, exec_lo
	s_waitcnt vmcnt(0)
	ds_write_b64 v4, v[5:6]
	s_waitcnt lgkmcnt(0)
	s_barrier
	buffer_gl0_inv
	v_cmpx_gt_u32_e32 36, v0
	s_cbranch_execz .LBB43_159
; %bb.156:
	v_add_nc_u32_e32 v5, -1, v0
	v_add_nc_u32_e32 v6, 0x160, v3
	v_mov_b32_e32 v7, v3
	v_mov_b32_e32 v2, 0
	v_mov_b32_e32 v8, 0
	s_mov_b32 s5, 0
	.p2align	6
.LBB43_157:                             ; =>This Inner Loop Header: Depth=1
	s_clause 0x1
	buffer_load_dword v99, v7, s[0:3], 0 offen offset:4
	buffer_load_dword v100, v7, s[0:3], 0 offen
	ds_read_b64 v[97:98], v6
	v_add_nc_u32_e32 v5, 1, v5
	v_add_nc_u32_e32 v6, 8, v6
	v_add_nc_u32_e32 v7, 8, v7
	v_cmp_lt_u32_e32 vcc_lo, 34, v5
	s_or_b32 s5, vcc_lo, s5
	s_waitcnt vmcnt(1) lgkmcnt(0)
	v_mul_f32_e32 v101, v98, v99
	v_mul_f32_e32 v99, v97, v99
	s_waitcnt vmcnt(0)
	v_fma_f32 v97, v97, v100, -v101
	v_fmac_f32_e32 v99, v98, v100
	v_add_f32_e32 v8, v8, v97
	v_add_f32_e32 v2, v2, v99
	s_andn2_b32 exec_lo, exec_lo, s5
	s_cbranch_execnz .LBB43_157
; %bb.158:
	s_or_b32 exec_lo, exec_lo, s5
	v_mov_b32_e32 v5, 0
	ds_read_b64 v[5:6], v5 offset:288
	s_waitcnt lgkmcnt(0)
	v_mul_f32_e32 v7, v2, v6
	v_mul_f32_e32 v6, v8, v6
	v_fma_f32 v7, v8, v5, -v7
	v_fmac_f32_e32 v6, v2, v5
	buffer_store_dword v7, off, s[0:3], 0 offset:288
	buffer_store_dword v6, off, s[0:3], 0 offset:292
.LBB43_159:
	s_or_b32 exec_lo, exec_lo, s4
	s_waitcnt_vscnt null, 0x0
	s_barrier
	buffer_gl0_inv
	s_clause 0x1
	buffer_load_dword v5, off, s[0:3], 0 offset:296
	buffer_load_dword v6, off, s[0:3], 0 offset:300
	s_mov_b32 s4, exec_lo
	s_waitcnt vmcnt(0)
	ds_write_b64 v4, v[5:6]
	s_waitcnt lgkmcnt(0)
	s_barrier
	buffer_gl0_inv
	v_cmpx_gt_u32_e32 37, v0
	s_cbranch_execz .LBB43_163
; %bb.160:
	v_add_nc_u32_e32 v5, -1, v0
	v_add_nc_u32_e32 v6, 0x160, v3
	v_mov_b32_e32 v7, v3
	v_mov_b32_e32 v2, 0
	v_mov_b32_e32 v8, 0
	s_mov_b32 s5, 0
	.p2align	6
.LBB43_161:                             ; =>This Inner Loop Header: Depth=1
	s_clause 0x1
	buffer_load_dword v99, v7, s[0:3], 0 offen offset:4
	buffer_load_dword v100, v7, s[0:3], 0 offen
	ds_read_b64 v[97:98], v6
	v_add_nc_u32_e32 v5, 1, v5
	v_add_nc_u32_e32 v6, 8, v6
	;; [unrolled: 1-line block ×3, first 2 shown]
	v_cmp_lt_u32_e32 vcc_lo, 35, v5
	s_or_b32 s5, vcc_lo, s5
	s_waitcnt vmcnt(1) lgkmcnt(0)
	v_mul_f32_e32 v101, v98, v99
	v_mul_f32_e32 v99, v97, v99
	s_waitcnt vmcnt(0)
	v_fma_f32 v97, v97, v100, -v101
	v_fmac_f32_e32 v99, v98, v100
	v_add_f32_e32 v8, v8, v97
	v_add_f32_e32 v2, v2, v99
	s_andn2_b32 exec_lo, exec_lo, s5
	s_cbranch_execnz .LBB43_161
; %bb.162:
	s_or_b32 exec_lo, exec_lo, s5
	v_mov_b32_e32 v5, 0
	ds_read_b64 v[5:6], v5 offset:296
	s_waitcnt lgkmcnt(0)
	v_mul_f32_e32 v7, v2, v6
	v_mul_f32_e32 v6, v8, v6
	v_fma_f32 v7, v8, v5, -v7
	v_fmac_f32_e32 v6, v2, v5
	buffer_store_dword v7, off, s[0:3], 0 offset:296
	buffer_store_dword v6, off, s[0:3], 0 offset:300
.LBB43_163:
	s_or_b32 exec_lo, exec_lo, s4
	s_waitcnt_vscnt null, 0x0
	s_barrier
	buffer_gl0_inv
	s_clause 0x1
	buffer_load_dword v5, off, s[0:3], 0 offset:304
	buffer_load_dword v6, off, s[0:3], 0 offset:308
	s_mov_b32 s4, exec_lo
	s_waitcnt vmcnt(0)
	ds_write_b64 v4, v[5:6]
	s_waitcnt lgkmcnt(0)
	s_barrier
	buffer_gl0_inv
	v_cmpx_gt_u32_e32 38, v0
	s_cbranch_execz .LBB43_167
; %bb.164:
	v_add_nc_u32_e32 v5, -1, v0
	v_add_nc_u32_e32 v6, 0x160, v3
	v_mov_b32_e32 v7, v3
	v_mov_b32_e32 v2, 0
	;; [unrolled: 1-line block ×3, first 2 shown]
	s_mov_b32 s5, 0
	.p2align	6
.LBB43_165:                             ; =>This Inner Loop Header: Depth=1
	s_clause 0x1
	buffer_load_dword v99, v7, s[0:3], 0 offen offset:4
	buffer_load_dword v100, v7, s[0:3], 0 offen
	ds_read_b64 v[97:98], v6
	v_add_nc_u32_e32 v5, 1, v5
	v_add_nc_u32_e32 v6, 8, v6
	v_add_nc_u32_e32 v7, 8, v7
	v_cmp_lt_u32_e32 vcc_lo, 36, v5
	s_or_b32 s5, vcc_lo, s5
	s_waitcnt vmcnt(1) lgkmcnt(0)
	v_mul_f32_e32 v101, v98, v99
	v_mul_f32_e32 v99, v97, v99
	s_waitcnt vmcnt(0)
	v_fma_f32 v97, v97, v100, -v101
	v_fmac_f32_e32 v99, v98, v100
	v_add_f32_e32 v8, v8, v97
	v_add_f32_e32 v2, v2, v99
	s_andn2_b32 exec_lo, exec_lo, s5
	s_cbranch_execnz .LBB43_165
; %bb.166:
	s_or_b32 exec_lo, exec_lo, s5
	v_mov_b32_e32 v5, 0
	ds_read_b64 v[5:6], v5 offset:304
	s_waitcnt lgkmcnt(0)
	v_mul_f32_e32 v7, v2, v6
	v_mul_f32_e32 v6, v8, v6
	v_fma_f32 v7, v8, v5, -v7
	v_fmac_f32_e32 v6, v2, v5
	buffer_store_dword v7, off, s[0:3], 0 offset:304
	buffer_store_dword v6, off, s[0:3], 0 offset:308
.LBB43_167:
	s_or_b32 exec_lo, exec_lo, s4
	s_waitcnt_vscnt null, 0x0
	s_barrier
	buffer_gl0_inv
	s_clause 0x1
	buffer_load_dword v5, off, s[0:3], 0 offset:312
	buffer_load_dword v6, off, s[0:3], 0 offset:316
	s_mov_b32 s4, exec_lo
	s_waitcnt vmcnt(0)
	ds_write_b64 v4, v[5:6]
	s_waitcnt lgkmcnt(0)
	s_barrier
	buffer_gl0_inv
	v_cmpx_gt_u32_e32 39, v0
	s_cbranch_execz .LBB43_171
; %bb.168:
	v_add_nc_u32_e32 v5, -1, v0
	v_add_nc_u32_e32 v6, 0x160, v3
	v_mov_b32_e32 v7, v3
	v_mov_b32_e32 v2, 0
	;; [unrolled: 1-line block ×3, first 2 shown]
	s_mov_b32 s5, 0
	.p2align	6
.LBB43_169:                             ; =>This Inner Loop Header: Depth=1
	s_clause 0x1
	buffer_load_dword v99, v7, s[0:3], 0 offen offset:4
	buffer_load_dword v100, v7, s[0:3], 0 offen
	ds_read_b64 v[97:98], v6
	v_add_nc_u32_e32 v5, 1, v5
	v_add_nc_u32_e32 v6, 8, v6
	;; [unrolled: 1-line block ×3, first 2 shown]
	v_cmp_lt_u32_e32 vcc_lo, 37, v5
	s_or_b32 s5, vcc_lo, s5
	s_waitcnt vmcnt(1) lgkmcnt(0)
	v_mul_f32_e32 v101, v98, v99
	v_mul_f32_e32 v99, v97, v99
	s_waitcnt vmcnt(0)
	v_fma_f32 v97, v97, v100, -v101
	v_fmac_f32_e32 v99, v98, v100
	v_add_f32_e32 v8, v8, v97
	v_add_f32_e32 v2, v2, v99
	s_andn2_b32 exec_lo, exec_lo, s5
	s_cbranch_execnz .LBB43_169
; %bb.170:
	s_or_b32 exec_lo, exec_lo, s5
	v_mov_b32_e32 v5, 0
	ds_read_b64 v[5:6], v5 offset:312
	s_waitcnt lgkmcnt(0)
	v_mul_f32_e32 v7, v2, v6
	v_mul_f32_e32 v6, v8, v6
	v_fma_f32 v7, v8, v5, -v7
	v_fmac_f32_e32 v6, v2, v5
	buffer_store_dword v7, off, s[0:3], 0 offset:312
	buffer_store_dword v6, off, s[0:3], 0 offset:316
.LBB43_171:
	s_or_b32 exec_lo, exec_lo, s4
	s_waitcnt_vscnt null, 0x0
	s_barrier
	buffer_gl0_inv
	s_clause 0x1
	buffer_load_dword v5, off, s[0:3], 0 offset:320
	buffer_load_dword v6, off, s[0:3], 0 offset:324
	s_mov_b32 s4, exec_lo
	s_waitcnt vmcnt(0)
	ds_write_b64 v4, v[5:6]
	s_waitcnt lgkmcnt(0)
	s_barrier
	buffer_gl0_inv
	v_cmpx_gt_u32_e32 40, v0
	s_cbranch_execz .LBB43_175
; %bb.172:
	v_add_nc_u32_e32 v5, -1, v0
	v_add_nc_u32_e32 v6, 0x160, v3
	v_mov_b32_e32 v7, v3
	v_mov_b32_e32 v2, 0
	;; [unrolled: 1-line block ×3, first 2 shown]
	s_mov_b32 s5, 0
	.p2align	6
.LBB43_173:                             ; =>This Inner Loop Header: Depth=1
	s_clause 0x1
	buffer_load_dword v99, v7, s[0:3], 0 offen offset:4
	buffer_load_dword v100, v7, s[0:3], 0 offen
	ds_read_b64 v[97:98], v6
	v_add_nc_u32_e32 v5, 1, v5
	v_add_nc_u32_e32 v6, 8, v6
	;; [unrolled: 1-line block ×3, first 2 shown]
	v_cmp_lt_u32_e32 vcc_lo, 38, v5
	s_or_b32 s5, vcc_lo, s5
	s_waitcnt vmcnt(1) lgkmcnt(0)
	v_mul_f32_e32 v101, v98, v99
	v_mul_f32_e32 v99, v97, v99
	s_waitcnt vmcnt(0)
	v_fma_f32 v97, v97, v100, -v101
	v_fmac_f32_e32 v99, v98, v100
	v_add_f32_e32 v8, v8, v97
	v_add_f32_e32 v2, v2, v99
	s_andn2_b32 exec_lo, exec_lo, s5
	s_cbranch_execnz .LBB43_173
; %bb.174:
	s_or_b32 exec_lo, exec_lo, s5
	v_mov_b32_e32 v5, 0
	ds_read_b64 v[5:6], v5 offset:320
	s_waitcnt lgkmcnt(0)
	v_mul_f32_e32 v7, v2, v6
	v_mul_f32_e32 v6, v8, v6
	v_fma_f32 v7, v8, v5, -v7
	v_fmac_f32_e32 v6, v2, v5
	buffer_store_dword v7, off, s[0:3], 0 offset:320
	buffer_store_dword v6, off, s[0:3], 0 offset:324
.LBB43_175:
	s_or_b32 exec_lo, exec_lo, s4
	s_waitcnt_vscnt null, 0x0
	s_barrier
	buffer_gl0_inv
	s_clause 0x1
	buffer_load_dword v5, off, s[0:3], 0 offset:328
	buffer_load_dword v6, off, s[0:3], 0 offset:332
	s_mov_b32 s4, exec_lo
	s_waitcnt vmcnt(0)
	ds_write_b64 v4, v[5:6]
	s_waitcnt lgkmcnt(0)
	s_barrier
	buffer_gl0_inv
	v_cmpx_gt_u32_e32 41, v0
	s_cbranch_execz .LBB43_179
; %bb.176:
	v_add_nc_u32_e32 v5, -1, v0
	v_add_nc_u32_e32 v6, 0x160, v3
	v_mov_b32_e32 v7, v3
	v_mov_b32_e32 v2, 0
	v_mov_b32_e32 v8, 0
	s_mov_b32 s5, 0
	.p2align	6
.LBB43_177:                             ; =>This Inner Loop Header: Depth=1
	s_clause 0x1
	buffer_load_dword v99, v7, s[0:3], 0 offen offset:4
	buffer_load_dword v100, v7, s[0:3], 0 offen
	ds_read_b64 v[97:98], v6
	v_add_nc_u32_e32 v5, 1, v5
	v_add_nc_u32_e32 v6, 8, v6
	;; [unrolled: 1-line block ×3, first 2 shown]
	v_cmp_lt_u32_e32 vcc_lo, 39, v5
	s_or_b32 s5, vcc_lo, s5
	s_waitcnt vmcnt(1) lgkmcnt(0)
	v_mul_f32_e32 v101, v98, v99
	v_mul_f32_e32 v99, v97, v99
	s_waitcnt vmcnt(0)
	v_fma_f32 v97, v97, v100, -v101
	v_fmac_f32_e32 v99, v98, v100
	v_add_f32_e32 v8, v8, v97
	v_add_f32_e32 v2, v2, v99
	s_andn2_b32 exec_lo, exec_lo, s5
	s_cbranch_execnz .LBB43_177
; %bb.178:
	s_or_b32 exec_lo, exec_lo, s5
	v_mov_b32_e32 v5, 0
	ds_read_b64 v[5:6], v5 offset:328
	s_waitcnt lgkmcnt(0)
	v_mul_f32_e32 v7, v2, v6
	v_mul_f32_e32 v6, v8, v6
	v_fma_f32 v7, v8, v5, -v7
	v_fmac_f32_e32 v6, v2, v5
	buffer_store_dword v7, off, s[0:3], 0 offset:328
	buffer_store_dword v6, off, s[0:3], 0 offset:332
.LBB43_179:
	s_or_b32 exec_lo, exec_lo, s4
	s_waitcnt_vscnt null, 0x0
	s_barrier
	buffer_gl0_inv
	s_clause 0x1
	buffer_load_dword v5, off, s[0:3], 0 offset:336
	buffer_load_dword v6, off, s[0:3], 0 offset:340
	s_mov_b32 s4, exec_lo
	s_waitcnt vmcnt(0)
	ds_write_b64 v4, v[5:6]
	s_waitcnt lgkmcnt(0)
	s_barrier
	buffer_gl0_inv
	v_cmpx_gt_u32_e32 42, v0
	s_cbranch_execz .LBB43_183
; %bb.180:
	v_add_nc_u32_e32 v5, -1, v0
	v_add_nc_u32_e32 v6, 0x160, v3
	v_mov_b32_e32 v7, v3
	v_mov_b32_e32 v2, 0
	;; [unrolled: 1-line block ×3, first 2 shown]
	s_mov_b32 s5, 0
	.p2align	6
.LBB43_181:                             ; =>This Inner Loop Header: Depth=1
	s_clause 0x1
	buffer_load_dword v99, v7, s[0:3], 0 offen offset:4
	buffer_load_dword v100, v7, s[0:3], 0 offen
	ds_read_b64 v[97:98], v6
	v_add_nc_u32_e32 v5, 1, v5
	v_add_nc_u32_e32 v6, 8, v6
	;; [unrolled: 1-line block ×3, first 2 shown]
	v_cmp_lt_u32_e32 vcc_lo, 40, v5
	s_or_b32 s5, vcc_lo, s5
	s_waitcnt vmcnt(1) lgkmcnt(0)
	v_mul_f32_e32 v101, v98, v99
	v_mul_f32_e32 v99, v97, v99
	s_waitcnt vmcnt(0)
	v_fma_f32 v97, v97, v100, -v101
	v_fmac_f32_e32 v99, v98, v100
	v_add_f32_e32 v8, v8, v97
	v_add_f32_e32 v2, v2, v99
	s_andn2_b32 exec_lo, exec_lo, s5
	s_cbranch_execnz .LBB43_181
; %bb.182:
	s_or_b32 exec_lo, exec_lo, s5
	v_mov_b32_e32 v5, 0
	ds_read_b64 v[5:6], v5 offset:336
	s_waitcnt lgkmcnt(0)
	v_mul_f32_e32 v7, v2, v6
	v_mul_f32_e32 v6, v8, v6
	v_fma_f32 v7, v8, v5, -v7
	v_fmac_f32_e32 v6, v2, v5
	buffer_store_dword v7, off, s[0:3], 0 offset:336
	buffer_store_dword v6, off, s[0:3], 0 offset:340
.LBB43_183:
	s_or_b32 exec_lo, exec_lo, s4
	s_waitcnt_vscnt null, 0x0
	s_barrier
	buffer_gl0_inv
	s_clause 0x1
	buffer_load_dword v5, off, s[0:3], 0 offset:344
	buffer_load_dword v6, off, s[0:3], 0 offset:348
	s_mov_b32 s4, exec_lo
	s_waitcnt vmcnt(0)
	ds_write_b64 v4, v[5:6]
	s_waitcnt lgkmcnt(0)
	s_barrier
	buffer_gl0_inv
	v_cmpx_ne_u32_e32 43, v0
	s_cbranch_execz .LBB43_187
; %bb.184:
	v_mov_b32_e32 v2, 0
	v_mov_b32_e32 v5, 0
	s_mov_b32 s5, 0
	.p2align	6
.LBB43_185:                             ; =>This Inner Loop Header: Depth=1
	s_clause 0x1
	buffer_load_dword v8, v3, s[0:3], 0 offen offset:4
	buffer_load_dword v97, v3, s[0:3], 0 offen
	ds_read_b64 v[6:7], v4
	v_add_nc_u32_e32 v1, 1, v1
	v_add_nc_u32_e32 v4, 8, v4
	;; [unrolled: 1-line block ×3, first 2 shown]
	v_cmp_lt_u32_e32 vcc_lo, 41, v1
	s_or_b32 s5, vcc_lo, s5
	s_waitcnt vmcnt(1) lgkmcnt(0)
	v_mul_f32_e32 v98, v7, v8
	v_mul_f32_e32 v8, v6, v8
	s_waitcnt vmcnt(0)
	v_fma_f32 v6, v6, v97, -v98
	v_fmac_f32_e32 v8, v7, v97
	v_add_f32_e32 v5, v5, v6
	v_add_f32_e32 v2, v2, v8
	s_andn2_b32 exec_lo, exec_lo, s5
	s_cbranch_execnz .LBB43_185
; %bb.186:
	s_or_b32 exec_lo, exec_lo, s5
	v_mov_b32_e32 v1, 0
	ds_read_b64 v[3:4], v1 offset:344
	s_waitcnt lgkmcnt(0)
	v_mul_f32_e32 v1, v2, v4
	v_mul_f32_e32 v4, v5, v4
	v_fma_f32 v1, v5, v3, -v1
	v_fmac_f32_e32 v4, v2, v3
	buffer_store_dword v1, off, s[0:3], 0 offset:344
	buffer_store_dword v4, off, s[0:3], 0 offset:348
.LBB43_187:
	s_or_b32 exec_lo, exec_lo, s4
	s_mov_b32 s5, -1
	s_waitcnt_vscnt null, 0x0
	s_barrier
	buffer_gl0_inv
.LBB43_188:
	s_and_b32 vcc_lo, exec_lo, s5
	s_cbranch_vccz .LBB43_190
; %bb.189:
	s_lshl_b64 s[4:5], s[6:7], 2
	v_mov_b32_e32 v1, 0
	s_add_u32 s4, s10, s4
	s_addc_u32 s5, s11, s5
	global_load_dword v1, v1, s[4:5]
	s_waitcnt vmcnt(0)
	v_cmp_ne_u32_e32 vcc_lo, 0, v1
	s_cbranch_vccz .LBB43_191
.LBB43_190:
	s_endpgm
.LBB43_191:
	v_lshl_add_u32 v97, v0, 3, 0x160
	s_mov_b32 s4, exec_lo
	v_cmpx_eq_u32_e32 43, v0
	s_cbranch_execz .LBB43_193
; %bb.192:
	s_clause 0x1
	buffer_load_dword v1, off, s[0:3], 0 offset:336
	buffer_load_dword v2, off, s[0:3], 0 offset:340
	v_mov_b32_e32 v3, 0
	buffer_store_dword v3, off, s[0:3], 0 offset:336
	buffer_store_dword v3, off, s[0:3], 0 offset:340
	s_waitcnt vmcnt(0)
	ds_write_b64 v97, v[1:2]
.LBB43_193:
	s_or_b32 exec_lo, exec_lo, s4
	s_waitcnt lgkmcnt(0)
	s_waitcnt_vscnt null, 0x0
	s_barrier
	buffer_gl0_inv
	s_clause 0x3
	buffer_load_dword v4, off, s[0:3], 0 offset:348
	buffer_load_dword v5, off, s[0:3], 0 offset:344
	;; [unrolled: 1-line block ×4, first 2 shown]
	v_mov_b32_e32 v1, 0
	s_mov_b32 s4, exec_lo
	ds_read_b64 v[2:3], v1 offset:696
	s_waitcnt vmcnt(3) lgkmcnt(0)
	v_mul_f32_e32 v8, v3, v4
	v_mul_f32_e32 v4, v2, v4
	s_waitcnt vmcnt(2)
	v_fma_f32 v2, v2, v5, -v8
	v_fmac_f32_e32 v4, v3, v5
	v_add_f32_e32 v2, 0, v2
	v_add_f32_e32 v3, 0, v4
	s_waitcnt vmcnt(1)
	v_sub_f32_e32 v2, v6, v2
	s_waitcnt vmcnt(0)
	v_sub_f32_e32 v3, v7, v3
	buffer_store_dword v2, off, s[0:3], 0 offset:336
	buffer_store_dword v3, off, s[0:3], 0 offset:340
	v_cmpx_lt_u32_e32 41, v0
	s_cbranch_execz .LBB43_195
; %bb.194:
	s_clause 0x1
	buffer_load_dword v2, off, s[0:3], 0 offset:328
	buffer_load_dword v3, off, s[0:3], 0 offset:332
	buffer_store_dword v1, off, s[0:3], 0 offset:328
	buffer_store_dword v1, off, s[0:3], 0 offset:332
	s_waitcnt vmcnt(0)
	ds_write_b64 v97, v[2:3]
.LBB43_195:
	s_or_b32 exec_lo, exec_lo, s4
	s_waitcnt lgkmcnt(0)
	s_waitcnt_vscnt null, 0x0
	s_barrier
	buffer_gl0_inv
	s_clause 0x5
	buffer_load_dword v5, off, s[0:3], 0 offset:340
	buffer_load_dword v6, off, s[0:3], 0 offset:348
	;; [unrolled: 1-line block ×6, first 2 shown]
	ds_read_b128 v[1:4], v1 offset:688
	s_mov_b32 s4, exec_lo
	s_waitcnt vmcnt(5) lgkmcnt(0)
	v_mul_f32_e32 v100, v2, v5
	v_mul_f32_e32 v5, v1, v5
	s_waitcnt vmcnt(4)
	v_mul_f32_e32 v101, v3, v6
	v_mul_f32_e32 v6, v4, v6
	s_waitcnt vmcnt(3)
	v_fma_f32 v1, v1, v7, -v100
	v_fmac_f32_e32 v5, v2, v7
	s_waitcnt vmcnt(2)
	v_fmac_f32_e32 v101, v4, v8
	v_fma_f32 v2, v3, v8, -v6
	v_add_f32_e32 v1, 0, v1
	v_add_f32_e32 v3, 0, v5
	;; [unrolled: 1-line block ×4, first 2 shown]
	s_waitcnt vmcnt(1)
	v_sub_f32_e32 v1, v98, v1
	s_waitcnt vmcnt(0)
	v_sub_f32_e32 v2, v99, v2
	buffer_store_dword v1, off, s[0:3], 0 offset:328
	buffer_store_dword v2, off, s[0:3], 0 offset:332
	v_cmpx_lt_u32_e32 40, v0
	s_cbranch_execz .LBB43_197
; %bb.196:
	s_clause 0x1
	buffer_load_dword v1, off, s[0:3], 0 offset:320
	buffer_load_dword v2, off, s[0:3], 0 offset:324
	v_mov_b32_e32 v3, 0
	buffer_store_dword v3, off, s[0:3], 0 offset:320
	buffer_store_dword v3, off, s[0:3], 0 offset:324
	s_waitcnt vmcnt(0)
	ds_write_b64 v97, v[1:2]
.LBB43_197:
	s_or_b32 exec_lo, exec_lo, s4
	s_waitcnt lgkmcnt(0)
	s_waitcnt_vscnt null, 0x0
	s_barrier
	buffer_gl0_inv
	s_clause 0x7
	buffer_load_dword v8, off, s[0:3], 0 offset:332
	buffer_load_dword v98, off, s[0:3], 0 offset:340
	;; [unrolled: 1-line block ×8, first 2 shown]
	v_mov_b32_e32 v1, 0
	ds_read2_b64 v[2:5], v1 offset0:85 offset1:86
	ds_read_b64 v[6:7], v1 offset:696
	s_mov_b32 s4, exec_lo
	s_waitcnt vmcnt(7) lgkmcnt(1)
	v_mul_f32_e32 v105, v3, v8
	v_mul_f32_e32 v8, v2, v8
	s_waitcnt vmcnt(6)
	v_mul_f32_e32 v106, v4, v98
	v_mul_f32_e32 v98, v5, v98
	s_waitcnt vmcnt(5) lgkmcnt(0)
	v_mul_f32_e32 v107, v6, v99
	s_waitcnt vmcnt(4)
	v_fma_f32 v2, v2, v100, -v105
	v_fmac_f32_e32 v8, v3, v100
	v_mul_f32_e32 v3, v7, v99
	s_waitcnt vmcnt(3)
	v_fma_f32 v4, v4, v101, -v98
	v_fmac_f32_e32 v106, v5, v101
	v_add_f32_e32 v2, 0, v2
	v_add_f32_e32 v5, 0, v8
	s_waitcnt vmcnt(2)
	v_fma_f32 v3, v6, v102, -v3
	v_fmac_f32_e32 v107, v7, v102
	v_add_f32_e32 v2, v2, v4
	v_add_f32_e32 v4, v5, v106
	;; [unrolled: 1-line block ×4, first 2 shown]
	s_waitcnt vmcnt(1)
	v_sub_f32_e32 v2, v103, v2
	s_waitcnt vmcnt(0)
	v_sub_f32_e32 v3, v104, v3
	buffer_store_dword v2, off, s[0:3], 0 offset:320
	buffer_store_dword v3, off, s[0:3], 0 offset:324
	v_cmpx_lt_u32_e32 39, v0
	s_cbranch_execz .LBB43_199
; %bb.198:
	s_clause 0x1
	buffer_load_dword v2, off, s[0:3], 0 offset:312
	buffer_load_dword v3, off, s[0:3], 0 offset:316
	buffer_store_dword v1, off, s[0:3], 0 offset:312
	buffer_store_dword v1, off, s[0:3], 0 offset:316
	s_waitcnt vmcnt(0)
	ds_write_b64 v97, v[2:3]
.LBB43_199:
	s_or_b32 exec_lo, exec_lo, s4
	s_waitcnt lgkmcnt(0)
	s_waitcnt_vscnt null, 0x0
	s_barrier
	buffer_gl0_inv
	s_clause 0x9
	buffer_load_dword v6, off, s[0:3], 0 offset:324
	buffer_load_dword v7, off, s[0:3], 0 offset:332
	;; [unrolled: 1-line block ×10, first 2 shown]
	ds_read_b128 v[2:5], v1 offset:672
	ds_read_b128 v[98:101], v1 offset:688
	s_mov_b32 s4, exec_lo
	s_waitcnt vmcnt(9) lgkmcnt(1)
	v_mul_f32_e32 v1, v2, v6
	v_mul_f32_e32 v6, v3, v6
	s_waitcnt vmcnt(8)
	v_mul_f32_e32 v109, v4, v7
	v_mul_f32_e32 v7, v5, v7
	s_waitcnt vmcnt(7) lgkmcnt(0)
	v_mul_f32_e32 v110, v98, v8
	s_waitcnt vmcnt(5)
	v_fmac_f32_e32 v1, v3, v103
	v_fma_f32 v2, v2, v103, -v6
	v_mul_f32_e32 v3, v99, v8
	s_waitcnt vmcnt(4)
	v_fma_f32 v4, v4, v104, -v7
	v_fmac_f32_e32 v109, v5, v104
	v_add_f32_e32 v1, 0, v1
	v_add_f32_e32 v2, 0, v2
	v_mul_f32_e32 v5, v101, v102
	s_waitcnt vmcnt(3)
	v_fma_f32 v3, v98, v105, -v3
	v_mul_f32_e32 v111, v100, v102
	v_fmac_f32_e32 v110, v99, v105
	v_add_f32_e32 v2, v2, v4
	v_add_f32_e32 v1, v1, v109
	s_waitcnt vmcnt(2)
	v_fma_f32 v4, v100, v106, -v5
	v_fmac_f32_e32 v111, v101, v106
	v_add_f32_e32 v2, v2, v3
	v_add_f32_e32 v1, v1, v110
	;; [unrolled: 1-line block ×4, first 2 shown]
	s_waitcnt vmcnt(1)
	v_sub_f32_e32 v2, v107, v2
	s_waitcnt vmcnt(0)
	v_sub_f32_e32 v1, v108, v1
	buffer_store_dword v2, off, s[0:3], 0 offset:312
	buffer_store_dword v1, off, s[0:3], 0 offset:316
	v_cmpx_lt_u32_e32 38, v0
	s_cbranch_execz .LBB43_201
; %bb.200:
	s_clause 0x1
	buffer_load_dword v1, off, s[0:3], 0 offset:304
	buffer_load_dword v2, off, s[0:3], 0 offset:308
	v_mov_b32_e32 v3, 0
	buffer_store_dword v3, off, s[0:3], 0 offset:304
	buffer_store_dword v3, off, s[0:3], 0 offset:308
	s_waitcnt vmcnt(0)
	ds_write_b64 v97, v[1:2]
.LBB43_201:
	s_or_b32 exec_lo, exec_lo, s4
	s_waitcnt lgkmcnt(0)
	s_waitcnt_vscnt null, 0x0
	s_barrier
	buffer_gl0_inv
	s_clause 0xb
	buffer_load_dword v8, off, s[0:3], 0 offset:316
	buffer_load_dword v102, off, s[0:3], 0 offset:324
	;; [unrolled: 1-line block ×12, first 2 shown]
	v_mov_b32_e32 v1, 0
	ds_read2_b64 v[2:5], v1 offset0:83 offset1:84
	ds_read2_b64 v[98:101], v1 offset0:85 offset1:86
	ds_read_b64 v[6:7], v1 offset:696
	s_mov_b32 s4, exec_lo
	s_waitcnt vmcnt(11) lgkmcnt(2)
	v_mul_f32_e32 v113, v2, v8
	v_mul_f32_e32 v8, v3, v8
	s_waitcnt vmcnt(10)
	v_mul_f32_e32 v114, v4, v102
	v_mul_f32_e32 v102, v5, v102
	s_waitcnt vmcnt(9) lgkmcnt(1)
	v_mul_f32_e32 v115, v98, v103
	s_waitcnt vmcnt(6)
	v_fmac_f32_e32 v113, v3, v106
	v_fma_f32 v2, v2, v106, -v8
	v_mul_f32_e32 v3, v99, v103
	s_waitcnt vmcnt(5)
	v_fma_f32 v4, v4, v107, -v102
	v_fmac_f32_e32 v114, v5, v107
	v_add_f32_e32 v5, 0, v113
	v_add_f32_e32 v2, 0, v2
	v_mul_f32_e32 v8, v101, v104
	s_waitcnt vmcnt(4)
	v_fma_f32 v3, v98, v108, -v3
	v_mul_f32_e32 v116, v100, v104
	v_fmac_f32_e32 v115, v99, v108
	v_add_f32_e32 v2, v2, v4
	v_add_f32_e32 v4, v5, v114
	s_waitcnt lgkmcnt(0)
	v_mul_f32_e32 v5, v7, v105
	s_waitcnt vmcnt(3)
	v_fma_f32 v8, v100, v109, -v8
	v_mul_f32_e32 v117, v6, v105
	v_add_f32_e32 v2, v2, v3
	v_fmac_f32_e32 v116, v101, v109
	v_add_f32_e32 v3, v4, v115
	s_waitcnt vmcnt(2)
	v_fma_f32 v4, v6, v110, -v5
	v_fmac_f32_e32 v117, v7, v110
	v_add_f32_e32 v2, v2, v8
	v_add_f32_e32 v3, v3, v116
	;; [unrolled: 1-line block ×4, first 2 shown]
	s_waitcnt vmcnt(1)
	v_sub_f32_e32 v2, v111, v2
	s_waitcnt vmcnt(0)
	v_sub_f32_e32 v3, v112, v3
	buffer_store_dword v2, off, s[0:3], 0 offset:304
	buffer_store_dword v3, off, s[0:3], 0 offset:308
	v_cmpx_lt_u32_e32 37, v0
	s_cbranch_execz .LBB43_203
; %bb.202:
	s_clause 0x1
	buffer_load_dword v2, off, s[0:3], 0 offset:296
	buffer_load_dword v3, off, s[0:3], 0 offset:300
	buffer_store_dword v1, off, s[0:3], 0 offset:296
	buffer_store_dword v1, off, s[0:3], 0 offset:300
	s_waitcnt vmcnt(0)
	ds_write_b64 v97, v[2:3]
.LBB43_203:
	s_or_b32 exec_lo, exec_lo, s4
	s_waitcnt lgkmcnt(0)
	s_waitcnt_vscnt null, 0x0
	s_barrier
	buffer_gl0_inv
	s_clause 0xd
	buffer_load_dword v6, off, s[0:3], 0 offset:308
	buffer_load_dword v7, off, s[0:3], 0 offset:316
	buffer_load_dword v8, off, s[0:3], 0 offset:324
	buffer_load_dword v106, off, s[0:3], 0 offset:332
	buffer_load_dword v107, off, s[0:3], 0 offset:340
	buffer_load_dword v108, off, s[0:3], 0 offset:348
	buffer_load_dword v109, off, s[0:3], 0 offset:304
	buffer_load_dword v110, off, s[0:3], 0 offset:312
	buffer_load_dword v111, off, s[0:3], 0 offset:320
	buffer_load_dword v112, off, s[0:3], 0 offset:328
	buffer_load_dword v113, off, s[0:3], 0 offset:336
	buffer_load_dword v114, off, s[0:3], 0 offset:344
	buffer_load_dword v115, off, s[0:3], 0 offset:296
	buffer_load_dword v116, off, s[0:3], 0 offset:300
	ds_read_b128 v[2:5], v1 offset:656
	ds_read_b128 v[98:101], v1 offset:672
	;; [unrolled: 1-line block ×3, first 2 shown]
	s_mov_b32 s4, exec_lo
	s_waitcnt vmcnt(13) lgkmcnt(2)
	v_mul_f32_e32 v1, v2, v6
	v_mul_f32_e32 v6, v3, v6
	s_waitcnt vmcnt(12)
	v_mul_f32_e32 v117, v4, v7
	v_mul_f32_e32 v7, v5, v7
	s_waitcnt vmcnt(11) lgkmcnt(1)
	v_mul_f32_e32 v118, v98, v8
	s_waitcnt vmcnt(10)
	v_mul_f32_e32 v119, v100, v106
	s_waitcnt vmcnt(7)
	v_fma_f32 v2, v2, v109, -v6
	v_fmac_f32_e32 v1, v3, v109
	v_mul_f32_e32 v3, v99, v8
	s_waitcnt vmcnt(6)
	v_fma_f32 v4, v4, v110, -v7
	v_fmac_f32_e32 v117, v5, v110
	v_add_f32_e32 v2, 0, v2
	v_add_f32_e32 v1, 0, v1
	v_mul_f32_e32 v5, v101, v106
	s_waitcnt vmcnt(5)
	v_fma_f32 v3, v98, v111, -v3
	v_fmac_f32_e32 v118, v99, v111
	v_add_f32_e32 v2, v2, v4
	v_add_f32_e32 v1, v1, v117
	s_waitcnt lgkmcnt(0)
	v_mul_f32_e32 v4, v103, v107
	s_waitcnt vmcnt(4)
	v_fma_f32 v5, v100, v112, -v5
	v_mul_f32_e32 v120, v102, v107
	v_add_f32_e32 v2, v2, v3
	v_fmac_f32_e32 v119, v101, v112
	v_add_f32_e32 v1, v1, v118
	v_mul_f32_e32 v3, v105, v108
	s_waitcnt vmcnt(3)
	v_fma_f32 v4, v102, v113, -v4
	v_add_f32_e32 v2, v2, v5
	v_mul_f32_e32 v121, v104, v108
	v_fmac_f32_e32 v120, v103, v113
	v_add_f32_e32 v1, v1, v119
	s_waitcnt vmcnt(2)
	v_fma_f32 v3, v104, v114, -v3
	v_add_f32_e32 v2, v2, v4
	v_fmac_f32_e32 v121, v105, v114
	v_add_f32_e32 v1, v1, v120
	v_add_f32_e32 v2, v2, v3
	;; [unrolled: 1-line block ×3, first 2 shown]
	s_waitcnt vmcnt(1)
	v_sub_f32_e32 v2, v115, v2
	s_waitcnt vmcnt(0)
	v_sub_f32_e32 v1, v116, v1
	buffer_store_dword v2, off, s[0:3], 0 offset:296
	buffer_store_dword v1, off, s[0:3], 0 offset:300
	v_cmpx_lt_u32_e32 36, v0
	s_cbranch_execz .LBB43_205
; %bb.204:
	s_clause 0x1
	buffer_load_dword v1, off, s[0:3], 0 offset:288
	buffer_load_dword v2, off, s[0:3], 0 offset:292
	v_mov_b32_e32 v3, 0
	buffer_store_dword v3, off, s[0:3], 0 offset:288
	buffer_store_dword v3, off, s[0:3], 0 offset:292
	s_waitcnt vmcnt(0)
	ds_write_b64 v97, v[1:2]
.LBB43_205:
	s_or_b32 exec_lo, exec_lo, s4
	s_waitcnt lgkmcnt(0)
	s_waitcnt_vscnt null, 0x0
	s_barrier
	buffer_gl0_inv
	s_clause 0xf
	buffer_load_dword v8, off, s[0:3], 0 offset:300
	buffer_load_dword v106, off, s[0:3], 0 offset:308
	;; [unrolled: 1-line block ×16, first 2 shown]
	v_mov_b32_e32 v1, 0
	ds_read2_b64 v[2:5], v1 offset0:81 offset1:82
	ds_read2_b64 v[98:101], v1 offset0:83 offset1:84
	;; [unrolled: 1-line block ×3, first 2 shown]
	ds_read_b64 v[6:7], v1 offset:696
	s_mov_b32 s4, exec_lo
	s_waitcnt vmcnt(15) lgkmcnt(3)
	v_mul_f32_e32 v121, v2, v8
	v_mul_f32_e32 v8, v3, v8
	s_waitcnt vmcnt(14)
	v_mul_f32_e32 v122, v4, v106
	v_mul_f32_e32 v106, v5, v106
	s_waitcnt vmcnt(13) lgkmcnt(2)
	v_mul_f32_e32 v123, v98, v107
	s_waitcnt vmcnt(12)
	v_mul_f32_e32 v124, v100, v108
	s_waitcnt vmcnt(11) lgkmcnt(1)
	v_mul_f32_e32 v125, v102, v109
	s_waitcnt vmcnt(8)
	v_fma_f32 v2, v2, v112, -v8
	v_fmac_f32_e32 v121, v3, v112
	v_mul_f32_e32 v3, v99, v107
	s_waitcnt vmcnt(7)
	v_fma_f32 v4, v4, v113, -v106
	v_fmac_f32_e32 v122, v5, v113
	v_add_f32_e32 v2, 0, v2
	v_add_f32_e32 v5, 0, v121
	v_mul_f32_e32 v8, v101, v108
	s_waitcnt vmcnt(6)
	v_fma_f32 v3, v98, v114, -v3
	v_fmac_f32_e32 v123, v99, v114
	v_add_f32_e32 v2, v2, v4
	v_add_f32_e32 v4, v5, v122
	;; [unrolled: 6-line block ×3, first 2 shown]
	v_mul_f32_e32 v4, v105, v110
	s_waitcnt vmcnt(4)
	v_fma_f32 v5, v102, v116, -v5
	v_mul_f32_e32 v126, v104, v110
	v_add_f32_e32 v2, v2, v8
	v_fmac_f32_e32 v125, v103, v116
	v_add_f32_e32 v3, v3, v124
	s_waitcnt lgkmcnt(0)
	v_mul_f32_e32 v8, v7, v111
	s_waitcnt vmcnt(3)
	v_fma_f32 v4, v104, v117, -v4
	v_add_f32_e32 v2, v2, v5
	v_mul_f32_e32 v127, v6, v111
	v_fmac_f32_e32 v126, v105, v117
	v_add_f32_e32 v3, v3, v125
	s_waitcnt vmcnt(2)
	v_fma_f32 v5, v6, v118, -v8
	v_add_f32_e32 v2, v2, v4
	v_fmac_f32_e32 v127, v7, v118
	v_add_f32_e32 v3, v3, v126
	v_add_f32_e32 v2, v2, v5
	;; [unrolled: 1-line block ×3, first 2 shown]
	s_waitcnt vmcnt(1)
	v_sub_f32_e32 v2, v119, v2
	s_waitcnt vmcnt(0)
	v_sub_f32_e32 v3, v120, v3
	buffer_store_dword v2, off, s[0:3], 0 offset:288
	buffer_store_dword v3, off, s[0:3], 0 offset:292
	v_cmpx_lt_u32_e32 35, v0
	s_cbranch_execz .LBB43_207
; %bb.206:
	s_clause 0x1
	buffer_load_dword v2, off, s[0:3], 0 offset:280
	buffer_load_dword v3, off, s[0:3], 0 offset:284
	buffer_store_dword v1, off, s[0:3], 0 offset:280
	buffer_store_dword v1, off, s[0:3], 0 offset:284
	s_waitcnt vmcnt(0)
	ds_write_b64 v97, v[2:3]
.LBB43_207:
	s_or_b32 exec_lo, exec_lo, s4
	s_waitcnt lgkmcnt(0)
	s_waitcnt_vscnt null, 0x0
	s_barrier
	buffer_gl0_inv
	s_clause 0x11
	buffer_load_dword v6, off, s[0:3], 0 offset:292
	buffer_load_dword v7, off, s[0:3], 0 offset:300
	;; [unrolled: 1-line block ×18, first 2 shown]
	ds_read_b128 v[2:5], v1 offset:640
	ds_read_b128 v[98:101], v1 offset:656
	;; [unrolled: 1-line block ×4, first 2 shown]
	s_mov_b32 s4, exec_lo
	s_waitcnt vmcnt(17) lgkmcnt(3)
	v_mul_f32_e32 v1, v2, v6
	v_mul_f32_e32 v6, v3, v6
	s_waitcnt vmcnt(16)
	v_mul_f32_e32 v125, v4, v7
	v_mul_f32_e32 v7, v5, v7
	s_waitcnt vmcnt(15) lgkmcnt(2)
	v_mul_f32_e32 v126, v98, v8
	s_waitcnt vmcnt(14)
	v_mul_f32_e32 v127, v100, v110
	s_waitcnt vmcnt(13) lgkmcnt(1)
	v_mul_f32_e32 v128, v102, v111
	s_waitcnt vmcnt(12)
	v_mul_f32_e32 v129, v104, v112
	s_waitcnt vmcnt(9)
	v_fma_f32 v2, v2, v115, -v6
	v_fmac_f32_e32 v1, v3, v115
	v_mul_f32_e32 v3, v99, v8
	s_waitcnt vmcnt(8)
	v_fma_f32 v4, v4, v116, -v7
	v_fmac_f32_e32 v125, v5, v116
	v_add_f32_e32 v2, 0, v2
	v_add_f32_e32 v1, 0, v1
	v_mul_f32_e32 v5, v101, v110
	s_waitcnt vmcnt(7)
	v_fma_f32 v3, v98, v117, -v3
	v_fmac_f32_e32 v126, v99, v117
	v_add_f32_e32 v2, v2, v4
	v_add_f32_e32 v1, v1, v125
	;; [unrolled: 6-line block ×4, first 2 shown]
	s_waitcnt lgkmcnt(0)
	v_mul_f32_e32 v5, v107, v113
	s_waitcnt vmcnt(4)
	v_fma_f32 v3, v104, v120, -v3
	v_mul_f32_e32 v130, v106, v113
	v_add_f32_e32 v2, v2, v4
	v_fmac_f32_e32 v129, v105, v120
	v_add_f32_e32 v1, v1, v128
	v_mul_f32_e32 v4, v109, v114
	s_waitcnt vmcnt(3)
	v_fma_f32 v5, v106, v121, -v5
	v_add_f32_e32 v2, v2, v3
	v_mul_f32_e32 v131, v108, v114
	v_fmac_f32_e32 v130, v107, v121
	v_add_f32_e32 v1, v1, v129
	s_waitcnt vmcnt(2)
	v_fma_f32 v3, v108, v122, -v4
	v_add_f32_e32 v2, v2, v5
	v_fmac_f32_e32 v131, v109, v122
	v_add_f32_e32 v1, v1, v130
	v_add_f32_e32 v2, v2, v3
	;; [unrolled: 1-line block ×3, first 2 shown]
	s_waitcnt vmcnt(1)
	v_sub_f32_e32 v2, v123, v2
	s_waitcnt vmcnt(0)
	v_sub_f32_e32 v1, v124, v1
	buffer_store_dword v2, off, s[0:3], 0 offset:280
	buffer_store_dword v1, off, s[0:3], 0 offset:284
	v_cmpx_lt_u32_e32 34, v0
	s_cbranch_execz .LBB43_209
; %bb.208:
	s_clause 0x1
	buffer_load_dword v1, off, s[0:3], 0 offset:272
	buffer_load_dword v2, off, s[0:3], 0 offset:276
	v_mov_b32_e32 v3, 0
	buffer_store_dword v3, off, s[0:3], 0 offset:272
	buffer_store_dword v3, off, s[0:3], 0 offset:276
	s_waitcnt vmcnt(0)
	ds_write_b64 v97, v[1:2]
.LBB43_209:
	s_or_b32 exec_lo, exec_lo, s4
	s_waitcnt lgkmcnt(0)
	s_waitcnt_vscnt null, 0x0
	s_barrier
	buffer_gl0_inv
	s_clause 0x13
	buffer_load_dword v8, off, s[0:3], 0 offset:284
	buffer_load_dword v110, off, s[0:3], 0 offset:292
	;; [unrolled: 1-line block ×20, first 2 shown]
	v_mov_b32_e32 v1, 0
	ds_read2_b64 v[2:5], v1 offset0:79 offset1:80
	ds_read2_b64 v[98:101], v1 offset0:81 offset1:82
	;; [unrolled: 1-line block ×4, first 2 shown]
	ds_read_b64 v[6:7], v1 offset:696
	s_mov_b32 s4, exec_lo
	s_waitcnt vmcnt(19) lgkmcnt(4)
	v_mul_f32_e32 v129, v2, v8
	v_mul_f32_e32 v8, v3, v8
	s_waitcnt vmcnt(18)
	v_mul_f32_e32 v130, v4, v110
	v_mul_f32_e32 v110, v5, v110
	s_waitcnt vmcnt(17) lgkmcnt(3)
	v_mul_f32_e32 v131, v98, v111
	s_waitcnt vmcnt(16)
	v_mul_f32_e32 v132, v100, v112
	s_waitcnt vmcnt(15) lgkmcnt(2)
	v_mul_f32_e32 v133, v102, v113
	s_waitcnt vmcnt(14)
	;; [unrolled: 4-line block ×3, first 2 shown]
	v_fma_f32 v2, v2, v118, -v8
	v_fmac_f32_e32 v129, v3, v118
	v_mul_f32_e32 v3, v99, v111
	s_waitcnt vmcnt(9)
	v_fma_f32 v4, v4, v119, -v110
	v_fmac_f32_e32 v130, v5, v119
	v_add_f32_e32 v2, 0, v2
	v_add_f32_e32 v5, 0, v129
	v_mul_f32_e32 v8, v101, v112
	s_waitcnt vmcnt(8)
	v_fma_f32 v3, v98, v120, -v3
	v_fmac_f32_e32 v131, v99, v120
	v_add_f32_e32 v2, v2, v4
	v_add_f32_e32 v4, v5, v130
	;; [unrolled: 6-line block ×5, first 2 shown]
	v_mul_f32_e32 v5, v109, v116
	s_waitcnt vmcnt(4)
	v_fma_f32 v8, v106, v124, -v8
	v_mul_f32_e32 v136, v108, v116
	v_add_f32_e32 v2, v2, v4
	v_fmac_f32_e32 v135, v107, v124
	v_add_f32_e32 v3, v3, v134
	s_waitcnt lgkmcnt(0)
	v_mul_f32_e32 v4, v7, v117
	s_waitcnt vmcnt(3)
	v_fma_f32 v5, v108, v125, -v5
	v_add_f32_e32 v2, v2, v8
	v_mul_f32_e32 v137, v6, v117
	v_fmac_f32_e32 v136, v109, v125
	v_add_f32_e32 v3, v3, v135
	s_waitcnt vmcnt(2)
	v_fma_f32 v4, v6, v126, -v4
	v_add_f32_e32 v2, v2, v5
	v_fmac_f32_e32 v137, v7, v126
	v_add_f32_e32 v3, v3, v136
	v_add_f32_e32 v2, v2, v4
	;; [unrolled: 1-line block ×3, first 2 shown]
	s_waitcnt vmcnt(1)
	v_sub_f32_e32 v2, v127, v2
	s_waitcnt vmcnt(0)
	v_sub_f32_e32 v3, v128, v3
	buffer_store_dword v2, off, s[0:3], 0 offset:272
	buffer_store_dword v3, off, s[0:3], 0 offset:276
	v_cmpx_lt_u32_e32 33, v0
	s_cbranch_execz .LBB43_211
; %bb.210:
	s_clause 0x1
	buffer_load_dword v2, off, s[0:3], 0 offset:264
	buffer_load_dword v3, off, s[0:3], 0 offset:268
	buffer_store_dword v1, off, s[0:3], 0 offset:264
	buffer_store_dword v1, off, s[0:3], 0 offset:268
	s_waitcnt vmcnt(0)
	ds_write_b64 v97, v[2:3]
.LBB43_211:
	s_or_b32 exec_lo, exec_lo, s4
	s_waitcnt lgkmcnt(0)
	s_waitcnt_vscnt null, 0x0
	s_barrier
	buffer_gl0_inv
	s_clause 0x15
	buffer_load_dword v6, off, s[0:3], 0 offset:276
	buffer_load_dword v7, off, s[0:3], 0 offset:284
	;; [unrolled: 1-line block ×22, first 2 shown]
	ds_read_b128 v[2:5], v1 offset:624
	ds_read_b128 v[98:101], v1 offset:640
	;; [unrolled: 1-line block ×5, first 2 shown]
	s_mov_b32 s4, exec_lo
	s_waitcnt vmcnt(21) lgkmcnt(4)
	v_mul_f32_e32 v1, v2, v6
	v_mul_f32_e32 v6, v3, v6
	s_waitcnt vmcnt(20)
	v_mul_f32_e32 v133, v4, v7
	v_mul_f32_e32 v7, v5, v7
	s_waitcnt vmcnt(19) lgkmcnt(3)
	v_mul_f32_e32 v134, v98, v8
	s_waitcnt vmcnt(18)
	v_mul_f32_e32 v135, v100, v114
	s_waitcnt vmcnt(17) lgkmcnt(2)
	v_mul_f32_e32 v136, v102, v115
	s_waitcnt vmcnt(16)
	;; [unrolled: 4-line block ×3, first 2 shown]
	v_mul_f32_e32 v139, v108, v118
	s_waitcnt vmcnt(11)
	v_fma_f32 v2, v2, v121, -v6
	v_fmac_f32_e32 v1, v3, v121
	v_mul_f32_e32 v3, v99, v8
	s_waitcnt vmcnt(10)
	v_fma_f32 v4, v4, v122, -v7
	v_fmac_f32_e32 v133, v5, v122
	v_add_f32_e32 v2, 0, v2
	v_add_f32_e32 v1, 0, v1
	v_mul_f32_e32 v5, v101, v114
	s_waitcnt vmcnt(9)
	v_fma_f32 v3, v98, v123, -v3
	v_fmac_f32_e32 v134, v99, v123
	v_add_f32_e32 v2, v2, v4
	v_add_f32_e32 v1, v1, v133
	;; [unrolled: 6-line block ×6, first 2 shown]
	s_waitcnt lgkmcnt(0)
	v_mul_f32_e32 v3, v111, v119
	s_waitcnt vmcnt(4)
	v_fma_f32 v4, v108, v128, -v4
	v_mul_f32_e32 v140, v110, v119
	v_add_f32_e32 v2, v2, v5
	v_fmac_f32_e32 v139, v109, v128
	v_add_f32_e32 v1, v1, v138
	v_mul_f32_e32 v5, v113, v120
	s_waitcnt vmcnt(3)
	v_fma_f32 v3, v110, v129, -v3
	v_add_f32_e32 v2, v2, v4
	v_mul_f32_e32 v141, v112, v120
	v_fmac_f32_e32 v140, v111, v129
	v_add_f32_e32 v1, v1, v139
	s_waitcnt vmcnt(2)
	v_fma_f32 v4, v112, v130, -v5
	v_add_f32_e32 v2, v2, v3
	v_fmac_f32_e32 v141, v113, v130
	v_add_f32_e32 v1, v1, v140
	v_add_f32_e32 v2, v2, v4
	;; [unrolled: 1-line block ×3, first 2 shown]
	s_waitcnt vmcnt(1)
	v_sub_f32_e32 v2, v131, v2
	s_waitcnt vmcnt(0)
	v_sub_f32_e32 v1, v132, v1
	buffer_store_dword v2, off, s[0:3], 0 offset:264
	buffer_store_dword v1, off, s[0:3], 0 offset:268
	v_cmpx_lt_u32_e32 32, v0
	s_cbranch_execz .LBB43_213
; %bb.212:
	s_clause 0x1
	buffer_load_dword v1, off, s[0:3], 0 offset:256
	buffer_load_dword v2, off, s[0:3], 0 offset:260
	v_mov_b32_e32 v3, 0
	buffer_store_dword v3, off, s[0:3], 0 offset:256
	buffer_store_dword v3, off, s[0:3], 0 offset:260
	s_waitcnt vmcnt(0)
	ds_write_b64 v97, v[1:2]
.LBB43_213:
	s_or_b32 exec_lo, exec_lo, s4
	s_waitcnt lgkmcnt(0)
	s_waitcnt_vscnt null, 0x0
	s_barrier
	buffer_gl0_inv
	s_clause 0x17
	buffer_load_dword v8, off, s[0:3], 0 offset:268
	buffer_load_dword v114, off, s[0:3], 0 offset:276
	;; [unrolled: 1-line block ×24, first 2 shown]
	v_mov_b32_e32 v1, 0
	ds_read2_b64 v[2:5], v1 offset0:77 offset1:78
	ds_read2_b64 v[98:101], v1 offset0:79 offset1:80
	;; [unrolled: 1-line block ×5, first 2 shown]
	ds_read_b64 v[6:7], v1 offset:696
	s_mov_b32 s4, exec_lo
	s_waitcnt vmcnt(23) lgkmcnt(5)
	v_mul_f32_e32 v137, v2, v8
	v_mul_f32_e32 v8, v3, v8
	s_waitcnt vmcnt(22)
	v_mul_f32_e32 v138, v4, v114
	v_mul_f32_e32 v114, v5, v114
	s_waitcnt vmcnt(21) lgkmcnt(4)
	v_mul_f32_e32 v139, v98, v115
	s_waitcnt vmcnt(20)
	v_mul_f32_e32 v140, v100, v116
	s_waitcnt vmcnt(19) lgkmcnt(3)
	v_mul_f32_e32 v141, v102, v117
	s_waitcnt vmcnt(18)
	;; [unrolled: 4-line block ×4, first 2 shown]
	v_fma_f32 v2, v2, v124, -v8
	v_fmac_f32_e32 v137, v3, v124
	v_mul_f32_e32 v3, v99, v115
	s_waitcnt vmcnt(11)
	v_fma_f32 v4, v4, v125, -v114
	v_fmac_f32_e32 v138, v5, v125
	v_add_f32_e32 v2, 0, v2
	v_add_f32_e32 v5, 0, v137
	v_mul_f32_e32 v8, v101, v116
	s_waitcnt vmcnt(10)
	v_fma_f32 v3, v98, v126, -v3
	v_fmac_f32_e32 v139, v99, v126
	v_add_f32_e32 v2, v2, v4
	v_add_f32_e32 v4, v5, v138
	;; [unrolled: 6-line block ×7, first 2 shown]
	v_mul_f32_e32 v8, v113, v122
	s_waitcnt vmcnt(4)
	v_fma_f32 v4, v110, v132, -v4
	v_mul_f32_e32 v146, v112, v122
	v_add_f32_e32 v2, v2, v5
	v_fmac_f32_e32 v145, v111, v132
	v_add_f32_e32 v3, v3, v144
	s_waitcnt lgkmcnt(0)
	v_mul_f32_e32 v5, v7, v123
	s_waitcnt vmcnt(3)
	v_fma_f32 v8, v112, v133, -v8
	v_add_f32_e32 v2, v2, v4
	v_mul_f32_e32 v147, v6, v123
	v_fmac_f32_e32 v146, v113, v133
	v_add_f32_e32 v3, v3, v145
	s_waitcnt vmcnt(2)
	v_fma_f32 v4, v6, v134, -v5
	v_add_f32_e32 v2, v2, v8
	v_fmac_f32_e32 v147, v7, v134
	v_add_f32_e32 v3, v3, v146
	v_add_f32_e32 v2, v2, v4
	;; [unrolled: 1-line block ×3, first 2 shown]
	s_waitcnt vmcnt(1)
	v_sub_f32_e32 v2, v135, v2
	s_waitcnt vmcnt(0)
	v_sub_f32_e32 v3, v136, v3
	buffer_store_dword v2, off, s[0:3], 0 offset:256
	buffer_store_dword v3, off, s[0:3], 0 offset:260
	v_cmpx_lt_u32_e32 31, v0
	s_cbranch_execz .LBB43_215
; %bb.214:
	s_clause 0x1
	buffer_load_dword v2, off, s[0:3], 0 offset:248
	buffer_load_dword v3, off, s[0:3], 0 offset:252
	buffer_store_dword v1, off, s[0:3], 0 offset:248
	buffer_store_dword v1, off, s[0:3], 0 offset:252
	s_waitcnt vmcnt(0)
	ds_write_b64 v97, v[2:3]
.LBB43_215:
	s_or_b32 exec_lo, exec_lo, s4
	s_waitcnt lgkmcnt(0)
	s_waitcnt_vscnt null, 0x0
	s_barrier
	buffer_gl0_inv
	s_clause 0x19
	buffer_load_dword v6, off, s[0:3], 0 offset:260
	buffer_load_dword v7, off, s[0:3], 0 offset:268
	;; [unrolled: 1-line block ×26, first 2 shown]
	ds_read_b128 v[2:5], v1 offset:608
	ds_read_b128 v[98:101], v1 offset:624
	;; [unrolled: 1-line block ×6, first 2 shown]
	s_mov_b32 s4, exec_lo
	s_waitcnt vmcnt(25) lgkmcnt(5)
	v_mul_f32_e32 v1, v2, v6
	v_mul_f32_e32 v6, v3, v6
	s_waitcnt vmcnt(24)
	v_mul_f32_e32 v141, v4, v7
	v_mul_f32_e32 v7, v5, v7
	s_waitcnt vmcnt(23) lgkmcnt(4)
	v_mul_f32_e32 v142, v98, v8
	s_waitcnt vmcnt(22)
	v_mul_f32_e32 v143, v100, v118
	s_waitcnt vmcnt(21) lgkmcnt(3)
	v_mul_f32_e32 v144, v102, v119
	s_waitcnt vmcnt(20)
	;; [unrolled: 4-line block ×4, first 2 shown]
	v_mul_f32_e32 v149, v112, v124
	s_waitcnt vmcnt(13)
	v_fma_f32 v2, v2, v127, -v6
	v_fmac_f32_e32 v1, v3, v127
	v_mul_f32_e32 v3, v99, v8
	s_waitcnt vmcnt(12)
	v_fma_f32 v4, v4, v128, -v7
	v_fmac_f32_e32 v141, v5, v128
	v_add_f32_e32 v2, 0, v2
	v_add_f32_e32 v1, 0, v1
	v_mul_f32_e32 v5, v101, v118
	s_waitcnt vmcnt(11)
	v_fma_f32 v3, v98, v129, -v3
	v_fmac_f32_e32 v142, v99, v129
	v_add_f32_e32 v2, v2, v4
	v_add_f32_e32 v1, v1, v141
	;; [unrolled: 6-line block ×8, first 2 shown]
	s_waitcnt lgkmcnt(0)
	v_mul_f32_e32 v4, v115, v125
	s_waitcnt vmcnt(4)
	v_fma_f32 v5, v112, v136, -v5
	v_mul_f32_e32 v150, v114, v125
	v_add_f32_e32 v2, v2, v3
	v_fmac_f32_e32 v149, v113, v136
	v_add_f32_e32 v1, v1, v148
	v_mul_f32_e32 v3, v117, v126
	s_waitcnt vmcnt(3)
	v_fma_f32 v4, v114, v137, -v4
	v_add_f32_e32 v2, v2, v5
	v_mul_f32_e32 v151, v116, v126
	v_fmac_f32_e32 v150, v115, v137
	v_add_f32_e32 v1, v1, v149
	s_waitcnt vmcnt(2)
	v_fma_f32 v3, v116, v138, -v3
	v_add_f32_e32 v2, v2, v4
	v_fmac_f32_e32 v151, v117, v138
	v_add_f32_e32 v1, v1, v150
	v_add_f32_e32 v2, v2, v3
	;; [unrolled: 1-line block ×3, first 2 shown]
	s_waitcnt vmcnt(1)
	v_sub_f32_e32 v2, v139, v2
	s_waitcnt vmcnt(0)
	v_sub_f32_e32 v1, v140, v1
	buffer_store_dword v2, off, s[0:3], 0 offset:248
	buffer_store_dword v1, off, s[0:3], 0 offset:252
	v_cmpx_lt_u32_e32 30, v0
	s_cbranch_execz .LBB43_217
; %bb.216:
	s_clause 0x1
	buffer_load_dword v1, off, s[0:3], 0 offset:240
	buffer_load_dword v2, off, s[0:3], 0 offset:244
	v_mov_b32_e32 v3, 0
	buffer_store_dword v3, off, s[0:3], 0 offset:240
	buffer_store_dword v3, off, s[0:3], 0 offset:244
	s_waitcnt vmcnt(0)
	ds_write_b64 v97, v[1:2]
.LBB43_217:
	s_or_b32 exec_lo, exec_lo, s4
	s_waitcnt lgkmcnt(0)
	s_waitcnt_vscnt null, 0x0
	s_barrier
	buffer_gl0_inv
	s_clause 0x1b
	buffer_load_dword v8, off, s[0:3], 0 offset:252
	buffer_load_dword v118, off, s[0:3], 0 offset:260
	;; [unrolled: 1-line block ×28, first 2 shown]
	v_mov_b32_e32 v1, 0
	ds_read2_b64 v[2:5], v1 offset0:75 offset1:76
	ds_read2_b64 v[98:101], v1 offset0:77 offset1:78
	;; [unrolled: 1-line block ×6, first 2 shown]
	ds_read_b64 v[6:7], v1 offset:696
	s_mov_b32 s4, exec_lo
	s_waitcnt vmcnt(27) lgkmcnt(6)
	v_mul_f32_e32 v145, v2, v8
	v_mul_f32_e32 v8, v3, v8
	s_waitcnt vmcnt(26)
	v_mul_f32_e32 v146, v4, v118
	v_mul_f32_e32 v118, v5, v118
	s_waitcnt vmcnt(25) lgkmcnt(5)
	v_mul_f32_e32 v147, v98, v119
	s_waitcnt vmcnt(24)
	v_mul_f32_e32 v148, v100, v120
	s_waitcnt vmcnt(23) lgkmcnt(4)
	v_mul_f32_e32 v149, v102, v121
	s_waitcnt vmcnt(22)
	;; [unrolled: 4-line block ×5, first 2 shown]
	v_fma_f32 v2, v2, v130, -v8
	v_fmac_f32_e32 v145, v3, v130
	v_mul_f32_e32 v3, v99, v119
	s_waitcnt vmcnt(13)
	v_fma_f32 v4, v4, v131, -v118
	v_fmac_f32_e32 v146, v5, v131
	v_add_f32_e32 v2, 0, v2
	v_add_f32_e32 v5, 0, v145
	v_mul_f32_e32 v8, v101, v120
	s_waitcnt vmcnt(12)
	v_fma_f32 v3, v98, v132, -v3
	v_fmac_f32_e32 v147, v99, v132
	v_add_f32_e32 v2, v2, v4
	v_add_f32_e32 v4, v5, v146
	;; [unrolled: 6-line block ×9, first 2 shown]
	v_mul_f32_e32 v4, v117, v128
	s_waitcnt vmcnt(4)
	v_fma_f32 v5, v114, v140, -v5
	v_mul_f32_e32 v156, v116, v128
	v_add_f32_e32 v2, v2, v8
	v_fmac_f32_e32 v155, v115, v140
	v_add_f32_e32 v3, v3, v154
	s_waitcnt lgkmcnt(0)
	v_mul_f32_e32 v8, v7, v129
	s_waitcnt vmcnt(3)
	v_fma_f32 v4, v116, v141, -v4
	v_add_f32_e32 v2, v2, v5
	v_mul_f32_e32 v157, v6, v129
	v_fmac_f32_e32 v156, v117, v141
	v_add_f32_e32 v3, v3, v155
	s_waitcnt vmcnt(2)
	v_fma_f32 v5, v6, v142, -v8
	v_add_f32_e32 v2, v2, v4
	v_fmac_f32_e32 v157, v7, v142
	v_add_f32_e32 v3, v3, v156
	v_add_f32_e32 v2, v2, v5
	;; [unrolled: 1-line block ×3, first 2 shown]
	s_waitcnt vmcnt(1)
	v_sub_f32_e32 v2, v143, v2
	s_waitcnt vmcnt(0)
	v_sub_f32_e32 v3, v144, v3
	buffer_store_dword v2, off, s[0:3], 0 offset:240
	buffer_store_dword v3, off, s[0:3], 0 offset:244
	v_cmpx_lt_u32_e32 29, v0
	s_cbranch_execz .LBB43_219
; %bb.218:
	s_clause 0x1
	buffer_load_dword v2, off, s[0:3], 0 offset:232
	buffer_load_dword v3, off, s[0:3], 0 offset:236
	buffer_store_dword v1, off, s[0:3], 0 offset:232
	buffer_store_dword v1, off, s[0:3], 0 offset:236
	s_waitcnt vmcnt(0)
	ds_write_b64 v97, v[2:3]
.LBB43_219:
	s_or_b32 exec_lo, exec_lo, s4
	s_waitcnt lgkmcnt(0)
	s_waitcnt_vscnt null, 0x0
	s_barrier
	buffer_gl0_inv
	s_clause 0x1d
	buffer_load_dword v6, off, s[0:3], 0 offset:244
	buffer_load_dword v7, off, s[0:3], 0 offset:252
	;; [unrolled: 1-line block ×30, first 2 shown]
	ds_read_b128 v[2:5], v1 offset:592
	ds_read_b128 v[98:101], v1 offset:608
	ds_read_b128 v[102:105], v1 offset:624
	ds_read_b128 v[106:109], v1 offset:640
	ds_read_b128 v[110:113], v1 offset:656
	ds_read_b128 v[114:117], v1 offset:672
	ds_read_b128 v[118:121], v1 offset:688
	s_mov_b32 s4, exec_lo
	s_waitcnt vmcnt(29) lgkmcnt(6)
	v_mul_f32_e32 v1, v2, v6
	v_mul_f32_e32 v6, v3, v6
	s_waitcnt vmcnt(28)
	v_mul_f32_e32 v149, v4, v7
	v_mul_f32_e32 v7, v5, v7
	s_waitcnt vmcnt(27) lgkmcnt(5)
	v_mul_f32_e32 v150, v98, v8
	s_waitcnt vmcnt(26)
	v_mul_f32_e32 v151, v100, v122
	s_waitcnt vmcnt(25) lgkmcnt(4)
	v_mul_f32_e32 v152, v102, v123
	s_waitcnt vmcnt(24)
	;; [unrolled: 4-line block ×5, first 2 shown]
	v_mul_f32_e32 v159, v116, v130
	s_waitcnt vmcnt(15)
	v_fma_f32 v2, v2, v133, -v6
	v_fmac_f32_e32 v1, v3, v133
	v_mul_f32_e32 v3, v99, v8
	s_waitcnt vmcnt(14)
	v_fma_f32 v4, v4, v134, -v7
	v_fmac_f32_e32 v149, v5, v134
	v_add_f32_e32 v2, 0, v2
	v_add_f32_e32 v1, 0, v1
	v_mul_f32_e32 v5, v101, v122
	s_waitcnt vmcnt(13)
	v_fma_f32 v3, v98, v135, -v3
	v_fmac_f32_e32 v150, v99, v135
	v_add_f32_e32 v2, v2, v4
	v_add_f32_e32 v1, v1, v149
	;; [unrolled: 6-line block ×10, first 2 shown]
	s_waitcnt lgkmcnt(0)
	v_mul_f32_e32 v5, v119, v131
	s_waitcnt vmcnt(4)
	v_fma_f32 v3, v116, v144, -v3
	v_mul_f32_e32 v160, v118, v131
	v_add_f32_e32 v2, v2, v4
	v_fmac_f32_e32 v159, v117, v144
	v_add_f32_e32 v1, v1, v158
	v_mul_f32_e32 v4, v121, v132
	s_waitcnt vmcnt(3)
	v_fma_f32 v5, v118, v145, -v5
	v_add_f32_e32 v2, v2, v3
	v_mul_f32_e32 v161, v120, v132
	v_fmac_f32_e32 v160, v119, v145
	v_add_f32_e32 v1, v1, v159
	s_waitcnt vmcnt(2)
	v_fma_f32 v3, v120, v146, -v4
	v_add_f32_e32 v2, v2, v5
	v_fmac_f32_e32 v161, v121, v146
	v_add_f32_e32 v1, v1, v160
	v_add_f32_e32 v2, v2, v3
	;; [unrolled: 1-line block ×3, first 2 shown]
	s_waitcnt vmcnt(1)
	v_sub_f32_e32 v2, v147, v2
	s_waitcnt vmcnt(0)
	v_sub_f32_e32 v1, v148, v1
	buffer_store_dword v2, off, s[0:3], 0 offset:232
	buffer_store_dword v1, off, s[0:3], 0 offset:236
	v_cmpx_lt_u32_e32 28, v0
	s_cbranch_execz .LBB43_221
; %bb.220:
	s_clause 0x1
	buffer_load_dword v1, off, s[0:3], 0 offset:224
	buffer_load_dword v2, off, s[0:3], 0 offset:228
	v_mov_b32_e32 v3, 0
	buffer_store_dword v3, off, s[0:3], 0 offset:224
	buffer_store_dword v3, off, s[0:3], 0 offset:228
	s_waitcnt vmcnt(0)
	ds_write_b64 v97, v[1:2]
.LBB43_221:
	s_or_b32 exec_lo, exec_lo, s4
	s_waitcnt lgkmcnt(0)
	s_waitcnt_vscnt null, 0x0
	s_barrier
	buffer_gl0_inv
	s_clause 0x1f
	buffer_load_dword v8, off, s[0:3], 0 offset:236
	buffer_load_dword v122, off, s[0:3], 0 offset:244
	;; [unrolled: 1-line block ×32, first 2 shown]
	v_mov_b32_e32 v1, 0
	ds_read2_b64 v[2:5], v1 offset0:73 offset1:74
	ds_read2_b64 v[98:101], v1 offset0:75 offset1:76
	;; [unrolled: 1-line block ×7, first 2 shown]
	ds_read_b64 v[6:7], v1 offset:696
	s_mov_b32 s4, exec_lo
	s_waitcnt vmcnt(31) lgkmcnt(7)
	v_mul_f32_e32 v153, v2, v8
	v_mul_f32_e32 v8, v3, v8
	s_waitcnt vmcnt(30)
	v_mul_f32_e32 v154, v4, v122
	v_mul_f32_e32 v122, v5, v122
	s_waitcnt vmcnt(29) lgkmcnt(6)
	v_mul_f32_e32 v155, v98, v123
	s_waitcnt vmcnt(28)
	v_mul_f32_e32 v156, v100, v124
	s_waitcnt vmcnt(27) lgkmcnt(5)
	v_mul_f32_e32 v157, v102, v125
	s_waitcnt vmcnt(26)
	;; [unrolled: 4-line block ×6, first 2 shown]
	v_fma_f32 v2, v2, v136, -v8
	v_fmac_f32_e32 v153, v3, v136
	v_mul_f32_e32 v3, v99, v123
	s_waitcnt vmcnt(15)
	v_fma_f32 v4, v4, v137, -v122
	v_fmac_f32_e32 v154, v5, v137
	v_add_f32_e32 v2, 0, v2
	v_add_f32_e32 v5, 0, v153
	v_mul_f32_e32 v8, v101, v124
	s_waitcnt vmcnt(14)
	v_fma_f32 v3, v98, v138, -v3
	v_fmac_f32_e32 v155, v99, v138
	v_add_f32_e32 v2, v2, v4
	v_add_f32_e32 v4, v5, v154
	v_mul_f32_e32 v5, v103, v125
	s_waitcnt vmcnt(13)
	v_fma_f32 v8, v100, v139, -v8
	v_fmac_f32_e32 v156, v101, v139
	v_add_f32_e32 v2, v2, v3
	v_add_f32_e32 v3, v4, v155
	v_mul_f32_e32 v4, v105, v126
	s_waitcnt vmcnt(12)
	v_fma_f32 v5, v102, v140, -v5
	v_fmac_f32_e32 v157, v103, v140
	v_add_f32_e32 v2, v2, v8
	v_add_f32_e32 v3, v3, v156
	v_mul_f32_e32 v8, v107, v127
	s_waitcnt vmcnt(11)
	v_fma_f32 v4, v104, v141, -v4
	v_fmac_f32_e32 v158, v105, v141
	v_add_f32_e32 v2, v2, v5
	v_add_f32_e32 v3, v3, v157
	v_mul_f32_e32 v5, v109, v128
	s_waitcnt vmcnt(10)
	v_fma_f32 v8, v106, v142, -v8
	v_fmac_f32_e32 v159, v107, v142
	v_add_f32_e32 v2, v2, v4
	v_add_f32_e32 v3, v3, v158
	v_mul_f32_e32 v4, v111, v129
	s_waitcnt vmcnt(9)
	v_fma_f32 v5, v108, v143, -v5
	v_fmac_f32_e32 v160, v109, v143
	v_add_f32_e32 v2, v2, v8
	v_add_f32_e32 v3, v3, v159
	v_mul_f32_e32 v8, v113, v130
	s_waitcnt vmcnt(8)
	v_fma_f32 v4, v110, v144, -v4
	v_fmac_f32_e32 v161, v111, v144
	v_add_f32_e32 v2, v2, v5
	v_add_f32_e32 v3, v3, v160
	v_mul_f32_e32 v5, v115, v131
	s_waitcnt vmcnt(7)
	v_fma_f32 v8, v112, v145, -v8
	v_fmac_f32_e32 v162, v113, v145
	v_add_f32_e32 v2, v2, v4
	v_add_f32_e32 v3, v3, v161
	v_mul_f32_e32 v4, v117, v132
	s_waitcnt vmcnt(6)
	v_fma_f32 v5, v114, v146, -v5
	v_fmac_f32_e32 v163, v115, v146
	v_add_f32_e32 v2, v2, v8
	v_add_f32_e32 v3, v3, v162
	v_mul_f32_e32 v8, v119, v133
	s_waitcnt vmcnt(5)
	v_fma_f32 v4, v116, v147, -v4
	v_fmac_f32_e32 v164, v117, v147
	v_add_f32_e32 v2, v2, v5
	v_add_f32_e32 v3, v3, v163
	v_mul_f32_e32 v5, v121, v134
	s_waitcnt vmcnt(4)
	v_fma_f32 v8, v118, v148, -v8
	v_mul_f32_e32 v166, v120, v134
	v_add_f32_e32 v2, v2, v4
	v_fmac_f32_e32 v165, v119, v148
	v_add_f32_e32 v3, v3, v164
	s_waitcnt lgkmcnt(0)
	v_mul_f32_e32 v4, v7, v135
	s_waitcnt vmcnt(3)
	v_fma_f32 v5, v120, v149, -v5
	v_add_f32_e32 v2, v2, v8
	v_mul_f32_e32 v167, v6, v135
	v_fmac_f32_e32 v166, v121, v149
	v_add_f32_e32 v3, v3, v165
	s_waitcnt vmcnt(2)
	v_fma_f32 v4, v6, v150, -v4
	v_add_f32_e32 v2, v2, v5
	v_fmac_f32_e32 v167, v7, v150
	v_add_f32_e32 v3, v3, v166
	v_add_f32_e32 v2, v2, v4
	;; [unrolled: 1-line block ×3, first 2 shown]
	s_waitcnt vmcnt(1)
	v_sub_f32_e32 v2, v151, v2
	s_waitcnt vmcnt(0)
	v_sub_f32_e32 v3, v152, v3
	buffer_store_dword v2, off, s[0:3], 0 offset:224
	buffer_store_dword v3, off, s[0:3], 0 offset:228
	v_cmpx_lt_u32_e32 27, v0
	s_cbranch_execz .LBB43_223
; %bb.222:
	s_clause 0x1
	buffer_load_dword v2, off, s[0:3], 0 offset:216
	buffer_load_dword v3, off, s[0:3], 0 offset:220
	buffer_store_dword v1, off, s[0:3], 0 offset:216
	buffer_store_dword v1, off, s[0:3], 0 offset:220
	s_waitcnt vmcnt(0)
	ds_write_b64 v97, v[2:3]
.LBB43_223:
	s_or_b32 exec_lo, exec_lo, s4
	s_waitcnt lgkmcnt(0)
	s_waitcnt_vscnt null, 0x0
	s_barrier
	buffer_gl0_inv
	s_clause 0x21
	buffer_load_dword v6, off, s[0:3], 0 offset:228
	buffer_load_dword v7, off, s[0:3], 0 offset:236
	;; [unrolled: 1-line block ×34, first 2 shown]
	ds_read_b128 v[2:5], v1 offset:576
	ds_read_b128 v[98:101], v1 offset:592
	;; [unrolled: 1-line block ×8, first 2 shown]
	s_mov_b32 s4, exec_lo
	s_waitcnt vmcnt(33) lgkmcnt(7)
	v_mul_f32_e32 v1, v2, v6
	v_mul_f32_e32 v6, v3, v6
	s_waitcnt vmcnt(32)
	v_mul_f32_e32 v157, v4, v7
	v_mul_f32_e32 v7, v5, v7
	s_waitcnt vmcnt(31) lgkmcnt(6)
	v_mul_f32_e32 v158, v98, v8
	s_waitcnt vmcnt(30)
	v_mul_f32_e32 v159, v100, v126
	s_waitcnt vmcnt(29) lgkmcnt(5)
	v_mul_f32_e32 v160, v102, v127
	s_waitcnt vmcnt(28)
	v_mul_f32_e32 v161, v104, v128
	s_waitcnt vmcnt(27) lgkmcnt(4)
	v_mul_f32_e32 v162, v106, v129
	s_waitcnt vmcnt(26)
	v_mul_f32_e32 v163, v108, v130
	s_waitcnt vmcnt(25) lgkmcnt(3)
	v_mul_f32_e32 v164, v110, v131
	s_waitcnt vmcnt(24)
	v_mul_f32_e32 v165, v112, v132
	s_waitcnt vmcnt(23) lgkmcnt(2)
	v_mul_f32_e32 v166, v114, v133
	s_waitcnt vmcnt(22)
	v_mul_f32_e32 v167, v116, v134
	s_waitcnt vmcnt(21) lgkmcnt(1)
	v_mul_f32_e32 v168, v118, v135
	s_waitcnt vmcnt(20)
	v_mul_f32_e32 v169, v120, v136
	s_waitcnt vmcnt(17)
	v_fma_f32 v2, v2, v139, -v6
	v_fmac_f32_e32 v1, v3, v139
	v_mul_f32_e32 v3, v99, v8
	s_waitcnt vmcnt(16)
	v_fma_f32 v4, v4, v140, -v7
	v_fmac_f32_e32 v157, v5, v140
	v_add_f32_e32 v2, 0, v2
	v_add_f32_e32 v1, 0, v1
	v_mul_f32_e32 v5, v101, v126
	s_waitcnt vmcnt(15)
	v_fma_f32 v3, v98, v141, -v3
	v_fmac_f32_e32 v158, v99, v141
	v_add_f32_e32 v2, v2, v4
	v_add_f32_e32 v1, v1, v157
	;; [unrolled: 6-line block ×12, first 2 shown]
	s_waitcnt lgkmcnt(0)
	v_mul_f32_e32 v3, v123, v137
	s_waitcnt vmcnt(4)
	v_fma_f32 v4, v120, v152, -v4
	v_mul_f32_e32 v170, v122, v137
	v_add_f32_e32 v2, v2, v5
	v_fmac_f32_e32 v169, v121, v152
	v_add_f32_e32 v1, v1, v168
	v_mul_f32_e32 v5, v125, v138
	s_waitcnt vmcnt(3)
	v_fma_f32 v3, v122, v153, -v3
	v_add_f32_e32 v2, v2, v4
	v_mul_f32_e32 v171, v124, v138
	v_fmac_f32_e32 v170, v123, v153
	v_add_f32_e32 v1, v1, v169
	s_waitcnt vmcnt(2)
	v_fma_f32 v4, v124, v154, -v5
	v_add_f32_e32 v2, v2, v3
	v_fmac_f32_e32 v171, v125, v154
	v_add_f32_e32 v1, v1, v170
	v_add_f32_e32 v2, v2, v4
	;; [unrolled: 1-line block ×3, first 2 shown]
	s_waitcnt vmcnt(1)
	v_sub_f32_e32 v2, v155, v2
	s_waitcnt vmcnt(0)
	v_sub_f32_e32 v1, v156, v1
	buffer_store_dword v2, off, s[0:3], 0 offset:216
	buffer_store_dword v1, off, s[0:3], 0 offset:220
	v_cmpx_lt_u32_e32 26, v0
	s_cbranch_execz .LBB43_225
; %bb.224:
	s_clause 0x1
	buffer_load_dword v1, off, s[0:3], 0 offset:208
	buffer_load_dword v2, off, s[0:3], 0 offset:212
	v_mov_b32_e32 v3, 0
	buffer_store_dword v3, off, s[0:3], 0 offset:208
	buffer_store_dword v3, off, s[0:3], 0 offset:212
	s_waitcnt vmcnt(0)
	ds_write_b64 v97, v[1:2]
.LBB43_225:
	s_or_b32 exec_lo, exec_lo, s4
	s_waitcnt lgkmcnt(0)
	s_waitcnt_vscnt null, 0x0
	s_barrier
	buffer_gl0_inv
	s_clause 0x23
	buffer_load_dword v8, off, s[0:3], 0 offset:220
	buffer_load_dword v126, off, s[0:3], 0 offset:228
	;; [unrolled: 1-line block ×36, first 2 shown]
	v_mov_b32_e32 v1, 0
	ds_read2_b64 v[2:5], v1 offset0:71 offset1:72
	ds_read2_b64 v[98:101], v1 offset0:73 offset1:74
	;; [unrolled: 1-line block ×8, first 2 shown]
	ds_read_b64 v[6:7], v1 offset:696
	s_mov_b32 s4, exec_lo
	s_waitcnt vmcnt(35) lgkmcnt(8)
	v_mul_f32_e32 v161, v2, v8
	v_mul_f32_e32 v8, v3, v8
	s_waitcnt vmcnt(34)
	v_mul_f32_e32 v162, v4, v126
	v_mul_f32_e32 v126, v5, v126
	s_waitcnt vmcnt(33) lgkmcnt(7)
	v_mul_f32_e32 v163, v98, v127
	s_waitcnt vmcnt(32)
	v_mul_f32_e32 v164, v100, v128
	s_waitcnt vmcnt(31) lgkmcnt(6)
	v_mul_f32_e32 v165, v102, v129
	s_waitcnt vmcnt(30)
	;; [unrolled: 4-line block ×7, first 2 shown]
	v_fma_f32 v2, v2, v142, -v8
	v_fmac_f32_e32 v161, v3, v142
	v_mul_f32_e32 v3, v99, v127
	s_waitcnt vmcnt(17)
	v_fma_f32 v4, v4, v143, -v126
	v_fmac_f32_e32 v162, v5, v143
	v_add_f32_e32 v2, 0, v2
	v_add_f32_e32 v5, 0, v161
	v_mul_f32_e32 v8, v101, v128
	s_waitcnt vmcnt(16)
	v_fma_f32 v3, v98, v144, -v3
	v_fmac_f32_e32 v163, v99, v144
	v_add_f32_e32 v2, v2, v4
	v_add_f32_e32 v4, v5, v162
	v_mul_f32_e32 v5, v103, v129
	s_waitcnt vmcnt(15)
	v_fma_f32 v8, v100, v145, -v8
	v_fmac_f32_e32 v164, v101, v145
	v_add_f32_e32 v2, v2, v3
	v_add_f32_e32 v3, v4, v163
	v_mul_f32_e32 v4, v105, v130
	s_waitcnt vmcnt(14)
	v_fma_f32 v5, v102, v146, -v5
	v_fmac_f32_e32 v165, v103, v146
	v_add_f32_e32 v2, v2, v8
	v_add_f32_e32 v3, v3, v164
	v_mul_f32_e32 v8, v107, v131
	s_waitcnt vmcnt(13)
	v_fma_f32 v4, v104, v147, -v4
	v_fmac_f32_e32 v166, v105, v147
	v_add_f32_e32 v2, v2, v5
	v_add_f32_e32 v3, v3, v165
	v_mul_f32_e32 v5, v109, v132
	s_waitcnt vmcnt(12)
	v_fma_f32 v8, v106, v148, -v8
	v_fmac_f32_e32 v167, v107, v148
	v_add_f32_e32 v2, v2, v4
	v_add_f32_e32 v3, v3, v166
	v_mul_f32_e32 v4, v111, v133
	s_waitcnt vmcnt(11)
	v_fma_f32 v5, v108, v149, -v5
	v_fmac_f32_e32 v168, v109, v149
	v_add_f32_e32 v2, v2, v8
	v_add_f32_e32 v3, v3, v167
	v_mul_f32_e32 v8, v113, v134
	s_waitcnt vmcnt(10)
	v_fma_f32 v4, v110, v150, -v4
	v_fmac_f32_e32 v169, v111, v150
	v_add_f32_e32 v2, v2, v5
	v_add_f32_e32 v3, v3, v168
	v_mul_f32_e32 v5, v115, v135
	s_waitcnt vmcnt(9)
	v_fma_f32 v8, v112, v151, -v8
	v_fmac_f32_e32 v170, v113, v151
	v_add_f32_e32 v2, v2, v4
	v_add_f32_e32 v3, v3, v169
	v_mul_f32_e32 v4, v117, v136
	s_waitcnt vmcnt(8)
	v_fma_f32 v5, v114, v152, -v5
	v_fmac_f32_e32 v171, v115, v152
	v_add_f32_e32 v2, v2, v8
	v_add_f32_e32 v3, v3, v170
	v_mul_f32_e32 v8, v119, v137
	s_waitcnt vmcnt(7)
	v_fma_f32 v4, v116, v153, -v4
	v_fmac_f32_e32 v172, v117, v153
	v_add_f32_e32 v2, v2, v5
	v_add_f32_e32 v3, v3, v171
	v_mul_f32_e32 v5, v121, v138
	s_waitcnt vmcnt(6)
	v_fma_f32 v8, v118, v154, -v8
	v_fmac_f32_e32 v173, v119, v154
	v_add_f32_e32 v2, v2, v4
	v_add_f32_e32 v3, v3, v172
	v_mul_f32_e32 v4, v123, v139
	s_waitcnt vmcnt(5)
	v_fma_f32 v5, v120, v155, -v5
	v_fmac_f32_e32 v174, v121, v155
	v_add_f32_e32 v2, v2, v8
	v_add_f32_e32 v3, v3, v173
	v_mul_f32_e32 v8, v125, v140
	s_waitcnt vmcnt(4)
	v_fma_f32 v4, v122, v156, -v4
	v_mul_f32_e32 v176, v124, v140
	v_add_f32_e32 v2, v2, v5
	v_fmac_f32_e32 v175, v123, v156
	v_add_f32_e32 v3, v3, v174
	s_waitcnt lgkmcnt(0)
	v_mul_f32_e32 v5, v7, v141
	s_waitcnt vmcnt(3)
	v_fma_f32 v8, v124, v157, -v8
	v_add_f32_e32 v2, v2, v4
	v_mul_f32_e32 v177, v6, v141
	v_fmac_f32_e32 v176, v125, v157
	v_add_f32_e32 v3, v3, v175
	s_waitcnt vmcnt(2)
	v_fma_f32 v4, v6, v158, -v5
	v_add_f32_e32 v2, v2, v8
	v_fmac_f32_e32 v177, v7, v158
	v_add_f32_e32 v3, v3, v176
	v_add_f32_e32 v2, v2, v4
	;; [unrolled: 1-line block ×3, first 2 shown]
	s_waitcnt vmcnt(1)
	v_sub_f32_e32 v2, v159, v2
	s_waitcnt vmcnt(0)
	v_sub_f32_e32 v3, v160, v3
	buffer_store_dword v2, off, s[0:3], 0 offset:208
	buffer_store_dword v3, off, s[0:3], 0 offset:212
	v_cmpx_lt_u32_e32 25, v0
	s_cbranch_execz .LBB43_227
; %bb.226:
	s_clause 0x1
	buffer_load_dword v2, off, s[0:3], 0 offset:200
	buffer_load_dword v3, off, s[0:3], 0 offset:204
	buffer_store_dword v1, off, s[0:3], 0 offset:200
	buffer_store_dword v1, off, s[0:3], 0 offset:204
	s_waitcnt vmcnt(0)
	ds_write_b64 v97, v[2:3]
.LBB43_227:
	s_or_b32 exec_lo, exec_lo, s4
	s_waitcnt lgkmcnt(0)
	s_waitcnt_vscnt null, 0x0
	s_barrier
	buffer_gl0_inv
	s_clause 0x25
	buffer_load_dword v6, off, s[0:3], 0 offset:212
	buffer_load_dword v7, off, s[0:3], 0 offset:220
	;; [unrolled: 1-line block ×38, first 2 shown]
	ds_read_b128 v[2:5], v1 offset:560
	ds_read_b128 v[98:101], v1 offset:576
	;; [unrolled: 1-line block ×9, first 2 shown]
	s_mov_b32 s4, exec_lo
	s_waitcnt vmcnt(37) lgkmcnt(8)
	v_mul_f32_e32 v1, v2, v6
	v_mul_f32_e32 v6, v3, v6
	s_waitcnt vmcnt(36)
	v_mul_f32_e32 v165, v4, v7
	v_mul_f32_e32 v7, v5, v7
	s_waitcnt vmcnt(35) lgkmcnt(7)
	v_mul_f32_e32 v166, v98, v8
	s_waitcnt vmcnt(34)
	v_mul_f32_e32 v167, v100, v130
	s_waitcnt vmcnt(33) lgkmcnt(6)
	v_mul_f32_e32 v168, v102, v131
	s_waitcnt vmcnt(32)
	;; [unrolled: 4-line block ×7, first 2 shown]
	v_mul_f32_e32 v179, v124, v142
	s_waitcnt vmcnt(19)
	v_fma_f32 v2, v2, v145, -v6
	v_fmac_f32_e32 v1, v3, v145
	v_mul_f32_e32 v3, v99, v8
	s_waitcnt vmcnt(18)
	v_fma_f32 v4, v4, v146, -v7
	v_fmac_f32_e32 v165, v5, v146
	v_add_f32_e32 v2, 0, v2
	v_add_f32_e32 v1, 0, v1
	v_mul_f32_e32 v5, v101, v130
	s_waitcnt vmcnt(17)
	v_fma_f32 v3, v98, v147, -v3
	v_fmac_f32_e32 v166, v99, v147
	v_add_f32_e32 v2, v2, v4
	v_add_f32_e32 v1, v1, v165
	;; [unrolled: 6-line block ×14, first 2 shown]
	s_waitcnt lgkmcnt(0)
	v_mul_f32_e32 v4, v127, v143
	s_waitcnt vmcnt(4)
	v_fma_f32 v5, v124, v160, -v5
	v_mul_f32_e32 v180, v126, v143
	v_add_f32_e32 v2, v2, v3
	v_fmac_f32_e32 v179, v125, v160
	v_add_f32_e32 v1, v1, v178
	v_mul_f32_e32 v3, v129, v144
	s_waitcnt vmcnt(3)
	v_fma_f32 v4, v126, v161, -v4
	v_add_f32_e32 v2, v2, v5
	v_mul_f32_e32 v181, v128, v144
	v_fmac_f32_e32 v180, v127, v161
	v_add_f32_e32 v1, v1, v179
	s_waitcnt vmcnt(2)
	v_fma_f32 v3, v128, v162, -v3
	v_add_f32_e32 v2, v2, v4
	v_fmac_f32_e32 v181, v129, v162
	v_add_f32_e32 v1, v1, v180
	v_add_f32_e32 v2, v2, v3
	;; [unrolled: 1-line block ×3, first 2 shown]
	s_waitcnt vmcnt(1)
	v_sub_f32_e32 v2, v163, v2
	s_waitcnt vmcnt(0)
	v_sub_f32_e32 v1, v164, v1
	buffer_store_dword v2, off, s[0:3], 0 offset:200
	buffer_store_dword v1, off, s[0:3], 0 offset:204
	v_cmpx_lt_u32_e32 24, v0
	s_cbranch_execz .LBB43_229
; %bb.228:
	s_clause 0x1
	buffer_load_dword v1, off, s[0:3], 0 offset:192
	buffer_load_dword v2, off, s[0:3], 0 offset:196
	v_mov_b32_e32 v3, 0
	buffer_store_dword v3, off, s[0:3], 0 offset:192
	buffer_store_dword v3, off, s[0:3], 0 offset:196
	s_waitcnt vmcnt(0)
	ds_write_b64 v97, v[1:2]
.LBB43_229:
	s_or_b32 exec_lo, exec_lo, s4
	s_waitcnt lgkmcnt(0)
	s_waitcnt_vscnt null, 0x0
	s_barrier
	buffer_gl0_inv
	s_clause 0x27
	buffer_load_dword v8, off, s[0:3], 0 offset:204
	buffer_load_dword v130, off, s[0:3], 0 offset:212
	;; [unrolled: 1-line block ×40, first 2 shown]
	v_mov_b32_e32 v1, 0
	ds_read2_b64 v[2:5], v1 offset0:69 offset1:70
	ds_read2_b64 v[98:101], v1 offset0:71 offset1:72
	;; [unrolled: 1-line block ×9, first 2 shown]
	ds_read_b64 v[6:7], v1 offset:696
	s_mov_b32 s4, exec_lo
	s_waitcnt vmcnt(39) lgkmcnt(9)
	v_mul_f32_e32 v169, v2, v8
	v_mul_f32_e32 v8, v3, v8
	s_waitcnt vmcnt(38)
	v_mul_f32_e32 v170, v4, v130
	v_mul_f32_e32 v130, v5, v130
	s_waitcnt vmcnt(37) lgkmcnt(8)
	v_mul_f32_e32 v171, v98, v131
	s_waitcnt vmcnt(36)
	v_mul_f32_e32 v172, v100, v132
	s_waitcnt vmcnt(35) lgkmcnt(7)
	v_mul_f32_e32 v173, v102, v133
	s_waitcnt vmcnt(34)
	;; [unrolled: 4-line block ×8, first 2 shown]
	v_fma_f32 v2, v2, v148, -v8
	v_fmac_f32_e32 v169, v3, v148
	v_mul_f32_e32 v3, v99, v131
	s_waitcnt vmcnt(19)
	v_fma_f32 v4, v4, v149, -v130
	v_fmac_f32_e32 v170, v5, v149
	v_add_f32_e32 v2, 0, v2
	v_add_f32_e32 v5, 0, v169
	v_mul_f32_e32 v8, v101, v132
	s_waitcnt vmcnt(18)
	v_fma_f32 v3, v98, v150, -v3
	v_fmac_f32_e32 v171, v99, v150
	v_add_f32_e32 v2, v2, v4
	v_add_f32_e32 v4, v5, v170
	;; [unrolled: 6-line block ×15, first 2 shown]
	v_mul_f32_e32 v4, v129, v146
	s_waitcnt vmcnt(4)
	v_fma_f32 v5, v126, v164, -v5
	v_mul_f32_e32 v186, v128, v146
	v_add_f32_e32 v2, v2, v8
	v_fmac_f32_e32 v185, v127, v164
	v_add_f32_e32 v3, v3, v184
	s_waitcnt lgkmcnt(0)
	v_mul_f32_e32 v8, v7, v147
	s_waitcnt vmcnt(3)
	v_fma_f32 v4, v128, v165, -v4
	v_add_f32_e32 v2, v2, v5
	v_mul_f32_e32 v187, v6, v147
	v_fmac_f32_e32 v186, v129, v165
	v_add_f32_e32 v3, v3, v185
	s_waitcnt vmcnt(2)
	v_fma_f32 v5, v6, v166, -v8
	v_add_f32_e32 v2, v2, v4
	v_fmac_f32_e32 v187, v7, v166
	v_add_f32_e32 v3, v3, v186
	v_add_f32_e32 v2, v2, v5
	;; [unrolled: 1-line block ×3, first 2 shown]
	s_waitcnt vmcnt(1)
	v_sub_f32_e32 v2, v167, v2
	s_waitcnt vmcnt(0)
	v_sub_f32_e32 v3, v168, v3
	buffer_store_dword v2, off, s[0:3], 0 offset:192
	buffer_store_dword v3, off, s[0:3], 0 offset:196
	v_cmpx_lt_u32_e32 23, v0
	s_cbranch_execz .LBB43_231
; %bb.230:
	s_clause 0x1
	buffer_load_dword v2, off, s[0:3], 0 offset:184
	buffer_load_dword v3, off, s[0:3], 0 offset:188
	buffer_store_dword v1, off, s[0:3], 0 offset:184
	buffer_store_dword v1, off, s[0:3], 0 offset:188
	s_waitcnt vmcnt(0)
	ds_write_b64 v97, v[2:3]
.LBB43_231:
	s_or_b32 exec_lo, exec_lo, s4
	s_waitcnt lgkmcnt(0)
	s_waitcnt_vscnt null, 0x0
	s_barrier
	buffer_gl0_inv
	s_clause 0x29
	buffer_load_dword v6, off, s[0:3], 0 offset:196
	buffer_load_dword v7, off, s[0:3], 0 offset:204
	;; [unrolled: 1-line block ×42, first 2 shown]
	ds_read_b128 v[2:5], v1 offset:544
	ds_read_b128 v[98:101], v1 offset:560
	;; [unrolled: 1-line block ×10, first 2 shown]
	s_mov_b32 s4, exec_lo
	s_waitcnt vmcnt(41) lgkmcnt(9)
	v_mul_f32_e32 v1, v2, v6
	v_mul_f32_e32 v6, v3, v6
	s_waitcnt vmcnt(40)
	v_mul_f32_e32 v173, v4, v7
	v_mul_f32_e32 v7, v5, v7
	s_waitcnt vmcnt(39) lgkmcnt(8)
	v_mul_f32_e32 v174, v98, v8
	s_waitcnt vmcnt(38)
	v_mul_f32_e32 v175, v100, v134
	s_waitcnt vmcnt(37) lgkmcnt(7)
	v_mul_f32_e32 v176, v102, v135
	s_waitcnt vmcnt(36)
	;; [unrolled: 4-line block ×8, first 2 shown]
	v_mul_f32_e32 v189, v128, v148
	s_waitcnt vmcnt(21)
	v_fma_f32 v2, v2, v151, -v6
	v_fmac_f32_e32 v1, v3, v151
	v_mul_f32_e32 v3, v99, v8
	s_waitcnt vmcnt(20)
	v_fma_f32 v4, v4, v152, -v7
	v_fmac_f32_e32 v173, v5, v152
	v_add_f32_e32 v2, 0, v2
	v_add_f32_e32 v1, 0, v1
	v_mul_f32_e32 v5, v101, v134
	s_waitcnt vmcnt(19)
	v_fma_f32 v3, v98, v153, -v3
	v_fmac_f32_e32 v174, v99, v153
	v_add_f32_e32 v2, v2, v4
	v_add_f32_e32 v1, v1, v173
	;; [unrolled: 6-line block ×16, first 2 shown]
	s_waitcnt lgkmcnt(0)
	v_mul_f32_e32 v5, v131, v149
	s_waitcnt vmcnt(4)
	v_fma_f32 v3, v128, v168, -v3
	v_mul_f32_e32 v190, v130, v149
	v_add_f32_e32 v2, v2, v4
	v_fmac_f32_e32 v189, v129, v168
	v_add_f32_e32 v1, v1, v188
	v_mul_f32_e32 v4, v133, v150
	s_waitcnt vmcnt(3)
	v_fma_f32 v5, v130, v169, -v5
	v_add_f32_e32 v2, v2, v3
	v_mul_f32_e32 v191, v132, v150
	v_fmac_f32_e32 v190, v131, v169
	v_add_f32_e32 v1, v1, v189
	s_waitcnt vmcnt(2)
	v_fma_f32 v3, v132, v170, -v4
	v_add_f32_e32 v2, v2, v5
	v_fmac_f32_e32 v191, v133, v170
	v_add_f32_e32 v1, v1, v190
	v_add_f32_e32 v2, v2, v3
	v_add_f32_e32 v1, v1, v191
	s_waitcnt vmcnt(1)
	v_sub_f32_e32 v2, v171, v2
	s_waitcnt vmcnt(0)
	v_sub_f32_e32 v1, v172, v1
	buffer_store_dword v2, off, s[0:3], 0 offset:184
	buffer_store_dword v1, off, s[0:3], 0 offset:188
	v_cmpx_lt_u32_e32 22, v0
	s_cbranch_execz .LBB43_233
; %bb.232:
	s_clause 0x1
	buffer_load_dword v1, off, s[0:3], 0 offset:176
	buffer_load_dword v2, off, s[0:3], 0 offset:180
	v_mov_b32_e32 v3, 0
	buffer_store_dword v3, off, s[0:3], 0 offset:176
	buffer_store_dword v3, off, s[0:3], 0 offset:180
	s_waitcnt vmcnt(0)
	ds_write_b64 v97, v[1:2]
.LBB43_233:
	s_or_b32 exec_lo, exec_lo, s4
	s_waitcnt lgkmcnt(0)
	s_waitcnt_vscnt null, 0x0
	s_barrier
	buffer_gl0_inv
	s_clause 0x2b
	buffer_load_dword v8, off, s[0:3], 0 offset:188
	buffer_load_dword v134, off, s[0:3], 0 offset:196
	;; [unrolled: 1-line block ×44, first 2 shown]
	v_mov_b32_e32 v1, 0
	ds_read2_b64 v[2:5], v1 offset0:67 offset1:68
	ds_read2_b64 v[98:101], v1 offset0:69 offset1:70
	;; [unrolled: 1-line block ×10, first 2 shown]
	ds_read_b64 v[6:7], v1 offset:696
	s_mov_b32 s4, exec_lo
	s_waitcnt vmcnt(43) lgkmcnt(10)
	v_mul_f32_e32 v177, v2, v8
	v_mul_f32_e32 v8, v3, v8
	s_waitcnt vmcnt(42)
	v_mul_f32_e32 v178, v4, v134
	v_mul_f32_e32 v134, v5, v134
	s_waitcnt vmcnt(41) lgkmcnt(9)
	v_mul_f32_e32 v179, v98, v135
	s_waitcnt vmcnt(40)
	v_mul_f32_e32 v180, v100, v136
	s_waitcnt vmcnt(39) lgkmcnt(8)
	v_mul_f32_e32 v181, v102, v137
	s_waitcnt vmcnt(38)
	;; [unrolled: 4-line block ×9, first 2 shown]
	v_fma_f32 v2, v2, v154, -v8
	v_fmac_f32_e32 v177, v3, v154
	v_mul_f32_e32 v3, v99, v135
	s_waitcnt vmcnt(21)
	v_fma_f32 v4, v4, v155, -v134
	v_fmac_f32_e32 v178, v5, v155
	v_add_f32_e32 v2, 0, v2
	v_add_f32_e32 v5, 0, v177
	v_mul_f32_e32 v8, v101, v136
	s_waitcnt vmcnt(20)
	v_fma_f32 v3, v98, v156, -v3
	v_fmac_f32_e32 v179, v99, v156
	v_add_f32_e32 v2, v2, v4
	v_add_f32_e32 v4, v5, v178
	;; [unrolled: 6-line block ×17, first 2 shown]
	v_mul_f32_e32 v5, v133, v152
	s_waitcnt vmcnt(4)
	v_fma_f32 v8, v130, v172, -v8
	v_mul_f32_e32 v196, v132, v152
	v_add_f32_e32 v2, v2, v4
	v_fmac_f32_e32 v195, v131, v172
	v_add_f32_e32 v3, v3, v194
	s_waitcnt lgkmcnt(0)
	v_mul_f32_e32 v4, v7, v153
	s_waitcnt vmcnt(3)
	v_fma_f32 v5, v132, v173, -v5
	v_add_f32_e32 v2, v2, v8
	v_mul_f32_e32 v197, v6, v153
	v_fmac_f32_e32 v196, v133, v173
	v_add_f32_e32 v3, v3, v195
	s_waitcnt vmcnt(2)
	v_fma_f32 v4, v6, v174, -v4
	v_add_f32_e32 v2, v2, v5
	v_fmac_f32_e32 v197, v7, v174
	v_add_f32_e32 v3, v3, v196
	v_add_f32_e32 v2, v2, v4
	;; [unrolled: 1-line block ×3, first 2 shown]
	s_waitcnt vmcnt(1)
	v_sub_f32_e32 v2, v175, v2
	s_waitcnt vmcnt(0)
	v_sub_f32_e32 v3, v176, v3
	buffer_store_dword v2, off, s[0:3], 0 offset:176
	buffer_store_dword v3, off, s[0:3], 0 offset:180
	v_cmpx_lt_u32_e32 21, v0
	s_cbranch_execz .LBB43_235
; %bb.234:
	s_clause 0x1
	buffer_load_dword v2, off, s[0:3], 0 offset:168
	buffer_load_dword v3, off, s[0:3], 0 offset:172
	buffer_store_dword v1, off, s[0:3], 0 offset:168
	buffer_store_dword v1, off, s[0:3], 0 offset:172
	s_waitcnt vmcnt(0)
	ds_write_b64 v97, v[2:3]
.LBB43_235:
	s_or_b32 exec_lo, exec_lo, s4
	s_waitcnt lgkmcnt(0)
	s_waitcnt_vscnt null, 0x0
	s_barrier
	buffer_gl0_inv
	s_clause 0x2d
	buffer_load_dword v6, off, s[0:3], 0 offset:180
	buffer_load_dword v7, off, s[0:3], 0 offset:188
	;; [unrolled: 1-line block ×46, first 2 shown]
	ds_read_b128 v[2:5], v1 offset:528
	ds_read_b128 v[98:101], v1 offset:544
	;; [unrolled: 1-line block ×11, first 2 shown]
	s_mov_b32 s4, exec_lo
	s_waitcnt vmcnt(45) lgkmcnt(10)
	v_mul_f32_e32 v1, v2, v6
	v_mul_f32_e32 v6, v3, v6
	s_waitcnt vmcnt(44)
	v_mul_f32_e32 v181, v4, v7
	v_mul_f32_e32 v7, v5, v7
	s_waitcnt vmcnt(43) lgkmcnt(9)
	v_mul_f32_e32 v182, v98, v8
	s_waitcnt vmcnt(42)
	v_mul_f32_e32 v183, v100, v138
	s_waitcnt vmcnt(41) lgkmcnt(8)
	v_mul_f32_e32 v184, v102, v139
	s_waitcnt vmcnt(40)
	;; [unrolled: 4-line block ×9, first 2 shown]
	v_mul_f32_e32 v199, v132, v154
	s_waitcnt vmcnt(23)
	v_fma_f32 v2, v2, v157, -v6
	v_fmac_f32_e32 v1, v3, v157
	v_mul_f32_e32 v3, v99, v8
	s_waitcnt vmcnt(22)
	v_fma_f32 v4, v4, v158, -v7
	v_fmac_f32_e32 v181, v5, v158
	v_add_f32_e32 v2, 0, v2
	v_add_f32_e32 v1, 0, v1
	v_mul_f32_e32 v5, v101, v138
	s_waitcnt vmcnt(21)
	v_fma_f32 v3, v98, v159, -v3
	v_fmac_f32_e32 v182, v99, v159
	v_add_f32_e32 v2, v2, v4
	v_add_f32_e32 v1, v1, v181
	;; [unrolled: 6-line block ×18, first 2 shown]
	s_waitcnt lgkmcnt(0)
	v_mul_f32_e32 v3, v135, v155
	s_waitcnt vmcnt(4)
	v_fma_f32 v4, v132, v176, -v4
	v_mul_f32_e32 v200, v134, v155
	v_add_f32_e32 v2, v2, v5
	v_fmac_f32_e32 v199, v133, v176
	v_add_f32_e32 v1, v1, v198
	v_mul_f32_e32 v5, v137, v156
	s_waitcnt vmcnt(3)
	v_fma_f32 v3, v134, v177, -v3
	v_add_f32_e32 v2, v2, v4
	v_mul_f32_e32 v201, v136, v156
	v_fmac_f32_e32 v200, v135, v177
	v_add_f32_e32 v1, v1, v199
	s_waitcnt vmcnt(2)
	v_fma_f32 v4, v136, v178, -v5
	v_add_f32_e32 v2, v2, v3
	v_fmac_f32_e32 v201, v137, v178
	v_add_f32_e32 v1, v1, v200
	v_add_f32_e32 v2, v2, v4
	;; [unrolled: 1-line block ×3, first 2 shown]
	s_waitcnt vmcnt(1)
	v_sub_f32_e32 v2, v179, v2
	s_waitcnt vmcnt(0)
	v_sub_f32_e32 v1, v180, v1
	buffer_store_dword v2, off, s[0:3], 0 offset:168
	buffer_store_dword v1, off, s[0:3], 0 offset:172
	v_cmpx_lt_u32_e32 20, v0
	s_cbranch_execz .LBB43_237
; %bb.236:
	s_clause 0x1
	buffer_load_dword v1, off, s[0:3], 0 offset:160
	buffer_load_dword v2, off, s[0:3], 0 offset:164
	v_mov_b32_e32 v3, 0
	buffer_store_dword v3, off, s[0:3], 0 offset:160
	buffer_store_dword v3, off, s[0:3], 0 offset:164
	s_waitcnt vmcnt(0)
	ds_write_b64 v97, v[1:2]
.LBB43_237:
	s_or_b32 exec_lo, exec_lo, s4
	s_waitcnt lgkmcnt(0)
	s_waitcnt_vscnt null, 0x0
	s_barrier
	buffer_gl0_inv
	s_clause 0x2f
	buffer_load_dword v8, off, s[0:3], 0 offset:172
	buffer_load_dword v138, off, s[0:3], 0 offset:180
	;; [unrolled: 1-line block ×48, first 2 shown]
	v_mov_b32_e32 v1, 0
	ds_read2_b64 v[2:5], v1 offset0:65 offset1:66
	ds_read2_b64 v[98:101], v1 offset0:67 offset1:68
	;; [unrolled: 1-line block ×11, first 2 shown]
	ds_read_b64 v[6:7], v1 offset:696
	s_mov_b32 s4, exec_lo
	s_waitcnt vmcnt(47) lgkmcnt(11)
	v_mul_f32_e32 v185, v2, v8
	v_mul_f32_e32 v8, v3, v8
	s_waitcnt vmcnt(46)
	v_mul_f32_e32 v186, v4, v138
	v_mul_f32_e32 v138, v5, v138
	s_waitcnt vmcnt(45) lgkmcnt(10)
	v_mul_f32_e32 v187, v98, v139
	s_waitcnt vmcnt(44)
	v_mul_f32_e32 v188, v100, v140
	s_waitcnt vmcnt(43) lgkmcnt(9)
	v_mul_f32_e32 v189, v102, v141
	s_waitcnt vmcnt(42)
	;; [unrolled: 4-line block ×10, first 2 shown]
	v_fma_f32 v2, v2, v160, -v8
	v_fmac_f32_e32 v185, v3, v160
	v_mul_f32_e32 v3, v99, v139
	s_waitcnt vmcnt(23)
	v_fma_f32 v4, v4, v161, -v138
	v_fmac_f32_e32 v186, v5, v161
	v_add_f32_e32 v2, 0, v2
	v_add_f32_e32 v5, 0, v185
	v_mul_f32_e32 v8, v101, v140
	s_waitcnt vmcnt(22)
	v_fma_f32 v3, v98, v162, -v3
	v_fmac_f32_e32 v187, v99, v162
	v_add_f32_e32 v2, v2, v4
	v_add_f32_e32 v4, v5, v186
	;; [unrolled: 6-line block ×19, first 2 shown]
	v_mul_f32_e32 v8, v137, v158
	s_waitcnt vmcnt(4)
	v_fma_f32 v4, v134, v180, -v4
	v_mul_f32_e32 v206, v136, v158
	v_add_f32_e32 v2, v2, v5
	v_fmac_f32_e32 v205, v135, v180
	v_add_f32_e32 v3, v3, v204
	s_waitcnt lgkmcnt(0)
	v_mul_f32_e32 v5, v7, v159
	s_waitcnt vmcnt(3)
	v_fma_f32 v8, v136, v181, -v8
	v_add_f32_e32 v2, v2, v4
	v_mul_f32_e32 v207, v6, v159
	v_fmac_f32_e32 v206, v137, v181
	v_add_f32_e32 v3, v3, v205
	s_waitcnt vmcnt(2)
	v_fma_f32 v4, v6, v182, -v5
	v_add_f32_e32 v2, v2, v8
	v_fmac_f32_e32 v207, v7, v182
	v_add_f32_e32 v3, v3, v206
	v_add_f32_e32 v2, v2, v4
	v_add_f32_e32 v3, v3, v207
	s_waitcnt vmcnt(1)
	v_sub_f32_e32 v2, v183, v2
	s_waitcnt vmcnt(0)
	v_sub_f32_e32 v3, v184, v3
	buffer_store_dword v2, off, s[0:3], 0 offset:160
	buffer_store_dword v3, off, s[0:3], 0 offset:164
	v_cmpx_lt_u32_e32 19, v0
	s_cbranch_execz .LBB43_239
; %bb.238:
	s_clause 0x1
	buffer_load_dword v2, off, s[0:3], 0 offset:152
	buffer_load_dword v3, off, s[0:3], 0 offset:156
	buffer_store_dword v1, off, s[0:3], 0 offset:152
	buffer_store_dword v1, off, s[0:3], 0 offset:156
	s_waitcnt vmcnt(0)
	ds_write_b64 v97, v[2:3]
.LBB43_239:
	s_or_b32 exec_lo, exec_lo, s4
	s_waitcnt lgkmcnt(0)
	s_waitcnt_vscnt null, 0x0
	s_barrier
	buffer_gl0_inv
	s_clause 0x31
	buffer_load_dword v6, off, s[0:3], 0 offset:164
	buffer_load_dword v7, off, s[0:3], 0 offset:172
	;; [unrolled: 1-line block ×50, first 2 shown]
	ds_read_b128 v[2:5], v1 offset:512
	ds_read_b128 v[98:101], v1 offset:528
	;; [unrolled: 1-line block ×12, first 2 shown]
	s_mov_b32 s4, exec_lo
	s_waitcnt vmcnt(49) lgkmcnt(11)
	v_mul_f32_e32 v1, v2, v6
	v_mul_f32_e32 v6, v3, v6
	s_waitcnt vmcnt(48)
	v_mul_f32_e32 v189, v4, v7
	v_mul_f32_e32 v7, v5, v7
	s_waitcnt vmcnt(47) lgkmcnt(10)
	v_mul_f32_e32 v190, v98, v8
	s_waitcnt vmcnt(46)
	v_mul_f32_e32 v191, v100, v142
	s_waitcnt vmcnt(45) lgkmcnt(9)
	v_mul_f32_e32 v192, v102, v143
	s_waitcnt vmcnt(44)
	;; [unrolled: 4-line block ×10, first 2 shown]
	v_mul_f32_e32 v209, v136, v160
	s_waitcnt vmcnt(25)
	v_fma_f32 v2, v2, v163, -v6
	v_fmac_f32_e32 v1, v3, v163
	v_mul_f32_e32 v3, v99, v8
	s_waitcnt vmcnt(24)
	v_fma_f32 v4, v4, v164, -v7
	v_fmac_f32_e32 v189, v5, v164
	v_add_f32_e32 v2, 0, v2
	v_add_f32_e32 v1, 0, v1
	v_mul_f32_e32 v5, v101, v142
	s_waitcnt vmcnt(23)
	v_fma_f32 v3, v98, v165, -v3
	v_fmac_f32_e32 v190, v99, v165
	v_add_f32_e32 v2, v2, v4
	v_add_f32_e32 v1, v1, v189
	;; [unrolled: 6-line block ×20, first 2 shown]
	s_waitcnt lgkmcnt(0)
	v_mul_f32_e32 v4, v139, v161
	s_waitcnt vmcnt(4)
	v_fma_f32 v5, v136, v184, -v5
	v_mul_f32_e32 v210, v138, v161
	v_add_f32_e32 v2, v2, v3
	v_fmac_f32_e32 v209, v137, v184
	v_add_f32_e32 v1, v1, v208
	v_mul_f32_e32 v3, v141, v162
	s_waitcnt vmcnt(3)
	v_fma_f32 v4, v138, v185, -v4
	v_add_f32_e32 v2, v2, v5
	v_mul_f32_e32 v211, v140, v162
	v_fmac_f32_e32 v210, v139, v185
	v_add_f32_e32 v1, v1, v209
	s_waitcnt vmcnt(2)
	v_fma_f32 v3, v140, v186, -v3
	v_add_f32_e32 v2, v2, v4
	v_fmac_f32_e32 v211, v141, v186
	v_add_f32_e32 v1, v1, v210
	v_add_f32_e32 v2, v2, v3
	;; [unrolled: 1-line block ×3, first 2 shown]
	s_waitcnt vmcnt(1)
	v_sub_f32_e32 v2, v187, v2
	s_waitcnt vmcnt(0)
	v_sub_f32_e32 v1, v188, v1
	buffer_store_dword v2, off, s[0:3], 0 offset:152
	buffer_store_dword v1, off, s[0:3], 0 offset:156
	v_cmpx_lt_u32_e32 18, v0
	s_cbranch_execz .LBB43_241
; %bb.240:
	s_clause 0x1
	buffer_load_dword v1, off, s[0:3], 0 offset:144
	buffer_load_dword v2, off, s[0:3], 0 offset:148
	v_mov_b32_e32 v3, 0
	buffer_store_dword v3, off, s[0:3], 0 offset:144
	buffer_store_dword v3, off, s[0:3], 0 offset:148
	s_waitcnt vmcnt(0)
	ds_write_b64 v97, v[1:2]
.LBB43_241:
	s_or_b32 exec_lo, exec_lo, s4
	s_waitcnt lgkmcnt(0)
	s_waitcnt_vscnt null, 0x0
	s_barrier
	buffer_gl0_inv
	s_clause 0x33
	buffer_load_dword v8, off, s[0:3], 0 offset:156
	buffer_load_dword v142, off, s[0:3], 0 offset:164
	;; [unrolled: 1-line block ×52, first 2 shown]
	v_mov_b32_e32 v1, 0
	ds_read2_b64 v[2:5], v1 offset0:63 offset1:64
	ds_read2_b64 v[98:101], v1 offset0:65 offset1:66
	;; [unrolled: 1-line block ×12, first 2 shown]
	ds_read_b64 v[6:7], v1 offset:696
	s_mov_b32 s4, exec_lo
	s_waitcnt vmcnt(51) lgkmcnt(12)
	v_mul_f32_e32 v193, v2, v8
	v_mul_f32_e32 v8, v3, v8
	s_waitcnt vmcnt(50)
	v_mul_f32_e32 v194, v4, v142
	v_mul_f32_e32 v142, v5, v142
	s_waitcnt vmcnt(49) lgkmcnt(11)
	v_mul_f32_e32 v195, v98, v143
	s_waitcnt vmcnt(48)
	v_mul_f32_e32 v196, v100, v144
	s_waitcnt vmcnt(47) lgkmcnt(10)
	v_mul_f32_e32 v197, v102, v145
	s_waitcnt vmcnt(46)
	;; [unrolled: 4-line block ×11, first 2 shown]
	v_fma_f32 v2, v2, v166, -v8
	v_fmac_f32_e32 v193, v3, v166
	v_mul_f32_e32 v3, v99, v143
	s_waitcnt vmcnt(25)
	v_fma_f32 v4, v4, v167, -v142
	v_fmac_f32_e32 v194, v5, v167
	v_add_f32_e32 v2, 0, v2
	v_add_f32_e32 v5, 0, v193
	v_mul_f32_e32 v8, v101, v144
	s_waitcnt vmcnt(24)
	v_fma_f32 v3, v98, v168, -v3
	v_fmac_f32_e32 v195, v99, v168
	v_add_f32_e32 v2, v2, v4
	v_add_f32_e32 v4, v5, v194
	;; [unrolled: 6-line block ×21, first 2 shown]
	v_mul_f32_e32 v4, v141, v164
	s_waitcnt vmcnt(4)
	v_fma_f32 v5, v138, v188, -v5
	v_mul_f32_e32 v216, v140, v164
	v_add_f32_e32 v2, v2, v8
	v_fmac_f32_e32 v215, v139, v188
	v_add_f32_e32 v3, v3, v214
	s_waitcnt lgkmcnt(0)
	v_mul_f32_e32 v8, v7, v165
	s_waitcnt vmcnt(3)
	v_fma_f32 v4, v140, v189, -v4
	v_add_f32_e32 v2, v2, v5
	v_mul_f32_e32 v217, v6, v165
	v_fmac_f32_e32 v216, v141, v189
	v_add_f32_e32 v3, v3, v215
	s_waitcnt vmcnt(2)
	v_fma_f32 v5, v6, v190, -v8
	v_add_f32_e32 v2, v2, v4
	v_fmac_f32_e32 v217, v7, v190
	v_add_f32_e32 v3, v3, v216
	v_add_f32_e32 v2, v2, v5
	;; [unrolled: 1-line block ×3, first 2 shown]
	s_waitcnt vmcnt(1)
	v_sub_f32_e32 v2, v191, v2
	s_waitcnt vmcnt(0)
	v_sub_f32_e32 v3, v192, v3
	buffer_store_dword v2, off, s[0:3], 0 offset:144
	buffer_store_dword v3, off, s[0:3], 0 offset:148
	v_cmpx_lt_u32_e32 17, v0
	s_cbranch_execz .LBB43_243
; %bb.242:
	s_clause 0x1
	buffer_load_dword v2, off, s[0:3], 0 offset:136
	buffer_load_dword v3, off, s[0:3], 0 offset:140
	buffer_store_dword v1, off, s[0:3], 0 offset:136
	buffer_store_dword v1, off, s[0:3], 0 offset:140
	s_waitcnt vmcnt(0)
	ds_write_b64 v97, v[2:3]
.LBB43_243:
	s_or_b32 exec_lo, exec_lo, s4
	s_waitcnt lgkmcnt(0)
	s_waitcnt_vscnt null, 0x0
	s_barrier
	buffer_gl0_inv
	s_clause 0x35
	buffer_load_dword v6, off, s[0:3], 0 offset:148
	buffer_load_dword v7, off, s[0:3], 0 offset:156
	;; [unrolled: 1-line block ×54, first 2 shown]
	ds_read_b128 v[2:5], v1 offset:496
	ds_read_b128 v[98:101], v1 offset:512
	;; [unrolled: 1-line block ×13, first 2 shown]
	s_mov_b32 s4, exec_lo
	s_waitcnt vmcnt(53) lgkmcnt(12)
	v_mul_f32_e32 v1, v2, v6
	v_mul_f32_e32 v6, v3, v6
	s_waitcnt vmcnt(52)
	v_mul_f32_e32 v197, v4, v7
	v_mul_f32_e32 v7, v5, v7
	s_waitcnt vmcnt(51) lgkmcnt(11)
	v_mul_f32_e32 v198, v98, v8
	s_waitcnt vmcnt(50)
	v_mul_f32_e32 v199, v100, v146
	s_waitcnt vmcnt(49) lgkmcnt(10)
	v_mul_f32_e32 v200, v102, v147
	s_waitcnt vmcnt(48)
	;; [unrolled: 4-line block ×11, first 2 shown]
	v_mul_f32_e32 v219, v140, v166
	s_waitcnt vmcnt(27)
	v_fma_f32 v2, v2, v169, -v6
	v_fmac_f32_e32 v1, v3, v169
	v_mul_f32_e32 v3, v99, v8
	s_waitcnt vmcnt(26)
	v_fma_f32 v4, v4, v170, -v7
	v_fmac_f32_e32 v197, v5, v170
	v_add_f32_e32 v2, 0, v2
	v_add_f32_e32 v1, 0, v1
	v_mul_f32_e32 v5, v101, v146
	s_waitcnt vmcnt(25)
	v_fma_f32 v3, v98, v171, -v3
	v_fmac_f32_e32 v198, v99, v171
	v_add_f32_e32 v2, v2, v4
	v_add_f32_e32 v1, v1, v197
	;; [unrolled: 6-line block ×22, first 2 shown]
	s_waitcnt lgkmcnt(0)
	v_mul_f32_e32 v5, v143, v167
	s_waitcnt vmcnt(4)
	v_fma_f32 v3, v140, v192, -v3
	v_mul_f32_e32 v220, v142, v167
	v_add_f32_e32 v2, v2, v4
	v_fmac_f32_e32 v219, v141, v192
	v_add_f32_e32 v1, v1, v218
	v_mul_f32_e32 v4, v145, v168
	s_waitcnt vmcnt(3)
	v_fma_f32 v5, v142, v193, -v5
	v_add_f32_e32 v2, v2, v3
	v_mul_f32_e32 v221, v144, v168
	v_fmac_f32_e32 v220, v143, v193
	v_add_f32_e32 v1, v1, v219
	s_waitcnt vmcnt(2)
	v_fma_f32 v3, v144, v194, -v4
	v_add_f32_e32 v2, v2, v5
	v_fmac_f32_e32 v221, v145, v194
	v_add_f32_e32 v1, v1, v220
	v_add_f32_e32 v2, v2, v3
	;; [unrolled: 1-line block ×3, first 2 shown]
	s_waitcnt vmcnt(1)
	v_sub_f32_e32 v2, v195, v2
	s_waitcnt vmcnt(0)
	v_sub_f32_e32 v1, v196, v1
	buffer_store_dword v2, off, s[0:3], 0 offset:136
	buffer_store_dword v1, off, s[0:3], 0 offset:140
	v_cmpx_lt_u32_e32 16, v0
	s_cbranch_execz .LBB43_245
; %bb.244:
	s_clause 0x1
	buffer_load_dword v1, off, s[0:3], 0 offset:128
	buffer_load_dword v2, off, s[0:3], 0 offset:132
	v_mov_b32_e32 v3, 0
	buffer_store_dword v3, off, s[0:3], 0 offset:128
	buffer_store_dword v3, off, s[0:3], 0 offset:132
	s_waitcnt vmcnt(0)
	ds_write_b64 v97, v[1:2]
.LBB43_245:
	s_or_b32 exec_lo, exec_lo, s4
	s_waitcnt lgkmcnt(0)
	s_waitcnt_vscnt null, 0x0
	s_barrier
	buffer_gl0_inv
	s_clause 0x37
	buffer_load_dword v8, off, s[0:3], 0 offset:140
	buffer_load_dword v146, off, s[0:3], 0 offset:148
	buffer_load_dword v147, off, s[0:3], 0 offset:156
	buffer_load_dword v148, off, s[0:3], 0 offset:164
	buffer_load_dword v149, off, s[0:3], 0 offset:172
	buffer_load_dword v150, off, s[0:3], 0 offset:180
	buffer_load_dword v151, off, s[0:3], 0 offset:188
	buffer_load_dword v152, off, s[0:3], 0 offset:196
	buffer_load_dword v153, off, s[0:3], 0 offset:204
	buffer_load_dword v154, off, s[0:3], 0 offset:212
	buffer_load_dword v155, off, s[0:3], 0 offset:220
	buffer_load_dword v156, off, s[0:3], 0 offset:228
	buffer_load_dword v157, off, s[0:3], 0 offset:236
	buffer_load_dword v158, off, s[0:3], 0 offset:244
	buffer_load_dword v159, off, s[0:3], 0 offset:252
	buffer_load_dword v160, off, s[0:3], 0 offset:260
	buffer_load_dword v161, off, s[0:3], 0 offset:268
	buffer_load_dword v162, off, s[0:3], 0 offset:276
	buffer_load_dword v163, off, s[0:3], 0 offset:284
	buffer_load_dword v164, off, s[0:3], 0 offset:292
	buffer_load_dword v165, off, s[0:3], 0 offset:300
	buffer_load_dword v166, off, s[0:3], 0 offset:308
	buffer_load_dword v167, off, s[0:3], 0 offset:316
	buffer_load_dword v168, off, s[0:3], 0 offset:324
	buffer_load_dword v169, off, s[0:3], 0 offset:332
	buffer_load_dword v170, off, s[0:3], 0 offset:340
	buffer_load_dword v171, off, s[0:3], 0 offset:348
	buffer_load_dword v172, off, s[0:3], 0 offset:136
	buffer_load_dword v173, off, s[0:3], 0 offset:144
	buffer_load_dword v174, off, s[0:3], 0 offset:152
	buffer_load_dword v175, off, s[0:3], 0 offset:160
	buffer_load_dword v176, off, s[0:3], 0 offset:168
	buffer_load_dword v177, off, s[0:3], 0 offset:176
	buffer_load_dword v178, off, s[0:3], 0 offset:184
	buffer_load_dword v179, off, s[0:3], 0 offset:192
	buffer_load_dword v180, off, s[0:3], 0 offset:200
	buffer_load_dword v181, off, s[0:3], 0 offset:208
	buffer_load_dword v182, off, s[0:3], 0 offset:216
	buffer_load_dword v183, off, s[0:3], 0 offset:224
	buffer_load_dword v184, off, s[0:3], 0 offset:232
	buffer_load_dword v185, off, s[0:3], 0 offset:240
	buffer_load_dword v186, off, s[0:3], 0 offset:248
	buffer_load_dword v187, off, s[0:3], 0 offset:256
	buffer_load_dword v188, off, s[0:3], 0 offset:264
	buffer_load_dword v189, off, s[0:3], 0 offset:272
	buffer_load_dword v190, off, s[0:3], 0 offset:280
	buffer_load_dword v191, off, s[0:3], 0 offset:288
	buffer_load_dword v192, off, s[0:3], 0 offset:296
	buffer_load_dword v193, off, s[0:3], 0 offset:304
	buffer_load_dword v194, off, s[0:3], 0 offset:312
	buffer_load_dword v195, off, s[0:3], 0 offset:320
	buffer_load_dword v196, off, s[0:3], 0 offset:328
	buffer_load_dword v197, off, s[0:3], 0 offset:336
	buffer_load_dword v198, off, s[0:3], 0 offset:344
	buffer_load_dword v199, off, s[0:3], 0 offset:128
	buffer_load_dword v200, off, s[0:3], 0 offset:132
	v_mov_b32_e32 v1, 0
	ds_read2_b64 v[2:5], v1 offset0:61 offset1:62
	ds_read2_b64 v[98:101], v1 offset0:63 offset1:64
	;; [unrolled: 1-line block ×13, first 2 shown]
	ds_read_b64 v[6:7], v1 offset:696
	s_mov_b32 s4, exec_lo
	s_waitcnt vmcnt(55) lgkmcnt(13)
	v_mul_f32_e32 v201, v2, v8
	v_mul_f32_e32 v8, v3, v8
	s_waitcnt vmcnt(54)
	v_mul_f32_e32 v202, v4, v146
	v_mul_f32_e32 v146, v5, v146
	s_waitcnt vmcnt(53) lgkmcnt(12)
	v_mul_f32_e32 v203, v98, v147
	s_waitcnt vmcnt(52)
	v_mul_f32_e32 v204, v100, v148
	s_waitcnt vmcnt(51) lgkmcnt(11)
	v_mul_f32_e32 v205, v102, v149
	s_waitcnt vmcnt(50)
	;; [unrolled: 4-line block ×12, first 2 shown]
	v_fma_f32 v2, v2, v172, -v8
	v_fmac_f32_e32 v201, v3, v172
	v_mul_f32_e32 v3, v99, v147
	s_waitcnt vmcnt(27)
	v_fma_f32 v4, v4, v173, -v146
	v_fmac_f32_e32 v202, v5, v173
	v_add_f32_e32 v2, 0, v2
	v_add_f32_e32 v5, 0, v201
	v_mul_f32_e32 v8, v101, v148
	s_waitcnt vmcnt(26)
	v_fma_f32 v3, v98, v174, -v3
	v_fmac_f32_e32 v203, v99, v174
	v_add_f32_e32 v2, v2, v4
	v_add_f32_e32 v4, v5, v202
	;; [unrolled: 6-line block ×23, first 2 shown]
	v_mul_f32_e32 v5, v145, v170
	s_waitcnt vmcnt(4)
	v_fma_f32 v8, v142, v196, -v8
	v_mul_f32_e32 v226, v144, v170
	v_add_f32_e32 v2, v2, v4
	v_fmac_f32_e32 v225, v143, v196
	v_add_f32_e32 v3, v3, v224
	s_waitcnt lgkmcnt(0)
	v_mul_f32_e32 v4, v7, v171
	s_waitcnt vmcnt(3)
	v_fma_f32 v5, v144, v197, -v5
	v_add_f32_e32 v2, v2, v8
	v_mul_f32_e32 v227, v6, v171
	v_fmac_f32_e32 v226, v145, v197
	v_add_f32_e32 v3, v3, v225
	s_waitcnt vmcnt(2)
	v_fma_f32 v4, v6, v198, -v4
	v_add_f32_e32 v2, v2, v5
	v_fmac_f32_e32 v227, v7, v198
	v_add_f32_e32 v3, v3, v226
	v_add_f32_e32 v2, v2, v4
	;; [unrolled: 1-line block ×3, first 2 shown]
	s_waitcnt vmcnt(1)
	v_sub_f32_e32 v2, v199, v2
	s_waitcnt vmcnt(0)
	v_sub_f32_e32 v3, v200, v3
	buffer_store_dword v2, off, s[0:3], 0 offset:128
	buffer_store_dword v3, off, s[0:3], 0 offset:132
	v_cmpx_lt_u32_e32 15, v0
	s_cbranch_execz .LBB43_247
; %bb.246:
	s_clause 0x1
	buffer_load_dword v2, off, s[0:3], 0 offset:120
	buffer_load_dword v3, off, s[0:3], 0 offset:124
	buffer_store_dword v1, off, s[0:3], 0 offset:120
	buffer_store_dword v1, off, s[0:3], 0 offset:124
	s_waitcnt vmcnt(0)
	ds_write_b64 v97, v[2:3]
.LBB43_247:
	s_or_b32 exec_lo, exec_lo, s4
	s_waitcnt lgkmcnt(0)
	s_waitcnt_vscnt null, 0x0
	s_barrier
	buffer_gl0_inv
	s_clause 0x39
	buffer_load_dword v6, off, s[0:3], 0 offset:132
	buffer_load_dword v7, off, s[0:3], 0 offset:140
	;; [unrolled: 1-line block ×58, first 2 shown]
	ds_read_b128 v[2:5], v1 offset:480
	ds_read_b128 v[98:101], v1 offset:496
	;; [unrolled: 1-line block ×14, first 2 shown]
	s_mov_b32 s4, exec_lo
	s_waitcnt vmcnt(57) lgkmcnt(13)
	v_mul_f32_e32 v1, v2, v6
	v_mul_f32_e32 v6, v3, v6
	s_waitcnt vmcnt(56)
	v_mul_f32_e32 v205, v4, v7
	v_mul_f32_e32 v7, v5, v7
	s_waitcnt vmcnt(55) lgkmcnt(12)
	v_mul_f32_e32 v206, v98, v8
	s_waitcnt vmcnt(54)
	v_mul_f32_e32 v207, v100, v150
	s_waitcnt vmcnt(53) lgkmcnt(11)
	v_mul_f32_e32 v208, v102, v151
	s_waitcnt vmcnt(52)
	;; [unrolled: 4-line block ×12, first 2 shown]
	v_mul_f32_e32 v229, v144, v172
	s_waitcnt vmcnt(29)
	v_fma_f32 v2, v2, v175, -v6
	v_fmac_f32_e32 v1, v3, v175
	v_mul_f32_e32 v3, v99, v8
	s_waitcnt vmcnt(28)
	v_fma_f32 v4, v4, v176, -v7
	v_fmac_f32_e32 v205, v5, v176
	v_add_f32_e32 v2, 0, v2
	v_add_f32_e32 v1, 0, v1
	v_mul_f32_e32 v5, v101, v150
	s_waitcnt vmcnt(27)
	v_fma_f32 v3, v98, v177, -v3
	v_fmac_f32_e32 v206, v99, v177
	v_add_f32_e32 v2, v2, v4
	v_add_f32_e32 v1, v1, v205
	;; [unrolled: 6-line block ×24, first 2 shown]
	s_waitcnt lgkmcnt(0)
	v_mul_f32_e32 v3, v147, v173
	s_waitcnt vmcnt(4)
	v_fma_f32 v4, v144, v200, -v4
	v_mul_f32_e32 v230, v146, v173
	v_add_f32_e32 v2, v2, v5
	v_fmac_f32_e32 v229, v145, v200
	v_add_f32_e32 v1, v1, v228
	v_mul_f32_e32 v5, v149, v174
	s_waitcnt vmcnt(3)
	v_fma_f32 v3, v146, v201, -v3
	v_add_f32_e32 v2, v2, v4
	v_mul_f32_e32 v231, v148, v174
	v_fmac_f32_e32 v230, v147, v201
	v_add_f32_e32 v1, v1, v229
	s_waitcnt vmcnt(2)
	v_fma_f32 v4, v148, v202, -v5
	v_add_f32_e32 v2, v2, v3
	v_fmac_f32_e32 v231, v149, v202
	v_add_f32_e32 v1, v1, v230
	v_add_f32_e32 v2, v2, v4
	;; [unrolled: 1-line block ×3, first 2 shown]
	s_waitcnt vmcnt(1)
	v_sub_f32_e32 v2, v203, v2
	s_waitcnt vmcnt(0)
	v_sub_f32_e32 v1, v204, v1
	buffer_store_dword v2, off, s[0:3], 0 offset:120
	buffer_store_dword v1, off, s[0:3], 0 offset:124
	v_cmpx_lt_u32_e32 14, v0
	s_cbranch_execz .LBB43_249
; %bb.248:
	s_clause 0x1
	buffer_load_dword v1, off, s[0:3], 0 offset:112
	buffer_load_dword v2, off, s[0:3], 0 offset:116
	v_mov_b32_e32 v3, 0
	buffer_store_dword v3, off, s[0:3], 0 offset:112
	buffer_store_dword v3, off, s[0:3], 0 offset:116
	s_waitcnt vmcnt(0)
	ds_write_b64 v97, v[1:2]
.LBB43_249:
	s_or_b32 exec_lo, exec_lo, s4
	s_waitcnt lgkmcnt(0)
	s_waitcnt_vscnt null, 0x0
	s_barrier
	buffer_gl0_inv
	s_clause 0x3b
	buffer_load_dword v8, off, s[0:3], 0 offset:124
	buffer_load_dword v150, off, s[0:3], 0 offset:132
	;; [unrolled: 1-line block ×60, first 2 shown]
	v_mov_b32_e32 v1, 0
	ds_read2_b64 v[2:5], v1 offset0:59 offset1:60
	ds_read2_b64 v[98:101], v1 offset0:61 offset1:62
	;; [unrolled: 1-line block ×14, first 2 shown]
	ds_read_b64 v[6:7], v1 offset:696
	s_mov_b32 s4, exec_lo
	s_waitcnt vmcnt(59) lgkmcnt(14)
	v_mul_f32_e32 v209, v2, v8
	v_mul_f32_e32 v8, v3, v8
	s_waitcnt vmcnt(58)
	v_mul_f32_e32 v210, v4, v150
	v_mul_f32_e32 v150, v5, v150
	s_waitcnt vmcnt(57) lgkmcnt(13)
	v_mul_f32_e32 v211, v98, v151
	s_waitcnt vmcnt(56)
	v_mul_f32_e32 v212, v100, v152
	s_waitcnt vmcnt(55) lgkmcnt(12)
	v_mul_f32_e32 v213, v102, v153
	s_waitcnt vmcnt(54)
	;; [unrolled: 4-line block ×13, first 2 shown]
	v_fma_f32 v2, v2, v178, -v8
	v_fmac_f32_e32 v209, v3, v178
	v_mul_f32_e32 v3, v99, v151
	s_waitcnt vmcnt(29)
	v_fma_f32 v4, v4, v179, -v150
	v_fmac_f32_e32 v210, v5, v179
	v_add_f32_e32 v2, 0, v2
	v_add_f32_e32 v5, 0, v209
	v_mul_f32_e32 v8, v101, v152
	s_waitcnt vmcnt(28)
	v_fma_f32 v3, v98, v180, -v3
	v_fmac_f32_e32 v211, v99, v180
	v_add_f32_e32 v2, v2, v4
	v_add_f32_e32 v4, v5, v210
	v_mul_f32_e32 v5, v103, v153
	s_waitcnt vmcnt(27)
	v_fma_f32 v8, v100, v181, -v8
	v_fmac_f32_e32 v212, v101, v181
	v_add_f32_e32 v2, v2, v3
	v_add_f32_e32 v3, v4, v211
	v_mul_f32_e32 v4, v105, v154
	s_waitcnt vmcnt(26)
	v_fma_f32 v5, v102, v182, -v5
	v_fmac_f32_e32 v213, v103, v182
	v_add_f32_e32 v2, v2, v8
	v_add_f32_e32 v3, v3, v212
	v_mul_f32_e32 v8, v107, v155
	s_waitcnt vmcnt(25)
	v_fma_f32 v4, v104, v183, -v4
	v_fmac_f32_e32 v214, v105, v183
	v_add_f32_e32 v2, v2, v5
	v_add_f32_e32 v3, v3, v213
	v_mul_f32_e32 v5, v109, v156
	s_waitcnt vmcnt(24)
	v_fma_f32 v8, v106, v184, -v8
	v_fmac_f32_e32 v215, v107, v184
	v_add_f32_e32 v2, v2, v4
	v_add_f32_e32 v3, v3, v214
	v_mul_f32_e32 v4, v111, v157
	s_waitcnt vmcnt(23)
	v_fma_f32 v5, v108, v185, -v5
	v_fmac_f32_e32 v216, v109, v185
	v_add_f32_e32 v2, v2, v8
	v_add_f32_e32 v3, v3, v215
	v_mul_f32_e32 v8, v113, v158
	s_waitcnt vmcnt(22)
	v_fma_f32 v4, v110, v186, -v4
	v_fmac_f32_e32 v217, v111, v186
	v_add_f32_e32 v2, v2, v5
	v_add_f32_e32 v3, v3, v216
	v_mul_f32_e32 v5, v115, v159
	s_waitcnt vmcnt(21)
	v_fma_f32 v8, v112, v187, -v8
	v_fmac_f32_e32 v218, v113, v187
	v_add_f32_e32 v2, v2, v4
	v_add_f32_e32 v3, v3, v217
	v_mul_f32_e32 v4, v117, v160
	s_waitcnt vmcnt(20)
	v_fma_f32 v5, v114, v188, -v5
	v_fmac_f32_e32 v219, v115, v188
	v_add_f32_e32 v2, v2, v8
	v_add_f32_e32 v3, v3, v218
	v_mul_f32_e32 v8, v119, v161
	s_waitcnt vmcnt(19)
	v_fma_f32 v4, v116, v189, -v4
	v_fmac_f32_e32 v220, v117, v189
	v_add_f32_e32 v2, v2, v5
	v_add_f32_e32 v3, v3, v219
	v_mul_f32_e32 v5, v121, v162
	s_waitcnt vmcnt(18)
	v_fma_f32 v8, v118, v190, -v8
	v_fmac_f32_e32 v221, v119, v190
	v_add_f32_e32 v2, v2, v4
	v_add_f32_e32 v3, v3, v220
	v_mul_f32_e32 v4, v123, v163
	s_waitcnt vmcnt(17)
	v_fma_f32 v5, v120, v191, -v5
	v_fmac_f32_e32 v222, v121, v191
	v_add_f32_e32 v2, v2, v8
	v_add_f32_e32 v3, v3, v221
	v_mul_f32_e32 v8, v125, v164
	s_waitcnt vmcnt(16)
	v_fma_f32 v4, v122, v192, -v4
	v_fmac_f32_e32 v223, v123, v192
	v_add_f32_e32 v2, v2, v5
	v_add_f32_e32 v3, v3, v222
	v_mul_f32_e32 v5, v127, v165
	s_waitcnt vmcnt(15)
	v_fma_f32 v8, v124, v193, -v8
	v_fmac_f32_e32 v224, v125, v193
	v_add_f32_e32 v2, v2, v4
	v_add_f32_e32 v3, v3, v223
	v_mul_f32_e32 v4, v129, v166
	s_waitcnt vmcnt(14)
	v_fma_f32 v5, v126, v194, -v5
	v_fmac_f32_e32 v225, v127, v194
	v_add_f32_e32 v2, v2, v8
	v_add_f32_e32 v3, v3, v224
	v_mul_f32_e32 v8, v131, v167
	s_waitcnt vmcnt(13)
	v_fma_f32 v4, v128, v195, -v4
	v_fmac_f32_e32 v226, v129, v195
	v_add_f32_e32 v2, v2, v5
	v_add_f32_e32 v3, v3, v225
	v_mul_f32_e32 v5, v133, v168
	s_waitcnt vmcnt(12)
	v_fma_f32 v8, v130, v196, -v8
	v_fmac_f32_e32 v227, v131, v196
	v_add_f32_e32 v2, v2, v4
	v_add_f32_e32 v3, v3, v226
	v_mul_f32_e32 v4, v135, v169
	s_waitcnt vmcnt(11)
	v_fma_f32 v5, v132, v197, -v5
	v_fmac_f32_e32 v228, v133, v197
	v_add_f32_e32 v2, v2, v8
	v_add_f32_e32 v3, v3, v227
	v_mul_f32_e32 v8, v137, v170
	s_waitcnt vmcnt(10)
	v_fma_f32 v4, v134, v198, -v4
	v_fmac_f32_e32 v229, v135, v198
	v_add_f32_e32 v2, v2, v5
	v_add_f32_e32 v3, v3, v228
	v_mul_f32_e32 v5, v139, v171
	s_waitcnt vmcnt(9)
	v_fma_f32 v8, v136, v199, -v8
	v_fmac_f32_e32 v230, v137, v199
	v_add_f32_e32 v2, v2, v4
	v_add_f32_e32 v3, v3, v229
	v_mul_f32_e32 v4, v141, v172
	s_waitcnt vmcnt(8)
	v_fma_f32 v5, v138, v200, -v5
	v_fmac_f32_e32 v231, v139, v200
	v_add_f32_e32 v2, v2, v8
	v_add_f32_e32 v3, v3, v230
	v_mul_f32_e32 v8, v143, v173
	s_waitcnt vmcnt(7)
	v_fma_f32 v4, v140, v201, -v4
	v_fmac_f32_e32 v232, v141, v201
	v_add_f32_e32 v2, v2, v5
	v_add_f32_e32 v3, v3, v231
	v_mul_f32_e32 v5, v145, v174
	s_waitcnt vmcnt(6)
	v_fma_f32 v8, v142, v202, -v8
	v_fmac_f32_e32 v233, v143, v202
	v_add_f32_e32 v2, v2, v4
	v_add_f32_e32 v3, v3, v232
	v_mul_f32_e32 v4, v147, v175
	s_waitcnt vmcnt(5)
	v_fma_f32 v5, v144, v203, -v5
	v_fmac_f32_e32 v234, v145, v203
	v_add_f32_e32 v2, v2, v8
	v_add_f32_e32 v3, v3, v233
	v_mul_f32_e32 v8, v149, v176
	s_waitcnt vmcnt(4)
	v_fma_f32 v4, v146, v204, -v4
	v_mul_f32_e32 v236, v148, v176
	v_add_f32_e32 v2, v2, v5
	v_fmac_f32_e32 v235, v147, v204
	v_add_f32_e32 v3, v3, v234
	s_waitcnt lgkmcnt(0)
	v_mul_f32_e32 v5, v7, v177
	s_waitcnt vmcnt(3)
	v_fma_f32 v8, v148, v205, -v8
	v_add_f32_e32 v2, v2, v4
	v_mul_f32_e32 v237, v6, v177
	v_fmac_f32_e32 v236, v149, v205
	v_add_f32_e32 v3, v3, v235
	s_waitcnt vmcnt(2)
	v_fma_f32 v4, v6, v206, -v5
	v_add_f32_e32 v2, v2, v8
	v_fmac_f32_e32 v237, v7, v206
	v_add_f32_e32 v3, v3, v236
	v_add_f32_e32 v2, v2, v4
	;; [unrolled: 1-line block ×3, first 2 shown]
	s_waitcnt vmcnt(1)
	v_sub_f32_e32 v2, v207, v2
	s_waitcnt vmcnt(0)
	v_sub_f32_e32 v3, v208, v3
	buffer_store_dword v2, off, s[0:3], 0 offset:112
	buffer_store_dword v3, off, s[0:3], 0 offset:116
	v_cmpx_lt_u32_e32 13, v0
	s_cbranch_execz .LBB43_251
; %bb.250:
	s_clause 0x1
	buffer_load_dword v2, off, s[0:3], 0 offset:104
	buffer_load_dword v3, off, s[0:3], 0 offset:108
	buffer_store_dword v1, off, s[0:3], 0 offset:104
	buffer_store_dword v1, off, s[0:3], 0 offset:108
	s_waitcnt vmcnt(0)
	ds_write_b64 v97, v[2:3]
.LBB43_251:
	s_or_b32 exec_lo, exec_lo, s4
	s_waitcnt lgkmcnt(0)
	s_waitcnt_vscnt null, 0x0
	s_barrier
	buffer_gl0_inv
	s_clause 0x3d
	buffer_load_dword v6, off, s[0:3], 0 offset:116
	buffer_load_dword v7, off, s[0:3], 0 offset:124
	;; [unrolled: 1-line block ×62, first 2 shown]
	ds_read_b128 v[2:5], v1 offset:464
	ds_read_b128 v[98:101], v1 offset:480
	;; [unrolled: 1-line block ×15, first 2 shown]
	s_mov_b32 s4, exec_lo
	s_waitcnt vmcnt(61) lgkmcnt(14)
	v_mul_f32_e32 v1, v2, v6
	v_mul_f32_e32 v6, v3, v6
	s_waitcnt vmcnt(60)
	v_mul_f32_e32 v213, v4, v7
	v_mul_f32_e32 v7, v5, v7
	s_waitcnt vmcnt(59) lgkmcnt(13)
	v_mul_f32_e32 v214, v98, v8
	s_waitcnt vmcnt(58)
	v_mul_f32_e32 v215, v100, v154
	s_waitcnt vmcnt(57) lgkmcnt(12)
	v_mul_f32_e32 v216, v102, v155
	s_waitcnt vmcnt(56)
	;; [unrolled: 4-line block ×13, first 2 shown]
	v_mul_f32_e32 v239, v148, v178
	s_waitcnt vmcnt(31)
	v_fma_f32 v2, v2, v181, -v6
	v_fmac_f32_e32 v1, v3, v181
	v_mul_f32_e32 v3, v99, v8
	s_waitcnt vmcnt(30)
	v_fma_f32 v4, v4, v182, -v7
	v_fmac_f32_e32 v213, v5, v182
	v_add_f32_e32 v2, 0, v2
	v_add_f32_e32 v1, 0, v1
	v_mul_f32_e32 v5, v101, v154
	s_waitcnt vmcnt(29)
	v_fma_f32 v3, v98, v183, -v3
	v_fmac_f32_e32 v214, v99, v183
	v_add_f32_e32 v2, v2, v4
	v_add_f32_e32 v1, v1, v213
	;; [unrolled: 6-line block ×26, first 2 shown]
	s_waitcnt lgkmcnt(0)
	v_mul_f32_e32 v4, v151, v179
	s_waitcnt vmcnt(4)
	v_fma_f32 v5, v148, v208, -v5
	v_mul_f32_e32 v240, v150, v179
	v_add_f32_e32 v2, v2, v3
	v_fmac_f32_e32 v239, v149, v208
	v_add_f32_e32 v1, v1, v238
	v_mul_f32_e32 v3, v153, v180
	s_waitcnt vmcnt(3)
	v_fma_f32 v4, v150, v209, -v4
	v_add_f32_e32 v2, v2, v5
	v_mul_f32_e32 v241, v152, v180
	v_fmac_f32_e32 v240, v151, v209
	v_add_f32_e32 v1, v1, v239
	s_waitcnt vmcnt(2)
	v_fma_f32 v3, v152, v210, -v3
	v_add_f32_e32 v2, v2, v4
	v_fmac_f32_e32 v241, v153, v210
	v_add_f32_e32 v1, v1, v240
	v_add_f32_e32 v2, v2, v3
	;; [unrolled: 1-line block ×3, first 2 shown]
	s_waitcnt vmcnt(1)
	v_sub_f32_e32 v2, v211, v2
	s_waitcnt vmcnt(0)
	v_sub_f32_e32 v1, v212, v1
	buffer_store_dword v2, off, s[0:3], 0 offset:104
	buffer_store_dword v1, off, s[0:3], 0 offset:108
	v_cmpx_lt_u32_e32 12, v0
	s_cbranch_execz .LBB43_253
; %bb.252:
	s_clause 0x1
	buffer_load_dword v1, off, s[0:3], 0 offset:96
	buffer_load_dword v2, off, s[0:3], 0 offset:100
	v_mov_b32_e32 v3, 0
	buffer_store_dword v3, off, s[0:3], 0 offset:96
	buffer_store_dword v3, off, s[0:3], 0 offset:100
	s_waitcnt vmcnt(0)
	ds_write_b64 v97, v[1:2]
.LBB43_253:
	s_or_b32 exec_lo, exec_lo, s4
	s_waitcnt lgkmcnt(0)
	s_waitcnt_vscnt null, 0x0
	s_barrier
	buffer_gl0_inv
	s_clause 0x3e
	buffer_load_dword v8, off, s[0:3], 0 offset:108
	buffer_load_dword v154, off, s[0:3], 0 offset:116
	;; [unrolled: 1-line block ×64, first 2 shown]
	v_mov_b32_e32 v1, 0
	ds_read2_b64 v[2:5], v1 offset0:57 offset1:58
	ds_read2_b64 v[98:101], v1 offset0:59 offset1:60
	;; [unrolled: 1-line block ×15, first 2 shown]
	ds_read_b64 v[6:7], v1 offset:696
	s_mov_b32 s4, exec_lo
	s_waitcnt vmcnt(62) lgkmcnt(15)
	v_mul_f32_e32 v217, v2, v8
	v_mul_f32_e32 v8, v3, v8
	;; [unrolled: 1-line block ×4, first 2 shown]
	s_waitcnt vmcnt(61) lgkmcnt(14)
	v_mul_f32_e32 v219, v98, v155
	s_waitcnt vmcnt(60)
	v_mul_f32_e32 v220, v100, v156
	s_waitcnt vmcnt(59) lgkmcnt(13)
	v_mul_f32_e32 v221, v102, v157
	s_waitcnt vmcnt(58)
	v_mul_f32_e32 v222, v104, v158
	s_waitcnt vmcnt(57) lgkmcnt(12)
	v_mul_f32_e32 v223, v106, v159
	s_waitcnt vmcnt(56)
	v_mul_f32_e32 v224, v108, v160
	s_waitcnt vmcnt(55) lgkmcnt(11)
	v_mul_f32_e32 v225, v110, v161
	s_waitcnt vmcnt(54)
	v_mul_f32_e32 v226, v112, v162
	s_waitcnt vmcnt(53) lgkmcnt(10)
	v_mul_f32_e32 v227, v114, v163
	s_waitcnt vmcnt(52)
	v_mul_f32_e32 v228, v116, v164
	s_waitcnt vmcnt(51) lgkmcnt(9)
	v_mul_f32_e32 v229, v118, v165
	s_waitcnt vmcnt(50)
	v_mul_f32_e32 v230, v120, v166
	s_waitcnt vmcnt(49) lgkmcnt(8)
	v_mul_f32_e32 v231, v122, v167
	s_waitcnt vmcnt(48)
	v_mul_f32_e32 v232, v124, v168
	s_waitcnt vmcnt(47) lgkmcnt(7)
	v_mul_f32_e32 v233, v126, v169
	s_waitcnt vmcnt(46)
	v_mul_f32_e32 v234, v128, v170
	s_waitcnt vmcnt(45) lgkmcnt(6)
	v_mul_f32_e32 v235, v130, v171
	s_waitcnt vmcnt(44)
	v_mul_f32_e32 v236, v132, v172
	s_waitcnt vmcnt(43) lgkmcnt(5)
	v_mul_f32_e32 v237, v134, v173
	s_waitcnt vmcnt(42)
	v_mul_f32_e32 v238, v136, v174
	s_waitcnt vmcnt(41) lgkmcnt(4)
	v_mul_f32_e32 v239, v138, v175
	s_waitcnt vmcnt(40)
	v_mul_f32_e32 v240, v140, v176
	s_waitcnt vmcnt(39) lgkmcnt(3)
	v_mul_f32_e32 v241, v142, v177
	s_waitcnt vmcnt(38)
	v_mul_f32_e32 v242, v144, v178
	s_waitcnt vmcnt(37) lgkmcnt(2)
	v_mul_f32_e32 v243, v146, v179
	s_waitcnt vmcnt(36)
	v_mul_f32_e32 v244, v148, v180
	s_waitcnt vmcnt(35) lgkmcnt(1)
	v_mul_f32_e32 v245, v150, v181
	s_waitcnt vmcnt(32)
	v_fma_f32 v2, v2, v184, -v8
	v_fmac_f32_e32 v217, v3, v184
	v_mul_f32_e32 v3, v99, v155
	s_waitcnt vmcnt(31)
	v_fma_f32 v4, v4, v185, -v154
	v_fmac_f32_e32 v218, v5, v185
	v_add_f32_e32 v2, 0, v2
	v_add_f32_e32 v5, 0, v217
	v_mul_f32_e32 v8, v101, v156
	s_waitcnt vmcnt(30)
	v_fma_f32 v3, v98, v186, -v3
	v_fmac_f32_e32 v219, v99, v186
	v_add_f32_e32 v2, v2, v4
	v_add_f32_e32 v4, v5, v218
	;; [unrolled: 6-line block ×27, first 2 shown]
	v_mul_f32_e32 v4, v153, v182
	s_waitcnt vmcnt(4)
	v_fma_f32 v5, v150, v212, -v5
	v_mul_f32_e32 v246, v152, v182
	v_add_f32_e32 v2, v2, v8
	v_fmac_f32_e32 v245, v151, v212
	v_add_f32_e32 v3, v3, v244
	s_waitcnt lgkmcnt(0)
	v_mul_f32_e32 v8, v7, v183
	s_waitcnt vmcnt(3)
	v_fma_f32 v4, v152, v213, -v4
	v_add_f32_e32 v2, v2, v5
	v_mul_f32_e32 v247, v6, v183
	v_fmac_f32_e32 v246, v153, v213
	v_add_f32_e32 v3, v3, v245
	s_waitcnt vmcnt(2)
	v_fma_f32 v5, v6, v214, -v8
	v_add_f32_e32 v2, v2, v4
	v_fmac_f32_e32 v247, v7, v214
	v_add_f32_e32 v3, v3, v246
	v_add_f32_e32 v2, v2, v5
	;; [unrolled: 1-line block ×3, first 2 shown]
	s_waitcnt vmcnt(1)
	v_sub_f32_e32 v2, v215, v2
	s_waitcnt vmcnt(0)
	v_sub_f32_e32 v3, v216, v3
	buffer_store_dword v2, off, s[0:3], 0 offset:96
	buffer_store_dword v3, off, s[0:3], 0 offset:100
	v_cmpx_lt_u32_e32 11, v0
	s_cbranch_execz .LBB43_255
; %bb.254:
	s_clause 0x1
	buffer_load_dword v2, off, s[0:3], 0 offset:88
	buffer_load_dword v3, off, s[0:3], 0 offset:92
	buffer_store_dword v1, off, s[0:3], 0 offset:88
	buffer_store_dword v1, off, s[0:3], 0 offset:92
	s_waitcnt vmcnt(0)
	ds_write_b64 v97, v[2:3]
.LBB43_255:
	s_or_b32 exec_lo, exec_lo, s4
	s_waitcnt lgkmcnt(0)
	s_waitcnt_vscnt null, 0x0
	s_barrier
	buffer_gl0_inv
	s_clause 0x3e
	buffer_load_dword v6, off, s[0:3], 0 offset:100
	buffer_load_dword v7, off, s[0:3], 0 offset:108
	;; [unrolled: 1-line block ×63, first 2 shown]
	s_clause 0x2
	buffer_load_dword v218, off, s[0:3], 0 offset:344
	buffer_load_dword v219, off, s[0:3], 0 offset:88
	;; [unrolled: 1-line block ×3, first 2 shown]
	ds_read_b128 v[2:5], v1 offset:448
	ds_read_b128 v[98:101], v1 offset:464
	;; [unrolled: 1-line block ×16, first 2 shown]
	s_mov_b32 s4, exec_lo
	s_waitcnt vmcnt(62) lgkmcnt(15)
	v_mul_f32_e32 v1, v2, v6
	v_mul_f32_e32 v6, v3, v6
	;; [unrolled: 1-line block ×4, first 2 shown]
	s_waitcnt lgkmcnt(14)
	v_mul_f32_e32 v222, v98, v8
	v_mul_f32_e32 v223, v100, v158
	s_waitcnt vmcnt(61) lgkmcnt(13)
	v_mul_f32_e32 v224, v102, v159
	s_waitcnt vmcnt(60)
	v_mul_f32_e32 v225, v104, v160
	s_waitcnt vmcnt(59) lgkmcnt(12)
	v_mul_f32_e32 v226, v106, v161
	s_waitcnt vmcnt(58)
	;; [unrolled: 4-line block ×13, first 2 shown]
	v_mul_f32_e32 v249, v152, v184
	s_waitcnt vmcnt(33)
	v_fma_f32 v2, v2, v187, -v6
	v_fmac_f32_e32 v1, v3, v187
	v_mul_f32_e32 v3, v99, v8
	s_waitcnt vmcnt(32)
	v_fma_f32 v4, v4, v188, -v7
	v_fmac_f32_e32 v221, v5, v188
	v_add_f32_e32 v2, 0, v2
	v_add_f32_e32 v1, 0, v1
	v_mul_f32_e32 v5, v101, v158
	s_waitcnt vmcnt(31)
	v_fma_f32 v3, v98, v189, -v3
	v_fmac_f32_e32 v222, v99, v189
	v_add_f32_e32 v2, v2, v4
	v_add_f32_e32 v1, v1, v221
	;; [unrolled: 6-line block ×28, first 2 shown]
	s_waitcnt lgkmcnt(0)
	v_mul_f32_e32 v5, v155, v185
	s_waitcnt vmcnt(4)
	v_fma_f32 v3, v152, v216, -v3
	v_mul_f32_e32 v250, v154, v185
	v_add_f32_e32 v2, v2, v4
	v_fmac_f32_e32 v249, v153, v216
	v_add_f32_e32 v1, v1, v248
	v_mul_f32_e32 v4, v157, v186
	s_waitcnt vmcnt(3)
	v_fma_f32 v5, v154, v217, -v5
	v_add_f32_e32 v2, v2, v3
	v_mul_f32_e32 v251, v156, v186
	v_fmac_f32_e32 v250, v155, v217
	v_add_f32_e32 v1, v1, v249
	s_waitcnt vmcnt(2)
	v_fma_f32 v3, v156, v218, -v4
	v_add_f32_e32 v2, v2, v5
	v_fmac_f32_e32 v251, v157, v218
	v_add_f32_e32 v1, v1, v250
	v_add_f32_e32 v2, v2, v3
	;; [unrolled: 1-line block ×3, first 2 shown]
	s_waitcnt vmcnt(1)
	v_sub_f32_e32 v2, v219, v2
	s_waitcnt vmcnt(0)
	v_sub_f32_e32 v1, v220, v1
	buffer_store_dword v2, off, s[0:3], 0 offset:88
	buffer_store_dword v1, off, s[0:3], 0 offset:92
	v_cmpx_lt_u32_e32 10, v0
	s_cbranch_execz .LBB43_257
; %bb.256:
	s_clause 0x1
	buffer_load_dword v1, off, s[0:3], 0 offset:80
	buffer_load_dword v2, off, s[0:3], 0 offset:84
	v_mov_b32_e32 v3, 0
	buffer_store_dword v3, off, s[0:3], 0 offset:80
	buffer_store_dword v3, off, s[0:3], 0 offset:84
	s_waitcnt vmcnt(0)
	ds_write_b64 v97, v[1:2]
.LBB43_257:
	s_or_b32 exec_lo, exec_lo, s4
	s_waitcnt lgkmcnt(0)
	s_waitcnt_vscnt null, 0x0
	s_barrier
	buffer_gl0_inv
	s_clause 0x23
	buffer_load_dword v99, off, s[0:3], 0 offset:92
	buffer_load_dword v101, off, s[0:3], 0 offset:100
	;; [unrolled: 1-line block ×36, first 2 shown]
	v_mov_b32_e32 v98, 0
	ds_read2_b64 v[5:8], v98 offset0:55 offset1:56
	ds_read2_b64 v[1:4], v98 offset0:57 offset1:58
	buffer_load_dword v143, off, s[0:3], 0 offset:84
	ds_read2_b64 v[135:138], v98 offset0:59 offset1:60
	ds_read2_b64 v[139:142], v98 offset0:61 offset1:62
	s_mov_b32 s4, exec_lo
	s_waitcnt vmcnt(36) lgkmcnt(3)
	v_mul_f32_e32 v144, v5, v99
	s_waitcnt vmcnt(35)
	v_mul_f32_e32 v145, v7, v101
	v_mul_f32_e32 v99, v6, v99
	;; [unrolled: 1-line block ×3, first 2 shown]
	s_waitcnt vmcnt(34) lgkmcnt(2)
	v_mul_f32_e32 v146, v1, v102
	v_mul_f32_e32 v102, v2, v102
	s_waitcnt vmcnt(30)
	v_mul_f32_e32 v147, v3, v103
	v_mul_f32_e32 v103, v4, v103
	v_fmac_f32_e32 v144, v6, v105
	v_fmac_f32_e32 v145, v8, v104
	v_fma_f32 v105, v5, v105, -v99
	v_fma_f32 v104, v7, v104, -v101
	ds_read2_b64 v[5:8], v98 offset0:63 offset1:64
	v_fmac_f32_e32 v146, v2, v100
	v_fma_f32 v148, v1, v100, -v102
	ds_read2_b64 v[99:102], v98 offset0:65 offset1:66
	s_waitcnt vmcnt(26)
	v_fmac_f32_e32 v147, v4, v114
	v_fma_f32 v103, v3, v114, -v103
	s_waitcnt vmcnt(25) lgkmcnt(3)
	v_mul_f32_e32 v114, v135, v112
	s_waitcnt vmcnt(24)
	v_mul_f32_e32 v149, v137, v113
	v_mul_f32_e32 v1, v136, v112
	;; [unrolled: 1-line block ×3, first 2 shown]
	s_clause 0x1
	buffer_load_dword v112, off, s[0:3], 0 offset:228
	buffer_load_dword v113, off, s[0:3], 0 offset:236
	v_fmac_f32_e32 v114, v136, v109
	v_fmac_f32_e32 v149, v138, v107
	v_fma_f32 v109, v135, v109, -v1
	v_fma_f32 v107, v137, v107, -v2
	ds_read2_b64 v[1:4], v98 offset0:67 offset1:68
	s_waitcnt vmcnt(25) lgkmcnt(3)
	v_mul_f32_e32 v135, v139, v110
	v_mul_f32_e32 v110, v140, v110
	s_waitcnt vmcnt(24)
	v_mul_f32_e32 v136, v141, v108
	v_mul_f32_e32 v108, v142, v108
	s_waitcnt vmcnt(23) lgkmcnt(2)
	v_mul_f32_e32 v137, v5, v111
	v_fmac_f32_e32 v135, v140, v106
	v_fma_f32 v106, v139, v106, -v110
	s_waitcnt vmcnt(22)
	v_mul_f32_e32 v110, v7, v115
	v_mul_f32_e32 v111, v6, v111
	;; [unrolled: 1-line block ×3, first 2 shown]
	s_waitcnt vmcnt(18)
	v_fma_f32 v108, v141, v122, -v108
	v_fmac_f32_e32 v137, v6, v120
	v_fmac_f32_e32 v110, v8, v119
	v_fma_f32 v111, v5, v120, -v111
	v_fma_f32 v115, v7, v119, -v115
	s_clause 0x5
	buffer_load_dword v119, off, s[0:3], 0 offset:244
	buffer_load_dword v120, off, s[0:3], 0 offset:252
	;; [unrolled: 1-line block ×6, first 2 shown]
	v_fmac_f32_e32 v136, v142, v122
	s_waitcnt vmcnt(23) lgkmcnt(1)
	v_mul_f32_e32 v122, v99, v121
	v_mul_f32_e32 v121, v100, v121
	s_waitcnt vmcnt(22)
	v_mul_f32_e32 v142, v101, v117
	v_mul_f32_e32 v117, v102, v117
	ds_read2_b64 v[5:8], v98 offset0:69 offset1:70
	v_fmac_f32_e32 v122, v100, v116
	v_fma_f32 v99, v99, v116, -v121
	s_waitcnt vmcnt(18)
	v_fmac_f32_e32 v142, v102, v133
	v_fma_f32 v100, v101, v133, -v117
	s_waitcnt vmcnt(17) lgkmcnt(1)
	v_mul_f32_e32 v101, v1, v131
	v_mul_f32_e32 v102, v2, v131
	s_clause 0x1
	buffer_load_dword v121, off, s[0:3], 0 offset:260
	buffer_load_dword v131, off, s[0:3], 0 offset:268
	v_add_f32_e32 v105, 0, v105
	s_waitcnt vmcnt(18)
	v_mul_f32_e32 v116, v3, v132
	v_mul_f32_e32 v117, v4, v132
	v_fma_f32 v102, v1, v128, -v102
	v_add_f32_e32 v1, 0, v144
	v_add_f32_e32 v104, v105, v104
	v_fmac_f32_e32 v101, v2, v128
	v_fmac_f32_e32 v116, v4, v127
	v_fma_f32 v117, v3, v127, -v117
	v_add_f32_e32 v144, v1, v145
	s_clause 0x3
	buffer_load_dword v127, off, s[0:3], 0 offset:276
	buffer_load_dword v128, off, s[0:3], 0 offset:284
	;; [unrolled: 1-line block ×4, first 2 shown]
	ds_read2_b64 v[1:4], v98 offset0:71 offset1:72
	s_waitcnt vmcnt(21) lgkmcnt(1)
	v_mul_f32_e32 v145, v5, v126
	v_mul_f32_e32 v105, v6, v126
	v_add_f32_e32 v126, v144, v146
	s_waitcnt vmcnt(20)
	v_mul_f32_e32 v144, v7, v125
	v_mul_f32_e32 v125, v8, v125
	v_fmac_f32_e32 v145, v6, v123
	v_fma_f32 v123, v5, v123, -v105
	v_add_f32_e32 v5, v126, v147
	v_add_f32_e32 v104, v104, v148
	s_clause 0x3
	buffer_load_dword v126, off, s[0:3], 0 offset:308
	buffer_load_dword v146, off, s[0:3], 0 offset:316
	;; [unrolled: 1-line block ×4, first 2 shown]
	s_waitcnt vmcnt(20)
	v_fmac_f32_e32 v144, v8, v134
	v_fma_f32 v125, v7, v134, -v125
	v_add_f32_e32 v5, v5, v114
	s_clause 0x5
	buffer_load_dword v134, off, s[0:3], 0 offset:340
	buffer_load_dword v114, off, s[0:3], 0 offset:296
	;; [unrolled: 1-line block ×6, first 2 shown]
	v_add_f32_e32 v6, v104, v103
	v_add_f32_e32 v5, v5, v149
	s_waitcnt vmcnt(25) lgkmcnt(0)
	v_mul_f32_e32 v105, v2, v130
	v_add_f32_e32 v6, v6, v109
	v_add_f32_e32 v104, v5, v135
	v_mul_f32_e32 v135, v1, v130
	v_add_f32_e32 v103, v6, v107
	ds_read2_b64 v[5:8], v98 offset0:73 offset1:74
	v_add_f32_e32 v104, v104, v136
	v_fmac_f32_e32 v135, v2, v129
	v_fma_f32 v107, v1, v129, -v105
	v_add_f32_e32 v103, v103, v106
	v_add_f32_e32 v2, v104, v137
	s_clause 0x5
	buffer_load_dword v129, off, s[0:3], 0 offset:328
	buffer_load_dword v130, off, s[0:3], 0 offset:320
	;; [unrolled: 1-line block ×6, first 2 shown]
	v_add_f32_e32 v1, v103, v108
	v_add_f32_e32 v2, v2, v110
	;; [unrolled: 1-line block ×5, first 2 shown]
	buffer_load_dword v115, off, s[0:3], 0 offset:80
	v_add_f32_e32 v103, v103, v142
	v_add_f32_e32 v99, v1, v99
	;; [unrolled: 1-line block ×6, first 2 shown]
	ds_read2_b64 v[99:102], v98 offset0:77 offset1:78
	v_add_f32_e32 v109, v109, v145
	v_add_f32_e32 v108, v105, v117
	;; [unrolled: 1-line block ×4, first 2 shown]
	s_waitcnt vmcnt(30)
	v_mul_f32_e32 v122, v3, v112
	v_mul_f32_e32 v2, v4, v112
	s_waitcnt vmcnt(29) lgkmcnt(1)
	v_mul_f32_e32 v104, v6, v113
	v_fmac_f32_e32 v122, v4, v124
	v_fma_f32 v111, v3, v124, -v2
	ds_read2_b64 v[1:4], v98 offset0:75 offset1:76
	v_mul_f32_e32 v124, v5, v113
	v_fmac_f32_e32 v124, v6, v118
	v_fma_f32 v118, v5, v118, -v104
	s_waitcnt vmcnt(28)
	v_mul_f32_e32 v113, v7, v119
	v_mul_f32_e32 v106, v8, v119
	s_waitcnt vmcnt(23)
	v_fmac_f32_e32 v113, v8, v141
	v_fma_f32 v117, v7, v141, -v106
	ds_read2_b64 v[5:8], v98 offset0:79 offset1:80
	ds_read2_b64 v[103:106], v98 offset0:81 offset1:82
	s_waitcnt lgkmcnt(2)
	v_mul_f32_e32 v110, v2, v120
	v_mul_f32_e32 v116, v1, v120
	v_fma_f32 v120, v1, v140, -v110
	v_add_f32_e32 v1, v109, v144
	s_waitcnt vmcnt(22)
	v_mul_f32_e32 v119, v3, v121
	v_mul_f32_e32 v112, v4, v121
	v_add_f32_e32 v121, v108, v107
	v_fmac_f32_e32 v116, v2, v140
	v_add_f32_e32 v125, v1, v135
	v_fmac_f32_e32 v119, v4, v139
	v_fma_f32 v123, v3, v139, -v112
	v_add_f32_e32 v121, v121, v111
	s_waitcnt vmcnt(21)
	v_mul_f32_e32 v135, v99, v131
	v_add_f32_e32 v122, v125, v122
	s_waitcnt vmcnt(20)
	v_mul_f32_e32 v125, v101, v127
	v_mul_f32_e32 v127, v102, v127
	v_add_f32_e32 v118, v121, v118
	v_mul_f32_e32 v121, v100, v131
	v_add_f32_e32 v122, v122, v124
	v_fmac_f32_e32 v135, v100, v138
	ds_read2_b64 v[107:110], v98 offset0:83 offset1:84
	ds_read2_b64 v[1:4], v98 offset0:85 offset1:86
	v_add_f32_e32 v117, v118, v117
	v_add_f32_e32 v113, v122, v113
	v_fma_f32 v99, v99, v138, -v121
	s_waitcnt vmcnt(19) lgkmcnt(3)
	v_mul_f32_e32 v124, v5, v128
	s_waitcnt vmcnt(18)
	v_mul_f32_e32 v118, v7, v132
	v_add_f32_e32 v117, v117, v120
	v_add_f32_e32 v113, v113, v116
	s_waitcnt vmcnt(17) lgkmcnt(2)
	v_mul_f32_e32 v131, v103, v133
	s_waitcnt vmcnt(9)
	v_fmac_f32_e32 v124, v6, v151
	s_waitcnt vmcnt(8)
	v_fma_f32 v101, v101, v152, -v127
	v_add_f32_e32 v117, v117, v123
	v_add_f32_e32 v113, v113, v119
	v_mul_f32_e32 v123, v6, v128
	v_fmac_f32_e32 v125, v102, v152
	v_fmac_f32_e32 v118, v8, v150
	v_add_f32_e32 v99, v117, v99
	v_add_f32_e32 v102, v113, v135
	v_mul_f32_e32 v113, v8, v132
	v_fma_f32 v5, v5, v151, -v123
	v_mul_f32_e32 v8, v106, v126
	v_add_f32_e32 v6, v99, v101
	v_add_f32_e32 v99, v102, v125
	v_mul_f32_e32 v101, v104, v133
	v_fma_f32 v7, v7, v150, -v113
	v_mul_f32_e32 v122, v105, v126
	v_add_f32_e32 v5, v6, v5
	v_add_f32_e32 v6, v99, v124
	v_fma_f32 v99, v103, v114, -v101
	v_fmac_f32_e32 v131, v104, v114
	ds_read_b64 v[111:112], v98 offset:696
	v_add_f32_e32 v5, v5, v7
	v_add_f32_e32 v6, v6, v118
	s_waitcnt lgkmcnt(2)
	v_mul_f32_e32 v7, v108, v146
	s_waitcnt vmcnt(3)
	v_fma_f32 v8, v105, v137, -v8
	v_mul_f32_e32 v120, v107, v146
	v_add_f32_e32 v5, v5, v99
	v_fmac_f32_e32 v122, v106, v137
	v_add_f32_e32 v6, v6, v131
	v_mul_f32_e32 v99, v110, v147
	v_fma_f32 v7, v107, v136, -v7
	v_add_f32_e32 v5, v5, v8
	v_mul_f32_e32 v100, v109, v147
	v_fmac_f32_e32 v120, v108, v136
	v_add_f32_e32 v6, v6, v122
	s_waitcnt lgkmcnt(1)
	v_mul_f32_e32 v116, v1, v148
	v_mul_f32_e32 v8, v2, v148
	v_fma_f32 v99, v109, v130, -v99
	v_add_f32_e32 v5, v5, v7
	v_fmac_f32_e32 v100, v110, v130
	v_add_f32_e32 v6, v6, v120
	v_mul_f32_e32 v7, v4, v134
	v_fmac_f32_e32 v116, v2, v129
	v_fma_f32 v1, v1, v129, -v8
	v_add_f32_e32 v2, v5, v99
	v_mul_f32_e32 v121, v3, v134
	v_add_f32_e32 v5, v6, v100
	s_waitcnt lgkmcnt(0)
	v_mul_f32_e32 v6, v112, v153
	s_waitcnt vmcnt(1)
	v_fma_f32 v3, v3, v154, -v7
	v_add_f32_e32 v1, v2, v1
	v_mul_f32_e32 v119, v111, v153
	v_fmac_f32_e32 v121, v4, v154
	v_add_f32_e32 v2, v5, v116
	v_fma_f32 v4, v111, v149, -v6
	v_add_f32_e32 v1, v1, v3
	v_fmac_f32_e32 v119, v112, v149
	v_add_f32_e32 v2, v2, v121
	v_add_f32_e32 v1, v1, v4
	;; [unrolled: 1-line block ×3, first 2 shown]
	s_waitcnt vmcnt(0)
	v_sub_f32_e32 v1, v115, v1
	v_sub_f32_e32 v2, v143, v2
	buffer_store_dword v1, off, s[0:3], 0 offset:80
	buffer_store_dword v2, off, s[0:3], 0 offset:84
	v_cmpx_lt_u32_e32 9, v0
	s_cbranch_execz .LBB43_259
; %bb.258:
	s_clause 0x1
	buffer_load_dword v1, off, s[0:3], 0 offset:72
	buffer_load_dword v2, off, s[0:3], 0 offset:76
	buffer_store_dword v98, off, s[0:3], 0 offset:72
	buffer_store_dword v98, off, s[0:3], 0 offset:76
	s_waitcnt vmcnt(0)
	ds_write_b64 v97, v[1:2]
.LBB43_259:
	s_or_b32 exec_lo, exec_lo, s4
	s_waitcnt lgkmcnt(0)
	s_waitcnt_vscnt null, 0x0
	s_barrier
	buffer_gl0_inv
	s_clause 0x23
	buffer_load_dword v133, off, s[0:3], 0 offset:84
	buffer_load_dword v134, off, s[0:3], 0 offset:92
	;; [unrolled: 1-line block ×36, first 2 shown]
	ds_read_b128 v[5:8], v98 offset:432
	ds_read_b128 v[1:4], v98 offset:448
	;; [unrolled: 1-line block ×3, first 2 shown]
	s_clause 0x1
	buffer_load_dword v143, off, s[0:3], 0 offset:220
	buffer_load_dword v144, off, s[0:3], 0 offset:228
	ds_read_b128 v[139:142], v98 offset:480
	buffer_load_dword v147, off, s[0:3], 0 offset:76
	s_mov_b32 s4, exec_lo
	s_waitcnt vmcnt(38) lgkmcnt(3)
	v_mul_f32_e32 v145, v5, v133
	s_waitcnt vmcnt(37)
	v_mul_f32_e32 v146, v7, v134
	v_mul_f32_e32 v133, v6, v133
	;; [unrolled: 1-line block ×3, first 2 shown]
	s_waitcnt vmcnt(34)
	v_fmac_f32_e32 v145, v6, v105
	v_fmac_f32_e32 v146, v8, v104
	v_fma_f32 v105, v5, v105, -v133
	v_fma_f32 v104, v7, v104, -v134
	ds_read_b128 v[5:8], v98 offset:496
	s_waitcnt vmcnt(33) lgkmcnt(3)
	v_mul_f32_e32 v133, v1, v102
	v_mul_f32_e32 v102, v2, v102
	s_waitcnt vmcnt(32)
	v_mul_f32_e32 v134, v3, v101
	v_mul_f32_e32 v101, v4, v101
	s_waitcnt vmcnt(31) lgkmcnt(2)
	v_mul_f32_e32 v148, v135, v100
	v_fmac_f32_e32 v133, v2, v99
	v_fma_f32 v149, v1, v99, -v102
	s_waitcnt vmcnt(30)
	v_mul_f32_e32 v150, v137, v103
	v_mul_f32_e32 v99, v136, v100
	;; [unrolled: 1-line block ×3, first 2 shown]
	s_waitcnt vmcnt(26)
	v_fmac_f32_e32 v134, v4, v111
	v_fma_f32 v103, v3, v111, -v101
	ds_read_b128 v[1:4], v98 offset:512
	v_fmac_f32_e32 v148, v136, v110
	v_fma_f32 v110, v135, v110, -v99
	s_waitcnt vmcnt(25) lgkmcnt(2)
	v_mul_f32_e32 v111, v139, v107
	s_waitcnt vmcnt(24)
	v_mul_f32_e32 v135, v141, v108
	v_mul_f32_e32 v107, v140, v107
	;; [unrolled: 1-line block ×3, first 2 shown]
	v_fmac_f32_e32 v150, v138, v109
	v_fma_f32 v109, v137, v109, -v100
	ds_read_b128 v[99:102], v98 offset:528
	v_fmac_f32_e32 v111, v140, v106
	s_waitcnt vmcnt(19)
	v_fmac_f32_e32 v135, v142, v122
	v_fma_f32 v106, v139, v106, -v107
	v_fma_f32 v107, v141, v122, -v108
	s_clause 0x4
	buffer_load_dword v108, off, s[0:3], 0 offset:236
	buffer_load_dword v122, off, s[0:3], 0 offset:256
	;; [unrolled: 1-line block ×5, first 2 shown]
	s_waitcnt lgkmcnt(2)
	v_mul_f32_e32 v136, v5, v112
	v_mul_f32_e32 v112, v6, v112
	s_waitcnt vmcnt(23)
	v_mul_f32_e32 v140, v7, v118
	v_mul_f32_e32 v118, v8, v118
	v_fmac_f32_e32 v136, v6, v117
	v_fma_f32 v5, v5, v117, -v112
	s_waitcnt vmcnt(22) lgkmcnt(1)
	v_mul_f32_e32 v112, v1, v115
	v_fmac_f32_e32 v140, v8, v114
	v_fma_f32 v114, v7, v114, -v118
	s_waitcnt vmcnt(21)
	v_mul_f32_e32 v117, v3, v116
	v_mul_f32_e32 v6, v2, v115
	;; [unrolled: 1-line block ×3, first 2 shown]
	s_clause 0x2
	buffer_load_dword v115, off, s[0:3], 0 offset:244
	buffer_load_dword v116, off, s[0:3], 0 offset:252
	;; [unrolled: 1-line block ×3, first 2 shown]
	v_fmac_f32_e32 v112, v2, v113
	s_waitcnt vmcnt(20)
	v_fmac_f32_e32 v117, v4, v131
	v_fma_f32 v113, v1, v113, -v6
	v_fma_f32 v131, v3, v131, -v7
	ds_read_b128 v[1:4], v98 offset:544
	v_add_f32_e32 v6, 0, v145
	v_add_f32_e32 v7, 0, v105
	s_waitcnt vmcnt(19) lgkmcnt(1)
	v_mul_f32_e32 v141, v99, v128
	s_waitcnt vmcnt(18)
	v_mul_f32_e32 v142, v101, v129
	v_mul_f32_e32 v8, v100, v128
	v_add_f32_e32 v6, v6, v146
	v_mul_f32_e32 v105, v102, v129
	v_add_f32_e32 v7, v7, v104
	v_fmac_f32_e32 v141, v100, v126
	v_fmac_f32_e32 v142, v102, v125
	v_add_f32_e32 v6, v6, v133
	v_fma_f32 v99, v99, v126, -v8
	v_fma_f32 v104, v101, v125, -v105
	v_add_f32_e32 v7, v7, v149
	s_clause 0x7
	buffer_load_dword v125, off, s[0:3], 0 offset:268
	buffer_load_dword v126, off, s[0:3], 0 offset:276
	;; [unrolled: 1-line block ×8, first 2 shown]
	v_add_f32_e32 v6, v6, v134
	v_add_f32_e32 v7, v7, v103
	s_waitcnt vmcnt(25) lgkmcnt(0)
	v_mul_f32_e32 v8, v2, v123
	v_mul_f32_e32 v105, v1, v123
	s_clause 0x3
	buffer_load_dword v123, off, s[0:3], 0 offset:300
	buffer_load_dword v134, off, s[0:3], 0 offset:308
	;; [unrolled: 1-line block ×4, first 2 shown]
	v_fma_f32 v103, v1, v120, -v8
	v_add_f32_e32 v1, v6, v148
	v_fmac_f32_e32 v105, v2, v120
	v_add_f32_e32 v6, v7, v110
	s_waitcnt vmcnt(28)
	v_mul_f32_e32 v110, v3, v121
	v_mul_f32_e32 v2, v4, v121
	v_add_f32_e32 v7, v1, v150
	s_clause 0x2
	buffer_load_dword v120, off, s[0:3], 0 offset:332
	buffer_load_dword v148, off, s[0:3], 0 offset:340
	;; [unrolled: 1-line block ×3, first 2 shown]
	s_waitcnt vmcnt(27)
	v_fmac_f32_e32 v110, v4, v132
	v_fma_f32 v132, v3, v132, -v2
	ds_read_b128 v[1:4], v98 offset:560
	v_add_f32_e32 v7, v7, v111
	v_add_f32_e32 v6, v6, v109
	;; [unrolled: 1-line block ×3, first 2 shown]
	s_clause 0x3
	buffer_load_dword v135, off, s[0:3], 0 offset:320
	buffer_load_dword v150, off, s[0:3], 0 offset:312
	;; [unrolled: 1-line block ×4, first 2 shown]
	v_add_f32_e32 v6, v6, v106
	v_add_f32_e32 v100, v7, v136
	;; [unrolled: 1-line block ×5, first 2 shown]
	ds_read_b128 v[5:8], v98 offset:576
	s_waitcnt vmcnt(30) lgkmcnt(1)
	v_mul_f32_e32 v107, v1, v130
	v_mul_f32_e32 v102, v2, v130
	s_waitcnt vmcnt(29)
	v_mul_f32_e32 v111, v3, v143
	v_fmac_f32_e32 v107, v2, v127
	v_fma_f32 v109, v1, v127, -v102
	s_clause 0x3
	buffer_load_dword v127, off, s[0:3], 0 offset:344
	buffer_load_dword v130, off, s[0:3], 0 offset:336
	;; [unrolled: 1-line block ×4, first 2 shown]
	v_add_f32_e32 v1, v101, v114
	v_add_f32_e32 v2, v100, v112
	v_mul_f32_e32 v100, v4, v143
	v_fmac_f32_e32 v111, v4, v124
	v_add_f32_e32 v1, v1, v113
	v_add_f32_e32 v2, v2, v117
	v_fma_f32 v112, v3, v124, -v100
	v_add_f32_e32 v101, v1, v131
	v_add_f32_e32 v106, v2, v141
	ds_read_b128 v[1:4], v98 offset:592
	s_waitcnt vmcnt(32) lgkmcnt(1)
	v_mul_f32_e32 v114, v5, v144
	v_mul_f32_e32 v117, v6, v144
	v_add_f32_e32 v113, v101, v99
	ds_read_b128 v[99:102], v98 offset:608
	v_add_f32_e32 v106, v106, v142
	v_fmac_f32_e32 v114, v6, v119
	v_fma_f32 v117, v5, v119, -v117
	v_add_f32_e32 v104, v113, v104
	v_add_f32_e32 v113, v106, v105
	;; [unrolled: 1-line block ×5, first 2 shown]
	s_waitcnt vmcnt(30)
	v_mul_f32_e32 v124, v7, v108
	v_mul_f32_e32 v108, v8, v108
	s_waitcnt vmcnt(26)
	v_fmac_f32_e32 v124, v8, v139
	v_fma_f32 v119, v7, v139, -v108
	v_add_f32_e32 v108, v104, v103
	ds_read_b128 v[5:8], v98 offset:624
	ds_read_b128 v[103:106], v98 offset:640
	v_add_f32_e32 v108, v108, v132
	s_waitcnt vmcnt(25) lgkmcnt(3)
	v_mul_f32_e32 v131, v1, v115
	v_mul_f32_e32 v113, v2, v115
	s_waitcnt vmcnt(24)
	v_mul_f32_e32 v132, v3, v116
	v_mul_f32_e32 v115, v4, v116
	s_waitcnt vmcnt(23) lgkmcnt(2)
	v_mul_f32_e32 v116, v99, v118
	v_fmac_f32_e32 v131, v2, v138
	v_fma_f32 v138, v1, v138, -v113
	v_add_f32_e32 v113, v108, v109
	v_fmac_f32_e32 v132, v4, v137
	v_fma_f32 v115, v3, v137, -v115
	v_mul_f32_e32 v118, v100, v118
	ds_read_b128 v[1:4], v98 offset:656
	ds_read_b128 v[107:110], v98 offset:672
	v_add_f32_e32 v137, v113, v112
	v_fmac_f32_e32 v116, v100, v122
	v_add_f32_e32 v100, v111, v114
	ds_read_b128 v[111:114], v98 offset:688
	v_fma_f32 v99, v99, v122, -v118
	v_add_f32_e32 v98, v137, v117
	s_waitcnt vmcnt(22)
	v_mul_f32_e32 v118, v102, v125
	v_add_f32_e32 v100, v100, v124
	v_mul_f32_e32 v117, v101, v125
	s_waitcnt vmcnt(21) lgkmcnt(4)
	v_mul_f32_e32 v122, v5, v126
	v_add_f32_e32 v98, v98, v119
	v_mul_f32_e32 v124, v6, v126
	v_add_f32_e32 v100, v100, v131
	s_waitcnt vmcnt(15)
	v_fma_f32 v101, v101, v149, -v118
	v_fmac_f32_e32 v117, v102, v149
	v_add_f32_e32 v98, v98, v138
	v_fmac_f32_e32 v122, v6, v146
	v_add_f32_e32 v100, v100, v132
	v_fma_f32 v5, v5, v146, -v124
	v_mul_f32_e32 v119, v7, v128
	v_add_f32_e32 v98, v98, v115
	v_mul_f32_e32 v115, v8, v128
	s_waitcnt lgkmcnt(3)
	v_mul_f32_e32 v102, v103, v129
	s_waitcnt vmcnt(14)
	v_mul_f32_e32 v118, v105, v123
	v_fmac_f32_e32 v119, v8, v145
	v_add_f32_e32 v98, v98, v99
	v_add_f32_e32 v99, v100, v116
	v_fma_f32 v7, v7, v145, -v115
	v_mul_f32_e32 v8, v106, v123
	v_fmac_f32_e32 v102, v104, v133
	v_add_f32_e32 v6, v98, v101
	v_add_f32_e32 v98, v99, v117
	v_mul_f32_e32 v99, v104, v129
	s_waitcnt vmcnt(13) lgkmcnt(2)
	v_mul_f32_e32 v125, v1, v134
	s_waitcnt vmcnt(12)
	v_mul_f32_e32 v126, v3, v151
	v_add_f32_e32 v5, v6, v5
	v_add_f32_e32 v6, v98, v122
	v_fma_f32 v98, v103, v133, -v99
	s_waitcnt vmcnt(4)
	v_fma_f32 v8, v105, v154, -v8
	v_fmac_f32_e32 v118, v106, v154
	v_add_f32_e32 v5, v5, v7
	v_add_f32_e32 v6, v6, v119
	v_mul_f32_e32 v7, v2, v134
	v_fmac_f32_e32 v125, v2, v153
	s_waitcnt lgkmcnt(1)
	v_mul_f32_e32 v131, v107, v152
	v_add_f32_e32 v5, v5, v98
	v_add_f32_e32 v6, v6, v102
	v_mul_f32_e32 v98, v4, v151
	v_fma_f32 v1, v1, v153, -v7
	v_fmac_f32_e32 v126, v4, v150
	v_add_f32_e32 v2, v5, v8
	v_add_f32_e32 v5, v6, v118
	v_mul_f32_e32 v6, v108, v152
	v_fma_f32 v3, v3, v150, -v98
	v_mul_f32_e32 v4, v110, v120
	v_add_f32_e32 v1, v2, v1
	v_add_f32_e32 v2, v5, v125
	v_fma_f32 v5, v107, v135, -v6
	v_mul_f32_e32 v128, v109, v120
	v_fmac_f32_e32 v131, v108, v135
	v_add_f32_e32 v1, v1, v3
	v_add_f32_e32 v2, v2, v126
	s_waitcnt lgkmcnt(0)
	v_mul_f32_e32 v3, v112, v148
	s_waitcnt vmcnt(1)
	v_fma_f32 v4, v109, v136, -v4
	v_mul_f32_e32 v132, v111, v148
	v_add_f32_e32 v1, v1, v5
	v_fmac_f32_e32 v128, v110, v136
	v_add_f32_e32 v2, v2, v131
	v_mul_f32_e32 v5, v114, v121
	v_fma_f32 v3, v111, v130, -v3
	v_add_f32_e32 v1, v1, v4
	v_mul_f32_e32 v100, v113, v121
	v_fmac_f32_e32 v132, v112, v130
	v_add_f32_e32 v2, v2, v128
	v_fma_f32 v4, v113, v127, -v5
	v_add_f32_e32 v1, v1, v3
	v_fmac_f32_e32 v100, v114, v127
	v_add_f32_e32 v2, v2, v132
	v_add_f32_e32 v1, v1, v4
	;; [unrolled: 1-line block ×3, first 2 shown]
	s_waitcnt vmcnt(0)
	v_sub_f32_e32 v1, v140, v1
	v_sub_f32_e32 v2, v147, v2
	buffer_store_dword v1, off, s[0:3], 0 offset:72
	buffer_store_dword v2, off, s[0:3], 0 offset:76
	v_cmpx_lt_u32_e32 8, v0
	s_cbranch_execz .LBB43_261
; %bb.260:
	s_clause 0x1
	buffer_load_dword v1, off, s[0:3], 0 offset:64
	buffer_load_dword v2, off, s[0:3], 0 offset:68
	v_mov_b32_e32 v3, 0
	buffer_store_dword v3, off, s[0:3], 0 offset:64
	buffer_store_dword v3, off, s[0:3], 0 offset:68
	s_waitcnt vmcnt(0)
	ds_write_b64 v97, v[1:2]
.LBB43_261:
	s_or_b32 exec_lo, exec_lo, s4
	s_waitcnt lgkmcnt(0)
	s_waitcnt_vscnt null, 0x0
	s_barrier
	buffer_gl0_inv
	s_clause 0x2a
	buffer_load_dword v7, off, s[0:3], 0 offset:76
	buffer_load_dword v8, off, s[0:3], 0 offset:84
	;; [unrolled: 1-line block ×43, first 2 shown]
	v_mov_b32_e32 v1, 0
	ds_read2_b64 v[130:133], v1 offset0:53 offset1:54
	ds_read2_b64 v[134:137], v1 offset0:55 offset1:56
	;; [unrolled: 1-line block ×3, first 2 shown]
	buffer_load_dword v148, off, s[0:3], 0 offset:68
	s_mov_b32 s4, exec_lo
	s_waitcnt vmcnt(43) lgkmcnt(2)
	v_mul_f32_e32 v146, v130, v7
	s_waitcnt vmcnt(42)
	v_mul_f32_e32 v147, v132, v8
	v_mul_f32_e32 v7, v131, v7
	;; [unrolled: 1-line block ×3, first 2 shown]
	s_waitcnt vmcnt(39)
	v_fmac_f32_e32 v146, v131, v6
	v_fmac_f32_e32 v147, v133, v5
	v_fma_f32 v149, v130, v6, -v7
	v_fma_f32 v150, v132, v5, -v8
	ds_read2_b64 v[5:8], v1 offset0:59 offset1:60
	ds_read2_b64 v[130:133], v1 offset0:61 offset1:62
	s_waitcnt vmcnt(38) lgkmcnt(3)
	v_mul_f32_e32 v151, v134, v3
	v_mul_f32_e32 v3, v135, v3
	s_waitcnt vmcnt(37)
	v_mul_f32_e32 v152, v136, v4
	v_mul_f32_e32 v4, v137, v4
	s_waitcnt vmcnt(32) lgkmcnt(2)
	v_mul_f32_e32 v154, v138, v105
	v_fmac_f32_e32 v151, v135, v2
	v_fma_f32 v153, v134, v2, -v3
	v_mul_f32_e32 v2, v139, v105
	s_waitcnt vmcnt(31)
	v_mul_f32_e32 v155, v140, v104
	v_mul_f32_e32 v3, v141, v104
	v_fmac_f32_e32 v152, v137, v106
	v_fma_f32 v106, v136, v106, -v4
	v_fmac_f32_e32 v154, v139, v101
	v_fma_f32 v138, v138, v101, -v2
	;; [unrolled: 2-line block ×3, first 2 shown]
	ds_read2_b64 v[134:137], v1 offset0:63 offset1:64
	s_waitcnt vmcnt(30) lgkmcnt(2)
	v_mul_f32_e32 v139, v5, v102
	v_mul_f32_e32 v2, v6, v102
	s_waitcnt vmcnt(29)
	v_mul_f32_e32 v141, v7, v100
	v_mul_f32_e32 v3, v8, v100
	s_waitcnt vmcnt(28) lgkmcnt(1)
	v_mul_f32_e32 v156, v130, v103
	v_fmac_f32_e32 v139, v6, v98
	v_fma_f32 v6, v5, v98, -v2
	s_waitcnt vmcnt(24)
	v_fmac_f32_e32 v141, v8, v113
	v_fma_f32 v7, v7, v113, -v3
	s_waitcnt vmcnt(23)
	v_mul_f32_e32 v8, v132, v112
	v_mul_f32_e32 v98, v131, v103
	;; [unrolled: 1-line block ×3, first 2 shown]
	ds_read2_b64 v[2:5], v1 offset0:65 offset1:66
	v_fmac_f32_e32 v156, v131, v111
	v_fmac_f32_e32 v8, v133, v108
	v_fma_f32 v111, v130, v111, -v98
	v_fma_f32 v108, v132, v108, -v99
	ds_read2_b64 v[98:101], v1 offset0:67 offset1:68
	s_waitcnt vmcnt(22) lgkmcnt(2)
	v_mul_f32_e32 v112, v134, v110
	v_mul_f32_e32 v102, v135, v110
	s_waitcnt vmcnt(21)
	v_mul_f32_e32 v110, v136, v109
	v_mul_f32_e32 v103, v137, v109
	buffer_load_dword v109, off, s[0:3], 0 offset:236
	v_fmac_f32_e32 v112, v135, v107
	v_fma_f32 v107, v134, v107, -v102
	s_waitcnt vmcnt(18)
	v_fmac_f32_e32 v110, v137, v121
	v_fma_f32 v113, v136, v121, -v103
	s_waitcnt vmcnt(17) lgkmcnt(1)
	v_mul_f32_e32 v121, v2, v119
	s_waitcnt vmcnt(16)
	v_mul_f32_e32 v130, v4, v120
	v_mul_f32_e32 v102, v3, v119
	;; [unrolled: 1-line block ×3, first 2 shown]
	v_fmac_f32_e32 v121, v3, v116
	v_fmac_f32_e32 v130, v5, v115
	v_fma_f32 v116, v2, v116, -v102
	v_fma_f32 v115, v4, v115, -v103
	ds_read2_b64 v[2:5], v1 offset0:69 offset1:70
	s_waitcnt vmcnt(15) lgkmcnt(1)
	v_mul_f32_e32 v119, v98, v118
	v_mul_f32_e32 v104, v99, v118
	s_waitcnt vmcnt(14)
	v_mul_f32_e32 v118, v100, v117
	v_mul_f32_e32 v117, v101, v117
	v_fmac_f32_e32 v119, v99, v114
	v_fma_f32 v114, v98, v114, -v104
	ds_read2_b64 v[102:105], v1 offset0:71 offset1:72
	s_waitcnt vmcnt(10)
	v_fmac_f32_e32 v118, v101, v129
	v_fma_f32 v117, v100, v129, -v117
	s_clause 0x1
	buffer_load_dword v120, off, s[0:3], 0 offset:244
	buffer_load_dword v129, off, s[0:3], 0 offset:252
	s_waitcnt vmcnt(11) lgkmcnt(1)
	v_mul_f32_e32 v131, v2, v128
	v_mul_f32_e32 v98, v3, v128
	s_waitcnt vmcnt(10)
	v_mul_f32_e32 v132, v4, v127
	v_mul_f32_e32 v99, v5, v127
	buffer_load_dword v128, off, s[0:3], 0 offset:260
	v_fmac_f32_e32 v131, v3, v125
	v_fma_f32 v125, v2, v125, -v98
	v_fmac_f32_e32 v132, v5, v123
	s_waitcnt vmcnt(10) lgkmcnt(0)
	v_mul_f32_e32 v127, v102, v126
	v_mul_f32_e32 v2, v103, v126
	s_waitcnt vmcnt(9)
	v_mul_f32_e32 v3, v105, v124
	s_clause 0x3
	buffer_load_dword v126, off, s[0:3], 0 offset:280
	buffer_load_dword v133, off, s[0:3], 0 offset:272
	;; [unrolled: 1-line block ×4, first 2 shown]
	v_mul_f32_e32 v136, v104, v124
	v_fmac_f32_e32 v127, v103, v122
	v_fma_f32 v122, v102, v122, -v2
	v_add_f32_e32 v2, 0, v146
	s_clause 0x1
	buffer_load_dword v124, off, s[0:3], 0 offset:268
	buffer_load_dword v146, off, s[0:3], 0 offset:284
	s_waitcnt vmcnt(11)
	v_fma_f32 v137, v104, v145, -v3
	v_add_f32_e32 v3, 0, v149
	v_add_f32_e32 v2, v2, v147
	v_fmac_f32_e32 v136, v105, v145
	s_clause 0x4
	buffer_load_dword v145, off, s[0:3], 0 offset:276
	buffer_load_dword v147, off, s[0:3], 0 offset:292
	;; [unrolled: 1-line block ×5, first 2 shown]
	v_add_f32_e32 v3, v3, v150
	v_add_f32_e32 v2, v2, v151
	s_clause 0x1
	buffer_load_dword v150, off, s[0:3], 0 offset:324
	buffer_load_dword v151, off, s[0:3], 0 offset:332
	v_fma_f32 v123, v4, v123, -v99
	v_add_f32_e32 v3, v3, v153
	v_add_f32_e32 v2, v2, v152
	s_clause 0x1
	buffer_load_dword v152, off, s[0:3], 0 offset:340
	buffer_load_dword v153, off, s[0:3], 0 offset:348
	v_add_f32_e32 v3, v3, v106
	v_add_f32_e32 v2, v2, v154
	;; [unrolled: 1-line block ×4, first 2 shown]
	s_clause 0x3
	buffer_load_dword v138, off, s[0:3], 0 offset:312
	buffer_load_dword v154, off, s[0:3], 0 offset:304
	;; [unrolled: 1-line block ×4, first 2 shown]
	v_add_f32_e32 v3, v3, v140
	v_add_f32_e32 v2, v2, v139
	;; [unrolled: 1-line block ×4, first 2 shown]
	s_clause 0x4
	buffer_load_dword v139, off, s[0:3], 0 offset:344
	buffer_load_dword v140, off, s[0:3], 0 offset:336
	buffer_load_dword v141, off, s[0:3], 0 offset:328
	buffer_load_dword v160, off, s[0:3], 0 offset:320
	buffer_load_dword v161, off, s[0:3], 0 offset:64
	ds_read2_b64 v[98:101], v1 offset0:75 offset1:76
	v_add_f32_e32 v3, v3, v7
	v_add_f32_e32 v2, v2, v156
	;; [unrolled: 1-line block ×5, first 2 shown]
	ds_read2_b64 v[2:5], v1 offset0:73 offset1:74
	v_add_f32_e32 v6, v6, v112
	v_add_f32_e32 v7, v7, v107
	;; [unrolled: 1-line block ×14, first 2 shown]
	s_waitcnt vmcnt(27) lgkmcnt(0)
	v_mul_f32_e32 v8, v2, v109
	v_mul_f32_e32 v102, v3, v109
	v_fmac_f32_e32 v8, v3, v144
	v_add_f32_e32 v3, v7, v114
	v_fma_f32 v114, v2, v144, -v102
	v_add_f32_e32 v8, v121, v8
	v_add_f32_e32 v7, v3, v117
	;; [unrolled: 1-line block ×5, first 2 shown]
	s_waitcnt vmcnt(26)
	v_mul_f32_e32 v115, v4, v120
	v_mul_f32_e32 v103, v5, v120
	v_add_f32_e32 v122, v7, v137
	s_waitcnt vmcnt(25)
	v_mul_f32_e32 v110, v99, v129
	v_mul_f32_e32 v117, v98, v129
	v_fmac_f32_e32 v115, v5, v143
	v_fma_f32 v116, v4, v143, -v103
	ds_read2_b64 v[2:5], v1 offset0:77 offset1:78
	ds_read2_b64 v[102:105], v1 offset0:79 offset1:80
	v_add_f32_e32 v114, v122, v114
	v_fma_f32 v120, v98, v142, -v110
	v_fmac_f32_e32 v117, v99, v142
	v_add_f32_e32 v8, v8, v115
	ds_read2_b64 v[106:109], v1 offset0:81 offset1:82
	ds_read2_b64 v[110:113], v1 offset0:83 offset1:84
	s_waitcnt vmcnt(24)
	v_mul_f32_e32 v119, v101, v128
	v_add_f32_e32 v114, v114, v116
	v_mul_f32_e32 v118, v100, v128
	v_add_f32_e32 v8, v8, v117
	v_add_f32_e32 v114, v114, v120
	s_waitcnt vmcnt(20)
	v_fma_f32 v119, v100, v135, -v119
	v_fmac_f32_e32 v118, v101, v135
	ds_read2_b64 v[98:101], v1 offset0:85 offset1:86
	ds_read_b64 v[6:7], v1 offset:696
	s_waitcnt vmcnt(19) lgkmcnt(5)
	v_mul_f32_e32 v122, v3, v124
	v_mul_f32_e32 v123, v2, v124
	v_add_f32_e32 v114, v114, v119
	v_add_f32_e32 v8, v8, v118
	s_waitcnt vmcnt(18) lgkmcnt(4)
	v_mul_f32_e32 v121, v102, v146
	v_fma_f32 v2, v2, v134, -v122
	s_waitcnt vmcnt(17)
	v_mul_f32_e32 v124, v5, v145
	v_mul_f32_e32 v125, v4, v145
	v_fmac_f32_e32 v123, v3, v134
	v_mul_f32_e32 v122, v103, v146
	v_add_f32_e32 v2, v114, v2
	v_fma_f32 v4, v4, v133, -v124
	v_fmac_f32_e32 v125, v5, v133
	v_add_f32_e32 v5, v8, v123
	s_waitcnt vmcnt(16)
	v_mul_f32_e32 v8, v105, v147
	v_fma_f32 v102, v102, v126, -v122
	v_add_f32_e32 v2, v2, v4
	v_mul_f32_e32 v116, v104, v147
	v_fmac_f32_e32 v121, v103, v126
	v_add_f32_e32 v4, v5, v125
	s_waitcnt vmcnt(15) lgkmcnt(3)
	v_mul_f32_e32 v5, v107, v149
	v_add_f32_e32 v2, v2, v102
	v_mul_f32_e32 v127, v106, v149
	s_waitcnt vmcnt(14)
	v_mul_f32_e32 v102, v109, v157
	v_add_f32_e32 v4, v4, v121
	s_waitcnt vmcnt(5)
	v_fma_f32 v8, v104, v159, -v8
	v_fmac_f32_e32 v116, v105, v159
	v_fma_f32 v5, v106, v155, -v5
	v_mul_f32_e32 v115, v108, v157
	v_fmac_f32_e32 v127, v107, v155
	v_add_f32_e32 v2, v2, v8
	v_add_f32_e32 v4, v4, v116
	s_waitcnt lgkmcnt(2)
	v_mul_f32_e32 v8, v111, v158
	v_fma_f32 v102, v108, v154, -v102
	v_mul_f32_e32 v120, v110, v158
	v_add_f32_e32 v2, v2, v5
	v_fmac_f32_e32 v115, v109, v154
	v_add_f32_e32 v4, v4, v127
	v_mul_f32_e32 v5, v113, v150
	v_fma_f32 v8, v110, v138, -v8
	v_add_f32_e32 v2, v2, v102
	v_mul_f32_e32 v3, v112, v150
	v_fmac_f32_e32 v120, v111, v138
	v_add_f32_e32 v4, v4, v115
	s_waitcnt lgkmcnt(1)
	v_mul_f32_e32 v102, v99, v151
	s_waitcnt vmcnt(1)
	v_fma_f32 v5, v112, v160, -v5
	v_add_f32_e32 v2, v2, v8
	v_mul_f32_e32 v117, v98, v151
	v_fmac_f32_e32 v3, v113, v160
	v_add_f32_e32 v4, v4, v120
	v_mul_f32_e32 v8, v101, v152
	v_fma_f32 v98, v98, v141, -v102
	v_add_f32_e32 v2, v2, v5
	v_mul_f32_e32 v119, v100, v152
	v_fmac_f32_e32 v117, v99, v141
	v_add_f32_e32 v3, v4, v3
	s_waitcnt lgkmcnt(0)
	v_mul_f32_e32 v4, v7, v153
	v_fma_f32 v5, v100, v140, -v8
	v_add_f32_e32 v2, v2, v98
	v_mul_f32_e32 v118, v6, v153
	v_fmac_f32_e32 v119, v101, v140
	v_add_f32_e32 v3, v3, v117
	v_fma_f32 v4, v6, v139, -v4
	v_add_f32_e32 v2, v2, v5
	v_fmac_f32_e32 v118, v7, v139
	v_add_f32_e32 v3, v3, v119
	v_add_f32_e32 v2, v2, v4
	;; [unrolled: 1-line block ×3, first 2 shown]
	s_waitcnt vmcnt(0)
	v_sub_f32_e32 v2, v161, v2
	v_sub_f32_e32 v3, v148, v3
	buffer_store_dword v2, off, s[0:3], 0 offset:64
	buffer_store_dword v3, off, s[0:3], 0 offset:68
	v_cmpx_lt_u32_e32 7, v0
	s_cbranch_execz .LBB43_263
; %bb.262:
	s_clause 0x1
	buffer_load_dword v2, off, s[0:3], 0 offset:56
	buffer_load_dword v3, off, s[0:3], 0 offset:60
	buffer_store_dword v1, off, s[0:3], 0 offset:56
	buffer_store_dword v1, off, s[0:3], 0 offset:60
	s_waitcnt vmcnt(0)
	ds_write_b64 v97, v[2:3]
.LBB43_263:
	s_or_b32 exec_lo, exec_lo, s4
	s_waitcnt lgkmcnt(0)
	s_waitcnt_vscnt null, 0x0
	s_barrier
	buffer_gl0_inv
	s_clause 0x2a
	buffer_load_dword v8, off, s[0:3], 0 offset:68
	buffer_load_dword v98, off, s[0:3], 0 offset:76
	;; [unrolled: 1-line block ×43, first 2 shown]
	ds_read_b128 v[130:133], v1 offset:416
	ds_read_b128 v[134:137], v1 offset:432
	;; [unrolled: 1-line block ×3, first 2 shown]
	buffer_load_dword v148, off, s[0:3], 0 offset:60
	s_mov_b32 s4, exec_lo
	s_waitcnt vmcnt(43) lgkmcnt(2)
	v_mul_f32_e32 v146, v130, v8
	s_waitcnt vmcnt(42)
	v_mul_f32_e32 v147, v132, v98
	v_mul_f32_e32 v8, v131, v8
	v_mul_f32_e32 v98, v133, v98
	s_waitcnt vmcnt(39)
	v_fmac_f32_e32 v146, v131, v6
	v_fmac_f32_e32 v147, v133, v5
	v_fma_f32 v6, v130, v6, -v8
	v_fma_f32 v8, v132, v5, -v98
	ds_read_b128 v[130:133], v1 offset:464
	s_waitcnt vmcnt(38) lgkmcnt(2)
	v_mul_f32_e32 v149, v134, v3
	s_waitcnt vmcnt(37)
	v_mul_f32_e32 v150, v136, v4
	v_mul_f32_e32 v3, v135, v3
	;; [unrolled: 1-line block ×3, first 2 shown]
	s_waitcnt vmcnt(32) lgkmcnt(1)
	v_mul_f32_e32 v98, v139, v103
	v_fmac_f32_e32 v149, v135, v2
	v_fmac_f32_e32 v150, v137, v105
	v_fma_f32 v134, v134, v2, -v3
	v_fma_f32 v135, v136, v105, -v4
	ds_read_b128 v[2:5], v1 offset:480
	v_mul_f32_e32 v136, v138, v103
	s_waitcnt vmcnt(31)
	v_mul_f32_e32 v137, v140, v104
	v_mul_f32_e32 v103, v141, v104
	v_fma_f32 v138, v138, v102, -v98
	v_fmac_f32_e32 v136, v139, v102
	v_fmac_f32_e32 v137, v141, v99
	v_fma_f32 v139, v140, v99, -v103
	ds_read_b128 v[102:105], v1 offset:496
	s_waitcnt vmcnt(30) lgkmcnt(2)
	v_mul_f32_e32 v140, v130, v100
	s_waitcnt vmcnt(29)
	v_mul_f32_e32 v141, v132, v101
	v_mul_f32_e32 v98, v131, v100
	;; [unrolled: 1-line block ×3, first 2 shown]
	v_fmac_f32_e32 v140, v131, v7
	s_waitcnt vmcnt(25)
	v_fmac_f32_e32 v141, v133, v113
	v_fma_f32 v7, v130, v7, -v98
	v_fma_f32 v113, v132, v113, -v99
	ds_read_b128 v[98:101], v1 offset:512
	s_waitcnt vmcnt(24) lgkmcnt(2)
	v_mul_f32_e32 v130, v2, v111
	s_waitcnt vmcnt(23)
	v_mul_f32_e32 v131, v4, v112
	v_mul_f32_e32 v111, v3, v111
	;; [unrolled: 1-line block ×3, first 2 shown]
	v_fmac_f32_e32 v130, v3, v110
	v_fmac_f32_e32 v131, v5, v107
	v_fma_f32 v110, v2, v110, -v111
	v_fma_f32 v107, v4, v107, -v112
	ds_read_b128 v[2:5], v1 offset:528
	s_waitcnt vmcnt(22) lgkmcnt(2)
	v_mul_f32_e32 v111, v102, v108
	s_waitcnt vmcnt(21)
	v_mul_f32_e32 v112, v104, v109
	v_mul_f32_e32 v108, v103, v108
	;; [unrolled: 1-line block ×3, first 2 shown]
	v_fmac_f32_e32 v111, v103, v106
	s_waitcnt vmcnt(17)
	v_fmac_f32_e32 v112, v105, v121
	v_fma_f32 v106, v102, v106, -v108
	v_fma_f32 v108, v104, v121, -v109
	s_waitcnt vmcnt(16) lgkmcnt(1)
	v_mul_f32_e32 v109, v98, v119
	v_mul_f32_e32 v119, v99, v119
	ds_read_b128 v[102:105], v1 offset:544
	s_waitcnt vmcnt(15)
	v_mul_f32_e32 v121, v100, v120
	v_mul_f32_e32 v120, v101, v120
	v_fmac_f32_e32 v109, v99, v118
	v_fma_f32 v98, v98, v118, -v119
	s_clause 0x1
	buffer_load_dword v118, off, s[0:3], 0 offset:228
	buffer_load_dword v119, off, s[0:3], 0 offset:236
	v_fmac_f32_e32 v121, v101, v115
	v_fma_f32 v115, v100, v115, -v120
	s_waitcnt vmcnt(16) lgkmcnt(1)
	v_mul_f32_e32 v120, v2, v116
	s_waitcnt vmcnt(15)
	v_mul_f32_e32 v132, v4, v117
	v_mul_f32_e32 v99, v3, v116
	;; [unrolled: 1-line block ×3, first 2 shown]
	buffer_load_dword v117, off, s[0:3], 0 offset:244
	v_fmac_f32_e32 v120, v3, v114
	s_waitcnt vmcnt(12)
	v_fmac_f32_e32 v132, v5, v129
	v_fma_f32 v114, v2, v114, -v99
	v_fma_f32 v116, v4, v129, -v100
	ds_read_b128 v[2:5], v1 offset:560
	s_waitcnt vmcnt(11) lgkmcnt(1)
	v_mul_f32_e32 v129, v102, v127
	s_waitcnt vmcnt(10)
	v_mul_f32_e32 v133, v104, v128
	v_mul_f32_e32 v99, v103, v127
	;; [unrolled: 1-line block ×3, first 2 shown]
	s_clause 0x5
	buffer_load_dword v127, off, s[0:3], 0 offset:252
	buffer_load_dword v128, off, s[0:3], 0 offset:272
	;; [unrolled: 1-line block ×6, first 2 shown]
	v_fmac_f32_e32 v129, v103, v126
	v_fma_f32 v126, v102, v126, -v99
	v_fmac_f32_e32 v133, v105, v125
	v_fma_f32 v125, v104, v125, -v100
	s_waitcnt vmcnt(15) lgkmcnt(0)
	v_mul_f32_e32 v154, v2, v124
	v_mul_f32_e32 v99, v3, v124
	v_fmac_f32_e32 v154, v3, v122
	v_add_f32_e32 v3, 0, v146
	v_fma_f32 v122, v2, v122, -v99
	v_add_f32_e32 v2, 0, v6
	s_waitcnt vmcnt(14)
	v_mul_f32_e32 v6, v4, v123
	v_mul_f32_e32 v99, v5, v123
	v_add_f32_e32 v3, v3, v147
	buffer_load_dword v123, off, s[0:3], 0 offset:268
	v_add_f32_e32 v2, v2, v8
	buffer_load_dword v8, off, s[0:3], 0 offset:276
	s_waitcnt vmcnt(12)
	v_fmac_f32_e32 v6, v5, v145
	v_add_f32_e32 v3, v3, v149
	v_fma_f32 v124, v4, v145, -v99
	v_add_f32_e32 v2, v2, v134
	s_clause 0x3
	buffer_load_dword v145, off, s[0:3], 0 offset:284
	buffer_load_dword v134, off, s[0:3], 0 offset:292
	buffer_load_dword v146, off, s[0:3], 0 offset:300
	buffer_load_dword v147, off, s[0:3], 0 offset:308
	v_add_f32_e32 v3, v3, v150
	v_add_f32_e32 v2, v2, v135
	s_clause 0x3
	buffer_load_dword v135, off, s[0:3], 0 offset:316
	buffer_load_dword v149, off, s[0:3], 0 offset:324
	;; [unrolled: 1-line block ×4, first 2 shown]
	v_add_f32_e32 v3, v3, v136
	buffer_load_dword v136, off, s[0:3], 0 offset:348
	v_add_f32_e32 v2, v2, v138
	v_add_f32_e32 v3, v3, v137
	;; [unrolled: 1-line block ×3, first 2 shown]
	s_clause 0x3
	buffer_load_dword v137, off, s[0:3], 0 offset:304
	buffer_load_dword v138, off, s[0:3], 0 offset:296
	;; [unrolled: 1-line block ×4, first 2 shown]
	v_add_f32_e32 v3, v3, v140
	v_add_f32_e32 v2, v2, v7
	;; [unrolled: 1-line block ×3, first 2 shown]
	s_clause 0x4
	buffer_load_dword v7, off, s[0:3], 0 offset:336
	buffer_load_dword v140, off, s[0:3], 0 offset:328
	;; [unrolled: 1-line block ×5, first 2 shown]
	v_add_f32_e32 v2, v2, v113
	v_add_f32_e32 v3, v3, v130
	buffer_load_dword v130, off, s[0:3], 0 offset:344
	v_add_f32_e32 v2, v2, v110
	v_add_f32_e32 v3, v3, v131
	;; [unrolled: 1-line block ×5, first 2 shown]
	ds_read_b128 v[2:5], v1 offset:576
	v_add_f32_e32 v99, v99, v112
	v_add_f32_e32 v100, v100, v108
	;; [unrolled: 1-line block ×4, first 2 shown]
	ds_read_b128 v[98:101], v1 offset:592
	v_add_f32_e32 v102, v102, v121
	v_add_f32_e32 v103, v103, v115
	v_add_f32_e32 v102, v102, v120
	v_add_f32_e32 v106, v103, v114
	v_add_f32_e32 v107, v102, v132
	v_add_f32_e32 v106, v106, v116
	v_add_f32_e32 v107, v107, v129
	v_add_f32_e32 v106, v106, v126
	v_add_f32_e32 v110, v106, v125
	v_add_f32_e32 v114, v110, v122
	v_add_f32_e32 v124, v114, v124
	s_waitcnt vmcnt(29) lgkmcnt(1)
	v_mul_f32_e32 v121, v2, v118
	v_mul_f32_e32 v104, v3, v118
	s_waitcnt vmcnt(28)
	v_mul_f32_e32 v118, v4, v119
	v_mul_f32_e32 v105, v5, v119
	v_fmac_f32_e32 v121, v3, v144
	v_fma_f32 v119, v2, v144, -v104
	v_fmac_f32_e32 v118, v5, v143
	v_fma_f32 v120, v4, v143, -v105
	ds_read_b128 v[2:5], v1 offset:608
	ds_read_b128 v[102:105], v1 offset:624
	s_waitcnt vmcnt(27) lgkmcnt(2)
	v_mul_f32_e32 v131, v98, v117
	v_mul_f32_e32 v108, v99, v117
	v_fmac_f32_e32 v131, v99, v142
	v_add_f32_e32 v99, v107, v133
	v_fma_f32 v126, v98, v142, -v108
	s_waitcnt vmcnt(26)
	v_mul_f32_e32 v132, v100, v127
	v_mul_f32_e32 v109, v101, v127
	v_add_f32_e32 v111, v99, v154
	s_waitcnt vmcnt(22)
	v_fmac_f32_e32 v132, v101, v153
	v_fma_f32 v125, v100, v153, -v109
	v_add_f32_e32 v6, v111, v6
	ds_read_b128 v[98:101], v1 offset:640
	ds_read_b128 v[106:109], v1 offset:656
	s_waitcnt vmcnt(21) lgkmcnt(3)
	v_mul_f32_e32 v115, v3, v155
	v_mul_f32_e32 v122, v2, v155
	ds_read_b128 v[110:113], v1 offset:672
	v_fma_f32 v2, v2, v152, -v115
	ds_read_b128 v[114:117], v1 offset:688
	v_add_f32_e32 v1, v124, v119
	v_fmac_f32_e32 v122, v3, v152
	v_add_f32_e32 v3, v6, v121
	v_add_f32_e32 v1, v1, v120
	;; [unrolled: 1-line block ×3, first 2 shown]
	s_waitcnt vmcnt(20)
	v_mul_f32_e32 v119, v5, v123
	v_add_f32_e32 v1, v1, v126
	v_mul_f32_e32 v6, v4, v123
	v_add_f32_e32 v3, v3, v131
	s_waitcnt vmcnt(19) lgkmcnt(4)
	v_mul_f32_e32 v118, v102, v8
	v_mul_f32_e32 v8, v103, v8
	v_add_f32_e32 v1, v1, v125
	v_fma_f32 v4, v4, v151, -v119
	v_add_f32_e32 v3, v3, v132
	v_fmac_f32_e32 v6, v5, v151
	s_waitcnt vmcnt(18)
	v_mul_f32_e32 v125, v105, v145
	v_add_f32_e32 v1, v1, v2
	v_fma_f32 v8, v102, v128, -v8
	v_add_f32_e32 v2, v3, v122
	v_mul_f32_e32 v120, v104, v145
	v_fmac_f32_e32 v118, v103, v128
	v_add_f32_e32 v1, v1, v4
	s_waitcnt vmcnt(17) lgkmcnt(3)
	v_mul_f32_e32 v4, v99, v134
	v_add_f32_e32 v2, v2, v6
	v_mul_f32_e32 v5, v98, v134
	s_waitcnt vmcnt(16)
	v_mul_f32_e32 v119, v100, v146
	v_add_f32_e32 v1, v1, v8
	s_waitcnt vmcnt(6)
	v_fma_f32 v6, v104, v157, -v125
	v_fmac_f32_e32 v120, v105, v157
	v_add_f32_e32 v2, v2, v118
	v_mul_f32_e32 v8, v101, v146
	v_fma_f32 v4, v98, v139, -v4
	v_add_f32_e32 v1, v1, v6
	v_fmac_f32_e32 v5, v99, v139
	v_add_f32_e32 v2, v2, v120
	s_waitcnt lgkmcnt(2)
	v_mul_f32_e32 v6, v107, v147
	v_fma_f32 v8, v100, v138, -v8
	v_add_f32_e32 v1, v1, v4
	v_mul_f32_e32 v121, v106, v147
	v_fmac_f32_e32 v119, v101, v138
	v_add_f32_e32 v2, v2, v5
	v_mul_f32_e32 v4, v109, v135
	v_fma_f32 v5, v106, v137, -v6
	v_add_f32_e32 v1, v1, v8
	v_mul_f32_e32 v123, v108, v135
	v_fmac_f32_e32 v121, v107, v137
	v_add_f32_e32 v2, v2, v119
	s_waitcnt lgkmcnt(1)
	v_mul_f32_e32 v6, v111, v149
	s_waitcnt vmcnt(2)
	v_fma_f32 v4, v108, v158, -v4
	v_add_f32_e32 v1, v1, v5
	v_mul_f32_e32 v124, v110, v149
	v_fmac_f32_e32 v123, v109, v158
	v_add_f32_e32 v2, v2, v121
	v_mul_f32_e32 v5, v113, v150
	v_fma_f32 v6, v110, v141, -v6
	v_add_f32_e32 v1, v1, v4
	v_mul_f32_e32 v126, v112, v150
	v_fmac_f32_e32 v124, v111, v141
	v_add_f32_e32 v2, v2, v123
	s_waitcnt lgkmcnt(0)
	v_mul_f32_e32 v4, v115, v156
	v_fma_f32 v5, v112, v140, -v5
	v_add_f32_e32 v1, v1, v6
	v_mul_f32_e32 v127, v114, v156
	v_fmac_f32_e32 v126, v113, v140
	v_add_f32_e32 v2, v2, v124
	v_mul_f32_e32 v6, v117, v136
	v_fma_f32 v4, v114, v7, -v4
	v_add_f32_e32 v1, v1, v5
	v_mul_f32_e32 v3, v116, v136
	v_fmac_f32_e32 v127, v115, v7
	v_add_f32_e32 v2, v2, v126
	s_waitcnt vmcnt(0)
	v_fma_f32 v5, v116, v130, -v6
	v_add_f32_e32 v1, v1, v4
	v_fmac_f32_e32 v3, v117, v130
	v_add_f32_e32 v2, v2, v127
	v_add_f32_e32 v1, v1, v5
	;; [unrolled: 1-line block ×3, first 2 shown]
	v_sub_f32_e32 v1, v159, v1
	v_sub_f32_e32 v2, v148, v2
	buffer_store_dword v1, off, s[0:3], 0 offset:56
	buffer_store_dword v2, off, s[0:3], 0 offset:60
	v_cmpx_lt_u32_e32 6, v0
	s_cbranch_execz .LBB43_265
; %bb.264:
	s_clause 0x1
	buffer_load_dword v1, off, s[0:3], 0 offset:48
	buffer_load_dword v2, off, s[0:3], 0 offset:52
	v_mov_b32_e32 v3, 0
	buffer_store_dword v3, off, s[0:3], 0 offset:48
	buffer_store_dword v3, off, s[0:3], 0 offset:52
	s_waitcnt vmcnt(0)
	ds_write_b64 v97, v[1:2]
.LBB43_265:
	s_or_b32 exec_lo, exec_lo, s4
	s_waitcnt lgkmcnt(0)
	s_waitcnt_vscnt null, 0x0
	s_barrier
	buffer_gl0_inv
	s_clause 0x2b
	buffer_load_dword v129, off, s[0:3], 0 offset:60
	buffer_load_dword v2, off, s[0:3], 0 offset:72
	;; [unrolled: 1-line block ×44, first 2 shown]
	v_mov_b32_e32 v1, 0
	ds_read2_b64 v[130:133], v1 offset0:51 offset1:52
	ds_read2_b64 v[134:137], v1 offset0:53 offset1:54
	;; [unrolled: 1-line block ×3, first 2 shown]
	buffer_load_dword v148, off, s[0:3], 0 offset:52
	s_mov_b32 s4, exec_lo
	s_waitcnt vmcnt(44) lgkmcnt(2)
	v_mul_f32_e32 v147, v130, v129
	v_mul_f32_e32 v129, v131, v129
	s_waitcnt vmcnt(40)
	v_mul_f32_e32 v150, v132, v98
	v_mul_f32_e32 v98, v133, v98
	v_fmac_f32_e32 v147, v131, v99
	v_fma_f32 v149, v130, v99, -v129
	s_waitcnt vmcnt(39) lgkmcnt(1)
	v_mul_f32_e32 v152, v134, v7
	v_fmac_f32_e32 v150, v133, v5
	v_fma_f32 v151, v132, v5, -v98
	v_mul_f32_e32 v5, v135, v7
	ds_read2_b64 v[129:132], v1 offset0:57 offset1:58
	v_fmac_f32_e32 v152, v135, v2
	s_waitcnt vmcnt(38)
	v_mul_f32_e32 v154, v136, v4
	v_fma_f32 v153, v134, v2, -v5
	v_mul_f32_e32 v2, v137, v4
	s_waitcnt vmcnt(34)
	v_fmac_f32_e32 v154, v137, v103
	s_waitcnt vmcnt(33) lgkmcnt(1)
	v_mul_f32_e32 v137, v138, v102
	v_fma_f32 v103, v136, v103, -v2
	v_mul_f32_e32 v2, v139, v102
	ds_read2_b64 v[133:136], v1 offset0:59 offset1:60
	v_fmac_f32_e32 v137, v139, v100
	v_fma_f32 v102, v138, v100, -v2
	s_waitcnt vmcnt(32)
	v_mul_f32_e32 v138, v140, v101
	v_mul_f32_e32 v2, v141, v101
	ds_read2_b64 v[98:101], v1 offset0:63 offset1:64
	v_fmac_f32_e32 v138, v141, v6
	v_fma_f32 v139, v140, v6, -v2
	s_waitcnt vmcnt(31) lgkmcnt(2)
	v_mul_f32_e32 v2, v130, v8
	ds_read2_b64 v[4:7], v1 offset0:61 offset1:62
	v_mul_f32_e32 v140, v129, v8
	v_fma_f32 v8, v129, v3, -v2
	s_waitcnt vmcnt(30)
	v_mul_f32_e32 v2, v132, v104
	v_mul_f32_e32 v129, v131, v104
	v_fmac_f32_e32 v140, v130, v3
	s_waitcnt vmcnt(24) lgkmcnt(2)
	v_mul_f32_e32 v130, v135, v109
	v_fma_f32 v104, v131, v112, -v2
	v_mul_f32_e32 v2, v134, v111
	v_fmac_f32_e32 v129, v132, v112
	v_mul_f32_e32 v112, v133, v111
	v_fmac_f32_e32 v130, v136, v106
	v_fma_f32 v111, v133, v108, -v2
	v_mul_f32_e32 v2, v136, v109
	v_fmac_f32_e32 v112, v134, v108
	s_waitcnt vmcnt(23) lgkmcnt(0)
	v_mul_f32_e32 v132, v4, v107
	s_waitcnt vmcnt(22)
	v_mul_f32_e32 v133, v6, v110
	v_fma_f32 v131, v135, v106, -v2
	v_mul_f32_e32 v2, v5, v107
	ds_read2_b64 v[106:109], v1 offset0:65 offset1:66
	v_fmac_f32_e32 v132, v5, v105
	s_waitcnt vmcnt(18)
	v_fmac_f32_e32 v133, v7, v121
	v_fma_f32 v105, v4, v105, -v2
	v_mul_f32_e32 v2, v7, v110
	s_waitcnt vmcnt(17)
	v_mul_f32_e32 v7, v98, v120
	s_waitcnt vmcnt(16)
	v_mul_f32_e32 v110, v100, v119
	v_mul_f32_e32 v119, v101, v119
	v_fma_f32 v6, v6, v121, -v2
	v_mul_f32_e32 v2, v99, v120
	v_fmac_f32_e32 v7, v99, v117
	v_fmac_f32_e32 v110, v101, v114
	v_fma_f32 v114, v100, v114, -v119
	v_add_f32_e32 v100, 0, v147
	v_fma_f32 v117, v98, v117, -v2
	ds_read2_b64 v[2:5], v1 offset0:67 offset1:68
	s_clause 0x2
	buffer_load_dword v119, off, s[0:3], 0 offset:228
	buffer_load_dword v120, off, s[0:3], 0 offset:236
	;; [unrolled: 1-line block ×3, first 2 shown]
	s_waitcnt vmcnt(18) lgkmcnt(1)
	v_mul_f32_e32 v121, v106, v115
	v_mul_f32_e32 v98, v107, v115
	s_waitcnt vmcnt(17)
	v_mul_f32_e32 v115, v108, v118
	v_mul_f32_e32 v99, v109, v118
	v_fmac_f32_e32 v121, v107, v113
	v_fma_f32 v106, v106, v113, -v98
	s_waitcnt vmcnt(13)
	v_fmac_f32_e32 v115, v109, v128
	v_fma_f32 v107, v108, v128, -v99
	v_add_f32_e32 v109, v100, v150
	ds_read2_b64 v[98:101], v1 offset0:69 offset1:70
	v_add_f32_e32 v108, 0, v149
	v_add_f32_e32 v109, v109, v152
	;; [unrolled: 1-line block ×3, first 2 shown]
	s_waitcnt vmcnt(12) lgkmcnt(1)
	v_mul_f32_e32 v113, v2, v127
	v_mul_f32_e32 v118, v3, v127
	s_clause 0x3
	buffer_load_dword v127, off, s[0:3], 0 offset:264
	buffer_load_dword v128, off, s[0:3], 0 offset:256
	;; [unrolled: 1-line block ×4, first 2 shown]
	v_fmac_f32_e32 v113, v3, v126
	v_fma_f32 v118, v2, v126, -v118
	s_clause 0x1
	buffer_load_dword v126, off, s[0:3], 0 offset:252
	buffer_load_dword v141, off, s[0:3], 0 offset:260
	v_add_f32_e32 v2, v108, v153
	v_add_f32_e32 v3, v109, v154
	s_waitcnt vmcnt(17)
	v_mul_f32_e32 v108, v4, v125
	v_mul_f32_e32 v109, v5, v125
	buffer_load_dword v125, off, s[0:3], 0 offset:268
	v_add_f32_e32 v2, v2, v103
	v_add_f32_e32 v3, v3, v137
	v_fmac_f32_e32 v108, v5, v123
	v_fma_f32 v109, v4, v123, -v109
	s_clause 0x3
	buffer_load_dword v123, off, s[0:3], 0 offset:276
	buffer_load_dword v137, off, s[0:3], 0 offset:284
	;; [unrolled: 1-line block ×4, first 2 shown]
	v_add_f32_e32 v102, v2, v102
	v_add_f32_e32 v103, v3, v138
	ds_read2_b64 v[2:5], v1 offset0:71 offset1:72
	s_waitcnt vmcnt(21) lgkmcnt(1)
	v_mul_f32_e32 v138, v98, v122
	v_mul_f32_e32 v122, v99, v122
	v_add_f32_e32 v102, v102, v139
	v_add_f32_e32 v103, v103, v140
	s_waitcnt vmcnt(20)
	v_mul_f32_e32 v139, v100, v124
	v_fmac_f32_e32 v138, v99, v116
	v_fma_f32 v116, v98, v116, -v122
	v_add_f32_e32 v8, v102, v8
	v_add_f32_e32 v98, v103, v129
	v_mul_f32_e32 v102, v101, v124
	s_clause 0x4
	buffer_load_dword v122, off, s[0:3], 0 offset:308
	buffer_load_dword v124, off, s[0:3], 0 offset:316
	;; [unrolled: 1-line block ×5, first 2 shown]
	v_add_f32_e32 v8, v8, v104
	s_clause 0x4
	buffer_load_dword v151, off, s[0:3], 0 offset:296
	buffer_load_dword v152, off, s[0:3], 0 offset:288
	;; [unrolled: 1-line block ×5, first 2 shown]
	v_add_f32_e32 v98, v98, v112
	s_waitcnt vmcnt(26)
	v_fmac_f32_e32 v139, v101, v145
	v_fma_f32 v145, v100, v145, -v102
	v_add_f32_e32 v8, v8, v111
	v_add_f32_e32 v98, v98, v130
	s_waitcnt vmcnt(25) lgkmcnt(0)
	v_mul_f32_e32 v103, v3, v146
	v_mul_f32_e32 v130, v2, v146
	v_add_f32_e32 v8, v8, v131
	v_add_f32_e32 v102, v98, v132
	ds_read2_b64 v[98:101], v1 offset0:73 offset1:74
	v_fma_f32 v111, v2, v144, -v103
	v_add_f32_e32 v8, v8, v105
	v_fmac_f32_e32 v130, v3, v144
	v_add_f32_e32 v102, v102, v133
	v_add_f32_e32 v2, v8, v6
	s_clause 0x3
	buffer_load_dword v8, off, s[0:3], 0 offset:328
	buffer_load_dword v131, off, s[0:3], 0 offset:320
	;; [unrolled: 1-line block ×4, first 2 shown]
	v_add_f32_e32 v3, v102, v7
	v_add_f32_e32 v2, v2, v117
	s_clause 0x1
	buffer_load_dword v117, off, s[0:3], 0 offset:344
	buffer_load_dword v144, off, s[0:3], 0 offset:336
	v_add_f32_e32 v3, v3, v110
	ds_read2_b64 v[102:105], v1 offset0:77 offset1:78
	v_add_f32_e32 v2, v2, v114
	buffer_load_dword v114, off, s[0:3], 0 offset:48
	v_add_f32_e32 v6, v3, v121
	v_add_f32_e32 v7, v2, v106
	;; [unrolled: 1-line block ×11, first 2 shown]
	s_waitcnt vmcnt(30)
	v_mul_f32_e32 v121, v4, v119
	v_mul_f32_e32 v3, v5, v119
	s_waitcnt vmcnt(29) lgkmcnt(1)
	v_mul_f32_e32 v106, v99, v120
	v_mul_f32_e32 v115, v98, v120
	s_waitcnt vmcnt(28)
	v_mul_f32_e32 v107, v101, v134
	v_fmac_f32_e32 v121, v5, v143
	v_fma_f32 v119, v4, v143, -v3
	ds_read2_b64 v[2:5], v1 offset0:75 offset1:76
	v_fma_f32 v118, v98, v142, -v106
	v_mul_f32_e32 v120, v100, v134
	v_fmac_f32_e32 v115, v99, v142
	s_waitcnt vmcnt(24)
	v_fma_f32 v134, v100, v136, -v107
	v_fmac_f32_e32 v120, v101, v136
	ds_read2_b64 v[98:101], v1 offset0:79 offset1:80
	ds_read2_b64 v[106:109], v1 offset0:81 offset1:82
	s_waitcnt vmcnt(23) lgkmcnt(2)
	v_mul_f32_e32 v116, v2, v126
	v_mul_f32_e32 v110, v3, v126
	s_waitcnt vmcnt(22)
	v_mul_f32_e32 v126, v4, v141
	v_mul_f32_e32 v136, v5, v141
	v_fmac_f32_e32 v116, v3, v135
	v_fma_f32 v135, v2, v135, -v110
	v_add_f32_e32 v2, v6, v139
	v_add_f32_e32 v6, v7, v111
	v_fmac_f32_e32 v126, v5, v128
	v_fma_f32 v128, v4, v128, -v136
	s_waitcnt vmcnt(21)
	v_mul_f32_e32 v136, v102, v125
	v_add_f32_e32 v130, v2, v130
	v_add_f32_e32 v119, v6, v119
	ds_read2_b64 v[110:113], v1 offset0:83 offset1:84
	ds_read2_b64 v[2:5], v1 offset0:85 offset1:86
	v_fmac_f32_e32 v136, v103, v127
	v_add_f32_e32 v121, v130, v121
	v_add_f32_e32 v118, v119, v118
	v_mul_f32_e32 v119, v103, v125
	s_waitcnt vmcnt(20)
	v_mul_f32_e32 v130, v104, v123
	v_mul_f32_e32 v123, v105, v123
	v_add_f32_e32 v115, v121, v115
	v_add_f32_e32 v118, v118, v134
	v_fma_f32 v102, v102, v127, -v119
	s_waitcnt vmcnt(19) lgkmcnt(3)
	v_mul_f32_e32 v121, v98, v137
	v_mul_f32_e32 v127, v99, v137
	v_add_f32_e32 v115, v115, v120
	v_add_f32_e32 v118, v118, v135
	s_waitcnt vmcnt(8)
	v_fma_f32 v104, v104, v154, -v123
	v_fmac_f32_e32 v130, v105, v154
	v_fmac_f32_e32 v121, v99, v153
	v_add_f32_e32 v115, v115, v116
	v_add_f32_e32 v118, v118, v128
	v_fma_f32 v98, v98, v153, -v127
	v_mul_f32_e32 v125, v100, v147
	s_waitcnt lgkmcnt(2)
	v_mul_f32_e32 v134, v106, v149
	v_add_f32_e32 v115, v115, v126
	v_add_f32_e32 v102, v118, v102
	v_mul_f32_e32 v120, v108, v122
	v_fmac_f32_e32 v125, v101, v152
	v_fmac_f32_e32 v134, v107, v151
	v_add_f32_e32 v105, v115, v136
	v_mul_f32_e32 v115, v101, v147
	v_add_f32_e32 v99, v102, v104
	v_mul_f32_e32 v104, v107, v149
	v_mul_f32_e32 v101, v109, v122
	v_add_f32_e32 v102, v105, v130
	v_fma_f32 v100, v100, v152, -v115
	v_add_f32_e32 v98, v99, v98
	ds_read_b64 v[6:7], v1 offset:696
	s_waitcnt vmcnt(3)
	v_fma_f32 v101, v108, v133, -v101
	v_add_f32_e32 v99, v102, v121
	v_fma_f32 v102, v106, v151, -v104
	v_add_f32_e32 v98, v98, v100
	s_waitcnt lgkmcnt(2)
	v_mul_f32_e32 v100, v111, v124
	v_mul_f32_e32 v135, v110, v124
	v_add_f32_e32 v99, v99, v125
	v_fmac_f32_e32 v120, v109, v133
	v_add_f32_e32 v98, v98, v102
	v_mul_f32_e32 v102, v113, v129
	v_fma_f32 v100, v110, v132, -v100
	v_add_f32_e32 v99, v99, v134
	v_mul_f32_e32 v103, v112, v129
	v_add_f32_e32 v98, v98, v101
	v_fmac_f32_e32 v135, v111, v132
	s_waitcnt lgkmcnt(1)
	v_mul_f32_e32 v116, v2, v140
	v_add_f32_e32 v99, v99, v120
	v_mul_f32_e32 v101, v3, v140
	v_fma_f32 v102, v112, v131, -v102
	v_add_f32_e32 v98, v98, v100
	v_fmac_f32_e32 v103, v113, v131
	v_add_f32_e32 v99, v99, v135
	v_mul_f32_e32 v100, v5, v150
	v_fmac_f32_e32 v116, v3, v8
	v_fma_f32 v2, v2, v8, -v101
	v_add_f32_e32 v3, v98, v102
	v_mul_f32_e32 v119, v4, v150
	v_add_f32_e32 v8, v99, v103
	s_waitcnt lgkmcnt(0)
	v_mul_f32_e32 v98, v7, v155
	s_waitcnt vmcnt(1)
	v_fma_f32 v4, v4, v144, -v100
	v_add_f32_e32 v2, v3, v2
	v_mul_f32_e32 v126, v6, v155
	v_fmac_f32_e32 v119, v5, v144
	v_add_f32_e32 v3, v8, v116
	v_fma_f32 v5, v6, v117, -v98
	v_add_f32_e32 v2, v2, v4
	v_fmac_f32_e32 v126, v7, v117
	v_add_f32_e32 v3, v3, v119
	v_add_f32_e32 v2, v2, v5
	;; [unrolled: 1-line block ×3, first 2 shown]
	s_waitcnt vmcnt(0)
	v_sub_f32_e32 v2, v114, v2
	v_sub_f32_e32 v3, v148, v3
	buffer_store_dword v2, off, s[0:3], 0 offset:48
	buffer_store_dword v3, off, s[0:3], 0 offset:52
	v_cmpx_lt_u32_e32 5, v0
	s_cbranch_execz .LBB43_267
; %bb.266:
	s_clause 0x1
	buffer_load_dword v2, off, s[0:3], 0 offset:40
	buffer_load_dword v3, off, s[0:3], 0 offset:44
	buffer_store_dword v1, off, s[0:3], 0 offset:40
	buffer_store_dword v1, off, s[0:3], 0 offset:44
	s_waitcnt vmcnt(0)
	ds_write_b64 v97, v[2:3]
.LBB43_267:
	s_or_b32 exec_lo, exec_lo, s4
	s_waitcnt lgkmcnt(0)
	s_waitcnt_vscnt null, 0x0
	s_barrier
	buffer_gl0_inv
	s_clause 0x2b
	buffer_load_dword v129, off, s[0:3], 0 offset:52
	buffer_load_dword v2, off, s[0:3], 0 offset:64
	;; [unrolled: 1-line block ×44, first 2 shown]
	ds_read_b128 v[130:133], v1 offset:400
	ds_read_b128 v[134:137], v1 offset:416
	;; [unrolled: 1-line block ×3, first 2 shown]
	buffer_load_dword v148, off, s[0:3], 0 offset:44
	s_mov_b32 s4, exec_lo
	s_waitcnt vmcnt(44) lgkmcnt(2)
	v_mul_f32_e32 v147, v130, v129
	v_mul_f32_e32 v129, v131, v129
	s_waitcnt vmcnt(40)
	v_mul_f32_e32 v150, v132, v98
	v_mul_f32_e32 v98, v133, v98
	s_waitcnt vmcnt(39) lgkmcnt(1)
	v_mul_f32_e32 v152, v134, v7
	v_fmac_f32_e32 v147, v131, v99
	v_fma_f32 v149, v130, v99, -v129
	v_fmac_f32_e32 v150, v133, v5
	v_fma_f32 v151, v132, v5, -v98
	v_mul_f32_e32 v5, v135, v7
	ds_read_b128 v[129:132], v1 offset:448
	v_fmac_f32_e32 v152, v135, v2
	s_waitcnt vmcnt(38)
	v_mul_f32_e32 v154, v136, v4
	v_fma_f32 v153, v134, v2, -v5
	v_mul_f32_e32 v2, v137, v4
	s_waitcnt vmcnt(34)
	v_fmac_f32_e32 v154, v137, v103
	s_waitcnt vmcnt(33) lgkmcnt(1)
	v_mul_f32_e32 v137, v138, v102
	v_fma_f32 v103, v136, v103, -v2
	v_mul_f32_e32 v2, v139, v102
	ds_read_b128 v[133:136], v1 offset:464
	v_fmac_f32_e32 v137, v139, v100
	v_fma_f32 v102, v138, v100, -v2
	s_waitcnt vmcnt(32)
	v_mul_f32_e32 v138, v140, v101
	v_mul_f32_e32 v2, v141, v101
	ds_read_b128 v[98:101], v1 offset:496
	v_fmac_f32_e32 v138, v141, v6
	v_fma_f32 v139, v140, v6, -v2
	ds_read_b128 v[4:7], v1 offset:480
	s_waitcnt vmcnt(31) lgkmcnt(3)
	v_mul_f32_e32 v2, v130, v8
	v_mul_f32_e32 v140, v129, v8
	s_waitcnt vmcnt(30)
	v_mul_f32_e32 v141, v131, v104
	v_fma_f32 v8, v129, v3, -v2
	v_mul_f32_e32 v2, v132, v104
	s_waitcnt vmcnt(26)
	v_fmac_f32_e32 v141, v132, v112
	v_fmac_f32_e32 v140, v130, v3
	s_waitcnt vmcnt(24) lgkmcnt(2)
	v_mul_f32_e32 v3, v136, v110
	v_fma_f32 v104, v131, v112, -v2
	v_mul_f32_e32 v112, v133, v111
	v_mul_f32_e32 v2, v134, v111
	v_mul_f32_e32 v111, v135, v110
	ds_read_b128 v[129:132], v1 offset:512
	v_fmac_f32_e32 v112, v134, v108
	v_fma_f32 v108, v133, v108, -v2
	s_waitcnt vmcnt(23) lgkmcnt(1)
	v_mul_f32_e32 v110, v4, v107
	v_mul_f32_e32 v2, v5, v107
	s_waitcnt vmcnt(22)
	v_mul_f32_e32 v107, v6, v109
	v_fmac_f32_e32 v111, v136, v106
	v_fma_f32 v106, v135, v106, -v3
	v_fmac_f32_e32 v110, v5, v105
	v_fma_f32 v105, v4, v105, -v2
	v_mul_f32_e32 v2, v7, v109
	s_waitcnt vmcnt(18)
	v_fmac_f32_e32 v107, v7, v122
	s_clause 0x1
	buffer_load_dword v7, off, s[0:3], 0 offset:220
	buffer_load_dword v109, off, s[0:3], 0 offset:228
	s_waitcnt vmcnt(18)
	v_mul_f32_e32 v3, v101, v119
	v_fma_f32 v6, v6, v122, -v2
	v_mul_f32_e32 v122, v98, v120
	v_mul_f32_e32 v2, v99, v120
	;; [unrolled: 1-line block ×3, first 2 shown]
	s_waitcnt vmcnt(17) lgkmcnt(0)
	v_mul_f32_e32 v119, v129, v118
	v_mul_f32_e32 v118, v130, v118
	v_fmac_f32_e32 v122, v99, v116
	v_fma_f32 v116, v98, v116, -v2
	s_waitcnt vmcnt(16)
	v_mul_f32_e32 v133, v131, v123
	v_mul_f32_e32 v98, v132, v123
	v_fmac_f32_e32 v120, v101, v115
	v_fma_f32 v115, v100, v115, -v3
	ds_read_b128 v[2:5], v1 offset:528
	v_fmac_f32_e32 v119, v130, v113
	v_fma_f32 v113, v129, v113, -v118
	s_waitcnt vmcnt(12)
	v_fmac_f32_e32 v133, v132, v128
	v_fma_f32 v118, v131, v128, -v98
	s_clause 0x7
	buffer_load_dword v123, off, s[0:3], 0 offset:236
	buffer_load_dword v128, off, s[0:3], 0 offset:256
	;; [unrolled: 1-line block ×8, first 2 shown]
	v_add_f32_e32 v98, 0, v147
	v_add_f32_e32 v99, 0, v149
	;; [unrolled: 1-line block ×6, first 2 shown]
	s_waitcnt vmcnt(19) lgkmcnt(0)
	v_mul_f32_e32 v147, v2, v127
	v_mul_f32_e32 v127, v3, v127
	v_add_f32_e32 v136, v98, v154
	v_add_f32_e32 v103, v99, v103
	ds_read_b128 v[98:101], v1 offset:544
	v_fmac_f32_e32 v147, v3, v125
	v_fma_f32 v125, v2, v125, -v127
	v_add_f32_e32 v136, v136, v137
	v_add_f32_e32 v102, v103, v102
	s_waitcnt vmcnt(18)
	v_mul_f32_e32 v137, v4, v126
	v_mul_f32_e32 v103, v5, v126
	v_add_f32_e32 v3, v136, v138
	v_add_f32_e32 v102, v102, v139
	v_fmac_f32_e32 v137, v5, v124
	v_fma_f32 v124, v4, v124, -v103
	v_add_f32_e32 v2, v3, v140
	v_add_f32_e32 v3, v102, v8
	s_clause 0x7
	buffer_load_dword v8, off, s[0:3], 0 offset:268
	buffer_load_dword v126, off, s[0:3], 0 offset:276
	;; [unrolled: 1-line block ×8, first 2 shown]
	v_add_f32_e32 v2, v2, v141
	v_add_f32_e32 v3, v3, v104
	s_waitcnt vmcnt(25) lgkmcnt(0)
	v_mul_f32_e32 v150, v98, v121
	v_mul_f32_e32 v4, v99, v121
	s_clause 0x3
	buffer_load_dword v121, off, s[0:3], 0 offset:300
	buffer_load_dword v141, off, s[0:3], 0 offset:308
	;; [unrolled: 1-line block ×4, first 2 shown]
	v_add_f32_e32 v2, v2, v112
	s_clause 0x1
	buffer_load_dword v153, off, s[0:3], 0 offset:332
	buffer_load_dword v154, off, s[0:3], 0 offset:340
	v_fmac_f32_e32 v150, v99, v114
	v_fma_f32 v114, v98, v114, -v4
	v_add_f32_e32 v98, v3, v108
	s_waitcnt vmcnt(30)
	v_mul_f32_e32 v3, v101, v117
	v_mul_f32_e32 v112, v100, v117
	v_add_f32_e32 v99, v2, v111
	buffer_load_dword v155, off, s[0:3], 0 offset:348
	v_add_f32_e32 v98, v98, v106
	s_waitcnt vmcnt(27)
	v_fma_f32 v111, v100, v145, -v3
	ds_read_b128 v[2:5], v1 offset:560
	v_fmac_f32_e32 v112, v101, v145
	v_add_f32_e32 v99, v99, v110
	s_clause 0x3
	buffer_load_dword v145, off, s[0:3], 0 offset:320
	buffer_load_dword v156, off, s[0:3], 0 offset:312
	buffer_load_dword v157, off, s[0:3], 0 offset:304
	buffer_load_dword v158, off, s[0:3], 0 offset:296
	v_add_f32_e32 v98, v98, v105
	v_add_f32_e32 v99, v99, v107
	;; [unrolled: 1-line block ×4, first 2 shown]
	ds_read_b128 v[98:101], v1 offset:576
	v_add_f32_e32 v6, v6, v116
	v_add_f32_e32 v102, v102, v120
	s_waitcnt vmcnt(30) lgkmcnt(1)
	v_mul_f32_e32 v110, v2, v146
	v_mul_f32_e32 v103, v3, v146
	v_fmac_f32_e32 v110, v3, v144
	v_fma_f32 v116, v2, v144, -v103
	v_add_f32_e32 v2, v6, v115
	v_add_f32_e32 v3, v102, v119
	s_clause 0x3
	buffer_load_dword v6, off, s[0:3], 0 offset:344
	buffer_load_dword v119, off, s[0:3], 0 offset:336
	;; [unrolled: 1-line block ×4, first 2 shown]
	v_add_f32_e32 v2, v2, v113
	v_add_f32_e32 v3, v3, v133
	;; [unrolled: 1-line block ×6, first 2 shown]
	ds_read_b128 v[102:105], v1 offset:608
	v_add_f32_e32 v107, v107, v124
	v_add_f32_e32 v117, v106, v150
	v_add_f32_e32 v114, v107, v114
	v_add_f32_e32 v112, v117, v112
	v_add_f32_e32 v111, v114, v111
	v_add_f32_e32 v110, v112, v110
	s_waitcnt vmcnt(32)
	v_mul_f32_e32 v113, v4, v7
	v_mul_f32_e32 v7, v5, v7
	s_waitcnt vmcnt(31) lgkmcnt(1)
	v_mul_f32_e32 v115, v98, v109
	v_mul_f32_e32 v108, v99, v109
	v_fmac_f32_e32 v113, v5, v143
	v_fma_f32 v7, v4, v143, -v7
	ds_read_b128 v[2:5], v1 offset:592
	v_fmac_f32_e32 v115, v99, v142
	s_waitcnt vmcnt(30)
	v_mul_f32_e32 v118, v100, v123
	v_mul_f32_e32 v109, v101, v123
	v_fma_f32 v123, v98, v142, -v108
	s_waitcnt vmcnt(26)
	v_fmac_f32_e32 v118, v101, v131
	v_fma_f32 v124, v100, v131, -v109
	ds_read_b128 v[98:101], v1 offset:624
	ds_read_b128 v[106:109], v1 offset:640
	s_waitcnt vmcnt(23) lgkmcnt(3)
	v_mul_f32_e32 v133, v103, v135
	s_waitcnt lgkmcnt(2)
	v_mul_f32_e32 v125, v2, v132
	v_mul_f32_e32 v114, v3, v132
	;; [unrolled: 1-line block ×5, first 2 shown]
	v_fmac_f32_e32 v125, v3, v130
	v_fma_f32 v130, v2, v130, -v114
	v_add_f32_e32 v114, v111, v116
	v_add_f32_e32 v116, v110, v113
	v_fmac_f32_e32 v131, v5, v129
	v_fma_f32 v129, v4, v129, -v117
	ds_read_b128 v[2:5], v1 offset:656
	ds_read_b128 v[110:113], v1 offset:672
	v_add_f32_e32 v7, v114, v7
	v_fmac_f32_e32 v132, v103, v128
	v_add_f32_e32 v103, v116, v115
	ds_read_b128 v[114:117], v1 offset:688
	v_fma_f32 v102, v102, v128, -v133
	v_add_f32_e32 v1, v7, v123
	v_add_f32_e32 v103, v103, v118
	s_waitcnt vmcnt(22)
	v_mul_f32_e32 v7, v104, v8
	v_add_f32_e32 v1, v1, v124
	v_mul_f32_e32 v8, v105, v8
	v_add_f32_e32 v103, v103, v125
	s_waitcnt vmcnt(21) lgkmcnt(4)
	v_mul_f32_e32 v124, v99, v126
	v_mul_f32_e32 v118, v98, v126
	v_add_f32_e32 v1, v1, v130
	s_waitcnt vmcnt(15)
	v_fma_f32 v8, v104, v149, -v8
	v_add_f32_e32 v103, v103, v131
	v_fmac_f32_e32 v7, v105, v149
	v_mul_f32_e32 v123, v100, v127
	v_add_f32_e32 v1, v1, v129
	v_mul_f32_e32 v127, v101, v127
	v_fma_f32 v98, v98, v140, -v124
	v_fmac_f32_e32 v118, v99, v140
	s_waitcnt lgkmcnt(3)
	v_mul_f32_e32 v104, v106, v136
	v_add_f32_e32 v1, v1, v102
	v_add_f32_e32 v102, v103, v132
	v_fma_f32 v99, v100, v139, -v127
	v_fmac_f32_e32 v123, v101, v139
	s_waitcnt vmcnt(14)
	v_mul_f32_e32 v105, v108, v121
	v_add_f32_e32 v1, v1, v8
	v_add_f32_e32 v7, v102, v7
	v_mul_f32_e32 v8, v107, v136
	v_fmac_f32_e32 v104, v107, v138
	s_waitcnt vmcnt(13) lgkmcnt(2)
	v_mul_f32_e32 v125, v2, v141
	v_add_f32_e32 v1, v1, v98
	v_add_f32_e32 v7, v7, v118
	v_mul_f32_e32 v98, v109, v121
	v_fma_f32 v8, v106, v138, -v8
	s_waitcnt vmcnt(4)
	v_fmac_f32_e32 v105, v109, v158
	v_add_f32_e32 v1, v1, v99
	v_add_f32_e32 v7, v7, v123
	v_mul_f32_e32 v99, v3, v141
	v_fma_f32 v98, v108, v158, -v98
	v_mul_f32_e32 v126, v4, v151
	v_add_f32_e32 v1, v1, v8
	v_add_f32_e32 v7, v7, v104
	v_mul_f32_e32 v8, v5, v151
	v_fma_f32 v2, v2, v157, -v99
	v_fmac_f32_e32 v125, v3, v157
	v_add_f32_e32 v1, v1, v98
	v_add_f32_e32 v3, v7, v105
	s_waitcnt lgkmcnt(1)
	v_mul_f32_e32 v7, v111, v152
	v_fma_f32 v4, v4, v156, -v8
	v_mul_f32_e32 v128, v110, v152
	v_add_f32_e32 v1, v1, v2
	v_fmac_f32_e32 v126, v5, v156
	v_add_f32_e32 v2, v3, v125
	v_mul_f32_e32 v3, v113, v153
	v_fma_f32 v5, v110, v145, -v7
	v_add_f32_e32 v1, v1, v4
	v_mul_f32_e32 v129, v112, v153
	v_fmac_f32_e32 v128, v111, v145
	v_add_f32_e32 v2, v2, v126
	s_waitcnt lgkmcnt(0)
	v_mul_f32_e32 v4, v115, v154
	s_waitcnt vmcnt(1)
	v_fma_f32 v3, v112, v120, -v3
	v_add_f32_e32 v1, v1, v5
	v_mul_f32_e32 v130, v114, v154
	v_fmac_f32_e32 v129, v113, v120
	v_add_f32_e32 v2, v2, v128
	v_mul_f32_e32 v5, v117, v155
	v_fma_f32 v4, v114, v119, -v4
	v_add_f32_e32 v1, v1, v3
	v_mul_f32_e32 v103, v116, v155
	v_fmac_f32_e32 v130, v115, v119
	v_add_f32_e32 v2, v2, v129
	v_fma_f32 v3, v116, v6, -v5
	v_add_f32_e32 v1, v1, v4
	v_fmac_f32_e32 v103, v117, v6
	v_add_f32_e32 v2, v2, v130
	v_add_f32_e32 v1, v1, v3
	v_add_f32_e32 v2, v2, v103
	s_waitcnt vmcnt(0)
	v_sub_f32_e32 v1, v122, v1
	v_sub_f32_e32 v2, v148, v2
	buffer_store_dword v1, off, s[0:3], 0 offset:40
	buffer_store_dword v2, off, s[0:3], 0 offset:44
	v_cmpx_lt_u32_e32 4, v0
	s_cbranch_execz .LBB43_269
; %bb.268:
	s_clause 0x1
	buffer_load_dword v1, off, s[0:3], 0 offset:32
	buffer_load_dword v2, off, s[0:3], 0 offset:36
	v_mov_b32_e32 v3, 0
	buffer_store_dword v3, off, s[0:3], 0 offset:32
	buffer_store_dword v3, off, s[0:3], 0 offset:36
	s_waitcnt vmcnt(0)
	ds_write_b64 v97, v[1:2]
.LBB43_269:
	s_or_b32 exec_lo, exec_lo, s4
	s_waitcnt lgkmcnt(0)
	s_waitcnt_vscnt null, 0x0
	s_barrier
	buffer_gl0_inv
	s_clause 0x2c
	buffer_load_dword v128, off, s[0:3], 0 offset:44
	buffer_load_dword v129, off, s[0:3], 0 offset:52
	;; [unrolled: 1-line block ×45, first 2 shown]
	v_mov_b32_e32 v1, 0
	ds_read2_b64 v[130:133], v1 offset0:49 offset1:50
	ds_read2_b64 v[134:137], v1 offset0:51 offset1:52
	buffer_load_dword v146, off, s[0:3], 0 offset:36
	s_mov_b32 s4, exec_lo
	s_waitcnt vmcnt(45) lgkmcnt(1)
	v_mul_f32_e32 v144, v130, v128
	v_mul_f32_e32 v128, v131, v128
	s_waitcnt vmcnt(44)
	v_mul_f32_e32 v145, v132, v129
	v_mul_f32_e32 v129, v133, v129
	s_waitcnt vmcnt(41)
	v_fmac_f32_e32 v144, v131, v99
	v_fma_f32 v147, v130, v99, -v128
	s_waitcnt vmcnt(40) lgkmcnt(0)
	v_mul_f32_e32 v149, v134, v4
	v_fma_f32 v148, v132, v7, -v129
	ds_read2_b64 v[128:131], v1 offset0:53 offset1:54
	s_waitcnt vmcnt(39)
	v_mul_f32_e32 v150, v136, v5
	v_mul_f32_e32 v4, v135, v4
	v_fmac_f32_e32 v145, v133, v7
	v_mul_f32_e32 v5, v137, v5
	v_fmac_f32_e32 v149, v135, v2
	s_waitcnt vmcnt(35)
	v_fmac_f32_e32 v150, v137, v102
	v_fma_f32 v137, v134, v2, -v4
	ds_read2_b64 v[132:135], v1 offset0:55 offset1:56
	v_fma_f32 v102, v136, v102, -v5
	s_waitcnt vmcnt(34) lgkmcnt(1)
	v_mul_f32_e32 v136, v128, v101
	v_mul_f32_e32 v2, v129, v101
	s_waitcnt vmcnt(33)
	v_mul_f32_e32 v151, v130, v100
	v_mul_f32_e32 v4, v131, v100
	v_fmac_f32_e32 v136, v129, v98
	v_fma_f32 v128, v128, v98, -v2
	v_fmac_f32_e32 v151, v131, v6
	v_fma_f32 v129, v130, v6, -v4
	ds_read2_b64 v[4:7], v1 offset0:57 offset1:58
	s_waitcnt vmcnt(32) lgkmcnt(1)
	v_mul_f32_e32 v130, v132, v8
	v_mul_f32_e32 v2, v133, v8
	s_waitcnt vmcnt(31)
	v_mul_f32_e32 v8, v134, v103
	v_mul_f32_e32 v98, v135, v103
	v_fmac_f32_e32 v130, v133, v3
	v_fma_f32 v103, v132, v3, -v2
	s_waitcnt vmcnt(27)
	v_fmac_f32_e32 v8, v135, v111
	v_fma_f32 v111, v134, v111, -v98
	ds_read2_b64 v[98:101], v1 offset0:59 offset1:60
	buffer_load_dword v135, off, s[0:3], 0 offset:228
	s_waitcnt vmcnt(27) lgkmcnt(1)
	v_mul_f32_e32 v131, v4, v109
	v_mul_f32_e32 v2, v5, v109
	s_waitcnt vmcnt(26)
	v_mul_f32_e32 v109, v6, v108
	v_mul_f32_e32 v3, v7, v108
	v_fmac_f32_e32 v131, v5, v107
	v_fma_f32 v107, v4, v107, -v2
	v_fmac_f32_e32 v109, v7, v105
	v_fma_f32 v6, v6, v105, -v3
	ds_read2_b64 v[2:5], v1 offset0:61 offset1:62
	s_waitcnt vmcnt(25) lgkmcnt(1)
	v_mul_f32_e32 v7, v98, v106
	v_mul_f32_e32 v105, v99, v106
	s_waitcnt vmcnt(24)
	v_mul_f32_e32 v106, v100, v110
	v_mul_f32_e32 v108, v101, v110
	v_fmac_f32_e32 v7, v99, v104
	v_fma_f32 v104, v98, v104, -v105
	s_waitcnt vmcnt(20)
	v_fmac_f32_e32 v106, v101, v119
	v_fma_f32 v105, v100, v119, -v108
	ds_read2_b64 v[98:101], v1 offset0:63 offset1:64
	s_waitcnt vmcnt(19) lgkmcnt(1)
	v_mul_f32_e32 v108, v2, v117
	v_mul_f32_e32 v110, v3, v117
	s_waitcnt vmcnt(18)
	v_mul_f32_e32 v117, v4, v116
	v_mul_f32_e32 v116, v5, v116
	v_fmac_f32_e32 v108, v3, v115
	v_fma_f32 v110, v2, v115, -v110
	v_fmac_f32_e32 v117, v5, v113
	v_fma_f32 v113, v4, v113, -v116
	ds_read2_b64 v[2:5], v1 offset0:65 offset1:66
	s_waitcnt vmcnt(17) lgkmcnt(1)
	v_mul_f32_e32 v115, v98, v114
	v_mul_f32_e32 v114, v99, v114
	s_waitcnt vmcnt(16)
	v_mul_f32_e32 v116, v100, v118
	v_mul_f32_e32 v118, v101, v118
	v_fmac_f32_e32 v115, v99, v112
	v_fma_f32 v112, v98, v112, -v114
	s_waitcnt vmcnt(12)
	v_fmac_f32_e32 v116, v101, v126
	v_fma_f32 v114, v100, v126, -v118
	ds_read2_b64 v[98:101], v1 offset0:67 offset1:68
	s_waitcnt vmcnt(11) lgkmcnt(1)
	v_mul_f32_e32 v118, v2, v125
	v_mul_f32_e32 v119, v3, v125
	s_waitcnt vmcnt(10)
	v_mul_f32_e32 v125, v4, v124
	v_mul_f32_e32 v124, v5, v124
	v_fmac_f32_e32 v118, v3, v123
	v_fma_f32 v119, v2, v123, -v119
	v_fmac_f32_e32 v125, v5, v121
	v_fma_f32 v121, v4, v121, -v124
	ds_read2_b64 v[2:5], v1 offset0:69 offset1:70
	s_waitcnt vmcnt(8) lgkmcnt(1)
	v_mul_f32_e32 v124, v100, v127
	v_mul_f32_e32 v126, v101, v127
	buffer_load_dword v127, off, s[0:3], 0 offset:220
	v_mul_f32_e32 v123, v98, v122
	v_mul_f32_e32 v122, v99, v122
	s_waitcnt vmcnt(5)
	v_fmac_f32_e32 v124, v101, v141
	v_fmac_f32_e32 v123, v99, v120
	v_fma_f32 v120, v98, v120, -v122
	v_fma_f32 v122, v100, v141, -v126
	ds_read2_b64 v[98:101], v1 offset0:71 offset1:72
	s_waitcnt vmcnt(4) lgkmcnt(1)
	v_mul_f32_e32 v126, v2, v142
	v_mul_f32_e32 v132, v3, v142
	s_waitcnt vmcnt(3)
	v_mul_f32_e32 v133, v4, v143
	v_mul_f32_e32 v134, v5, v143
	v_fmac_f32_e32 v126, v3, v140
	v_fma_f32 v132, v2, v140, -v132
	v_fmac_f32_e32 v133, v5, v139
	v_fma_f32 v134, v4, v139, -v134
	s_clause 0x4
	buffer_load_dword v139, off, s[0:3], 0 offset:248
	buffer_load_dword v140, off, s[0:3], 0 offset:240
	;; [unrolled: 1-line block ×5, first 2 shown]
	s_waitcnt vmcnt(6) lgkmcnt(0)
	v_mul_f32_e32 v4, v101, v135
	s_waitcnt vmcnt(5)
	v_mul_f32_e32 v142, v98, v127
	v_mul_f32_e32 v3, v99, v127
	;; [unrolled: 1-line block ×3, first 2 shown]
	v_fmac_f32_e32 v142, v99, v138
	v_fma_f32 v135, v98, v138, -v3
	buffer_load_dword v138, off, s[0:3], 0 offset:236
	v_add_f32_e32 v3, 0, v147
	v_add_f32_e32 v3, v3, v148
	;; [unrolled: 1-line block ×4, first 2 shown]
	s_waitcnt vmcnt(2)
	v_fmac_f32_e32 v127, v101, v2
	v_fma_f32 v143, v100, v2, -v4
	v_add_f32_e32 v2, 0, v144
	buffer_load_dword v144, off, s[0:3], 0 offset:252
	v_add_f32_e32 v3, v3, v128
	v_add_f32_e32 v2, v2, v145
	buffer_load_dword v145, off, s[0:3], 0 offset:260
	v_add_f32_e32 v3, v3, v129
	v_add_f32_e32 v2, v2, v149
	s_clause 0x3
	buffer_load_dword v147, off, s[0:3], 0 offset:280
	buffer_load_dword v148, off, s[0:3], 0 offset:272
	;; [unrolled: 1-line block ×4, first 2 shown]
	v_add_f32_e32 v3, v3, v103
	v_add_f32_e32 v2, v2, v150
	s_clause 0x1
	buffer_load_dword v137, off, s[0:3], 0 offset:268
	buffer_load_dword v150, off, s[0:3], 0 offset:276
	v_add_f32_e32 v3, v3, v111
	v_add_f32_e32 v2, v2, v136
	buffer_load_dword v136, off, s[0:3], 0 offset:284
	v_add_f32_e32 v3, v3, v107
	v_add_f32_e32 v2, v2, v151
	s_clause 0x3
	buffer_load_dword v128, off, s[0:3], 0 offset:292
	buffer_load_dword v151, off, s[0:3], 0 offset:300
	;; [unrolled: 1-line block ×4, first 2 shown]
	v_add_f32_e32 v3, v3, v6
	v_add_f32_e32 v2, v2, v130
	s_clause 0x1
	buffer_load_dword v129, off, s[0:3], 0 offset:324
	buffer_load_dword v130, off, s[0:3], 0 offset:332
	v_add_f32_e32 v3, v3, v104
	v_add_f32_e32 v2, v2, v8
	s_clause 0x1
	buffer_load_dword v8, off, s[0:3], 0 offset:340
	buffer_load_dword v156, off, s[0:3], 0 offset:348
	;; [unrolled: 5-line block ×3, first 2 shown]
	buffer_load_dword v158, off, s[0:3], 0 offset:296
	buffer_load_dword v159, off, s[0:3], 0 offset:288
	;; [unrolled: 1-line block ×7, first 2 shown]
	v_add_f32_e32 v3, v3, v110
	v_add_f32_e32 v2, v2, v109
	ds_read2_b64 v[98:101], v1 offset0:75 offset1:76
	v_add_f32_e32 v2, v2, v7
	v_add_f32_e32 v7, v3, v113
	;; [unrolled: 1-line block ×7, first 2 shown]
	ds_read2_b64 v[2:5], v1 offset0:73 offset1:74
	v_add_f32_e32 v7, v7, v119
	v_add_f32_e32 v6, v6, v115
	v_add_f32_e32 v7, v7, v121
	v_add_f32_e32 v6, v6, v116
	v_add_f32_e32 v6, v6, v118
	v_add_f32_e32 v6, v6, v125
	s_waitcnt vmcnt(27) lgkmcnt(0)
	v_mul_f32_e32 v115, v4, v152
	v_mul_f32_e32 v103, v5, v152
	v_add_f32_e32 v6, v6, v123
	v_fmac_f32_e32 v115, v5, v140
	v_fma_f32 v117, v4, v140, -v103
	v_add_f32_e32 v6, v6, v124
	v_add_f32_e32 v6, v6, v126
	;; [unrolled: 1-line block ×3, first 2 shown]
	s_waitcnt vmcnt(26)
	v_mul_f32_e32 v114, v2, v138
	v_mul_f32_e32 v102, v3, v138
	v_fmac_f32_e32 v114, v3, v141
	v_add_f32_e32 v3, v7, v120
	v_fma_f32 v116, v2, v141, -v102
	v_add_f32_e32 v7, v3, v122
	ds_read2_b64 v[2:5], v1 offset0:77 offset1:78
	ds_read2_b64 v[102:105], v1 offset0:79 offset1:80
	v_add_f32_e32 v122, v6, v142
	ds_read2_b64 v[106:109], v1 offset0:81 offset1:82
	v_add_f32_e32 v7, v7, v132
	v_add_f32_e32 v122, v122, v127
	v_add_f32_e32 v7, v7, v134
	s_waitcnt vmcnt(25)
	v_mul_f32_e32 v110, v99, v144
	v_mul_f32_e32 v118, v98, v144
	v_add_f32_e32 v114, v122, v114
	v_add_f32_e32 v7, v7, v135
	s_waitcnt vmcnt(24)
	v_mul_f32_e32 v120, v101, v145
	v_fma_f32 v121, v98, v139, -v110
	v_mul_f32_e32 v119, v100, v145
	v_fmac_f32_e32 v118, v99, v139
	v_add_f32_e32 v123, v7, v143
	v_add_f32_e32 v114, v114, v115
	s_waitcnt vmcnt(20)
	v_fma_f32 v120, v100, v153, -v120
	v_fmac_f32_e32 v119, v101, v153
	ds_read2_b64 v[110:113], v1 offset0:83 offset1:84
	v_add_f32_e32 v116, v123, v116
	s_waitcnt vmcnt(19) lgkmcnt(3)
	v_mul_f32_e32 v123, v3, v137
	v_mul_f32_e32 v124, v2, v137
	v_add_f32_e32 v114, v114, v118
	s_waitcnt vmcnt(18)
	v_mul_f32_e32 v126, v5, v150
	v_add_f32_e32 v116, v116, v117
	v_fma_f32 v2, v2, v149, -v123
	v_mul_f32_e32 v125, v4, v150
	v_fmac_f32_e32 v124, v3, v149
	v_add_f32_e32 v114, v114, v119
	v_add_f32_e32 v116, v116, v121
	s_waitcnt vmcnt(17) lgkmcnt(2)
	v_mul_f32_e32 v123, v103, v136
	v_fma_f32 v4, v4, v148, -v126
	v_mul_f32_e32 v122, v102, v136
	v_fmac_f32_e32 v125, v5, v148
	v_add_f32_e32 v116, v116, v120
	v_add_f32_e32 v5, v114, v124
	s_waitcnt vmcnt(16)
	v_mul_f32_e32 v114, v105, v128
	v_fma_f32 v102, v102, v147, -v123
	v_mul_f32_e32 v117, v104, v128
	v_add_f32_e32 v2, v116, v2
	v_fmac_f32_e32 v122, v103, v147
	ds_read2_b64 v[98:101], v1 offset0:85 offset1:86
	ds_read_b64 v[6:7], v1 offset:696
	s_waitcnt vmcnt(15) lgkmcnt(3)
	v_mul_f32_e32 v127, v106, v151
	s_waitcnt vmcnt(14)
	v_mul_f32_e32 v115, v108, v154
	v_add_f32_e32 v2, v2, v4
	v_add_f32_e32 v4, v5, v125
	v_mul_f32_e32 v5, v107, v151
	s_waitcnt vmcnt(5)
	v_fma_f32 v103, v104, v159, -v114
	v_fmac_f32_e32 v117, v105, v159
	v_add_f32_e32 v2, v2, v102
	v_add_f32_e32 v4, v4, v122
	v_mul_f32_e32 v102, v109, v154
	v_fma_f32 v5, v106, v158, -v5
	v_fmac_f32_e32 v127, v107, v158
	v_add_f32_e32 v2, v2, v103
	v_add_f32_e32 v4, v4, v117
	s_waitcnt lgkmcnt(2)
	v_mul_f32_e32 v103, v111, v155
	v_fma_f32 v102, v108, v157, -v102
	v_mul_f32_e32 v121, v110, v155
	v_add_f32_e32 v2, v2, v5
	v_fmac_f32_e32 v115, v109, v157
	v_add_f32_e32 v4, v4, v127
	v_mul_f32_e32 v5, v113, v129
	v_fma_f32 v103, v110, v131, -v103
	v_add_f32_e32 v2, v2, v102
	v_mul_f32_e32 v3, v112, v129
	v_fmac_f32_e32 v121, v111, v131
	v_add_f32_e32 v4, v4, v115
	s_waitcnt lgkmcnt(1)
	v_mul_f32_e32 v102, v99, v130
	s_waitcnt vmcnt(1)
	v_fma_f32 v5, v112, v163, -v5
	v_add_f32_e32 v2, v2, v103
	v_mul_f32_e32 v118, v98, v130
	v_fmac_f32_e32 v3, v113, v163
	v_add_f32_e32 v4, v4, v121
	v_mul_f32_e32 v120, v100, v8
	v_mul_f32_e32 v8, v101, v8
	v_fma_f32 v98, v98, v162, -v102
	v_add_f32_e32 v2, v2, v5
	v_fmac_f32_e32 v118, v99, v162
	v_add_f32_e32 v3, v4, v3
	s_waitcnt lgkmcnt(0)
	v_mul_f32_e32 v4, v7, v156
	v_fma_f32 v5, v100, v161, -v8
	v_add_f32_e32 v2, v2, v98
	v_mul_f32_e32 v119, v6, v156
	v_fmac_f32_e32 v120, v101, v161
	v_add_f32_e32 v3, v3, v118
	v_fma_f32 v4, v6, v160, -v4
	v_add_f32_e32 v2, v2, v5
	v_fmac_f32_e32 v119, v7, v160
	v_add_f32_e32 v3, v3, v120
	v_add_f32_e32 v2, v2, v4
	;; [unrolled: 1-line block ×3, first 2 shown]
	s_waitcnt vmcnt(0)
	v_sub_f32_e32 v2, v164, v2
	v_sub_f32_e32 v3, v146, v3
	buffer_store_dword v2, off, s[0:3], 0 offset:32
	buffer_store_dword v3, off, s[0:3], 0 offset:36
	v_cmpx_lt_u32_e32 3, v0
	s_cbranch_execz .LBB43_271
; %bb.270:
	s_clause 0x1
	buffer_load_dword v2, off, s[0:3], 0 offset:24
	buffer_load_dword v3, off, s[0:3], 0 offset:28
	buffer_store_dword v1, off, s[0:3], 0 offset:24
	buffer_store_dword v1, off, s[0:3], 0 offset:28
	s_waitcnt vmcnt(0)
	ds_write_b64 v97, v[2:3]
.LBB43_271:
	s_or_b32 exec_lo, exec_lo, s4
	s_waitcnt lgkmcnt(0)
	s_waitcnt_vscnt null, 0x0
	s_barrier
	buffer_gl0_inv
	s_clause 0x2c
	buffer_load_dword v128, off, s[0:3], 0 offset:36
	buffer_load_dword v129, off, s[0:3], 0 offset:44
	buffer_load_dword v2, off, s[0:3], 0 offset:48
	buffer_load_dword v7, off, s[0:3], 0 offset:40
	buffer_load_dword v99, off, s[0:3], 0 offset:32
	buffer_load_dword v4, off, s[0:3], 0 offset:52
	buffer_load_dword v5, off, s[0:3], 0 offset:60
	buffer_load_dword v3, off, s[0:3], 0 offset:80
	buffer_load_dword v6, off, s[0:3], 0 offset:72
	buffer_load_dword v98, off, s[0:3], 0 offset:64
	buffer_load_dword v102, off, s[0:3], 0 offset:56
	buffer_load_dword v101, off, s[0:3], 0 offset:68
	buffer_load_dword v100, off, s[0:3], 0 offset:76
	buffer_load_dword v8, off, s[0:3], 0 offset:84
	buffer_load_dword v103, off, s[0:3], 0 offset:92
	buffer_load_dword v104, off, s[0:3], 0 offset:112
	buffer_load_dword v105, off, s[0:3], 0 offset:104
	buffer_load_dword v107, off, s[0:3], 0 offset:96
	buffer_load_dword v111, off, s[0:3], 0 offset:88
	buffer_load_dword v109, off, s[0:3], 0 offset:100
	buffer_load_dword v108, off, s[0:3], 0 offset:108
	buffer_load_dword v106, off, s[0:3], 0 offset:116
	buffer_load_dword v110, off, s[0:3], 0 offset:124
	buffer_load_dword v112, off, s[0:3], 0 offset:144
	buffer_load_dword v113, off, s[0:3], 0 offset:136
	buffer_load_dword v115, off, s[0:3], 0 offset:128
	buffer_load_dword v119, off, s[0:3], 0 offset:120
	buffer_load_dword v117, off, s[0:3], 0 offset:132
	buffer_load_dword v116, off, s[0:3], 0 offset:140
	buffer_load_dword v114, off, s[0:3], 0 offset:148
	buffer_load_dword v118, off, s[0:3], 0 offset:156
	buffer_load_dword v120, off, s[0:3], 0 offset:176
	buffer_load_dword v121, off, s[0:3], 0 offset:168
	buffer_load_dword v123, off, s[0:3], 0 offset:160
	buffer_load_dword v127, off, s[0:3], 0 offset:152
	buffer_load_dword v125, off, s[0:3], 0 offset:164
	buffer_load_dword v124, off, s[0:3], 0 offset:172
	buffer_load_dword v122, off, s[0:3], 0 offset:180
	buffer_load_dword v126, off, s[0:3], 0 offset:188
	buffer_load_dword v138, off, s[0:3], 0 offset:208
	buffer_load_dword v139, off, s[0:3], 0 offset:200
	buffer_load_dword v140, off, s[0:3], 0 offset:192
	buffer_load_dword v141, off, s[0:3], 0 offset:184
	buffer_load_dword v142, off, s[0:3], 0 offset:196
	buffer_load_dword v143, off, s[0:3], 0 offset:204
	ds_read_b128 v[130:133], v1 offset:384
	ds_read_b128 v[134:137], v1 offset:400
	buffer_load_dword v146, off, s[0:3], 0 offset:28
	s_mov_b32 s4, exec_lo
	s_waitcnt vmcnt(45) lgkmcnt(1)
	v_mul_f32_e32 v144, v130, v128
	v_mul_f32_e32 v128, v131, v128
	s_waitcnt vmcnt(44)
	v_mul_f32_e32 v145, v132, v129
	v_mul_f32_e32 v129, v133, v129
	s_waitcnt vmcnt(41)
	v_fmac_f32_e32 v144, v131, v99
	v_fma_f32 v147, v130, v99, -v128
	s_waitcnt vmcnt(40) lgkmcnt(0)
	v_mul_f32_e32 v149, v134, v4
	v_fma_f32 v148, v132, v7, -v129
	ds_read_b128 v[128:131], v1 offset:416
	s_waitcnt vmcnt(39)
	v_mul_f32_e32 v150, v136, v5
	v_mul_f32_e32 v4, v135, v4
	v_mul_f32_e32 v5, v137, v5
	v_fmac_f32_e32 v145, v133, v7
	v_fmac_f32_e32 v149, v135, v2
	s_waitcnt vmcnt(35)
	v_fmac_f32_e32 v150, v137, v102
	v_fma_f32 v137, v134, v2, -v4
	v_fma_f32 v102, v136, v102, -v5
	ds_read_b128 v[132:135], v1 offset:432
	s_waitcnt vmcnt(34) lgkmcnt(1)
	v_mul_f32_e32 v136, v128, v101
	s_waitcnt vmcnt(33)
	v_mul_f32_e32 v151, v130, v100
	v_mul_f32_e32 v4, v131, v100
	;; [unrolled: 1-line block ×3, first 2 shown]
	v_fmac_f32_e32 v136, v129, v98
	v_fmac_f32_e32 v151, v131, v6
	v_fma_f32 v129, v130, v6, -v4
	ds_read_b128 v[4:7], v1 offset:448
	v_fma_f32 v128, v128, v98, -v2
	s_waitcnt vmcnt(32) lgkmcnt(1)
	v_mul_f32_e32 v130, v132, v8
	v_mul_f32_e32 v2, v133, v8
	s_waitcnt vmcnt(31)
	v_mul_f32_e32 v8, v134, v103
	v_mul_f32_e32 v98, v135, v103
	v_fmac_f32_e32 v130, v133, v3
	v_fma_f32 v103, v132, v3, -v2
	s_waitcnt vmcnt(27)
	v_fmac_f32_e32 v8, v135, v111
	v_fma_f32 v111, v134, v111, -v98
	ds_read_b128 v[98:101], v1 offset:464
	buffer_load_dword v135, off, s[0:3], 0 offset:220
	s_waitcnt vmcnt(27) lgkmcnt(1)
	v_mul_f32_e32 v131, v4, v109
	v_mul_f32_e32 v2, v5, v109
	s_waitcnt vmcnt(26)
	v_mul_f32_e32 v3, v7, v108
	v_mul_f32_e32 v109, v6, v108
	v_fmac_f32_e32 v131, v5, v107
	v_fma_f32 v107, v4, v107, -v2
	v_fma_f32 v6, v6, v105, -v3
	ds_read_b128 v[2:5], v1 offset:480
	v_fmac_f32_e32 v109, v7, v105
	s_waitcnt vmcnt(25) lgkmcnt(1)
	v_mul_f32_e32 v7, v98, v106
	v_mul_f32_e32 v105, v99, v106
	s_waitcnt vmcnt(24)
	v_mul_f32_e32 v106, v100, v110
	v_mul_f32_e32 v108, v101, v110
	v_fmac_f32_e32 v7, v99, v104
	v_fma_f32 v104, v98, v104, -v105
	s_waitcnt vmcnt(20)
	v_fmac_f32_e32 v106, v101, v119
	v_fma_f32 v105, v100, v119, -v108
	ds_read_b128 v[98:101], v1 offset:496
	s_waitcnt vmcnt(19) lgkmcnt(1)
	v_mul_f32_e32 v108, v2, v117
	v_mul_f32_e32 v110, v3, v117
	s_waitcnt vmcnt(18)
	v_mul_f32_e32 v117, v4, v116
	v_mul_f32_e32 v116, v5, v116
	v_fmac_f32_e32 v108, v3, v115
	v_fma_f32 v110, v2, v115, -v110
	v_fmac_f32_e32 v117, v5, v113
	v_fma_f32 v113, v4, v113, -v116
	ds_read_b128 v[2:5], v1 offset:512
	s_waitcnt vmcnt(17) lgkmcnt(1)
	v_mul_f32_e32 v115, v98, v114
	v_mul_f32_e32 v114, v99, v114
	s_waitcnt vmcnt(16)
	v_mul_f32_e32 v116, v100, v118
	v_mul_f32_e32 v118, v101, v118
	v_fmac_f32_e32 v115, v99, v112
	v_fma_f32 v112, v98, v112, -v114
	s_waitcnt vmcnt(12)
	v_fmac_f32_e32 v116, v101, v127
	v_fma_f32 v114, v100, v127, -v118
	ds_read_b128 v[98:101], v1 offset:528
	buffer_load_dword v127, off, s[0:3], 0 offset:212
	s_waitcnt vmcnt(12) lgkmcnt(1)
	v_mul_f32_e32 v118, v2, v125
	v_mul_f32_e32 v119, v3, v125
	s_waitcnt vmcnt(11)
	v_mul_f32_e32 v125, v4, v124
	v_mul_f32_e32 v124, v5, v124
	v_fmac_f32_e32 v118, v3, v123
	v_fma_f32 v119, v2, v123, -v119
	v_fmac_f32_e32 v125, v5, v121
	v_fma_f32 v121, v4, v121, -v124
	ds_read_b128 v[2:5], v1 offset:544
	s_waitcnt vmcnt(10) lgkmcnt(1)
	v_mul_f32_e32 v123, v98, v122
	v_mul_f32_e32 v122, v99, v122
	s_waitcnt vmcnt(9)
	v_mul_f32_e32 v124, v100, v126
	v_mul_f32_e32 v126, v101, v126
	v_fmac_f32_e32 v123, v99, v120
	v_fma_f32 v120, v98, v120, -v122
	s_waitcnt vmcnt(5)
	v_fmac_f32_e32 v124, v101, v141
	v_fma_f32 v122, v100, v141, -v126
	ds_read_b128 v[98:101], v1 offset:560
	s_waitcnt vmcnt(4) lgkmcnt(1)
	v_mul_f32_e32 v126, v2, v142
	v_mul_f32_e32 v132, v3, v142
	s_waitcnt vmcnt(3)
	v_mul_f32_e32 v133, v4, v143
	v_mul_f32_e32 v134, v5, v143
	v_fmac_f32_e32 v126, v3, v140
	v_fma_f32 v132, v2, v140, -v132
	v_fmac_f32_e32 v133, v5, v139
	v_fma_f32 v134, v4, v139, -v134
	s_clause 0x5
	buffer_load_dword v139, off, s[0:3], 0 offset:240
	buffer_load_dword v140, off, s[0:3], 0 offset:232
	;; [unrolled: 1-line block ×6, first 2 shown]
	v_add_f32_e32 v3, 0, v144
	buffer_load_dword v144, off, s[0:3], 0 offset:244
	v_add_f32_e32 v4, 0, v147
	v_add_f32_e32 v3, v3, v145
	;; [unrolled: 1-line block ×11, first 2 shown]
	s_waitcnt vmcnt(8) lgkmcnt(0)
	v_mul_f32_e32 v128, v100, v135
	s_waitcnt vmcnt(7)
	v_mul_f32_e32 v145, v98, v127
	v_mul_f32_e32 v5, v99, v127
	buffer_load_dword v127, off, s[0:3], 0 offset:252
	v_fmac_f32_e32 v145, v99, v138
	v_fma_f32 v137, v98, v138, -v5
	s_clause 0x6
	buffer_load_dword v138, off, s[0:3], 0 offset:272
	buffer_load_dword v147, off, s[0:3], 0 offset:264
	;; [unrolled: 1-line block ×7, first 2 shown]
	v_mul_f32_e32 v5, v101, v135
	buffer_load_dword v135, off, s[0:3], 0 offset:268
	s_waitcnt vmcnt(12)
	v_fmac_f32_e32 v128, v101, v2
	v_fma_f32 v150, v100, v2, -v5
	v_add_f32_e32 v2, v3, v130
	v_add_f32_e32 v3, v4, v103
	s_clause 0x2
	buffer_load_dword v130, off, s[0:3], 0 offset:292
	buffer_load_dword v152, off, s[0:3], 0 offset:300
	;; [unrolled: 1-line block ×3, first 2 shown]
	v_add_f32_e32 v2, v2, v8
	v_add_f32_e32 v3, v3, v111
	s_clause 0x3
	buffer_load_dword v8, off, s[0:3], 0 offset:316
	buffer_load_dword v154, off, s[0:3], 0 offset:324
	buffer_load_dword v155, off, s[0:3], 0 offset:332
	buffer_load_dword v156, off, s[0:3], 0 offset:340
	v_add_f32_e32 v2, v2, v131
	v_add_f32_e32 v3, v3, v107
	buffer_load_dword v131, off, s[0:3], 0 offset:348
	v_add_f32_e32 v2, v2, v109
	v_add_f32_e32 v3, v3, v6
	s_clause 0x3
	buffer_load_dword v6, off, s[0:3], 0 offset:304
	buffer_load_dword v157, off, s[0:3], 0 offset:296
	;; [unrolled: 1-line block ×4, first 2 shown]
	v_add_f32_e32 v2, v2, v7
	s_clause 0x5
	buffer_load_dword v7, off, s[0:3], 0 offset:336
	buffer_load_dword v160, off, s[0:3], 0 offset:328
	;; [unrolled: 1-line block ×6, first 2 shown]
	v_add_f32_e32 v3, v3, v104
	v_add_f32_e32 v2, v2, v106
	;; [unrolled: 1-line block ×9, first 2 shown]
	ds_read_b128 v[2:5], v1 offset:576
	v_add_f32_e32 v98, v98, v116
	v_add_f32_e32 v99, v99, v114
	;; [unrolled: 1-line block ×4, first 2 shown]
	ds_read_b128 v[98:101], v1 offset:592
	v_add_f32_e32 v102, v102, v125
	v_add_f32_e32 v103, v103, v121
	;; [unrolled: 1-line block ×4, first 2 shown]
	s_waitcnt vmcnt(29) lgkmcnt(1)
	v_mul_f32_e32 v114, v2, v142
	v_mul_f32_e32 v104, v3, v142
	s_waitcnt vmcnt(28)
	v_mul_f32_e32 v118, v4, v143
	v_mul_f32_e32 v105, v5, v143
	v_add_f32_e32 v107, v102, v124
	v_fmac_f32_e32 v114, v3, v141
	v_fma_f32 v119, v2, v141, -v104
	v_fmac_f32_e32 v118, v5, v140
	v_fma_f32 v121, v4, v140, -v105
	ds_read_b128 v[2:5], v1 offset:608
	ds_read_b128 v[102:105], v1 offset:624
	v_add_f32_e32 v106, v106, v122
	s_waitcnt vmcnt(27) lgkmcnt(2)
	v_mul_f32_e32 v120, v98, v144
	v_add_f32_e32 v107, v107, v126
	v_mul_f32_e32 v108, v99, v144
	v_add_f32_e32 v106, v106, v132
	v_fmac_f32_e32 v120, v99, v139
	v_add_f32_e32 v99, v107, v133
	v_fma_f32 v123, v98, v139, -v108
	v_add_f32_e32 v110, v106, v134
	v_add_f32_e32 v111, v99, v145
	;; [unrolled: 1-line block ×5, first 2 shown]
	s_waitcnt vmcnt(26)
	v_mul_f32_e32 v122, v100, v127
	v_mul_f32_e32 v109, v101, v127
	s_waitcnt vmcnt(22)
	v_fmac_f32_e32 v122, v101, v149
	s_waitcnt vmcnt(21) lgkmcnt(1)
	v_mul_f32_e32 v125, v2, v136
	v_mul_f32_e32 v116, v3, v136
	v_fma_f32 v124, v100, v149, -v109
	ds_read_b128 v[98:101], v1 offset:640
	ds_read_b128 v[106:109], v1 offset:656
	;; [unrolled: 1-line block ×3, first 2 shown]
	v_fmac_f32_e32 v125, v3, v148
	v_fma_f32 v2, v2, v148, -v116
	v_add_f32_e32 v3, v117, v114
	ds_read_b128 v[114:117], v1 offset:688
	v_add_f32_e32 v1, v126, v119
	s_waitcnt vmcnt(18)
	v_mul_f32_e32 v126, v5, v135
	v_mul_f32_e32 v119, v4, v135
	v_add_f32_e32 v3, v3, v118
	s_waitcnt lgkmcnt(4)
	v_mul_f32_e32 v127, v103, v129
	v_add_f32_e32 v1, v1, v121
	v_fma_f32 v4, v4, v147, -v126
	v_mul_f32_e32 v118, v102, v129
	v_add_f32_e32 v3, v3, v120
	v_fmac_f32_e32 v119, v5, v147
	v_add_f32_e32 v1, v1, v123
	v_fma_f32 v102, v102, v138, -v127
	v_mul_f32_e32 v121, v104, v151
	v_add_f32_e32 v3, v3, v122
	v_mul_f32_e32 v122, v105, v151
	v_add_f32_e32 v1, v1, v124
	v_fmac_f32_e32 v118, v103, v138
	v_add_f32_e32 v1, v1, v2
	v_add_f32_e32 v2, v3, v125
	;; [unrolled: 1-line block ×4, first 2 shown]
	s_waitcnt vmcnt(17) lgkmcnt(3)
	v_mul_f32_e32 v4, v99, v130
	v_mul_f32_e32 v5, v98, v130
	v_add_f32_e32 v1, v1, v102
	v_add_f32_e32 v2, v2, v118
	s_waitcnt vmcnt(16)
	v_mul_f32_e32 v102, v101, v152
	v_mul_f32_e32 v126, v100, v152
	s_waitcnt vmcnt(15) lgkmcnt(2)
	v_mul_f32_e32 v120, v106, v153
	s_waitcnt vmcnt(14)
	v_mul_f32_e32 v123, v108, v8
	s_waitcnt vmcnt(13) lgkmcnt(1)
	v_mul_f32_e32 v128, v110, v154
	s_waitcnt vmcnt(12)
	;; [unrolled: 4-line block ×3, first 2 shown]
	v_mul_f32_e32 v3, v116, v131
	s_waitcnt vmcnt(9)
	v_fmac_f32_e32 v120, v107, v6
	s_waitcnt vmcnt(8)
	v_fmac_f32_e32 v126, v101, v157
	s_waitcnt vmcnt(7)
	v_fma_f32 v4, v98, v158, -v4
	s_waitcnt vmcnt(6)
	v_fma_f32 v103, v104, v159, -v122
	v_fmac_f32_e32 v121, v105, v159
	v_fmac_f32_e32 v5, v99, v158
	v_mul_f32_e32 v98, v107, v153
	v_fma_f32 v99, v100, v157, -v102
	v_add_f32_e32 v1, v1, v103
	v_add_f32_e32 v2, v2, v121
	s_waitcnt vmcnt(2)
	v_fmac_f32_e32 v123, v109, v162
	v_fmac_f32_e32 v128, v111, v161
	;; [unrolled: 1-line block ×3, first 2 shown]
	v_add_f32_e32 v1, v1, v4
	v_add_f32_e32 v2, v2, v5
	v_mul_f32_e32 v4, v109, v8
	v_fma_f32 v5, v106, v6, -v98
	v_mul_f32_e32 v6, v111, v154
	v_add_f32_e32 v1, v1, v99
	v_add_f32_e32 v2, v2, v126
	v_fma_f32 v4, v108, v162, -v4
	v_fmac_f32_e32 v129, v115, v7
	v_fma_f32 v6, v110, v161, -v6
	v_add_f32_e32 v1, v1, v5
	v_add_f32_e32 v2, v2, v120
	v_mul_f32_e32 v5, v113, v155
	s_waitcnt vmcnt(1)
	v_fmac_f32_e32 v3, v117, v163
	v_add_f32_e32 v1, v1, v4
	v_add_f32_e32 v2, v2, v123
	v_mul_f32_e32 v4, v115, v156
	v_fma_f32 v5, v112, v160, -v5
	v_add_f32_e32 v1, v1, v6
	v_add_f32_e32 v2, v2, v128
	v_mul_f32_e32 v6, v117, v131
	v_fma_f32 v4, v114, v7, -v4
	v_add_f32_e32 v1, v1, v5
	v_add_f32_e32 v2, v2, v124
	v_fma_f32 v5, v116, v163, -v6
	v_add_f32_e32 v1, v1, v4
	v_add_f32_e32 v2, v2, v129
	;; [unrolled: 1-line block ×4, first 2 shown]
	s_waitcnt vmcnt(0)
	v_sub_f32_e32 v1, v164, v1
	v_sub_f32_e32 v2, v146, v2
	buffer_store_dword v1, off, s[0:3], 0 offset:24
	buffer_store_dword v2, off, s[0:3], 0 offset:28
	v_cmpx_lt_u32_e32 2, v0
	s_cbranch_execz .LBB43_273
; %bb.272:
	s_clause 0x1
	buffer_load_dword v1, off, s[0:3], 0 offset:16
	buffer_load_dword v2, off, s[0:3], 0 offset:20
	v_mov_b32_e32 v3, 0
	buffer_store_dword v3, off, s[0:3], 0 offset:16
	buffer_store_dword v3, off, s[0:3], 0 offset:20
	s_waitcnt vmcnt(0)
	ds_write_b64 v97, v[1:2]
.LBB43_273:
	s_or_b32 exec_lo, exec_lo, s4
	s_waitcnt lgkmcnt(0)
	s_waitcnt_vscnt null, 0x0
	s_barrier
	buffer_gl0_inv
	s_clause 0x24
	buffer_load_dword v2, off, s[0:3], 0 offset:28
	buffer_load_dword v3, off, s[0:3], 0 offset:36
	;; [unrolled: 1-line block ×37, first 2 shown]
	v_mov_b32_e32 v1, 0
	ds_read2_b64 v[106:109], v1 offset0:47 offset1:48
	ds_read2_b64 v[110:113], v1 offset0:49 offset1:50
	;; [unrolled: 1-line block ×3, first 2 shown]
	s_clause 0x1
	buffer_load_dword v144, off, s[0:3], 0 offset:172
	buffer_load_dword v145, off, s[0:3], 0 offset:20
	ds_read2_b64 v[118:121], v1 offset0:53 offset1:54
	s_mov_b32 s4, exec_lo
	s_waitcnt vmcnt(38) lgkmcnt(3)
	v_mul_f32_e32 v146, v107, v2
	v_mul_f32_e32 v2, v106, v2
	s_waitcnt vmcnt(37)
	v_mul_f32_e32 v147, v108, v3
	v_mul_f32_e32 v3, v109, v3
	s_waitcnt vmcnt(34)
	v_fma_f32 v146, v106, v124, -v146
	v_fmac_f32_e32 v2, v107, v124
	v_fmac_f32_e32 v147, v109, v123
	v_fma_f32 v3, v108, v123, -v3
	ds_read2_b64 v[106:109], v1 offset0:55 offset1:56
	s_waitcnt vmcnt(33) lgkmcnt(3)
	v_mul_f32_e32 v123, v110, v125
	v_mul_f32_e32 v124, v111, v125
	s_waitcnt vmcnt(32)
	v_mul_f32_e32 v125, v112, v126
	v_mul_f32_e32 v126, v113, v126
	s_waitcnt vmcnt(31) lgkmcnt(2)
	v_mul_f32_e32 v148, v114, v127
	v_fmac_f32_e32 v123, v111, v122
	v_fma_f32 v122, v110, v122, -v124
	s_waitcnt vmcnt(26)
	v_fmac_f32_e32 v125, v113, v132
	v_fma_f32 v126, v112, v132, -v126
	ds_read2_b64 v[110:113], v1 offset0:57 offset1:58
	v_mul_f32_e32 v127, v115, v127
	v_mul_f32_e32 v124, v116, v128
	;; [unrolled: 1-line block ×3, first 2 shown]
	v_fmac_f32_e32 v148, v115, v131
	s_waitcnt vmcnt(24) lgkmcnt(2)
	v_mul_f32_e32 v132, v120, v134
	v_fma_f32 v127, v114, v131, -v127
	v_fmac_f32_e32 v124, v117, v130
	v_fma_f32 v128, v116, v130, -v128
	v_mul_f32_e32 v130, v118, v133
	v_mul_f32_e32 v131, v119, v133
	;; [unrolled: 1-line block ×3, first 2 shown]
	ds_read2_b64 v[114:117], v1 offset0:59 offset1:60
	s_waitcnt vmcnt(19)
	v_fmac_f32_e32 v132, v121, v137
	v_fmac_f32_e32 v130, v119, v129
	v_fma_f32 v118, v118, v129, -v131
	v_fma_f32 v119, v120, v137, -v133
	s_clause 0x4
	buffer_load_dword v120, off, s[0:3], 0 offset:180
	buffer_load_dword v121, off, s[0:3], 0 offset:200
	;; [unrolled: 1-line block ×5, first 2 shown]
	s_waitcnt lgkmcnt(2)
	v_mul_f32_e32 v134, v106, v135
	v_mul_f32_e32 v135, v107, v135
	s_waitcnt vmcnt(23)
	v_mul_f32_e32 v137, v108, v138
	v_mul_f32_e32 v138, v109, v138
	s_waitcnt vmcnt(21) lgkmcnt(1)
	v_mul_f32_e32 v149, v112, v140
	v_fmac_f32_e32 v134, v107, v136
	v_fma_f32 v135, v106, v136, -v135
	v_mul_f32_e32 v136, v110, v139
	v_mul_f32_e32 v106, v111, v139
	buffer_load_dword v139, off, s[0:3], 0 offset:188
	v_fmac_f32_e32 v137, v109, v103
	v_fma_f32 v138, v108, v103, -v138
	v_mul_f32_e32 v103, v113, v140
	v_fmac_f32_e32 v136, v111, v8
	v_fma_f32 v8, v110, v8, -v106
	ds_read2_b64 v[106:109], v1 offset0:61 offset1:62
	s_waitcnt vmcnt(18)
	v_fmac_f32_e32 v149, v113, v141
	v_fma_f32 v140, v112, v141, -v103
	ds_read2_b64 v[110:113], v1 offset0:63 offset1:64
	s_waitcnt vmcnt(17) lgkmcnt(2)
	v_mul_f32_e32 v141, v114, v142
	v_mul_f32_e32 v103, v115, v142
	s_waitcnt vmcnt(16)
	v_mul_f32_e32 v142, v116, v143
	v_mul_f32_e32 v143, v117, v143
	v_add_f32_e32 v2, 0, v2
	v_fmac_f32_e32 v141, v115, v104
	v_fma_f32 v114, v114, v104, -v103
	v_fmac_f32_e32 v142, v117, v98
	v_fma_f32 v115, v116, v98, -v143
	s_clause 0x2
	buffer_load_dword v116, off, s[0:3], 0 offset:196
	buffer_load_dword v117, off, s[0:3], 0 offset:204
	;; [unrolled: 1-line block ×3, first 2 shown]
	s_waitcnt vmcnt(18) lgkmcnt(1)
	v_mul_f32_e32 v143, v106, v100
	v_mul_f32_e32 v98, v107, v100
	s_waitcnt vmcnt(17)
	v_mul_f32_e32 v150, v108, v99
	v_mul_f32_e32 v99, v109, v99
	v_fmac_f32_e32 v143, v107, v5
	v_fma_f32 v107, v106, v5, -v98
	s_waitcnt vmcnt(13)
	v_fmac_f32_e32 v150, v109, v105
	s_waitcnt vmcnt(12) lgkmcnt(0)
	v_mul_f32_e32 v109, v110, v102
	v_mul_f32_e32 v5, v111, v102
	s_waitcnt vmcnt(11)
	v_mul_f32_e32 v102, v112, v101
	v_mul_f32_e32 v98, v113, v101
	v_fma_f32 v108, v108, v105, -v99
	ds_read2_b64 v[103:106], v1 offset0:65 offset1:66
	v_fmac_f32_e32 v109, v111, v7
	v_fma_f32 v7, v110, v7, -v5
	v_fmac_f32_e32 v102, v113, v6
	v_fma_f32 v6, v112, v6, -v98
	s_clause 0x4
	buffer_load_dword v110, off, s[0:3], 0 offset:232
	buffer_load_dword v111, off, s[0:3], 0 offset:224
	;; [unrolled: 1-line block ×5, first 2 shown]
	v_add_f32_e32 v5, 0, v146
	v_add_f32_e32 v3, v5, v3
	;; [unrolled: 1-line block ×3, first 2 shown]
	s_waitcnt vmcnt(15) lgkmcnt(0)
	v_mul_f32_e32 v146, v103, v144
	v_mul_f32_e32 v98, v104, v144
	v_add_f32_e32 v99, v99, v126
	v_fmac_f32_e32 v146, v104, v4
	buffer_load_dword v104, off, s[0:3], 0 offset:228
	v_fma_f32 v103, v103, v4, -v98
	v_add_f32_e32 v98, v2, v147
	ds_read2_b64 v[2:5], v1 offset0:67 offset1:68
	v_add_f32_e32 v99, v99, v127
	v_add_f32_e32 v98, v98, v123
	buffer_load_dword v123, off, s[0:3], 0 offset:244
	v_add_f32_e32 v98, v98, v125
	v_add_f32_e32 v125, v99, v128
	;; [unrolled: 1-line block ×3, first 2 shown]
	s_waitcnt vmcnt(15)
	v_mul_f32_e32 v122, v105, v120
	v_mul_f32_e32 v100, v106, v120
	buffer_load_dword v120, off, s[0:3], 0 offset:236
	s_waitcnt vmcnt(12)
	v_fmac_f32_e32 v122, v106, v133
	v_add_f32_e32 v106, v98, v148
	v_fma_f32 v105, v105, v133, -v100
	ds_read2_b64 v[98:101], v1 offset0:69 offset1:70
	v_add_f32_e32 v106, v106, v124
	s_clause 0x3
	buffer_load_dword v124, off, s[0:3], 0 offset:264
	buffer_load_dword v125, off, s[0:3], 0 offset:256
	;; [unrolled: 1-line block ×4, first 2 shown]
	s_waitcnt vmcnt(15) lgkmcnt(1)
	v_mul_f32_e32 v126, v2, v139
	v_mul_f32_e32 v127, v3, v139
	v_fmac_f32_e32 v126, v3, v131
	v_fma_f32 v127, v2, v131, -v127
	v_add_f32_e32 v2, v106, v130
	s_clause 0x1
	buffer_load_dword v130, off, s[0:3], 0 offset:252
	buffer_load_dword v131, off, s[0:3], 0 offset:260
	v_add_f32_e32 v3, v118, v119
	buffer_load_dword v118, off, s[0:3], 0 offset:268
	v_add_f32_e32 v2, v2, v132
	v_add_f32_e32 v3, v3, v135
	v_add_f32_e32 v119, v2, v134
	s_waitcnt vmcnt(17)
	v_mul_f32_e32 v106, v4, v116
	v_add_f32_e32 v138, v3, v138
	v_mul_f32_e32 v116, v5, v116
	v_add_f32_e32 v119, v119, v137
	s_waitcnt vmcnt(16) lgkmcnt(0)
	v_mul_f32_e32 v137, v98, v117
	v_add_f32_e32 v8, v138, v8
	v_mul_f32_e32 v117, v99, v117
	v_fmac_f32_e32 v106, v5, v129
	v_add_f32_e32 v119, v119, v136
	v_fma_f32 v116, v4, v129, -v116
	s_clause 0x3
	buffer_load_dword v129, off, s[0:3], 0 offset:276
	buffer_load_dword v132, off, s[0:3], 0 offset:284
	;; [unrolled: 1-line block ×4, first 2 shown]
	ds_read2_b64 v[2:5], v1 offset0:71 offset1:72
	v_add_f32_e32 v8, v8, v140
	s_waitcnt vmcnt(19)
	v_mul_f32_e32 v138, v100, v151
	v_mul_f32_e32 v136, v101, v151
	v_fma_f32 v117, v98, v121, -v117
	v_add_f32_e32 v98, v119, v149
	v_add_f32_e32 v8, v8, v114
	v_fmac_f32_e32 v137, v99, v121
	s_clause 0x3
	buffer_load_dword v119, off, s[0:3], 0 offset:308
	buffer_load_dword v121, off, s[0:3], 0 offset:316
	;; [unrolled: 1-line block ×4, first 2 shown]
	v_add_f32_e32 v98, v98, v141
	v_add_f32_e32 v8, v8, v115
	s_waitcnt vmcnt(19)
	v_fmac_f32_e32 v138, v101, v113
	v_fma_f32 v113, v100, v113, -v136
	s_clause 0x5
	buffer_load_dword v136, off, s[0:3], 0 offset:340
	buffer_load_dword v114, off, s[0:3], 0 offset:296
	;; [unrolled: 1-line block ×6, first 2 shown]
	v_add_f32_e32 v115, v98, v142
	v_add_f32_e32 v8, v8, v107
	ds_read2_b64 v[98:101], v1 offset0:73 offset1:74
	s_waitcnt vmcnt(24) lgkmcnt(1)
	v_mul_f32_e32 v142, v3, v152
	v_add_f32_e32 v107, v115, v143
	v_mul_f32_e32 v115, v2, v152
	v_add_f32_e32 v8, v8, v108
	v_fmac_f32_e32 v115, v3, v112
	v_fma_f32 v112, v2, v112, -v142
	v_add_f32_e32 v3, v8, v7
	s_clause 0x3
	buffer_load_dword v8, off, s[0:3], 0 offset:328
	buffer_load_dword v142, off, s[0:3], 0 offset:320
	;; [unrolled: 1-line block ×4, first 2 shown]
	v_add_f32_e32 v2, v107, v150
	s_clause 0x2
	buffer_load_dword v150, off, s[0:3], 0 offset:344
	buffer_load_dword v151, off, s[0:3], 0 offset:336
	buffer_load_dword v152, off, s[0:3], 0 offset:16
	v_add_f32_e32 v3, v3, v6
	s_waitcnt vmcnt(30)
	v_mul_f32_e32 v153, v4, v104
	v_add_f32_e32 v2, v2, v109
	v_add_f32_e32 v6, v3, v103
	v_mul_f32_e32 v3, v5, v104
	v_add_f32_e32 v2, v2, v102
	v_fmac_f32_e32 v153, v5, v111
	s_waitcnt vmcnt(29) lgkmcnt(0)
	v_mul_f32_e32 v108, v101, v123
	v_add_f32_e32 v6, v6, v105
	ds_read2_b64 v[102:105], v1 offset0:77 offset1:78
	v_add_f32_e32 v7, v2, v146
	v_fma_f32 v146, v4, v111, -v3
	ds_read2_b64 v[2:5], v1 offset0:75 offset1:76
	v_add_f32_e32 v6, v6, v127
	v_add_f32_e32 v7, v7, v122
	;; [unrolled: 1-line block ×9, first 2 shown]
	s_waitcnt vmcnt(28)
	v_mul_f32_e32 v122, v98, v120
	v_mul_f32_e32 v107, v99, v120
	;; [unrolled: 1-line block ×3, first 2 shown]
	v_fmac_f32_e32 v122, v99, v110
	v_fma_f32 v123, v98, v110, -v107
	s_waitcnt vmcnt(24)
	v_fma_f32 v116, v100, v133, -v108
	v_fmac_f32_e32 v120, v101, v133
	ds_read2_b64 v[98:101], v1 offset0:79 offset1:80
	ds_read2_b64 v[106:109], v1 offset0:81 offset1:82
	s_waitcnt vmcnt(23) lgkmcnt(2)
	v_mul_f32_e32 v117, v2, v130
	v_mul_f32_e32 v110, v3, v130
	s_waitcnt vmcnt(22)
	v_mul_f32_e32 v126, v4, v131
	v_mul_f32_e32 v127, v5, v131
	s_waitcnt vmcnt(21)
	v_mul_f32_e32 v130, v102, v118
	v_fmac_f32_e32 v117, v3, v128
	v_fma_f32 v128, v2, v128, -v110
	v_add_f32_e32 v2, v7, v138
	v_fmac_f32_e32 v126, v5, v125
	v_fma_f32 v125, v4, v125, -v127
	v_add_f32_e32 v127, v6, v146
	v_mul_f32_e32 v118, v103, v118
	v_add_f32_e32 v115, v2, v115
	v_fmac_f32_e32 v130, v103, v124
	ds_read2_b64 v[110:113], v1 offset0:83 offset1:84
	ds_read2_b64 v[2:5], v1 offset0:85 offset1:86
	v_add_f32_e32 v123, v127, v123
	v_add_f32_e32 v115, v115, v153
	v_fma_f32 v102, v102, v124, -v118
	s_waitcnt vmcnt(20)
	v_mul_f32_e32 v127, v105, v129
	v_mul_f32_e32 v131, v104, v129
	v_add_f32_e32 v116, v123, v116
	v_add_f32_e32 v115, v115, v122
	s_waitcnt vmcnt(19) lgkmcnt(3)
	v_mul_f32_e32 v122, v98, v132
	v_mul_f32_e32 v124, v99, v132
	s_waitcnt vmcnt(18)
	v_mul_f32_e32 v123, v100, v134
	v_add_f32_e32 v116, v116, v128
	v_add_f32_e32 v115, v115, v120
	s_waitcnt vmcnt(17) lgkmcnt(2)
	v_mul_f32_e32 v129, v106, v135
	s_waitcnt vmcnt(16)
	v_mul_f32_e32 v120, v108, v119
	ds_read_b64 v[6:7], v1 offset:696
	v_add_f32_e32 v116, v116, v125
	v_add_f32_e32 v115, v115, v117
	s_waitcnt vmcnt(15) lgkmcnt(2)
	v_mul_f32_e32 v128, v110, v121
	s_waitcnt vmcnt(11)
	v_fmac_f32_e32 v129, v107, v114
	v_add_f32_e32 v102, v116, v102
	v_add_f32_e32 v115, v115, v126
	s_waitcnt vmcnt(8)
	v_fma_f32 v104, v104, v147, -v127
	v_fmac_f32_e32 v131, v105, v147
	v_fmac_f32_e32 v122, v99, v144
	v_fma_f32 v98, v98, v144, -v124
	v_add_f32_e32 v105, v115, v130
	v_mul_f32_e32 v115, v101, v134
	v_add_f32_e32 v99, v102, v104
	v_mul_f32_e32 v104, v107, v135
	v_fmac_f32_e32 v123, v101, v141
	v_add_f32_e32 v102, v105, v131
	v_fma_f32 v100, v100, v141, -v115
	v_add_f32_e32 v98, v99, v98
	v_mul_f32_e32 v101, v109, v119
	v_mul_f32_e32 v103, v112, v139
	v_add_f32_e32 v99, v102, v122
	v_fma_f32 v102, v106, v114, -v104
	v_add_f32_e32 v98, v98, v100
	v_mul_f32_e32 v100, v111, v121
	s_waitcnt vmcnt(3)
	v_fma_f32 v101, v108, v149, -v101
	v_add_f32_e32 v99, v99, v123
	v_fmac_f32_e32 v120, v109, v149
	v_add_f32_e32 v98, v98, v102
	v_mul_f32_e32 v102, v113, v139
	v_fma_f32 v100, v110, v143, -v100
	v_add_f32_e32 v99, v99, v129
	v_fmac_f32_e32 v128, v111, v143
	v_add_f32_e32 v98, v98, v101
	s_waitcnt lgkmcnt(1)
	v_mul_f32_e32 v117, v2, v140
	v_mul_f32_e32 v101, v3, v140
	v_add_f32_e32 v99, v99, v120
	v_fma_f32 v102, v112, v142, -v102
	v_add_f32_e32 v98, v98, v100
	v_fmac_f32_e32 v103, v113, v142
	v_mul_f32_e32 v100, v5, v136
	v_add_f32_e32 v99, v99, v128
	v_fmac_f32_e32 v117, v3, v8
	v_fma_f32 v2, v2, v8, -v101
	v_add_f32_e32 v3, v98, v102
	v_mul_f32_e32 v118, v4, v136
	v_add_f32_e32 v8, v99, v103
	s_waitcnt lgkmcnt(0)
	v_mul_f32_e32 v98, v7, v148
	s_waitcnt vmcnt(1)
	v_fma_f32 v4, v4, v151, -v100
	v_add_f32_e32 v2, v3, v2
	v_mul_f32_e32 v125, v6, v148
	v_fmac_f32_e32 v118, v5, v151
	v_add_f32_e32 v3, v8, v117
	v_fma_f32 v5, v6, v150, -v98
	v_add_f32_e32 v2, v2, v4
	v_fmac_f32_e32 v125, v7, v150
	v_add_f32_e32 v3, v3, v118
	v_add_f32_e32 v2, v2, v5
	;; [unrolled: 1-line block ×3, first 2 shown]
	s_waitcnt vmcnt(0)
	v_sub_f32_e32 v2, v152, v2
	v_sub_f32_e32 v3, v145, v3
	buffer_store_dword v2, off, s[0:3], 0 offset:16
	buffer_store_dword v3, off, s[0:3], 0 offset:20
	v_cmpx_lt_u32_e32 1, v0
	s_cbranch_execz .LBB43_275
; %bb.274:
	s_clause 0x1
	buffer_load_dword v2, off, s[0:3], 0 offset:8
	buffer_load_dword v3, off, s[0:3], 0 offset:12
	buffer_store_dword v1, off, s[0:3], 0 offset:8
	buffer_store_dword v1, off, s[0:3], 0 offset:12
	s_waitcnt vmcnt(0)
	ds_write_b64 v97, v[2:3]
.LBB43_275:
	s_or_b32 exec_lo, exec_lo, s4
	s_waitcnt lgkmcnt(0)
	s_waitcnt_vscnt null, 0x0
	s_barrier
	buffer_gl0_inv
	s_clause 0x24
	buffer_load_dword v126, off, s[0:3], 0 offset:20
	buffer_load_dword v2, off, s[0:3], 0 offset:28
	;; [unrolled: 1-line block ×37, first 2 shown]
	ds_read_b128 v[110:113], v1 offset:368
	ds_read_b128 v[114:117], v1 offset:384
	;; [unrolled: 1-line block ×3, first 2 shown]
	s_clause 0x1
	buffer_load_dword v144, off, s[0:3], 0 offset:164
	buffer_load_dword v145, off, s[0:3], 0 offset:172
	ds_read_b128 v[122:125], v1 offset:416
	buffer_load_dword v147, off, s[0:3], 0 offset:12
	s_mov_b32 s4, exec_lo
	s_waitcnt vmcnt(39) lgkmcnt(3)
	v_mul_f32_e32 v146, v111, v126
	v_mul_f32_e32 v126, v110, v126
	s_waitcnt vmcnt(38)
	v_mul_f32_e32 v148, v112, v2
	v_mul_f32_e32 v2, v113, v2
	s_waitcnt vmcnt(35)
	v_fma_f32 v146, v110, v129, -v146
	v_fmac_f32_e32 v126, v111, v129
	v_fmac_f32_e32 v148, v113, v128
	v_fma_f32 v2, v112, v128, -v2
	s_waitcnt vmcnt(33) lgkmcnt(2)
	v_mul_f32_e32 v128, v116, v131
	v_mul_f32_e32 v111, v117, v131
	;; [unrolled: 1-line block ×4, first 2 shown]
	s_waitcnt vmcnt(32) lgkmcnt(1)
	v_mul_f32_e32 v130, v118, v132
	v_mul_f32_e32 v131, v119, v132
	s_waitcnt vmcnt(28)
	v_fmac_f32_e32 v128, v117, v135
	v_fma_f32 v132, v116, v135, -v111
	s_waitcnt vmcnt(27)
	v_mul_f32_e32 v135, v120, v136
	v_mul_f32_e32 v136, v121, v136
	v_fmac_f32_e32 v129, v115, v127
	v_fma_f32 v127, v114, v127, -v110
	ds_read_b128 v[110:113], v1 offset:432
	ds_read_b128 v[114:117], v1 offset:448
	v_fmac_f32_e32 v130, v119, v134
	v_fma_f32 v131, v118, v134, -v131
	s_waitcnt vmcnt(26) lgkmcnt(2)
	v_mul_f32_e32 v134, v122, v137
	v_mul_f32_e32 v118, v123, v137
	v_fmac_f32_e32 v135, v121, v133
	v_fma_f32 v133, v120, v133, -v136
	s_waitcnt vmcnt(25)
	v_mul_f32_e32 v136, v124, v138
	v_mul_f32_e32 v119, v125, v138
	s_clause 0x3
	buffer_load_dword v137, off, s[0:3], 0 offset:192
	buffer_load_dword v138, off, s[0:3], 0 offset:184
	;; [unrolled: 1-line block ×4, first 2 shown]
	v_fmac_f32_e32 v134, v123, v100
	v_fma_f32 v122, v122, v100, -v118
	s_waitcnt vmcnt(25)
	v_fmac_f32_e32 v136, v125, v139
	v_fma_f32 v123, v124, v139, -v119
	ds_read_b128 v[118:121], v1 offset:464
	s_clause 0x1
	buffer_load_dword v151, off, s[0:3], 0 offset:180
	buffer_load_dword v152, off, s[0:3], 0 offset:188
	s_waitcnt vmcnt(26) lgkmcnt(2)
	v_mul_f32_e32 v124, v110, v140
	v_mul_f32_e32 v100, v111, v140
	s_waitcnt vmcnt(25)
	v_mul_f32_e32 v125, v112, v141
	v_mul_f32_e32 v139, v113, v141
	s_waitcnt vmcnt(24) lgkmcnt(1)
	v_mul_f32_e32 v141, v114, v142
	v_fmac_f32_e32 v124, v111, v107
	v_fma_f32 v140, v110, v107, -v100
	v_fmac_f32_e32 v125, v113, v101
	v_fma_f32 v139, v112, v101, -v139
	ds_read_b128 v[110:113], v1 offset:480
	v_mul_f32_e32 v100, v115, v142
	s_waitcnt vmcnt(23)
	v_mul_f32_e32 v101, v117, v106
	v_mul_f32_e32 v142, v116, v106
	v_fmac_f32_e32 v141, v115, v6
	v_fma_f32 v6, v114, v6, -v100
	s_waitcnt vmcnt(19)
	v_fma_f32 v114, v116, v143, -v101
	s_waitcnt vmcnt(18) lgkmcnt(1)
	v_mul_f32_e32 v115, v118, v109
	v_mul_f32_e32 v100, v119, v109
	s_waitcnt vmcnt(17)
	v_mul_f32_e32 v116, v120, v108
	v_mul_f32_e32 v101, v121, v108
	ds_read_b128 v[106:109], v1 offset:496
	v_fmac_f32_e32 v142, v117, v143
	v_fmac_f32_e32 v115, v119, v102
	buffer_load_dword v117, off, s[0:3], 0 offset:196
	v_fma_f32 v102, v118, v102, -v100
	v_fmac_f32_e32 v116, v121, v8
	v_fma_f32 v8, v120, v8, -v101
	s_waitcnt vmcnt(16) lgkmcnt(1)
	v_mul_f32_e32 v119, v112, v98
	v_mul_f32_e32 v98, v113, v98
	;; [unrolled: 1-line block ×4, first 2 shown]
	s_waitcnt vmcnt(12)
	v_fmac_f32_e32 v119, v113, v105
	v_fma_f32 v105, v112, v105, -v98
	buffer_load_dword v112, off, s[0:3], 0 offset:204
	v_fmac_f32_e32 v118, v111, v4
	v_fma_f32 v110, v110, v4, -v99
	ds_read_b128 v[98:101], v1 offset:512
	s_waitcnt vmcnt(12) lgkmcnt(1)
	v_mul_f32_e32 v111, v106, v104
	v_mul_f32_e32 v4, v107, v104
	s_waitcnt vmcnt(11)
	v_mul_f32_e32 v104, v108, v103
	v_mul_f32_e32 v103, v109, v103
	v_fmac_f32_e32 v111, v107, v7
	v_fma_f32 v7, v106, v7, -v4
	v_fmac_f32_e32 v104, v109, v5
	v_fma_f32 v103, v108, v5, -v103
	s_clause 0x4
	buffer_load_dword v106, off, s[0:3], 0 offset:224
	buffer_load_dword v107, off, s[0:3], 0 offset:216
	;; [unrolled: 1-line block ×5, first 2 shown]
	v_add_f32_e32 v4, 0, v146
	v_add_f32_e32 v5, 0, v126
	s_clause 0x1
	buffer_load_dword v120, off, s[0:3], 0 offset:220
	buffer_load_dword v121, off, s[0:3], 0 offset:228
	v_add_f32_e32 v2, v4, v2
	v_add_f32_e32 v4, v5, v148
	s_waitcnt vmcnt(17) lgkmcnt(0)
	v_mul_f32_e32 v126, v98, v144
	v_mul_f32_e32 v5, v99, v144
	v_add_f32_e32 v2, v2, v127
	v_add_f32_e32 v4, v4, v129
	s_waitcnt vmcnt(16)
	v_mul_f32_e32 v129, v101, v145
	v_fmac_f32_e32 v126, v99, v3
	v_fma_f32 v143, v98, v3, -v5
	v_add_f32_e32 v98, v2, v132
	v_add_f32_e32 v99, v4, v128
	ds_read_b128 v[2:5], v1 offset:528
	v_mul_f32_e32 v127, v100, v145
	v_add_f32_e32 v98, v98, v131
	v_add_f32_e32 v99, v99, v130
	;; [unrolled: 1-line block ×10, first 2 shown]
	s_waitcnt vmcnt(11)
	v_fma_f32 v128, v100, v150, -v129
	s_clause 0x7
	buffer_load_dword v129, off, s[0:3], 0 offset:236
	buffer_load_dword v130, off, s[0:3], 0 offset:256
	;; [unrolled: 1-line block ×8, first 2 shown]
	v_fmac_f32_e32 v127, v101, v150
	ds_read_b128 v[98:101], v1 offset:544
	s_waitcnt vmcnt(18) lgkmcnt(1)
	v_mul_f32_e32 v136, v2, v151
	v_mul_f32_e32 v145, v3, v151
	s_waitcnt vmcnt(17)
	v_mul_f32_e32 v135, v4, v152
	v_mul_f32_e32 v140, v5, v152
	v_fmac_f32_e32 v136, v3, v149
	v_add_f32_e32 v3, v123, v139
	v_add_f32_e32 v123, v124, v125
	v_fma_f32 v124, v2, v149, -v145
	v_fmac_f32_e32 v135, v5, v138
	v_fma_f32 v125, v4, v138, -v140
	v_add_f32_e32 v2, v3, v6
	v_add_f32_e32 v3, v123, v141
	s_clause 0x7
	buffer_load_dword v6, off, s[0:3], 0 offset:268
	buffer_load_dword v123, off, s[0:3], 0 offset:276
	buffer_load_dword v138, off, s[0:3], 0 offset:284
	buffer_load_dword v139, off, s[0:3], 0 offset:292
	buffer_load_dword v140, off, s[0:3], 0 offset:288
	buffer_load_dword v141, off, s[0:3], 0 offset:280
	buffer_load_dword v145, off, s[0:3], 0 offset:272
	buffer_load_dword v146, off, s[0:3], 0 offset:264
	v_add_f32_e32 v2, v2, v114
	v_add_f32_e32 v3, v3, v142
	s_clause 0x3
	buffer_load_dword v142, off, s[0:3], 0 offset:300
	buffer_load_dword v149, off, s[0:3], 0 offset:308
	;; [unrolled: 1-line block ×4, first 2 shown]
	v_add_f32_e32 v2, v2, v102
	v_add_f32_e32 v8, v2, v8
	s_waitcnt vmcnt(28) lgkmcnt(0)
	v_mul_f32_e32 v4, v99, v117
	v_mul_f32_e32 v148, v98, v117
	v_add_f32_e32 v8, v8, v110
	v_fma_f32 v114, v98, v137, -v4
	v_add_f32_e32 v98, v3, v115
	v_fmac_f32_e32 v148, v99, v137
	s_clause 0x2
	buffer_load_dword v137, off, s[0:3], 0 offset:332
	buffer_load_dword v152, off, s[0:3], 0 offset:340
	;; [unrolled: 1-line block ×3, first 2 shown]
	v_add_f32_e32 v8, v8, v105
	v_add_f32_e32 v98, v98, v116
	s_waitcnt vmcnt(30)
	v_mul_f32_e32 v3, v101, v112
	v_mul_f32_e32 v115, v100, v112
	v_add_f32_e32 v7, v8, v7
	v_add_f32_e32 v98, v98, v118
	;; [unrolled: 1-line block ×4, first 2 shown]
	s_waitcnt vmcnt(26)
	v_fma_f32 v112, v100, v109, -v3
	ds_read_b128 v[2:5], v1 offset:560
	s_clause 0x3
	buffer_load_dword v118, off, s[0:3], 0 offset:320
	buffer_load_dword v154, off, s[0:3], 0 offset:312
	;; [unrolled: 1-line block ×4, first 2 shown]
	v_add_f32_e32 v8, v98, v111
	v_fmac_f32_e32 v115, v101, v109
	ds_read_b128 v[98:101], v1 offset:576
	s_waitcnt vmcnt(29) lgkmcnt(1)
	v_mul_f32_e32 v110, v2, v113
	v_mul_f32_e32 v102, v3, v113
	s_waitcnt vmcnt(28)
	v_mul_f32_e32 v116, v4, v120
	s_waitcnt vmcnt(27) lgkmcnt(0)
	v_mul_f32_e32 v109, v99, v121
	v_fmac_f32_e32 v110, v3, v108
	v_fma_f32 v111, v2, v108, -v102
	v_add_f32_e32 v2, v8, v104
	v_add_f32_e32 v3, v7, v143
	s_clause 0x2
	buffer_load_dword v7, off, s[0:3], 0 offset:344
	buffer_load_dword v8, off, s[0:3], 0 offset:336
	;; [unrolled: 1-line block ×3, first 2 shown]
	v_mul_f32_e32 v102, v5, v120
	v_fmac_f32_e32 v116, v5, v107
	v_add_f32_e32 v2, v2, v126
	buffer_load_dword v126, off, s[0:3], 0 offset:8
	v_add_f32_e32 v3, v3, v128
	v_fma_f32 v113, v4, v107, -v102
	v_mul_f32_e32 v120, v98, v121
	v_add_f32_e32 v103, v2, v127
	v_add_f32_e32 v107, v3, v124
	ds_read_b128 v[2:5], v1 offset:592
	v_fma_f32 v124, v98, v106, -v109
	v_add_f32_e32 v108, v103, v136
	ds_read_b128 v[102:105], v1 offset:608
	v_add_f32_e32 v107, v107, v125
	v_fmac_f32_e32 v120, v99, v106
	v_add_f32_e32 v108, v108, v135
	v_add_f32_e32 v114, v107, v114
	v_add_f32_e32 v112, v114, v112
	v_add_f32_e32 v111, v112, v111
	s_waitcnt vmcnt(30)
	v_mul_f32_e32 v117, v101, v129
	v_mul_f32_e32 v121, v100, v129
	s_waitcnt vmcnt(25) lgkmcnt(1)
	v_mul_f32_e32 v127, v2, v122
	v_mul_f32_e32 v114, v3, v122
	v_fma_f32 v125, v100, v144, -v117
	v_add_f32_e32 v117, v108, v148
	s_waitcnt vmcnt(23) lgkmcnt(0)
	v_mul_f32_e32 v128, v102, v134
	v_fmac_f32_e32 v127, v3, v132
	v_fma_f32 v132, v2, v132, -v114
	v_mul_f32_e32 v122, v4, v133
	v_add_f32_e32 v115, v117, v115
	v_mul_f32_e32 v117, v5, v133
	v_mul_f32_e32 v129, v103, v134
	v_fmac_f32_e32 v128, v103, v130
	v_fmac_f32_e32 v121, v101, v144
	v_add_f32_e32 v114, v115, v110
	v_add_f32_e32 v115, v111, v113
	ds_read_b128 v[98:101], v1 offset:624
	ds_read_b128 v[106:109], v1 offset:640
	v_fmac_f32_e32 v122, v5, v131
	v_fma_f32 v131, v4, v131, -v117
	v_add_f32_e32 v133, v114, v116
	v_add_f32_e32 v103, v115, v124
	ds_read_b128 v[2:5], v1 offset:656
	ds_read_b128 v[110:113], v1 offset:672
	;; [unrolled: 1-line block ×3, first 2 shown]
	v_fma_f32 v102, v102, v130, -v129
	v_add_f32_e32 v1, v133, v120
	v_add_f32_e32 v103, v103, v125
	s_waitcnt vmcnt(22)
	v_mul_f32_e32 v120, v104, v6
	v_mul_f32_e32 v6, v105, v6
	v_add_f32_e32 v1, v1, v121
	v_add_f32_e32 v103, v103, v132
	s_waitcnt vmcnt(15)
	v_fmac_f32_e32 v120, v105, v146
	v_fma_f32 v6, v104, v146, -v6
	v_add_f32_e32 v1, v1, v127
	v_add_f32_e32 v103, v103, v131
	s_waitcnt lgkmcnt(4)
	v_mul_f32_e32 v124, v98, v123
	v_mul_f32_e32 v123, v99, v123
	v_mul_f32_e32 v121, v100, v138
	v_add_f32_e32 v1, v1, v122
	v_add_f32_e32 v102, v103, v102
	v_mul_f32_e32 v122, v101, v138
	v_fma_f32 v98, v98, v145, -v123
	v_fmac_f32_e32 v124, v99, v145
	v_add_f32_e32 v1, v1, v128
	v_add_f32_e32 v6, v102, v6
	s_waitcnt lgkmcnt(3)
	v_mul_f32_e32 v99, v107, v139
	v_fma_f32 v100, v100, v141, -v122
	v_mul_f32_e32 v104, v106, v139
	v_add_f32_e32 v1, v1, v120
	v_add_f32_e32 v6, v6, v98
	v_fmac_f32_e32 v121, v101, v141
	s_waitcnt vmcnt(14)
	v_mul_f32_e32 v98, v109, v142
	v_fma_f32 v99, v106, v140, -v99
	v_add_f32_e32 v1, v1, v124
	v_add_f32_e32 v6, v6, v100
	v_mul_f32_e32 v105, v108, v142
	v_fmac_f32_e32 v104, v107, v140
	s_waitcnt vmcnt(13) lgkmcnt(2)
	v_mul_f32_e32 v125, v2, v149
	v_add_f32_e32 v1, v1, v121
	v_mul_f32_e32 v100, v3, v149
	v_add_f32_e32 v6, v6, v99
	s_waitcnt vmcnt(4)
	v_fma_f32 v98, v108, v156, -v98
	v_fmac_f32_e32 v105, v109, v156
	v_add_f32_e32 v1, v1, v104
	v_mul_f32_e32 v99, v5, v150
	v_fmac_f32_e32 v125, v3, v155
	v_fma_f32 v2, v2, v155, -v100
	v_add_f32_e32 v3, v6, v98
	v_mul_f32_e32 v127, v4, v150
	v_add_f32_e32 v1, v1, v105
	s_waitcnt lgkmcnt(1)
	v_mul_f32_e32 v6, v111, v151
	v_fma_f32 v4, v4, v154, -v99
	v_add_f32_e32 v2, v3, v2
	v_mul_f32_e32 v129, v110, v151
	v_fmac_f32_e32 v127, v5, v154
	v_add_f32_e32 v1, v1, v125
	v_mul_f32_e32 v3, v113, v137
	v_fma_f32 v5, v110, v118, -v6
	v_add_f32_e32 v2, v2, v4
	v_mul_f32_e32 v130, v112, v137
	v_fmac_f32_e32 v129, v111, v118
	v_add_f32_e32 v1, v1, v127
	s_waitcnt lgkmcnt(0)
	v_mul_f32_e32 v4, v115, v152
	v_add_f32_e32 v2, v2, v5
	v_mul_f32_e32 v131, v114, v152
	v_mul_f32_e32 v5, v117, v153
	v_add_f32_e32 v1, v1, v129
	v_mul_f32_e32 v103, v116, v153
	s_waitcnt vmcnt(2)
	v_fma_f32 v4, v114, v8, -v4
	s_waitcnt vmcnt(1)
	v_fma_f32 v3, v112, v119, -v3
	v_fmac_f32_e32 v130, v113, v119
	v_fmac_f32_e32 v131, v115, v8
	;; [unrolled: 1-line block ×3, first 2 shown]
	v_add_f32_e32 v2, v2, v3
	v_add_f32_e32 v1, v1, v130
	v_fma_f32 v3, v116, v7, -v5
	v_add_f32_e32 v2, v2, v4
	v_add_f32_e32 v1, v1, v131
	;; [unrolled: 1-line block ×4, first 2 shown]
	s_waitcnt vmcnt(0)
	v_sub_f32_e32 v2, v126, v2
	v_sub_f32_e32 v1, v147, v1
	buffer_store_dword v2, off, s[0:3], 0 offset:8
	buffer_store_dword v1, off, s[0:3], 0 offset:12
	v_cmpx_ne_u32_e32 0, v0
	s_cbranch_execz .LBB43_277
; %bb.276:
	s_clause 0x1
	buffer_load_dword v0, off, s[0:3], 0
	buffer_load_dword v1, off, s[0:3], 0 offset:4
	v_mov_b32_e32 v2, 0
	buffer_store_dword v2, off, s[0:3], 0
	buffer_store_dword v2, off, s[0:3], 0 offset:4
	s_waitcnt vmcnt(0)
	ds_write_b64 v97, v[0:1]
.LBB43_277:
	s_or_b32 exec_lo, exec_lo, s4
	s_waitcnt lgkmcnt(0)
	s_waitcnt_vscnt null, 0x0
	s_barrier
	buffer_gl0_inv
	s_clause 0x2c
	buffer_load_dword v135, off, s[0:3], 0 offset:12
	buffer_load_dword v109, off, s[0:3], 0 offset:24
	;; [unrolled: 1-line block ×45, first 2 shown]
	v_mov_b32_e32 v0, 0
	ds_read2_b64 v[127:130], v0 offset0:45 offset1:46
	ds_read2_b64 v[131:134], v0 offset0:47 offset1:48
	buffer_load_dword v147, off, s[0:3], 0 offset:4
	s_and_b32 vcc_lo, exec_lo, s22
	s_waitcnt vmcnt(45) lgkmcnt(1)
	v_mul_f32_e32 v145, v128, v135
	v_mul_f32_e32 v146, v127, v135
	ds_read2_b64 v[135:138], v0 offset0:49 offset1:50
	s_waitcnt vmcnt(41)
	v_mul_f32_e32 v148, v129, v123
	v_mul_f32_e32 v123, v130, v123
	v_fma_f32 v145, v127, v125, -v145
	v_fmac_f32_e32 v146, v128, v125
	s_waitcnt vmcnt(40) lgkmcnt(1)
	v_mul_f32_e32 v150, v131, v121
	v_fmac_f32_e32 v148, v130, v118
	v_fma_f32 v149, v129, v118, -v123
	v_mul_f32_e32 v118, v132, v121
	ds_read2_b64 v[127:130], v0 offset0:51 offset1:52
	v_fmac_f32_e32 v150, v132, v109
	s_waitcnt vmcnt(39)
	v_mul_f32_e32 v151, v133, v114
	v_fma_f32 v121, v131, v109, -v118
	v_mul_f32_e32 v109, v134, v114
	s_waitcnt vmcnt(35)
	v_fmac_f32_e32 v151, v134, v126
	v_fma_f32 v152, v133, v126, -v109
	s_waitcnt vmcnt(34) lgkmcnt(1)
	v_mul_f32_e32 v153, v135, v124
	v_mul_f32_e32 v109, v136, v124
	ds_read2_b64 v[123:126], v0 offset0:53 offset1:54
	ds_read2_b64 v[131:134], v0 offset0:55 offset1:56
	v_fmac_f32_e32 v153, v136, v117
	v_fma_f32 v135, v135, v117, -v109
	s_waitcnt vmcnt(33)
	v_mul_f32_e32 v136, v137, v119
	v_mul_f32_e32 v109, v138, v119
	v_fmac_f32_e32 v136, v138, v110
	v_fma_f32 v137, v137, v110, -v109
	s_waitcnt vmcnt(32) lgkmcnt(2)
	v_mul_f32_e32 v138, v127, v115
	v_mul_f32_e32 v109, v128, v115
	v_fmac_f32_e32 v138, v128, v98
	v_fma_f32 v98, v127, v98, -v109
	s_waitcnt vmcnt(31)
	v_mul_f32_e32 v127, v129, v106
	v_mul_f32_e32 v106, v130, v106
	s_waitcnt vmcnt(26) lgkmcnt(1)
	v_mul_f32_e32 v128, v123, v120
	v_fmac_f32_e32 v127, v130, v122
	v_fma_f32 v122, v129, v122, -v106
	v_mul_f32_e32 v106, v124, v120
	ds_read2_b64 v[117:120], v0 offset0:57 offset1:58
	v_fmac_f32_e32 v128, v124, v111
	s_waitcnt vmcnt(25)
	v_mul_f32_e32 v124, v125, v112
	s_waitcnt vmcnt(23) lgkmcnt(1)
	v_mul_f32_e32 v130, v133, v100
	v_fma_f32 v123, v123, v111, -v106
	v_mul_f32_e32 v106, v126, v112
	ds_read2_b64 v[109:112], v0 offset0:59 offset1:60
	v_fmac_f32_e32 v124, v126, v102
	v_mul_f32_e32 v126, v131, v107
	s_waitcnt vmcnt(19)
	v_fmac_f32_e32 v130, v134, v116
	v_fma_f32 v125, v125, v102, -v106
	v_mul_f32_e32 v102, v132, v107
	v_fmac_f32_e32 v126, v132, v4
	v_fma_f32 v129, v131, v4, -v102
	v_mul_f32_e32 v4, v134, v100
	s_waitcnt vmcnt(18) lgkmcnt(1)
	v_mul_f32_e32 v132, v117, v113
	v_fma_f32 v131, v133, v116, -v4
	v_mul_f32_e32 v4, v118, v113
	ds_read2_b64 v[113:116], v0 offset0:61 offset1:62
	v_fmac_f32_e32 v132, v118, v103
	s_waitcnt vmcnt(17)
	v_mul_f32_e32 v118, v119, v104
	v_fma_f32 v117, v117, v103, -v4
	v_mul_f32_e32 v4, v120, v104
	v_fmac_f32_e32 v118, v120, v8
	s_waitcnt vmcnt(16) lgkmcnt(1)
	v_mul_f32_e32 v120, v109, v101
	v_fma_f32 v119, v119, v8, -v4
	v_mul_f32_e32 v4, v110, v101
	ds_read2_b64 v[100:103], v0 offset0:63 offset1:64
	v_fmac_f32_e32 v120, v110, v2
	s_waitcnt vmcnt(15)
	v_mul_f32_e32 v110, v111, v6
	buffer_load_dword v8, off, s[0:3], 0 offset:196
	v_fma_f32 v109, v109, v2, -v4
	v_mul_f32_e32 v2, v112, v6
	s_waitcnt vmcnt(12)
	v_fmac_f32_e32 v110, v112, v108
	s_waitcnt vmcnt(10) lgkmcnt(1)
	v_mul_f32_e32 v112, v115, v99
	v_fma_f32 v108, v111, v108, -v2
	v_mul_f32_e32 v111, v113, v105
	v_mul_f32_e32 v2, v114, v105
	ds_read2_b64 v[104:107], v0 offset0:65 offset1:66
	v_fmac_f32_e32 v112, v116, v3
	v_fmac_f32_e32 v111, v114, v97
	v_fma_f32 v97, v113, v97, -v2
	v_mul_f32_e32 v2, v116, v99
	s_waitcnt vmcnt(9) lgkmcnt(1)
	v_mul_f32_e32 v113, v100, v7
	s_waitcnt vmcnt(8)
	v_mul_f32_e32 v114, v102, v5
	v_fma_f32 v99, v115, v3, -v2
	v_mul_f32_e32 v2, v101, v7
	v_mul_f32_e32 v3, v103, v5
	buffer_load_dword v5, off, s[0:3], 0 offset:188
	v_fmac_f32_e32 v113, v101, v1
	s_waitcnt vmcnt(5)
	v_fmac_f32_e32 v114, v103, v142
	v_fma_f32 v100, v100, v1, -v2
	v_fma_f32 v101, v102, v142, -v3
	ds_read2_b64 v[1:4], v0 offset0:67 offset1:68
	s_waitcnt vmcnt(4) lgkmcnt(1)
	v_mul_f32_e32 v102, v104, v143
	v_mul_f32_e32 v6, v105, v143
	s_waitcnt vmcnt(3)
	v_mul_f32_e32 v103, v106, v144
	v_mul_f32_e32 v7, v107, v144
	v_fmac_f32_e32 v102, v105, v141
	v_fma_f32 v104, v104, v141, -v6
	v_fmac_f32_e32 v103, v107, v140
	v_fma_f32 v105, v106, v140, -v7
	s_clause 0x4
	buffer_load_dword v106, off, s[0:3], 0 offset:216
	buffer_load_dword v107, off, s[0:3], 0 offset:208
	;; [unrolled: 1-line block ×5, first 2 shown]
	s_waitcnt vmcnt(6) lgkmcnt(0)
	v_mul_f32_e32 v134, v3, v8
	v_mul_f32_e32 v7, v4, v8
	s_waitcnt vmcnt(5)
	v_mul_f32_e32 v133, v1, v5
	v_mul_f32_e32 v5, v2, v5
	v_fmac_f32_e32 v133, v2, v139
	v_fma_f32 v139, v1, v139, -v5
	s_waitcnt vmcnt(1)
	v_fmac_f32_e32 v134, v4, v6
	v_fma_f32 v140, v3, v6, -v7
	ds_read2_b64 v[1:4], v0 offset0:69 offset1:70
	ds_read2_b64 v[5:8], v0 offset0:71 offset1:72
	s_waitcnt vmcnt(0) lgkmcnt(1)
	v_mul_f32_e32 v141, v1, v116
	v_mul_f32_e32 v116, v2, v116
	v_fmac_f32_e32 v141, v2, v115
	v_fma_f32 v115, v1, v115, -v116
	buffer_load_dword v1, off, s[0:3], 0 offset:212
	s_waitcnt vmcnt(0)
	v_mul_f32_e32 v116, v3, v1
	v_mul_f32_e32 v1, v4, v1
	v_fmac_f32_e32 v116, v4, v107
	v_fma_f32 v107, v3, v107, -v1
	buffer_load_dword v1, off, s[0:3], 0 offset:220
	s_waitcnt vmcnt(0) lgkmcnt(0)
	v_mul_f32_e32 v142, v5, v1
	v_mul_f32_e32 v1, v6, v1
	v_fmac_f32_e32 v142, v6, v106
	v_fma_f32 v143, v5, v106, -v1
	s_clause 0x4
	buffer_load_dword v1, off, s[0:3], 0 offset:228
	buffer_load_dword v106, off, s[0:3], 0 offset:248
	;; [unrolled: 1-line block ×5, first 2 shown]
	s_waitcnt vmcnt(4)
	v_mul_f32_e32 v155, v7, v1
	v_mul_f32_e32 v1, v8, v1
	s_waitcnt vmcnt(0)
	v_fmac_f32_e32 v155, v8, v2
	v_fma_f32 v156, v7, v2, -v1
	v_add_f32_e32 v1, 0, v145
	buffer_load_dword v145, off, s[0:3], 0 offset:236
	v_add_f32_e32 v2, 0, v146
	buffer_load_dword v146, off, s[0:3], 0 offset:252
	v_add_f32_e32 v1, v1, v149
	v_add_f32_e32 v2, v2, v148
	;; [unrolled: 1-line block ×3, first 2 shown]
	buffer_load_dword v121, off, s[0:3], 0 offset:244
	v_add_f32_e32 v2, v2, v150
	v_add_f32_e32 v1, v1, v152
	;; [unrolled: 1-line block ×4, first 2 shown]
	buffer_load_dword v135, off, s[0:3], 0 offset:260
	v_add_f32_e32 v2, v2, v153
	v_add_f32_e32 v1, v1, v137
	s_clause 0x3
	buffer_load_dword v137, off, s[0:3], 0 offset:280
	buffer_load_dword v148, off, s[0:3], 0 offset:272
	;; [unrolled: 1-line block ×4, first 2 shown]
	v_add_f32_e32 v2, v2, v136
	buffer_load_dword v136, off, s[0:3], 0 offset:268
	v_add_f32_e32 v1, v1, v98
	v_add_f32_e32 v2, v2, v138
	buffer_load_dword v138, off, s[0:3], 0 offset:276
	v_add_f32_e32 v1, v1, v122
	v_add_f32_e32 v2, v2, v127
	s_clause 0x1
	buffer_load_dword v122, off, s[0:3], 0 offset:284
	buffer_load_dword v127, off, s[0:3], 0 offset:292
	v_add_f32_e32 v1, v1, v123
	buffer_load_dword v123, off, s[0:3], 0 offset:300
	v_add_f32_e32 v2, v2, v128
	s_clause 0x1
	buffer_load_dword v128, off, s[0:3], 0 offset:308
	buffer_load_dword v151, off, s[0:3], 0 offset:316
	v_add_f32_e32 v1, v1, v125
	buffer_load_dword v125, off, s[0:3], 0 offset:324
	v_add_f32_e32 v2, v2, v124
	;; [unrolled: 2-line block ×5, first 2 shown]
	v_add_f32_e32 v2, v2, v130
	v_add_f32_e32 v1, v1, v117
	;; [unrolled: 1-line block ×3, first 2 shown]
	s_clause 0x3
	buffer_load_dword v117, off, s[0:3], 0 offset:312
	buffer_load_dword v130, off, s[0:3], 0 offset:304
	;; [unrolled: 1-line block ×4, first 2 shown]
	v_add_f32_e32 v1, v1, v119
	v_add_f32_e32 v2, v2, v118
	;; [unrolled: 1-line block ×4, first 2 shown]
	s_clause 0x4
	buffer_load_dword v118, off, s[0:3], 0 offset:344
	buffer_load_dword v119, off, s[0:3], 0 offset:336
	;; [unrolled: 1-line block ×4, first 2 shown]
	buffer_load_dword v153, off, s[0:3], 0
	v_add_f32_e32 v1, v1, v108
	v_add_f32_e32 v2, v2, v110
	;; [unrolled: 1-line block ×5, first 2 shown]
	ds_read2_b64 v[1:4], v0 offset0:73 offset1:74
	v_add_f32_e32 v5, v5, v112
	v_add_f32_e32 v6, v6, v100
	v_add_f32_e32 v5, v5, v113
	v_add_f32_e32 v97, v6, v101
	v_add_f32_e32 v98, v5, v114
	ds_read2_b64 v[5:8], v0 offset0:75 offset1:76
	v_add_f32_e32 v97, v97, v104
	v_add_f32_e32 v98, v98, v102
	;; [unrolled: 1-line block ×6, first 2 shown]
	s_waitcnt vmcnt(27) lgkmcnt(1)
	v_mul_f32_e32 v111, v1, v145
	v_mul_f32_e32 v99, v2, v145
	s_waitcnt vmcnt(26) lgkmcnt(0)
	v_mul_f32_e32 v109, v6, v146
	v_fmac_f32_e32 v111, v2, v154
	v_add_f32_e32 v2, v98, v103
	v_fma_f32 v113, v1, v154, -v99
	s_waitcnt vmcnt(25)
	v_mul_f32_e32 v112, v3, v121
	v_add_f32_e32 v105, v2, v133
	v_mul_f32_e32 v100, v4, v121
	v_mul_f32_e32 v121, v5, v146
	v_fma_f32 v133, v5, v106, -v109
	v_fmac_f32_e32 v112, v4, v144
	v_add_f32_e32 v105, v105, v134
	v_fma_f32 v114, v3, v144, -v100
	v_fmac_f32_e32 v121, v6, v106
	v_add_f32_e32 v6, v108, v107
	ds_read2_b64 v[1:4], v0 offset0:77 offset1:78
	ds_read2_b64 v[97:100], v0 offset0:79 offset1:80
	v_add_f32_e32 v105, v105, v141
	s_waitcnt vmcnt(24)
	v_mul_f32_e32 v115, v7, v135
	v_mul_f32_e32 v110, v8, v135
	ds_read2_b64 v[101:104], v0 offset0:81 offset1:82
	v_add_f32_e32 v5, v105, v116
	v_add_f32_e32 v116, v6, v143
	s_waitcnt vmcnt(20)
	v_fma_f32 v134, v7, v150, -v110
	v_fmac_f32_e32 v115, v8, v150
	ds_read2_b64 v[105:108], v0 offset0:83 offset1:84
	v_add_f32_e32 v135, v5, v142
	v_add_f32_e32 v116, v116, v156
	ds_read2_b64 v[5:8], v0 offset0:85 offset1:86
	ds_read_b64 v[109:110], v0 offset:696
	v_add_f32_e32 v135, v135, v155
	v_add_f32_e32 v113, v116, v113
	s_waitcnt vmcnt(19) lgkmcnt(5)
	v_mul_f32_e32 v139, v1, v136
	v_mul_f32_e32 v136, v2, v136
	v_add_f32_e32 v111, v135, v111
	v_add_f32_e32 v113, v113, v114
	s_waitcnt vmcnt(18)
	v_mul_f32_e32 v116, v4, v138
	v_mul_f32_e32 v140, v3, v138
	v_fma_f32 v1, v1, v149, -v136
	v_add_f32_e32 v111, v111, v112
	v_add_f32_e32 v113, v113, v133
	v_fmac_f32_e32 v139, v2, v149
	s_waitcnt vmcnt(17) lgkmcnt(4)
	v_mul_f32_e32 v135, v97, v122
	v_mul_f32_e32 v122, v98, v122
	v_add_f32_e32 v111, v111, v121
	v_add_f32_e32 v113, v113, v134
	v_fma_f32 v3, v3, v148, -v116
	v_fmac_f32_e32 v140, v4, v148
	v_fma_f32 v97, v97, v137, -v122
	v_add_f32_e32 v111, v111, v115
	v_add_f32_e32 v1, v113, v1
	s_waitcnt vmcnt(16)
	v_mul_f32_e32 v138, v99, v127
	v_fmac_f32_e32 v135, v98, v137
	s_waitcnt vmcnt(15) lgkmcnt(3)
	v_mul_f32_e32 v114, v101, v123
	v_add_f32_e32 v4, v111, v139
	v_mul_f32_e32 v111, v100, v127
	v_add_f32_e32 v1, v1, v3
	s_waitcnt vmcnt(5)
	v_fmac_f32_e32 v138, v100, v132
	v_mul_f32_e32 v112, v103, v128
	v_add_f32_e32 v3, v4, v140
	v_mul_f32_e32 v4, v102, v123
	v_fma_f32 v98, v99, v132, -v111
	v_add_f32_e32 v1, v1, v97
	v_mul_f32_e32 v97, v104, v128
	v_add_f32_e32 v3, v3, v135
	v_fma_f32 v4, v101, v131, -v4
	v_fmac_f32_e32 v114, v102, v131
	v_add_f32_e32 v1, v1, v98
	s_waitcnt lgkmcnt(2)
	v_mul_f32_e32 v98, v106, v151
	v_add_f32_e32 v3, v3, v138
	v_fma_f32 v97, v103, v130, -v97
	v_mul_f32_e32 v141, v105, v151
	v_add_f32_e32 v1, v1, v4
	v_fmac_f32_e32 v112, v104, v130
	v_add_f32_e32 v3, v3, v114
	v_mul_f32_e32 v4, v108, v125
	v_fma_f32 v98, v105, v117, -v98
	v_add_f32_e32 v1, v1, v97
	v_mul_f32_e32 v133, v107, v125
	v_fmac_f32_e32 v141, v106, v117
	v_add_f32_e32 v3, v3, v112
	s_waitcnt lgkmcnt(1)
	v_mul_f32_e32 v97, v6, v124
	s_waitcnt vmcnt(1)
	v_fma_f32 v4, v107, v152, -v4
	v_add_f32_e32 v1, v1, v98
	v_mul_f32_e32 v121, v5, v124
	v_fmac_f32_e32 v133, v108, v152
	v_add_f32_e32 v3, v3, v141
	v_mul_f32_e32 v98, v8, v129
	v_fma_f32 v5, v5, v120, -v97
	v_add_f32_e32 v1, v1, v4
	v_mul_f32_e32 v2, v7, v129
	v_fmac_f32_e32 v121, v6, v120
	v_add_f32_e32 v3, v3, v133
	s_waitcnt lgkmcnt(0)
	v_mul_f32_e32 v4, v110, v126
	v_fma_f32 v6, v7, v119, -v98
	v_add_f32_e32 v1, v1, v5
	v_mul_f32_e32 v115, v109, v126
	v_fmac_f32_e32 v2, v8, v119
	v_add_f32_e32 v3, v3, v121
	v_fma_f32 v4, v109, v118, -v4
	v_add_f32_e32 v1, v1, v6
	v_fmac_f32_e32 v115, v110, v118
	v_add_f32_e32 v2, v3, v2
	v_add_f32_e32 v1, v1, v4
	;; [unrolled: 1-line block ×3, first 2 shown]
	s_waitcnt vmcnt(0)
	v_sub_f32_e32 v1, v153, v1
	v_sub_f32_e32 v2, v147, v2
	buffer_store_dword v1, off, s[0:3], 0
	buffer_store_dword v2, off, s[0:3], 0 offset:4
	s_cbranch_vccz .LBB43_364
; %bb.278:
	global_load_dword v0, v0, s[20:21] offset:168
	s_waitcnt vmcnt(0)
	v_add_nc_u32_e32 v0, -1, v0
	v_cmp_ne_u32_e32 vcc_lo, 42, v0
	s_cbranch_vccz .LBB43_280
; %bb.279:
	v_lshlrev_b32_e32 v0, 3, v0
	s_clause 0x3
	buffer_load_dword v1, v0, s[0:3], 0 offen
	buffer_load_dword v2, v0, s[0:3], 0 offen offset:4
	buffer_load_dword v3, off, s[0:3], 0 offset:340
	buffer_load_dword v4, off, s[0:3], 0 offset:336
	s_waitcnt vmcnt(3)
	buffer_store_dword v1, off, s[0:3], 0 offset:336
	s_waitcnt vmcnt(2)
	buffer_store_dword v2, off, s[0:3], 0 offset:340
	s_waitcnt vmcnt(1)
	buffer_store_dword v3, v0, s[0:3], 0 offen offset:4
	s_waitcnt vmcnt(0)
	buffer_store_dword v4, v0, s[0:3], 0 offen
.LBB43_280:
	v_mov_b32_e32 v0, 0
	global_load_dword v1, v0, s[20:21] offset:164
	s_waitcnt vmcnt(0)
	v_add_nc_u32_e32 v1, -1, v1
	v_cmp_eq_u32_e32 vcc_lo, 41, v1
	s_cbranch_vccnz .LBB43_282
; %bb.281:
	v_lshlrev_b32_e32 v1, 3, v1
	s_clause 0x3
	buffer_load_dword v2, v1, s[0:3], 0 offen
	buffer_load_dword v3, v1, s[0:3], 0 offen offset:4
	buffer_load_dword v4, off, s[0:3], 0 offset:328
	buffer_load_dword v5, off, s[0:3], 0 offset:332
	s_waitcnt vmcnt(3)
	buffer_store_dword v2, off, s[0:3], 0 offset:328
	s_waitcnt vmcnt(2)
	buffer_store_dword v3, off, s[0:3], 0 offset:332
	s_waitcnt vmcnt(1)
	buffer_store_dword v4, v1, s[0:3], 0 offen
	s_waitcnt vmcnt(0)
	buffer_store_dword v5, v1, s[0:3], 0 offen offset:4
.LBB43_282:
	global_load_dword v0, v0, s[20:21] offset:160
	s_waitcnt vmcnt(0)
	v_add_nc_u32_e32 v0, -1, v0
	v_cmp_eq_u32_e32 vcc_lo, 40, v0
	s_cbranch_vccnz .LBB43_284
; %bb.283:
	v_lshlrev_b32_e32 v0, 3, v0
	s_clause 0x3
	buffer_load_dword v1, v0, s[0:3], 0 offen
	buffer_load_dword v2, v0, s[0:3], 0 offen offset:4
	buffer_load_dword v3, off, s[0:3], 0 offset:324
	buffer_load_dword v4, off, s[0:3], 0 offset:320
	s_waitcnt vmcnt(3)
	buffer_store_dword v1, off, s[0:3], 0 offset:320
	s_waitcnt vmcnt(2)
	buffer_store_dword v2, off, s[0:3], 0 offset:324
	s_waitcnt vmcnt(1)
	buffer_store_dword v3, v0, s[0:3], 0 offen offset:4
	s_waitcnt vmcnt(0)
	buffer_store_dword v4, v0, s[0:3], 0 offen
.LBB43_284:
	v_mov_b32_e32 v0, 0
	global_load_dword v1, v0, s[20:21] offset:156
	s_waitcnt vmcnt(0)
	v_add_nc_u32_e32 v1, -1, v1
	v_cmp_eq_u32_e32 vcc_lo, 39, v1
	s_cbranch_vccnz .LBB43_286
; %bb.285:
	v_lshlrev_b32_e32 v1, 3, v1
	s_clause 0x3
	buffer_load_dword v2, v1, s[0:3], 0 offen
	buffer_load_dword v3, v1, s[0:3], 0 offen offset:4
	buffer_load_dword v4, off, s[0:3], 0 offset:312
	buffer_load_dword v5, off, s[0:3], 0 offset:316
	s_waitcnt vmcnt(3)
	buffer_store_dword v2, off, s[0:3], 0 offset:312
	s_waitcnt vmcnt(2)
	buffer_store_dword v3, off, s[0:3], 0 offset:316
	s_waitcnt vmcnt(1)
	buffer_store_dword v4, v1, s[0:3], 0 offen
	s_waitcnt vmcnt(0)
	buffer_store_dword v5, v1, s[0:3], 0 offen offset:4
.LBB43_286:
	global_load_dword v0, v0, s[20:21] offset:152
	s_waitcnt vmcnt(0)
	v_add_nc_u32_e32 v0, -1, v0
	v_cmp_eq_u32_e32 vcc_lo, 38, v0
	s_cbranch_vccnz .LBB43_288
; %bb.287:
	v_lshlrev_b32_e32 v0, 3, v0
	s_clause 0x3
	buffer_load_dword v1, v0, s[0:3], 0 offen
	buffer_load_dword v2, v0, s[0:3], 0 offen offset:4
	buffer_load_dword v3, off, s[0:3], 0 offset:308
	buffer_load_dword v4, off, s[0:3], 0 offset:304
	s_waitcnt vmcnt(3)
	buffer_store_dword v1, off, s[0:3], 0 offset:304
	s_waitcnt vmcnt(2)
	buffer_store_dword v2, off, s[0:3], 0 offset:308
	s_waitcnt vmcnt(1)
	buffer_store_dword v3, v0, s[0:3], 0 offen offset:4
	s_waitcnt vmcnt(0)
	buffer_store_dword v4, v0, s[0:3], 0 offen
.LBB43_288:
	;; [unrolled: 43-line block ×20, first 2 shown]
	v_mov_b32_e32 v0, 0
	global_load_dword v1, v0, s[20:21] offset:4
	s_waitcnt vmcnt(0)
	v_add_nc_u32_e32 v1, -1, v1
	v_cmp_eq_u32_e32 vcc_lo, 1, v1
	s_cbranch_vccnz .LBB43_362
; %bb.361:
	v_lshlrev_b32_e32 v1, 3, v1
	s_clause 0x3
	buffer_load_dword v2, v1, s[0:3], 0 offen
	buffer_load_dword v3, v1, s[0:3], 0 offen offset:4
	buffer_load_dword v4, off, s[0:3], 0 offset:8
	buffer_load_dword v5, off, s[0:3], 0 offset:12
	s_waitcnt vmcnt(3)
	buffer_store_dword v2, off, s[0:3], 0 offset:8
	s_waitcnt vmcnt(2)
	buffer_store_dword v3, off, s[0:3], 0 offset:12
	s_waitcnt vmcnt(1)
	buffer_store_dword v4, v1, s[0:3], 0 offen
	s_waitcnt vmcnt(0)
	buffer_store_dword v5, v1, s[0:3], 0 offen offset:4
.LBB43_362:
	global_load_dword v0, v0, s[20:21]
	s_waitcnt vmcnt(0)
	v_add_nc_u32_e32 v0, -1, v0
	v_cmp_eq_u32_e32 vcc_lo, 0, v0
	s_cbranch_vccnz .LBB43_364
; %bb.363:
	v_lshlrev_b32_e32 v0, 3, v0
	s_clause 0x3
	buffer_load_dword v1, v0, s[0:3], 0 offen
	buffer_load_dword v2, v0, s[0:3], 0 offen offset:4
	buffer_load_dword v3, off, s[0:3], 0 offset:4
	buffer_load_dword v4, off, s[0:3], 0
	s_waitcnt vmcnt(3)
	buffer_store_dword v1, off, s[0:3], 0
	s_waitcnt vmcnt(2)
	buffer_store_dword v2, off, s[0:3], 0 offset:4
	s_waitcnt vmcnt(1)
	buffer_store_dword v3, v0, s[0:3], 0 offen offset:4
	s_waitcnt vmcnt(0)
	buffer_store_dword v4, v0, s[0:3], 0 offen
.LBB43_364:
	s_clause 0x3e
	buffer_load_dword v0, off, s[0:3], 0
	buffer_load_dword v1, off, s[0:3], 0 offset:4
	buffer_load_dword v2, off, s[0:3], 0 offset:8
	;; [unrolled: 1-line block ×62, first 2 shown]
	s_clause 0x18
	buffer_load_dword v152, off, s[0:3], 0 offset:252
	buffer_load_dword v153, off, s[0:3], 0 offset:256
	;; [unrolled: 1-line block ×25, first 2 shown]
	s_waitcnt vmcnt(62)
	global_store_dwordx2 v[83:84], v[0:1], off
	global_store_dwordx2 v[85:86], v[2:3], off
	global_store_dwordx2 v[9:10], v[4:5], off
	global_store_dwordx2 v[11:12], v[6:7], off
	global_store_dwordx2 v[13:14], v[97:98], off
	global_store_dwordx2 v[15:16], v[99:100], off
	global_store_dwordx2 v[17:18], v[101:102], off
	global_store_dwordx2 v[19:20], v[103:104], off
	global_store_dwordx2 v[21:22], v[105:106], off
	global_store_dwordx2 v[23:24], v[107:108], off
	global_store_dwordx2 v[25:26], v[109:110], off
	global_store_dwordx2 v[27:28], v[111:112], off
	global_store_dwordx2 v[29:30], v[113:114], off
	s_waitcnt vmcnt(60)
	global_store_dwordx2 v[31:32], v[115:116], off
	s_waitcnt vmcnt(58)
	global_store_dwordx2 v[33:34], v[117:118], off
	;; [unrolled: 2-line block ×31, first 2 shown]
	s_endpgm
	.section	.rodata,"a",@progbits
	.p2align	6, 0x0
	.amdhsa_kernel _ZN9rocsolver6v33100L18getri_kernel_smallILi44E19rocblas_complex_numIfEPS3_EEvT1_iilPiilS6_bb
		.amdhsa_group_segment_fixed_size 708
		.amdhsa_private_segment_fixed_size 368
		.amdhsa_kernarg_size 60
		.amdhsa_user_sgpr_count 6
		.amdhsa_user_sgpr_private_segment_buffer 1
		.amdhsa_user_sgpr_dispatch_ptr 0
		.amdhsa_user_sgpr_queue_ptr 0
		.amdhsa_user_sgpr_kernarg_segment_ptr 1
		.amdhsa_user_sgpr_dispatch_id 0
		.amdhsa_user_sgpr_flat_scratch_init 0
		.amdhsa_user_sgpr_private_segment_size 0
		.amdhsa_wavefront_size32 1
		.amdhsa_uses_dynamic_stack 0
		.amdhsa_system_sgpr_private_segment_wavefront_offset 1
		.amdhsa_system_sgpr_workgroup_id_x 1
		.amdhsa_system_sgpr_workgroup_id_y 0
		.amdhsa_system_sgpr_workgroup_id_z 0
		.amdhsa_system_sgpr_workgroup_info 0
		.amdhsa_system_vgpr_workitem_id 0
		.amdhsa_next_free_vgpr 252
		.amdhsa_next_free_sgpr 23
		.amdhsa_reserve_vcc 1
		.amdhsa_reserve_flat_scratch 0
		.amdhsa_float_round_mode_32 0
		.amdhsa_float_round_mode_16_64 0
		.amdhsa_float_denorm_mode_32 3
		.amdhsa_float_denorm_mode_16_64 3
		.amdhsa_dx10_clamp 1
		.amdhsa_ieee_mode 1
		.amdhsa_fp16_overflow 0
		.amdhsa_workgroup_processor_mode 1
		.amdhsa_memory_ordered 1
		.amdhsa_forward_progress 1
		.amdhsa_shared_vgpr_count 0
		.amdhsa_exception_fp_ieee_invalid_op 0
		.amdhsa_exception_fp_denorm_src 0
		.amdhsa_exception_fp_ieee_div_zero 0
		.amdhsa_exception_fp_ieee_overflow 0
		.amdhsa_exception_fp_ieee_underflow 0
		.amdhsa_exception_fp_ieee_inexact 0
		.amdhsa_exception_int_div_zero 0
	.end_amdhsa_kernel
	.section	.text._ZN9rocsolver6v33100L18getri_kernel_smallILi44E19rocblas_complex_numIfEPS3_EEvT1_iilPiilS6_bb,"axG",@progbits,_ZN9rocsolver6v33100L18getri_kernel_smallILi44E19rocblas_complex_numIfEPS3_EEvT1_iilPiilS6_bb,comdat
.Lfunc_end43:
	.size	_ZN9rocsolver6v33100L18getri_kernel_smallILi44E19rocblas_complex_numIfEPS3_EEvT1_iilPiilS6_bb, .Lfunc_end43-_ZN9rocsolver6v33100L18getri_kernel_smallILi44E19rocblas_complex_numIfEPS3_EEvT1_iilPiilS6_bb
                                        ; -- End function
	.set _ZN9rocsolver6v33100L18getri_kernel_smallILi44E19rocblas_complex_numIfEPS3_EEvT1_iilPiilS6_bb.num_vgpr, 252
	.set _ZN9rocsolver6v33100L18getri_kernel_smallILi44E19rocblas_complex_numIfEPS3_EEvT1_iilPiilS6_bb.num_agpr, 0
	.set _ZN9rocsolver6v33100L18getri_kernel_smallILi44E19rocblas_complex_numIfEPS3_EEvT1_iilPiilS6_bb.numbered_sgpr, 23
	.set _ZN9rocsolver6v33100L18getri_kernel_smallILi44E19rocblas_complex_numIfEPS3_EEvT1_iilPiilS6_bb.num_named_barrier, 0
	.set _ZN9rocsolver6v33100L18getri_kernel_smallILi44E19rocblas_complex_numIfEPS3_EEvT1_iilPiilS6_bb.private_seg_size, 368
	.set _ZN9rocsolver6v33100L18getri_kernel_smallILi44E19rocblas_complex_numIfEPS3_EEvT1_iilPiilS6_bb.uses_vcc, 1
	.set _ZN9rocsolver6v33100L18getri_kernel_smallILi44E19rocblas_complex_numIfEPS3_EEvT1_iilPiilS6_bb.uses_flat_scratch, 0
	.set _ZN9rocsolver6v33100L18getri_kernel_smallILi44E19rocblas_complex_numIfEPS3_EEvT1_iilPiilS6_bb.has_dyn_sized_stack, 0
	.set _ZN9rocsolver6v33100L18getri_kernel_smallILi44E19rocblas_complex_numIfEPS3_EEvT1_iilPiilS6_bb.has_recursion, 0
	.set _ZN9rocsolver6v33100L18getri_kernel_smallILi44E19rocblas_complex_numIfEPS3_EEvT1_iilPiilS6_bb.has_indirect_call, 0
	.section	.AMDGPU.csdata,"",@progbits
; Kernel info:
; codeLenInByte = 78580
; TotalNumSgprs: 25
; NumVgprs: 252
; ScratchSize: 368
; MemoryBound: 0
; FloatMode: 240
; IeeeMode: 1
; LDSByteSize: 708 bytes/workgroup (compile time only)
; SGPRBlocks: 0
; VGPRBlocks: 31
; NumSGPRsForWavesPerEU: 25
; NumVGPRsForWavesPerEU: 252
; Occupancy: 4
; WaveLimiterHint : 1
; COMPUTE_PGM_RSRC2:SCRATCH_EN: 1
; COMPUTE_PGM_RSRC2:USER_SGPR: 6
; COMPUTE_PGM_RSRC2:TRAP_HANDLER: 0
; COMPUTE_PGM_RSRC2:TGID_X_EN: 1
; COMPUTE_PGM_RSRC2:TGID_Y_EN: 0
; COMPUTE_PGM_RSRC2:TGID_Z_EN: 0
; COMPUTE_PGM_RSRC2:TIDIG_COMP_CNT: 0
	.section	.text._ZN9rocsolver6v33100L18getri_kernel_smallILi45E19rocblas_complex_numIfEPS3_EEvT1_iilPiilS6_bb,"axG",@progbits,_ZN9rocsolver6v33100L18getri_kernel_smallILi45E19rocblas_complex_numIfEPS3_EEvT1_iilPiilS6_bb,comdat
	.globl	_ZN9rocsolver6v33100L18getri_kernel_smallILi45E19rocblas_complex_numIfEPS3_EEvT1_iilPiilS6_bb ; -- Begin function _ZN9rocsolver6v33100L18getri_kernel_smallILi45E19rocblas_complex_numIfEPS3_EEvT1_iilPiilS6_bb
	.p2align	8
	.type	_ZN9rocsolver6v33100L18getri_kernel_smallILi45E19rocblas_complex_numIfEPS3_EEvT1_iilPiilS6_bb,@function
_ZN9rocsolver6v33100L18getri_kernel_smallILi45E19rocblas_complex_numIfEPS3_EEvT1_iilPiilS6_bb: ; @_ZN9rocsolver6v33100L18getri_kernel_smallILi45E19rocblas_complex_numIfEPS3_EEvT1_iilPiilS6_bb
; %bb.0:
	s_add_u32 s0, s0, s7
	s_addc_u32 s1, s1, 0
	s_mov_b32 s7, exec_lo
	v_cmpx_gt_u32_e32 45, v0
	s_cbranch_execz .LBB44_194
; %bb.1:
	s_clause 0x2
	s_load_dword s7, s[4:5], 0x38
	s_load_dwordx4 s[16:19], s[4:5], 0x10
	s_load_dwordx4 s[8:11], s[4:5], 0x28
                                        ; implicit-def: $sgpr20_sgpr21
	s_waitcnt lgkmcnt(0)
	s_bitcmp1_b32 s7, 8
	s_cselect_b32 s22, -1, 0
	s_bfe_u32 s12, s7, 0x10008
	s_ashr_i32 s7, s6, 31
	s_cmp_eq_u32 s12, 0
	s_cbranch_scc1 .LBB44_3
; %bb.2:
	s_load_dword s12, s[4:5], 0x20
	s_mul_i32 s13, s8, s7
	s_mul_hi_u32 s14, s8, s6
	s_mul_i32 s9, s9, s6
	s_add_i32 s13, s14, s13
	s_mul_i32 s8, s8, s6
	s_add_i32 s9, s13, s9
	s_lshl_b64 s[8:9], s[8:9], 2
	s_waitcnt lgkmcnt(0)
	s_ashr_i32 s13, s12, 31
	s_add_u32 s14, s18, s8
	s_addc_u32 s15, s19, s9
	s_lshl_b64 s[8:9], s[12:13], 2
	s_add_u32 s20, s14, s8
	s_addc_u32 s21, s15, s9
.LBB44_3:
	s_clause 0x1
	s_load_dwordx4 s[12:15], s[4:5], 0x0
	s_load_dword s8, s[4:5], 0x38
	s_mul_i32 s4, s16, s7
	s_mul_hi_u32 s5, s16, s6
	s_mul_i32 s9, s17, s6
	s_add_i32 s5, s5, s4
	s_mul_i32 s4, s16, s6
	s_add_i32 s5, s5, s9
	s_lshl_b64 s[4:5], s[4:5], 3
	s_waitcnt lgkmcnt(0)
	v_add3_u32 v1, s15, s15, v0
	s_ashr_i32 s17, s14, 31
	s_mov_b32 s16, s14
	s_add_u32 s9, s12, s4
	s_addc_u32 s12, s13, s5
	v_add_nc_u32_e32 v3, s15, v1
	v_ashrrev_i32_e32 v2, 31, v1
	s_lshl_b64 s[4:5], s[16:17], 3
	s_add_u32 s4, s9, s4
	v_add_nc_u32_e32 v5, s15, v3
	v_ashrrev_i32_e32 v4, 31, v3
	v_lshlrev_b64 v[1:2], 3, v[1:2]
	s_addc_u32 s5, s12, s5
	s_mov_b32 s12, s15
	v_ashrrev_i32_e32 v6, 31, v5
	v_add_nc_u32_e32 v7, s15, v5
	v_lshlrev_b64 v[3:4], 3, v[3:4]
	v_add_co_u32 v9, vcc_lo, s4, v1
	v_add_co_ci_u32_e64 v10, null, s5, v2, vcc_lo
	v_lshlrev_b64 v[1:2], 3, v[5:6]
	v_ashrrev_i32_e32 v8, 31, v7
	v_add_nc_u32_e32 v5, s15, v7
	v_add_co_u32 v11, vcc_lo, s4, v3
	v_add_co_ci_u32_e64 v12, null, s5, v4, vcc_lo
	v_lshlrev_b64 v[3:4], 3, v[7:8]
	v_ashrrev_i32_e32 v6, 31, v5
	v_add_nc_u32_e32 v7, s15, v5
	;; [unrolled: 5-line block ×31, first 2 shown]
	v_add_co_u32 v71, vcc_lo, s4, v3
	v_add_co_ci_u32_e64 v72, null, s5, v4, vcc_lo
	v_lshlrev_b64 v[3:4], 3, v[7:8]
	v_add_nc_u32_e32 v7, s15, v5
	v_ashrrev_i32_e32 v6, 31, v5
	v_add_co_u32 v73, vcc_lo, s4, v1
	v_add_co_ci_u32_e64 v74, null, s5, v2, vcc_lo
	v_ashrrev_i32_e32 v8, 31, v7
	v_lshlrev_b64 v[1:2], 3, v[5:6]
	v_add_co_u32 v75, vcc_lo, s4, v3
	v_add_co_ci_u32_e64 v76, null, s5, v4, vcc_lo
	v_lshlrev_b64 v[3:4], 3, v[7:8]
	v_add_co_u32 v77, vcc_lo, s4, v1
	v_add_nc_u32_e32 v1, s15, v7
	v_add_co_ci_u32_e64 v78, null, s5, v2, vcc_lo
	v_add_co_u32 v79, vcc_lo, s4, v3
	v_add_co_ci_u32_e64 v80, null, s5, v4, vcc_lo
	v_add_nc_u32_e32 v4, s15, v1
	v_lshlrev_b32_e32 v3, 3, v0
	v_ashrrev_i32_e32 v2, 31, v1
	s_ashr_i32 s13, s15, 31
	v_add_nc_u32_e32 v6, s15, v4
	v_ashrrev_i32_e32 v5, 31, v4
	v_add_co_u32 v83, s9, s4, v3
	v_lshlrev_b64 v[1:2], 3, v[1:2]
	v_add_nc_u32_e32 v91, s15, v6
	v_ashrrev_i32_e32 v7, 31, v6
	v_add_co_ci_u32_e64 v84, null, s5, 0, s9
	s_lshl_b64 s[12:13], s[12:13], 3
	v_add_nc_u32_e32 v93, s15, v91
	v_ashrrev_i32_e32 v92, 31, v91
	v_lshlrev_b64 v[4:5], 3, v[4:5]
	v_add_co_u32 v87, vcc_lo, v83, s12
	v_add_nc_u32_e32 v95, s15, v93
	v_ashrrev_i32_e32 v94, 31, v93
	v_lshlrev_b64 v[6:7], 3, v[6:7]
	v_add_co_ci_u32_e64 v88, null, s13, v84, vcc_lo
	v_add_nc_u32_e32 v97, s15, v95
	v_ashrrev_i32_e32 v96, 31, v95
	v_add_co_u32 v81, vcc_lo, s4, v1
	v_lshlrev_b64 v[91:92], 3, v[91:92]
	v_ashrrev_i32_e32 v98, 31, v97
	v_add_co_ci_u32_e64 v82, null, s5, v2, vcc_lo
	v_add_co_u32 v85, vcc_lo, s4, v4
	v_lshlrev_b64 v[93:94], 3, v[93:94]
	v_add_co_ci_u32_e64 v86, null, s5, v5, vcc_lo
	v_add_co_u32 v89, vcc_lo, s4, v6
	v_lshlrev_b64 v[95:96], 3, v[95:96]
	;; [unrolled: 3-line block ×3, first 2 shown]
	v_add_co_ci_u32_e64 v92, null, s5, v92, vcc_lo
	v_add_co_u32 v93, vcc_lo, s4, v93
	v_add_co_ci_u32_e64 v94, null, s5, v94, vcc_lo
	v_add_co_u32 v95, vcc_lo, s4, v95
	;; [unrolled: 2-line block ×3, first 2 shown]
	v_add_co_ci_u32_e64 v98, null, s5, v98, vcc_lo
	s_clause 0x2c
	global_load_dwordx2 v[99:100], v3, s[4:5]
	global_load_dwordx2 v[101:102], v[87:88], off
	global_load_dwordx2 v[103:104], v[9:10], off
	;; [unrolled: 1-line block ×44, first 2 shown]
	s_mov_b32 s5, -1
	s_bitcmp0_b32 s8, 0
	s_waitcnt vmcnt(44)
	buffer_store_dword v100, off, s[0:3], 0 offset:4
	buffer_store_dword v99, off, s[0:3], 0
	s_waitcnt vmcnt(43)
	buffer_store_dword v102, off, s[0:3], 0 offset:12
	buffer_store_dword v101, off, s[0:3], 0 offset:8
	s_waitcnt vmcnt(42)
	buffer_store_dword v104, off, s[0:3], 0 offset:20
	buffer_store_dword v103, off, s[0:3], 0 offset:16
	;; [unrolled: 3-line block ×44, first 2 shown]
	s_cbranch_scc1 .LBB44_192
; %bb.4:
	v_cmp_eq_u32_e64 s4, 0, v0
	s_and_saveexec_b32 s5, s4
; %bb.5:
	v_mov_b32_e32 v1, 0
	ds_write_b32 v1, v1 offset:360
; %bb.6:
	s_or_b32 exec_lo, exec_lo, s5
	v_lshl_add_u32 v5, v0, 3, 0
	s_waitcnt lgkmcnt(0)
	s_waitcnt_vscnt null, 0x0
	s_barrier
	buffer_gl0_inv
	s_clause 0x1
	buffer_load_dword v1, v5, s[0:3], 0 offen
	buffer_load_dword v2, v5, s[0:3], 0 offen offset:4
	s_waitcnt vmcnt(1)
	v_cmp_eq_f32_e32 vcc_lo, 0, v1
	s_waitcnt vmcnt(0)
	v_cmp_eq_f32_e64 s5, 0, v2
	s_and_b32 s5, vcc_lo, s5
	s_and_saveexec_b32 s8, s5
	s_cbranch_execz .LBB44_10
; %bb.7:
	v_mov_b32_e32 v1, 0
	s_mov_b32 s9, 0
	ds_read_b32 v2, v1 offset:360
	s_waitcnt lgkmcnt(0)
	v_readfirstlane_b32 s5, v2
	v_add_nc_u32_e32 v2, 1, v0
	s_cmp_eq_u32 s5, 0
	v_cmp_gt_i32_e32 vcc_lo, s5, v2
	s_cselect_b32 s12, -1, 0
	s_or_b32 s12, s12, vcc_lo
	s_and_b32 exec_lo, exec_lo, s12
	s_cbranch_execz .LBB44_10
; %bb.8:
	v_mov_b32_e32 v4, s5
.LBB44_9:                               ; =>This Inner Loop Header: Depth=1
	ds_cmpst_rtn_b32 v4, v1, v4, v2 offset:360
	s_waitcnt lgkmcnt(0)
	v_cmp_ne_u32_e32 vcc_lo, 0, v4
	v_cmp_le_i32_e64 s5, v4, v2
	s_and_b32 s5, vcc_lo, s5
	s_and_b32 s5, exec_lo, s5
	s_or_b32 s9, s5, s9
	s_andn2_b32 exec_lo, exec_lo, s9
	s_cbranch_execnz .LBB44_9
.LBB44_10:
	s_or_b32 exec_lo, exec_lo, s8
	v_mov_b32_e32 v1, 0
	s_barrier
	buffer_gl0_inv
	ds_read_b32 v2, v1 offset:360
	s_and_saveexec_b32 s5, s4
	s_cbranch_execz .LBB44_12
; %bb.11:
	s_lshl_b64 s[8:9], s[6:7], 2
	s_add_u32 s8, s10, s8
	s_addc_u32 s9, s11, s9
	s_waitcnt lgkmcnt(0)
	global_store_dword v1, v2, s[8:9]
.LBB44_12:
	s_or_b32 exec_lo, exec_lo, s5
	s_waitcnt lgkmcnt(0)
	v_cmp_ne_u32_e32 vcc_lo, 0, v2
	s_mov_b32 s5, 0
	s_cbranch_vccnz .LBB44_192
; %bb.13:
	s_clause 0x1
	buffer_load_dword v2, v5, s[0:3], 0 offen
	buffer_load_dword v4, v5, s[0:3], 0 offen offset:4
                                        ; implicit-def: $vgpr7
                                        ; implicit-def: $vgpr6
                                        ; implicit-def: $vgpr1
	s_waitcnt vmcnt(0)
	v_cmp_ngt_f32_e64 s5, |v2|, |v4|
	s_and_saveexec_b32 s8, s5
	s_xor_b32 s5, exec_lo, s8
	s_cbranch_execz .LBB44_15
; %bb.14:
	v_div_scale_f32 v1, null, v4, v4, v2
	v_div_scale_f32 v8, vcc_lo, v2, v4, v2
	v_rcp_f32_e32 v6, v1
	v_fma_f32 v7, -v1, v6, 1.0
	v_fmac_f32_e32 v6, v7, v6
	v_mul_f32_e32 v7, v8, v6
	v_fma_f32 v99, -v1, v7, v8
	v_fmac_f32_e32 v7, v99, v6
	v_fma_f32 v1, -v1, v7, v8
	v_div_fmas_f32 v1, v1, v6, v7
	v_div_fixup_f32 v1, v1, v4, v2
	v_fmac_f32_e32 v4, v2, v1
	v_div_scale_f32 v2, null, v4, v4, 1.0
	v_rcp_f32_e32 v6, v2
	v_fma_f32 v7, -v2, v6, 1.0
	v_fmac_f32_e32 v6, v7, v6
	v_div_scale_f32 v7, vcc_lo, 1.0, v4, 1.0
	v_mul_f32_e32 v8, v7, v6
	v_fma_f32 v99, -v2, v8, v7
	v_fmac_f32_e32 v8, v99, v6
	v_fma_f32 v2, -v2, v8, v7
	v_div_fmas_f32 v2, v2, v6, v8
	v_div_fixup_f32 v2, v2, v4, 1.0
                                        ; implicit-def: $vgpr4
	v_mul_f32_e32 v7, v1, v2
	v_xor_b32_e32 v6, 0x80000000, v2
                                        ; implicit-def: $vgpr2
	v_xor_b32_e32 v1, 0x80000000, v7
.LBB44_15:
	s_andn2_saveexec_b32 s5, s5
	s_cbranch_execz .LBB44_17
; %bb.16:
	v_div_scale_f32 v1, null, v2, v2, v4
	v_div_scale_f32 v8, vcc_lo, v4, v2, v4
	v_rcp_f32_e32 v6, v1
	v_fma_f32 v7, -v1, v6, 1.0
	v_fmac_f32_e32 v6, v7, v6
	v_mul_f32_e32 v7, v8, v6
	v_fma_f32 v99, -v1, v7, v8
	v_fmac_f32_e32 v7, v99, v6
	v_fma_f32 v1, -v1, v7, v8
	v_div_fmas_f32 v1, v1, v6, v7
	v_div_fixup_f32 v6, v1, v2, v4
	v_fmac_f32_e32 v2, v4, v6
	v_div_scale_f32 v1, null, v2, v2, 1.0
	v_div_scale_f32 v8, vcc_lo, 1.0, v2, 1.0
	v_rcp_f32_e32 v4, v1
	v_fma_f32 v7, -v1, v4, 1.0
	v_fmac_f32_e32 v4, v7, v4
	v_mul_f32_e32 v7, v8, v4
	v_fma_f32 v99, -v1, v7, v8
	v_fmac_f32_e32 v7, v99, v4
	v_fma_f32 v1, -v1, v7, v8
	v_div_fmas_f32 v1, v1, v4, v7
	v_div_fixup_f32 v7, v1, v2, 1.0
	v_xor_b32_e32 v1, 0x80000000, v7
	v_mul_f32_e64 v6, v6, -v7
.LBB44_17:
	s_or_b32 exec_lo, exec_lo, s5
	buffer_store_dword v7, v5, s[0:3], 0 offen
	buffer_store_dword v6, v5, s[0:3], 0 offen offset:4
	s_clause 0x1
	buffer_load_dword v8, off, s[0:3], 0 offset:12
	buffer_load_dword v7, off, s[0:3], 0 offset:8
	v_xor_b32_e32 v2, 0x80000000, v6
	v_add_nc_u32_e32 v4, 0x170, v3
	s_waitcnt vmcnt(0)
	ds_write2_b64 v3, v[1:2], v[7:8] offset1:46
	s_waitcnt lgkmcnt(0)
	s_waitcnt_vscnt null, 0x0
	s_barrier
	buffer_gl0_inv
	s_and_saveexec_b32 s5, s4
	s_cbranch_execz .LBB44_19
; %bb.18:
	s_clause 0x1
	buffer_load_dword v8, v5, s[0:3], 0 offen offset:4
	buffer_load_dword v99, v5, s[0:3], 0 offen
	ds_read_b64 v[1:2], v4
	v_mov_b32_e32 v6, 0
	ds_read_b64 v[6:7], v6 offset:8
	s_waitcnt vmcnt(1) lgkmcnt(1)
	v_mul_f32_e32 v100, v1, v8
	v_mul_f32_e32 v8, v2, v8
	s_waitcnt vmcnt(0)
	v_fmac_f32_e32 v100, v2, v99
	v_fma_f32 v1, v1, v99, -v8
	v_add_f32_e32 v2, 0, v100
	v_add_f32_e32 v1, 0, v1
	s_waitcnt lgkmcnt(0)
	v_mul_f32_e32 v8, v2, v7
	v_mul_f32_e32 v7, v1, v7
	v_fma_f32 v1, v1, v6, -v8
	v_fmac_f32_e32 v7, v2, v6
	buffer_store_dword v1, off, s[0:3], 0 offset:8
	buffer_store_dword v7, off, s[0:3], 0 offset:12
.LBB44_19:
	s_or_b32 exec_lo, exec_lo, s5
	s_waitcnt_vscnt null, 0x0
	s_barrier
	buffer_gl0_inv
	s_clause 0x1
	buffer_load_dword v1, off, s[0:3], 0 offset:16
	buffer_load_dword v2, off, s[0:3], 0 offset:20
	s_mov_b32 s5, exec_lo
	s_waitcnt vmcnt(0)
	ds_write_b64 v4, v[1:2]
	s_waitcnt lgkmcnt(0)
	s_barrier
	buffer_gl0_inv
	v_cmpx_gt_u32_e32 2, v0
	s_cbranch_execz .LBB44_23
; %bb.20:
	s_clause 0x1
	buffer_load_dword v6, v5, s[0:3], 0 offen offset:4
	buffer_load_dword v5, v5, s[0:3], 0 offen
	ds_read_b64 v[1:2], v4
	s_waitcnt vmcnt(1) lgkmcnt(0)
	v_mul_f32_e32 v7, v2, v6
	v_mul_f32_e32 v6, v1, v6
	s_waitcnt vmcnt(0)
	v_fma_f32 v1, v1, v5, -v7
	v_fmac_f32_e32 v6, v2, v5
	v_add_f32_e32 v2, 0, v1
	v_add_f32_e32 v1, 0, v6
	s_and_saveexec_b32 s8, s4
	s_cbranch_execz .LBB44_22
; %bb.21:
	s_clause 0x1
	buffer_load_dword v7, off, s[0:3], 0 offset:12
	buffer_load_dword v8, off, s[0:3], 0 offset:8
	v_mov_b32_e32 v5, 0
	ds_read_b64 v[5:6], v5 offset:376
	s_waitcnt vmcnt(1) lgkmcnt(0)
	v_mul_f32_e32 v99, v5, v7
	v_mul_f32_e32 v7, v6, v7
	s_waitcnt vmcnt(0)
	v_fmac_f32_e32 v99, v6, v8
	v_fma_f32 v5, v5, v8, -v7
	v_add_f32_e32 v1, v1, v99
	v_add_f32_e32 v2, v2, v5
.LBB44_22:
	s_or_b32 exec_lo, exec_lo, s8
	v_mov_b32_e32 v5, 0
	ds_read_b64 v[5:6], v5 offset:16
	s_waitcnt lgkmcnt(0)
	v_mul_f32_e32 v7, v1, v6
	v_mul_f32_e32 v6, v2, v6
	v_fma_f32 v2, v2, v5, -v7
	v_fmac_f32_e32 v6, v1, v5
	buffer_store_dword v2, off, s[0:3], 0 offset:16
	buffer_store_dword v6, off, s[0:3], 0 offset:20
.LBB44_23:
	s_or_b32 exec_lo, exec_lo, s5
	s_waitcnt_vscnt null, 0x0
	s_barrier
	buffer_gl0_inv
	s_clause 0x1
	buffer_load_dword v5, off, s[0:3], 0 offset:24
	buffer_load_dword v6, off, s[0:3], 0 offset:28
	v_add_nc_u32_e32 v1, -1, v0
	s_mov_b32 s4, exec_lo
	s_waitcnt vmcnt(0)
	ds_write_b64 v4, v[5:6]
	s_waitcnt lgkmcnt(0)
	s_barrier
	buffer_gl0_inv
	v_cmpx_gt_u32_e32 3, v0
	s_cbranch_execz .LBB44_27
; %bb.24:
	v_add_nc_u32_e32 v5, -1, v0
	v_add_nc_u32_e32 v6, 0x170, v3
	v_mov_b32_e32 v7, v3
	v_mov_b32_e32 v2, 0
	;; [unrolled: 1-line block ×3, first 2 shown]
	s_mov_b32 s5, 0
	.p2align	6
.LBB44_25:                              ; =>This Inner Loop Header: Depth=1
	s_clause 0x1
	buffer_load_dword v101, v7, s[0:3], 0 offen offset:4
	buffer_load_dword v102, v7, s[0:3], 0 offen
	ds_read_b64 v[99:100], v6
	v_add_nc_u32_e32 v5, 1, v5
	v_add_nc_u32_e32 v6, 8, v6
	;; [unrolled: 1-line block ×3, first 2 shown]
	v_cmp_lt_u32_e32 vcc_lo, 1, v5
	s_or_b32 s5, vcc_lo, s5
	s_waitcnt vmcnt(1) lgkmcnt(0)
	v_mul_f32_e32 v103, v100, v101
	v_mul_f32_e32 v101, v99, v101
	s_waitcnt vmcnt(0)
	v_fma_f32 v99, v99, v102, -v103
	v_fmac_f32_e32 v101, v100, v102
	v_add_f32_e32 v8, v8, v99
	v_add_f32_e32 v2, v2, v101
	s_andn2_b32 exec_lo, exec_lo, s5
	s_cbranch_execnz .LBB44_25
; %bb.26:
	s_or_b32 exec_lo, exec_lo, s5
	v_mov_b32_e32 v5, 0
	ds_read_b64 v[5:6], v5 offset:24
	s_waitcnt lgkmcnt(0)
	v_mul_f32_e32 v7, v2, v6
	v_mul_f32_e32 v6, v8, v6
	v_fma_f32 v7, v8, v5, -v7
	v_fmac_f32_e32 v6, v2, v5
	buffer_store_dword v7, off, s[0:3], 0 offset:24
	buffer_store_dword v6, off, s[0:3], 0 offset:28
.LBB44_27:
	s_or_b32 exec_lo, exec_lo, s4
	s_waitcnt_vscnt null, 0x0
	s_barrier
	buffer_gl0_inv
	s_clause 0x1
	buffer_load_dword v5, off, s[0:3], 0 offset:32
	buffer_load_dword v6, off, s[0:3], 0 offset:36
	s_mov_b32 s4, exec_lo
	s_waitcnt vmcnt(0)
	ds_write_b64 v4, v[5:6]
	s_waitcnt lgkmcnt(0)
	s_barrier
	buffer_gl0_inv
	v_cmpx_gt_u32_e32 4, v0
	s_cbranch_execz .LBB44_31
; %bb.28:
	v_add_nc_u32_e32 v5, -1, v0
	v_add_nc_u32_e32 v6, 0x170, v3
	v_mov_b32_e32 v7, v3
	v_mov_b32_e32 v2, 0
	;; [unrolled: 1-line block ×3, first 2 shown]
	s_mov_b32 s5, 0
	.p2align	6
.LBB44_29:                              ; =>This Inner Loop Header: Depth=1
	s_clause 0x1
	buffer_load_dword v101, v7, s[0:3], 0 offen offset:4
	buffer_load_dword v102, v7, s[0:3], 0 offen
	ds_read_b64 v[99:100], v6
	v_add_nc_u32_e32 v5, 1, v5
	v_add_nc_u32_e32 v6, 8, v6
	;; [unrolled: 1-line block ×3, first 2 shown]
	v_cmp_lt_u32_e32 vcc_lo, 2, v5
	s_or_b32 s5, vcc_lo, s5
	s_waitcnt vmcnt(1) lgkmcnt(0)
	v_mul_f32_e32 v103, v100, v101
	v_mul_f32_e32 v101, v99, v101
	s_waitcnt vmcnt(0)
	v_fma_f32 v99, v99, v102, -v103
	v_fmac_f32_e32 v101, v100, v102
	v_add_f32_e32 v8, v8, v99
	v_add_f32_e32 v2, v2, v101
	s_andn2_b32 exec_lo, exec_lo, s5
	s_cbranch_execnz .LBB44_29
; %bb.30:
	s_or_b32 exec_lo, exec_lo, s5
	v_mov_b32_e32 v5, 0
	ds_read_b64 v[5:6], v5 offset:32
	s_waitcnt lgkmcnt(0)
	v_mul_f32_e32 v7, v2, v6
	v_mul_f32_e32 v6, v8, v6
	v_fma_f32 v7, v8, v5, -v7
	v_fmac_f32_e32 v6, v2, v5
	buffer_store_dword v7, off, s[0:3], 0 offset:32
	buffer_store_dword v6, off, s[0:3], 0 offset:36
.LBB44_31:
	s_or_b32 exec_lo, exec_lo, s4
	s_waitcnt_vscnt null, 0x0
	s_barrier
	buffer_gl0_inv
	s_clause 0x1
	buffer_load_dword v5, off, s[0:3], 0 offset:40
	buffer_load_dword v6, off, s[0:3], 0 offset:44
	s_mov_b32 s4, exec_lo
	s_waitcnt vmcnt(0)
	ds_write_b64 v4, v[5:6]
	s_waitcnt lgkmcnt(0)
	s_barrier
	buffer_gl0_inv
	v_cmpx_gt_u32_e32 5, v0
	s_cbranch_execz .LBB44_35
; %bb.32:
	v_add_nc_u32_e32 v5, -1, v0
	v_add_nc_u32_e32 v6, 0x170, v3
	v_mov_b32_e32 v7, v3
	v_mov_b32_e32 v2, 0
	;; [unrolled: 1-line block ×3, first 2 shown]
	s_mov_b32 s5, 0
	.p2align	6
.LBB44_33:                              ; =>This Inner Loop Header: Depth=1
	s_clause 0x1
	buffer_load_dword v101, v7, s[0:3], 0 offen offset:4
	buffer_load_dword v102, v7, s[0:3], 0 offen
	ds_read_b64 v[99:100], v6
	v_add_nc_u32_e32 v5, 1, v5
	v_add_nc_u32_e32 v6, 8, v6
	;; [unrolled: 1-line block ×3, first 2 shown]
	v_cmp_lt_u32_e32 vcc_lo, 3, v5
	s_or_b32 s5, vcc_lo, s5
	s_waitcnt vmcnt(1) lgkmcnt(0)
	v_mul_f32_e32 v103, v100, v101
	v_mul_f32_e32 v101, v99, v101
	s_waitcnt vmcnt(0)
	v_fma_f32 v99, v99, v102, -v103
	v_fmac_f32_e32 v101, v100, v102
	v_add_f32_e32 v8, v8, v99
	v_add_f32_e32 v2, v2, v101
	s_andn2_b32 exec_lo, exec_lo, s5
	s_cbranch_execnz .LBB44_33
; %bb.34:
	s_or_b32 exec_lo, exec_lo, s5
	v_mov_b32_e32 v5, 0
	ds_read_b64 v[5:6], v5 offset:40
	s_waitcnt lgkmcnt(0)
	v_mul_f32_e32 v7, v2, v6
	v_mul_f32_e32 v6, v8, v6
	v_fma_f32 v7, v8, v5, -v7
	v_fmac_f32_e32 v6, v2, v5
	buffer_store_dword v7, off, s[0:3], 0 offset:40
	buffer_store_dword v6, off, s[0:3], 0 offset:44
.LBB44_35:
	s_or_b32 exec_lo, exec_lo, s4
	s_waitcnt_vscnt null, 0x0
	s_barrier
	buffer_gl0_inv
	s_clause 0x1
	buffer_load_dword v5, off, s[0:3], 0 offset:48
	buffer_load_dword v6, off, s[0:3], 0 offset:52
	s_mov_b32 s4, exec_lo
	s_waitcnt vmcnt(0)
	ds_write_b64 v4, v[5:6]
	s_waitcnt lgkmcnt(0)
	s_barrier
	buffer_gl0_inv
	v_cmpx_gt_u32_e32 6, v0
	s_cbranch_execz .LBB44_39
; %bb.36:
	v_add_nc_u32_e32 v5, -1, v0
	v_add_nc_u32_e32 v6, 0x170, v3
	v_mov_b32_e32 v7, v3
	v_mov_b32_e32 v2, 0
	;; [unrolled: 1-line block ×3, first 2 shown]
	s_mov_b32 s5, 0
	.p2align	6
.LBB44_37:                              ; =>This Inner Loop Header: Depth=1
	s_clause 0x1
	buffer_load_dword v101, v7, s[0:3], 0 offen offset:4
	buffer_load_dword v102, v7, s[0:3], 0 offen
	ds_read_b64 v[99:100], v6
	v_add_nc_u32_e32 v5, 1, v5
	v_add_nc_u32_e32 v6, 8, v6
	;; [unrolled: 1-line block ×3, first 2 shown]
	v_cmp_lt_u32_e32 vcc_lo, 4, v5
	s_or_b32 s5, vcc_lo, s5
	s_waitcnt vmcnt(1) lgkmcnt(0)
	v_mul_f32_e32 v103, v100, v101
	v_mul_f32_e32 v101, v99, v101
	s_waitcnt vmcnt(0)
	v_fma_f32 v99, v99, v102, -v103
	v_fmac_f32_e32 v101, v100, v102
	v_add_f32_e32 v8, v8, v99
	v_add_f32_e32 v2, v2, v101
	s_andn2_b32 exec_lo, exec_lo, s5
	s_cbranch_execnz .LBB44_37
; %bb.38:
	s_or_b32 exec_lo, exec_lo, s5
	v_mov_b32_e32 v5, 0
	ds_read_b64 v[5:6], v5 offset:48
	s_waitcnt lgkmcnt(0)
	v_mul_f32_e32 v7, v2, v6
	v_mul_f32_e32 v6, v8, v6
	v_fma_f32 v7, v8, v5, -v7
	v_fmac_f32_e32 v6, v2, v5
	buffer_store_dword v7, off, s[0:3], 0 offset:48
	buffer_store_dword v6, off, s[0:3], 0 offset:52
.LBB44_39:
	s_or_b32 exec_lo, exec_lo, s4
	s_waitcnt_vscnt null, 0x0
	s_barrier
	buffer_gl0_inv
	s_clause 0x1
	buffer_load_dword v5, off, s[0:3], 0 offset:56
	buffer_load_dword v6, off, s[0:3], 0 offset:60
	s_mov_b32 s4, exec_lo
	s_waitcnt vmcnt(0)
	ds_write_b64 v4, v[5:6]
	s_waitcnt lgkmcnt(0)
	s_barrier
	buffer_gl0_inv
	v_cmpx_gt_u32_e32 7, v0
	s_cbranch_execz .LBB44_43
; %bb.40:
	v_add_nc_u32_e32 v5, -1, v0
	v_add_nc_u32_e32 v6, 0x170, v3
	v_mov_b32_e32 v7, v3
	v_mov_b32_e32 v2, 0
	;; [unrolled: 1-line block ×3, first 2 shown]
	s_mov_b32 s5, 0
	.p2align	6
.LBB44_41:                              ; =>This Inner Loop Header: Depth=1
	s_clause 0x1
	buffer_load_dword v101, v7, s[0:3], 0 offen offset:4
	buffer_load_dword v102, v7, s[0:3], 0 offen
	ds_read_b64 v[99:100], v6
	v_add_nc_u32_e32 v5, 1, v5
	v_add_nc_u32_e32 v6, 8, v6
	;; [unrolled: 1-line block ×3, first 2 shown]
	v_cmp_lt_u32_e32 vcc_lo, 5, v5
	s_or_b32 s5, vcc_lo, s5
	s_waitcnt vmcnt(1) lgkmcnt(0)
	v_mul_f32_e32 v103, v100, v101
	v_mul_f32_e32 v101, v99, v101
	s_waitcnt vmcnt(0)
	v_fma_f32 v99, v99, v102, -v103
	v_fmac_f32_e32 v101, v100, v102
	v_add_f32_e32 v8, v8, v99
	v_add_f32_e32 v2, v2, v101
	s_andn2_b32 exec_lo, exec_lo, s5
	s_cbranch_execnz .LBB44_41
; %bb.42:
	s_or_b32 exec_lo, exec_lo, s5
	v_mov_b32_e32 v5, 0
	ds_read_b64 v[5:6], v5 offset:56
	s_waitcnt lgkmcnt(0)
	v_mul_f32_e32 v7, v2, v6
	v_mul_f32_e32 v6, v8, v6
	v_fma_f32 v7, v8, v5, -v7
	v_fmac_f32_e32 v6, v2, v5
	buffer_store_dword v7, off, s[0:3], 0 offset:56
	buffer_store_dword v6, off, s[0:3], 0 offset:60
.LBB44_43:
	s_or_b32 exec_lo, exec_lo, s4
	s_waitcnt_vscnt null, 0x0
	s_barrier
	buffer_gl0_inv
	s_clause 0x1
	buffer_load_dword v5, off, s[0:3], 0 offset:64
	buffer_load_dword v6, off, s[0:3], 0 offset:68
	s_mov_b32 s4, exec_lo
	s_waitcnt vmcnt(0)
	ds_write_b64 v4, v[5:6]
	s_waitcnt lgkmcnt(0)
	s_barrier
	buffer_gl0_inv
	v_cmpx_gt_u32_e32 8, v0
	s_cbranch_execz .LBB44_47
; %bb.44:
	v_add_nc_u32_e32 v5, -1, v0
	v_add_nc_u32_e32 v6, 0x170, v3
	v_mov_b32_e32 v7, v3
	v_mov_b32_e32 v2, 0
	;; [unrolled: 1-line block ×3, first 2 shown]
	s_mov_b32 s5, 0
	.p2align	6
.LBB44_45:                              ; =>This Inner Loop Header: Depth=1
	s_clause 0x1
	buffer_load_dword v101, v7, s[0:3], 0 offen offset:4
	buffer_load_dword v102, v7, s[0:3], 0 offen
	ds_read_b64 v[99:100], v6
	v_add_nc_u32_e32 v5, 1, v5
	v_add_nc_u32_e32 v6, 8, v6
	;; [unrolled: 1-line block ×3, first 2 shown]
	v_cmp_lt_u32_e32 vcc_lo, 6, v5
	s_or_b32 s5, vcc_lo, s5
	s_waitcnt vmcnt(1) lgkmcnt(0)
	v_mul_f32_e32 v103, v100, v101
	v_mul_f32_e32 v101, v99, v101
	s_waitcnt vmcnt(0)
	v_fma_f32 v99, v99, v102, -v103
	v_fmac_f32_e32 v101, v100, v102
	v_add_f32_e32 v8, v8, v99
	v_add_f32_e32 v2, v2, v101
	s_andn2_b32 exec_lo, exec_lo, s5
	s_cbranch_execnz .LBB44_45
; %bb.46:
	s_or_b32 exec_lo, exec_lo, s5
	v_mov_b32_e32 v5, 0
	ds_read_b64 v[5:6], v5 offset:64
	s_waitcnt lgkmcnt(0)
	v_mul_f32_e32 v7, v2, v6
	v_mul_f32_e32 v6, v8, v6
	v_fma_f32 v7, v8, v5, -v7
	v_fmac_f32_e32 v6, v2, v5
	buffer_store_dword v7, off, s[0:3], 0 offset:64
	buffer_store_dword v6, off, s[0:3], 0 offset:68
.LBB44_47:
	s_or_b32 exec_lo, exec_lo, s4
	s_waitcnt_vscnt null, 0x0
	s_barrier
	buffer_gl0_inv
	s_clause 0x1
	buffer_load_dword v5, off, s[0:3], 0 offset:72
	buffer_load_dword v6, off, s[0:3], 0 offset:76
	s_mov_b32 s4, exec_lo
	s_waitcnt vmcnt(0)
	ds_write_b64 v4, v[5:6]
	s_waitcnt lgkmcnt(0)
	s_barrier
	buffer_gl0_inv
	v_cmpx_gt_u32_e32 9, v0
	s_cbranch_execz .LBB44_51
; %bb.48:
	v_add_nc_u32_e32 v5, -1, v0
	v_add_nc_u32_e32 v6, 0x170, v3
	v_mov_b32_e32 v7, v3
	v_mov_b32_e32 v2, 0
	;; [unrolled: 1-line block ×3, first 2 shown]
	s_mov_b32 s5, 0
	.p2align	6
.LBB44_49:                              ; =>This Inner Loop Header: Depth=1
	s_clause 0x1
	buffer_load_dword v101, v7, s[0:3], 0 offen offset:4
	buffer_load_dword v102, v7, s[0:3], 0 offen
	ds_read_b64 v[99:100], v6
	v_add_nc_u32_e32 v5, 1, v5
	v_add_nc_u32_e32 v6, 8, v6
	;; [unrolled: 1-line block ×3, first 2 shown]
	v_cmp_lt_u32_e32 vcc_lo, 7, v5
	s_or_b32 s5, vcc_lo, s5
	s_waitcnt vmcnt(1) lgkmcnt(0)
	v_mul_f32_e32 v103, v100, v101
	v_mul_f32_e32 v101, v99, v101
	s_waitcnt vmcnt(0)
	v_fma_f32 v99, v99, v102, -v103
	v_fmac_f32_e32 v101, v100, v102
	v_add_f32_e32 v8, v8, v99
	v_add_f32_e32 v2, v2, v101
	s_andn2_b32 exec_lo, exec_lo, s5
	s_cbranch_execnz .LBB44_49
; %bb.50:
	s_or_b32 exec_lo, exec_lo, s5
	v_mov_b32_e32 v5, 0
	ds_read_b64 v[5:6], v5 offset:72
	s_waitcnt lgkmcnt(0)
	v_mul_f32_e32 v7, v2, v6
	v_mul_f32_e32 v6, v8, v6
	v_fma_f32 v7, v8, v5, -v7
	v_fmac_f32_e32 v6, v2, v5
	buffer_store_dword v7, off, s[0:3], 0 offset:72
	buffer_store_dword v6, off, s[0:3], 0 offset:76
.LBB44_51:
	s_or_b32 exec_lo, exec_lo, s4
	s_waitcnt_vscnt null, 0x0
	s_barrier
	buffer_gl0_inv
	s_clause 0x1
	buffer_load_dword v5, off, s[0:3], 0 offset:80
	buffer_load_dword v6, off, s[0:3], 0 offset:84
	s_mov_b32 s4, exec_lo
	s_waitcnt vmcnt(0)
	ds_write_b64 v4, v[5:6]
	s_waitcnt lgkmcnt(0)
	s_barrier
	buffer_gl0_inv
	v_cmpx_gt_u32_e32 10, v0
	s_cbranch_execz .LBB44_55
; %bb.52:
	v_add_nc_u32_e32 v5, -1, v0
	v_add_nc_u32_e32 v6, 0x170, v3
	v_mov_b32_e32 v7, v3
	v_mov_b32_e32 v2, 0
	;; [unrolled: 1-line block ×3, first 2 shown]
	s_mov_b32 s5, 0
	.p2align	6
.LBB44_53:                              ; =>This Inner Loop Header: Depth=1
	s_clause 0x1
	buffer_load_dword v101, v7, s[0:3], 0 offen offset:4
	buffer_load_dword v102, v7, s[0:3], 0 offen
	ds_read_b64 v[99:100], v6
	v_add_nc_u32_e32 v5, 1, v5
	v_add_nc_u32_e32 v6, 8, v6
	;; [unrolled: 1-line block ×3, first 2 shown]
	v_cmp_lt_u32_e32 vcc_lo, 8, v5
	s_or_b32 s5, vcc_lo, s5
	s_waitcnt vmcnt(1) lgkmcnt(0)
	v_mul_f32_e32 v103, v100, v101
	v_mul_f32_e32 v101, v99, v101
	s_waitcnt vmcnt(0)
	v_fma_f32 v99, v99, v102, -v103
	v_fmac_f32_e32 v101, v100, v102
	v_add_f32_e32 v8, v8, v99
	v_add_f32_e32 v2, v2, v101
	s_andn2_b32 exec_lo, exec_lo, s5
	s_cbranch_execnz .LBB44_53
; %bb.54:
	s_or_b32 exec_lo, exec_lo, s5
	v_mov_b32_e32 v5, 0
	ds_read_b64 v[5:6], v5 offset:80
	s_waitcnt lgkmcnt(0)
	v_mul_f32_e32 v7, v2, v6
	v_mul_f32_e32 v6, v8, v6
	v_fma_f32 v7, v8, v5, -v7
	v_fmac_f32_e32 v6, v2, v5
	buffer_store_dword v7, off, s[0:3], 0 offset:80
	buffer_store_dword v6, off, s[0:3], 0 offset:84
.LBB44_55:
	s_or_b32 exec_lo, exec_lo, s4
	s_waitcnt_vscnt null, 0x0
	s_barrier
	buffer_gl0_inv
	s_clause 0x1
	buffer_load_dword v5, off, s[0:3], 0 offset:88
	buffer_load_dword v6, off, s[0:3], 0 offset:92
	s_mov_b32 s4, exec_lo
	s_waitcnt vmcnt(0)
	ds_write_b64 v4, v[5:6]
	s_waitcnt lgkmcnt(0)
	s_barrier
	buffer_gl0_inv
	v_cmpx_gt_u32_e32 11, v0
	s_cbranch_execz .LBB44_59
; %bb.56:
	v_add_nc_u32_e32 v5, -1, v0
	v_add_nc_u32_e32 v6, 0x170, v3
	v_mov_b32_e32 v7, v3
	v_mov_b32_e32 v2, 0
	;; [unrolled: 1-line block ×3, first 2 shown]
	s_mov_b32 s5, 0
	.p2align	6
.LBB44_57:                              ; =>This Inner Loop Header: Depth=1
	s_clause 0x1
	buffer_load_dword v101, v7, s[0:3], 0 offen offset:4
	buffer_load_dword v102, v7, s[0:3], 0 offen
	ds_read_b64 v[99:100], v6
	v_add_nc_u32_e32 v5, 1, v5
	v_add_nc_u32_e32 v6, 8, v6
	;; [unrolled: 1-line block ×3, first 2 shown]
	v_cmp_lt_u32_e32 vcc_lo, 9, v5
	s_or_b32 s5, vcc_lo, s5
	s_waitcnt vmcnt(1) lgkmcnt(0)
	v_mul_f32_e32 v103, v100, v101
	v_mul_f32_e32 v101, v99, v101
	s_waitcnt vmcnt(0)
	v_fma_f32 v99, v99, v102, -v103
	v_fmac_f32_e32 v101, v100, v102
	v_add_f32_e32 v8, v8, v99
	v_add_f32_e32 v2, v2, v101
	s_andn2_b32 exec_lo, exec_lo, s5
	s_cbranch_execnz .LBB44_57
; %bb.58:
	s_or_b32 exec_lo, exec_lo, s5
	v_mov_b32_e32 v5, 0
	ds_read_b64 v[5:6], v5 offset:88
	s_waitcnt lgkmcnt(0)
	v_mul_f32_e32 v7, v2, v6
	v_mul_f32_e32 v6, v8, v6
	v_fma_f32 v7, v8, v5, -v7
	v_fmac_f32_e32 v6, v2, v5
	buffer_store_dword v7, off, s[0:3], 0 offset:88
	buffer_store_dword v6, off, s[0:3], 0 offset:92
.LBB44_59:
	s_or_b32 exec_lo, exec_lo, s4
	s_waitcnt_vscnt null, 0x0
	s_barrier
	buffer_gl0_inv
	s_clause 0x1
	buffer_load_dword v5, off, s[0:3], 0 offset:96
	buffer_load_dword v6, off, s[0:3], 0 offset:100
	s_mov_b32 s4, exec_lo
	s_waitcnt vmcnt(0)
	ds_write_b64 v4, v[5:6]
	s_waitcnt lgkmcnt(0)
	s_barrier
	buffer_gl0_inv
	v_cmpx_gt_u32_e32 12, v0
	s_cbranch_execz .LBB44_63
; %bb.60:
	v_add_nc_u32_e32 v5, -1, v0
	v_add_nc_u32_e32 v6, 0x170, v3
	v_mov_b32_e32 v7, v3
	v_mov_b32_e32 v2, 0
	;; [unrolled: 1-line block ×3, first 2 shown]
	s_mov_b32 s5, 0
	.p2align	6
.LBB44_61:                              ; =>This Inner Loop Header: Depth=1
	s_clause 0x1
	buffer_load_dword v101, v7, s[0:3], 0 offen offset:4
	buffer_load_dword v102, v7, s[0:3], 0 offen
	ds_read_b64 v[99:100], v6
	v_add_nc_u32_e32 v5, 1, v5
	v_add_nc_u32_e32 v6, 8, v6
	;; [unrolled: 1-line block ×3, first 2 shown]
	v_cmp_lt_u32_e32 vcc_lo, 10, v5
	s_or_b32 s5, vcc_lo, s5
	s_waitcnt vmcnt(1) lgkmcnt(0)
	v_mul_f32_e32 v103, v100, v101
	v_mul_f32_e32 v101, v99, v101
	s_waitcnt vmcnt(0)
	v_fma_f32 v99, v99, v102, -v103
	v_fmac_f32_e32 v101, v100, v102
	v_add_f32_e32 v8, v8, v99
	v_add_f32_e32 v2, v2, v101
	s_andn2_b32 exec_lo, exec_lo, s5
	s_cbranch_execnz .LBB44_61
; %bb.62:
	s_or_b32 exec_lo, exec_lo, s5
	v_mov_b32_e32 v5, 0
	ds_read_b64 v[5:6], v5 offset:96
	s_waitcnt lgkmcnt(0)
	v_mul_f32_e32 v7, v2, v6
	v_mul_f32_e32 v6, v8, v6
	v_fma_f32 v7, v8, v5, -v7
	v_fmac_f32_e32 v6, v2, v5
	buffer_store_dword v7, off, s[0:3], 0 offset:96
	buffer_store_dword v6, off, s[0:3], 0 offset:100
.LBB44_63:
	s_or_b32 exec_lo, exec_lo, s4
	s_waitcnt_vscnt null, 0x0
	s_barrier
	buffer_gl0_inv
	s_clause 0x1
	buffer_load_dword v5, off, s[0:3], 0 offset:104
	buffer_load_dword v6, off, s[0:3], 0 offset:108
	s_mov_b32 s4, exec_lo
	s_waitcnt vmcnt(0)
	ds_write_b64 v4, v[5:6]
	s_waitcnt lgkmcnt(0)
	s_barrier
	buffer_gl0_inv
	v_cmpx_gt_u32_e32 13, v0
	s_cbranch_execz .LBB44_67
; %bb.64:
	v_add_nc_u32_e32 v5, -1, v0
	v_add_nc_u32_e32 v6, 0x170, v3
	v_mov_b32_e32 v7, v3
	v_mov_b32_e32 v2, 0
	;; [unrolled: 1-line block ×3, first 2 shown]
	s_mov_b32 s5, 0
	.p2align	6
.LBB44_65:                              ; =>This Inner Loop Header: Depth=1
	s_clause 0x1
	buffer_load_dword v101, v7, s[0:3], 0 offen offset:4
	buffer_load_dword v102, v7, s[0:3], 0 offen
	ds_read_b64 v[99:100], v6
	v_add_nc_u32_e32 v5, 1, v5
	v_add_nc_u32_e32 v6, 8, v6
	v_add_nc_u32_e32 v7, 8, v7
	v_cmp_lt_u32_e32 vcc_lo, 11, v5
	s_or_b32 s5, vcc_lo, s5
	s_waitcnt vmcnt(1) lgkmcnt(0)
	v_mul_f32_e32 v103, v100, v101
	v_mul_f32_e32 v101, v99, v101
	s_waitcnt vmcnt(0)
	v_fma_f32 v99, v99, v102, -v103
	v_fmac_f32_e32 v101, v100, v102
	v_add_f32_e32 v8, v8, v99
	v_add_f32_e32 v2, v2, v101
	s_andn2_b32 exec_lo, exec_lo, s5
	s_cbranch_execnz .LBB44_65
; %bb.66:
	s_or_b32 exec_lo, exec_lo, s5
	v_mov_b32_e32 v5, 0
	ds_read_b64 v[5:6], v5 offset:104
	s_waitcnt lgkmcnt(0)
	v_mul_f32_e32 v7, v2, v6
	v_mul_f32_e32 v6, v8, v6
	v_fma_f32 v7, v8, v5, -v7
	v_fmac_f32_e32 v6, v2, v5
	buffer_store_dword v7, off, s[0:3], 0 offset:104
	buffer_store_dword v6, off, s[0:3], 0 offset:108
.LBB44_67:
	s_or_b32 exec_lo, exec_lo, s4
	s_waitcnt_vscnt null, 0x0
	s_barrier
	buffer_gl0_inv
	s_clause 0x1
	buffer_load_dword v5, off, s[0:3], 0 offset:112
	buffer_load_dword v6, off, s[0:3], 0 offset:116
	s_mov_b32 s4, exec_lo
	s_waitcnt vmcnt(0)
	ds_write_b64 v4, v[5:6]
	s_waitcnt lgkmcnt(0)
	s_barrier
	buffer_gl0_inv
	v_cmpx_gt_u32_e32 14, v0
	s_cbranch_execz .LBB44_71
; %bb.68:
	v_add_nc_u32_e32 v5, -1, v0
	v_add_nc_u32_e32 v6, 0x170, v3
	v_mov_b32_e32 v7, v3
	v_mov_b32_e32 v2, 0
	;; [unrolled: 1-line block ×3, first 2 shown]
	s_mov_b32 s5, 0
	.p2align	6
.LBB44_69:                              ; =>This Inner Loop Header: Depth=1
	s_clause 0x1
	buffer_load_dword v101, v7, s[0:3], 0 offen offset:4
	buffer_load_dword v102, v7, s[0:3], 0 offen
	ds_read_b64 v[99:100], v6
	v_add_nc_u32_e32 v5, 1, v5
	v_add_nc_u32_e32 v6, 8, v6
	v_add_nc_u32_e32 v7, 8, v7
	v_cmp_lt_u32_e32 vcc_lo, 12, v5
	s_or_b32 s5, vcc_lo, s5
	s_waitcnt vmcnt(1) lgkmcnt(0)
	v_mul_f32_e32 v103, v100, v101
	v_mul_f32_e32 v101, v99, v101
	s_waitcnt vmcnt(0)
	v_fma_f32 v99, v99, v102, -v103
	v_fmac_f32_e32 v101, v100, v102
	v_add_f32_e32 v8, v8, v99
	v_add_f32_e32 v2, v2, v101
	s_andn2_b32 exec_lo, exec_lo, s5
	s_cbranch_execnz .LBB44_69
; %bb.70:
	s_or_b32 exec_lo, exec_lo, s5
	v_mov_b32_e32 v5, 0
	ds_read_b64 v[5:6], v5 offset:112
	s_waitcnt lgkmcnt(0)
	v_mul_f32_e32 v7, v2, v6
	v_mul_f32_e32 v6, v8, v6
	v_fma_f32 v7, v8, v5, -v7
	v_fmac_f32_e32 v6, v2, v5
	buffer_store_dword v7, off, s[0:3], 0 offset:112
	buffer_store_dword v6, off, s[0:3], 0 offset:116
.LBB44_71:
	s_or_b32 exec_lo, exec_lo, s4
	s_waitcnt_vscnt null, 0x0
	s_barrier
	buffer_gl0_inv
	s_clause 0x1
	buffer_load_dword v5, off, s[0:3], 0 offset:120
	buffer_load_dword v6, off, s[0:3], 0 offset:124
	s_mov_b32 s4, exec_lo
	s_waitcnt vmcnt(0)
	ds_write_b64 v4, v[5:6]
	s_waitcnt lgkmcnt(0)
	s_barrier
	buffer_gl0_inv
	v_cmpx_gt_u32_e32 15, v0
	s_cbranch_execz .LBB44_75
; %bb.72:
	v_add_nc_u32_e32 v5, -1, v0
	v_add_nc_u32_e32 v6, 0x170, v3
	v_mov_b32_e32 v7, v3
	v_mov_b32_e32 v2, 0
	;; [unrolled: 1-line block ×3, first 2 shown]
	s_mov_b32 s5, 0
	.p2align	6
.LBB44_73:                              ; =>This Inner Loop Header: Depth=1
	s_clause 0x1
	buffer_load_dword v101, v7, s[0:3], 0 offen offset:4
	buffer_load_dword v102, v7, s[0:3], 0 offen
	ds_read_b64 v[99:100], v6
	v_add_nc_u32_e32 v5, 1, v5
	v_add_nc_u32_e32 v6, 8, v6
	;; [unrolled: 1-line block ×3, first 2 shown]
	v_cmp_lt_u32_e32 vcc_lo, 13, v5
	s_or_b32 s5, vcc_lo, s5
	s_waitcnt vmcnt(1) lgkmcnt(0)
	v_mul_f32_e32 v103, v100, v101
	v_mul_f32_e32 v101, v99, v101
	s_waitcnt vmcnt(0)
	v_fma_f32 v99, v99, v102, -v103
	v_fmac_f32_e32 v101, v100, v102
	v_add_f32_e32 v8, v8, v99
	v_add_f32_e32 v2, v2, v101
	s_andn2_b32 exec_lo, exec_lo, s5
	s_cbranch_execnz .LBB44_73
; %bb.74:
	s_or_b32 exec_lo, exec_lo, s5
	v_mov_b32_e32 v5, 0
	ds_read_b64 v[5:6], v5 offset:120
	s_waitcnt lgkmcnt(0)
	v_mul_f32_e32 v7, v2, v6
	v_mul_f32_e32 v6, v8, v6
	v_fma_f32 v7, v8, v5, -v7
	v_fmac_f32_e32 v6, v2, v5
	buffer_store_dword v7, off, s[0:3], 0 offset:120
	buffer_store_dword v6, off, s[0:3], 0 offset:124
.LBB44_75:
	s_or_b32 exec_lo, exec_lo, s4
	s_waitcnt_vscnt null, 0x0
	s_barrier
	buffer_gl0_inv
	s_clause 0x1
	buffer_load_dword v5, off, s[0:3], 0 offset:128
	buffer_load_dword v6, off, s[0:3], 0 offset:132
	s_mov_b32 s4, exec_lo
	s_waitcnt vmcnt(0)
	ds_write_b64 v4, v[5:6]
	s_waitcnt lgkmcnt(0)
	s_barrier
	buffer_gl0_inv
	v_cmpx_gt_u32_e32 16, v0
	s_cbranch_execz .LBB44_79
; %bb.76:
	v_add_nc_u32_e32 v5, -1, v0
	v_add_nc_u32_e32 v6, 0x170, v3
	v_mov_b32_e32 v7, v3
	v_mov_b32_e32 v2, 0
	;; [unrolled: 1-line block ×3, first 2 shown]
	s_mov_b32 s5, 0
	.p2align	6
.LBB44_77:                              ; =>This Inner Loop Header: Depth=1
	s_clause 0x1
	buffer_load_dword v101, v7, s[0:3], 0 offen offset:4
	buffer_load_dword v102, v7, s[0:3], 0 offen
	ds_read_b64 v[99:100], v6
	v_add_nc_u32_e32 v5, 1, v5
	v_add_nc_u32_e32 v6, 8, v6
	;; [unrolled: 1-line block ×3, first 2 shown]
	v_cmp_lt_u32_e32 vcc_lo, 14, v5
	s_or_b32 s5, vcc_lo, s5
	s_waitcnt vmcnt(1) lgkmcnt(0)
	v_mul_f32_e32 v103, v100, v101
	v_mul_f32_e32 v101, v99, v101
	s_waitcnt vmcnt(0)
	v_fma_f32 v99, v99, v102, -v103
	v_fmac_f32_e32 v101, v100, v102
	v_add_f32_e32 v8, v8, v99
	v_add_f32_e32 v2, v2, v101
	s_andn2_b32 exec_lo, exec_lo, s5
	s_cbranch_execnz .LBB44_77
; %bb.78:
	s_or_b32 exec_lo, exec_lo, s5
	v_mov_b32_e32 v5, 0
	ds_read_b64 v[5:6], v5 offset:128
	s_waitcnt lgkmcnt(0)
	v_mul_f32_e32 v7, v2, v6
	v_mul_f32_e32 v6, v8, v6
	v_fma_f32 v7, v8, v5, -v7
	v_fmac_f32_e32 v6, v2, v5
	buffer_store_dword v7, off, s[0:3], 0 offset:128
	buffer_store_dword v6, off, s[0:3], 0 offset:132
.LBB44_79:
	s_or_b32 exec_lo, exec_lo, s4
	s_waitcnt_vscnt null, 0x0
	s_barrier
	buffer_gl0_inv
	s_clause 0x1
	buffer_load_dword v5, off, s[0:3], 0 offset:136
	buffer_load_dword v6, off, s[0:3], 0 offset:140
	s_mov_b32 s4, exec_lo
	s_waitcnt vmcnt(0)
	ds_write_b64 v4, v[5:6]
	s_waitcnt lgkmcnt(0)
	s_barrier
	buffer_gl0_inv
	v_cmpx_gt_u32_e32 17, v0
	s_cbranch_execz .LBB44_83
; %bb.80:
	v_add_nc_u32_e32 v5, -1, v0
	v_add_nc_u32_e32 v6, 0x170, v3
	v_mov_b32_e32 v7, v3
	v_mov_b32_e32 v2, 0
	;; [unrolled: 1-line block ×3, first 2 shown]
	s_mov_b32 s5, 0
	.p2align	6
.LBB44_81:                              ; =>This Inner Loop Header: Depth=1
	s_clause 0x1
	buffer_load_dword v101, v7, s[0:3], 0 offen offset:4
	buffer_load_dword v102, v7, s[0:3], 0 offen
	ds_read_b64 v[99:100], v6
	v_add_nc_u32_e32 v5, 1, v5
	v_add_nc_u32_e32 v6, 8, v6
	;; [unrolled: 1-line block ×3, first 2 shown]
	v_cmp_lt_u32_e32 vcc_lo, 15, v5
	s_or_b32 s5, vcc_lo, s5
	s_waitcnt vmcnt(1) lgkmcnt(0)
	v_mul_f32_e32 v103, v100, v101
	v_mul_f32_e32 v101, v99, v101
	s_waitcnt vmcnt(0)
	v_fma_f32 v99, v99, v102, -v103
	v_fmac_f32_e32 v101, v100, v102
	v_add_f32_e32 v8, v8, v99
	v_add_f32_e32 v2, v2, v101
	s_andn2_b32 exec_lo, exec_lo, s5
	s_cbranch_execnz .LBB44_81
; %bb.82:
	s_or_b32 exec_lo, exec_lo, s5
	v_mov_b32_e32 v5, 0
	ds_read_b64 v[5:6], v5 offset:136
	s_waitcnt lgkmcnt(0)
	v_mul_f32_e32 v7, v2, v6
	v_mul_f32_e32 v6, v8, v6
	v_fma_f32 v7, v8, v5, -v7
	v_fmac_f32_e32 v6, v2, v5
	buffer_store_dword v7, off, s[0:3], 0 offset:136
	buffer_store_dword v6, off, s[0:3], 0 offset:140
.LBB44_83:
	s_or_b32 exec_lo, exec_lo, s4
	s_waitcnt_vscnt null, 0x0
	s_barrier
	buffer_gl0_inv
	s_clause 0x1
	buffer_load_dword v5, off, s[0:3], 0 offset:144
	buffer_load_dword v6, off, s[0:3], 0 offset:148
	s_mov_b32 s4, exec_lo
	s_waitcnt vmcnt(0)
	ds_write_b64 v4, v[5:6]
	s_waitcnt lgkmcnt(0)
	s_barrier
	buffer_gl0_inv
	v_cmpx_gt_u32_e32 18, v0
	s_cbranch_execz .LBB44_87
; %bb.84:
	v_add_nc_u32_e32 v5, -1, v0
	v_add_nc_u32_e32 v6, 0x170, v3
	v_mov_b32_e32 v7, v3
	v_mov_b32_e32 v2, 0
	;; [unrolled: 1-line block ×3, first 2 shown]
	s_mov_b32 s5, 0
	.p2align	6
.LBB44_85:                              ; =>This Inner Loop Header: Depth=1
	s_clause 0x1
	buffer_load_dword v101, v7, s[0:3], 0 offen offset:4
	buffer_load_dword v102, v7, s[0:3], 0 offen
	ds_read_b64 v[99:100], v6
	v_add_nc_u32_e32 v5, 1, v5
	v_add_nc_u32_e32 v6, 8, v6
	;; [unrolled: 1-line block ×3, first 2 shown]
	v_cmp_lt_u32_e32 vcc_lo, 16, v5
	s_or_b32 s5, vcc_lo, s5
	s_waitcnt vmcnt(1) lgkmcnt(0)
	v_mul_f32_e32 v103, v100, v101
	v_mul_f32_e32 v101, v99, v101
	s_waitcnt vmcnt(0)
	v_fma_f32 v99, v99, v102, -v103
	v_fmac_f32_e32 v101, v100, v102
	v_add_f32_e32 v8, v8, v99
	v_add_f32_e32 v2, v2, v101
	s_andn2_b32 exec_lo, exec_lo, s5
	s_cbranch_execnz .LBB44_85
; %bb.86:
	s_or_b32 exec_lo, exec_lo, s5
	v_mov_b32_e32 v5, 0
	ds_read_b64 v[5:6], v5 offset:144
	s_waitcnt lgkmcnt(0)
	v_mul_f32_e32 v7, v2, v6
	v_mul_f32_e32 v6, v8, v6
	v_fma_f32 v7, v8, v5, -v7
	v_fmac_f32_e32 v6, v2, v5
	buffer_store_dword v7, off, s[0:3], 0 offset:144
	buffer_store_dword v6, off, s[0:3], 0 offset:148
.LBB44_87:
	s_or_b32 exec_lo, exec_lo, s4
	s_waitcnt_vscnt null, 0x0
	s_barrier
	buffer_gl0_inv
	s_clause 0x1
	buffer_load_dword v5, off, s[0:3], 0 offset:152
	buffer_load_dword v6, off, s[0:3], 0 offset:156
	s_mov_b32 s4, exec_lo
	s_waitcnt vmcnt(0)
	ds_write_b64 v4, v[5:6]
	s_waitcnt lgkmcnt(0)
	s_barrier
	buffer_gl0_inv
	v_cmpx_gt_u32_e32 19, v0
	s_cbranch_execz .LBB44_91
; %bb.88:
	v_add_nc_u32_e32 v5, -1, v0
	v_add_nc_u32_e32 v6, 0x170, v3
	v_mov_b32_e32 v7, v3
	v_mov_b32_e32 v2, 0
	;; [unrolled: 1-line block ×3, first 2 shown]
	s_mov_b32 s5, 0
	.p2align	6
.LBB44_89:                              ; =>This Inner Loop Header: Depth=1
	s_clause 0x1
	buffer_load_dword v101, v7, s[0:3], 0 offen offset:4
	buffer_load_dword v102, v7, s[0:3], 0 offen
	ds_read_b64 v[99:100], v6
	v_add_nc_u32_e32 v5, 1, v5
	v_add_nc_u32_e32 v6, 8, v6
	;; [unrolled: 1-line block ×3, first 2 shown]
	v_cmp_lt_u32_e32 vcc_lo, 17, v5
	s_or_b32 s5, vcc_lo, s5
	s_waitcnt vmcnt(1) lgkmcnt(0)
	v_mul_f32_e32 v103, v100, v101
	v_mul_f32_e32 v101, v99, v101
	s_waitcnt vmcnt(0)
	v_fma_f32 v99, v99, v102, -v103
	v_fmac_f32_e32 v101, v100, v102
	v_add_f32_e32 v8, v8, v99
	v_add_f32_e32 v2, v2, v101
	s_andn2_b32 exec_lo, exec_lo, s5
	s_cbranch_execnz .LBB44_89
; %bb.90:
	s_or_b32 exec_lo, exec_lo, s5
	v_mov_b32_e32 v5, 0
	ds_read_b64 v[5:6], v5 offset:152
	s_waitcnt lgkmcnt(0)
	v_mul_f32_e32 v7, v2, v6
	v_mul_f32_e32 v6, v8, v6
	v_fma_f32 v7, v8, v5, -v7
	v_fmac_f32_e32 v6, v2, v5
	buffer_store_dword v7, off, s[0:3], 0 offset:152
	buffer_store_dword v6, off, s[0:3], 0 offset:156
.LBB44_91:
	s_or_b32 exec_lo, exec_lo, s4
	s_waitcnt_vscnt null, 0x0
	s_barrier
	buffer_gl0_inv
	s_clause 0x1
	buffer_load_dword v5, off, s[0:3], 0 offset:160
	buffer_load_dword v6, off, s[0:3], 0 offset:164
	s_mov_b32 s4, exec_lo
	s_waitcnt vmcnt(0)
	ds_write_b64 v4, v[5:6]
	s_waitcnt lgkmcnt(0)
	s_barrier
	buffer_gl0_inv
	v_cmpx_gt_u32_e32 20, v0
	s_cbranch_execz .LBB44_95
; %bb.92:
	v_add_nc_u32_e32 v5, -1, v0
	v_add_nc_u32_e32 v6, 0x170, v3
	v_mov_b32_e32 v7, v3
	v_mov_b32_e32 v2, 0
	;; [unrolled: 1-line block ×3, first 2 shown]
	s_mov_b32 s5, 0
	.p2align	6
.LBB44_93:                              ; =>This Inner Loop Header: Depth=1
	s_clause 0x1
	buffer_load_dword v101, v7, s[0:3], 0 offen offset:4
	buffer_load_dword v102, v7, s[0:3], 0 offen
	ds_read_b64 v[99:100], v6
	v_add_nc_u32_e32 v5, 1, v5
	v_add_nc_u32_e32 v6, 8, v6
	;; [unrolled: 1-line block ×3, first 2 shown]
	v_cmp_lt_u32_e32 vcc_lo, 18, v5
	s_or_b32 s5, vcc_lo, s5
	s_waitcnt vmcnt(1) lgkmcnt(0)
	v_mul_f32_e32 v103, v100, v101
	v_mul_f32_e32 v101, v99, v101
	s_waitcnt vmcnt(0)
	v_fma_f32 v99, v99, v102, -v103
	v_fmac_f32_e32 v101, v100, v102
	v_add_f32_e32 v8, v8, v99
	v_add_f32_e32 v2, v2, v101
	s_andn2_b32 exec_lo, exec_lo, s5
	s_cbranch_execnz .LBB44_93
; %bb.94:
	s_or_b32 exec_lo, exec_lo, s5
	v_mov_b32_e32 v5, 0
	ds_read_b64 v[5:6], v5 offset:160
	s_waitcnt lgkmcnt(0)
	v_mul_f32_e32 v7, v2, v6
	v_mul_f32_e32 v6, v8, v6
	v_fma_f32 v7, v8, v5, -v7
	v_fmac_f32_e32 v6, v2, v5
	buffer_store_dword v7, off, s[0:3], 0 offset:160
	buffer_store_dword v6, off, s[0:3], 0 offset:164
.LBB44_95:
	s_or_b32 exec_lo, exec_lo, s4
	s_waitcnt_vscnt null, 0x0
	s_barrier
	buffer_gl0_inv
	s_clause 0x1
	buffer_load_dword v5, off, s[0:3], 0 offset:168
	buffer_load_dword v6, off, s[0:3], 0 offset:172
	s_mov_b32 s4, exec_lo
	s_waitcnt vmcnt(0)
	ds_write_b64 v4, v[5:6]
	s_waitcnt lgkmcnt(0)
	s_barrier
	buffer_gl0_inv
	v_cmpx_gt_u32_e32 21, v0
	s_cbranch_execz .LBB44_99
; %bb.96:
	v_add_nc_u32_e32 v5, -1, v0
	v_add_nc_u32_e32 v6, 0x170, v3
	v_mov_b32_e32 v7, v3
	v_mov_b32_e32 v2, 0
	;; [unrolled: 1-line block ×3, first 2 shown]
	s_mov_b32 s5, 0
	.p2align	6
.LBB44_97:                              ; =>This Inner Loop Header: Depth=1
	s_clause 0x1
	buffer_load_dword v101, v7, s[0:3], 0 offen offset:4
	buffer_load_dword v102, v7, s[0:3], 0 offen
	ds_read_b64 v[99:100], v6
	v_add_nc_u32_e32 v5, 1, v5
	v_add_nc_u32_e32 v6, 8, v6
	;; [unrolled: 1-line block ×3, first 2 shown]
	v_cmp_lt_u32_e32 vcc_lo, 19, v5
	s_or_b32 s5, vcc_lo, s5
	s_waitcnt vmcnt(1) lgkmcnt(0)
	v_mul_f32_e32 v103, v100, v101
	v_mul_f32_e32 v101, v99, v101
	s_waitcnt vmcnt(0)
	v_fma_f32 v99, v99, v102, -v103
	v_fmac_f32_e32 v101, v100, v102
	v_add_f32_e32 v8, v8, v99
	v_add_f32_e32 v2, v2, v101
	s_andn2_b32 exec_lo, exec_lo, s5
	s_cbranch_execnz .LBB44_97
; %bb.98:
	s_or_b32 exec_lo, exec_lo, s5
	v_mov_b32_e32 v5, 0
	ds_read_b64 v[5:6], v5 offset:168
	s_waitcnt lgkmcnt(0)
	v_mul_f32_e32 v7, v2, v6
	v_mul_f32_e32 v6, v8, v6
	v_fma_f32 v7, v8, v5, -v7
	v_fmac_f32_e32 v6, v2, v5
	buffer_store_dword v7, off, s[0:3], 0 offset:168
	buffer_store_dword v6, off, s[0:3], 0 offset:172
.LBB44_99:
	s_or_b32 exec_lo, exec_lo, s4
	s_waitcnt_vscnt null, 0x0
	s_barrier
	buffer_gl0_inv
	s_clause 0x1
	buffer_load_dword v5, off, s[0:3], 0 offset:176
	buffer_load_dword v6, off, s[0:3], 0 offset:180
	s_mov_b32 s4, exec_lo
	s_waitcnt vmcnt(0)
	ds_write_b64 v4, v[5:6]
	s_waitcnt lgkmcnt(0)
	s_barrier
	buffer_gl0_inv
	v_cmpx_gt_u32_e32 22, v0
	s_cbranch_execz .LBB44_103
; %bb.100:
	v_add_nc_u32_e32 v5, -1, v0
	v_add_nc_u32_e32 v6, 0x170, v3
	v_mov_b32_e32 v7, v3
	v_mov_b32_e32 v2, 0
	;; [unrolled: 1-line block ×3, first 2 shown]
	s_mov_b32 s5, 0
	.p2align	6
.LBB44_101:                             ; =>This Inner Loop Header: Depth=1
	s_clause 0x1
	buffer_load_dword v101, v7, s[0:3], 0 offen offset:4
	buffer_load_dword v102, v7, s[0:3], 0 offen
	ds_read_b64 v[99:100], v6
	v_add_nc_u32_e32 v5, 1, v5
	v_add_nc_u32_e32 v6, 8, v6
	;; [unrolled: 1-line block ×3, first 2 shown]
	v_cmp_lt_u32_e32 vcc_lo, 20, v5
	s_or_b32 s5, vcc_lo, s5
	s_waitcnt vmcnt(1) lgkmcnt(0)
	v_mul_f32_e32 v103, v100, v101
	v_mul_f32_e32 v101, v99, v101
	s_waitcnt vmcnt(0)
	v_fma_f32 v99, v99, v102, -v103
	v_fmac_f32_e32 v101, v100, v102
	v_add_f32_e32 v8, v8, v99
	v_add_f32_e32 v2, v2, v101
	s_andn2_b32 exec_lo, exec_lo, s5
	s_cbranch_execnz .LBB44_101
; %bb.102:
	s_or_b32 exec_lo, exec_lo, s5
	v_mov_b32_e32 v5, 0
	ds_read_b64 v[5:6], v5 offset:176
	s_waitcnt lgkmcnt(0)
	v_mul_f32_e32 v7, v2, v6
	v_mul_f32_e32 v6, v8, v6
	v_fma_f32 v7, v8, v5, -v7
	v_fmac_f32_e32 v6, v2, v5
	buffer_store_dword v7, off, s[0:3], 0 offset:176
	buffer_store_dword v6, off, s[0:3], 0 offset:180
.LBB44_103:
	s_or_b32 exec_lo, exec_lo, s4
	s_waitcnt_vscnt null, 0x0
	s_barrier
	buffer_gl0_inv
	s_clause 0x1
	buffer_load_dword v5, off, s[0:3], 0 offset:184
	buffer_load_dword v6, off, s[0:3], 0 offset:188
	s_mov_b32 s4, exec_lo
	s_waitcnt vmcnt(0)
	ds_write_b64 v4, v[5:6]
	s_waitcnt lgkmcnt(0)
	s_barrier
	buffer_gl0_inv
	v_cmpx_gt_u32_e32 23, v0
	s_cbranch_execz .LBB44_107
; %bb.104:
	v_add_nc_u32_e32 v5, -1, v0
	v_add_nc_u32_e32 v6, 0x170, v3
	v_mov_b32_e32 v7, v3
	v_mov_b32_e32 v2, 0
	;; [unrolled: 1-line block ×3, first 2 shown]
	s_mov_b32 s5, 0
	.p2align	6
.LBB44_105:                             ; =>This Inner Loop Header: Depth=1
	s_clause 0x1
	buffer_load_dword v101, v7, s[0:3], 0 offen offset:4
	buffer_load_dword v102, v7, s[0:3], 0 offen
	ds_read_b64 v[99:100], v6
	v_add_nc_u32_e32 v5, 1, v5
	v_add_nc_u32_e32 v6, 8, v6
	;; [unrolled: 1-line block ×3, first 2 shown]
	v_cmp_lt_u32_e32 vcc_lo, 21, v5
	s_or_b32 s5, vcc_lo, s5
	s_waitcnt vmcnt(1) lgkmcnt(0)
	v_mul_f32_e32 v103, v100, v101
	v_mul_f32_e32 v101, v99, v101
	s_waitcnt vmcnt(0)
	v_fma_f32 v99, v99, v102, -v103
	v_fmac_f32_e32 v101, v100, v102
	v_add_f32_e32 v8, v8, v99
	v_add_f32_e32 v2, v2, v101
	s_andn2_b32 exec_lo, exec_lo, s5
	s_cbranch_execnz .LBB44_105
; %bb.106:
	s_or_b32 exec_lo, exec_lo, s5
	v_mov_b32_e32 v5, 0
	ds_read_b64 v[5:6], v5 offset:184
	s_waitcnt lgkmcnt(0)
	v_mul_f32_e32 v7, v2, v6
	v_mul_f32_e32 v6, v8, v6
	v_fma_f32 v7, v8, v5, -v7
	v_fmac_f32_e32 v6, v2, v5
	buffer_store_dword v7, off, s[0:3], 0 offset:184
	buffer_store_dword v6, off, s[0:3], 0 offset:188
.LBB44_107:
	s_or_b32 exec_lo, exec_lo, s4
	s_waitcnt_vscnt null, 0x0
	s_barrier
	buffer_gl0_inv
	s_clause 0x1
	buffer_load_dword v5, off, s[0:3], 0 offset:192
	buffer_load_dword v6, off, s[0:3], 0 offset:196
	s_mov_b32 s4, exec_lo
	s_waitcnt vmcnt(0)
	ds_write_b64 v4, v[5:6]
	s_waitcnt lgkmcnt(0)
	s_barrier
	buffer_gl0_inv
	v_cmpx_gt_u32_e32 24, v0
	s_cbranch_execz .LBB44_111
; %bb.108:
	v_add_nc_u32_e32 v5, -1, v0
	v_add_nc_u32_e32 v6, 0x170, v3
	v_mov_b32_e32 v7, v3
	v_mov_b32_e32 v2, 0
	;; [unrolled: 1-line block ×3, first 2 shown]
	s_mov_b32 s5, 0
	.p2align	6
.LBB44_109:                             ; =>This Inner Loop Header: Depth=1
	s_clause 0x1
	buffer_load_dword v101, v7, s[0:3], 0 offen offset:4
	buffer_load_dword v102, v7, s[0:3], 0 offen
	ds_read_b64 v[99:100], v6
	v_add_nc_u32_e32 v5, 1, v5
	v_add_nc_u32_e32 v6, 8, v6
	;; [unrolled: 1-line block ×3, first 2 shown]
	v_cmp_lt_u32_e32 vcc_lo, 22, v5
	s_or_b32 s5, vcc_lo, s5
	s_waitcnt vmcnt(1) lgkmcnt(0)
	v_mul_f32_e32 v103, v100, v101
	v_mul_f32_e32 v101, v99, v101
	s_waitcnt vmcnt(0)
	v_fma_f32 v99, v99, v102, -v103
	v_fmac_f32_e32 v101, v100, v102
	v_add_f32_e32 v8, v8, v99
	v_add_f32_e32 v2, v2, v101
	s_andn2_b32 exec_lo, exec_lo, s5
	s_cbranch_execnz .LBB44_109
; %bb.110:
	s_or_b32 exec_lo, exec_lo, s5
	v_mov_b32_e32 v5, 0
	ds_read_b64 v[5:6], v5 offset:192
	s_waitcnt lgkmcnt(0)
	v_mul_f32_e32 v7, v2, v6
	v_mul_f32_e32 v6, v8, v6
	v_fma_f32 v7, v8, v5, -v7
	v_fmac_f32_e32 v6, v2, v5
	buffer_store_dword v7, off, s[0:3], 0 offset:192
	buffer_store_dword v6, off, s[0:3], 0 offset:196
.LBB44_111:
	s_or_b32 exec_lo, exec_lo, s4
	s_waitcnt_vscnt null, 0x0
	s_barrier
	buffer_gl0_inv
	s_clause 0x1
	buffer_load_dword v5, off, s[0:3], 0 offset:200
	buffer_load_dword v6, off, s[0:3], 0 offset:204
	s_mov_b32 s4, exec_lo
	s_waitcnt vmcnt(0)
	ds_write_b64 v4, v[5:6]
	s_waitcnt lgkmcnt(0)
	s_barrier
	buffer_gl0_inv
	v_cmpx_gt_u32_e32 25, v0
	s_cbranch_execz .LBB44_115
; %bb.112:
	v_add_nc_u32_e32 v5, -1, v0
	v_add_nc_u32_e32 v6, 0x170, v3
	v_mov_b32_e32 v7, v3
	v_mov_b32_e32 v2, 0
	;; [unrolled: 1-line block ×3, first 2 shown]
	s_mov_b32 s5, 0
	.p2align	6
.LBB44_113:                             ; =>This Inner Loop Header: Depth=1
	s_clause 0x1
	buffer_load_dword v101, v7, s[0:3], 0 offen offset:4
	buffer_load_dword v102, v7, s[0:3], 0 offen
	ds_read_b64 v[99:100], v6
	v_add_nc_u32_e32 v5, 1, v5
	v_add_nc_u32_e32 v6, 8, v6
	;; [unrolled: 1-line block ×3, first 2 shown]
	v_cmp_lt_u32_e32 vcc_lo, 23, v5
	s_or_b32 s5, vcc_lo, s5
	s_waitcnt vmcnt(1) lgkmcnt(0)
	v_mul_f32_e32 v103, v100, v101
	v_mul_f32_e32 v101, v99, v101
	s_waitcnt vmcnt(0)
	v_fma_f32 v99, v99, v102, -v103
	v_fmac_f32_e32 v101, v100, v102
	v_add_f32_e32 v8, v8, v99
	v_add_f32_e32 v2, v2, v101
	s_andn2_b32 exec_lo, exec_lo, s5
	s_cbranch_execnz .LBB44_113
; %bb.114:
	s_or_b32 exec_lo, exec_lo, s5
	v_mov_b32_e32 v5, 0
	ds_read_b64 v[5:6], v5 offset:200
	s_waitcnt lgkmcnt(0)
	v_mul_f32_e32 v7, v2, v6
	v_mul_f32_e32 v6, v8, v6
	v_fma_f32 v7, v8, v5, -v7
	v_fmac_f32_e32 v6, v2, v5
	buffer_store_dword v7, off, s[0:3], 0 offset:200
	buffer_store_dword v6, off, s[0:3], 0 offset:204
.LBB44_115:
	s_or_b32 exec_lo, exec_lo, s4
	s_waitcnt_vscnt null, 0x0
	s_barrier
	buffer_gl0_inv
	s_clause 0x1
	buffer_load_dword v5, off, s[0:3], 0 offset:208
	buffer_load_dword v6, off, s[0:3], 0 offset:212
	s_mov_b32 s4, exec_lo
	s_waitcnt vmcnt(0)
	ds_write_b64 v4, v[5:6]
	s_waitcnt lgkmcnt(0)
	s_barrier
	buffer_gl0_inv
	v_cmpx_gt_u32_e32 26, v0
	s_cbranch_execz .LBB44_119
; %bb.116:
	v_add_nc_u32_e32 v5, -1, v0
	v_add_nc_u32_e32 v6, 0x170, v3
	v_mov_b32_e32 v7, v3
	v_mov_b32_e32 v2, 0
	;; [unrolled: 1-line block ×3, first 2 shown]
	s_mov_b32 s5, 0
	.p2align	6
.LBB44_117:                             ; =>This Inner Loop Header: Depth=1
	s_clause 0x1
	buffer_load_dword v101, v7, s[0:3], 0 offen offset:4
	buffer_load_dword v102, v7, s[0:3], 0 offen
	ds_read_b64 v[99:100], v6
	v_add_nc_u32_e32 v5, 1, v5
	v_add_nc_u32_e32 v6, 8, v6
	;; [unrolled: 1-line block ×3, first 2 shown]
	v_cmp_lt_u32_e32 vcc_lo, 24, v5
	s_or_b32 s5, vcc_lo, s5
	s_waitcnt vmcnt(1) lgkmcnt(0)
	v_mul_f32_e32 v103, v100, v101
	v_mul_f32_e32 v101, v99, v101
	s_waitcnt vmcnt(0)
	v_fma_f32 v99, v99, v102, -v103
	v_fmac_f32_e32 v101, v100, v102
	v_add_f32_e32 v8, v8, v99
	v_add_f32_e32 v2, v2, v101
	s_andn2_b32 exec_lo, exec_lo, s5
	s_cbranch_execnz .LBB44_117
; %bb.118:
	s_or_b32 exec_lo, exec_lo, s5
	v_mov_b32_e32 v5, 0
	ds_read_b64 v[5:6], v5 offset:208
	s_waitcnt lgkmcnt(0)
	v_mul_f32_e32 v7, v2, v6
	v_mul_f32_e32 v6, v8, v6
	v_fma_f32 v7, v8, v5, -v7
	v_fmac_f32_e32 v6, v2, v5
	buffer_store_dword v7, off, s[0:3], 0 offset:208
	buffer_store_dword v6, off, s[0:3], 0 offset:212
.LBB44_119:
	s_or_b32 exec_lo, exec_lo, s4
	s_waitcnt_vscnt null, 0x0
	s_barrier
	buffer_gl0_inv
	s_clause 0x1
	buffer_load_dword v5, off, s[0:3], 0 offset:216
	buffer_load_dword v6, off, s[0:3], 0 offset:220
	s_mov_b32 s4, exec_lo
	s_waitcnt vmcnt(0)
	ds_write_b64 v4, v[5:6]
	s_waitcnt lgkmcnt(0)
	s_barrier
	buffer_gl0_inv
	v_cmpx_gt_u32_e32 27, v0
	s_cbranch_execz .LBB44_123
; %bb.120:
	v_add_nc_u32_e32 v5, -1, v0
	v_add_nc_u32_e32 v6, 0x170, v3
	v_mov_b32_e32 v7, v3
	v_mov_b32_e32 v2, 0
	;; [unrolled: 1-line block ×3, first 2 shown]
	s_mov_b32 s5, 0
	.p2align	6
.LBB44_121:                             ; =>This Inner Loop Header: Depth=1
	s_clause 0x1
	buffer_load_dword v101, v7, s[0:3], 0 offen offset:4
	buffer_load_dword v102, v7, s[0:3], 0 offen
	ds_read_b64 v[99:100], v6
	v_add_nc_u32_e32 v5, 1, v5
	v_add_nc_u32_e32 v6, 8, v6
	;; [unrolled: 1-line block ×3, first 2 shown]
	v_cmp_lt_u32_e32 vcc_lo, 25, v5
	s_or_b32 s5, vcc_lo, s5
	s_waitcnt vmcnt(1) lgkmcnt(0)
	v_mul_f32_e32 v103, v100, v101
	v_mul_f32_e32 v101, v99, v101
	s_waitcnt vmcnt(0)
	v_fma_f32 v99, v99, v102, -v103
	v_fmac_f32_e32 v101, v100, v102
	v_add_f32_e32 v8, v8, v99
	v_add_f32_e32 v2, v2, v101
	s_andn2_b32 exec_lo, exec_lo, s5
	s_cbranch_execnz .LBB44_121
; %bb.122:
	s_or_b32 exec_lo, exec_lo, s5
	v_mov_b32_e32 v5, 0
	ds_read_b64 v[5:6], v5 offset:216
	s_waitcnt lgkmcnt(0)
	v_mul_f32_e32 v7, v2, v6
	v_mul_f32_e32 v6, v8, v6
	v_fma_f32 v7, v8, v5, -v7
	v_fmac_f32_e32 v6, v2, v5
	buffer_store_dword v7, off, s[0:3], 0 offset:216
	buffer_store_dword v6, off, s[0:3], 0 offset:220
.LBB44_123:
	s_or_b32 exec_lo, exec_lo, s4
	s_waitcnt_vscnt null, 0x0
	s_barrier
	buffer_gl0_inv
	s_clause 0x1
	buffer_load_dword v5, off, s[0:3], 0 offset:224
	buffer_load_dword v6, off, s[0:3], 0 offset:228
	s_mov_b32 s4, exec_lo
	s_waitcnt vmcnt(0)
	ds_write_b64 v4, v[5:6]
	s_waitcnt lgkmcnt(0)
	s_barrier
	buffer_gl0_inv
	v_cmpx_gt_u32_e32 28, v0
	s_cbranch_execz .LBB44_127
; %bb.124:
	v_add_nc_u32_e32 v5, -1, v0
	v_add_nc_u32_e32 v6, 0x170, v3
	v_mov_b32_e32 v7, v3
	v_mov_b32_e32 v2, 0
	;; [unrolled: 1-line block ×3, first 2 shown]
	s_mov_b32 s5, 0
	.p2align	6
.LBB44_125:                             ; =>This Inner Loop Header: Depth=1
	s_clause 0x1
	buffer_load_dword v101, v7, s[0:3], 0 offen offset:4
	buffer_load_dword v102, v7, s[0:3], 0 offen
	ds_read_b64 v[99:100], v6
	v_add_nc_u32_e32 v5, 1, v5
	v_add_nc_u32_e32 v6, 8, v6
	;; [unrolled: 1-line block ×3, first 2 shown]
	v_cmp_lt_u32_e32 vcc_lo, 26, v5
	s_or_b32 s5, vcc_lo, s5
	s_waitcnt vmcnt(1) lgkmcnt(0)
	v_mul_f32_e32 v103, v100, v101
	v_mul_f32_e32 v101, v99, v101
	s_waitcnt vmcnt(0)
	v_fma_f32 v99, v99, v102, -v103
	v_fmac_f32_e32 v101, v100, v102
	v_add_f32_e32 v8, v8, v99
	v_add_f32_e32 v2, v2, v101
	s_andn2_b32 exec_lo, exec_lo, s5
	s_cbranch_execnz .LBB44_125
; %bb.126:
	s_or_b32 exec_lo, exec_lo, s5
	v_mov_b32_e32 v5, 0
	ds_read_b64 v[5:6], v5 offset:224
	s_waitcnt lgkmcnt(0)
	v_mul_f32_e32 v7, v2, v6
	v_mul_f32_e32 v6, v8, v6
	v_fma_f32 v7, v8, v5, -v7
	v_fmac_f32_e32 v6, v2, v5
	buffer_store_dword v7, off, s[0:3], 0 offset:224
	buffer_store_dword v6, off, s[0:3], 0 offset:228
.LBB44_127:
	s_or_b32 exec_lo, exec_lo, s4
	s_waitcnt_vscnt null, 0x0
	s_barrier
	buffer_gl0_inv
	s_clause 0x1
	buffer_load_dword v5, off, s[0:3], 0 offset:232
	buffer_load_dword v6, off, s[0:3], 0 offset:236
	s_mov_b32 s4, exec_lo
	s_waitcnt vmcnt(0)
	ds_write_b64 v4, v[5:6]
	s_waitcnt lgkmcnt(0)
	s_barrier
	buffer_gl0_inv
	v_cmpx_gt_u32_e32 29, v0
	s_cbranch_execz .LBB44_131
; %bb.128:
	v_add_nc_u32_e32 v5, -1, v0
	v_add_nc_u32_e32 v6, 0x170, v3
	v_mov_b32_e32 v7, v3
	v_mov_b32_e32 v2, 0
	;; [unrolled: 1-line block ×3, first 2 shown]
	s_mov_b32 s5, 0
	.p2align	6
.LBB44_129:                             ; =>This Inner Loop Header: Depth=1
	s_clause 0x1
	buffer_load_dword v101, v7, s[0:3], 0 offen offset:4
	buffer_load_dword v102, v7, s[0:3], 0 offen
	ds_read_b64 v[99:100], v6
	v_add_nc_u32_e32 v5, 1, v5
	v_add_nc_u32_e32 v6, 8, v6
	;; [unrolled: 1-line block ×3, first 2 shown]
	v_cmp_lt_u32_e32 vcc_lo, 27, v5
	s_or_b32 s5, vcc_lo, s5
	s_waitcnt vmcnt(1) lgkmcnt(0)
	v_mul_f32_e32 v103, v100, v101
	v_mul_f32_e32 v101, v99, v101
	s_waitcnt vmcnt(0)
	v_fma_f32 v99, v99, v102, -v103
	v_fmac_f32_e32 v101, v100, v102
	v_add_f32_e32 v8, v8, v99
	v_add_f32_e32 v2, v2, v101
	s_andn2_b32 exec_lo, exec_lo, s5
	s_cbranch_execnz .LBB44_129
; %bb.130:
	s_or_b32 exec_lo, exec_lo, s5
	v_mov_b32_e32 v5, 0
	ds_read_b64 v[5:6], v5 offset:232
	s_waitcnt lgkmcnt(0)
	v_mul_f32_e32 v7, v2, v6
	v_mul_f32_e32 v6, v8, v6
	v_fma_f32 v7, v8, v5, -v7
	v_fmac_f32_e32 v6, v2, v5
	buffer_store_dword v7, off, s[0:3], 0 offset:232
	buffer_store_dword v6, off, s[0:3], 0 offset:236
.LBB44_131:
	s_or_b32 exec_lo, exec_lo, s4
	s_waitcnt_vscnt null, 0x0
	s_barrier
	buffer_gl0_inv
	s_clause 0x1
	buffer_load_dword v5, off, s[0:3], 0 offset:240
	buffer_load_dword v6, off, s[0:3], 0 offset:244
	s_mov_b32 s4, exec_lo
	s_waitcnt vmcnt(0)
	ds_write_b64 v4, v[5:6]
	s_waitcnt lgkmcnt(0)
	s_barrier
	buffer_gl0_inv
	v_cmpx_gt_u32_e32 30, v0
	s_cbranch_execz .LBB44_135
; %bb.132:
	v_add_nc_u32_e32 v5, -1, v0
	v_add_nc_u32_e32 v6, 0x170, v3
	v_mov_b32_e32 v7, v3
	v_mov_b32_e32 v2, 0
	;; [unrolled: 1-line block ×3, first 2 shown]
	s_mov_b32 s5, 0
	.p2align	6
.LBB44_133:                             ; =>This Inner Loop Header: Depth=1
	s_clause 0x1
	buffer_load_dword v101, v7, s[0:3], 0 offen offset:4
	buffer_load_dword v102, v7, s[0:3], 0 offen
	ds_read_b64 v[99:100], v6
	v_add_nc_u32_e32 v5, 1, v5
	v_add_nc_u32_e32 v6, 8, v6
	;; [unrolled: 1-line block ×3, first 2 shown]
	v_cmp_lt_u32_e32 vcc_lo, 28, v5
	s_or_b32 s5, vcc_lo, s5
	s_waitcnt vmcnt(1) lgkmcnt(0)
	v_mul_f32_e32 v103, v100, v101
	v_mul_f32_e32 v101, v99, v101
	s_waitcnt vmcnt(0)
	v_fma_f32 v99, v99, v102, -v103
	v_fmac_f32_e32 v101, v100, v102
	v_add_f32_e32 v8, v8, v99
	v_add_f32_e32 v2, v2, v101
	s_andn2_b32 exec_lo, exec_lo, s5
	s_cbranch_execnz .LBB44_133
; %bb.134:
	s_or_b32 exec_lo, exec_lo, s5
	v_mov_b32_e32 v5, 0
	ds_read_b64 v[5:6], v5 offset:240
	s_waitcnt lgkmcnt(0)
	v_mul_f32_e32 v7, v2, v6
	v_mul_f32_e32 v6, v8, v6
	v_fma_f32 v7, v8, v5, -v7
	v_fmac_f32_e32 v6, v2, v5
	buffer_store_dword v7, off, s[0:3], 0 offset:240
	buffer_store_dword v6, off, s[0:3], 0 offset:244
.LBB44_135:
	s_or_b32 exec_lo, exec_lo, s4
	s_waitcnt_vscnt null, 0x0
	s_barrier
	buffer_gl0_inv
	s_clause 0x1
	buffer_load_dword v5, off, s[0:3], 0 offset:248
	buffer_load_dword v6, off, s[0:3], 0 offset:252
	s_mov_b32 s4, exec_lo
	s_waitcnt vmcnt(0)
	ds_write_b64 v4, v[5:6]
	s_waitcnt lgkmcnt(0)
	s_barrier
	buffer_gl0_inv
	v_cmpx_gt_u32_e32 31, v0
	s_cbranch_execz .LBB44_139
; %bb.136:
	v_add_nc_u32_e32 v5, -1, v0
	v_add_nc_u32_e32 v6, 0x170, v3
	v_mov_b32_e32 v7, v3
	v_mov_b32_e32 v2, 0
	;; [unrolled: 1-line block ×3, first 2 shown]
	s_mov_b32 s5, 0
	.p2align	6
.LBB44_137:                             ; =>This Inner Loop Header: Depth=1
	s_clause 0x1
	buffer_load_dword v101, v7, s[0:3], 0 offen offset:4
	buffer_load_dword v102, v7, s[0:3], 0 offen
	ds_read_b64 v[99:100], v6
	v_add_nc_u32_e32 v5, 1, v5
	v_add_nc_u32_e32 v6, 8, v6
	;; [unrolled: 1-line block ×3, first 2 shown]
	v_cmp_lt_u32_e32 vcc_lo, 29, v5
	s_or_b32 s5, vcc_lo, s5
	s_waitcnt vmcnt(1) lgkmcnt(0)
	v_mul_f32_e32 v103, v100, v101
	v_mul_f32_e32 v101, v99, v101
	s_waitcnt vmcnt(0)
	v_fma_f32 v99, v99, v102, -v103
	v_fmac_f32_e32 v101, v100, v102
	v_add_f32_e32 v8, v8, v99
	v_add_f32_e32 v2, v2, v101
	s_andn2_b32 exec_lo, exec_lo, s5
	s_cbranch_execnz .LBB44_137
; %bb.138:
	s_or_b32 exec_lo, exec_lo, s5
	v_mov_b32_e32 v5, 0
	ds_read_b64 v[5:6], v5 offset:248
	s_waitcnt lgkmcnt(0)
	v_mul_f32_e32 v7, v2, v6
	v_mul_f32_e32 v6, v8, v6
	v_fma_f32 v7, v8, v5, -v7
	v_fmac_f32_e32 v6, v2, v5
	buffer_store_dword v7, off, s[0:3], 0 offset:248
	buffer_store_dword v6, off, s[0:3], 0 offset:252
.LBB44_139:
	s_or_b32 exec_lo, exec_lo, s4
	s_waitcnt_vscnt null, 0x0
	s_barrier
	buffer_gl0_inv
	s_clause 0x1
	buffer_load_dword v5, off, s[0:3], 0 offset:256
	buffer_load_dword v6, off, s[0:3], 0 offset:260
	s_mov_b32 s4, exec_lo
	s_waitcnt vmcnt(0)
	ds_write_b64 v4, v[5:6]
	s_waitcnt lgkmcnt(0)
	s_barrier
	buffer_gl0_inv
	v_cmpx_gt_u32_e32 32, v0
	s_cbranch_execz .LBB44_143
; %bb.140:
	v_add_nc_u32_e32 v5, -1, v0
	v_add_nc_u32_e32 v6, 0x170, v3
	v_mov_b32_e32 v7, v3
	v_mov_b32_e32 v2, 0
	;; [unrolled: 1-line block ×3, first 2 shown]
	s_mov_b32 s5, 0
	.p2align	6
.LBB44_141:                             ; =>This Inner Loop Header: Depth=1
	s_clause 0x1
	buffer_load_dword v101, v7, s[0:3], 0 offen offset:4
	buffer_load_dword v102, v7, s[0:3], 0 offen
	ds_read_b64 v[99:100], v6
	v_add_nc_u32_e32 v5, 1, v5
	v_add_nc_u32_e32 v6, 8, v6
	;; [unrolled: 1-line block ×3, first 2 shown]
	v_cmp_lt_u32_e32 vcc_lo, 30, v5
	s_or_b32 s5, vcc_lo, s5
	s_waitcnt vmcnt(1) lgkmcnt(0)
	v_mul_f32_e32 v103, v100, v101
	v_mul_f32_e32 v101, v99, v101
	s_waitcnt vmcnt(0)
	v_fma_f32 v99, v99, v102, -v103
	v_fmac_f32_e32 v101, v100, v102
	v_add_f32_e32 v8, v8, v99
	v_add_f32_e32 v2, v2, v101
	s_andn2_b32 exec_lo, exec_lo, s5
	s_cbranch_execnz .LBB44_141
; %bb.142:
	s_or_b32 exec_lo, exec_lo, s5
	v_mov_b32_e32 v5, 0
	ds_read_b64 v[5:6], v5 offset:256
	s_waitcnt lgkmcnt(0)
	v_mul_f32_e32 v7, v2, v6
	v_mul_f32_e32 v6, v8, v6
	v_fma_f32 v7, v8, v5, -v7
	v_fmac_f32_e32 v6, v2, v5
	buffer_store_dword v7, off, s[0:3], 0 offset:256
	buffer_store_dword v6, off, s[0:3], 0 offset:260
.LBB44_143:
	s_or_b32 exec_lo, exec_lo, s4
	s_waitcnt_vscnt null, 0x0
	s_barrier
	buffer_gl0_inv
	s_clause 0x1
	buffer_load_dword v5, off, s[0:3], 0 offset:264
	buffer_load_dword v6, off, s[0:3], 0 offset:268
	s_mov_b32 s4, exec_lo
	s_waitcnt vmcnt(0)
	ds_write_b64 v4, v[5:6]
	s_waitcnt lgkmcnt(0)
	s_barrier
	buffer_gl0_inv
	v_cmpx_gt_u32_e32 33, v0
	s_cbranch_execz .LBB44_147
; %bb.144:
	v_add_nc_u32_e32 v5, -1, v0
	v_add_nc_u32_e32 v6, 0x170, v3
	v_mov_b32_e32 v7, v3
	v_mov_b32_e32 v2, 0
	;; [unrolled: 1-line block ×3, first 2 shown]
	s_mov_b32 s5, 0
	.p2align	6
.LBB44_145:                             ; =>This Inner Loop Header: Depth=1
	s_clause 0x1
	buffer_load_dword v101, v7, s[0:3], 0 offen offset:4
	buffer_load_dword v102, v7, s[0:3], 0 offen
	ds_read_b64 v[99:100], v6
	v_add_nc_u32_e32 v5, 1, v5
	v_add_nc_u32_e32 v6, 8, v6
	;; [unrolled: 1-line block ×3, first 2 shown]
	v_cmp_lt_u32_e32 vcc_lo, 31, v5
	s_or_b32 s5, vcc_lo, s5
	s_waitcnt vmcnt(1) lgkmcnt(0)
	v_mul_f32_e32 v103, v100, v101
	v_mul_f32_e32 v101, v99, v101
	s_waitcnt vmcnt(0)
	v_fma_f32 v99, v99, v102, -v103
	v_fmac_f32_e32 v101, v100, v102
	v_add_f32_e32 v8, v8, v99
	v_add_f32_e32 v2, v2, v101
	s_andn2_b32 exec_lo, exec_lo, s5
	s_cbranch_execnz .LBB44_145
; %bb.146:
	s_or_b32 exec_lo, exec_lo, s5
	v_mov_b32_e32 v5, 0
	ds_read_b64 v[5:6], v5 offset:264
	s_waitcnt lgkmcnt(0)
	v_mul_f32_e32 v7, v2, v6
	v_mul_f32_e32 v6, v8, v6
	v_fma_f32 v7, v8, v5, -v7
	v_fmac_f32_e32 v6, v2, v5
	buffer_store_dword v7, off, s[0:3], 0 offset:264
	buffer_store_dword v6, off, s[0:3], 0 offset:268
.LBB44_147:
	s_or_b32 exec_lo, exec_lo, s4
	s_waitcnt_vscnt null, 0x0
	s_barrier
	buffer_gl0_inv
	s_clause 0x1
	buffer_load_dword v5, off, s[0:3], 0 offset:272
	buffer_load_dword v6, off, s[0:3], 0 offset:276
	s_mov_b32 s4, exec_lo
	s_waitcnt vmcnt(0)
	ds_write_b64 v4, v[5:6]
	s_waitcnt lgkmcnt(0)
	s_barrier
	buffer_gl0_inv
	v_cmpx_gt_u32_e32 34, v0
	s_cbranch_execz .LBB44_151
; %bb.148:
	v_add_nc_u32_e32 v5, -1, v0
	v_add_nc_u32_e32 v6, 0x170, v3
	v_mov_b32_e32 v7, v3
	v_mov_b32_e32 v2, 0
	;; [unrolled: 1-line block ×3, first 2 shown]
	s_mov_b32 s5, 0
	.p2align	6
.LBB44_149:                             ; =>This Inner Loop Header: Depth=1
	s_clause 0x1
	buffer_load_dword v101, v7, s[0:3], 0 offen offset:4
	buffer_load_dword v102, v7, s[0:3], 0 offen
	ds_read_b64 v[99:100], v6
	v_add_nc_u32_e32 v5, 1, v5
	v_add_nc_u32_e32 v6, 8, v6
	;; [unrolled: 1-line block ×3, first 2 shown]
	v_cmp_lt_u32_e32 vcc_lo, 32, v5
	s_or_b32 s5, vcc_lo, s5
	s_waitcnt vmcnt(1) lgkmcnt(0)
	v_mul_f32_e32 v103, v100, v101
	v_mul_f32_e32 v101, v99, v101
	s_waitcnt vmcnt(0)
	v_fma_f32 v99, v99, v102, -v103
	v_fmac_f32_e32 v101, v100, v102
	v_add_f32_e32 v8, v8, v99
	v_add_f32_e32 v2, v2, v101
	s_andn2_b32 exec_lo, exec_lo, s5
	s_cbranch_execnz .LBB44_149
; %bb.150:
	s_or_b32 exec_lo, exec_lo, s5
	v_mov_b32_e32 v5, 0
	ds_read_b64 v[5:6], v5 offset:272
	s_waitcnt lgkmcnt(0)
	v_mul_f32_e32 v7, v2, v6
	v_mul_f32_e32 v6, v8, v6
	v_fma_f32 v7, v8, v5, -v7
	v_fmac_f32_e32 v6, v2, v5
	buffer_store_dword v7, off, s[0:3], 0 offset:272
	buffer_store_dword v6, off, s[0:3], 0 offset:276
.LBB44_151:
	s_or_b32 exec_lo, exec_lo, s4
	s_waitcnt_vscnt null, 0x0
	s_barrier
	buffer_gl0_inv
	s_clause 0x1
	buffer_load_dword v5, off, s[0:3], 0 offset:280
	buffer_load_dword v6, off, s[0:3], 0 offset:284
	s_mov_b32 s4, exec_lo
	s_waitcnt vmcnt(0)
	ds_write_b64 v4, v[5:6]
	s_waitcnt lgkmcnt(0)
	s_barrier
	buffer_gl0_inv
	v_cmpx_gt_u32_e32 35, v0
	s_cbranch_execz .LBB44_155
; %bb.152:
	v_add_nc_u32_e32 v5, -1, v0
	v_add_nc_u32_e32 v6, 0x170, v3
	v_mov_b32_e32 v7, v3
	v_mov_b32_e32 v2, 0
	;; [unrolled: 1-line block ×3, first 2 shown]
	s_mov_b32 s5, 0
	.p2align	6
.LBB44_153:                             ; =>This Inner Loop Header: Depth=1
	s_clause 0x1
	buffer_load_dword v101, v7, s[0:3], 0 offen offset:4
	buffer_load_dword v102, v7, s[0:3], 0 offen
	ds_read_b64 v[99:100], v6
	v_add_nc_u32_e32 v5, 1, v5
	v_add_nc_u32_e32 v6, 8, v6
	;; [unrolled: 1-line block ×3, first 2 shown]
	v_cmp_lt_u32_e32 vcc_lo, 33, v5
	s_or_b32 s5, vcc_lo, s5
	s_waitcnt vmcnt(1) lgkmcnt(0)
	v_mul_f32_e32 v103, v100, v101
	v_mul_f32_e32 v101, v99, v101
	s_waitcnt vmcnt(0)
	v_fma_f32 v99, v99, v102, -v103
	v_fmac_f32_e32 v101, v100, v102
	v_add_f32_e32 v8, v8, v99
	v_add_f32_e32 v2, v2, v101
	s_andn2_b32 exec_lo, exec_lo, s5
	s_cbranch_execnz .LBB44_153
; %bb.154:
	s_or_b32 exec_lo, exec_lo, s5
	v_mov_b32_e32 v5, 0
	ds_read_b64 v[5:6], v5 offset:280
	s_waitcnt lgkmcnt(0)
	v_mul_f32_e32 v7, v2, v6
	v_mul_f32_e32 v6, v8, v6
	v_fma_f32 v7, v8, v5, -v7
	v_fmac_f32_e32 v6, v2, v5
	buffer_store_dword v7, off, s[0:3], 0 offset:280
	buffer_store_dword v6, off, s[0:3], 0 offset:284
.LBB44_155:
	s_or_b32 exec_lo, exec_lo, s4
	s_waitcnt_vscnt null, 0x0
	s_barrier
	buffer_gl0_inv
	s_clause 0x1
	buffer_load_dword v5, off, s[0:3], 0 offset:288
	buffer_load_dword v6, off, s[0:3], 0 offset:292
	s_mov_b32 s4, exec_lo
	s_waitcnt vmcnt(0)
	ds_write_b64 v4, v[5:6]
	s_waitcnt lgkmcnt(0)
	s_barrier
	buffer_gl0_inv
	v_cmpx_gt_u32_e32 36, v0
	s_cbranch_execz .LBB44_159
; %bb.156:
	v_add_nc_u32_e32 v5, -1, v0
	v_add_nc_u32_e32 v6, 0x170, v3
	v_mov_b32_e32 v7, v3
	v_mov_b32_e32 v2, 0
	;; [unrolled: 1-line block ×3, first 2 shown]
	s_mov_b32 s5, 0
	.p2align	6
.LBB44_157:                             ; =>This Inner Loop Header: Depth=1
	s_clause 0x1
	buffer_load_dword v101, v7, s[0:3], 0 offen offset:4
	buffer_load_dword v102, v7, s[0:3], 0 offen
	ds_read_b64 v[99:100], v6
	v_add_nc_u32_e32 v5, 1, v5
	v_add_nc_u32_e32 v6, 8, v6
	;; [unrolled: 1-line block ×3, first 2 shown]
	v_cmp_lt_u32_e32 vcc_lo, 34, v5
	s_or_b32 s5, vcc_lo, s5
	s_waitcnt vmcnt(1) lgkmcnt(0)
	v_mul_f32_e32 v103, v100, v101
	v_mul_f32_e32 v101, v99, v101
	s_waitcnt vmcnt(0)
	v_fma_f32 v99, v99, v102, -v103
	v_fmac_f32_e32 v101, v100, v102
	v_add_f32_e32 v8, v8, v99
	v_add_f32_e32 v2, v2, v101
	s_andn2_b32 exec_lo, exec_lo, s5
	s_cbranch_execnz .LBB44_157
; %bb.158:
	s_or_b32 exec_lo, exec_lo, s5
	v_mov_b32_e32 v5, 0
	ds_read_b64 v[5:6], v5 offset:288
	s_waitcnt lgkmcnt(0)
	v_mul_f32_e32 v7, v2, v6
	v_mul_f32_e32 v6, v8, v6
	v_fma_f32 v7, v8, v5, -v7
	v_fmac_f32_e32 v6, v2, v5
	buffer_store_dword v7, off, s[0:3], 0 offset:288
	buffer_store_dword v6, off, s[0:3], 0 offset:292
.LBB44_159:
	s_or_b32 exec_lo, exec_lo, s4
	s_waitcnt_vscnt null, 0x0
	s_barrier
	buffer_gl0_inv
	s_clause 0x1
	buffer_load_dword v5, off, s[0:3], 0 offset:296
	buffer_load_dword v6, off, s[0:3], 0 offset:300
	s_mov_b32 s4, exec_lo
	s_waitcnt vmcnt(0)
	ds_write_b64 v4, v[5:6]
	s_waitcnt lgkmcnt(0)
	s_barrier
	buffer_gl0_inv
	v_cmpx_gt_u32_e32 37, v0
	s_cbranch_execz .LBB44_163
; %bb.160:
	v_add_nc_u32_e32 v5, -1, v0
	v_add_nc_u32_e32 v6, 0x170, v3
	v_mov_b32_e32 v7, v3
	v_mov_b32_e32 v2, 0
	;; [unrolled: 1-line block ×3, first 2 shown]
	s_mov_b32 s5, 0
	.p2align	6
.LBB44_161:                             ; =>This Inner Loop Header: Depth=1
	s_clause 0x1
	buffer_load_dword v101, v7, s[0:3], 0 offen offset:4
	buffer_load_dword v102, v7, s[0:3], 0 offen
	ds_read_b64 v[99:100], v6
	v_add_nc_u32_e32 v5, 1, v5
	v_add_nc_u32_e32 v6, 8, v6
	;; [unrolled: 1-line block ×3, first 2 shown]
	v_cmp_lt_u32_e32 vcc_lo, 35, v5
	s_or_b32 s5, vcc_lo, s5
	s_waitcnt vmcnt(1) lgkmcnt(0)
	v_mul_f32_e32 v103, v100, v101
	v_mul_f32_e32 v101, v99, v101
	s_waitcnt vmcnt(0)
	v_fma_f32 v99, v99, v102, -v103
	v_fmac_f32_e32 v101, v100, v102
	v_add_f32_e32 v8, v8, v99
	v_add_f32_e32 v2, v2, v101
	s_andn2_b32 exec_lo, exec_lo, s5
	s_cbranch_execnz .LBB44_161
; %bb.162:
	s_or_b32 exec_lo, exec_lo, s5
	v_mov_b32_e32 v5, 0
	ds_read_b64 v[5:6], v5 offset:296
	s_waitcnt lgkmcnt(0)
	v_mul_f32_e32 v7, v2, v6
	v_mul_f32_e32 v6, v8, v6
	v_fma_f32 v7, v8, v5, -v7
	v_fmac_f32_e32 v6, v2, v5
	buffer_store_dword v7, off, s[0:3], 0 offset:296
	buffer_store_dword v6, off, s[0:3], 0 offset:300
.LBB44_163:
	s_or_b32 exec_lo, exec_lo, s4
	s_waitcnt_vscnt null, 0x0
	s_barrier
	buffer_gl0_inv
	s_clause 0x1
	buffer_load_dword v5, off, s[0:3], 0 offset:304
	buffer_load_dword v6, off, s[0:3], 0 offset:308
	s_mov_b32 s4, exec_lo
	s_waitcnt vmcnt(0)
	ds_write_b64 v4, v[5:6]
	s_waitcnt lgkmcnt(0)
	s_barrier
	buffer_gl0_inv
	v_cmpx_gt_u32_e32 38, v0
	s_cbranch_execz .LBB44_167
; %bb.164:
	v_add_nc_u32_e32 v5, -1, v0
	v_add_nc_u32_e32 v6, 0x170, v3
	v_mov_b32_e32 v7, v3
	v_mov_b32_e32 v2, 0
	;; [unrolled: 1-line block ×3, first 2 shown]
	s_mov_b32 s5, 0
	.p2align	6
.LBB44_165:                             ; =>This Inner Loop Header: Depth=1
	s_clause 0x1
	buffer_load_dword v101, v7, s[0:3], 0 offen offset:4
	buffer_load_dword v102, v7, s[0:3], 0 offen
	ds_read_b64 v[99:100], v6
	v_add_nc_u32_e32 v5, 1, v5
	v_add_nc_u32_e32 v6, 8, v6
	v_add_nc_u32_e32 v7, 8, v7
	v_cmp_lt_u32_e32 vcc_lo, 36, v5
	s_or_b32 s5, vcc_lo, s5
	s_waitcnt vmcnt(1) lgkmcnt(0)
	v_mul_f32_e32 v103, v100, v101
	v_mul_f32_e32 v101, v99, v101
	s_waitcnt vmcnt(0)
	v_fma_f32 v99, v99, v102, -v103
	v_fmac_f32_e32 v101, v100, v102
	v_add_f32_e32 v8, v8, v99
	v_add_f32_e32 v2, v2, v101
	s_andn2_b32 exec_lo, exec_lo, s5
	s_cbranch_execnz .LBB44_165
; %bb.166:
	s_or_b32 exec_lo, exec_lo, s5
	v_mov_b32_e32 v5, 0
	ds_read_b64 v[5:6], v5 offset:304
	s_waitcnt lgkmcnt(0)
	v_mul_f32_e32 v7, v2, v6
	v_mul_f32_e32 v6, v8, v6
	v_fma_f32 v7, v8, v5, -v7
	v_fmac_f32_e32 v6, v2, v5
	buffer_store_dword v7, off, s[0:3], 0 offset:304
	buffer_store_dword v6, off, s[0:3], 0 offset:308
.LBB44_167:
	s_or_b32 exec_lo, exec_lo, s4
	s_waitcnt_vscnt null, 0x0
	s_barrier
	buffer_gl0_inv
	s_clause 0x1
	buffer_load_dword v5, off, s[0:3], 0 offset:312
	buffer_load_dword v6, off, s[0:3], 0 offset:316
	s_mov_b32 s4, exec_lo
	s_waitcnt vmcnt(0)
	ds_write_b64 v4, v[5:6]
	s_waitcnt lgkmcnt(0)
	s_barrier
	buffer_gl0_inv
	v_cmpx_gt_u32_e32 39, v0
	s_cbranch_execz .LBB44_171
; %bb.168:
	v_add_nc_u32_e32 v5, -1, v0
	v_add_nc_u32_e32 v6, 0x170, v3
	v_mov_b32_e32 v7, v3
	v_mov_b32_e32 v2, 0
	;; [unrolled: 1-line block ×3, first 2 shown]
	s_mov_b32 s5, 0
	.p2align	6
.LBB44_169:                             ; =>This Inner Loop Header: Depth=1
	s_clause 0x1
	buffer_load_dword v101, v7, s[0:3], 0 offen offset:4
	buffer_load_dword v102, v7, s[0:3], 0 offen
	ds_read_b64 v[99:100], v6
	v_add_nc_u32_e32 v5, 1, v5
	v_add_nc_u32_e32 v6, 8, v6
	;; [unrolled: 1-line block ×3, first 2 shown]
	v_cmp_lt_u32_e32 vcc_lo, 37, v5
	s_or_b32 s5, vcc_lo, s5
	s_waitcnt vmcnt(1) lgkmcnt(0)
	v_mul_f32_e32 v103, v100, v101
	v_mul_f32_e32 v101, v99, v101
	s_waitcnt vmcnt(0)
	v_fma_f32 v99, v99, v102, -v103
	v_fmac_f32_e32 v101, v100, v102
	v_add_f32_e32 v8, v8, v99
	v_add_f32_e32 v2, v2, v101
	s_andn2_b32 exec_lo, exec_lo, s5
	s_cbranch_execnz .LBB44_169
; %bb.170:
	s_or_b32 exec_lo, exec_lo, s5
	v_mov_b32_e32 v5, 0
	ds_read_b64 v[5:6], v5 offset:312
	s_waitcnt lgkmcnt(0)
	v_mul_f32_e32 v7, v2, v6
	v_mul_f32_e32 v6, v8, v6
	v_fma_f32 v7, v8, v5, -v7
	v_fmac_f32_e32 v6, v2, v5
	buffer_store_dword v7, off, s[0:3], 0 offset:312
	buffer_store_dword v6, off, s[0:3], 0 offset:316
.LBB44_171:
	s_or_b32 exec_lo, exec_lo, s4
	s_waitcnt_vscnt null, 0x0
	s_barrier
	buffer_gl0_inv
	s_clause 0x1
	buffer_load_dword v5, off, s[0:3], 0 offset:320
	buffer_load_dword v6, off, s[0:3], 0 offset:324
	s_mov_b32 s4, exec_lo
	s_waitcnt vmcnt(0)
	ds_write_b64 v4, v[5:6]
	s_waitcnt lgkmcnt(0)
	s_barrier
	buffer_gl0_inv
	v_cmpx_gt_u32_e32 40, v0
	s_cbranch_execz .LBB44_175
; %bb.172:
	v_add_nc_u32_e32 v5, -1, v0
	v_add_nc_u32_e32 v6, 0x170, v3
	v_mov_b32_e32 v7, v3
	v_mov_b32_e32 v2, 0
	;; [unrolled: 1-line block ×3, first 2 shown]
	s_mov_b32 s5, 0
	.p2align	6
.LBB44_173:                             ; =>This Inner Loop Header: Depth=1
	s_clause 0x1
	buffer_load_dword v101, v7, s[0:3], 0 offen offset:4
	buffer_load_dword v102, v7, s[0:3], 0 offen
	ds_read_b64 v[99:100], v6
	v_add_nc_u32_e32 v5, 1, v5
	v_add_nc_u32_e32 v6, 8, v6
	;; [unrolled: 1-line block ×3, first 2 shown]
	v_cmp_lt_u32_e32 vcc_lo, 38, v5
	s_or_b32 s5, vcc_lo, s5
	s_waitcnt vmcnt(1) lgkmcnt(0)
	v_mul_f32_e32 v103, v100, v101
	v_mul_f32_e32 v101, v99, v101
	s_waitcnt vmcnt(0)
	v_fma_f32 v99, v99, v102, -v103
	v_fmac_f32_e32 v101, v100, v102
	v_add_f32_e32 v8, v8, v99
	v_add_f32_e32 v2, v2, v101
	s_andn2_b32 exec_lo, exec_lo, s5
	s_cbranch_execnz .LBB44_173
; %bb.174:
	s_or_b32 exec_lo, exec_lo, s5
	v_mov_b32_e32 v5, 0
	ds_read_b64 v[5:6], v5 offset:320
	s_waitcnt lgkmcnt(0)
	v_mul_f32_e32 v7, v2, v6
	v_mul_f32_e32 v6, v8, v6
	v_fma_f32 v7, v8, v5, -v7
	v_fmac_f32_e32 v6, v2, v5
	buffer_store_dword v7, off, s[0:3], 0 offset:320
	buffer_store_dword v6, off, s[0:3], 0 offset:324
.LBB44_175:
	s_or_b32 exec_lo, exec_lo, s4
	s_waitcnt_vscnt null, 0x0
	s_barrier
	buffer_gl0_inv
	s_clause 0x1
	buffer_load_dword v5, off, s[0:3], 0 offset:328
	buffer_load_dword v6, off, s[0:3], 0 offset:332
	s_mov_b32 s4, exec_lo
	s_waitcnt vmcnt(0)
	ds_write_b64 v4, v[5:6]
	s_waitcnt lgkmcnt(0)
	s_barrier
	buffer_gl0_inv
	v_cmpx_gt_u32_e32 41, v0
	s_cbranch_execz .LBB44_179
; %bb.176:
	v_add_nc_u32_e32 v5, -1, v0
	v_add_nc_u32_e32 v6, 0x170, v3
	v_mov_b32_e32 v7, v3
	v_mov_b32_e32 v2, 0
	;; [unrolled: 1-line block ×3, first 2 shown]
	s_mov_b32 s5, 0
	.p2align	6
.LBB44_177:                             ; =>This Inner Loop Header: Depth=1
	s_clause 0x1
	buffer_load_dword v101, v7, s[0:3], 0 offen offset:4
	buffer_load_dword v102, v7, s[0:3], 0 offen
	ds_read_b64 v[99:100], v6
	v_add_nc_u32_e32 v5, 1, v5
	v_add_nc_u32_e32 v6, 8, v6
	;; [unrolled: 1-line block ×3, first 2 shown]
	v_cmp_lt_u32_e32 vcc_lo, 39, v5
	s_or_b32 s5, vcc_lo, s5
	s_waitcnt vmcnt(1) lgkmcnt(0)
	v_mul_f32_e32 v103, v100, v101
	v_mul_f32_e32 v101, v99, v101
	s_waitcnt vmcnt(0)
	v_fma_f32 v99, v99, v102, -v103
	v_fmac_f32_e32 v101, v100, v102
	v_add_f32_e32 v8, v8, v99
	v_add_f32_e32 v2, v2, v101
	s_andn2_b32 exec_lo, exec_lo, s5
	s_cbranch_execnz .LBB44_177
; %bb.178:
	s_or_b32 exec_lo, exec_lo, s5
	v_mov_b32_e32 v5, 0
	ds_read_b64 v[5:6], v5 offset:328
	s_waitcnt lgkmcnt(0)
	v_mul_f32_e32 v7, v2, v6
	v_mul_f32_e32 v6, v8, v6
	v_fma_f32 v7, v8, v5, -v7
	v_fmac_f32_e32 v6, v2, v5
	buffer_store_dword v7, off, s[0:3], 0 offset:328
	buffer_store_dword v6, off, s[0:3], 0 offset:332
.LBB44_179:
	s_or_b32 exec_lo, exec_lo, s4
	s_waitcnt_vscnt null, 0x0
	s_barrier
	buffer_gl0_inv
	s_clause 0x1
	buffer_load_dword v5, off, s[0:3], 0 offset:336
	buffer_load_dword v6, off, s[0:3], 0 offset:340
	s_mov_b32 s4, exec_lo
	s_waitcnt vmcnt(0)
	ds_write_b64 v4, v[5:6]
	s_waitcnt lgkmcnt(0)
	s_barrier
	buffer_gl0_inv
	v_cmpx_gt_u32_e32 42, v0
	s_cbranch_execz .LBB44_183
; %bb.180:
	v_add_nc_u32_e32 v5, -1, v0
	v_add_nc_u32_e32 v6, 0x170, v3
	v_mov_b32_e32 v7, v3
	v_mov_b32_e32 v2, 0
	;; [unrolled: 1-line block ×3, first 2 shown]
	s_mov_b32 s5, 0
	.p2align	6
.LBB44_181:                             ; =>This Inner Loop Header: Depth=1
	s_clause 0x1
	buffer_load_dword v101, v7, s[0:3], 0 offen offset:4
	buffer_load_dword v102, v7, s[0:3], 0 offen
	ds_read_b64 v[99:100], v6
	v_add_nc_u32_e32 v5, 1, v5
	v_add_nc_u32_e32 v6, 8, v6
	v_add_nc_u32_e32 v7, 8, v7
	v_cmp_lt_u32_e32 vcc_lo, 40, v5
	s_or_b32 s5, vcc_lo, s5
	s_waitcnt vmcnt(1) lgkmcnt(0)
	v_mul_f32_e32 v103, v100, v101
	v_mul_f32_e32 v101, v99, v101
	s_waitcnt vmcnt(0)
	v_fma_f32 v99, v99, v102, -v103
	v_fmac_f32_e32 v101, v100, v102
	v_add_f32_e32 v8, v8, v99
	v_add_f32_e32 v2, v2, v101
	s_andn2_b32 exec_lo, exec_lo, s5
	s_cbranch_execnz .LBB44_181
; %bb.182:
	s_or_b32 exec_lo, exec_lo, s5
	v_mov_b32_e32 v5, 0
	ds_read_b64 v[5:6], v5 offset:336
	s_waitcnt lgkmcnt(0)
	v_mul_f32_e32 v7, v2, v6
	v_mul_f32_e32 v6, v8, v6
	v_fma_f32 v7, v8, v5, -v7
	v_fmac_f32_e32 v6, v2, v5
	buffer_store_dword v7, off, s[0:3], 0 offset:336
	buffer_store_dword v6, off, s[0:3], 0 offset:340
.LBB44_183:
	s_or_b32 exec_lo, exec_lo, s4
	s_waitcnt_vscnt null, 0x0
	s_barrier
	buffer_gl0_inv
	s_clause 0x1
	buffer_load_dword v5, off, s[0:3], 0 offset:344
	buffer_load_dword v6, off, s[0:3], 0 offset:348
	s_mov_b32 s4, exec_lo
	s_waitcnt vmcnt(0)
	ds_write_b64 v4, v[5:6]
	s_waitcnt lgkmcnt(0)
	s_barrier
	buffer_gl0_inv
	v_cmpx_gt_u32_e32 43, v0
	s_cbranch_execz .LBB44_187
; %bb.184:
	v_add_nc_u32_e32 v5, -1, v0
	v_add_nc_u32_e32 v6, 0x170, v3
	v_mov_b32_e32 v7, v3
	v_mov_b32_e32 v2, 0
	;; [unrolled: 1-line block ×3, first 2 shown]
	s_mov_b32 s5, 0
	.p2align	6
.LBB44_185:                             ; =>This Inner Loop Header: Depth=1
	s_clause 0x1
	buffer_load_dword v101, v7, s[0:3], 0 offen offset:4
	buffer_load_dword v102, v7, s[0:3], 0 offen
	ds_read_b64 v[99:100], v6
	v_add_nc_u32_e32 v5, 1, v5
	v_add_nc_u32_e32 v6, 8, v6
	;; [unrolled: 1-line block ×3, first 2 shown]
	v_cmp_lt_u32_e32 vcc_lo, 41, v5
	s_or_b32 s5, vcc_lo, s5
	s_waitcnt vmcnt(1) lgkmcnt(0)
	v_mul_f32_e32 v103, v100, v101
	v_mul_f32_e32 v101, v99, v101
	s_waitcnt vmcnt(0)
	v_fma_f32 v99, v99, v102, -v103
	v_fmac_f32_e32 v101, v100, v102
	v_add_f32_e32 v8, v8, v99
	v_add_f32_e32 v2, v2, v101
	s_andn2_b32 exec_lo, exec_lo, s5
	s_cbranch_execnz .LBB44_185
; %bb.186:
	s_or_b32 exec_lo, exec_lo, s5
	v_mov_b32_e32 v5, 0
	ds_read_b64 v[5:6], v5 offset:344
	s_waitcnt lgkmcnt(0)
	v_mul_f32_e32 v7, v2, v6
	v_mul_f32_e32 v6, v8, v6
	v_fma_f32 v7, v8, v5, -v7
	v_fmac_f32_e32 v6, v2, v5
	buffer_store_dword v7, off, s[0:3], 0 offset:344
	buffer_store_dword v6, off, s[0:3], 0 offset:348
.LBB44_187:
	s_or_b32 exec_lo, exec_lo, s4
	s_waitcnt_vscnt null, 0x0
	s_barrier
	buffer_gl0_inv
	s_clause 0x1
	buffer_load_dword v5, off, s[0:3], 0 offset:352
	buffer_load_dword v6, off, s[0:3], 0 offset:356
	s_mov_b32 s4, exec_lo
	s_waitcnt vmcnt(0)
	ds_write_b64 v4, v[5:6]
	s_waitcnt lgkmcnt(0)
	s_barrier
	buffer_gl0_inv
	v_cmpx_ne_u32_e32 44, v0
	s_cbranch_execz .LBB44_191
; %bb.188:
	v_mov_b32_e32 v2, 0
	v_mov_b32_e32 v5, 0
	s_mov_b32 s5, 0
	.p2align	6
.LBB44_189:                             ; =>This Inner Loop Header: Depth=1
	s_clause 0x1
	buffer_load_dword v8, v3, s[0:3], 0 offen offset:4
	buffer_load_dword v99, v3, s[0:3], 0 offen
	ds_read_b64 v[6:7], v4
	v_add_nc_u32_e32 v1, 1, v1
	v_add_nc_u32_e32 v4, 8, v4
	;; [unrolled: 1-line block ×3, first 2 shown]
	v_cmp_lt_u32_e32 vcc_lo, 42, v1
	s_or_b32 s5, vcc_lo, s5
	s_waitcnt vmcnt(1) lgkmcnt(0)
	v_mul_f32_e32 v100, v7, v8
	v_mul_f32_e32 v8, v6, v8
	s_waitcnt vmcnt(0)
	v_fma_f32 v6, v6, v99, -v100
	v_fmac_f32_e32 v8, v7, v99
	v_add_f32_e32 v5, v5, v6
	v_add_f32_e32 v2, v2, v8
	s_andn2_b32 exec_lo, exec_lo, s5
	s_cbranch_execnz .LBB44_189
; %bb.190:
	s_or_b32 exec_lo, exec_lo, s5
	v_mov_b32_e32 v1, 0
	ds_read_b64 v[3:4], v1 offset:352
	s_waitcnt lgkmcnt(0)
	v_mul_f32_e32 v1, v2, v4
	v_mul_f32_e32 v4, v5, v4
	v_fma_f32 v1, v5, v3, -v1
	v_fmac_f32_e32 v4, v2, v3
	buffer_store_dword v1, off, s[0:3], 0 offset:352
	buffer_store_dword v4, off, s[0:3], 0 offset:356
.LBB44_191:
	s_or_b32 exec_lo, exec_lo, s4
	s_mov_b32 s5, -1
	s_waitcnt_vscnt null, 0x0
	s_barrier
	buffer_gl0_inv
.LBB44_192:
	s_and_b32 vcc_lo, exec_lo, s5
	s_cbranch_vccz .LBB44_194
; %bb.193:
	s_lshl_b64 s[4:5], s[6:7], 2
	v_mov_b32_e32 v1, 0
	s_add_u32 s4, s10, s4
	s_addc_u32 s5, s11, s5
	global_load_dword v1, v1, s[4:5]
	s_waitcnt vmcnt(0)
	v_cmp_ne_u32_e32 vcc_lo, 0, v1
	s_cbranch_vccz .LBB44_195
.LBB44_194:
	s_endpgm
.LBB44_195:
	v_lshl_add_u32 v99, v0, 3, 0x170
	s_mov_b32 s4, exec_lo
	v_cmpx_eq_u32_e32 44, v0
	s_cbranch_execz .LBB44_197
; %bb.196:
	s_clause 0x1
	buffer_load_dword v1, off, s[0:3], 0 offset:344
	buffer_load_dword v2, off, s[0:3], 0 offset:348
	v_mov_b32_e32 v3, 0
	buffer_store_dword v3, off, s[0:3], 0 offset:344
	buffer_store_dword v3, off, s[0:3], 0 offset:348
	s_waitcnt vmcnt(0)
	ds_write_b64 v99, v[1:2]
.LBB44_197:
	s_or_b32 exec_lo, exec_lo, s4
	s_waitcnt lgkmcnt(0)
	s_waitcnt_vscnt null, 0x0
	s_barrier
	buffer_gl0_inv
	s_clause 0x3
	buffer_load_dword v4, off, s[0:3], 0 offset:356
	buffer_load_dword v5, off, s[0:3], 0 offset:352
	;; [unrolled: 1-line block ×4, first 2 shown]
	v_mov_b32_e32 v1, 0
	s_mov_b32 s4, exec_lo
	ds_read_b64 v[2:3], v1 offset:720
	s_waitcnt vmcnt(3) lgkmcnt(0)
	v_mul_f32_e32 v8, v3, v4
	v_mul_f32_e32 v4, v2, v4
	s_waitcnt vmcnt(2)
	v_fma_f32 v2, v2, v5, -v8
	v_fmac_f32_e32 v4, v3, v5
	v_add_f32_e32 v2, 0, v2
	v_add_f32_e32 v3, 0, v4
	s_waitcnt vmcnt(1)
	v_sub_f32_e32 v2, v6, v2
	s_waitcnt vmcnt(0)
	v_sub_f32_e32 v3, v7, v3
	buffer_store_dword v2, off, s[0:3], 0 offset:344
	buffer_store_dword v3, off, s[0:3], 0 offset:348
	v_cmpx_lt_u32_e32 42, v0
	s_cbranch_execz .LBB44_199
; %bb.198:
	s_clause 0x1
	buffer_load_dword v2, off, s[0:3], 0 offset:336
	buffer_load_dword v3, off, s[0:3], 0 offset:340
	buffer_store_dword v1, off, s[0:3], 0 offset:336
	buffer_store_dword v1, off, s[0:3], 0 offset:340
	s_waitcnt vmcnt(0)
	ds_write_b64 v99, v[2:3]
.LBB44_199:
	s_or_b32 exec_lo, exec_lo, s4
	s_waitcnt lgkmcnt(0)
	s_waitcnt_vscnt null, 0x0
	s_barrier
	buffer_gl0_inv
	s_clause 0x5
	buffer_load_dword v5, off, s[0:3], 0 offset:348
	buffer_load_dword v6, off, s[0:3], 0 offset:356
	;; [unrolled: 1-line block ×6, first 2 shown]
	ds_read2_b64 v[1:4], v1 offset0:89 offset1:90
	s_mov_b32 s4, exec_lo
	s_waitcnt vmcnt(5) lgkmcnt(0)
	v_mul_f32_e32 v102, v2, v5
	v_mul_f32_e32 v5, v1, v5
	s_waitcnt vmcnt(4)
	v_mul_f32_e32 v103, v3, v6
	v_mul_f32_e32 v6, v4, v6
	s_waitcnt vmcnt(3)
	v_fma_f32 v1, v1, v7, -v102
	v_fmac_f32_e32 v5, v2, v7
	s_waitcnt vmcnt(2)
	v_fmac_f32_e32 v103, v4, v8
	v_fma_f32 v2, v3, v8, -v6
	v_add_f32_e32 v1, 0, v1
	v_add_f32_e32 v3, 0, v5
	;; [unrolled: 1-line block ×4, first 2 shown]
	s_waitcnt vmcnt(1)
	v_sub_f32_e32 v1, v100, v1
	s_waitcnt vmcnt(0)
	v_sub_f32_e32 v2, v101, v2
	buffer_store_dword v1, off, s[0:3], 0 offset:336
	buffer_store_dword v2, off, s[0:3], 0 offset:340
	v_cmpx_lt_u32_e32 41, v0
	s_cbranch_execz .LBB44_201
; %bb.200:
	s_clause 0x1
	buffer_load_dword v1, off, s[0:3], 0 offset:328
	buffer_load_dword v2, off, s[0:3], 0 offset:332
	v_mov_b32_e32 v3, 0
	buffer_store_dword v3, off, s[0:3], 0 offset:328
	buffer_store_dword v3, off, s[0:3], 0 offset:332
	s_waitcnt vmcnt(0)
	ds_write_b64 v99, v[1:2]
.LBB44_201:
	s_or_b32 exec_lo, exec_lo, s4
	s_waitcnt lgkmcnt(0)
	s_waitcnt_vscnt null, 0x0
	s_barrier
	buffer_gl0_inv
	s_clause 0x7
	buffer_load_dword v8, off, s[0:3], 0 offset:340
	buffer_load_dword v100, off, s[0:3], 0 offset:348
	;; [unrolled: 1-line block ×8, first 2 shown]
	v_mov_b32_e32 v1, 0
	ds_read_b128 v[2:5], v1 offset:704
	ds_read_b64 v[6:7], v1 offset:720
	s_mov_b32 s4, exec_lo
	s_waitcnt vmcnt(7) lgkmcnt(1)
	v_mul_f32_e32 v107, v3, v8
	v_mul_f32_e32 v8, v2, v8
	s_waitcnt vmcnt(6)
	v_mul_f32_e32 v108, v4, v100
	v_mul_f32_e32 v100, v5, v100
	s_waitcnt vmcnt(5) lgkmcnt(0)
	v_mul_f32_e32 v109, v6, v101
	s_waitcnt vmcnt(4)
	v_fma_f32 v2, v2, v102, -v107
	v_fmac_f32_e32 v8, v3, v102
	v_mul_f32_e32 v3, v7, v101
	s_waitcnt vmcnt(3)
	v_fma_f32 v4, v4, v103, -v100
	v_fmac_f32_e32 v108, v5, v103
	v_add_f32_e32 v2, 0, v2
	v_add_f32_e32 v5, 0, v8
	s_waitcnt vmcnt(2)
	v_fma_f32 v3, v6, v104, -v3
	v_fmac_f32_e32 v109, v7, v104
	v_add_f32_e32 v2, v2, v4
	v_add_f32_e32 v4, v5, v108
	;; [unrolled: 1-line block ×4, first 2 shown]
	s_waitcnt vmcnt(1)
	v_sub_f32_e32 v2, v105, v2
	s_waitcnt vmcnt(0)
	v_sub_f32_e32 v3, v106, v3
	buffer_store_dword v2, off, s[0:3], 0 offset:328
	buffer_store_dword v3, off, s[0:3], 0 offset:332
	v_cmpx_lt_u32_e32 40, v0
	s_cbranch_execz .LBB44_203
; %bb.202:
	s_clause 0x1
	buffer_load_dword v2, off, s[0:3], 0 offset:320
	buffer_load_dword v3, off, s[0:3], 0 offset:324
	buffer_store_dword v1, off, s[0:3], 0 offset:320
	buffer_store_dword v1, off, s[0:3], 0 offset:324
	s_waitcnt vmcnt(0)
	ds_write_b64 v99, v[2:3]
.LBB44_203:
	s_or_b32 exec_lo, exec_lo, s4
	s_waitcnt lgkmcnt(0)
	s_waitcnt_vscnt null, 0x0
	s_barrier
	buffer_gl0_inv
	s_clause 0x9
	buffer_load_dword v6, off, s[0:3], 0 offset:332
	buffer_load_dword v7, off, s[0:3], 0 offset:340
	;; [unrolled: 1-line block ×10, first 2 shown]
	ds_read2_b64 v[2:5], v1 offset0:87 offset1:88
	ds_read2_b64 v[100:103], v1 offset0:89 offset1:90
	s_mov_b32 s4, exec_lo
	s_waitcnt vmcnt(9) lgkmcnt(1)
	v_mul_f32_e32 v1, v2, v6
	v_mul_f32_e32 v6, v3, v6
	s_waitcnt vmcnt(8)
	v_mul_f32_e32 v111, v4, v7
	v_mul_f32_e32 v7, v5, v7
	s_waitcnt vmcnt(7) lgkmcnt(0)
	v_mul_f32_e32 v112, v100, v8
	s_waitcnt vmcnt(5)
	v_fmac_f32_e32 v1, v3, v105
	v_fma_f32 v2, v2, v105, -v6
	v_mul_f32_e32 v3, v101, v8
	s_waitcnt vmcnt(4)
	v_fma_f32 v4, v4, v106, -v7
	v_fmac_f32_e32 v111, v5, v106
	v_add_f32_e32 v1, 0, v1
	v_add_f32_e32 v2, 0, v2
	v_mul_f32_e32 v5, v103, v104
	s_waitcnt vmcnt(3)
	v_fma_f32 v3, v100, v107, -v3
	v_mul_f32_e32 v113, v102, v104
	v_fmac_f32_e32 v112, v101, v107
	v_add_f32_e32 v2, v2, v4
	v_add_f32_e32 v1, v1, v111
	s_waitcnt vmcnt(2)
	v_fma_f32 v4, v102, v108, -v5
	v_fmac_f32_e32 v113, v103, v108
	v_add_f32_e32 v2, v2, v3
	v_add_f32_e32 v1, v1, v112
	;; [unrolled: 1-line block ×4, first 2 shown]
	s_waitcnt vmcnt(1)
	v_sub_f32_e32 v2, v109, v2
	s_waitcnt vmcnt(0)
	v_sub_f32_e32 v1, v110, v1
	buffer_store_dword v2, off, s[0:3], 0 offset:320
	buffer_store_dword v1, off, s[0:3], 0 offset:324
	v_cmpx_lt_u32_e32 39, v0
	s_cbranch_execz .LBB44_205
; %bb.204:
	s_clause 0x1
	buffer_load_dword v1, off, s[0:3], 0 offset:312
	buffer_load_dword v2, off, s[0:3], 0 offset:316
	v_mov_b32_e32 v3, 0
	buffer_store_dword v3, off, s[0:3], 0 offset:312
	buffer_store_dword v3, off, s[0:3], 0 offset:316
	s_waitcnt vmcnt(0)
	ds_write_b64 v99, v[1:2]
.LBB44_205:
	s_or_b32 exec_lo, exec_lo, s4
	s_waitcnt lgkmcnt(0)
	s_waitcnt_vscnt null, 0x0
	s_barrier
	buffer_gl0_inv
	s_clause 0xb
	buffer_load_dword v8, off, s[0:3], 0 offset:324
	buffer_load_dword v104, off, s[0:3], 0 offset:332
	;; [unrolled: 1-line block ×12, first 2 shown]
	v_mov_b32_e32 v1, 0
	ds_read_b128 v[2:5], v1 offset:688
	ds_read_b128 v[100:103], v1 offset:704
	ds_read_b64 v[6:7], v1 offset:720
	s_mov_b32 s4, exec_lo
	s_waitcnt vmcnt(11) lgkmcnt(2)
	v_mul_f32_e32 v115, v2, v8
	v_mul_f32_e32 v8, v3, v8
	s_waitcnt vmcnt(10)
	v_mul_f32_e32 v116, v4, v104
	v_mul_f32_e32 v104, v5, v104
	s_waitcnt vmcnt(9) lgkmcnt(1)
	v_mul_f32_e32 v117, v100, v105
	s_waitcnt vmcnt(6)
	v_fmac_f32_e32 v115, v3, v108
	v_fma_f32 v2, v2, v108, -v8
	v_mul_f32_e32 v3, v101, v105
	s_waitcnt vmcnt(5)
	v_fma_f32 v4, v4, v109, -v104
	v_fmac_f32_e32 v116, v5, v109
	v_add_f32_e32 v5, 0, v115
	v_add_f32_e32 v2, 0, v2
	v_mul_f32_e32 v8, v103, v106
	s_waitcnt vmcnt(4)
	v_fma_f32 v3, v100, v110, -v3
	v_mul_f32_e32 v118, v102, v106
	v_fmac_f32_e32 v117, v101, v110
	v_add_f32_e32 v2, v2, v4
	v_add_f32_e32 v4, v5, v116
	s_waitcnt lgkmcnt(0)
	v_mul_f32_e32 v5, v7, v107
	s_waitcnt vmcnt(3)
	v_fma_f32 v8, v102, v111, -v8
	v_mul_f32_e32 v119, v6, v107
	v_add_f32_e32 v2, v2, v3
	v_fmac_f32_e32 v118, v103, v111
	v_add_f32_e32 v3, v4, v117
	s_waitcnt vmcnt(2)
	v_fma_f32 v4, v6, v112, -v5
	v_fmac_f32_e32 v119, v7, v112
	v_add_f32_e32 v2, v2, v8
	v_add_f32_e32 v3, v3, v118
	;; [unrolled: 1-line block ×4, first 2 shown]
	s_waitcnt vmcnt(1)
	v_sub_f32_e32 v2, v113, v2
	s_waitcnt vmcnt(0)
	v_sub_f32_e32 v3, v114, v3
	buffer_store_dword v2, off, s[0:3], 0 offset:312
	buffer_store_dword v3, off, s[0:3], 0 offset:316
	v_cmpx_lt_u32_e32 38, v0
	s_cbranch_execz .LBB44_207
; %bb.206:
	s_clause 0x1
	buffer_load_dword v2, off, s[0:3], 0 offset:304
	buffer_load_dword v3, off, s[0:3], 0 offset:308
	buffer_store_dword v1, off, s[0:3], 0 offset:304
	buffer_store_dword v1, off, s[0:3], 0 offset:308
	s_waitcnt vmcnt(0)
	ds_write_b64 v99, v[2:3]
.LBB44_207:
	s_or_b32 exec_lo, exec_lo, s4
	s_waitcnt lgkmcnt(0)
	s_waitcnt_vscnt null, 0x0
	s_barrier
	buffer_gl0_inv
	s_clause 0xd
	buffer_load_dword v6, off, s[0:3], 0 offset:316
	buffer_load_dword v7, off, s[0:3], 0 offset:324
	buffer_load_dword v8, off, s[0:3], 0 offset:332
	buffer_load_dword v108, off, s[0:3], 0 offset:340
	buffer_load_dword v109, off, s[0:3], 0 offset:348
	buffer_load_dword v110, off, s[0:3], 0 offset:356
	buffer_load_dword v111, off, s[0:3], 0 offset:312
	buffer_load_dword v112, off, s[0:3], 0 offset:320
	buffer_load_dword v113, off, s[0:3], 0 offset:328
	buffer_load_dword v114, off, s[0:3], 0 offset:336
	buffer_load_dword v115, off, s[0:3], 0 offset:344
	buffer_load_dword v116, off, s[0:3], 0 offset:352
	buffer_load_dword v117, off, s[0:3], 0 offset:304
	buffer_load_dword v118, off, s[0:3], 0 offset:308
	ds_read2_b64 v[2:5], v1 offset0:85 offset1:86
	ds_read2_b64 v[100:103], v1 offset0:87 offset1:88
	;; [unrolled: 1-line block ×3, first 2 shown]
	s_mov_b32 s4, exec_lo
	s_waitcnt vmcnt(13) lgkmcnt(2)
	v_mul_f32_e32 v1, v2, v6
	v_mul_f32_e32 v6, v3, v6
	s_waitcnt vmcnt(12)
	v_mul_f32_e32 v119, v4, v7
	v_mul_f32_e32 v7, v5, v7
	s_waitcnt vmcnt(11) lgkmcnt(1)
	v_mul_f32_e32 v120, v100, v8
	s_waitcnt vmcnt(10)
	v_mul_f32_e32 v121, v102, v108
	s_waitcnt vmcnt(7)
	v_fma_f32 v2, v2, v111, -v6
	v_fmac_f32_e32 v1, v3, v111
	v_mul_f32_e32 v3, v101, v8
	s_waitcnt vmcnt(6)
	v_fma_f32 v4, v4, v112, -v7
	v_fmac_f32_e32 v119, v5, v112
	v_add_f32_e32 v2, 0, v2
	v_add_f32_e32 v1, 0, v1
	v_mul_f32_e32 v5, v103, v108
	s_waitcnt vmcnt(5)
	v_fma_f32 v3, v100, v113, -v3
	v_fmac_f32_e32 v120, v101, v113
	v_add_f32_e32 v2, v2, v4
	v_add_f32_e32 v1, v1, v119
	s_waitcnt lgkmcnt(0)
	v_mul_f32_e32 v4, v105, v109
	s_waitcnt vmcnt(4)
	v_fma_f32 v5, v102, v114, -v5
	v_mul_f32_e32 v122, v104, v109
	v_add_f32_e32 v2, v2, v3
	v_fmac_f32_e32 v121, v103, v114
	v_add_f32_e32 v1, v1, v120
	v_mul_f32_e32 v3, v107, v110
	s_waitcnt vmcnt(3)
	v_fma_f32 v4, v104, v115, -v4
	v_add_f32_e32 v2, v2, v5
	v_mul_f32_e32 v123, v106, v110
	v_fmac_f32_e32 v122, v105, v115
	v_add_f32_e32 v1, v1, v121
	s_waitcnt vmcnt(2)
	v_fma_f32 v3, v106, v116, -v3
	v_add_f32_e32 v2, v2, v4
	v_fmac_f32_e32 v123, v107, v116
	v_add_f32_e32 v1, v1, v122
	v_add_f32_e32 v2, v2, v3
	;; [unrolled: 1-line block ×3, first 2 shown]
	s_waitcnt vmcnt(1)
	v_sub_f32_e32 v2, v117, v2
	s_waitcnt vmcnt(0)
	v_sub_f32_e32 v1, v118, v1
	buffer_store_dword v2, off, s[0:3], 0 offset:304
	buffer_store_dword v1, off, s[0:3], 0 offset:308
	v_cmpx_lt_u32_e32 37, v0
	s_cbranch_execz .LBB44_209
; %bb.208:
	s_clause 0x1
	buffer_load_dword v1, off, s[0:3], 0 offset:296
	buffer_load_dword v2, off, s[0:3], 0 offset:300
	v_mov_b32_e32 v3, 0
	buffer_store_dword v3, off, s[0:3], 0 offset:296
	buffer_store_dword v3, off, s[0:3], 0 offset:300
	s_waitcnt vmcnt(0)
	ds_write_b64 v99, v[1:2]
.LBB44_209:
	s_or_b32 exec_lo, exec_lo, s4
	s_waitcnt lgkmcnt(0)
	s_waitcnt_vscnt null, 0x0
	s_barrier
	buffer_gl0_inv
	s_clause 0xf
	buffer_load_dword v8, off, s[0:3], 0 offset:308
	buffer_load_dword v108, off, s[0:3], 0 offset:316
	;; [unrolled: 1-line block ×16, first 2 shown]
	v_mov_b32_e32 v1, 0
	ds_read_b128 v[2:5], v1 offset:672
	ds_read_b128 v[100:103], v1 offset:688
	;; [unrolled: 1-line block ×3, first 2 shown]
	ds_read_b64 v[6:7], v1 offset:720
	s_mov_b32 s4, exec_lo
	s_waitcnt vmcnt(15) lgkmcnt(3)
	v_mul_f32_e32 v123, v2, v8
	v_mul_f32_e32 v8, v3, v8
	s_waitcnt vmcnt(14)
	v_mul_f32_e32 v124, v4, v108
	v_mul_f32_e32 v108, v5, v108
	s_waitcnt vmcnt(13) lgkmcnt(2)
	v_mul_f32_e32 v125, v100, v109
	s_waitcnt vmcnt(12)
	v_mul_f32_e32 v126, v102, v110
	s_waitcnt vmcnt(11) lgkmcnt(1)
	v_mul_f32_e32 v127, v104, v111
	s_waitcnt vmcnt(8)
	v_fma_f32 v2, v2, v114, -v8
	v_fmac_f32_e32 v123, v3, v114
	v_mul_f32_e32 v3, v101, v109
	s_waitcnt vmcnt(7)
	v_fma_f32 v4, v4, v115, -v108
	v_fmac_f32_e32 v124, v5, v115
	v_add_f32_e32 v2, 0, v2
	v_add_f32_e32 v5, 0, v123
	v_mul_f32_e32 v8, v103, v110
	s_waitcnt vmcnt(6)
	v_fma_f32 v3, v100, v116, -v3
	v_fmac_f32_e32 v125, v101, v116
	v_add_f32_e32 v2, v2, v4
	v_add_f32_e32 v4, v5, v124
	;; [unrolled: 6-line block ×3, first 2 shown]
	v_mul_f32_e32 v4, v107, v112
	s_waitcnt vmcnt(4)
	v_fma_f32 v5, v104, v118, -v5
	v_mul_f32_e32 v128, v106, v112
	v_add_f32_e32 v2, v2, v8
	v_fmac_f32_e32 v127, v105, v118
	v_add_f32_e32 v3, v3, v126
	s_waitcnt lgkmcnt(0)
	v_mul_f32_e32 v8, v7, v113
	s_waitcnt vmcnt(3)
	v_fma_f32 v4, v106, v119, -v4
	v_add_f32_e32 v2, v2, v5
	v_mul_f32_e32 v129, v6, v113
	v_fmac_f32_e32 v128, v107, v119
	v_add_f32_e32 v3, v3, v127
	s_waitcnt vmcnt(2)
	v_fma_f32 v5, v6, v120, -v8
	v_add_f32_e32 v2, v2, v4
	v_fmac_f32_e32 v129, v7, v120
	v_add_f32_e32 v3, v3, v128
	v_add_f32_e32 v2, v2, v5
	;; [unrolled: 1-line block ×3, first 2 shown]
	s_waitcnt vmcnt(1)
	v_sub_f32_e32 v2, v121, v2
	s_waitcnt vmcnt(0)
	v_sub_f32_e32 v3, v122, v3
	buffer_store_dword v2, off, s[0:3], 0 offset:296
	buffer_store_dword v3, off, s[0:3], 0 offset:300
	v_cmpx_lt_u32_e32 36, v0
	s_cbranch_execz .LBB44_211
; %bb.210:
	s_clause 0x1
	buffer_load_dword v2, off, s[0:3], 0 offset:288
	buffer_load_dword v3, off, s[0:3], 0 offset:292
	buffer_store_dword v1, off, s[0:3], 0 offset:288
	buffer_store_dword v1, off, s[0:3], 0 offset:292
	s_waitcnt vmcnt(0)
	ds_write_b64 v99, v[2:3]
.LBB44_211:
	s_or_b32 exec_lo, exec_lo, s4
	s_waitcnt lgkmcnt(0)
	s_waitcnt_vscnt null, 0x0
	s_barrier
	buffer_gl0_inv
	s_clause 0x11
	buffer_load_dword v6, off, s[0:3], 0 offset:300
	buffer_load_dword v7, off, s[0:3], 0 offset:308
	;; [unrolled: 1-line block ×18, first 2 shown]
	ds_read2_b64 v[2:5], v1 offset0:83 offset1:84
	ds_read2_b64 v[100:103], v1 offset0:85 offset1:86
	;; [unrolled: 1-line block ×4, first 2 shown]
	s_mov_b32 s4, exec_lo
	s_waitcnt vmcnt(17) lgkmcnt(3)
	v_mul_f32_e32 v1, v2, v6
	v_mul_f32_e32 v6, v3, v6
	s_waitcnt vmcnt(16)
	v_mul_f32_e32 v127, v4, v7
	v_mul_f32_e32 v7, v5, v7
	s_waitcnt vmcnt(15) lgkmcnt(2)
	v_mul_f32_e32 v128, v100, v8
	s_waitcnt vmcnt(14)
	v_mul_f32_e32 v129, v102, v112
	s_waitcnt vmcnt(13) lgkmcnt(1)
	v_mul_f32_e32 v130, v104, v113
	s_waitcnt vmcnt(12)
	v_mul_f32_e32 v131, v106, v114
	s_waitcnt vmcnt(9)
	v_fma_f32 v2, v2, v117, -v6
	v_fmac_f32_e32 v1, v3, v117
	v_mul_f32_e32 v3, v101, v8
	s_waitcnt vmcnt(8)
	v_fma_f32 v4, v4, v118, -v7
	v_fmac_f32_e32 v127, v5, v118
	v_add_f32_e32 v2, 0, v2
	v_add_f32_e32 v1, 0, v1
	v_mul_f32_e32 v5, v103, v112
	s_waitcnt vmcnt(7)
	v_fma_f32 v3, v100, v119, -v3
	v_fmac_f32_e32 v128, v101, v119
	v_add_f32_e32 v2, v2, v4
	v_add_f32_e32 v1, v1, v127
	;; [unrolled: 6-line block ×4, first 2 shown]
	s_waitcnt lgkmcnt(0)
	v_mul_f32_e32 v5, v109, v115
	s_waitcnt vmcnt(4)
	v_fma_f32 v3, v106, v122, -v3
	v_mul_f32_e32 v132, v108, v115
	v_add_f32_e32 v2, v2, v4
	v_fmac_f32_e32 v131, v107, v122
	v_add_f32_e32 v1, v1, v130
	v_mul_f32_e32 v4, v111, v116
	s_waitcnt vmcnt(3)
	v_fma_f32 v5, v108, v123, -v5
	v_add_f32_e32 v2, v2, v3
	v_mul_f32_e32 v133, v110, v116
	v_fmac_f32_e32 v132, v109, v123
	v_add_f32_e32 v1, v1, v131
	s_waitcnt vmcnt(2)
	v_fma_f32 v3, v110, v124, -v4
	v_add_f32_e32 v2, v2, v5
	v_fmac_f32_e32 v133, v111, v124
	v_add_f32_e32 v1, v1, v132
	v_add_f32_e32 v2, v2, v3
	;; [unrolled: 1-line block ×3, first 2 shown]
	s_waitcnt vmcnt(1)
	v_sub_f32_e32 v2, v125, v2
	s_waitcnt vmcnt(0)
	v_sub_f32_e32 v1, v126, v1
	buffer_store_dword v2, off, s[0:3], 0 offset:288
	buffer_store_dword v1, off, s[0:3], 0 offset:292
	v_cmpx_lt_u32_e32 35, v0
	s_cbranch_execz .LBB44_213
; %bb.212:
	s_clause 0x1
	buffer_load_dword v1, off, s[0:3], 0 offset:280
	buffer_load_dword v2, off, s[0:3], 0 offset:284
	v_mov_b32_e32 v3, 0
	buffer_store_dword v3, off, s[0:3], 0 offset:280
	buffer_store_dword v3, off, s[0:3], 0 offset:284
	s_waitcnt vmcnt(0)
	ds_write_b64 v99, v[1:2]
.LBB44_213:
	s_or_b32 exec_lo, exec_lo, s4
	s_waitcnt lgkmcnt(0)
	s_waitcnt_vscnt null, 0x0
	s_barrier
	buffer_gl0_inv
	s_clause 0x13
	buffer_load_dword v8, off, s[0:3], 0 offset:292
	buffer_load_dword v112, off, s[0:3], 0 offset:300
	;; [unrolled: 1-line block ×20, first 2 shown]
	v_mov_b32_e32 v1, 0
	ds_read_b128 v[2:5], v1 offset:656
	ds_read_b128 v[100:103], v1 offset:672
	;; [unrolled: 1-line block ×4, first 2 shown]
	ds_read_b64 v[6:7], v1 offset:720
	s_mov_b32 s4, exec_lo
	s_waitcnt vmcnt(19) lgkmcnt(4)
	v_mul_f32_e32 v131, v2, v8
	v_mul_f32_e32 v8, v3, v8
	s_waitcnt vmcnt(18)
	v_mul_f32_e32 v132, v4, v112
	v_mul_f32_e32 v112, v5, v112
	s_waitcnt vmcnt(17) lgkmcnt(3)
	v_mul_f32_e32 v133, v100, v113
	s_waitcnt vmcnt(16)
	v_mul_f32_e32 v134, v102, v114
	s_waitcnt vmcnt(15) lgkmcnt(2)
	v_mul_f32_e32 v135, v104, v115
	s_waitcnt vmcnt(14)
	;; [unrolled: 4-line block ×3, first 2 shown]
	v_fma_f32 v2, v2, v120, -v8
	v_fmac_f32_e32 v131, v3, v120
	v_mul_f32_e32 v3, v101, v113
	s_waitcnt vmcnt(9)
	v_fma_f32 v4, v4, v121, -v112
	v_fmac_f32_e32 v132, v5, v121
	v_add_f32_e32 v2, 0, v2
	v_add_f32_e32 v5, 0, v131
	v_mul_f32_e32 v8, v103, v114
	s_waitcnt vmcnt(8)
	v_fma_f32 v3, v100, v122, -v3
	v_fmac_f32_e32 v133, v101, v122
	v_add_f32_e32 v2, v2, v4
	v_add_f32_e32 v4, v5, v132
	;; [unrolled: 6-line block ×5, first 2 shown]
	v_mul_f32_e32 v5, v111, v118
	s_waitcnt vmcnt(4)
	v_fma_f32 v8, v108, v126, -v8
	v_mul_f32_e32 v138, v110, v118
	v_add_f32_e32 v2, v2, v4
	v_fmac_f32_e32 v137, v109, v126
	v_add_f32_e32 v3, v3, v136
	s_waitcnt lgkmcnt(0)
	v_mul_f32_e32 v4, v7, v119
	s_waitcnt vmcnt(3)
	v_fma_f32 v5, v110, v127, -v5
	v_add_f32_e32 v2, v2, v8
	v_mul_f32_e32 v139, v6, v119
	v_fmac_f32_e32 v138, v111, v127
	v_add_f32_e32 v3, v3, v137
	s_waitcnt vmcnt(2)
	v_fma_f32 v4, v6, v128, -v4
	v_add_f32_e32 v2, v2, v5
	v_fmac_f32_e32 v139, v7, v128
	v_add_f32_e32 v3, v3, v138
	v_add_f32_e32 v2, v2, v4
	;; [unrolled: 1-line block ×3, first 2 shown]
	s_waitcnt vmcnt(1)
	v_sub_f32_e32 v2, v129, v2
	s_waitcnt vmcnt(0)
	v_sub_f32_e32 v3, v130, v3
	buffer_store_dword v2, off, s[0:3], 0 offset:280
	buffer_store_dword v3, off, s[0:3], 0 offset:284
	v_cmpx_lt_u32_e32 34, v0
	s_cbranch_execz .LBB44_215
; %bb.214:
	s_clause 0x1
	buffer_load_dword v2, off, s[0:3], 0 offset:272
	buffer_load_dword v3, off, s[0:3], 0 offset:276
	buffer_store_dword v1, off, s[0:3], 0 offset:272
	buffer_store_dword v1, off, s[0:3], 0 offset:276
	s_waitcnt vmcnt(0)
	ds_write_b64 v99, v[2:3]
.LBB44_215:
	s_or_b32 exec_lo, exec_lo, s4
	s_waitcnt lgkmcnt(0)
	s_waitcnt_vscnt null, 0x0
	s_barrier
	buffer_gl0_inv
	s_clause 0x15
	buffer_load_dword v6, off, s[0:3], 0 offset:284
	buffer_load_dword v7, off, s[0:3], 0 offset:292
	buffer_load_dword v8, off, s[0:3], 0 offset:300
	buffer_load_dword v116, off, s[0:3], 0 offset:308
	buffer_load_dword v117, off, s[0:3], 0 offset:316
	buffer_load_dword v118, off, s[0:3], 0 offset:324
	buffer_load_dword v119, off, s[0:3], 0 offset:332
	buffer_load_dword v120, off, s[0:3], 0 offset:340
	buffer_load_dword v121, off, s[0:3], 0 offset:348
	buffer_load_dword v122, off, s[0:3], 0 offset:356
	buffer_load_dword v123, off, s[0:3], 0 offset:280
	buffer_load_dword v124, off, s[0:3], 0 offset:288
	buffer_load_dword v125, off, s[0:3], 0 offset:296
	buffer_load_dword v126, off, s[0:3], 0 offset:304
	buffer_load_dword v127, off, s[0:3], 0 offset:312
	buffer_load_dword v128, off, s[0:3], 0 offset:320
	buffer_load_dword v129, off, s[0:3], 0 offset:328
	buffer_load_dword v130, off, s[0:3], 0 offset:336
	buffer_load_dword v131, off, s[0:3], 0 offset:344
	buffer_load_dword v132, off, s[0:3], 0 offset:352
	buffer_load_dword v133, off, s[0:3], 0 offset:272
	buffer_load_dword v134, off, s[0:3], 0 offset:276
	ds_read2_b64 v[2:5], v1 offset0:81 offset1:82
	ds_read2_b64 v[100:103], v1 offset0:83 offset1:84
	;; [unrolled: 1-line block ×5, first 2 shown]
	s_mov_b32 s4, exec_lo
	s_waitcnt vmcnt(21) lgkmcnt(4)
	v_mul_f32_e32 v1, v2, v6
	v_mul_f32_e32 v6, v3, v6
	s_waitcnt vmcnt(20)
	v_mul_f32_e32 v135, v4, v7
	v_mul_f32_e32 v7, v5, v7
	s_waitcnt vmcnt(19) lgkmcnt(3)
	v_mul_f32_e32 v136, v100, v8
	s_waitcnt vmcnt(18)
	v_mul_f32_e32 v137, v102, v116
	s_waitcnt vmcnt(17) lgkmcnt(2)
	v_mul_f32_e32 v138, v104, v117
	s_waitcnt vmcnt(16)
	;; [unrolled: 4-line block ×3, first 2 shown]
	v_mul_f32_e32 v141, v110, v120
	s_waitcnt vmcnt(11)
	v_fma_f32 v2, v2, v123, -v6
	v_fmac_f32_e32 v1, v3, v123
	v_mul_f32_e32 v3, v101, v8
	s_waitcnt vmcnt(10)
	v_fma_f32 v4, v4, v124, -v7
	v_fmac_f32_e32 v135, v5, v124
	v_add_f32_e32 v2, 0, v2
	v_add_f32_e32 v1, 0, v1
	v_mul_f32_e32 v5, v103, v116
	s_waitcnt vmcnt(9)
	v_fma_f32 v3, v100, v125, -v3
	v_fmac_f32_e32 v136, v101, v125
	v_add_f32_e32 v2, v2, v4
	v_add_f32_e32 v1, v1, v135
	;; [unrolled: 6-line block ×6, first 2 shown]
	s_waitcnt lgkmcnt(0)
	v_mul_f32_e32 v3, v113, v121
	s_waitcnt vmcnt(4)
	v_fma_f32 v4, v110, v130, -v4
	v_mul_f32_e32 v142, v112, v121
	v_add_f32_e32 v2, v2, v5
	v_fmac_f32_e32 v141, v111, v130
	v_add_f32_e32 v1, v1, v140
	v_mul_f32_e32 v5, v115, v122
	s_waitcnt vmcnt(3)
	v_fma_f32 v3, v112, v131, -v3
	v_add_f32_e32 v2, v2, v4
	v_mul_f32_e32 v143, v114, v122
	v_fmac_f32_e32 v142, v113, v131
	v_add_f32_e32 v1, v1, v141
	s_waitcnt vmcnt(2)
	v_fma_f32 v4, v114, v132, -v5
	v_add_f32_e32 v2, v2, v3
	v_fmac_f32_e32 v143, v115, v132
	v_add_f32_e32 v1, v1, v142
	v_add_f32_e32 v2, v2, v4
	;; [unrolled: 1-line block ×3, first 2 shown]
	s_waitcnt vmcnt(1)
	v_sub_f32_e32 v2, v133, v2
	s_waitcnt vmcnt(0)
	v_sub_f32_e32 v1, v134, v1
	buffer_store_dword v2, off, s[0:3], 0 offset:272
	buffer_store_dword v1, off, s[0:3], 0 offset:276
	v_cmpx_lt_u32_e32 33, v0
	s_cbranch_execz .LBB44_217
; %bb.216:
	s_clause 0x1
	buffer_load_dword v1, off, s[0:3], 0 offset:264
	buffer_load_dword v2, off, s[0:3], 0 offset:268
	v_mov_b32_e32 v3, 0
	buffer_store_dword v3, off, s[0:3], 0 offset:264
	buffer_store_dword v3, off, s[0:3], 0 offset:268
	s_waitcnt vmcnt(0)
	ds_write_b64 v99, v[1:2]
.LBB44_217:
	s_or_b32 exec_lo, exec_lo, s4
	s_waitcnt lgkmcnt(0)
	s_waitcnt_vscnt null, 0x0
	s_barrier
	buffer_gl0_inv
	s_clause 0x17
	buffer_load_dword v8, off, s[0:3], 0 offset:276
	buffer_load_dword v116, off, s[0:3], 0 offset:284
	;; [unrolled: 1-line block ×24, first 2 shown]
	v_mov_b32_e32 v1, 0
	ds_read_b128 v[2:5], v1 offset:640
	ds_read_b128 v[100:103], v1 offset:656
	;; [unrolled: 1-line block ×5, first 2 shown]
	ds_read_b64 v[6:7], v1 offset:720
	s_mov_b32 s4, exec_lo
	s_waitcnt vmcnt(23) lgkmcnt(5)
	v_mul_f32_e32 v139, v2, v8
	v_mul_f32_e32 v8, v3, v8
	s_waitcnt vmcnt(22)
	v_mul_f32_e32 v140, v4, v116
	v_mul_f32_e32 v116, v5, v116
	s_waitcnt vmcnt(21) lgkmcnt(4)
	v_mul_f32_e32 v141, v100, v117
	s_waitcnt vmcnt(20)
	v_mul_f32_e32 v142, v102, v118
	s_waitcnt vmcnt(19) lgkmcnt(3)
	v_mul_f32_e32 v143, v104, v119
	s_waitcnt vmcnt(18)
	;; [unrolled: 4-line block ×4, first 2 shown]
	v_fma_f32 v2, v2, v126, -v8
	v_fmac_f32_e32 v139, v3, v126
	v_mul_f32_e32 v3, v101, v117
	s_waitcnt vmcnt(11)
	v_fma_f32 v4, v4, v127, -v116
	v_fmac_f32_e32 v140, v5, v127
	v_add_f32_e32 v2, 0, v2
	v_add_f32_e32 v5, 0, v139
	v_mul_f32_e32 v8, v103, v118
	s_waitcnt vmcnt(10)
	v_fma_f32 v3, v100, v128, -v3
	v_fmac_f32_e32 v141, v101, v128
	v_add_f32_e32 v2, v2, v4
	v_add_f32_e32 v4, v5, v140
	;; [unrolled: 6-line block ×7, first 2 shown]
	v_mul_f32_e32 v8, v115, v124
	s_waitcnt vmcnt(4)
	v_fma_f32 v4, v112, v134, -v4
	v_mul_f32_e32 v148, v114, v124
	v_add_f32_e32 v2, v2, v5
	v_fmac_f32_e32 v147, v113, v134
	v_add_f32_e32 v3, v3, v146
	s_waitcnt lgkmcnt(0)
	v_mul_f32_e32 v5, v7, v125
	s_waitcnt vmcnt(3)
	v_fma_f32 v8, v114, v135, -v8
	v_add_f32_e32 v2, v2, v4
	v_mul_f32_e32 v149, v6, v125
	v_fmac_f32_e32 v148, v115, v135
	v_add_f32_e32 v3, v3, v147
	s_waitcnt vmcnt(2)
	v_fma_f32 v4, v6, v136, -v5
	v_add_f32_e32 v2, v2, v8
	v_fmac_f32_e32 v149, v7, v136
	v_add_f32_e32 v3, v3, v148
	v_add_f32_e32 v2, v2, v4
	;; [unrolled: 1-line block ×3, first 2 shown]
	s_waitcnt vmcnt(1)
	v_sub_f32_e32 v2, v137, v2
	s_waitcnt vmcnt(0)
	v_sub_f32_e32 v3, v138, v3
	buffer_store_dword v2, off, s[0:3], 0 offset:264
	buffer_store_dword v3, off, s[0:3], 0 offset:268
	v_cmpx_lt_u32_e32 32, v0
	s_cbranch_execz .LBB44_219
; %bb.218:
	s_clause 0x1
	buffer_load_dword v2, off, s[0:3], 0 offset:256
	buffer_load_dword v3, off, s[0:3], 0 offset:260
	buffer_store_dword v1, off, s[0:3], 0 offset:256
	buffer_store_dword v1, off, s[0:3], 0 offset:260
	s_waitcnt vmcnt(0)
	ds_write_b64 v99, v[2:3]
.LBB44_219:
	s_or_b32 exec_lo, exec_lo, s4
	s_waitcnt lgkmcnt(0)
	s_waitcnt_vscnt null, 0x0
	s_barrier
	buffer_gl0_inv
	s_clause 0x19
	buffer_load_dword v6, off, s[0:3], 0 offset:268
	buffer_load_dword v7, off, s[0:3], 0 offset:276
	buffer_load_dword v8, off, s[0:3], 0 offset:284
	buffer_load_dword v120, off, s[0:3], 0 offset:292
	buffer_load_dword v121, off, s[0:3], 0 offset:300
	buffer_load_dword v122, off, s[0:3], 0 offset:308
	buffer_load_dword v123, off, s[0:3], 0 offset:316
	buffer_load_dword v124, off, s[0:3], 0 offset:324
	buffer_load_dword v125, off, s[0:3], 0 offset:332
	buffer_load_dword v126, off, s[0:3], 0 offset:340
	buffer_load_dword v127, off, s[0:3], 0 offset:348
	buffer_load_dword v128, off, s[0:3], 0 offset:356
	buffer_load_dword v129, off, s[0:3], 0 offset:264
	buffer_load_dword v130, off, s[0:3], 0 offset:272
	buffer_load_dword v131, off, s[0:3], 0 offset:280
	buffer_load_dword v132, off, s[0:3], 0 offset:288
	buffer_load_dword v133, off, s[0:3], 0 offset:296
	buffer_load_dword v134, off, s[0:3], 0 offset:304
	buffer_load_dword v135, off, s[0:3], 0 offset:312
	buffer_load_dword v136, off, s[0:3], 0 offset:320
	buffer_load_dword v137, off, s[0:3], 0 offset:328
	buffer_load_dword v138, off, s[0:3], 0 offset:336
	buffer_load_dword v139, off, s[0:3], 0 offset:344
	buffer_load_dword v140, off, s[0:3], 0 offset:352
	buffer_load_dword v141, off, s[0:3], 0 offset:256
	buffer_load_dword v142, off, s[0:3], 0 offset:260
	ds_read2_b64 v[2:5], v1 offset0:79 offset1:80
	ds_read2_b64 v[100:103], v1 offset0:81 offset1:82
	;; [unrolled: 1-line block ×6, first 2 shown]
	s_mov_b32 s4, exec_lo
	s_waitcnt vmcnt(25) lgkmcnt(5)
	v_mul_f32_e32 v1, v2, v6
	v_mul_f32_e32 v6, v3, v6
	s_waitcnt vmcnt(24)
	v_mul_f32_e32 v143, v4, v7
	v_mul_f32_e32 v7, v5, v7
	s_waitcnt vmcnt(23) lgkmcnt(4)
	v_mul_f32_e32 v144, v100, v8
	s_waitcnt vmcnt(22)
	v_mul_f32_e32 v145, v102, v120
	s_waitcnt vmcnt(21) lgkmcnt(3)
	v_mul_f32_e32 v146, v104, v121
	s_waitcnt vmcnt(20)
	v_mul_f32_e32 v147, v106, v122
	s_waitcnt vmcnt(19) lgkmcnt(2)
	v_mul_f32_e32 v148, v108, v123
	s_waitcnt vmcnt(18)
	v_mul_f32_e32 v149, v110, v124
	s_waitcnt vmcnt(17) lgkmcnt(1)
	v_mul_f32_e32 v150, v112, v125
	s_waitcnt vmcnt(16)
	v_mul_f32_e32 v151, v114, v126
	s_waitcnt vmcnt(13)
	v_fma_f32 v2, v2, v129, -v6
	v_fmac_f32_e32 v1, v3, v129
	v_mul_f32_e32 v3, v101, v8
	s_waitcnt vmcnt(12)
	v_fma_f32 v4, v4, v130, -v7
	v_fmac_f32_e32 v143, v5, v130
	v_add_f32_e32 v2, 0, v2
	v_add_f32_e32 v1, 0, v1
	v_mul_f32_e32 v5, v103, v120
	s_waitcnt vmcnt(11)
	v_fma_f32 v3, v100, v131, -v3
	v_fmac_f32_e32 v144, v101, v131
	v_add_f32_e32 v2, v2, v4
	v_add_f32_e32 v1, v1, v143
	;; [unrolled: 6-line block ×8, first 2 shown]
	s_waitcnt lgkmcnt(0)
	v_mul_f32_e32 v4, v117, v127
	s_waitcnt vmcnt(4)
	v_fma_f32 v5, v114, v138, -v5
	v_mul_f32_e32 v152, v116, v127
	v_add_f32_e32 v2, v2, v3
	v_fmac_f32_e32 v151, v115, v138
	v_add_f32_e32 v1, v1, v150
	v_mul_f32_e32 v3, v119, v128
	s_waitcnt vmcnt(3)
	v_fma_f32 v4, v116, v139, -v4
	v_add_f32_e32 v2, v2, v5
	v_mul_f32_e32 v153, v118, v128
	v_fmac_f32_e32 v152, v117, v139
	v_add_f32_e32 v1, v1, v151
	s_waitcnt vmcnt(2)
	v_fma_f32 v3, v118, v140, -v3
	v_add_f32_e32 v2, v2, v4
	v_fmac_f32_e32 v153, v119, v140
	v_add_f32_e32 v1, v1, v152
	v_add_f32_e32 v2, v2, v3
	;; [unrolled: 1-line block ×3, first 2 shown]
	s_waitcnt vmcnt(1)
	v_sub_f32_e32 v2, v141, v2
	s_waitcnt vmcnt(0)
	v_sub_f32_e32 v1, v142, v1
	buffer_store_dword v2, off, s[0:3], 0 offset:256
	buffer_store_dword v1, off, s[0:3], 0 offset:260
	v_cmpx_lt_u32_e32 31, v0
	s_cbranch_execz .LBB44_221
; %bb.220:
	s_clause 0x1
	buffer_load_dword v1, off, s[0:3], 0 offset:248
	buffer_load_dword v2, off, s[0:3], 0 offset:252
	v_mov_b32_e32 v3, 0
	buffer_store_dword v3, off, s[0:3], 0 offset:248
	buffer_store_dword v3, off, s[0:3], 0 offset:252
	s_waitcnt vmcnt(0)
	ds_write_b64 v99, v[1:2]
.LBB44_221:
	s_or_b32 exec_lo, exec_lo, s4
	s_waitcnt lgkmcnt(0)
	s_waitcnt_vscnt null, 0x0
	s_barrier
	buffer_gl0_inv
	s_clause 0x1b
	buffer_load_dword v8, off, s[0:3], 0 offset:260
	buffer_load_dword v120, off, s[0:3], 0 offset:268
	;; [unrolled: 1-line block ×28, first 2 shown]
	v_mov_b32_e32 v1, 0
	ds_read_b128 v[2:5], v1 offset:624
	ds_read_b128 v[100:103], v1 offset:640
	;; [unrolled: 1-line block ×6, first 2 shown]
	ds_read_b64 v[6:7], v1 offset:720
	s_mov_b32 s4, exec_lo
	s_waitcnt vmcnt(27) lgkmcnt(6)
	v_mul_f32_e32 v147, v2, v8
	v_mul_f32_e32 v8, v3, v8
	s_waitcnt vmcnt(26)
	v_mul_f32_e32 v148, v4, v120
	v_mul_f32_e32 v120, v5, v120
	s_waitcnt vmcnt(25) lgkmcnt(5)
	v_mul_f32_e32 v149, v100, v121
	s_waitcnt vmcnt(24)
	v_mul_f32_e32 v150, v102, v122
	s_waitcnt vmcnt(23) lgkmcnt(4)
	v_mul_f32_e32 v151, v104, v123
	s_waitcnt vmcnt(22)
	;; [unrolled: 4-line block ×5, first 2 shown]
	v_fma_f32 v2, v2, v132, -v8
	v_fmac_f32_e32 v147, v3, v132
	v_mul_f32_e32 v3, v101, v121
	s_waitcnt vmcnt(13)
	v_fma_f32 v4, v4, v133, -v120
	v_fmac_f32_e32 v148, v5, v133
	v_add_f32_e32 v2, 0, v2
	v_add_f32_e32 v5, 0, v147
	v_mul_f32_e32 v8, v103, v122
	s_waitcnt vmcnt(12)
	v_fma_f32 v3, v100, v134, -v3
	v_fmac_f32_e32 v149, v101, v134
	v_add_f32_e32 v2, v2, v4
	v_add_f32_e32 v4, v5, v148
	;; [unrolled: 6-line block ×9, first 2 shown]
	v_mul_f32_e32 v4, v119, v130
	s_waitcnt vmcnt(4)
	v_fma_f32 v5, v116, v142, -v5
	v_mul_f32_e32 v158, v118, v130
	v_add_f32_e32 v2, v2, v8
	v_fmac_f32_e32 v157, v117, v142
	v_add_f32_e32 v3, v3, v156
	s_waitcnt lgkmcnt(0)
	v_mul_f32_e32 v8, v7, v131
	s_waitcnt vmcnt(3)
	v_fma_f32 v4, v118, v143, -v4
	v_add_f32_e32 v2, v2, v5
	v_mul_f32_e32 v159, v6, v131
	v_fmac_f32_e32 v158, v119, v143
	v_add_f32_e32 v3, v3, v157
	s_waitcnt vmcnt(2)
	v_fma_f32 v5, v6, v144, -v8
	v_add_f32_e32 v2, v2, v4
	v_fmac_f32_e32 v159, v7, v144
	v_add_f32_e32 v3, v3, v158
	v_add_f32_e32 v2, v2, v5
	;; [unrolled: 1-line block ×3, first 2 shown]
	s_waitcnt vmcnt(1)
	v_sub_f32_e32 v2, v145, v2
	s_waitcnt vmcnt(0)
	v_sub_f32_e32 v3, v146, v3
	buffer_store_dword v2, off, s[0:3], 0 offset:248
	buffer_store_dword v3, off, s[0:3], 0 offset:252
	v_cmpx_lt_u32_e32 30, v0
	s_cbranch_execz .LBB44_223
; %bb.222:
	s_clause 0x1
	buffer_load_dword v2, off, s[0:3], 0 offset:240
	buffer_load_dword v3, off, s[0:3], 0 offset:244
	buffer_store_dword v1, off, s[0:3], 0 offset:240
	buffer_store_dword v1, off, s[0:3], 0 offset:244
	s_waitcnt vmcnt(0)
	ds_write_b64 v99, v[2:3]
.LBB44_223:
	s_or_b32 exec_lo, exec_lo, s4
	s_waitcnt lgkmcnt(0)
	s_waitcnt_vscnt null, 0x0
	s_barrier
	buffer_gl0_inv
	s_clause 0x1d
	buffer_load_dword v6, off, s[0:3], 0 offset:252
	buffer_load_dword v7, off, s[0:3], 0 offset:260
	;; [unrolled: 1-line block ×30, first 2 shown]
	ds_read2_b64 v[2:5], v1 offset0:77 offset1:78
	ds_read2_b64 v[100:103], v1 offset0:79 offset1:80
	;; [unrolled: 1-line block ×7, first 2 shown]
	s_mov_b32 s4, exec_lo
	s_waitcnt vmcnt(29) lgkmcnt(6)
	v_mul_f32_e32 v1, v2, v6
	v_mul_f32_e32 v6, v3, v6
	s_waitcnt vmcnt(28)
	v_mul_f32_e32 v151, v4, v7
	v_mul_f32_e32 v7, v5, v7
	s_waitcnt vmcnt(27) lgkmcnt(5)
	v_mul_f32_e32 v152, v100, v8
	s_waitcnt vmcnt(26)
	v_mul_f32_e32 v153, v102, v124
	s_waitcnt vmcnt(25) lgkmcnt(4)
	v_mul_f32_e32 v154, v104, v125
	s_waitcnt vmcnt(24)
	;; [unrolled: 4-line block ×5, first 2 shown]
	v_mul_f32_e32 v161, v118, v132
	s_waitcnt vmcnt(15)
	v_fma_f32 v2, v2, v135, -v6
	v_fmac_f32_e32 v1, v3, v135
	v_mul_f32_e32 v3, v101, v8
	s_waitcnt vmcnt(14)
	v_fma_f32 v4, v4, v136, -v7
	v_fmac_f32_e32 v151, v5, v136
	v_add_f32_e32 v2, 0, v2
	v_add_f32_e32 v1, 0, v1
	v_mul_f32_e32 v5, v103, v124
	s_waitcnt vmcnt(13)
	v_fma_f32 v3, v100, v137, -v3
	v_fmac_f32_e32 v152, v101, v137
	v_add_f32_e32 v2, v2, v4
	v_add_f32_e32 v1, v1, v151
	;; [unrolled: 6-line block ×10, first 2 shown]
	s_waitcnt lgkmcnt(0)
	v_mul_f32_e32 v5, v121, v133
	s_waitcnt vmcnt(4)
	v_fma_f32 v3, v118, v146, -v3
	v_mul_f32_e32 v162, v120, v133
	v_add_f32_e32 v2, v2, v4
	v_fmac_f32_e32 v161, v119, v146
	v_add_f32_e32 v1, v1, v160
	v_mul_f32_e32 v4, v123, v134
	s_waitcnt vmcnt(3)
	v_fma_f32 v5, v120, v147, -v5
	v_add_f32_e32 v2, v2, v3
	v_mul_f32_e32 v163, v122, v134
	v_fmac_f32_e32 v162, v121, v147
	v_add_f32_e32 v1, v1, v161
	s_waitcnt vmcnt(2)
	v_fma_f32 v3, v122, v148, -v4
	v_add_f32_e32 v2, v2, v5
	v_fmac_f32_e32 v163, v123, v148
	v_add_f32_e32 v1, v1, v162
	v_add_f32_e32 v2, v2, v3
	;; [unrolled: 1-line block ×3, first 2 shown]
	s_waitcnt vmcnt(1)
	v_sub_f32_e32 v2, v149, v2
	s_waitcnt vmcnt(0)
	v_sub_f32_e32 v1, v150, v1
	buffer_store_dword v2, off, s[0:3], 0 offset:240
	buffer_store_dword v1, off, s[0:3], 0 offset:244
	v_cmpx_lt_u32_e32 29, v0
	s_cbranch_execz .LBB44_225
; %bb.224:
	s_clause 0x1
	buffer_load_dword v1, off, s[0:3], 0 offset:232
	buffer_load_dword v2, off, s[0:3], 0 offset:236
	v_mov_b32_e32 v3, 0
	buffer_store_dword v3, off, s[0:3], 0 offset:232
	buffer_store_dword v3, off, s[0:3], 0 offset:236
	s_waitcnt vmcnt(0)
	ds_write_b64 v99, v[1:2]
.LBB44_225:
	s_or_b32 exec_lo, exec_lo, s4
	s_waitcnt lgkmcnt(0)
	s_waitcnt_vscnt null, 0x0
	s_barrier
	buffer_gl0_inv
	s_clause 0x1f
	buffer_load_dword v8, off, s[0:3], 0 offset:244
	buffer_load_dword v124, off, s[0:3], 0 offset:252
	;; [unrolled: 1-line block ×32, first 2 shown]
	v_mov_b32_e32 v1, 0
	ds_read_b128 v[2:5], v1 offset:608
	ds_read_b128 v[100:103], v1 offset:624
	;; [unrolled: 1-line block ×7, first 2 shown]
	ds_read_b64 v[6:7], v1 offset:720
	s_mov_b32 s4, exec_lo
	s_waitcnt vmcnt(31) lgkmcnt(7)
	v_mul_f32_e32 v155, v2, v8
	v_mul_f32_e32 v8, v3, v8
	s_waitcnt vmcnt(30)
	v_mul_f32_e32 v156, v4, v124
	v_mul_f32_e32 v124, v5, v124
	s_waitcnt vmcnt(29) lgkmcnt(6)
	v_mul_f32_e32 v157, v100, v125
	s_waitcnt vmcnt(28)
	v_mul_f32_e32 v158, v102, v126
	s_waitcnt vmcnt(27) lgkmcnt(5)
	v_mul_f32_e32 v159, v104, v127
	s_waitcnt vmcnt(26)
	;; [unrolled: 4-line block ×6, first 2 shown]
	v_fma_f32 v2, v2, v138, -v8
	v_fmac_f32_e32 v155, v3, v138
	v_mul_f32_e32 v3, v101, v125
	s_waitcnt vmcnt(15)
	v_fma_f32 v4, v4, v139, -v124
	v_fmac_f32_e32 v156, v5, v139
	v_add_f32_e32 v2, 0, v2
	v_add_f32_e32 v5, 0, v155
	v_mul_f32_e32 v8, v103, v126
	s_waitcnt vmcnt(14)
	v_fma_f32 v3, v100, v140, -v3
	v_fmac_f32_e32 v157, v101, v140
	v_add_f32_e32 v2, v2, v4
	v_add_f32_e32 v4, v5, v156
	;; [unrolled: 6-line block ×11, first 2 shown]
	v_mul_f32_e32 v5, v123, v136
	s_waitcnt vmcnt(4)
	v_fma_f32 v8, v120, v150, -v8
	v_mul_f32_e32 v168, v122, v136
	v_add_f32_e32 v2, v2, v4
	v_fmac_f32_e32 v167, v121, v150
	v_add_f32_e32 v3, v3, v166
	s_waitcnt lgkmcnt(0)
	v_mul_f32_e32 v4, v7, v137
	s_waitcnt vmcnt(3)
	v_fma_f32 v5, v122, v151, -v5
	v_add_f32_e32 v2, v2, v8
	v_mul_f32_e32 v169, v6, v137
	v_fmac_f32_e32 v168, v123, v151
	v_add_f32_e32 v3, v3, v167
	s_waitcnt vmcnt(2)
	v_fma_f32 v4, v6, v152, -v4
	v_add_f32_e32 v2, v2, v5
	v_fmac_f32_e32 v169, v7, v152
	v_add_f32_e32 v3, v3, v168
	v_add_f32_e32 v2, v2, v4
	;; [unrolled: 1-line block ×3, first 2 shown]
	s_waitcnt vmcnt(1)
	v_sub_f32_e32 v2, v153, v2
	s_waitcnt vmcnt(0)
	v_sub_f32_e32 v3, v154, v3
	buffer_store_dword v2, off, s[0:3], 0 offset:232
	buffer_store_dword v3, off, s[0:3], 0 offset:236
	v_cmpx_lt_u32_e32 28, v0
	s_cbranch_execz .LBB44_227
; %bb.226:
	s_clause 0x1
	buffer_load_dword v2, off, s[0:3], 0 offset:224
	buffer_load_dword v3, off, s[0:3], 0 offset:228
	buffer_store_dword v1, off, s[0:3], 0 offset:224
	buffer_store_dword v1, off, s[0:3], 0 offset:228
	s_waitcnt vmcnt(0)
	ds_write_b64 v99, v[2:3]
.LBB44_227:
	s_or_b32 exec_lo, exec_lo, s4
	s_waitcnt lgkmcnt(0)
	s_waitcnt_vscnt null, 0x0
	s_barrier
	buffer_gl0_inv
	s_clause 0x21
	buffer_load_dword v6, off, s[0:3], 0 offset:236
	buffer_load_dword v7, off, s[0:3], 0 offset:244
	buffer_load_dword v8, off, s[0:3], 0 offset:252
	buffer_load_dword v128, off, s[0:3], 0 offset:260
	buffer_load_dword v129, off, s[0:3], 0 offset:268
	buffer_load_dword v130, off, s[0:3], 0 offset:276
	buffer_load_dword v131, off, s[0:3], 0 offset:284
	buffer_load_dword v132, off, s[0:3], 0 offset:292
	buffer_load_dword v133, off, s[0:3], 0 offset:300
	buffer_load_dword v134, off, s[0:3], 0 offset:308
	buffer_load_dword v135, off, s[0:3], 0 offset:316
	buffer_load_dword v136, off, s[0:3], 0 offset:324
	buffer_load_dword v137, off, s[0:3], 0 offset:332
	buffer_load_dword v138, off, s[0:3], 0 offset:340
	buffer_load_dword v139, off, s[0:3], 0 offset:348
	buffer_load_dword v140, off, s[0:3], 0 offset:356
	buffer_load_dword v141, off, s[0:3], 0 offset:232
	buffer_load_dword v142, off, s[0:3], 0 offset:240
	buffer_load_dword v143, off, s[0:3], 0 offset:248
	buffer_load_dword v144, off, s[0:3], 0 offset:256
	buffer_load_dword v145, off, s[0:3], 0 offset:264
	buffer_load_dword v146, off, s[0:3], 0 offset:272
	buffer_load_dword v147, off, s[0:3], 0 offset:280
	buffer_load_dword v148, off, s[0:3], 0 offset:288
	buffer_load_dword v149, off, s[0:3], 0 offset:296
	buffer_load_dword v150, off, s[0:3], 0 offset:304
	buffer_load_dword v151, off, s[0:3], 0 offset:312
	buffer_load_dword v152, off, s[0:3], 0 offset:320
	buffer_load_dword v153, off, s[0:3], 0 offset:328
	buffer_load_dword v154, off, s[0:3], 0 offset:336
	buffer_load_dword v155, off, s[0:3], 0 offset:344
	buffer_load_dword v156, off, s[0:3], 0 offset:352
	buffer_load_dword v157, off, s[0:3], 0 offset:224
	buffer_load_dword v158, off, s[0:3], 0 offset:228
	ds_read2_b64 v[2:5], v1 offset0:75 offset1:76
	ds_read2_b64 v[100:103], v1 offset0:77 offset1:78
	;; [unrolled: 1-line block ×8, first 2 shown]
	s_mov_b32 s4, exec_lo
	s_waitcnt vmcnt(33) lgkmcnt(7)
	v_mul_f32_e32 v1, v2, v6
	v_mul_f32_e32 v6, v3, v6
	s_waitcnt vmcnt(32)
	v_mul_f32_e32 v159, v4, v7
	v_mul_f32_e32 v7, v5, v7
	s_waitcnt vmcnt(31) lgkmcnt(6)
	v_mul_f32_e32 v160, v100, v8
	s_waitcnt vmcnt(30)
	v_mul_f32_e32 v161, v102, v128
	s_waitcnt vmcnt(29) lgkmcnt(5)
	v_mul_f32_e32 v162, v104, v129
	s_waitcnt vmcnt(28)
	;; [unrolled: 4-line block ×6, first 2 shown]
	v_mul_f32_e32 v171, v122, v138
	s_waitcnt vmcnt(17)
	v_fma_f32 v2, v2, v141, -v6
	v_fmac_f32_e32 v1, v3, v141
	v_mul_f32_e32 v3, v101, v8
	s_waitcnt vmcnt(16)
	v_fma_f32 v4, v4, v142, -v7
	v_fmac_f32_e32 v159, v5, v142
	v_add_f32_e32 v2, 0, v2
	v_add_f32_e32 v1, 0, v1
	v_mul_f32_e32 v5, v103, v128
	s_waitcnt vmcnt(15)
	v_fma_f32 v3, v100, v143, -v3
	v_fmac_f32_e32 v160, v101, v143
	v_add_f32_e32 v2, v2, v4
	v_add_f32_e32 v1, v1, v159
	;; [unrolled: 6-line block ×12, first 2 shown]
	s_waitcnt lgkmcnt(0)
	v_mul_f32_e32 v3, v125, v139
	s_waitcnt vmcnt(4)
	v_fma_f32 v4, v122, v154, -v4
	v_mul_f32_e32 v172, v124, v139
	v_add_f32_e32 v2, v2, v5
	v_fmac_f32_e32 v171, v123, v154
	v_add_f32_e32 v1, v1, v170
	v_mul_f32_e32 v5, v127, v140
	s_waitcnt vmcnt(3)
	v_fma_f32 v3, v124, v155, -v3
	v_add_f32_e32 v2, v2, v4
	v_mul_f32_e32 v173, v126, v140
	v_fmac_f32_e32 v172, v125, v155
	v_add_f32_e32 v1, v1, v171
	s_waitcnt vmcnt(2)
	v_fma_f32 v4, v126, v156, -v5
	v_add_f32_e32 v2, v2, v3
	v_fmac_f32_e32 v173, v127, v156
	v_add_f32_e32 v1, v1, v172
	v_add_f32_e32 v2, v2, v4
	v_add_f32_e32 v1, v1, v173
	s_waitcnt vmcnt(1)
	v_sub_f32_e32 v2, v157, v2
	s_waitcnt vmcnt(0)
	v_sub_f32_e32 v1, v158, v1
	buffer_store_dword v2, off, s[0:3], 0 offset:224
	buffer_store_dword v1, off, s[0:3], 0 offset:228
	v_cmpx_lt_u32_e32 27, v0
	s_cbranch_execz .LBB44_229
; %bb.228:
	s_clause 0x1
	buffer_load_dword v1, off, s[0:3], 0 offset:216
	buffer_load_dword v2, off, s[0:3], 0 offset:220
	v_mov_b32_e32 v3, 0
	buffer_store_dword v3, off, s[0:3], 0 offset:216
	buffer_store_dword v3, off, s[0:3], 0 offset:220
	s_waitcnt vmcnt(0)
	ds_write_b64 v99, v[1:2]
.LBB44_229:
	s_or_b32 exec_lo, exec_lo, s4
	s_waitcnt lgkmcnt(0)
	s_waitcnt_vscnt null, 0x0
	s_barrier
	buffer_gl0_inv
	s_clause 0x23
	buffer_load_dword v8, off, s[0:3], 0 offset:228
	buffer_load_dword v128, off, s[0:3], 0 offset:236
	;; [unrolled: 1-line block ×36, first 2 shown]
	v_mov_b32_e32 v1, 0
	ds_read_b128 v[2:5], v1 offset:592
	ds_read_b128 v[100:103], v1 offset:608
	;; [unrolled: 1-line block ×8, first 2 shown]
	ds_read_b64 v[6:7], v1 offset:720
	s_mov_b32 s4, exec_lo
	s_waitcnt vmcnt(35) lgkmcnt(8)
	v_mul_f32_e32 v163, v2, v8
	v_mul_f32_e32 v8, v3, v8
	s_waitcnt vmcnt(34)
	v_mul_f32_e32 v164, v4, v128
	v_mul_f32_e32 v128, v5, v128
	s_waitcnt vmcnt(33) lgkmcnt(7)
	v_mul_f32_e32 v165, v100, v129
	s_waitcnt vmcnt(32)
	v_mul_f32_e32 v166, v102, v130
	s_waitcnt vmcnt(31) lgkmcnt(6)
	v_mul_f32_e32 v167, v104, v131
	s_waitcnt vmcnt(30)
	;; [unrolled: 4-line block ×7, first 2 shown]
	v_fma_f32 v2, v2, v144, -v8
	v_fmac_f32_e32 v163, v3, v144
	v_mul_f32_e32 v3, v101, v129
	s_waitcnt vmcnt(17)
	v_fma_f32 v4, v4, v145, -v128
	v_fmac_f32_e32 v164, v5, v145
	v_add_f32_e32 v2, 0, v2
	v_add_f32_e32 v5, 0, v163
	v_mul_f32_e32 v8, v103, v130
	s_waitcnt vmcnt(16)
	v_fma_f32 v3, v100, v146, -v3
	v_fmac_f32_e32 v165, v101, v146
	v_add_f32_e32 v2, v2, v4
	v_add_f32_e32 v4, v5, v164
	;; [unrolled: 6-line block ×13, first 2 shown]
	v_mul_f32_e32 v8, v127, v142
	s_waitcnt vmcnt(4)
	v_fma_f32 v4, v124, v158, -v4
	v_mul_f32_e32 v178, v126, v142
	v_add_f32_e32 v2, v2, v5
	v_fmac_f32_e32 v177, v125, v158
	v_add_f32_e32 v3, v3, v176
	s_waitcnt lgkmcnt(0)
	v_mul_f32_e32 v5, v7, v143
	s_waitcnt vmcnt(3)
	v_fma_f32 v8, v126, v159, -v8
	v_add_f32_e32 v2, v2, v4
	v_mul_f32_e32 v179, v6, v143
	v_fmac_f32_e32 v178, v127, v159
	v_add_f32_e32 v3, v3, v177
	s_waitcnt vmcnt(2)
	v_fma_f32 v4, v6, v160, -v5
	v_add_f32_e32 v2, v2, v8
	v_fmac_f32_e32 v179, v7, v160
	v_add_f32_e32 v3, v3, v178
	v_add_f32_e32 v2, v2, v4
	;; [unrolled: 1-line block ×3, first 2 shown]
	s_waitcnt vmcnt(1)
	v_sub_f32_e32 v2, v161, v2
	s_waitcnt vmcnt(0)
	v_sub_f32_e32 v3, v162, v3
	buffer_store_dword v2, off, s[0:3], 0 offset:216
	buffer_store_dword v3, off, s[0:3], 0 offset:220
	v_cmpx_lt_u32_e32 26, v0
	s_cbranch_execz .LBB44_231
; %bb.230:
	s_clause 0x1
	buffer_load_dword v2, off, s[0:3], 0 offset:208
	buffer_load_dword v3, off, s[0:3], 0 offset:212
	buffer_store_dword v1, off, s[0:3], 0 offset:208
	buffer_store_dword v1, off, s[0:3], 0 offset:212
	s_waitcnt vmcnt(0)
	ds_write_b64 v99, v[2:3]
.LBB44_231:
	s_or_b32 exec_lo, exec_lo, s4
	s_waitcnt lgkmcnt(0)
	s_waitcnt_vscnt null, 0x0
	s_barrier
	buffer_gl0_inv
	s_clause 0x25
	buffer_load_dword v6, off, s[0:3], 0 offset:220
	buffer_load_dword v7, off, s[0:3], 0 offset:228
	;; [unrolled: 1-line block ×38, first 2 shown]
	ds_read2_b64 v[2:5], v1 offset0:73 offset1:74
	ds_read2_b64 v[100:103], v1 offset0:75 offset1:76
	ds_read2_b64 v[104:107], v1 offset0:77 offset1:78
	ds_read2_b64 v[108:111], v1 offset0:79 offset1:80
	ds_read2_b64 v[112:115], v1 offset0:81 offset1:82
	ds_read2_b64 v[116:119], v1 offset0:83 offset1:84
	ds_read2_b64 v[120:123], v1 offset0:85 offset1:86
	ds_read2_b64 v[124:127], v1 offset0:87 offset1:88
	ds_read2_b64 v[128:131], v1 offset0:89 offset1:90
	s_mov_b32 s4, exec_lo
	s_waitcnt vmcnt(37) lgkmcnt(8)
	v_mul_f32_e32 v1, v2, v6
	v_mul_f32_e32 v6, v3, v6
	s_waitcnt vmcnt(36)
	v_mul_f32_e32 v167, v4, v7
	v_mul_f32_e32 v7, v5, v7
	s_waitcnt vmcnt(35) lgkmcnt(7)
	v_mul_f32_e32 v168, v100, v8
	s_waitcnt vmcnt(34)
	v_mul_f32_e32 v169, v102, v132
	s_waitcnt vmcnt(33) lgkmcnt(6)
	v_mul_f32_e32 v170, v104, v133
	s_waitcnt vmcnt(32)
	;; [unrolled: 4-line block ×7, first 2 shown]
	v_mul_f32_e32 v181, v126, v144
	s_waitcnt vmcnt(19)
	v_fma_f32 v2, v2, v147, -v6
	v_fmac_f32_e32 v1, v3, v147
	v_mul_f32_e32 v3, v101, v8
	s_waitcnt vmcnt(18)
	v_fma_f32 v4, v4, v148, -v7
	v_fmac_f32_e32 v167, v5, v148
	v_add_f32_e32 v2, 0, v2
	v_add_f32_e32 v1, 0, v1
	v_mul_f32_e32 v5, v103, v132
	s_waitcnt vmcnt(17)
	v_fma_f32 v3, v100, v149, -v3
	v_fmac_f32_e32 v168, v101, v149
	v_add_f32_e32 v2, v2, v4
	v_add_f32_e32 v1, v1, v167
	;; [unrolled: 6-line block ×14, first 2 shown]
	s_waitcnt lgkmcnt(0)
	v_mul_f32_e32 v4, v129, v145
	s_waitcnt vmcnt(4)
	v_fma_f32 v5, v126, v162, -v5
	v_mul_f32_e32 v182, v128, v145
	v_add_f32_e32 v2, v2, v3
	v_fmac_f32_e32 v181, v127, v162
	v_add_f32_e32 v1, v1, v180
	v_mul_f32_e32 v3, v131, v146
	s_waitcnt vmcnt(3)
	v_fma_f32 v4, v128, v163, -v4
	v_add_f32_e32 v2, v2, v5
	v_mul_f32_e32 v183, v130, v146
	v_fmac_f32_e32 v182, v129, v163
	v_add_f32_e32 v1, v1, v181
	s_waitcnt vmcnt(2)
	v_fma_f32 v3, v130, v164, -v3
	v_add_f32_e32 v2, v2, v4
	v_fmac_f32_e32 v183, v131, v164
	v_add_f32_e32 v1, v1, v182
	v_add_f32_e32 v2, v2, v3
	v_add_f32_e32 v1, v1, v183
	s_waitcnt vmcnt(1)
	v_sub_f32_e32 v2, v165, v2
	s_waitcnt vmcnt(0)
	v_sub_f32_e32 v1, v166, v1
	buffer_store_dword v2, off, s[0:3], 0 offset:208
	buffer_store_dword v1, off, s[0:3], 0 offset:212
	v_cmpx_lt_u32_e32 25, v0
	s_cbranch_execz .LBB44_233
; %bb.232:
	s_clause 0x1
	buffer_load_dword v1, off, s[0:3], 0 offset:200
	buffer_load_dword v2, off, s[0:3], 0 offset:204
	v_mov_b32_e32 v3, 0
	buffer_store_dword v3, off, s[0:3], 0 offset:200
	buffer_store_dword v3, off, s[0:3], 0 offset:204
	s_waitcnt vmcnt(0)
	ds_write_b64 v99, v[1:2]
.LBB44_233:
	s_or_b32 exec_lo, exec_lo, s4
	s_waitcnt lgkmcnt(0)
	s_waitcnt_vscnt null, 0x0
	s_barrier
	buffer_gl0_inv
	s_clause 0x27
	buffer_load_dword v8, off, s[0:3], 0 offset:212
	buffer_load_dword v132, off, s[0:3], 0 offset:220
	;; [unrolled: 1-line block ×40, first 2 shown]
	v_mov_b32_e32 v1, 0
	ds_read_b128 v[2:5], v1 offset:576
	ds_read_b128 v[100:103], v1 offset:592
	;; [unrolled: 1-line block ×9, first 2 shown]
	ds_read_b64 v[6:7], v1 offset:720
	s_mov_b32 s4, exec_lo
	s_waitcnt vmcnt(39) lgkmcnt(9)
	v_mul_f32_e32 v171, v2, v8
	v_mul_f32_e32 v8, v3, v8
	s_waitcnt vmcnt(38)
	v_mul_f32_e32 v172, v4, v132
	v_mul_f32_e32 v132, v5, v132
	s_waitcnt vmcnt(37) lgkmcnt(8)
	v_mul_f32_e32 v173, v100, v133
	s_waitcnt vmcnt(36)
	v_mul_f32_e32 v174, v102, v134
	s_waitcnt vmcnt(35) lgkmcnt(7)
	v_mul_f32_e32 v175, v104, v135
	s_waitcnt vmcnt(34)
	;; [unrolled: 4-line block ×8, first 2 shown]
	v_fma_f32 v2, v2, v150, -v8
	v_fmac_f32_e32 v171, v3, v150
	v_mul_f32_e32 v3, v101, v133
	s_waitcnt vmcnt(19)
	v_fma_f32 v4, v4, v151, -v132
	v_fmac_f32_e32 v172, v5, v151
	v_add_f32_e32 v2, 0, v2
	v_add_f32_e32 v5, 0, v171
	v_mul_f32_e32 v8, v103, v134
	s_waitcnt vmcnt(18)
	v_fma_f32 v3, v100, v152, -v3
	v_fmac_f32_e32 v173, v101, v152
	v_add_f32_e32 v2, v2, v4
	v_add_f32_e32 v4, v5, v172
	v_mul_f32_e32 v5, v105, v135
	s_waitcnt vmcnt(17)
	v_fma_f32 v8, v102, v153, -v8
	v_fmac_f32_e32 v174, v103, v153
	v_add_f32_e32 v2, v2, v3
	v_add_f32_e32 v3, v4, v173
	v_mul_f32_e32 v4, v107, v136
	s_waitcnt vmcnt(16)
	v_fma_f32 v5, v104, v154, -v5
	v_fmac_f32_e32 v175, v105, v154
	v_add_f32_e32 v2, v2, v8
	v_add_f32_e32 v3, v3, v174
	v_mul_f32_e32 v8, v109, v137
	s_waitcnt vmcnt(15)
	v_fma_f32 v4, v106, v155, -v4
	v_fmac_f32_e32 v176, v107, v155
	v_add_f32_e32 v2, v2, v5
	v_add_f32_e32 v3, v3, v175
	v_mul_f32_e32 v5, v111, v138
	s_waitcnt vmcnt(14)
	v_fma_f32 v8, v108, v156, -v8
	v_fmac_f32_e32 v177, v109, v156
	v_add_f32_e32 v2, v2, v4
	v_add_f32_e32 v3, v3, v176
	v_mul_f32_e32 v4, v113, v139
	s_waitcnt vmcnt(13)
	v_fma_f32 v5, v110, v157, -v5
	v_fmac_f32_e32 v178, v111, v157
	v_add_f32_e32 v2, v2, v8
	v_add_f32_e32 v3, v3, v177
	v_mul_f32_e32 v8, v115, v140
	s_waitcnt vmcnt(12)
	v_fma_f32 v4, v112, v158, -v4
	v_fmac_f32_e32 v179, v113, v158
	v_add_f32_e32 v2, v2, v5
	v_add_f32_e32 v3, v3, v178
	v_mul_f32_e32 v5, v117, v141
	s_waitcnt vmcnt(11)
	v_fma_f32 v8, v114, v159, -v8
	v_fmac_f32_e32 v180, v115, v159
	v_add_f32_e32 v2, v2, v4
	v_add_f32_e32 v3, v3, v179
	v_mul_f32_e32 v4, v119, v142
	s_waitcnt vmcnt(10)
	v_fma_f32 v5, v116, v160, -v5
	v_fmac_f32_e32 v181, v117, v160
	v_add_f32_e32 v2, v2, v8
	v_add_f32_e32 v3, v3, v180
	v_mul_f32_e32 v8, v121, v143
	s_waitcnt vmcnt(9)
	v_fma_f32 v4, v118, v161, -v4
	v_fmac_f32_e32 v182, v119, v161
	v_add_f32_e32 v2, v2, v5
	v_add_f32_e32 v3, v3, v181
	v_mul_f32_e32 v5, v123, v144
	s_waitcnt vmcnt(8)
	v_fma_f32 v8, v120, v162, -v8
	v_fmac_f32_e32 v183, v121, v162
	v_add_f32_e32 v2, v2, v4
	v_add_f32_e32 v3, v3, v182
	v_mul_f32_e32 v4, v125, v145
	s_waitcnt vmcnt(7)
	v_fma_f32 v5, v122, v163, -v5
	v_fmac_f32_e32 v184, v123, v163
	v_add_f32_e32 v2, v2, v8
	v_add_f32_e32 v3, v3, v183
	v_mul_f32_e32 v8, v127, v146
	s_waitcnt vmcnt(6)
	v_fma_f32 v4, v124, v164, -v4
	v_fmac_f32_e32 v185, v125, v164
	v_add_f32_e32 v2, v2, v5
	v_add_f32_e32 v3, v3, v184
	v_mul_f32_e32 v5, v129, v147
	s_waitcnt vmcnt(5)
	v_fma_f32 v8, v126, v165, -v8
	v_fmac_f32_e32 v186, v127, v165
	v_add_f32_e32 v2, v2, v4
	v_add_f32_e32 v3, v3, v185
	v_mul_f32_e32 v4, v131, v148
	s_waitcnt vmcnt(4)
	v_fma_f32 v5, v128, v166, -v5
	v_mul_f32_e32 v188, v130, v148
	v_add_f32_e32 v2, v2, v8
	v_fmac_f32_e32 v187, v129, v166
	v_add_f32_e32 v3, v3, v186
	s_waitcnt lgkmcnt(0)
	v_mul_f32_e32 v8, v7, v149
	s_waitcnt vmcnt(3)
	v_fma_f32 v4, v130, v167, -v4
	v_add_f32_e32 v2, v2, v5
	v_mul_f32_e32 v189, v6, v149
	v_fmac_f32_e32 v188, v131, v167
	v_add_f32_e32 v3, v3, v187
	s_waitcnt vmcnt(2)
	v_fma_f32 v5, v6, v168, -v8
	v_add_f32_e32 v2, v2, v4
	v_fmac_f32_e32 v189, v7, v168
	v_add_f32_e32 v3, v3, v188
	v_add_f32_e32 v2, v2, v5
	v_add_f32_e32 v3, v3, v189
	s_waitcnt vmcnt(1)
	v_sub_f32_e32 v2, v169, v2
	s_waitcnt vmcnt(0)
	v_sub_f32_e32 v3, v170, v3
	buffer_store_dword v2, off, s[0:3], 0 offset:200
	buffer_store_dword v3, off, s[0:3], 0 offset:204
	v_cmpx_lt_u32_e32 24, v0
	s_cbranch_execz .LBB44_235
; %bb.234:
	s_clause 0x1
	buffer_load_dword v2, off, s[0:3], 0 offset:192
	buffer_load_dword v3, off, s[0:3], 0 offset:196
	buffer_store_dword v1, off, s[0:3], 0 offset:192
	buffer_store_dword v1, off, s[0:3], 0 offset:196
	s_waitcnt vmcnt(0)
	ds_write_b64 v99, v[2:3]
.LBB44_235:
	s_or_b32 exec_lo, exec_lo, s4
	s_waitcnt lgkmcnt(0)
	s_waitcnt_vscnt null, 0x0
	s_barrier
	buffer_gl0_inv
	s_clause 0x29
	buffer_load_dword v6, off, s[0:3], 0 offset:204
	buffer_load_dword v7, off, s[0:3], 0 offset:212
	;; [unrolled: 1-line block ×42, first 2 shown]
	ds_read2_b64 v[2:5], v1 offset0:71 offset1:72
	ds_read2_b64 v[100:103], v1 offset0:73 offset1:74
	;; [unrolled: 1-line block ×10, first 2 shown]
	s_mov_b32 s4, exec_lo
	s_waitcnt vmcnt(41) lgkmcnt(9)
	v_mul_f32_e32 v1, v2, v6
	v_mul_f32_e32 v6, v3, v6
	s_waitcnt vmcnt(40)
	v_mul_f32_e32 v175, v4, v7
	v_mul_f32_e32 v7, v5, v7
	s_waitcnt vmcnt(39) lgkmcnt(8)
	v_mul_f32_e32 v176, v100, v8
	s_waitcnt vmcnt(38)
	v_mul_f32_e32 v177, v102, v136
	s_waitcnt vmcnt(37) lgkmcnt(7)
	v_mul_f32_e32 v178, v104, v137
	s_waitcnt vmcnt(36)
	;; [unrolled: 4-line block ×8, first 2 shown]
	v_mul_f32_e32 v191, v130, v150
	s_waitcnt vmcnt(21)
	v_fma_f32 v2, v2, v153, -v6
	v_fmac_f32_e32 v1, v3, v153
	v_mul_f32_e32 v3, v101, v8
	s_waitcnt vmcnt(20)
	v_fma_f32 v4, v4, v154, -v7
	v_fmac_f32_e32 v175, v5, v154
	v_add_f32_e32 v2, 0, v2
	v_add_f32_e32 v1, 0, v1
	v_mul_f32_e32 v5, v103, v136
	s_waitcnt vmcnt(19)
	v_fma_f32 v3, v100, v155, -v3
	v_fmac_f32_e32 v176, v101, v155
	v_add_f32_e32 v2, v2, v4
	v_add_f32_e32 v1, v1, v175
	;; [unrolled: 6-line block ×16, first 2 shown]
	s_waitcnt lgkmcnt(0)
	v_mul_f32_e32 v5, v133, v151
	s_waitcnt vmcnt(4)
	v_fma_f32 v3, v130, v170, -v3
	v_mul_f32_e32 v192, v132, v151
	v_add_f32_e32 v2, v2, v4
	v_fmac_f32_e32 v191, v131, v170
	v_add_f32_e32 v1, v1, v190
	v_mul_f32_e32 v4, v135, v152
	s_waitcnt vmcnt(3)
	v_fma_f32 v5, v132, v171, -v5
	v_add_f32_e32 v2, v2, v3
	v_mul_f32_e32 v193, v134, v152
	v_fmac_f32_e32 v192, v133, v171
	v_add_f32_e32 v1, v1, v191
	s_waitcnt vmcnt(2)
	v_fma_f32 v3, v134, v172, -v4
	v_add_f32_e32 v2, v2, v5
	v_fmac_f32_e32 v193, v135, v172
	v_add_f32_e32 v1, v1, v192
	v_add_f32_e32 v2, v2, v3
	;; [unrolled: 1-line block ×3, first 2 shown]
	s_waitcnt vmcnt(1)
	v_sub_f32_e32 v2, v173, v2
	s_waitcnt vmcnt(0)
	v_sub_f32_e32 v1, v174, v1
	buffer_store_dword v2, off, s[0:3], 0 offset:192
	buffer_store_dword v1, off, s[0:3], 0 offset:196
	v_cmpx_lt_u32_e32 23, v0
	s_cbranch_execz .LBB44_237
; %bb.236:
	s_clause 0x1
	buffer_load_dword v1, off, s[0:3], 0 offset:184
	buffer_load_dword v2, off, s[0:3], 0 offset:188
	v_mov_b32_e32 v3, 0
	buffer_store_dword v3, off, s[0:3], 0 offset:184
	buffer_store_dword v3, off, s[0:3], 0 offset:188
	s_waitcnt vmcnt(0)
	ds_write_b64 v99, v[1:2]
.LBB44_237:
	s_or_b32 exec_lo, exec_lo, s4
	s_waitcnt lgkmcnt(0)
	s_waitcnt_vscnt null, 0x0
	s_barrier
	buffer_gl0_inv
	s_clause 0x2b
	buffer_load_dword v8, off, s[0:3], 0 offset:196
	buffer_load_dword v136, off, s[0:3], 0 offset:204
	;; [unrolled: 1-line block ×44, first 2 shown]
	v_mov_b32_e32 v1, 0
	ds_read_b128 v[2:5], v1 offset:560
	ds_read_b128 v[100:103], v1 offset:576
	;; [unrolled: 1-line block ×10, first 2 shown]
	ds_read_b64 v[6:7], v1 offset:720
	s_mov_b32 s4, exec_lo
	s_waitcnt vmcnt(43) lgkmcnt(10)
	v_mul_f32_e32 v179, v2, v8
	v_mul_f32_e32 v8, v3, v8
	s_waitcnt vmcnt(42)
	v_mul_f32_e32 v180, v4, v136
	v_mul_f32_e32 v136, v5, v136
	s_waitcnt vmcnt(41) lgkmcnt(9)
	v_mul_f32_e32 v181, v100, v137
	s_waitcnt vmcnt(40)
	v_mul_f32_e32 v182, v102, v138
	s_waitcnt vmcnt(39) lgkmcnt(8)
	v_mul_f32_e32 v183, v104, v139
	s_waitcnt vmcnt(38)
	;; [unrolled: 4-line block ×9, first 2 shown]
	v_fma_f32 v2, v2, v156, -v8
	v_fmac_f32_e32 v179, v3, v156
	v_mul_f32_e32 v3, v101, v137
	s_waitcnt vmcnt(21)
	v_fma_f32 v4, v4, v157, -v136
	v_fmac_f32_e32 v180, v5, v157
	v_add_f32_e32 v2, 0, v2
	v_add_f32_e32 v5, 0, v179
	v_mul_f32_e32 v8, v103, v138
	s_waitcnt vmcnt(20)
	v_fma_f32 v3, v100, v158, -v3
	v_fmac_f32_e32 v181, v101, v158
	v_add_f32_e32 v2, v2, v4
	v_add_f32_e32 v4, v5, v180
	;; [unrolled: 6-line block ×17, first 2 shown]
	v_mul_f32_e32 v5, v135, v154
	s_waitcnt vmcnt(4)
	v_fma_f32 v8, v132, v174, -v8
	v_mul_f32_e32 v198, v134, v154
	v_add_f32_e32 v2, v2, v4
	v_fmac_f32_e32 v197, v133, v174
	v_add_f32_e32 v3, v3, v196
	s_waitcnt lgkmcnt(0)
	v_mul_f32_e32 v4, v7, v155
	s_waitcnt vmcnt(3)
	v_fma_f32 v5, v134, v175, -v5
	v_add_f32_e32 v2, v2, v8
	v_mul_f32_e32 v199, v6, v155
	v_fmac_f32_e32 v198, v135, v175
	v_add_f32_e32 v3, v3, v197
	s_waitcnt vmcnt(2)
	v_fma_f32 v4, v6, v176, -v4
	v_add_f32_e32 v2, v2, v5
	v_fmac_f32_e32 v199, v7, v176
	v_add_f32_e32 v3, v3, v198
	v_add_f32_e32 v2, v2, v4
	;; [unrolled: 1-line block ×3, first 2 shown]
	s_waitcnt vmcnt(1)
	v_sub_f32_e32 v2, v177, v2
	s_waitcnt vmcnt(0)
	v_sub_f32_e32 v3, v178, v3
	buffer_store_dword v2, off, s[0:3], 0 offset:184
	buffer_store_dword v3, off, s[0:3], 0 offset:188
	v_cmpx_lt_u32_e32 22, v0
	s_cbranch_execz .LBB44_239
; %bb.238:
	s_clause 0x1
	buffer_load_dword v2, off, s[0:3], 0 offset:176
	buffer_load_dword v3, off, s[0:3], 0 offset:180
	buffer_store_dword v1, off, s[0:3], 0 offset:176
	buffer_store_dword v1, off, s[0:3], 0 offset:180
	s_waitcnt vmcnt(0)
	ds_write_b64 v99, v[2:3]
.LBB44_239:
	s_or_b32 exec_lo, exec_lo, s4
	s_waitcnt lgkmcnt(0)
	s_waitcnt_vscnt null, 0x0
	s_barrier
	buffer_gl0_inv
	s_clause 0x2d
	buffer_load_dword v6, off, s[0:3], 0 offset:188
	buffer_load_dword v7, off, s[0:3], 0 offset:196
	;; [unrolled: 1-line block ×46, first 2 shown]
	ds_read2_b64 v[2:5], v1 offset0:69 offset1:70
	ds_read2_b64 v[100:103], v1 offset0:71 offset1:72
	;; [unrolled: 1-line block ×11, first 2 shown]
	s_mov_b32 s4, exec_lo
	s_waitcnt vmcnt(45) lgkmcnt(10)
	v_mul_f32_e32 v1, v2, v6
	v_mul_f32_e32 v6, v3, v6
	s_waitcnt vmcnt(44)
	v_mul_f32_e32 v183, v4, v7
	v_mul_f32_e32 v7, v5, v7
	s_waitcnt vmcnt(43) lgkmcnt(9)
	v_mul_f32_e32 v184, v100, v8
	s_waitcnt vmcnt(42)
	v_mul_f32_e32 v185, v102, v140
	s_waitcnt vmcnt(41) lgkmcnt(8)
	v_mul_f32_e32 v186, v104, v141
	s_waitcnt vmcnt(40)
	;; [unrolled: 4-line block ×9, first 2 shown]
	v_mul_f32_e32 v201, v134, v156
	s_waitcnt vmcnt(23)
	v_fma_f32 v2, v2, v159, -v6
	v_fmac_f32_e32 v1, v3, v159
	v_mul_f32_e32 v3, v101, v8
	s_waitcnt vmcnt(22)
	v_fma_f32 v4, v4, v160, -v7
	v_fmac_f32_e32 v183, v5, v160
	v_add_f32_e32 v2, 0, v2
	v_add_f32_e32 v1, 0, v1
	v_mul_f32_e32 v5, v103, v140
	s_waitcnt vmcnt(21)
	v_fma_f32 v3, v100, v161, -v3
	v_fmac_f32_e32 v184, v101, v161
	v_add_f32_e32 v2, v2, v4
	v_add_f32_e32 v1, v1, v183
	;; [unrolled: 6-line block ×18, first 2 shown]
	s_waitcnt lgkmcnt(0)
	v_mul_f32_e32 v3, v137, v157
	s_waitcnt vmcnt(4)
	v_fma_f32 v4, v134, v178, -v4
	v_mul_f32_e32 v202, v136, v157
	v_add_f32_e32 v2, v2, v5
	v_fmac_f32_e32 v201, v135, v178
	v_add_f32_e32 v1, v1, v200
	v_mul_f32_e32 v5, v139, v158
	s_waitcnt vmcnt(3)
	v_fma_f32 v3, v136, v179, -v3
	v_add_f32_e32 v2, v2, v4
	v_mul_f32_e32 v203, v138, v158
	v_fmac_f32_e32 v202, v137, v179
	v_add_f32_e32 v1, v1, v201
	s_waitcnt vmcnt(2)
	v_fma_f32 v4, v138, v180, -v5
	v_add_f32_e32 v2, v2, v3
	v_fmac_f32_e32 v203, v139, v180
	v_add_f32_e32 v1, v1, v202
	v_add_f32_e32 v2, v2, v4
	;; [unrolled: 1-line block ×3, first 2 shown]
	s_waitcnt vmcnt(1)
	v_sub_f32_e32 v2, v181, v2
	s_waitcnt vmcnt(0)
	v_sub_f32_e32 v1, v182, v1
	buffer_store_dword v2, off, s[0:3], 0 offset:176
	buffer_store_dword v1, off, s[0:3], 0 offset:180
	v_cmpx_lt_u32_e32 21, v0
	s_cbranch_execz .LBB44_241
; %bb.240:
	s_clause 0x1
	buffer_load_dword v1, off, s[0:3], 0 offset:168
	buffer_load_dword v2, off, s[0:3], 0 offset:172
	v_mov_b32_e32 v3, 0
	buffer_store_dword v3, off, s[0:3], 0 offset:168
	buffer_store_dword v3, off, s[0:3], 0 offset:172
	s_waitcnt vmcnt(0)
	ds_write_b64 v99, v[1:2]
.LBB44_241:
	s_or_b32 exec_lo, exec_lo, s4
	s_waitcnt lgkmcnt(0)
	s_waitcnt_vscnt null, 0x0
	s_barrier
	buffer_gl0_inv
	s_clause 0x2f
	buffer_load_dword v8, off, s[0:3], 0 offset:180
	buffer_load_dword v140, off, s[0:3], 0 offset:188
	;; [unrolled: 1-line block ×48, first 2 shown]
	v_mov_b32_e32 v1, 0
	ds_read_b128 v[2:5], v1 offset:544
	ds_read_b128 v[100:103], v1 offset:560
	;; [unrolled: 1-line block ×11, first 2 shown]
	ds_read_b64 v[6:7], v1 offset:720
	s_mov_b32 s4, exec_lo
	s_waitcnt vmcnt(47) lgkmcnt(11)
	v_mul_f32_e32 v187, v2, v8
	v_mul_f32_e32 v8, v3, v8
	s_waitcnt vmcnt(46)
	v_mul_f32_e32 v188, v4, v140
	v_mul_f32_e32 v140, v5, v140
	s_waitcnt vmcnt(45) lgkmcnt(10)
	v_mul_f32_e32 v189, v100, v141
	s_waitcnt vmcnt(44)
	v_mul_f32_e32 v190, v102, v142
	s_waitcnt vmcnt(43) lgkmcnt(9)
	v_mul_f32_e32 v191, v104, v143
	s_waitcnt vmcnt(42)
	;; [unrolled: 4-line block ×10, first 2 shown]
	v_fma_f32 v2, v2, v162, -v8
	v_fmac_f32_e32 v187, v3, v162
	v_mul_f32_e32 v3, v101, v141
	s_waitcnt vmcnt(23)
	v_fma_f32 v4, v4, v163, -v140
	v_fmac_f32_e32 v188, v5, v163
	v_add_f32_e32 v2, 0, v2
	v_add_f32_e32 v5, 0, v187
	v_mul_f32_e32 v8, v103, v142
	s_waitcnt vmcnt(22)
	v_fma_f32 v3, v100, v164, -v3
	v_fmac_f32_e32 v189, v101, v164
	v_add_f32_e32 v2, v2, v4
	v_add_f32_e32 v4, v5, v188
	;; [unrolled: 6-line block ×19, first 2 shown]
	v_mul_f32_e32 v8, v139, v160
	s_waitcnt vmcnt(4)
	v_fma_f32 v4, v136, v182, -v4
	v_mul_f32_e32 v208, v138, v160
	v_add_f32_e32 v2, v2, v5
	v_fmac_f32_e32 v207, v137, v182
	v_add_f32_e32 v3, v3, v206
	s_waitcnt lgkmcnt(0)
	v_mul_f32_e32 v5, v7, v161
	s_waitcnt vmcnt(3)
	v_fma_f32 v8, v138, v183, -v8
	v_add_f32_e32 v2, v2, v4
	v_mul_f32_e32 v209, v6, v161
	v_fmac_f32_e32 v208, v139, v183
	v_add_f32_e32 v3, v3, v207
	s_waitcnt vmcnt(2)
	v_fma_f32 v4, v6, v184, -v5
	v_add_f32_e32 v2, v2, v8
	v_fmac_f32_e32 v209, v7, v184
	v_add_f32_e32 v3, v3, v208
	v_add_f32_e32 v2, v2, v4
	;; [unrolled: 1-line block ×3, first 2 shown]
	s_waitcnt vmcnt(1)
	v_sub_f32_e32 v2, v185, v2
	s_waitcnt vmcnt(0)
	v_sub_f32_e32 v3, v186, v3
	buffer_store_dword v2, off, s[0:3], 0 offset:168
	buffer_store_dword v3, off, s[0:3], 0 offset:172
	v_cmpx_lt_u32_e32 20, v0
	s_cbranch_execz .LBB44_243
; %bb.242:
	s_clause 0x1
	buffer_load_dword v2, off, s[0:3], 0 offset:160
	buffer_load_dword v3, off, s[0:3], 0 offset:164
	buffer_store_dword v1, off, s[0:3], 0 offset:160
	buffer_store_dword v1, off, s[0:3], 0 offset:164
	s_waitcnt vmcnt(0)
	ds_write_b64 v99, v[2:3]
.LBB44_243:
	s_or_b32 exec_lo, exec_lo, s4
	s_waitcnt lgkmcnt(0)
	s_waitcnt_vscnt null, 0x0
	s_barrier
	buffer_gl0_inv
	s_clause 0x31
	buffer_load_dword v6, off, s[0:3], 0 offset:172
	buffer_load_dword v7, off, s[0:3], 0 offset:180
	;; [unrolled: 1-line block ×50, first 2 shown]
	ds_read2_b64 v[2:5], v1 offset0:67 offset1:68
	ds_read2_b64 v[100:103], v1 offset0:69 offset1:70
	;; [unrolled: 1-line block ×12, first 2 shown]
	s_mov_b32 s4, exec_lo
	s_waitcnt vmcnt(49) lgkmcnt(11)
	v_mul_f32_e32 v1, v2, v6
	v_mul_f32_e32 v6, v3, v6
	s_waitcnt vmcnt(48)
	v_mul_f32_e32 v191, v4, v7
	v_mul_f32_e32 v7, v5, v7
	s_waitcnt vmcnt(47) lgkmcnt(10)
	v_mul_f32_e32 v192, v100, v8
	s_waitcnt vmcnt(46)
	v_mul_f32_e32 v193, v102, v144
	s_waitcnt vmcnt(45) lgkmcnt(9)
	v_mul_f32_e32 v194, v104, v145
	s_waitcnt vmcnt(44)
	;; [unrolled: 4-line block ×10, first 2 shown]
	v_mul_f32_e32 v211, v138, v162
	s_waitcnt vmcnt(25)
	v_fma_f32 v2, v2, v165, -v6
	v_fmac_f32_e32 v1, v3, v165
	v_mul_f32_e32 v3, v101, v8
	s_waitcnt vmcnt(24)
	v_fma_f32 v4, v4, v166, -v7
	v_fmac_f32_e32 v191, v5, v166
	v_add_f32_e32 v2, 0, v2
	v_add_f32_e32 v1, 0, v1
	v_mul_f32_e32 v5, v103, v144
	s_waitcnt vmcnt(23)
	v_fma_f32 v3, v100, v167, -v3
	v_fmac_f32_e32 v192, v101, v167
	v_add_f32_e32 v2, v2, v4
	v_add_f32_e32 v1, v1, v191
	;; [unrolled: 6-line block ×20, first 2 shown]
	s_waitcnt lgkmcnt(0)
	v_mul_f32_e32 v4, v141, v163
	s_waitcnt vmcnt(4)
	v_fma_f32 v5, v138, v186, -v5
	v_mul_f32_e32 v212, v140, v163
	v_add_f32_e32 v2, v2, v3
	v_fmac_f32_e32 v211, v139, v186
	v_add_f32_e32 v1, v1, v210
	v_mul_f32_e32 v3, v143, v164
	s_waitcnt vmcnt(3)
	v_fma_f32 v4, v140, v187, -v4
	v_add_f32_e32 v2, v2, v5
	v_mul_f32_e32 v213, v142, v164
	v_fmac_f32_e32 v212, v141, v187
	v_add_f32_e32 v1, v1, v211
	s_waitcnt vmcnt(2)
	v_fma_f32 v3, v142, v188, -v3
	v_add_f32_e32 v2, v2, v4
	v_fmac_f32_e32 v213, v143, v188
	v_add_f32_e32 v1, v1, v212
	v_add_f32_e32 v2, v2, v3
	;; [unrolled: 1-line block ×3, first 2 shown]
	s_waitcnt vmcnt(1)
	v_sub_f32_e32 v2, v189, v2
	s_waitcnt vmcnt(0)
	v_sub_f32_e32 v1, v190, v1
	buffer_store_dword v2, off, s[0:3], 0 offset:160
	buffer_store_dword v1, off, s[0:3], 0 offset:164
	v_cmpx_lt_u32_e32 19, v0
	s_cbranch_execz .LBB44_245
; %bb.244:
	s_clause 0x1
	buffer_load_dword v1, off, s[0:3], 0 offset:152
	buffer_load_dword v2, off, s[0:3], 0 offset:156
	v_mov_b32_e32 v3, 0
	buffer_store_dword v3, off, s[0:3], 0 offset:152
	buffer_store_dword v3, off, s[0:3], 0 offset:156
	s_waitcnt vmcnt(0)
	ds_write_b64 v99, v[1:2]
.LBB44_245:
	s_or_b32 exec_lo, exec_lo, s4
	s_waitcnt lgkmcnt(0)
	s_waitcnt_vscnt null, 0x0
	s_barrier
	buffer_gl0_inv
	s_clause 0x33
	buffer_load_dword v8, off, s[0:3], 0 offset:164
	buffer_load_dword v144, off, s[0:3], 0 offset:172
	;; [unrolled: 1-line block ×52, first 2 shown]
	v_mov_b32_e32 v1, 0
	ds_read_b128 v[2:5], v1 offset:528
	ds_read_b128 v[100:103], v1 offset:544
	;; [unrolled: 1-line block ×12, first 2 shown]
	ds_read_b64 v[6:7], v1 offset:720
	s_mov_b32 s4, exec_lo
	s_waitcnt vmcnt(51) lgkmcnt(12)
	v_mul_f32_e32 v195, v2, v8
	v_mul_f32_e32 v8, v3, v8
	s_waitcnt vmcnt(50)
	v_mul_f32_e32 v196, v4, v144
	v_mul_f32_e32 v144, v5, v144
	s_waitcnt vmcnt(49) lgkmcnt(11)
	v_mul_f32_e32 v197, v100, v145
	s_waitcnt vmcnt(48)
	v_mul_f32_e32 v198, v102, v146
	s_waitcnt vmcnt(47) lgkmcnt(10)
	v_mul_f32_e32 v199, v104, v147
	s_waitcnt vmcnt(46)
	;; [unrolled: 4-line block ×11, first 2 shown]
	v_fma_f32 v2, v2, v168, -v8
	v_fmac_f32_e32 v195, v3, v168
	v_mul_f32_e32 v3, v101, v145
	s_waitcnt vmcnt(25)
	v_fma_f32 v4, v4, v169, -v144
	v_fmac_f32_e32 v196, v5, v169
	v_add_f32_e32 v2, 0, v2
	v_add_f32_e32 v5, 0, v195
	v_mul_f32_e32 v8, v103, v146
	s_waitcnt vmcnt(24)
	v_fma_f32 v3, v100, v170, -v3
	v_fmac_f32_e32 v197, v101, v170
	v_add_f32_e32 v2, v2, v4
	v_add_f32_e32 v4, v5, v196
	;; [unrolled: 6-line block ×21, first 2 shown]
	v_mul_f32_e32 v4, v143, v166
	s_waitcnt vmcnt(4)
	v_fma_f32 v5, v140, v190, -v5
	v_mul_f32_e32 v218, v142, v166
	v_add_f32_e32 v2, v2, v8
	v_fmac_f32_e32 v217, v141, v190
	v_add_f32_e32 v3, v3, v216
	s_waitcnt lgkmcnt(0)
	v_mul_f32_e32 v8, v7, v167
	s_waitcnt vmcnt(3)
	v_fma_f32 v4, v142, v191, -v4
	v_add_f32_e32 v2, v2, v5
	v_mul_f32_e32 v219, v6, v167
	v_fmac_f32_e32 v218, v143, v191
	v_add_f32_e32 v3, v3, v217
	s_waitcnt vmcnt(2)
	v_fma_f32 v5, v6, v192, -v8
	v_add_f32_e32 v2, v2, v4
	v_fmac_f32_e32 v219, v7, v192
	v_add_f32_e32 v3, v3, v218
	v_add_f32_e32 v2, v2, v5
	;; [unrolled: 1-line block ×3, first 2 shown]
	s_waitcnt vmcnt(1)
	v_sub_f32_e32 v2, v193, v2
	s_waitcnt vmcnt(0)
	v_sub_f32_e32 v3, v194, v3
	buffer_store_dword v2, off, s[0:3], 0 offset:152
	buffer_store_dword v3, off, s[0:3], 0 offset:156
	v_cmpx_lt_u32_e32 18, v0
	s_cbranch_execz .LBB44_247
; %bb.246:
	s_clause 0x1
	buffer_load_dword v2, off, s[0:3], 0 offset:144
	buffer_load_dword v3, off, s[0:3], 0 offset:148
	buffer_store_dword v1, off, s[0:3], 0 offset:144
	buffer_store_dword v1, off, s[0:3], 0 offset:148
	s_waitcnt vmcnt(0)
	ds_write_b64 v99, v[2:3]
.LBB44_247:
	s_or_b32 exec_lo, exec_lo, s4
	s_waitcnt lgkmcnt(0)
	s_waitcnt_vscnt null, 0x0
	s_barrier
	buffer_gl0_inv
	s_clause 0x35
	buffer_load_dword v6, off, s[0:3], 0 offset:156
	buffer_load_dword v7, off, s[0:3], 0 offset:164
	;; [unrolled: 1-line block ×54, first 2 shown]
	ds_read2_b64 v[2:5], v1 offset0:65 offset1:66
	ds_read2_b64 v[100:103], v1 offset0:67 offset1:68
	;; [unrolled: 1-line block ×13, first 2 shown]
	s_mov_b32 s4, exec_lo
	s_waitcnt vmcnt(53) lgkmcnt(12)
	v_mul_f32_e32 v1, v2, v6
	v_mul_f32_e32 v6, v3, v6
	s_waitcnt vmcnt(52)
	v_mul_f32_e32 v199, v4, v7
	v_mul_f32_e32 v7, v5, v7
	s_waitcnt vmcnt(51) lgkmcnt(11)
	v_mul_f32_e32 v200, v100, v8
	s_waitcnt vmcnt(50)
	v_mul_f32_e32 v201, v102, v148
	s_waitcnt vmcnt(49) lgkmcnt(10)
	v_mul_f32_e32 v202, v104, v149
	s_waitcnt vmcnt(48)
	;; [unrolled: 4-line block ×11, first 2 shown]
	v_mul_f32_e32 v221, v142, v168
	s_waitcnt vmcnt(27)
	v_fma_f32 v2, v2, v171, -v6
	v_fmac_f32_e32 v1, v3, v171
	v_mul_f32_e32 v3, v101, v8
	s_waitcnt vmcnt(26)
	v_fma_f32 v4, v4, v172, -v7
	v_fmac_f32_e32 v199, v5, v172
	v_add_f32_e32 v2, 0, v2
	v_add_f32_e32 v1, 0, v1
	v_mul_f32_e32 v5, v103, v148
	s_waitcnt vmcnt(25)
	v_fma_f32 v3, v100, v173, -v3
	v_fmac_f32_e32 v200, v101, v173
	v_add_f32_e32 v2, v2, v4
	v_add_f32_e32 v1, v1, v199
	;; [unrolled: 6-line block ×22, first 2 shown]
	s_waitcnt lgkmcnt(0)
	v_mul_f32_e32 v5, v145, v169
	s_waitcnt vmcnt(4)
	v_fma_f32 v3, v142, v194, -v3
	v_mul_f32_e32 v222, v144, v169
	v_add_f32_e32 v2, v2, v4
	v_fmac_f32_e32 v221, v143, v194
	v_add_f32_e32 v1, v1, v220
	v_mul_f32_e32 v4, v147, v170
	s_waitcnt vmcnt(3)
	v_fma_f32 v5, v144, v195, -v5
	v_add_f32_e32 v2, v2, v3
	v_mul_f32_e32 v223, v146, v170
	v_fmac_f32_e32 v222, v145, v195
	v_add_f32_e32 v1, v1, v221
	s_waitcnt vmcnt(2)
	v_fma_f32 v3, v146, v196, -v4
	v_add_f32_e32 v2, v2, v5
	v_fmac_f32_e32 v223, v147, v196
	v_add_f32_e32 v1, v1, v222
	v_add_f32_e32 v2, v2, v3
	;; [unrolled: 1-line block ×3, first 2 shown]
	s_waitcnt vmcnt(1)
	v_sub_f32_e32 v2, v197, v2
	s_waitcnt vmcnt(0)
	v_sub_f32_e32 v1, v198, v1
	buffer_store_dword v2, off, s[0:3], 0 offset:144
	buffer_store_dword v1, off, s[0:3], 0 offset:148
	v_cmpx_lt_u32_e32 17, v0
	s_cbranch_execz .LBB44_249
; %bb.248:
	s_clause 0x1
	buffer_load_dword v1, off, s[0:3], 0 offset:136
	buffer_load_dword v2, off, s[0:3], 0 offset:140
	v_mov_b32_e32 v3, 0
	buffer_store_dword v3, off, s[0:3], 0 offset:136
	buffer_store_dword v3, off, s[0:3], 0 offset:140
	s_waitcnt vmcnt(0)
	ds_write_b64 v99, v[1:2]
.LBB44_249:
	s_or_b32 exec_lo, exec_lo, s4
	s_waitcnt lgkmcnt(0)
	s_waitcnt_vscnt null, 0x0
	s_barrier
	buffer_gl0_inv
	s_clause 0x37
	buffer_load_dword v8, off, s[0:3], 0 offset:148
	buffer_load_dword v148, off, s[0:3], 0 offset:156
	;; [unrolled: 1-line block ×56, first 2 shown]
	v_mov_b32_e32 v1, 0
	ds_read_b128 v[2:5], v1 offset:512
	ds_read_b128 v[100:103], v1 offset:528
	;; [unrolled: 1-line block ×13, first 2 shown]
	ds_read_b64 v[6:7], v1 offset:720
	s_mov_b32 s4, exec_lo
	s_waitcnt vmcnt(55) lgkmcnt(13)
	v_mul_f32_e32 v203, v2, v8
	v_mul_f32_e32 v8, v3, v8
	s_waitcnt vmcnt(54)
	v_mul_f32_e32 v204, v4, v148
	v_mul_f32_e32 v148, v5, v148
	s_waitcnt vmcnt(53) lgkmcnt(12)
	v_mul_f32_e32 v205, v100, v149
	s_waitcnt vmcnt(52)
	v_mul_f32_e32 v206, v102, v150
	s_waitcnt vmcnt(51) lgkmcnt(11)
	v_mul_f32_e32 v207, v104, v151
	s_waitcnt vmcnt(50)
	;; [unrolled: 4-line block ×12, first 2 shown]
	v_fma_f32 v2, v2, v174, -v8
	v_fmac_f32_e32 v203, v3, v174
	v_mul_f32_e32 v3, v101, v149
	s_waitcnt vmcnt(27)
	v_fma_f32 v4, v4, v175, -v148
	v_fmac_f32_e32 v204, v5, v175
	v_add_f32_e32 v2, 0, v2
	v_add_f32_e32 v5, 0, v203
	v_mul_f32_e32 v8, v103, v150
	s_waitcnt vmcnt(26)
	v_fma_f32 v3, v100, v176, -v3
	v_fmac_f32_e32 v205, v101, v176
	v_add_f32_e32 v2, v2, v4
	v_add_f32_e32 v4, v5, v204
	v_mul_f32_e32 v5, v105, v151
	s_waitcnt vmcnt(25)
	v_fma_f32 v8, v102, v177, -v8
	v_fmac_f32_e32 v206, v103, v177
	v_add_f32_e32 v2, v2, v3
	v_add_f32_e32 v3, v4, v205
	v_mul_f32_e32 v4, v107, v152
	s_waitcnt vmcnt(24)
	v_fma_f32 v5, v104, v178, -v5
	v_fmac_f32_e32 v207, v105, v178
	v_add_f32_e32 v2, v2, v8
	v_add_f32_e32 v3, v3, v206
	v_mul_f32_e32 v8, v109, v153
	s_waitcnt vmcnt(23)
	v_fma_f32 v4, v106, v179, -v4
	v_fmac_f32_e32 v208, v107, v179
	v_add_f32_e32 v2, v2, v5
	v_add_f32_e32 v3, v3, v207
	v_mul_f32_e32 v5, v111, v154
	s_waitcnt vmcnt(22)
	v_fma_f32 v8, v108, v180, -v8
	v_fmac_f32_e32 v209, v109, v180
	v_add_f32_e32 v2, v2, v4
	v_add_f32_e32 v3, v3, v208
	v_mul_f32_e32 v4, v113, v155
	s_waitcnt vmcnt(21)
	v_fma_f32 v5, v110, v181, -v5
	v_fmac_f32_e32 v210, v111, v181
	v_add_f32_e32 v2, v2, v8
	v_add_f32_e32 v3, v3, v209
	v_mul_f32_e32 v8, v115, v156
	s_waitcnt vmcnt(20)
	v_fma_f32 v4, v112, v182, -v4
	v_fmac_f32_e32 v211, v113, v182
	v_add_f32_e32 v2, v2, v5
	v_add_f32_e32 v3, v3, v210
	v_mul_f32_e32 v5, v117, v157
	s_waitcnt vmcnt(19)
	v_fma_f32 v8, v114, v183, -v8
	v_fmac_f32_e32 v212, v115, v183
	v_add_f32_e32 v2, v2, v4
	v_add_f32_e32 v3, v3, v211
	v_mul_f32_e32 v4, v119, v158
	s_waitcnt vmcnt(18)
	v_fma_f32 v5, v116, v184, -v5
	v_fmac_f32_e32 v213, v117, v184
	v_add_f32_e32 v2, v2, v8
	v_add_f32_e32 v3, v3, v212
	v_mul_f32_e32 v8, v121, v159
	s_waitcnt vmcnt(17)
	v_fma_f32 v4, v118, v185, -v4
	v_fmac_f32_e32 v214, v119, v185
	v_add_f32_e32 v2, v2, v5
	v_add_f32_e32 v3, v3, v213
	v_mul_f32_e32 v5, v123, v160
	s_waitcnt vmcnt(16)
	v_fma_f32 v8, v120, v186, -v8
	v_fmac_f32_e32 v215, v121, v186
	v_add_f32_e32 v2, v2, v4
	v_add_f32_e32 v3, v3, v214
	v_mul_f32_e32 v4, v125, v161
	s_waitcnt vmcnt(15)
	v_fma_f32 v5, v122, v187, -v5
	v_fmac_f32_e32 v216, v123, v187
	v_add_f32_e32 v2, v2, v8
	v_add_f32_e32 v3, v3, v215
	v_mul_f32_e32 v8, v127, v162
	s_waitcnt vmcnt(14)
	v_fma_f32 v4, v124, v188, -v4
	v_fmac_f32_e32 v217, v125, v188
	v_add_f32_e32 v2, v2, v5
	v_add_f32_e32 v3, v3, v216
	v_mul_f32_e32 v5, v129, v163
	s_waitcnt vmcnt(13)
	v_fma_f32 v8, v126, v189, -v8
	v_fmac_f32_e32 v218, v127, v189
	v_add_f32_e32 v2, v2, v4
	v_add_f32_e32 v3, v3, v217
	v_mul_f32_e32 v4, v131, v164
	s_waitcnt vmcnt(12)
	v_fma_f32 v5, v128, v190, -v5
	v_fmac_f32_e32 v219, v129, v190
	v_add_f32_e32 v2, v2, v8
	v_add_f32_e32 v3, v3, v218
	v_mul_f32_e32 v8, v133, v165
	s_waitcnt vmcnt(11)
	v_fma_f32 v4, v130, v191, -v4
	v_fmac_f32_e32 v220, v131, v191
	v_add_f32_e32 v2, v2, v5
	v_add_f32_e32 v3, v3, v219
	v_mul_f32_e32 v5, v135, v166
	s_waitcnt vmcnt(10)
	v_fma_f32 v8, v132, v192, -v8
	v_fmac_f32_e32 v221, v133, v192
	v_add_f32_e32 v2, v2, v4
	v_add_f32_e32 v3, v3, v220
	v_mul_f32_e32 v4, v137, v167
	s_waitcnt vmcnt(9)
	v_fma_f32 v5, v134, v193, -v5
	v_fmac_f32_e32 v222, v135, v193
	v_add_f32_e32 v2, v2, v8
	v_add_f32_e32 v3, v3, v221
	v_mul_f32_e32 v8, v139, v168
	s_waitcnt vmcnt(8)
	v_fma_f32 v4, v136, v194, -v4
	v_fmac_f32_e32 v223, v137, v194
	v_add_f32_e32 v2, v2, v5
	v_add_f32_e32 v3, v3, v222
	v_mul_f32_e32 v5, v141, v169
	s_waitcnt vmcnt(7)
	v_fma_f32 v8, v138, v195, -v8
	v_fmac_f32_e32 v224, v139, v195
	v_add_f32_e32 v2, v2, v4
	v_add_f32_e32 v3, v3, v223
	v_mul_f32_e32 v4, v143, v170
	s_waitcnt vmcnt(6)
	v_fma_f32 v5, v140, v196, -v5
	v_fmac_f32_e32 v225, v141, v196
	v_add_f32_e32 v2, v2, v8
	v_add_f32_e32 v3, v3, v224
	v_mul_f32_e32 v8, v145, v171
	s_waitcnt vmcnt(5)
	v_fma_f32 v4, v142, v197, -v4
	v_fmac_f32_e32 v226, v143, v197
	v_add_f32_e32 v2, v2, v5
	v_add_f32_e32 v3, v3, v225
	v_mul_f32_e32 v5, v147, v172
	s_waitcnt vmcnt(4)
	v_fma_f32 v8, v144, v198, -v8
	v_mul_f32_e32 v228, v146, v172
	v_add_f32_e32 v2, v2, v4
	v_fmac_f32_e32 v227, v145, v198
	v_add_f32_e32 v3, v3, v226
	s_waitcnt lgkmcnt(0)
	v_mul_f32_e32 v4, v7, v173
	s_waitcnt vmcnt(3)
	v_fma_f32 v5, v146, v199, -v5
	v_add_f32_e32 v2, v2, v8
	v_mul_f32_e32 v229, v6, v173
	v_fmac_f32_e32 v228, v147, v199
	v_add_f32_e32 v3, v3, v227
	s_waitcnt vmcnt(2)
	v_fma_f32 v4, v6, v200, -v4
	v_add_f32_e32 v2, v2, v5
	v_fmac_f32_e32 v229, v7, v200
	v_add_f32_e32 v3, v3, v228
	v_add_f32_e32 v2, v2, v4
	v_add_f32_e32 v3, v3, v229
	s_waitcnt vmcnt(1)
	v_sub_f32_e32 v2, v201, v2
	s_waitcnt vmcnt(0)
	v_sub_f32_e32 v3, v202, v3
	buffer_store_dword v2, off, s[0:3], 0 offset:136
	buffer_store_dword v3, off, s[0:3], 0 offset:140
	v_cmpx_lt_u32_e32 16, v0
	s_cbranch_execz .LBB44_251
; %bb.250:
	s_clause 0x1
	buffer_load_dword v2, off, s[0:3], 0 offset:128
	buffer_load_dword v3, off, s[0:3], 0 offset:132
	buffer_store_dword v1, off, s[0:3], 0 offset:128
	buffer_store_dword v1, off, s[0:3], 0 offset:132
	s_waitcnt vmcnt(0)
	ds_write_b64 v99, v[2:3]
.LBB44_251:
	s_or_b32 exec_lo, exec_lo, s4
	s_waitcnt lgkmcnt(0)
	s_waitcnt_vscnt null, 0x0
	s_barrier
	buffer_gl0_inv
	s_clause 0x39
	buffer_load_dword v6, off, s[0:3], 0 offset:140
	buffer_load_dword v7, off, s[0:3], 0 offset:148
	;; [unrolled: 1-line block ×58, first 2 shown]
	ds_read2_b64 v[2:5], v1 offset0:63 offset1:64
	ds_read2_b64 v[100:103], v1 offset0:65 offset1:66
	;; [unrolled: 1-line block ×14, first 2 shown]
	s_mov_b32 s4, exec_lo
	s_waitcnt vmcnt(57) lgkmcnt(13)
	v_mul_f32_e32 v1, v2, v6
	v_mul_f32_e32 v6, v3, v6
	s_waitcnt vmcnt(56)
	v_mul_f32_e32 v207, v4, v7
	v_mul_f32_e32 v7, v5, v7
	s_waitcnt vmcnt(55) lgkmcnt(12)
	v_mul_f32_e32 v208, v100, v8
	s_waitcnt vmcnt(54)
	v_mul_f32_e32 v209, v102, v152
	s_waitcnt vmcnt(53) lgkmcnt(11)
	v_mul_f32_e32 v210, v104, v153
	s_waitcnt vmcnt(52)
	;; [unrolled: 4-line block ×12, first 2 shown]
	v_mul_f32_e32 v231, v146, v174
	s_waitcnt vmcnt(29)
	v_fma_f32 v2, v2, v177, -v6
	v_fmac_f32_e32 v1, v3, v177
	v_mul_f32_e32 v3, v101, v8
	s_waitcnt vmcnt(28)
	v_fma_f32 v4, v4, v178, -v7
	v_fmac_f32_e32 v207, v5, v178
	v_add_f32_e32 v2, 0, v2
	v_add_f32_e32 v1, 0, v1
	v_mul_f32_e32 v5, v103, v152
	s_waitcnt vmcnt(27)
	v_fma_f32 v3, v100, v179, -v3
	v_fmac_f32_e32 v208, v101, v179
	v_add_f32_e32 v2, v2, v4
	v_add_f32_e32 v1, v1, v207
	;; [unrolled: 6-line block ×24, first 2 shown]
	s_waitcnt lgkmcnt(0)
	v_mul_f32_e32 v3, v149, v175
	s_waitcnt vmcnt(4)
	v_fma_f32 v4, v146, v202, -v4
	v_mul_f32_e32 v232, v148, v175
	v_add_f32_e32 v2, v2, v5
	v_fmac_f32_e32 v231, v147, v202
	v_add_f32_e32 v1, v1, v230
	v_mul_f32_e32 v5, v151, v176
	s_waitcnt vmcnt(3)
	v_fma_f32 v3, v148, v203, -v3
	v_add_f32_e32 v2, v2, v4
	v_mul_f32_e32 v233, v150, v176
	v_fmac_f32_e32 v232, v149, v203
	v_add_f32_e32 v1, v1, v231
	s_waitcnt vmcnt(2)
	v_fma_f32 v4, v150, v204, -v5
	v_add_f32_e32 v2, v2, v3
	v_fmac_f32_e32 v233, v151, v204
	v_add_f32_e32 v1, v1, v232
	v_add_f32_e32 v2, v2, v4
	;; [unrolled: 1-line block ×3, first 2 shown]
	s_waitcnt vmcnt(1)
	v_sub_f32_e32 v2, v205, v2
	s_waitcnt vmcnt(0)
	v_sub_f32_e32 v1, v206, v1
	buffer_store_dword v2, off, s[0:3], 0 offset:128
	buffer_store_dword v1, off, s[0:3], 0 offset:132
	v_cmpx_lt_u32_e32 15, v0
	s_cbranch_execz .LBB44_253
; %bb.252:
	s_clause 0x1
	buffer_load_dword v1, off, s[0:3], 0 offset:120
	buffer_load_dword v2, off, s[0:3], 0 offset:124
	v_mov_b32_e32 v3, 0
	buffer_store_dword v3, off, s[0:3], 0 offset:120
	buffer_store_dword v3, off, s[0:3], 0 offset:124
	s_waitcnt vmcnt(0)
	ds_write_b64 v99, v[1:2]
.LBB44_253:
	s_or_b32 exec_lo, exec_lo, s4
	s_waitcnt lgkmcnt(0)
	s_waitcnt_vscnt null, 0x0
	s_barrier
	buffer_gl0_inv
	s_clause 0x3b
	buffer_load_dword v8, off, s[0:3], 0 offset:132
	buffer_load_dword v152, off, s[0:3], 0 offset:140
	;; [unrolled: 1-line block ×60, first 2 shown]
	v_mov_b32_e32 v1, 0
	ds_read_b128 v[2:5], v1 offset:496
	ds_read_b128 v[100:103], v1 offset:512
	;; [unrolled: 1-line block ×14, first 2 shown]
	ds_read_b64 v[6:7], v1 offset:720
	s_mov_b32 s4, exec_lo
	s_waitcnt vmcnt(59) lgkmcnt(14)
	v_mul_f32_e32 v211, v2, v8
	v_mul_f32_e32 v8, v3, v8
	s_waitcnt vmcnt(58)
	v_mul_f32_e32 v212, v4, v152
	v_mul_f32_e32 v152, v5, v152
	s_waitcnt vmcnt(57) lgkmcnt(13)
	v_mul_f32_e32 v213, v100, v153
	s_waitcnt vmcnt(56)
	v_mul_f32_e32 v214, v102, v154
	s_waitcnt vmcnt(55) lgkmcnt(12)
	v_mul_f32_e32 v215, v104, v155
	s_waitcnt vmcnt(54)
	;; [unrolled: 4-line block ×13, first 2 shown]
	v_fma_f32 v2, v2, v180, -v8
	v_fmac_f32_e32 v211, v3, v180
	v_mul_f32_e32 v3, v101, v153
	s_waitcnt vmcnt(29)
	v_fma_f32 v4, v4, v181, -v152
	v_fmac_f32_e32 v212, v5, v181
	v_add_f32_e32 v2, 0, v2
	v_add_f32_e32 v5, 0, v211
	v_mul_f32_e32 v8, v103, v154
	s_waitcnt vmcnt(28)
	v_fma_f32 v3, v100, v182, -v3
	v_fmac_f32_e32 v213, v101, v182
	v_add_f32_e32 v2, v2, v4
	v_add_f32_e32 v4, v5, v212
	;; [unrolled: 6-line block ×25, first 2 shown]
	v_mul_f32_e32 v8, v151, v178
	s_waitcnt vmcnt(4)
	v_fma_f32 v4, v148, v206, -v4
	v_mul_f32_e32 v238, v150, v178
	v_add_f32_e32 v2, v2, v5
	v_fmac_f32_e32 v237, v149, v206
	v_add_f32_e32 v3, v3, v236
	s_waitcnt lgkmcnt(0)
	v_mul_f32_e32 v5, v7, v179
	s_waitcnt vmcnt(3)
	v_fma_f32 v8, v150, v207, -v8
	v_add_f32_e32 v2, v2, v4
	v_mul_f32_e32 v239, v6, v179
	v_fmac_f32_e32 v238, v151, v207
	v_add_f32_e32 v3, v3, v237
	s_waitcnt vmcnt(2)
	v_fma_f32 v4, v6, v208, -v5
	v_add_f32_e32 v2, v2, v8
	v_fmac_f32_e32 v239, v7, v208
	v_add_f32_e32 v3, v3, v238
	v_add_f32_e32 v2, v2, v4
	;; [unrolled: 1-line block ×3, first 2 shown]
	s_waitcnt vmcnt(1)
	v_sub_f32_e32 v2, v209, v2
	s_waitcnt vmcnt(0)
	v_sub_f32_e32 v3, v210, v3
	buffer_store_dword v2, off, s[0:3], 0 offset:120
	buffer_store_dword v3, off, s[0:3], 0 offset:124
	v_cmpx_lt_u32_e32 14, v0
	s_cbranch_execz .LBB44_255
; %bb.254:
	s_clause 0x1
	buffer_load_dword v2, off, s[0:3], 0 offset:112
	buffer_load_dword v3, off, s[0:3], 0 offset:116
	buffer_store_dword v1, off, s[0:3], 0 offset:112
	buffer_store_dword v1, off, s[0:3], 0 offset:116
	s_waitcnt vmcnt(0)
	ds_write_b64 v99, v[2:3]
.LBB44_255:
	s_or_b32 exec_lo, exec_lo, s4
	s_waitcnt lgkmcnt(0)
	s_waitcnt_vscnt null, 0x0
	s_barrier
	buffer_gl0_inv
	s_clause 0x3d
	buffer_load_dword v6, off, s[0:3], 0 offset:124
	buffer_load_dword v7, off, s[0:3], 0 offset:132
	;; [unrolled: 1-line block ×62, first 2 shown]
	ds_read2_b64 v[2:5], v1 offset0:61 offset1:62
	ds_read2_b64 v[100:103], v1 offset0:63 offset1:64
	;; [unrolled: 1-line block ×15, first 2 shown]
	s_mov_b32 s4, exec_lo
	s_waitcnt vmcnt(61) lgkmcnt(14)
	v_mul_f32_e32 v1, v2, v6
	v_mul_f32_e32 v6, v3, v6
	s_waitcnt vmcnt(60)
	v_mul_f32_e32 v215, v4, v7
	v_mul_f32_e32 v7, v5, v7
	s_waitcnt vmcnt(59) lgkmcnt(13)
	v_mul_f32_e32 v216, v100, v8
	s_waitcnt vmcnt(58)
	v_mul_f32_e32 v217, v102, v156
	s_waitcnt vmcnt(57) lgkmcnt(12)
	v_mul_f32_e32 v218, v104, v157
	s_waitcnt vmcnt(56)
	;; [unrolled: 4-line block ×13, first 2 shown]
	v_mul_f32_e32 v241, v150, v180
	s_waitcnt vmcnt(31)
	v_fma_f32 v2, v2, v183, -v6
	v_fmac_f32_e32 v1, v3, v183
	v_mul_f32_e32 v3, v101, v8
	s_waitcnt vmcnt(30)
	v_fma_f32 v4, v4, v184, -v7
	v_fmac_f32_e32 v215, v5, v184
	v_add_f32_e32 v2, 0, v2
	v_add_f32_e32 v1, 0, v1
	v_mul_f32_e32 v5, v103, v156
	s_waitcnt vmcnt(29)
	v_fma_f32 v3, v100, v185, -v3
	v_fmac_f32_e32 v216, v101, v185
	v_add_f32_e32 v2, v2, v4
	v_add_f32_e32 v1, v1, v215
	;; [unrolled: 6-line block ×26, first 2 shown]
	s_waitcnt lgkmcnt(0)
	v_mul_f32_e32 v4, v153, v181
	s_waitcnt vmcnt(4)
	v_fma_f32 v5, v150, v210, -v5
	v_mul_f32_e32 v242, v152, v181
	v_add_f32_e32 v2, v2, v3
	v_fmac_f32_e32 v241, v151, v210
	v_add_f32_e32 v1, v1, v240
	v_mul_f32_e32 v3, v155, v182
	s_waitcnt vmcnt(3)
	v_fma_f32 v4, v152, v211, -v4
	v_add_f32_e32 v2, v2, v5
	v_mul_f32_e32 v243, v154, v182
	v_fmac_f32_e32 v242, v153, v211
	v_add_f32_e32 v1, v1, v241
	s_waitcnt vmcnt(2)
	v_fma_f32 v3, v154, v212, -v3
	v_add_f32_e32 v2, v2, v4
	v_fmac_f32_e32 v243, v155, v212
	v_add_f32_e32 v1, v1, v242
	v_add_f32_e32 v2, v2, v3
	;; [unrolled: 1-line block ×3, first 2 shown]
	s_waitcnt vmcnt(1)
	v_sub_f32_e32 v2, v213, v2
	s_waitcnt vmcnt(0)
	v_sub_f32_e32 v1, v214, v1
	buffer_store_dword v2, off, s[0:3], 0 offset:112
	buffer_store_dword v1, off, s[0:3], 0 offset:116
	v_cmpx_lt_u32_e32 13, v0
	s_cbranch_execz .LBB44_257
; %bb.256:
	s_clause 0x1
	buffer_load_dword v1, off, s[0:3], 0 offset:104
	buffer_load_dword v2, off, s[0:3], 0 offset:108
	v_mov_b32_e32 v3, 0
	buffer_store_dword v3, off, s[0:3], 0 offset:104
	buffer_store_dword v3, off, s[0:3], 0 offset:108
	s_waitcnt vmcnt(0)
	ds_write_b64 v99, v[1:2]
.LBB44_257:
	s_or_b32 exec_lo, exec_lo, s4
	s_waitcnt lgkmcnt(0)
	s_waitcnt_vscnt null, 0x0
	s_barrier
	buffer_gl0_inv
	s_clause 0x3e
	buffer_load_dword v8, off, s[0:3], 0 offset:116
	buffer_load_dword v156, off, s[0:3], 0 offset:124
	;; [unrolled: 1-line block ×64, first 2 shown]
	v_mov_b32_e32 v1, 0
	ds_read_b128 v[2:5], v1 offset:480
	ds_read_b128 v[100:103], v1 offset:496
	;; [unrolled: 1-line block ×15, first 2 shown]
	ds_read_b64 v[6:7], v1 offset:720
	s_mov_b32 s4, exec_lo
	s_waitcnt vmcnt(62) lgkmcnt(15)
	v_mul_f32_e32 v219, v2, v8
	v_mul_f32_e32 v8, v3, v8
	;; [unrolled: 1-line block ×4, first 2 shown]
	s_waitcnt vmcnt(61) lgkmcnt(14)
	v_mul_f32_e32 v221, v100, v157
	s_waitcnt vmcnt(60)
	v_mul_f32_e32 v222, v102, v158
	s_waitcnt vmcnt(59) lgkmcnt(13)
	v_mul_f32_e32 v223, v104, v159
	s_waitcnt vmcnt(58)
	v_mul_f32_e32 v224, v106, v160
	;; [unrolled: 4-line block ×13, first 2 shown]
	s_waitcnt vmcnt(35) lgkmcnt(1)
	v_mul_f32_e32 v247, v152, v183
	s_waitcnt vmcnt(32)
	v_fma_f32 v2, v2, v186, -v8
	v_fmac_f32_e32 v219, v3, v186
	v_mul_f32_e32 v3, v101, v157
	s_waitcnt vmcnt(31)
	v_fma_f32 v4, v4, v187, -v156
	v_fmac_f32_e32 v220, v5, v187
	v_add_f32_e32 v2, 0, v2
	v_add_f32_e32 v5, 0, v219
	v_mul_f32_e32 v8, v103, v158
	s_waitcnt vmcnt(30)
	v_fma_f32 v3, v100, v188, -v3
	v_fmac_f32_e32 v221, v101, v188
	v_add_f32_e32 v2, v2, v4
	v_add_f32_e32 v4, v5, v220
	;; [unrolled: 6-line block ×27, first 2 shown]
	v_mul_f32_e32 v4, v155, v184
	s_waitcnt vmcnt(4)
	v_fma_f32 v5, v152, v214, -v5
	v_mul_f32_e32 v248, v154, v184
	v_add_f32_e32 v2, v2, v8
	v_fmac_f32_e32 v247, v153, v214
	v_add_f32_e32 v3, v3, v246
	s_waitcnt lgkmcnt(0)
	v_mul_f32_e32 v8, v7, v185
	s_waitcnt vmcnt(3)
	v_fma_f32 v4, v154, v215, -v4
	v_add_f32_e32 v2, v2, v5
	v_mul_f32_e32 v249, v6, v185
	v_fmac_f32_e32 v248, v155, v215
	v_add_f32_e32 v3, v3, v247
	s_waitcnt vmcnt(2)
	v_fma_f32 v5, v6, v216, -v8
	v_add_f32_e32 v2, v2, v4
	v_fmac_f32_e32 v249, v7, v216
	v_add_f32_e32 v3, v3, v248
	v_add_f32_e32 v2, v2, v5
	v_add_f32_e32 v3, v3, v249
	s_waitcnt vmcnt(1)
	v_sub_f32_e32 v2, v217, v2
	s_waitcnt vmcnt(0)
	v_sub_f32_e32 v3, v218, v3
	buffer_store_dword v2, off, s[0:3], 0 offset:104
	buffer_store_dword v3, off, s[0:3], 0 offset:108
	v_cmpx_lt_u32_e32 12, v0
	s_cbranch_execz .LBB44_259
; %bb.258:
	s_clause 0x1
	buffer_load_dword v2, off, s[0:3], 0 offset:96
	buffer_load_dword v3, off, s[0:3], 0 offset:100
	buffer_store_dword v1, off, s[0:3], 0 offset:96
	buffer_store_dword v1, off, s[0:3], 0 offset:100
	s_waitcnt vmcnt(0)
	ds_write_b64 v99, v[2:3]
.LBB44_259:
	s_or_b32 exec_lo, exec_lo, s4
	s_waitcnt lgkmcnt(0)
	s_waitcnt_vscnt null, 0x0
	s_barrier
	buffer_gl0_inv
	s_clause 0x3e
	buffer_load_dword v6, off, s[0:3], 0 offset:108
	buffer_load_dword v7, off, s[0:3], 0 offset:116
	;; [unrolled: 1-line block ×63, first 2 shown]
	s_clause 0x2
	buffer_load_dword v220, off, s[0:3], 0 offset:352
	buffer_load_dword v221, off, s[0:3], 0 offset:96
	;; [unrolled: 1-line block ×3, first 2 shown]
	ds_read2_b64 v[2:5], v1 offset0:59 offset1:60
	ds_read2_b64 v[100:103], v1 offset0:61 offset1:62
	;; [unrolled: 1-line block ×16, first 2 shown]
	s_mov_b32 s4, exec_lo
	s_waitcnt vmcnt(62) lgkmcnt(15)
	v_mul_f32_e32 v1, v2, v6
	v_mul_f32_e32 v6, v3, v6
	;; [unrolled: 1-line block ×4, first 2 shown]
	s_waitcnt lgkmcnt(14)
	v_mul_f32_e32 v224, v100, v8
	v_mul_f32_e32 v225, v102, v160
	s_waitcnt vmcnt(61) lgkmcnt(13)
	v_mul_f32_e32 v226, v104, v161
	s_waitcnt vmcnt(60)
	v_mul_f32_e32 v227, v106, v162
	s_waitcnt vmcnt(59) lgkmcnt(12)
	v_mul_f32_e32 v228, v108, v163
	s_waitcnt vmcnt(58)
	;; [unrolled: 4-line block ×13, first 2 shown]
	v_mul_f32_e32 v251, v154, v186
	s_waitcnt vmcnt(33)
	v_fma_f32 v2, v2, v189, -v6
	v_fmac_f32_e32 v1, v3, v189
	v_mul_f32_e32 v3, v101, v8
	s_waitcnt vmcnt(32)
	v_fma_f32 v4, v4, v190, -v7
	v_fmac_f32_e32 v223, v5, v190
	v_add_f32_e32 v2, 0, v2
	v_add_f32_e32 v1, 0, v1
	v_mul_f32_e32 v5, v103, v160
	s_waitcnt vmcnt(31)
	v_fma_f32 v3, v100, v191, -v3
	v_fmac_f32_e32 v224, v101, v191
	v_add_f32_e32 v2, v2, v4
	v_add_f32_e32 v1, v1, v223
	;; [unrolled: 6-line block ×28, first 2 shown]
	s_waitcnt lgkmcnt(0)
	v_mul_f32_e32 v5, v157, v187
	s_waitcnt vmcnt(4)
	v_fma_f32 v3, v154, v218, -v3
	v_mul_f32_e32 v252, v156, v187
	v_add_f32_e32 v2, v2, v4
	v_fmac_f32_e32 v251, v155, v218
	v_add_f32_e32 v1, v1, v250
	v_mul_f32_e32 v4, v159, v188
	s_waitcnt vmcnt(3)
	v_fma_f32 v5, v156, v219, -v5
	v_add_f32_e32 v2, v2, v3
	v_mul_f32_e32 v253, v158, v188
	v_fmac_f32_e32 v252, v157, v219
	v_add_f32_e32 v1, v1, v251
	s_waitcnt vmcnt(2)
	v_fma_f32 v3, v158, v220, -v4
	v_add_f32_e32 v2, v2, v5
	v_fmac_f32_e32 v253, v159, v220
	v_add_f32_e32 v1, v1, v252
	v_add_f32_e32 v2, v2, v3
	;; [unrolled: 1-line block ×3, first 2 shown]
	s_waitcnt vmcnt(1)
	v_sub_f32_e32 v2, v221, v2
	s_waitcnt vmcnt(0)
	v_sub_f32_e32 v1, v222, v1
	buffer_store_dword v2, off, s[0:3], 0 offset:96
	buffer_store_dword v1, off, s[0:3], 0 offset:100
	v_cmpx_lt_u32_e32 11, v0
	s_cbranch_execz .LBB44_261
; %bb.260:
	s_clause 0x1
	buffer_load_dword v1, off, s[0:3], 0 offset:88
	buffer_load_dword v2, off, s[0:3], 0 offset:92
	v_mov_b32_e32 v3, 0
	buffer_store_dword v3, off, s[0:3], 0 offset:88
	buffer_store_dword v3, off, s[0:3], 0 offset:92
	s_waitcnt vmcnt(0)
	ds_write_b64 v99, v[1:2]
.LBB44_261:
	s_or_b32 exec_lo, exec_lo, s4
	s_waitcnt lgkmcnt(0)
	s_waitcnt_vscnt null, 0x0
	s_barrier
	buffer_gl0_inv
	s_clause 0x23
	buffer_load_dword v101, off, s[0:3], 0 offset:100
	buffer_load_dword v103, off, s[0:3], 0 offset:108
	;; [unrolled: 1-line block ×36, first 2 shown]
	v_mov_b32_e32 v100, 0
	ds_read_b128 v[5:8], v100 offset:464
	ds_read_b128 v[1:4], v100 offset:480
	buffer_load_dword v145, off, s[0:3], 0 offset:92
	ds_read_b128 v[137:140], v100 offset:496
	ds_read_b128 v[141:144], v100 offset:512
	s_mov_b32 s4, exec_lo
	s_waitcnt vmcnt(36) lgkmcnt(3)
	v_mul_f32_e32 v146, v5, v101
	s_waitcnt vmcnt(35)
	v_mul_f32_e32 v147, v7, v103
	v_mul_f32_e32 v101, v6, v101
	;; [unrolled: 1-line block ×3, first 2 shown]
	s_waitcnt vmcnt(34) lgkmcnt(2)
	v_mul_f32_e32 v148, v1, v104
	v_mul_f32_e32 v104, v2, v104
	s_waitcnt vmcnt(30)
	v_mul_f32_e32 v149, v3, v105
	v_mul_f32_e32 v105, v4, v105
	v_fmac_f32_e32 v146, v6, v107
	v_fmac_f32_e32 v147, v8, v106
	v_fma_f32 v107, v5, v107, -v101
	v_fma_f32 v106, v7, v106, -v103
	ds_read_b128 v[5:8], v100 offset:528
	v_fmac_f32_e32 v148, v2, v102
	v_fma_f32 v150, v1, v102, -v104
	ds_read_b128 v[101:104], v100 offset:544
	s_waitcnt vmcnt(26)
	v_fmac_f32_e32 v149, v4, v116
	v_fma_f32 v105, v3, v116, -v105
	s_waitcnt vmcnt(25) lgkmcnt(3)
	v_mul_f32_e32 v116, v137, v114
	s_waitcnt vmcnt(24)
	v_mul_f32_e32 v151, v139, v115
	v_mul_f32_e32 v1, v138, v114
	;; [unrolled: 1-line block ×3, first 2 shown]
	s_clause 0x1
	buffer_load_dword v114, off, s[0:3], 0 offset:236
	buffer_load_dword v115, off, s[0:3], 0 offset:244
	v_fmac_f32_e32 v116, v138, v111
	v_fmac_f32_e32 v151, v140, v109
	v_fma_f32 v111, v137, v111, -v1
	v_fma_f32 v109, v139, v109, -v2
	ds_read_b128 v[1:4], v100 offset:560
	s_waitcnt vmcnt(25) lgkmcnt(3)
	v_mul_f32_e32 v137, v141, v112
	v_mul_f32_e32 v112, v142, v112
	s_waitcnt vmcnt(24)
	v_mul_f32_e32 v138, v143, v110
	v_mul_f32_e32 v110, v144, v110
	s_waitcnt vmcnt(23) lgkmcnt(2)
	v_mul_f32_e32 v139, v5, v113
	v_fmac_f32_e32 v137, v142, v108
	v_fma_f32 v108, v141, v108, -v112
	s_waitcnt vmcnt(22)
	v_mul_f32_e32 v112, v7, v117
	v_mul_f32_e32 v113, v6, v113
	;; [unrolled: 1-line block ×3, first 2 shown]
	s_waitcnt vmcnt(18)
	v_fma_f32 v110, v143, v124, -v110
	v_fmac_f32_e32 v139, v6, v122
	v_fmac_f32_e32 v112, v8, v121
	v_fma_f32 v113, v5, v122, -v113
	v_fma_f32 v117, v7, v121, -v117
	s_clause 0x5
	buffer_load_dword v121, off, s[0:3], 0 offset:252
	buffer_load_dword v122, off, s[0:3], 0 offset:260
	;; [unrolled: 1-line block ×6, first 2 shown]
	v_fmac_f32_e32 v138, v144, v124
	s_waitcnt vmcnt(23) lgkmcnt(1)
	v_mul_f32_e32 v124, v101, v123
	v_mul_f32_e32 v123, v102, v123
	s_waitcnt vmcnt(22)
	v_mul_f32_e32 v144, v103, v119
	v_mul_f32_e32 v119, v104, v119
	ds_read_b128 v[5:8], v100 offset:576
	v_fmac_f32_e32 v124, v102, v118
	v_fma_f32 v101, v101, v118, -v123
	s_waitcnt vmcnt(18)
	v_fmac_f32_e32 v144, v104, v135
	v_fma_f32 v102, v103, v135, -v119
	s_waitcnt vmcnt(17) lgkmcnt(1)
	v_mul_f32_e32 v103, v1, v133
	v_mul_f32_e32 v104, v2, v133
	s_clause 0x1
	buffer_load_dword v123, off, s[0:3], 0 offset:268
	buffer_load_dword v133, off, s[0:3], 0 offset:276
	v_add_f32_e32 v107, 0, v107
	s_waitcnt vmcnt(18)
	v_mul_f32_e32 v118, v3, v134
	v_mul_f32_e32 v119, v4, v134
	v_fma_f32 v104, v1, v130, -v104
	v_add_f32_e32 v1, 0, v146
	v_add_f32_e32 v106, v107, v106
	v_fmac_f32_e32 v103, v2, v130
	v_fmac_f32_e32 v118, v4, v129
	v_fma_f32 v119, v3, v129, -v119
	v_add_f32_e32 v146, v1, v147
	s_clause 0x3
	buffer_load_dword v129, off, s[0:3], 0 offset:284
	buffer_load_dword v130, off, s[0:3], 0 offset:292
	;; [unrolled: 1-line block ×4, first 2 shown]
	ds_read_b128 v[1:4], v100 offset:592
	s_waitcnt vmcnt(21) lgkmcnt(1)
	v_mul_f32_e32 v147, v5, v128
	v_mul_f32_e32 v107, v6, v128
	v_add_f32_e32 v128, v146, v148
	s_waitcnt vmcnt(20)
	v_mul_f32_e32 v146, v7, v127
	v_mul_f32_e32 v127, v8, v127
	v_fmac_f32_e32 v147, v6, v125
	v_fma_f32 v125, v5, v125, -v107
	v_add_f32_e32 v5, v128, v149
	v_add_f32_e32 v106, v106, v150
	s_clause 0x3
	buffer_load_dword v128, off, s[0:3], 0 offset:316
	buffer_load_dword v148, off, s[0:3], 0 offset:324
	;; [unrolled: 1-line block ×4, first 2 shown]
	s_waitcnt vmcnt(20)
	v_fmac_f32_e32 v146, v8, v136
	v_fma_f32 v127, v7, v136, -v127
	v_add_f32_e32 v5, v5, v116
	s_clause 0x5
	buffer_load_dword v136, off, s[0:3], 0 offset:348
	buffer_load_dword v116, off, s[0:3], 0 offset:304
	;; [unrolled: 1-line block ×6, first 2 shown]
	v_add_f32_e32 v6, v106, v105
	v_add_f32_e32 v5, v5, v151
	s_waitcnt vmcnt(25) lgkmcnt(0)
	v_mul_f32_e32 v107, v2, v132
	v_add_f32_e32 v6, v6, v111
	v_add_f32_e32 v106, v5, v137
	v_mul_f32_e32 v137, v1, v132
	v_add_f32_e32 v105, v6, v109
	ds_read_b128 v[5:8], v100 offset:608
	v_add_f32_e32 v106, v106, v138
	v_fmac_f32_e32 v137, v2, v131
	v_fma_f32 v109, v1, v131, -v107
	v_add_f32_e32 v105, v105, v108
	v_add_f32_e32 v2, v106, v139
	s_clause 0x5
	buffer_load_dword v131, off, s[0:3], 0 offset:336
	buffer_load_dword v132, off, s[0:3], 0 offset:328
	;; [unrolled: 1-line block ×6, first 2 shown]
	v_add_f32_e32 v1, v105, v110
	v_add_f32_e32 v2, v2, v112
	;; [unrolled: 1-line block ×5, first 2 shown]
	buffer_load_dword v117, off, s[0:3], 0 offset:88
	v_add_f32_e32 v105, v105, v144
	v_add_f32_e32 v101, v1, v101
	;; [unrolled: 1-line block ×6, first 2 shown]
	ds_read_b128 v[101:104], v100 offset:640
	v_add_f32_e32 v111, v111, v147
	v_add_f32_e32 v110, v107, v119
	;; [unrolled: 1-line block ×4, first 2 shown]
	s_waitcnt vmcnt(30)
	v_mul_f32_e32 v124, v3, v114
	v_mul_f32_e32 v2, v4, v114
	s_waitcnt vmcnt(29) lgkmcnt(1)
	v_mul_f32_e32 v106, v6, v115
	v_fmac_f32_e32 v124, v4, v126
	v_fma_f32 v113, v3, v126, -v2
	ds_read_b128 v[1:4], v100 offset:624
	v_mul_f32_e32 v126, v5, v115
	v_fmac_f32_e32 v126, v6, v120
	v_fma_f32 v120, v5, v120, -v106
	s_waitcnt vmcnt(28)
	v_mul_f32_e32 v115, v7, v121
	v_mul_f32_e32 v108, v8, v121
	s_waitcnt vmcnt(23)
	v_fmac_f32_e32 v115, v8, v143
	v_fma_f32 v119, v7, v143, -v108
	ds_read_b128 v[5:8], v100 offset:656
	ds_read_b128 v[105:108], v100 offset:672
	s_waitcnt lgkmcnt(2)
	v_mul_f32_e32 v112, v2, v122
	v_mul_f32_e32 v118, v1, v122
	v_fma_f32 v122, v1, v142, -v112
	v_add_f32_e32 v1, v111, v146
	s_waitcnt vmcnt(22)
	v_mul_f32_e32 v121, v3, v123
	v_mul_f32_e32 v114, v4, v123
	v_add_f32_e32 v123, v110, v109
	v_fmac_f32_e32 v118, v2, v142
	v_add_f32_e32 v127, v1, v137
	v_fmac_f32_e32 v121, v4, v141
	v_fma_f32 v125, v3, v141, -v114
	v_add_f32_e32 v123, v123, v113
	s_waitcnt vmcnt(21)
	v_mul_f32_e32 v137, v101, v133
	v_add_f32_e32 v124, v127, v124
	s_waitcnt vmcnt(20)
	v_mul_f32_e32 v127, v103, v129
	v_mul_f32_e32 v129, v104, v129
	v_add_f32_e32 v120, v123, v120
	v_mul_f32_e32 v123, v102, v133
	v_add_f32_e32 v124, v124, v126
	v_fmac_f32_e32 v137, v102, v140
	ds_read_b128 v[109:112], v100 offset:688
	ds_read_b128 v[1:4], v100 offset:704
	v_add_f32_e32 v119, v120, v119
	v_add_f32_e32 v115, v124, v115
	v_fma_f32 v101, v101, v140, -v123
	s_waitcnt vmcnt(19) lgkmcnt(3)
	v_mul_f32_e32 v126, v5, v130
	s_waitcnt vmcnt(18)
	v_mul_f32_e32 v120, v7, v134
	v_add_f32_e32 v119, v119, v122
	v_add_f32_e32 v115, v115, v118
	s_waitcnt vmcnt(17) lgkmcnt(2)
	v_mul_f32_e32 v133, v105, v135
	s_waitcnt vmcnt(9)
	v_fmac_f32_e32 v126, v6, v153
	s_waitcnt vmcnt(8)
	v_fma_f32 v103, v103, v154, -v129
	v_add_f32_e32 v119, v119, v125
	v_add_f32_e32 v115, v115, v121
	v_mul_f32_e32 v125, v6, v130
	v_fmac_f32_e32 v127, v104, v154
	v_fmac_f32_e32 v120, v8, v152
	v_add_f32_e32 v101, v119, v101
	v_add_f32_e32 v104, v115, v137
	v_mul_f32_e32 v115, v8, v134
	v_fma_f32 v5, v5, v153, -v125
	v_mul_f32_e32 v8, v108, v128
	v_add_f32_e32 v6, v101, v103
	v_add_f32_e32 v101, v104, v127
	v_mul_f32_e32 v103, v106, v135
	v_fma_f32 v7, v7, v152, -v115
	v_mul_f32_e32 v124, v107, v128
	v_add_f32_e32 v5, v6, v5
	v_add_f32_e32 v6, v101, v126
	v_fma_f32 v101, v105, v116, -v103
	v_fmac_f32_e32 v133, v106, v116
	ds_read_b64 v[113:114], v100 offset:720
	v_add_f32_e32 v5, v5, v7
	v_add_f32_e32 v6, v6, v120
	s_waitcnt lgkmcnt(2)
	v_mul_f32_e32 v7, v110, v148
	s_waitcnt vmcnt(3)
	v_fma_f32 v8, v107, v139, -v8
	v_mul_f32_e32 v122, v109, v148
	v_add_f32_e32 v5, v5, v101
	v_fmac_f32_e32 v124, v108, v139
	v_add_f32_e32 v6, v6, v133
	v_mul_f32_e32 v101, v112, v149
	v_fma_f32 v7, v109, v138, -v7
	v_add_f32_e32 v5, v5, v8
	v_mul_f32_e32 v102, v111, v149
	v_fmac_f32_e32 v122, v110, v138
	v_add_f32_e32 v6, v6, v124
	s_waitcnt lgkmcnt(1)
	v_mul_f32_e32 v118, v1, v150
	v_mul_f32_e32 v8, v2, v150
	v_fma_f32 v101, v111, v132, -v101
	v_add_f32_e32 v5, v5, v7
	v_fmac_f32_e32 v102, v112, v132
	v_add_f32_e32 v6, v6, v122
	v_mul_f32_e32 v7, v4, v136
	v_fmac_f32_e32 v118, v2, v131
	v_fma_f32 v1, v1, v131, -v8
	v_add_f32_e32 v2, v5, v101
	v_mul_f32_e32 v123, v3, v136
	v_add_f32_e32 v5, v6, v102
	s_waitcnt lgkmcnt(0)
	v_mul_f32_e32 v6, v114, v155
	s_waitcnt vmcnt(1)
	v_fma_f32 v3, v3, v156, -v7
	v_add_f32_e32 v1, v2, v1
	v_mul_f32_e32 v121, v113, v155
	v_fmac_f32_e32 v123, v4, v156
	v_add_f32_e32 v2, v5, v118
	v_fma_f32 v4, v113, v151, -v6
	v_add_f32_e32 v1, v1, v3
	v_fmac_f32_e32 v121, v114, v151
	v_add_f32_e32 v2, v2, v123
	v_add_f32_e32 v1, v1, v4
	;; [unrolled: 1-line block ×3, first 2 shown]
	s_waitcnt vmcnt(0)
	v_sub_f32_e32 v1, v117, v1
	v_sub_f32_e32 v2, v145, v2
	buffer_store_dword v1, off, s[0:3], 0 offset:88
	buffer_store_dword v2, off, s[0:3], 0 offset:92
	v_cmpx_lt_u32_e32 10, v0
	s_cbranch_execz .LBB44_263
; %bb.262:
	s_clause 0x1
	buffer_load_dword v1, off, s[0:3], 0 offset:80
	buffer_load_dword v2, off, s[0:3], 0 offset:84
	buffer_store_dword v100, off, s[0:3], 0 offset:80
	buffer_store_dword v100, off, s[0:3], 0 offset:84
	s_waitcnt vmcnt(0)
	ds_write_b64 v99, v[1:2]
.LBB44_263:
	s_or_b32 exec_lo, exec_lo, s4
	s_waitcnt lgkmcnt(0)
	s_waitcnt_vscnt null, 0x0
	s_barrier
	buffer_gl0_inv
	s_clause 0x23
	buffer_load_dword v135, off, s[0:3], 0 offset:92
	buffer_load_dword v136, off, s[0:3], 0 offset:100
	;; [unrolled: 1-line block ×36, first 2 shown]
	ds_read2_b64 v[5:8], v100 offset0:57 offset1:58
	ds_read2_b64 v[1:4], v100 offset0:59 offset1:60
	;; [unrolled: 1-line block ×3, first 2 shown]
	s_clause 0x1
	buffer_load_dword v145, off, s[0:3], 0 offset:228
	buffer_load_dword v146, off, s[0:3], 0 offset:236
	ds_read2_b64 v[141:144], v100 offset0:63 offset1:64
	buffer_load_dword v149, off, s[0:3], 0 offset:84
	s_mov_b32 s4, exec_lo
	s_waitcnt vmcnt(38) lgkmcnt(3)
	v_mul_f32_e32 v147, v5, v135
	s_waitcnt vmcnt(37)
	v_mul_f32_e32 v148, v7, v136
	v_mul_f32_e32 v135, v6, v135
	;; [unrolled: 1-line block ×3, first 2 shown]
	s_waitcnt vmcnt(34)
	v_fmac_f32_e32 v147, v6, v107
	v_fmac_f32_e32 v148, v8, v106
	v_fma_f32 v107, v5, v107, -v135
	v_fma_f32 v106, v7, v106, -v136
	ds_read2_b64 v[5:8], v100 offset0:65 offset1:66
	s_waitcnt vmcnt(33) lgkmcnt(3)
	v_mul_f32_e32 v135, v1, v104
	v_mul_f32_e32 v104, v2, v104
	s_waitcnt vmcnt(32)
	v_mul_f32_e32 v136, v3, v103
	v_mul_f32_e32 v103, v4, v103
	s_waitcnt vmcnt(31) lgkmcnt(2)
	v_mul_f32_e32 v150, v137, v102
	v_fmac_f32_e32 v135, v2, v101
	v_fma_f32 v151, v1, v101, -v104
	s_waitcnt vmcnt(30)
	v_mul_f32_e32 v152, v139, v105
	v_mul_f32_e32 v101, v138, v102
	;; [unrolled: 1-line block ×3, first 2 shown]
	s_waitcnt vmcnt(26)
	v_fmac_f32_e32 v136, v4, v113
	v_fma_f32 v105, v3, v113, -v103
	ds_read2_b64 v[1:4], v100 offset0:67 offset1:68
	v_fmac_f32_e32 v150, v138, v112
	v_fma_f32 v112, v137, v112, -v101
	s_waitcnt vmcnt(25) lgkmcnt(2)
	v_mul_f32_e32 v113, v141, v109
	s_waitcnt vmcnt(24)
	v_mul_f32_e32 v137, v143, v110
	v_mul_f32_e32 v109, v142, v109
	;; [unrolled: 1-line block ×3, first 2 shown]
	v_fmac_f32_e32 v152, v140, v111
	v_fma_f32 v111, v139, v111, -v102
	ds_read2_b64 v[101:104], v100 offset0:69 offset1:70
	v_fmac_f32_e32 v113, v142, v108
	s_waitcnt vmcnt(19)
	v_fmac_f32_e32 v137, v144, v124
	v_fma_f32 v108, v141, v108, -v109
	v_fma_f32 v109, v143, v124, -v110
	s_clause 0x4
	buffer_load_dword v110, off, s[0:3], 0 offset:244
	buffer_load_dword v124, off, s[0:3], 0 offset:264
	;; [unrolled: 1-line block ×5, first 2 shown]
	s_waitcnt lgkmcnt(2)
	v_mul_f32_e32 v138, v5, v114
	v_mul_f32_e32 v114, v6, v114
	s_waitcnt vmcnt(23)
	v_mul_f32_e32 v142, v7, v120
	v_mul_f32_e32 v120, v8, v120
	v_fmac_f32_e32 v138, v6, v119
	v_fma_f32 v5, v5, v119, -v114
	s_waitcnt vmcnt(22) lgkmcnt(1)
	v_mul_f32_e32 v114, v1, v117
	v_fmac_f32_e32 v142, v8, v116
	v_fma_f32 v116, v7, v116, -v120
	s_waitcnt vmcnt(21)
	v_mul_f32_e32 v119, v3, v118
	v_mul_f32_e32 v6, v2, v117
	;; [unrolled: 1-line block ×3, first 2 shown]
	s_clause 0x2
	buffer_load_dword v117, off, s[0:3], 0 offset:252
	buffer_load_dword v118, off, s[0:3], 0 offset:260
	;; [unrolled: 1-line block ×3, first 2 shown]
	v_fmac_f32_e32 v114, v2, v115
	s_waitcnt vmcnt(20)
	v_fmac_f32_e32 v119, v4, v133
	v_fma_f32 v115, v1, v115, -v6
	v_fma_f32 v133, v3, v133, -v7
	ds_read2_b64 v[1:4], v100 offset0:71 offset1:72
	v_add_f32_e32 v6, 0, v147
	v_add_f32_e32 v7, 0, v107
	s_waitcnt vmcnt(19) lgkmcnt(1)
	v_mul_f32_e32 v143, v101, v130
	s_waitcnt vmcnt(18)
	v_mul_f32_e32 v144, v103, v131
	v_mul_f32_e32 v8, v102, v130
	v_add_f32_e32 v6, v6, v148
	v_mul_f32_e32 v107, v104, v131
	v_add_f32_e32 v7, v7, v106
	v_fmac_f32_e32 v143, v102, v128
	v_fmac_f32_e32 v144, v104, v127
	v_add_f32_e32 v6, v6, v135
	v_fma_f32 v101, v101, v128, -v8
	v_fma_f32 v106, v103, v127, -v107
	v_add_f32_e32 v7, v7, v151
	s_clause 0x7
	buffer_load_dword v127, off, s[0:3], 0 offset:276
	buffer_load_dword v128, off, s[0:3], 0 offset:284
	;; [unrolled: 1-line block ×8, first 2 shown]
	v_add_f32_e32 v6, v6, v136
	v_add_f32_e32 v7, v7, v105
	s_waitcnt vmcnt(25) lgkmcnt(0)
	v_mul_f32_e32 v8, v2, v125
	v_mul_f32_e32 v107, v1, v125
	s_clause 0x3
	buffer_load_dword v125, off, s[0:3], 0 offset:308
	buffer_load_dword v136, off, s[0:3], 0 offset:316
	;; [unrolled: 1-line block ×4, first 2 shown]
	v_fma_f32 v105, v1, v122, -v8
	v_add_f32_e32 v1, v6, v150
	v_fmac_f32_e32 v107, v2, v122
	v_add_f32_e32 v6, v7, v112
	s_waitcnt vmcnt(28)
	v_mul_f32_e32 v112, v3, v123
	v_mul_f32_e32 v2, v4, v123
	v_add_f32_e32 v7, v1, v152
	s_clause 0x2
	buffer_load_dword v122, off, s[0:3], 0 offset:340
	buffer_load_dword v150, off, s[0:3], 0 offset:348
	;; [unrolled: 1-line block ×3, first 2 shown]
	s_waitcnt vmcnt(27)
	v_fmac_f32_e32 v112, v4, v134
	v_fma_f32 v134, v3, v134, -v2
	ds_read2_b64 v[1:4], v100 offset0:73 offset1:74
	v_add_f32_e32 v7, v7, v113
	v_add_f32_e32 v6, v6, v111
	;; [unrolled: 1-line block ×3, first 2 shown]
	s_clause 0x3
	buffer_load_dword v137, off, s[0:3], 0 offset:328
	buffer_load_dword v152, off, s[0:3], 0 offset:320
	buffer_load_dword v155, off, s[0:3], 0 offset:312
	buffer_load_dword v156, off, s[0:3], 0 offset:304
	v_add_f32_e32 v6, v6, v108
	v_add_f32_e32 v102, v7, v138
	;; [unrolled: 1-line block ×5, first 2 shown]
	ds_read2_b64 v[5:8], v100 offset0:75 offset1:76
	s_waitcnt vmcnt(30) lgkmcnt(1)
	v_mul_f32_e32 v109, v1, v132
	v_mul_f32_e32 v104, v2, v132
	s_waitcnt vmcnt(29)
	v_mul_f32_e32 v113, v3, v145
	v_fmac_f32_e32 v109, v2, v129
	v_fma_f32 v111, v1, v129, -v104
	s_clause 0x3
	buffer_load_dword v129, off, s[0:3], 0 offset:352
	buffer_load_dword v132, off, s[0:3], 0 offset:344
	;; [unrolled: 1-line block ×4, first 2 shown]
	v_add_f32_e32 v1, v103, v116
	v_add_f32_e32 v2, v102, v114
	v_mul_f32_e32 v102, v4, v145
	v_fmac_f32_e32 v113, v4, v126
	v_add_f32_e32 v1, v1, v115
	v_add_f32_e32 v2, v2, v119
	v_fma_f32 v114, v3, v126, -v102
	v_add_f32_e32 v103, v1, v133
	v_add_f32_e32 v108, v2, v143
	ds_read2_b64 v[1:4], v100 offset0:77 offset1:78
	s_waitcnt vmcnt(32) lgkmcnt(1)
	v_mul_f32_e32 v116, v5, v146
	v_mul_f32_e32 v119, v6, v146
	v_add_f32_e32 v115, v103, v101
	ds_read2_b64 v[101:104], v100 offset0:79 offset1:80
	v_add_f32_e32 v108, v108, v144
	v_fmac_f32_e32 v116, v6, v121
	v_fma_f32 v119, v5, v121, -v119
	v_add_f32_e32 v106, v115, v106
	v_add_f32_e32 v115, v108, v107
	;; [unrolled: 1-line block ×5, first 2 shown]
	s_waitcnt vmcnt(30)
	v_mul_f32_e32 v126, v7, v110
	v_mul_f32_e32 v110, v8, v110
	s_waitcnt vmcnt(26)
	v_fmac_f32_e32 v126, v8, v141
	v_fma_f32 v121, v7, v141, -v110
	v_add_f32_e32 v110, v106, v105
	ds_read2_b64 v[5:8], v100 offset0:81 offset1:82
	ds_read2_b64 v[105:108], v100 offset0:83 offset1:84
	v_add_f32_e32 v110, v110, v134
	s_waitcnt vmcnt(25) lgkmcnt(3)
	v_mul_f32_e32 v133, v1, v117
	v_mul_f32_e32 v115, v2, v117
	s_waitcnt vmcnt(24)
	v_mul_f32_e32 v134, v3, v118
	v_mul_f32_e32 v117, v4, v118
	s_waitcnt vmcnt(23) lgkmcnt(2)
	v_mul_f32_e32 v118, v101, v120
	v_fmac_f32_e32 v133, v2, v140
	v_fma_f32 v140, v1, v140, -v115
	v_add_f32_e32 v115, v110, v111
	v_fmac_f32_e32 v134, v4, v139
	v_fma_f32 v117, v3, v139, -v117
	v_mul_f32_e32 v120, v102, v120
	ds_read2_b64 v[1:4], v100 offset0:85 offset1:86
	ds_read2_b64 v[109:112], v100 offset0:87 offset1:88
	v_add_f32_e32 v139, v115, v114
	v_fmac_f32_e32 v118, v102, v124
	v_add_f32_e32 v102, v113, v116
	ds_read2_b64 v[113:116], v100 offset0:89 offset1:90
	v_fma_f32 v101, v101, v124, -v120
	v_add_f32_e32 v100, v139, v119
	s_waitcnt vmcnt(22)
	v_mul_f32_e32 v120, v104, v127
	v_add_f32_e32 v102, v102, v126
	v_mul_f32_e32 v119, v103, v127
	s_waitcnt vmcnt(21) lgkmcnt(4)
	v_mul_f32_e32 v124, v5, v128
	v_add_f32_e32 v100, v100, v121
	v_mul_f32_e32 v126, v6, v128
	v_add_f32_e32 v102, v102, v133
	s_waitcnt vmcnt(15)
	v_fma_f32 v103, v103, v151, -v120
	v_fmac_f32_e32 v119, v104, v151
	v_add_f32_e32 v100, v100, v140
	v_fmac_f32_e32 v124, v6, v148
	v_add_f32_e32 v102, v102, v134
	v_fma_f32 v5, v5, v148, -v126
	v_mul_f32_e32 v121, v7, v130
	v_add_f32_e32 v100, v100, v117
	v_mul_f32_e32 v117, v8, v130
	s_waitcnt lgkmcnt(3)
	v_mul_f32_e32 v104, v105, v131
	s_waitcnt vmcnt(14)
	v_mul_f32_e32 v120, v107, v125
	v_fmac_f32_e32 v121, v8, v147
	v_add_f32_e32 v100, v100, v101
	v_add_f32_e32 v101, v102, v118
	v_fma_f32 v7, v7, v147, -v117
	v_mul_f32_e32 v8, v108, v125
	v_fmac_f32_e32 v104, v106, v135
	v_add_f32_e32 v6, v100, v103
	v_add_f32_e32 v100, v101, v119
	v_mul_f32_e32 v101, v106, v131
	s_waitcnt vmcnt(13) lgkmcnt(2)
	v_mul_f32_e32 v127, v1, v136
	s_waitcnt vmcnt(12)
	v_mul_f32_e32 v128, v3, v153
	v_add_f32_e32 v5, v6, v5
	v_add_f32_e32 v6, v100, v124
	v_fma_f32 v100, v105, v135, -v101
	s_waitcnt vmcnt(4)
	v_fma_f32 v8, v107, v156, -v8
	v_fmac_f32_e32 v120, v108, v156
	v_add_f32_e32 v5, v5, v7
	v_add_f32_e32 v6, v6, v121
	v_mul_f32_e32 v7, v2, v136
	v_fmac_f32_e32 v127, v2, v155
	s_waitcnt lgkmcnt(1)
	v_mul_f32_e32 v133, v109, v154
	v_add_f32_e32 v5, v5, v100
	v_add_f32_e32 v6, v6, v104
	v_mul_f32_e32 v100, v4, v153
	v_fma_f32 v1, v1, v155, -v7
	v_fmac_f32_e32 v128, v4, v152
	v_add_f32_e32 v2, v5, v8
	v_add_f32_e32 v5, v6, v120
	v_mul_f32_e32 v6, v110, v154
	v_fma_f32 v3, v3, v152, -v100
	v_mul_f32_e32 v4, v112, v122
	v_add_f32_e32 v1, v2, v1
	v_add_f32_e32 v2, v5, v127
	v_fma_f32 v5, v109, v137, -v6
	v_mul_f32_e32 v130, v111, v122
	v_fmac_f32_e32 v133, v110, v137
	v_add_f32_e32 v1, v1, v3
	v_add_f32_e32 v2, v2, v128
	s_waitcnt lgkmcnt(0)
	v_mul_f32_e32 v3, v114, v150
	s_waitcnt vmcnt(1)
	v_fma_f32 v4, v111, v138, -v4
	v_mul_f32_e32 v134, v113, v150
	v_add_f32_e32 v1, v1, v5
	v_fmac_f32_e32 v130, v112, v138
	v_add_f32_e32 v2, v2, v133
	v_mul_f32_e32 v5, v116, v123
	v_fma_f32 v3, v113, v132, -v3
	v_add_f32_e32 v1, v1, v4
	v_mul_f32_e32 v102, v115, v123
	v_fmac_f32_e32 v134, v114, v132
	v_add_f32_e32 v2, v2, v130
	v_fma_f32 v4, v115, v129, -v5
	v_add_f32_e32 v1, v1, v3
	v_fmac_f32_e32 v102, v116, v129
	v_add_f32_e32 v2, v2, v134
	v_add_f32_e32 v1, v1, v4
	;; [unrolled: 1-line block ×3, first 2 shown]
	s_waitcnt vmcnt(0)
	v_sub_f32_e32 v1, v142, v1
	v_sub_f32_e32 v2, v149, v2
	buffer_store_dword v1, off, s[0:3], 0 offset:80
	buffer_store_dword v2, off, s[0:3], 0 offset:84
	v_cmpx_lt_u32_e32 9, v0
	s_cbranch_execz .LBB44_265
; %bb.264:
	s_clause 0x1
	buffer_load_dword v1, off, s[0:3], 0 offset:72
	buffer_load_dword v2, off, s[0:3], 0 offset:76
	v_mov_b32_e32 v3, 0
	buffer_store_dword v3, off, s[0:3], 0 offset:72
	buffer_store_dword v3, off, s[0:3], 0 offset:76
	s_waitcnt vmcnt(0)
	ds_write_b64 v99, v[1:2]
.LBB44_265:
	s_or_b32 exec_lo, exec_lo, s4
	s_waitcnt lgkmcnt(0)
	s_waitcnt_vscnt null, 0x0
	s_barrier
	buffer_gl0_inv
	s_clause 0x2a
	buffer_load_dword v7, off, s[0:3], 0 offset:84
	buffer_load_dword v8, off, s[0:3], 0 offset:92
	buffer_load_dword v2, off, s[0:3], 0 offset:96
	buffer_load_dword v5, off, s[0:3], 0 offset:88
	buffer_load_dword v6, off, s[0:3], 0 offset:80
	buffer_load_dword v3, off, s[0:3], 0 offset:100
	buffer_load_dword v4, off, s[0:3], 0 offset:108
	buffer_load_dword v100, off, s[0:3], 0 offset:128
	buffer_load_dword v101, off, s[0:3], 0 offset:120
	buffer_load_dword v103, off, s[0:3], 0 offset:112
	buffer_load_dword v108, off, s[0:3], 0 offset:104
	buffer_load_dword v107, off, s[0:3], 0 offset:116
	buffer_load_dword v106, off, s[0:3], 0 offset:124
	buffer_load_dword v104, off, s[0:3], 0 offset:132
	buffer_load_dword v102, off, s[0:3], 0 offset:140
	buffer_load_dword v105, off, s[0:3], 0 offset:148
	buffer_load_dword v109, off, s[0:3], 0 offset:160
	buffer_load_dword v110, off, s[0:3], 0 offset:152
	buffer_load_dword v113, off, s[0:3], 0 offset:144
	buffer_load_dword v115, off, s[0:3], 0 offset:136
	buffer_load_dword v114, off, s[0:3], 0 offset:156
	buffer_load_dword v112, off, s[0:3], 0 offset:164
	buffer_load_dword v111, off, s[0:3], 0 offset:172
	buffer_load_dword v116, off, s[0:3], 0 offset:192
	buffer_load_dword v117, off, s[0:3], 0 offset:184
	buffer_load_dword v118, off, s[0:3], 0 offset:176
	buffer_load_dword v123, off, s[0:3], 0 offset:168
	buffer_load_dword v121, off, s[0:3], 0 offset:180
	buffer_load_dword v122, off, s[0:3], 0 offset:188
	buffer_load_dword v120, off, s[0:3], 0 offset:196
	buffer_load_dword v119, off, s[0:3], 0 offset:204
	buffer_load_dword v124, off, s[0:3], 0 offset:224
	buffer_load_dword v125, off, s[0:3], 0 offset:216
	buffer_load_dword v127, off, s[0:3], 0 offset:208
	buffer_load_dword v131, off, s[0:3], 0 offset:200
	buffer_load_dword v130, off, s[0:3], 0 offset:212
	buffer_load_dword v129, off, s[0:3], 0 offset:220
	buffer_load_dword v128, off, s[0:3], 0 offset:228
	buffer_load_dword v126, off, s[0:3], 0 offset:236
	buffer_load_dword v144, off, s[0:3], 0 offset:256
	buffer_load_dword v145, off, s[0:3], 0 offset:248
	buffer_load_dword v146, off, s[0:3], 0 offset:240
	buffer_load_dword v147, off, s[0:3], 0 offset:232
	v_mov_b32_e32 v1, 0
	ds_read_b128 v[132:135], v1 offset:448
	ds_read_b128 v[136:139], v1 offset:464
	;; [unrolled: 1-line block ×3, first 2 shown]
	buffer_load_dword v150, off, s[0:3], 0 offset:76
	s_mov_b32 s4, exec_lo
	s_waitcnt vmcnt(43) lgkmcnt(2)
	v_mul_f32_e32 v148, v132, v7
	s_waitcnt vmcnt(42)
	v_mul_f32_e32 v149, v134, v8
	v_mul_f32_e32 v7, v133, v7
	;; [unrolled: 1-line block ×3, first 2 shown]
	s_waitcnt vmcnt(39)
	v_fmac_f32_e32 v148, v133, v6
	v_fmac_f32_e32 v149, v135, v5
	v_fma_f32 v151, v132, v6, -v7
	v_fma_f32 v152, v134, v5, -v8
	ds_read_b128 v[5:8], v1 offset:496
	ds_read_b128 v[132:135], v1 offset:512
	s_waitcnt vmcnt(38) lgkmcnt(3)
	v_mul_f32_e32 v153, v136, v3
	v_mul_f32_e32 v3, v137, v3
	s_waitcnt vmcnt(37)
	v_mul_f32_e32 v154, v138, v4
	v_mul_f32_e32 v4, v139, v4
	s_waitcnt vmcnt(32) lgkmcnt(2)
	v_mul_f32_e32 v156, v140, v107
	v_fmac_f32_e32 v153, v137, v2
	v_fma_f32 v155, v136, v2, -v3
	v_mul_f32_e32 v2, v141, v107
	s_waitcnt vmcnt(31)
	v_mul_f32_e32 v157, v142, v106
	v_mul_f32_e32 v3, v143, v106
	v_fmac_f32_e32 v154, v139, v108
	v_fma_f32 v108, v138, v108, -v4
	v_fmac_f32_e32 v156, v141, v103
	v_fma_f32 v140, v140, v103, -v2
	;; [unrolled: 2-line block ×3, first 2 shown]
	ds_read_b128 v[136:139], v1 offset:528
	s_waitcnt vmcnt(30) lgkmcnt(2)
	v_mul_f32_e32 v141, v5, v104
	v_mul_f32_e32 v2, v6, v104
	s_waitcnt vmcnt(29)
	v_mul_f32_e32 v143, v7, v102
	v_mul_f32_e32 v3, v8, v102
	s_waitcnt vmcnt(28) lgkmcnt(1)
	v_mul_f32_e32 v158, v132, v105
	v_fmac_f32_e32 v141, v6, v100
	v_fma_f32 v6, v5, v100, -v2
	s_waitcnt vmcnt(24)
	v_fmac_f32_e32 v143, v8, v115
	v_fma_f32 v7, v7, v115, -v3
	s_waitcnt vmcnt(23)
	v_mul_f32_e32 v8, v134, v114
	v_mul_f32_e32 v100, v133, v105
	v_mul_f32_e32 v101, v135, v114
	ds_read_b128 v[2:5], v1 offset:544
	v_fmac_f32_e32 v158, v133, v113
	v_fmac_f32_e32 v8, v135, v110
	v_fma_f32 v113, v132, v113, -v100
	v_fma_f32 v110, v134, v110, -v101
	ds_read_b128 v[100:103], v1 offset:560
	s_waitcnt vmcnt(22) lgkmcnt(2)
	v_mul_f32_e32 v114, v136, v112
	v_mul_f32_e32 v104, v137, v112
	s_waitcnt vmcnt(21)
	v_mul_f32_e32 v112, v138, v111
	v_mul_f32_e32 v105, v139, v111
	buffer_load_dword v111, off, s[0:3], 0 offset:244
	v_fmac_f32_e32 v114, v137, v109
	v_fma_f32 v109, v136, v109, -v104
	s_waitcnt vmcnt(18)
	v_fmac_f32_e32 v112, v139, v123
	v_fma_f32 v115, v138, v123, -v105
	s_waitcnt vmcnt(17) lgkmcnt(1)
	v_mul_f32_e32 v123, v2, v121
	s_waitcnt vmcnt(16)
	v_mul_f32_e32 v132, v4, v122
	v_mul_f32_e32 v104, v3, v121
	;; [unrolled: 1-line block ×3, first 2 shown]
	v_fmac_f32_e32 v123, v3, v118
	v_fmac_f32_e32 v132, v5, v117
	v_fma_f32 v118, v2, v118, -v104
	v_fma_f32 v117, v4, v117, -v105
	ds_read_b128 v[2:5], v1 offset:576
	s_waitcnt vmcnt(15) lgkmcnt(1)
	v_mul_f32_e32 v121, v100, v120
	v_mul_f32_e32 v106, v101, v120
	s_waitcnt vmcnt(14)
	v_mul_f32_e32 v120, v102, v119
	v_mul_f32_e32 v119, v103, v119
	v_fmac_f32_e32 v121, v101, v116
	v_fma_f32 v116, v100, v116, -v106
	ds_read_b128 v[104:107], v1 offset:592
	s_waitcnt vmcnt(10)
	v_fmac_f32_e32 v120, v103, v131
	v_fma_f32 v119, v102, v131, -v119
	s_clause 0x1
	buffer_load_dword v122, off, s[0:3], 0 offset:252
	buffer_load_dword v131, off, s[0:3], 0 offset:260
	s_waitcnt vmcnt(11) lgkmcnt(1)
	v_mul_f32_e32 v133, v2, v130
	v_mul_f32_e32 v100, v3, v130
	s_waitcnt vmcnt(10)
	v_mul_f32_e32 v134, v4, v129
	v_mul_f32_e32 v101, v5, v129
	buffer_load_dword v130, off, s[0:3], 0 offset:268
	v_fmac_f32_e32 v133, v3, v127
	v_fma_f32 v127, v2, v127, -v100
	v_fmac_f32_e32 v134, v5, v125
	s_waitcnt vmcnt(10) lgkmcnt(0)
	v_mul_f32_e32 v129, v104, v128
	v_mul_f32_e32 v2, v105, v128
	s_waitcnt vmcnt(9)
	v_mul_f32_e32 v3, v107, v126
	s_clause 0x3
	buffer_load_dword v128, off, s[0:3], 0 offset:288
	buffer_load_dword v135, off, s[0:3], 0 offset:280
	;; [unrolled: 1-line block ×4, first 2 shown]
	v_mul_f32_e32 v138, v106, v126
	v_fmac_f32_e32 v129, v105, v124
	v_fma_f32 v124, v104, v124, -v2
	v_add_f32_e32 v2, 0, v148
	s_clause 0x1
	buffer_load_dword v126, off, s[0:3], 0 offset:276
	buffer_load_dword v148, off, s[0:3], 0 offset:292
	s_waitcnt vmcnt(11)
	v_fma_f32 v139, v106, v147, -v3
	v_add_f32_e32 v3, 0, v151
	v_add_f32_e32 v2, v2, v149
	v_fmac_f32_e32 v138, v107, v147
	s_clause 0x4
	buffer_load_dword v147, off, s[0:3], 0 offset:284
	buffer_load_dword v149, off, s[0:3], 0 offset:300
	buffer_load_dword v151, off, s[0:3], 0 offset:308
	buffer_load_dword v159, off, s[0:3], 0 offset:316
	buffer_load_dword v160, off, s[0:3], 0 offset:324
	v_add_f32_e32 v3, v3, v152
	v_add_f32_e32 v2, v2, v153
	s_clause 0x1
	buffer_load_dword v152, off, s[0:3], 0 offset:332
	buffer_load_dword v153, off, s[0:3], 0 offset:340
	v_fma_f32 v125, v4, v125, -v101
	v_add_f32_e32 v3, v3, v155
	v_add_f32_e32 v2, v2, v154
	s_clause 0x1
	buffer_load_dword v154, off, s[0:3], 0 offset:348
	buffer_load_dword v155, off, s[0:3], 0 offset:356
	v_add_f32_e32 v3, v3, v108
	v_add_f32_e32 v2, v2, v156
	;; [unrolled: 1-line block ×4, first 2 shown]
	s_clause 0x3
	buffer_load_dword v140, off, s[0:3], 0 offset:320
	buffer_load_dword v156, off, s[0:3], 0 offset:312
	;; [unrolled: 1-line block ×4, first 2 shown]
	v_add_f32_e32 v3, v3, v142
	v_add_f32_e32 v2, v2, v141
	;; [unrolled: 1-line block ×4, first 2 shown]
	s_clause 0x4
	buffer_load_dword v141, off, s[0:3], 0 offset:352
	buffer_load_dword v142, off, s[0:3], 0 offset:344
	;; [unrolled: 1-line block ×5, first 2 shown]
	ds_read_b128 v[100:103], v1 offset:624
	v_add_f32_e32 v3, v3, v7
	v_add_f32_e32 v2, v2, v158
	;; [unrolled: 1-line block ×5, first 2 shown]
	ds_read_b128 v[2:5], v1 offset:608
	v_add_f32_e32 v6, v6, v114
	v_add_f32_e32 v7, v7, v109
	;; [unrolled: 1-line block ×14, first 2 shown]
	s_waitcnt vmcnt(27) lgkmcnt(0)
	v_mul_f32_e32 v8, v2, v111
	v_mul_f32_e32 v104, v3, v111
	v_fmac_f32_e32 v8, v3, v146
	v_add_f32_e32 v3, v7, v116
	v_fma_f32 v116, v2, v146, -v104
	v_add_f32_e32 v8, v123, v8
	v_add_f32_e32 v7, v3, v119
	;; [unrolled: 1-line block ×5, first 2 shown]
	s_waitcnt vmcnt(26)
	v_mul_f32_e32 v117, v4, v122
	v_mul_f32_e32 v105, v5, v122
	v_add_f32_e32 v124, v7, v139
	s_waitcnt vmcnt(25)
	v_mul_f32_e32 v112, v101, v131
	v_mul_f32_e32 v119, v100, v131
	v_fmac_f32_e32 v117, v5, v145
	v_fma_f32 v118, v4, v145, -v105
	ds_read_b128 v[2:5], v1 offset:640
	ds_read_b128 v[104:107], v1 offset:656
	v_add_f32_e32 v116, v124, v116
	v_fma_f32 v122, v100, v144, -v112
	v_fmac_f32_e32 v119, v101, v144
	v_add_f32_e32 v8, v8, v117
	ds_read_b128 v[108:111], v1 offset:672
	ds_read_b128 v[112:115], v1 offset:688
	s_waitcnt vmcnt(24)
	v_mul_f32_e32 v121, v103, v130
	v_add_f32_e32 v116, v116, v118
	v_mul_f32_e32 v120, v102, v130
	v_add_f32_e32 v8, v8, v119
	v_add_f32_e32 v116, v116, v122
	s_waitcnt vmcnt(20)
	v_fma_f32 v121, v102, v137, -v121
	v_fmac_f32_e32 v120, v103, v137
	ds_read_b128 v[100:103], v1 offset:704
	ds_read_b64 v[6:7], v1 offset:720
	s_waitcnt vmcnt(19) lgkmcnt(5)
	v_mul_f32_e32 v124, v3, v126
	v_mul_f32_e32 v125, v2, v126
	v_add_f32_e32 v116, v116, v121
	v_add_f32_e32 v8, v8, v120
	s_waitcnt vmcnt(18) lgkmcnt(4)
	v_mul_f32_e32 v123, v104, v148
	v_fma_f32 v2, v2, v136, -v124
	s_waitcnt vmcnt(17)
	v_mul_f32_e32 v126, v5, v147
	v_mul_f32_e32 v127, v4, v147
	v_fmac_f32_e32 v125, v3, v136
	v_mul_f32_e32 v124, v105, v148
	v_add_f32_e32 v2, v116, v2
	v_fma_f32 v4, v4, v135, -v126
	v_fmac_f32_e32 v127, v5, v135
	v_add_f32_e32 v5, v8, v125
	s_waitcnt vmcnt(16)
	v_mul_f32_e32 v8, v107, v149
	v_fma_f32 v104, v104, v128, -v124
	v_add_f32_e32 v2, v2, v4
	v_mul_f32_e32 v118, v106, v149
	v_fmac_f32_e32 v123, v105, v128
	v_add_f32_e32 v4, v5, v127
	s_waitcnt vmcnt(15) lgkmcnt(3)
	v_mul_f32_e32 v5, v109, v151
	v_add_f32_e32 v2, v2, v104
	v_mul_f32_e32 v129, v108, v151
	s_waitcnt vmcnt(14)
	v_mul_f32_e32 v104, v111, v159
	v_add_f32_e32 v4, v4, v123
	s_waitcnt vmcnt(5)
	v_fma_f32 v8, v106, v161, -v8
	v_fmac_f32_e32 v118, v107, v161
	v_fma_f32 v5, v108, v157, -v5
	v_mul_f32_e32 v117, v110, v159
	v_fmac_f32_e32 v129, v109, v157
	v_add_f32_e32 v2, v2, v8
	v_add_f32_e32 v4, v4, v118
	s_waitcnt lgkmcnt(2)
	v_mul_f32_e32 v8, v113, v160
	v_fma_f32 v104, v110, v156, -v104
	v_mul_f32_e32 v122, v112, v160
	v_add_f32_e32 v2, v2, v5
	v_fmac_f32_e32 v117, v111, v156
	v_add_f32_e32 v4, v4, v129
	v_mul_f32_e32 v5, v115, v152
	v_fma_f32 v8, v112, v140, -v8
	v_add_f32_e32 v2, v2, v104
	v_mul_f32_e32 v3, v114, v152
	v_fmac_f32_e32 v122, v113, v140
	v_add_f32_e32 v4, v4, v117
	s_waitcnt lgkmcnt(1)
	v_mul_f32_e32 v104, v101, v153
	s_waitcnt vmcnt(1)
	v_fma_f32 v5, v114, v162, -v5
	v_add_f32_e32 v2, v2, v8
	v_mul_f32_e32 v119, v100, v153
	v_fmac_f32_e32 v3, v115, v162
	v_add_f32_e32 v4, v4, v122
	v_mul_f32_e32 v8, v103, v154
	v_fma_f32 v100, v100, v143, -v104
	v_add_f32_e32 v2, v2, v5
	v_mul_f32_e32 v121, v102, v154
	v_fmac_f32_e32 v119, v101, v143
	v_add_f32_e32 v3, v4, v3
	s_waitcnt lgkmcnt(0)
	v_mul_f32_e32 v4, v7, v155
	v_fma_f32 v5, v102, v142, -v8
	v_add_f32_e32 v2, v2, v100
	v_mul_f32_e32 v120, v6, v155
	v_fmac_f32_e32 v121, v103, v142
	v_add_f32_e32 v3, v3, v119
	v_fma_f32 v4, v6, v141, -v4
	v_add_f32_e32 v2, v2, v5
	v_fmac_f32_e32 v120, v7, v141
	v_add_f32_e32 v3, v3, v121
	v_add_f32_e32 v2, v2, v4
	;; [unrolled: 1-line block ×3, first 2 shown]
	s_waitcnt vmcnt(0)
	v_sub_f32_e32 v2, v163, v2
	v_sub_f32_e32 v3, v150, v3
	buffer_store_dword v2, off, s[0:3], 0 offset:72
	buffer_store_dword v3, off, s[0:3], 0 offset:76
	v_cmpx_lt_u32_e32 8, v0
	s_cbranch_execz .LBB44_267
; %bb.266:
	s_clause 0x1
	buffer_load_dword v2, off, s[0:3], 0 offset:64
	buffer_load_dword v3, off, s[0:3], 0 offset:68
	buffer_store_dword v1, off, s[0:3], 0 offset:64
	buffer_store_dword v1, off, s[0:3], 0 offset:68
	s_waitcnt vmcnt(0)
	ds_write_b64 v99, v[2:3]
.LBB44_267:
	s_or_b32 exec_lo, exec_lo, s4
	s_waitcnt lgkmcnt(0)
	s_waitcnt_vscnt null, 0x0
	s_barrier
	buffer_gl0_inv
	s_clause 0x2a
	buffer_load_dword v7, off, s[0:3], 0 offset:76
	buffer_load_dword v8, off, s[0:3], 0 offset:84
	buffer_load_dword v2, off, s[0:3], 0 offset:88
	buffer_load_dword v5, off, s[0:3], 0 offset:80
	buffer_load_dword v6, off, s[0:3], 0 offset:72
	buffer_load_dword v3, off, s[0:3], 0 offset:92
	buffer_load_dword v4, off, s[0:3], 0 offset:100
	buffer_load_dword v100, off, s[0:3], 0 offset:120
	buffer_load_dword v101, off, s[0:3], 0 offset:112
	buffer_load_dword v104, off, s[0:3], 0 offset:104
	buffer_load_dword v107, off, s[0:3], 0 offset:96
	buffer_load_dword v105, off, s[0:3], 0 offset:108
	buffer_load_dword v106, off, s[0:3], 0 offset:116
	buffer_load_dword v102, off, s[0:3], 0 offset:124
	buffer_load_dword v103, off, s[0:3], 0 offset:132
	buffer_load_dword v108, off, s[0:3], 0 offset:152
	buffer_load_dword v109, off, s[0:3], 0 offset:144
	buffer_load_dword v112, off, s[0:3], 0 offset:136
	buffer_load_dword v115, off, s[0:3], 0 offset:128
	buffer_load_dword v113, off, s[0:3], 0 offset:140
	buffer_load_dword v114, off, s[0:3], 0 offset:148
	buffer_load_dword v110, off, s[0:3], 0 offset:156
	buffer_load_dword v111, off, s[0:3], 0 offset:164
	buffer_load_dword v116, off, s[0:3], 0 offset:184
	buffer_load_dword v117, off, s[0:3], 0 offset:176
	buffer_load_dword v120, off, s[0:3], 0 offset:168
	buffer_load_dword v123, off, s[0:3], 0 offset:160
	buffer_load_dword v121, off, s[0:3], 0 offset:172
	buffer_load_dword v122, off, s[0:3], 0 offset:180
	buffer_load_dword v118, off, s[0:3], 0 offset:188
	buffer_load_dword v119, off, s[0:3], 0 offset:196
	buffer_load_dword v124, off, s[0:3], 0 offset:216
	buffer_load_dword v127, off, s[0:3], 0 offset:208
	buffer_load_dword v128, off, s[0:3], 0 offset:200
	buffer_load_dword v131, off, s[0:3], 0 offset:192
	buffer_load_dword v129, off, s[0:3], 0 offset:204
	buffer_load_dword v130, off, s[0:3], 0 offset:212
	buffer_load_dword v126, off, s[0:3], 0 offset:220
	buffer_load_dword v125, off, s[0:3], 0 offset:228
	buffer_load_dword v144, off, s[0:3], 0 offset:248
	buffer_load_dword v145, off, s[0:3], 0 offset:240
	buffer_load_dword v146, off, s[0:3], 0 offset:232
	buffer_load_dword v147, off, s[0:3], 0 offset:224
	ds_read2_b64 v[132:135], v1 offset0:55 offset1:56
	ds_read2_b64 v[136:139], v1 offset0:57 offset1:58
	;; [unrolled: 1-line block ×3, first 2 shown]
	buffer_load_dword v150, off, s[0:3], 0 offset:68
	s_mov_b32 s4, exec_lo
	s_waitcnt vmcnt(43) lgkmcnt(2)
	v_mul_f32_e32 v148, v132, v7
	s_waitcnt vmcnt(42)
	v_mul_f32_e32 v149, v134, v8
	v_mul_f32_e32 v7, v133, v7
	;; [unrolled: 1-line block ×3, first 2 shown]
	s_waitcnt vmcnt(39)
	v_fmac_f32_e32 v148, v133, v6
	v_fmac_f32_e32 v149, v135, v5
	v_fma_f32 v151, v132, v6, -v7
	v_fma_f32 v152, v134, v5, -v8
	ds_read2_b64 v[5:8], v1 offset0:61 offset1:62
	ds_read2_b64 v[132:135], v1 offset0:63 offset1:64
	s_waitcnt vmcnt(38) lgkmcnt(3)
	v_mul_f32_e32 v153, v136, v3
	s_waitcnt vmcnt(37)
	v_mul_f32_e32 v154, v138, v4
	v_mul_f32_e32 v3, v137, v3
	;; [unrolled: 1-line block ×3, first 2 shown]
	v_fmac_f32_e32 v153, v137, v2
	s_waitcnt vmcnt(33)
	v_fmac_f32_e32 v154, v139, v107
	v_fma_f32 v136, v136, v2, -v3
	v_fma_f32 v137, v138, v107, -v4
	s_waitcnt vmcnt(32) lgkmcnt(2)
	v_mul_f32_e32 v138, v140, v105
	v_mul_f32_e32 v2, v141, v105
	s_waitcnt vmcnt(31)
	v_mul_f32_e32 v3, v143, v106
	v_mul_f32_e32 v139, v142, v106
	v_fmac_f32_e32 v138, v141, v104
	v_fma_f32 v140, v140, v104, -v2
	v_fma_f32 v141, v142, v101, -v3
	ds_read2_b64 v[104:107], v1 offset0:65 offset1:66
	s_waitcnt vmcnt(30) lgkmcnt(2)
	v_mul_f32_e32 v142, v5, v102
	v_mul_f32_e32 v2, v6, v102
	s_waitcnt vmcnt(29)
	v_mul_f32_e32 v3, v8, v103
	v_fmac_f32_e32 v139, v143, v101
	v_mul_f32_e32 v143, v7, v103
	v_fmac_f32_e32 v142, v6, v100
	v_fma_f32 v6, v5, v100, -v2
	s_waitcnt vmcnt(25)
	v_fma_f32 v7, v7, v115, -v3
	ds_read2_b64 v[2:5], v1 offset0:67 offset1:68
	v_fmac_f32_e32 v143, v8, v115
	s_waitcnt vmcnt(24) lgkmcnt(2)
	v_mul_f32_e32 v8, v132, v113
	s_waitcnt vmcnt(23)
	v_mul_f32_e32 v115, v134, v114
	v_mul_f32_e32 v100, v133, v113
	;; [unrolled: 1-line block ×3, first 2 shown]
	v_fmac_f32_e32 v8, v133, v112
	v_fmac_f32_e32 v115, v135, v109
	v_fma_f32 v112, v132, v112, -v100
	v_fma_f32 v109, v134, v109, -v101
	ds_read2_b64 v[100:103], v1 offset0:69 offset1:70
	s_waitcnt vmcnt(22) lgkmcnt(2)
	v_mul_f32_e32 v113, v104, v110
	s_waitcnt vmcnt(21)
	v_mul_f32_e32 v114, v106, v111
	v_mul_f32_e32 v110, v105, v110
	;; [unrolled: 1-line block ×3, first 2 shown]
	v_fmac_f32_e32 v113, v105, v108
	s_waitcnt vmcnt(17)
	v_fmac_f32_e32 v114, v107, v123
	v_fma_f32 v108, v104, v108, -v110
	v_fma_f32 v110, v106, v123, -v111
	s_waitcnt vmcnt(16) lgkmcnt(1)
	v_mul_f32_e32 v111, v2, v121
	s_waitcnt vmcnt(15)
	v_mul_f32_e32 v123, v4, v122
	v_mul_f32_e32 v121, v3, v121
	;; [unrolled: 1-line block ×3, first 2 shown]
	ds_read2_b64 v[104:107], v1 offset0:71 offset1:72
	v_fmac_f32_e32 v111, v3, v120
	v_fmac_f32_e32 v123, v5, v117
	v_fma_f32 v120, v2, v120, -v121
	v_fma_f32 v117, v4, v117, -v122
	s_clause 0x1
	buffer_load_dword v121, off, s[0:3], 0 offset:236
	buffer_load_dword v122, off, s[0:3], 0 offset:244
	s_waitcnt vmcnt(16) lgkmcnt(1)
	v_mul_f32_e32 v132, v100, v118
	v_mul_f32_e32 v2, v101, v118
	s_waitcnt vmcnt(15)
	v_mul_f32_e32 v3, v103, v119
	v_mul_f32_e32 v133, v102, v119
	buffer_load_dword v119, off, s[0:3], 0 offset:252
	v_fmac_f32_e32 v132, v101, v116
	v_fma_f32 v116, v100, v116, -v2
	s_waitcnt vmcnt(12)
	v_fma_f32 v118, v102, v131, -v3
	ds_read2_b64 v[2:5], v1 offset0:73 offset1:74
	v_fmac_f32_e32 v133, v103, v131
	s_waitcnt vmcnt(11) lgkmcnt(1)
	v_mul_f32_e32 v131, v104, v129
	s_waitcnt vmcnt(10)
	v_mul_f32_e32 v134, v106, v130
	v_mul_f32_e32 v100, v105, v129
	;; [unrolled: 1-line block ×3, first 2 shown]
	s_clause 0x5
	buffer_load_dword v129, off, s[0:3], 0 offset:260
	buffer_load_dword v130, off, s[0:3], 0 offset:280
	;; [unrolled: 1-line block ×6, first 2 shown]
	v_fmac_f32_e32 v131, v105, v128
	v_fma_f32 v128, v104, v128, -v100
	v_fmac_f32_e32 v134, v107, v127
	v_fma_f32 v127, v106, v127, -v101
	s_waitcnt vmcnt(15) lgkmcnt(0)
	v_mul_f32_e32 v157, v2, v126
	v_mul_f32_e32 v100, v3, v126
	s_waitcnt vmcnt(14)
	v_mul_f32_e32 v126, v4, v125
	v_fmac_f32_e32 v157, v3, v124
	v_add_f32_e32 v3, 0, v148
	v_fma_f32 v124, v2, v124, -v100
	v_add_f32_e32 v2, 0, v151
	v_mul_f32_e32 v100, v5, v125
	s_clause 0x1
	buffer_load_dword v125, off, s[0:3], 0 offset:276
	buffer_load_dword v148, off, s[0:3], 0 offset:284
	v_add_f32_e32 v3, v3, v149
	v_add_f32_e32 v2, v2, v152
	buffer_load_dword v149, off, s[0:3], 0 offset:292
	s_waitcnt vmcnt(13)
	v_fmac_f32_e32 v126, v5, v147
	v_fma_f32 v147, v4, v147, -v100
	v_add_f32_e32 v3, v3, v153
	v_add_f32_e32 v2, v2, v136
	s_clause 0x2
	buffer_load_dword v136, off, s[0:3], 0 offset:300
	buffer_load_dword v151, off, s[0:3], 0 offset:308
	;; [unrolled: 1-line block ×3, first 2 shown]
	v_add_f32_e32 v3, v3, v154
	v_add_f32_e32 v2, v2, v137
	s_clause 0x3
	buffer_load_dword v137, off, s[0:3], 0 offset:324
	buffer_load_dword v153, off, s[0:3], 0 offset:332
	buffer_load_dword v154, off, s[0:3], 0 offset:340
	buffer_load_dword v159, off, s[0:3], 0 offset:348
	v_add_f32_e32 v3, v3, v138
	v_add_f32_e32 v2, v2, v140
	buffer_load_dword v138, off, s[0:3], 0 offset:356
	v_add_f32_e32 v3, v3, v139
	v_add_f32_e32 v2, v2, v141
	s_clause 0x3
	buffer_load_dword v139, off, s[0:3], 0 offset:312
	buffer_load_dword v140, off, s[0:3], 0 offset:304
	;; [unrolled: 1-line block ×4, first 2 shown]
	v_add_f32_e32 v3, v3, v142
	v_add_f32_e32 v2, v2, v6
	;; [unrolled: 1-line block ×4, first 2 shown]
	s_clause 0x4
	buffer_load_dword v6, off, s[0:3], 0 offset:344
	buffer_load_dword v7, off, s[0:3], 0 offset:336
	;; [unrolled: 1-line block ×5, first 2 shown]
	v_add_f32_e32 v3, v3, v8
	buffer_load_dword v8, off, s[0:3], 0 offset:352
	v_add_f32_e32 v2, v2, v112
	v_add_f32_e32 v3, v3, v115
	;; [unrolled: 1-line block ×5, first 2 shown]
	ds_read2_b64 v[2:5], v1 offset0:75 offset1:76
	v_add_f32_e32 v100, v100, v114
	v_add_f32_e32 v101, v101, v110
	;; [unrolled: 1-line block ×4, first 2 shown]
	ds_read2_b64 v[100:103], v1 offset0:77 offset1:78
	v_add_f32_e32 v104, v104, v123
	v_add_f32_e32 v105, v105, v117
	;; [unrolled: 1-line block ×10, first 2 shown]
	s_waitcnt vmcnt(29) lgkmcnt(1)
	v_mul_f32_e32 v120, v2, v121
	v_mul_f32_e32 v106, v3, v121
	s_waitcnt vmcnt(28)
	v_mul_f32_e32 v121, v4, v122
	v_mul_f32_e32 v107, v5, v122
	v_fmac_f32_e32 v120, v3, v146
	v_fma_f32 v122, v2, v146, -v106
	v_fmac_f32_e32 v121, v5, v145
	v_fma_f32 v123, v4, v145, -v107
	ds_read2_b64 v[2:5], v1 offset0:79 offset1:80
	ds_read2_b64 v[104:107], v1 offset0:81 offset1:82
	s_waitcnt vmcnt(27) lgkmcnt(2)
	v_mul_f32_e32 v132, v100, v119
	v_mul_f32_e32 v110, v101, v119
	v_fmac_f32_e32 v132, v101, v144
	v_add_f32_e32 v101, v109, v134
	v_fma_f32 v128, v100, v144, -v110
	s_waitcnt vmcnt(26)
	v_mul_f32_e32 v133, v102, v129
	v_mul_f32_e32 v111, v103, v129
	v_add_f32_e32 v113, v101, v157
	s_waitcnt vmcnt(22)
	v_fmac_f32_e32 v133, v103, v156
	v_fma_f32 v127, v102, v156, -v111
	v_add_f32_e32 v118, v113, v126
	v_add_f32_e32 v126, v116, v147
	s_waitcnt vmcnt(21) lgkmcnt(1)
	v_mul_f32_e32 v124, v2, v158
	v_mul_f32_e32 v117, v3, v158
	ds_read2_b64 v[100:103], v1 offset0:83 offset1:84
	ds_read2_b64 v[108:111], v1 offset0:85 offset1:86
	;; [unrolled: 1-line block ×3, first 2 shown]
	v_fmac_f32_e32 v124, v3, v155
	v_fma_f32 v2, v2, v155, -v117
	v_add_f32_e32 v3, v118, v120
	ds_read2_b64 v[116:119], v1 offset0:89 offset1:90
	v_add_f32_e32 v1, v126, v122
	s_waitcnt vmcnt(20)
	v_mul_f32_e32 v122, v5, v125
	v_add_f32_e32 v3, v3, v121
	v_mul_f32_e32 v120, v4, v125
	v_add_f32_e32 v1, v1, v123
	s_waitcnt vmcnt(19) lgkmcnt(4)
	v_mul_f32_e32 v125, v105, v148
	v_fma_f32 v4, v4, v135, -v122
	v_add_f32_e32 v3, v3, v132
	v_mul_f32_e32 v121, v104, v148
	v_add_f32_e32 v1, v1, v128
	v_fmac_f32_e32 v120, v5, v135
	v_fma_f32 v104, v104, v130, -v125
	v_add_f32_e32 v3, v3, v133
	s_waitcnt vmcnt(18)
	v_mul_f32_e32 v123, v106, v149
	v_add_f32_e32 v1, v1, v127
	v_mul_f32_e32 v127, v107, v149
	v_fmac_f32_e32 v121, v105, v130
	s_waitcnt vmcnt(17) lgkmcnt(3)
	v_mul_f32_e32 v5, v100, v136
	s_waitcnt vmcnt(16)
	v_mul_f32_e32 v122, v102, v151
	v_add_f32_e32 v1, v1, v2
	v_add_f32_e32 v2, v3, v124
	s_waitcnt vmcnt(15) lgkmcnt(2)
	v_mul_f32_e32 v126, v108, v152
	s_waitcnt vmcnt(14)
	v_mul_f32_e32 v128, v110, v137
	s_waitcnt vmcnt(8)
	v_fmac_f32_e32 v122, v103, v140
	v_add_f32_e32 v1, v1, v4
	v_add_f32_e32 v2, v2, v120
	v_mul_f32_e32 v4, v101, v136
	s_waitcnt vmcnt(6)
	v_fma_f32 v105, v106, v160, -v127
	v_fmac_f32_e32 v123, v107, v160
	v_add_f32_e32 v1, v1, v104
	v_add_f32_e32 v2, v2, v121
	v_mul_f32_e32 v104, v103, v151
	v_fma_f32 v4, v100, v141, -v4
	v_fmac_f32_e32 v5, v101, v141
	v_add_f32_e32 v1, v1, v105
	v_add_f32_e32 v2, v2, v123
	v_mul_f32_e32 v100, v109, v152
	;; [unrolled: 5-line block ×3, first 2 shown]
	v_fma_f32 v5, v108, v139, -v100
	s_waitcnt lgkmcnt(1)
	v_mul_f32_e32 v100, v113, v153
	v_add_f32_e32 v1, v1, v101
	v_add_f32_e32 v2, v2, v122
	s_waitcnt vmcnt(2)
	v_fma_f32 v4, v110, v143, -v4
	v_mul_f32_e32 v129, v112, v153
	v_fmac_f32_e32 v128, v111, v143
	v_add_f32_e32 v1, v1, v5
	v_add_f32_e32 v2, v2, v126
	v_mul_f32_e32 v5, v115, v154
	v_fma_f32 v100, v112, v142, -v100
	v_mul_f32_e32 v131, v114, v154
	v_add_f32_e32 v1, v1, v4
	v_fmac_f32_e32 v129, v113, v142
	v_add_f32_e32 v2, v2, v128
	s_waitcnt lgkmcnt(0)
	v_mul_f32_e32 v4, v117, v159
	v_fma_f32 v5, v114, v7, -v5
	v_add_f32_e32 v1, v1, v100
	v_mul_f32_e32 v132, v116, v159
	v_fmac_f32_e32 v131, v115, v7
	v_add_f32_e32 v2, v2, v129
	v_mul_f32_e32 v7, v119, v138
	v_fma_f32 v4, v116, v6, -v4
	v_add_f32_e32 v1, v1, v5
	v_mul_f32_e32 v3, v118, v138
	v_fmac_f32_e32 v132, v117, v6
	v_add_f32_e32 v2, v2, v131
	s_waitcnt vmcnt(0)
	v_fma_f32 v5, v118, v8, -v7
	v_add_f32_e32 v1, v1, v4
	v_fmac_f32_e32 v3, v119, v8
	v_add_f32_e32 v2, v2, v132
	v_add_f32_e32 v1, v1, v5
	;; [unrolled: 1-line block ×3, first 2 shown]
	v_sub_f32_e32 v1, v161, v1
	v_sub_f32_e32 v2, v150, v2
	buffer_store_dword v1, off, s[0:3], 0 offset:64
	buffer_store_dword v2, off, s[0:3], 0 offset:68
	v_cmpx_lt_u32_e32 7, v0
	s_cbranch_execz .LBB44_269
; %bb.268:
	s_clause 0x1
	buffer_load_dword v1, off, s[0:3], 0 offset:56
	buffer_load_dword v2, off, s[0:3], 0 offset:60
	v_mov_b32_e32 v3, 0
	buffer_store_dword v3, off, s[0:3], 0 offset:56
	buffer_store_dword v3, off, s[0:3], 0 offset:60
	s_waitcnt vmcnt(0)
	ds_write_b64 v99, v[1:2]
.LBB44_269:
	s_or_b32 exec_lo, exec_lo, s4
	s_waitcnt lgkmcnt(0)
	s_waitcnt_vscnt null, 0x0
	s_barrier
	buffer_gl0_inv
	s_clause 0x2b
	buffer_load_dword v131, off, s[0:3], 0 offset:68
	buffer_load_dword v2, off, s[0:3], 0 offset:80
	;; [unrolled: 1-line block ×44, first 2 shown]
	v_mov_b32_e32 v1, 0
	ds_read_b128 v[132:135], v1 offset:432
	ds_read_b128 v[136:139], v1 offset:448
	ds_read_b128 v[140:143], v1 offset:464
	buffer_load_dword v150, off, s[0:3], 0 offset:60
	s_mov_b32 s4, exec_lo
	s_waitcnt vmcnt(44) lgkmcnt(2)
	v_mul_f32_e32 v149, v132, v131
	v_mul_f32_e32 v131, v133, v131
	s_waitcnt vmcnt(40)
	v_mul_f32_e32 v152, v134, v100
	v_mul_f32_e32 v100, v135, v100
	v_fmac_f32_e32 v149, v133, v101
	v_fma_f32 v151, v132, v101, -v131
	s_waitcnt vmcnt(39) lgkmcnt(1)
	v_mul_f32_e32 v154, v136, v7
	v_fmac_f32_e32 v152, v135, v5
	v_fma_f32 v153, v134, v5, -v100
	v_mul_f32_e32 v5, v137, v7
	ds_read_b128 v[131:134], v1 offset:480
	v_fmac_f32_e32 v154, v137, v2
	s_waitcnt vmcnt(38)
	v_mul_f32_e32 v156, v138, v4
	v_fma_f32 v155, v136, v2, -v5
	v_mul_f32_e32 v2, v139, v4
	s_waitcnt vmcnt(34)
	v_fmac_f32_e32 v156, v139, v105
	s_waitcnt vmcnt(33) lgkmcnt(1)
	v_mul_f32_e32 v139, v140, v104
	v_fma_f32 v105, v138, v105, -v2
	v_mul_f32_e32 v2, v141, v104
	ds_read_b128 v[135:138], v1 offset:496
	v_fmac_f32_e32 v139, v141, v102
	v_fma_f32 v104, v140, v102, -v2
	s_waitcnt vmcnt(32)
	v_mul_f32_e32 v140, v142, v103
	v_mul_f32_e32 v2, v143, v103
	ds_read_b128 v[100:103], v1 offset:528
	v_fmac_f32_e32 v140, v143, v6
	v_fma_f32 v141, v142, v6, -v2
	s_waitcnt vmcnt(31) lgkmcnt(2)
	v_mul_f32_e32 v2, v132, v8
	ds_read_b128 v[4:7], v1 offset:512
	v_mul_f32_e32 v142, v131, v8
	v_fma_f32 v8, v131, v3, -v2
	s_waitcnt vmcnt(30)
	v_mul_f32_e32 v2, v134, v106
	v_mul_f32_e32 v131, v133, v106
	v_fmac_f32_e32 v142, v132, v3
	s_waitcnt vmcnt(24) lgkmcnt(2)
	v_mul_f32_e32 v132, v137, v111
	v_fma_f32 v106, v133, v114, -v2
	v_mul_f32_e32 v2, v136, v113
	v_fmac_f32_e32 v131, v134, v114
	v_mul_f32_e32 v114, v135, v113
	v_fmac_f32_e32 v132, v138, v108
	v_fma_f32 v113, v135, v110, -v2
	v_mul_f32_e32 v2, v138, v111
	v_fmac_f32_e32 v114, v136, v110
	s_waitcnt vmcnt(23) lgkmcnt(0)
	v_mul_f32_e32 v134, v4, v109
	s_waitcnt vmcnt(22)
	v_mul_f32_e32 v135, v6, v112
	v_fma_f32 v133, v137, v108, -v2
	v_mul_f32_e32 v2, v5, v109
	ds_read_b128 v[108:111], v1 offset:544
	v_fmac_f32_e32 v134, v5, v107
	s_waitcnt vmcnt(18)
	v_fmac_f32_e32 v135, v7, v123
	v_fma_f32 v107, v4, v107, -v2
	v_mul_f32_e32 v2, v7, v112
	s_waitcnt vmcnt(17)
	v_mul_f32_e32 v7, v100, v122
	s_waitcnt vmcnt(16)
	v_mul_f32_e32 v112, v102, v121
	v_mul_f32_e32 v121, v103, v121
	v_fma_f32 v6, v6, v123, -v2
	v_mul_f32_e32 v2, v101, v122
	v_fmac_f32_e32 v7, v101, v119
	v_fmac_f32_e32 v112, v103, v116
	v_fma_f32 v116, v102, v116, -v121
	v_add_f32_e32 v102, 0, v149
	v_fma_f32 v119, v100, v119, -v2
	ds_read_b128 v[2:5], v1 offset:560
	s_clause 0x2
	buffer_load_dword v121, off, s[0:3], 0 offset:236
	buffer_load_dword v122, off, s[0:3], 0 offset:244
	;; [unrolled: 1-line block ×3, first 2 shown]
	s_waitcnt vmcnt(18) lgkmcnt(1)
	v_mul_f32_e32 v123, v108, v117
	v_mul_f32_e32 v100, v109, v117
	s_waitcnt vmcnt(17)
	v_mul_f32_e32 v117, v110, v120
	v_mul_f32_e32 v101, v111, v120
	v_fmac_f32_e32 v123, v109, v115
	v_fma_f32 v108, v108, v115, -v100
	s_waitcnt vmcnt(13)
	v_fmac_f32_e32 v117, v111, v130
	v_fma_f32 v109, v110, v130, -v101
	v_add_f32_e32 v111, v102, v152
	ds_read_b128 v[100:103], v1 offset:576
	v_add_f32_e32 v110, 0, v151
	v_add_f32_e32 v111, v111, v154
	;; [unrolled: 1-line block ×3, first 2 shown]
	s_waitcnt vmcnt(12) lgkmcnt(1)
	v_mul_f32_e32 v115, v2, v129
	v_mul_f32_e32 v120, v3, v129
	s_clause 0x3
	buffer_load_dword v129, off, s[0:3], 0 offset:272
	buffer_load_dword v130, off, s[0:3], 0 offset:264
	;; [unrolled: 1-line block ×4, first 2 shown]
	v_fmac_f32_e32 v115, v3, v128
	v_fma_f32 v120, v2, v128, -v120
	s_clause 0x1
	buffer_load_dword v128, off, s[0:3], 0 offset:260
	buffer_load_dword v143, off, s[0:3], 0 offset:268
	v_add_f32_e32 v2, v110, v155
	v_add_f32_e32 v3, v111, v156
	s_waitcnt vmcnt(17)
	v_mul_f32_e32 v110, v4, v127
	v_mul_f32_e32 v111, v5, v127
	buffer_load_dword v127, off, s[0:3], 0 offset:276
	v_add_f32_e32 v2, v2, v105
	v_add_f32_e32 v3, v3, v139
	v_fmac_f32_e32 v110, v5, v125
	v_fma_f32 v111, v4, v125, -v111
	s_clause 0x3
	buffer_load_dword v125, off, s[0:3], 0 offset:284
	buffer_load_dword v139, off, s[0:3], 0 offset:292
	buffer_load_dword v149, off, s[0:3], 0 offset:300
	buffer_load_dword v151, off, s[0:3], 0 offset:308
	v_add_f32_e32 v104, v2, v104
	v_add_f32_e32 v105, v3, v140
	ds_read_b128 v[2:5], v1 offset:592
	s_waitcnt vmcnt(21) lgkmcnt(1)
	v_mul_f32_e32 v140, v100, v124
	v_mul_f32_e32 v124, v101, v124
	v_add_f32_e32 v104, v104, v141
	v_add_f32_e32 v105, v105, v142
	s_waitcnt vmcnt(20)
	v_mul_f32_e32 v141, v102, v126
	v_fmac_f32_e32 v140, v101, v118
	v_fma_f32 v118, v100, v118, -v124
	v_add_f32_e32 v8, v104, v8
	v_add_f32_e32 v100, v105, v131
	v_mul_f32_e32 v104, v103, v126
	s_clause 0x4
	buffer_load_dword v124, off, s[0:3], 0 offset:316
	buffer_load_dword v126, off, s[0:3], 0 offset:324
	buffer_load_dword v131, off, s[0:3], 0 offset:332
	buffer_load_dword v142, off, s[0:3], 0 offset:340
	buffer_load_dword v152, off, s[0:3], 0 offset:348
	v_add_f32_e32 v8, v8, v106
	s_clause 0x4
	buffer_load_dword v153, off, s[0:3], 0 offset:304
	buffer_load_dword v154, off, s[0:3], 0 offset:296
	buffer_load_dword v155, off, s[0:3], 0 offset:288
	buffer_load_dword v156, off, s[0:3], 0 offset:280
	buffer_load_dword v157, off, s[0:3], 0 offset:356
	v_add_f32_e32 v100, v100, v114
	s_waitcnt vmcnt(26)
	v_fmac_f32_e32 v141, v103, v147
	v_fma_f32 v147, v102, v147, -v104
	v_add_f32_e32 v8, v8, v113
	v_add_f32_e32 v100, v100, v132
	s_waitcnt vmcnt(25) lgkmcnt(0)
	v_mul_f32_e32 v105, v3, v148
	v_mul_f32_e32 v132, v2, v148
	v_add_f32_e32 v8, v8, v133
	v_add_f32_e32 v104, v100, v134
	ds_read_b128 v[100:103], v1 offset:608
	v_fma_f32 v113, v2, v146, -v105
	v_add_f32_e32 v8, v8, v107
	v_fmac_f32_e32 v132, v3, v146
	v_add_f32_e32 v104, v104, v135
	v_add_f32_e32 v2, v8, v6
	s_clause 0x3
	buffer_load_dword v8, off, s[0:3], 0 offset:336
	buffer_load_dword v133, off, s[0:3], 0 offset:328
	;; [unrolled: 1-line block ×4, first 2 shown]
	v_add_f32_e32 v3, v104, v7
	v_add_f32_e32 v2, v2, v119
	s_clause 0x1
	buffer_load_dword v119, off, s[0:3], 0 offset:352
	buffer_load_dword v146, off, s[0:3], 0 offset:344
	v_add_f32_e32 v3, v3, v112
	ds_read_b128 v[104:107], v1 offset:640
	v_add_f32_e32 v2, v2, v116
	buffer_load_dword v116, off, s[0:3], 0 offset:56
	v_add_f32_e32 v6, v3, v123
	v_add_f32_e32 v7, v2, v108
	;; [unrolled: 1-line block ×11, first 2 shown]
	s_waitcnt vmcnt(30)
	v_mul_f32_e32 v123, v4, v121
	v_mul_f32_e32 v3, v5, v121
	s_waitcnt vmcnt(29) lgkmcnt(1)
	v_mul_f32_e32 v108, v101, v122
	v_mul_f32_e32 v117, v100, v122
	s_waitcnt vmcnt(28)
	v_mul_f32_e32 v109, v103, v136
	v_fmac_f32_e32 v123, v5, v145
	v_fma_f32 v121, v4, v145, -v3
	ds_read_b128 v[2:5], v1 offset:624
	v_fma_f32 v120, v100, v144, -v108
	v_mul_f32_e32 v122, v102, v136
	v_fmac_f32_e32 v117, v101, v144
	s_waitcnt vmcnt(24)
	v_fma_f32 v136, v102, v138, -v109
	v_fmac_f32_e32 v122, v103, v138
	ds_read_b128 v[100:103], v1 offset:656
	ds_read_b128 v[108:111], v1 offset:672
	s_waitcnt vmcnt(23) lgkmcnt(2)
	v_mul_f32_e32 v118, v2, v128
	v_mul_f32_e32 v112, v3, v128
	s_waitcnt vmcnt(22)
	v_mul_f32_e32 v128, v4, v143
	v_mul_f32_e32 v138, v5, v143
	v_fmac_f32_e32 v118, v3, v137
	v_fma_f32 v137, v2, v137, -v112
	v_add_f32_e32 v2, v6, v141
	v_add_f32_e32 v6, v7, v113
	v_fmac_f32_e32 v128, v5, v130
	v_fma_f32 v130, v4, v130, -v138
	s_waitcnt vmcnt(21)
	v_mul_f32_e32 v138, v104, v127
	v_add_f32_e32 v132, v2, v132
	v_add_f32_e32 v121, v6, v121
	ds_read_b128 v[112:115], v1 offset:688
	ds_read_b128 v[2:5], v1 offset:704
	v_fmac_f32_e32 v138, v105, v129
	v_add_f32_e32 v123, v132, v123
	v_add_f32_e32 v120, v121, v120
	v_mul_f32_e32 v121, v105, v127
	s_waitcnt vmcnt(20)
	v_mul_f32_e32 v132, v106, v125
	v_mul_f32_e32 v125, v107, v125
	v_add_f32_e32 v117, v123, v117
	v_add_f32_e32 v120, v120, v136
	v_fma_f32 v104, v104, v129, -v121
	s_waitcnt vmcnt(19) lgkmcnt(3)
	v_mul_f32_e32 v123, v100, v139
	v_mul_f32_e32 v129, v101, v139
	v_add_f32_e32 v117, v117, v122
	v_add_f32_e32 v120, v120, v137
	s_waitcnt vmcnt(8)
	v_fma_f32 v106, v106, v156, -v125
	v_fmac_f32_e32 v132, v107, v156
	v_fmac_f32_e32 v123, v101, v155
	v_add_f32_e32 v117, v117, v118
	v_add_f32_e32 v120, v120, v130
	v_fma_f32 v100, v100, v155, -v129
	v_mul_f32_e32 v127, v102, v149
	s_waitcnt lgkmcnt(2)
	v_mul_f32_e32 v136, v108, v151
	v_add_f32_e32 v117, v117, v128
	v_add_f32_e32 v104, v120, v104
	v_mul_f32_e32 v122, v110, v124
	v_fmac_f32_e32 v127, v103, v154
	v_fmac_f32_e32 v136, v109, v153
	v_add_f32_e32 v107, v117, v138
	v_mul_f32_e32 v117, v103, v149
	v_add_f32_e32 v101, v104, v106
	v_mul_f32_e32 v106, v109, v151
	v_mul_f32_e32 v103, v111, v124
	v_add_f32_e32 v104, v107, v132
	v_fma_f32 v102, v102, v154, -v117
	v_add_f32_e32 v100, v101, v100
	ds_read_b64 v[6:7], v1 offset:720
	s_waitcnt vmcnt(3)
	v_fma_f32 v103, v110, v135, -v103
	v_add_f32_e32 v101, v104, v123
	v_fma_f32 v104, v108, v153, -v106
	v_add_f32_e32 v100, v100, v102
	s_waitcnt lgkmcnt(2)
	v_mul_f32_e32 v102, v113, v126
	v_mul_f32_e32 v137, v112, v126
	v_add_f32_e32 v101, v101, v127
	v_fmac_f32_e32 v122, v111, v135
	v_add_f32_e32 v100, v100, v104
	v_mul_f32_e32 v104, v115, v131
	v_fma_f32 v102, v112, v134, -v102
	v_add_f32_e32 v101, v101, v136
	v_mul_f32_e32 v105, v114, v131
	v_add_f32_e32 v100, v100, v103
	v_fmac_f32_e32 v137, v113, v134
	s_waitcnt lgkmcnt(1)
	v_mul_f32_e32 v118, v2, v142
	v_add_f32_e32 v101, v101, v122
	v_mul_f32_e32 v103, v3, v142
	v_fma_f32 v104, v114, v133, -v104
	v_add_f32_e32 v100, v100, v102
	v_fmac_f32_e32 v105, v115, v133
	v_add_f32_e32 v101, v101, v137
	v_mul_f32_e32 v102, v5, v152
	v_fmac_f32_e32 v118, v3, v8
	v_fma_f32 v2, v2, v8, -v103
	v_add_f32_e32 v3, v100, v104
	v_mul_f32_e32 v121, v4, v152
	v_add_f32_e32 v8, v101, v105
	s_waitcnt lgkmcnt(0)
	v_mul_f32_e32 v100, v7, v157
	s_waitcnt vmcnt(1)
	v_fma_f32 v4, v4, v146, -v102
	v_add_f32_e32 v2, v3, v2
	v_mul_f32_e32 v128, v6, v157
	v_fmac_f32_e32 v121, v5, v146
	v_add_f32_e32 v3, v8, v118
	v_fma_f32 v5, v6, v119, -v100
	v_add_f32_e32 v2, v2, v4
	v_fmac_f32_e32 v128, v7, v119
	v_add_f32_e32 v3, v3, v121
	v_add_f32_e32 v2, v2, v5
	;; [unrolled: 1-line block ×3, first 2 shown]
	s_waitcnt vmcnt(0)
	v_sub_f32_e32 v2, v116, v2
	v_sub_f32_e32 v3, v150, v3
	buffer_store_dword v2, off, s[0:3], 0 offset:56
	buffer_store_dword v3, off, s[0:3], 0 offset:60
	v_cmpx_lt_u32_e32 6, v0
	s_cbranch_execz .LBB44_271
; %bb.270:
	s_clause 0x1
	buffer_load_dword v2, off, s[0:3], 0 offset:48
	buffer_load_dword v3, off, s[0:3], 0 offset:52
	buffer_store_dword v1, off, s[0:3], 0 offset:48
	buffer_store_dword v1, off, s[0:3], 0 offset:52
	s_waitcnt vmcnt(0)
	ds_write_b64 v99, v[2:3]
.LBB44_271:
	s_or_b32 exec_lo, exec_lo, s4
	s_waitcnt lgkmcnt(0)
	s_waitcnt_vscnt null, 0x0
	s_barrier
	buffer_gl0_inv
	s_clause 0x2b
	buffer_load_dword v131, off, s[0:3], 0 offset:60
	buffer_load_dword v2, off, s[0:3], 0 offset:72
	;; [unrolled: 1-line block ×44, first 2 shown]
	ds_read2_b64 v[132:135], v1 offset0:53 offset1:54
	ds_read2_b64 v[136:139], v1 offset0:55 offset1:56
	ds_read2_b64 v[140:143], v1 offset0:57 offset1:58
	buffer_load_dword v150, off, s[0:3], 0 offset:52
	s_mov_b32 s4, exec_lo
	s_waitcnt vmcnt(44) lgkmcnt(2)
	v_mul_f32_e32 v149, v132, v131
	v_mul_f32_e32 v131, v133, v131
	s_waitcnt vmcnt(40)
	v_mul_f32_e32 v152, v134, v100
	v_mul_f32_e32 v100, v135, v100
	s_waitcnt vmcnt(39) lgkmcnt(1)
	v_mul_f32_e32 v154, v136, v7
	v_fmac_f32_e32 v149, v133, v101
	v_fma_f32 v151, v132, v101, -v131
	v_fmac_f32_e32 v152, v135, v5
	v_fma_f32 v153, v134, v5, -v100
	v_mul_f32_e32 v5, v137, v7
	ds_read2_b64 v[131:134], v1 offset0:59 offset1:60
	v_fmac_f32_e32 v154, v137, v2
	s_waitcnt vmcnt(38)
	v_mul_f32_e32 v156, v138, v4
	v_fma_f32 v155, v136, v2, -v5
	v_mul_f32_e32 v2, v139, v4
	s_waitcnt vmcnt(34)
	v_fmac_f32_e32 v156, v139, v105
	s_waitcnt vmcnt(33) lgkmcnt(1)
	v_mul_f32_e32 v139, v140, v104
	v_fma_f32 v105, v138, v105, -v2
	v_mul_f32_e32 v2, v141, v104
	ds_read2_b64 v[135:138], v1 offset0:61 offset1:62
	v_fmac_f32_e32 v139, v141, v102
	v_fma_f32 v104, v140, v102, -v2
	s_waitcnt vmcnt(32)
	v_mul_f32_e32 v140, v142, v103
	v_mul_f32_e32 v2, v143, v103
	ds_read2_b64 v[100:103], v1 offset0:65 offset1:66
	v_fmac_f32_e32 v140, v143, v6
	v_fma_f32 v141, v142, v6, -v2
	ds_read2_b64 v[4:7], v1 offset0:63 offset1:64
	s_waitcnt vmcnt(31) lgkmcnt(3)
	v_mul_f32_e32 v2, v132, v8
	v_mul_f32_e32 v142, v131, v8
	s_waitcnt vmcnt(30)
	v_mul_f32_e32 v143, v133, v106
	v_fma_f32 v8, v131, v3, -v2
	v_mul_f32_e32 v2, v134, v106
	s_waitcnt vmcnt(26)
	v_fmac_f32_e32 v143, v134, v114
	v_fmac_f32_e32 v142, v132, v3
	s_waitcnt vmcnt(24) lgkmcnt(2)
	v_mul_f32_e32 v3, v138, v112
	v_fma_f32 v106, v133, v114, -v2
	v_mul_f32_e32 v114, v135, v113
	v_mul_f32_e32 v2, v136, v113
	;; [unrolled: 1-line block ×3, first 2 shown]
	ds_read2_b64 v[131:134], v1 offset0:67 offset1:68
	v_fmac_f32_e32 v114, v136, v110
	v_fma_f32 v110, v135, v110, -v2
	s_waitcnt vmcnt(23) lgkmcnt(1)
	v_mul_f32_e32 v112, v4, v109
	v_mul_f32_e32 v2, v5, v109
	s_waitcnt vmcnt(22)
	v_mul_f32_e32 v109, v6, v111
	v_fmac_f32_e32 v113, v138, v108
	v_fma_f32 v108, v137, v108, -v3
	v_fmac_f32_e32 v112, v5, v107
	v_fma_f32 v107, v4, v107, -v2
	v_mul_f32_e32 v2, v7, v111
	s_waitcnt vmcnt(18)
	v_fmac_f32_e32 v109, v7, v124
	s_clause 0x1
	buffer_load_dword v7, off, s[0:3], 0 offset:228
	buffer_load_dword v111, off, s[0:3], 0 offset:236
	s_waitcnt vmcnt(18)
	v_mul_f32_e32 v3, v103, v121
	v_fma_f32 v6, v6, v124, -v2
	v_mul_f32_e32 v124, v100, v122
	v_mul_f32_e32 v2, v101, v122
	v_mul_f32_e32 v122, v102, v121
	s_waitcnt vmcnt(17) lgkmcnt(0)
	v_mul_f32_e32 v121, v131, v120
	v_mul_f32_e32 v120, v132, v120
	v_fmac_f32_e32 v124, v101, v118
	v_fma_f32 v118, v100, v118, -v2
	s_waitcnt vmcnt(16)
	v_mul_f32_e32 v135, v133, v125
	v_mul_f32_e32 v100, v134, v125
	v_fmac_f32_e32 v122, v103, v117
	v_fma_f32 v117, v102, v117, -v3
	ds_read2_b64 v[2:5], v1 offset0:69 offset1:70
	v_fmac_f32_e32 v121, v132, v115
	v_fma_f32 v115, v131, v115, -v120
	s_waitcnt vmcnt(12)
	v_fmac_f32_e32 v135, v134, v130
	v_fma_f32 v120, v133, v130, -v100
	s_clause 0x7
	buffer_load_dword v125, off, s[0:3], 0 offset:244
	buffer_load_dword v130, off, s[0:3], 0 offset:264
	;; [unrolled: 1-line block ×8, first 2 shown]
	v_add_f32_e32 v100, 0, v149
	v_add_f32_e32 v101, 0, v151
	;; [unrolled: 1-line block ×6, first 2 shown]
	s_waitcnt vmcnt(19) lgkmcnt(0)
	v_mul_f32_e32 v149, v2, v129
	v_mul_f32_e32 v129, v3, v129
	v_add_f32_e32 v138, v100, v156
	v_add_f32_e32 v105, v101, v105
	ds_read2_b64 v[100:103], v1 offset0:71 offset1:72
	v_fmac_f32_e32 v149, v3, v127
	v_fma_f32 v127, v2, v127, -v129
	v_add_f32_e32 v138, v138, v139
	v_add_f32_e32 v104, v105, v104
	s_waitcnt vmcnt(18)
	v_mul_f32_e32 v139, v4, v128
	v_mul_f32_e32 v105, v5, v128
	v_add_f32_e32 v3, v138, v140
	v_add_f32_e32 v104, v104, v141
	v_fmac_f32_e32 v139, v5, v126
	v_fma_f32 v126, v4, v126, -v105
	v_add_f32_e32 v2, v3, v142
	v_add_f32_e32 v3, v104, v8
	s_clause 0x7
	buffer_load_dword v8, off, s[0:3], 0 offset:276
	buffer_load_dword v128, off, s[0:3], 0 offset:284
	;; [unrolled: 1-line block ×8, first 2 shown]
	v_add_f32_e32 v2, v2, v143
	v_add_f32_e32 v3, v3, v106
	s_waitcnt vmcnt(25) lgkmcnt(0)
	v_mul_f32_e32 v152, v100, v123
	v_mul_f32_e32 v4, v101, v123
	s_clause 0x3
	buffer_load_dword v123, off, s[0:3], 0 offset:308
	buffer_load_dword v143, off, s[0:3], 0 offset:316
	;; [unrolled: 1-line block ×4, first 2 shown]
	v_add_f32_e32 v2, v2, v114
	s_clause 0x1
	buffer_load_dword v155, off, s[0:3], 0 offset:340
	buffer_load_dword v156, off, s[0:3], 0 offset:348
	v_fmac_f32_e32 v152, v101, v116
	v_fma_f32 v116, v100, v116, -v4
	v_add_f32_e32 v100, v3, v110
	s_waitcnt vmcnt(30)
	v_mul_f32_e32 v3, v103, v119
	v_mul_f32_e32 v114, v102, v119
	v_add_f32_e32 v101, v2, v113
	buffer_load_dword v157, off, s[0:3], 0 offset:356
	v_add_f32_e32 v100, v100, v108
	s_waitcnt vmcnt(27)
	v_fma_f32 v113, v102, v147, -v3
	ds_read2_b64 v[2:5], v1 offset0:73 offset1:74
	v_fmac_f32_e32 v114, v103, v147
	v_add_f32_e32 v101, v101, v112
	s_clause 0x3
	buffer_load_dword v147, off, s[0:3], 0 offset:328
	buffer_load_dword v158, off, s[0:3], 0 offset:320
	;; [unrolled: 1-line block ×4, first 2 shown]
	v_add_f32_e32 v100, v100, v107
	v_add_f32_e32 v101, v101, v109
	;; [unrolled: 1-line block ×4, first 2 shown]
	ds_read2_b64 v[100:103], v1 offset0:75 offset1:76
	v_add_f32_e32 v6, v6, v118
	v_add_f32_e32 v104, v104, v122
	s_waitcnt vmcnt(30) lgkmcnt(1)
	v_mul_f32_e32 v112, v2, v148
	v_mul_f32_e32 v105, v3, v148
	v_fmac_f32_e32 v112, v3, v146
	v_fma_f32 v118, v2, v146, -v105
	v_add_f32_e32 v2, v6, v117
	v_add_f32_e32 v3, v104, v121
	s_clause 0x3
	buffer_load_dword v6, off, s[0:3], 0 offset:352
	buffer_load_dword v121, off, s[0:3], 0 offset:344
	buffer_load_dword v122, off, s[0:3], 0 offset:336
	buffer_load_dword v124, off, s[0:3], 0 offset:48
	v_add_f32_e32 v2, v2, v115
	v_add_f32_e32 v3, v3, v135
	;; [unrolled: 1-line block ×6, first 2 shown]
	ds_read2_b64 v[104:107], v1 offset0:79 offset1:80
	v_add_f32_e32 v109, v109, v126
	v_add_f32_e32 v119, v108, v152
	;; [unrolled: 1-line block ×6, first 2 shown]
	s_waitcnt vmcnt(32)
	v_mul_f32_e32 v115, v4, v7
	v_mul_f32_e32 v7, v5, v7
	s_waitcnt vmcnt(31) lgkmcnt(1)
	v_mul_f32_e32 v117, v100, v111
	v_mul_f32_e32 v110, v101, v111
	v_fmac_f32_e32 v115, v5, v145
	v_fma_f32 v7, v4, v145, -v7
	ds_read2_b64 v[2:5], v1 offset0:77 offset1:78
	v_fmac_f32_e32 v117, v101, v144
	s_waitcnt vmcnt(30)
	v_mul_f32_e32 v120, v102, v125
	v_mul_f32_e32 v111, v103, v125
	v_fma_f32 v125, v100, v144, -v110
	s_waitcnt vmcnt(26)
	v_fmac_f32_e32 v120, v103, v133
	v_fma_f32 v126, v102, v133, -v111
	ds_read2_b64 v[100:103], v1 offset0:81 offset1:82
	ds_read2_b64 v[108:111], v1 offset0:83 offset1:84
	s_waitcnt vmcnt(23) lgkmcnt(3)
	v_mul_f32_e32 v135, v105, v137
	s_waitcnt lgkmcnt(2)
	v_mul_f32_e32 v127, v2, v134
	v_mul_f32_e32 v116, v3, v134
	;; [unrolled: 1-line block ×5, first 2 shown]
	v_fmac_f32_e32 v127, v3, v132
	v_fma_f32 v132, v2, v132, -v116
	v_add_f32_e32 v116, v113, v118
	v_add_f32_e32 v118, v112, v115
	v_fmac_f32_e32 v133, v5, v131
	v_fma_f32 v131, v4, v131, -v119
	ds_read2_b64 v[2:5], v1 offset0:85 offset1:86
	ds_read2_b64 v[112:115], v1 offset0:87 offset1:88
	v_add_f32_e32 v7, v116, v7
	v_fmac_f32_e32 v134, v105, v130
	v_add_f32_e32 v105, v118, v117
	ds_read2_b64 v[116:119], v1 offset0:89 offset1:90
	v_fma_f32 v104, v104, v130, -v135
	v_add_f32_e32 v1, v7, v125
	v_add_f32_e32 v105, v105, v120
	s_waitcnt vmcnt(22)
	v_mul_f32_e32 v7, v106, v8
	v_add_f32_e32 v1, v1, v126
	v_mul_f32_e32 v8, v107, v8
	v_add_f32_e32 v105, v105, v127
	s_waitcnt vmcnt(21) lgkmcnt(4)
	v_mul_f32_e32 v126, v101, v128
	v_mul_f32_e32 v120, v100, v128
	v_add_f32_e32 v1, v1, v132
	s_waitcnt vmcnt(15)
	v_fma_f32 v8, v106, v151, -v8
	v_add_f32_e32 v105, v105, v133
	v_fmac_f32_e32 v7, v107, v151
	v_mul_f32_e32 v125, v102, v129
	v_add_f32_e32 v1, v1, v131
	v_mul_f32_e32 v129, v103, v129
	v_fma_f32 v100, v100, v142, -v126
	v_fmac_f32_e32 v120, v101, v142
	s_waitcnt lgkmcnt(3)
	v_mul_f32_e32 v106, v108, v138
	v_add_f32_e32 v1, v1, v104
	v_add_f32_e32 v104, v105, v134
	v_fma_f32 v101, v102, v141, -v129
	v_fmac_f32_e32 v125, v103, v141
	s_waitcnt vmcnt(14)
	v_mul_f32_e32 v107, v110, v123
	v_add_f32_e32 v1, v1, v8
	v_add_f32_e32 v7, v104, v7
	v_mul_f32_e32 v8, v109, v138
	v_fmac_f32_e32 v106, v109, v140
	s_waitcnt vmcnt(13) lgkmcnt(2)
	v_mul_f32_e32 v127, v2, v143
	v_add_f32_e32 v1, v1, v100
	v_add_f32_e32 v7, v7, v120
	v_mul_f32_e32 v100, v111, v123
	v_fma_f32 v8, v108, v140, -v8
	s_waitcnt vmcnt(4)
	v_fmac_f32_e32 v107, v111, v160
	v_add_f32_e32 v1, v1, v101
	v_add_f32_e32 v7, v7, v125
	v_mul_f32_e32 v101, v3, v143
	v_fma_f32 v100, v110, v160, -v100
	v_mul_f32_e32 v128, v4, v153
	v_add_f32_e32 v1, v1, v8
	v_add_f32_e32 v7, v7, v106
	v_mul_f32_e32 v8, v5, v153
	v_fma_f32 v2, v2, v159, -v101
	v_fmac_f32_e32 v127, v3, v159
	v_add_f32_e32 v1, v1, v100
	v_add_f32_e32 v3, v7, v107
	s_waitcnt lgkmcnt(1)
	v_mul_f32_e32 v7, v113, v154
	v_fma_f32 v4, v4, v158, -v8
	v_mul_f32_e32 v130, v112, v154
	v_add_f32_e32 v1, v1, v2
	v_fmac_f32_e32 v128, v5, v158
	v_add_f32_e32 v2, v3, v127
	v_mul_f32_e32 v3, v115, v155
	v_fma_f32 v5, v112, v147, -v7
	v_add_f32_e32 v1, v1, v4
	v_mul_f32_e32 v131, v114, v155
	v_fmac_f32_e32 v130, v113, v147
	v_add_f32_e32 v2, v2, v128
	s_waitcnt lgkmcnt(0)
	v_mul_f32_e32 v4, v117, v156
	s_waitcnt vmcnt(1)
	v_fma_f32 v3, v114, v122, -v3
	v_add_f32_e32 v1, v1, v5
	v_mul_f32_e32 v132, v116, v156
	v_fmac_f32_e32 v131, v115, v122
	v_add_f32_e32 v2, v2, v130
	v_mul_f32_e32 v5, v119, v157
	v_fma_f32 v4, v116, v121, -v4
	v_add_f32_e32 v1, v1, v3
	v_mul_f32_e32 v105, v118, v157
	v_fmac_f32_e32 v132, v117, v121
	v_add_f32_e32 v2, v2, v131
	v_fma_f32 v3, v118, v6, -v5
	v_add_f32_e32 v1, v1, v4
	v_fmac_f32_e32 v105, v119, v6
	v_add_f32_e32 v2, v2, v132
	v_add_f32_e32 v1, v1, v3
	v_add_f32_e32 v2, v2, v105
	s_waitcnt vmcnt(0)
	v_sub_f32_e32 v1, v124, v1
	v_sub_f32_e32 v2, v150, v2
	buffer_store_dword v1, off, s[0:3], 0 offset:48
	buffer_store_dword v2, off, s[0:3], 0 offset:52
	v_cmpx_lt_u32_e32 5, v0
	s_cbranch_execz .LBB44_273
; %bb.272:
	s_clause 0x1
	buffer_load_dword v1, off, s[0:3], 0 offset:40
	buffer_load_dword v2, off, s[0:3], 0 offset:44
	v_mov_b32_e32 v3, 0
	buffer_store_dword v3, off, s[0:3], 0 offset:40
	buffer_store_dword v3, off, s[0:3], 0 offset:44
	s_waitcnt vmcnt(0)
	ds_write_b64 v99, v[1:2]
.LBB44_273:
	s_or_b32 exec_lo, exec_lo, s4
	s_waitcnt lgkmcnt(0)
	s_waitcnt_vscnt null, 0x0
	s_barrier
	buffer_gl0_inv
	s_clause 0x2c
	buffer_load_dword v130, off, s[0:3], 0 offset:52
	buffer_load_dword v131, off, s[0:3], 0 offset:60
	;; [unrolled: 1-line block ×45, first 2 shown]
	v_mov_b32_e32 v1, 0
	ds_read_b128 v[132:135], v1 offset:416
	ds_read_b128 v[136:139], v1 offset:432
	buffer_load_dword v148, off, s[0:3], 0 offset:44
	s_mov_b32 s4, exec_lo
	s_waitcnt vmcnt(45) lgkmcnt(1)
	v_mul_f32_e32 v146, v132, v130
	v_mul_f32_e32 v130, v133, v130
	s_waitcnt vmcnt(44)
	v_mul_f32_e32 v147, v134, v131
	v_mul_f32_e32 v131, v135, v131
	s_waitcnt vmcnt(41)
	v_fmac_f32_e32 v146, v133, v101
	v_fma_f32 v149, v132, v101, -v130
	s_waitcnt vmcnt(40) lgkmcnt(0)
	v_mul_f32_e32 v151, v136, v4
	v_fma_f32 v150, v134, v7, -v131
	ds_read_b128 v[130:133], v1 offset:448
	s_waitcnt vmcnt(39)
	v_mul_f32_e32 v152, v138, v5
	v_mul_f32_e32 v4, v137, v4
	v_fmac_f32_e32 v147, v135, v7
	v_mul_f32_e32 v5, v139, v5
	v_fmac_f32_e32 v151, v137, v2
	s_waitcnt vmcnt(35)
	v_fmac_f32_e32 v152, v139, v104
	v_fma_f32 v139, v136, v2, -v4
	ds_read_b128 v[134:137], v1 offset:464
	v_fma_f32 v104, v138, v104, -v5
	s_waitcnt vmcnt(34) lgkmcnt(1)
	v_mul_f32_e32 v138, v130, v103
	v_mul_f32_e32 v2, v131, v103
	s_waitcnt vmcnt(33)
	v_mul_f32_e32 v153, v132, v102
	v_mul_f32_e32 v4, v133, v102
	v_fmac_f32_e32 v138, v131, v100
	v_fma_f32 v130, v130, v100, -v2
	v_fmac_f32_e32 v153, v133, v6
	v_fma_f32 v131, v132, v6, -v4
	ds_read_b128 v[4:7], v1 offset:480
	s_waitcnt vmcnt(32) lgkmcnt(1)
	v_mul_f32_e32 v132, v134, v8
	v_mul_f32_e32 v2, v135, v8
	s_waitcnt vmcnt(31)
	v_mul_f32_e32 v8, v136, v105
	v_mul_f32_e32 v100, v137, v105
	v_fmac_f32_e32 v132, v135, v3
	v_fma_f32 v105, v134, v3, -v2
	s_waitcnt vmcnt(27)
	v_fmac_f32_e32 v8, v137, v113
	v_fma_f32 v113, v136, v113, -v100
	ds_read_b128 v[100:103], v1 offset:496
	buffer_load_dword v137, off, s[0:3], 0 offset:236
	s_waitcnt vmcnt(27) lgkmcnt(1)
	v_mul_f32_e32 v133, v4, v111
	v_mul_f32_e32 v2, v5, v111
	s_waitcnt vmcnt(26)
	v_mul_f32_e32 v111, v6, v110
	v_mul_f32_e32 v3, v7, v110
	v_fmac_f32_e32 v133, v5, v109
	v_fma_f32 v109, v4, v109, -v2
	v_fmac_f32_e32 v111, v7, v107
	v_fma_f32 v6, v6, v107, -v3
	ds_read_b128 v[2:5], v1 offset:512
	s_waitcnt vmcnt(25) lgkmcnt(1)
	v_mul_f32_e32 v7, v100, v108
	v_mul_f32_e32 v107, v101, v108
	s_waitcnt vmcnt(24)
	v_mul_f32_e32 v108, v102, v112
	v_mul_f32_e32 v110, v103, v112
	v_fmac_f32_e32 v7, v101, v106
	v_fma_f32 v106, v100, v106, -v107
	s_waitcnt vmcnt(20)
	v_fmac_f32_e32 v108, v103, v121
	v_fma_f32 v107, v102, v121, -v110
	ds_read_b128 v[100:103], v1 offset:528
	s_waitcnt vmcnt(19) lgkmcnt(1)
	v_mul_f32_e32 v110, v2, v119
	v_mul_f32_e32 v112, v3, v119
	s_waitcnt vmcnt(18)
	v_mul_f32_e32 v119, v4, v118
	v_mul_f32_e32 v118, v5, v118
	v_fmac_f32_e32 v110, v3, v117
	v_fma_f32 v112, v2, v117, -v112
	v_fmac_f32_e32 v119, v5, v115
	v_fma_f32 v115, v4, v115, -v118
	ds_read_b128 v[2:5], v1 offset:544
	s_waitcnt vmcnt(17) lgkmcnt(1)
	v_mul_f32_e32 v117, v100, v116
	v_mul_f32_e32 v116, v101, v116
	s_waitcnt vmcnt(16)
	v_mul_f32_e32 v118, v102, v120
	v_mul_f32_e32 v120, v103, v120
	v_fmac_f32_e32 v117, v101, v114
	v_fma_f32 v114, v100, v114, -v116
	s_waitcnt vmcnt(12)
	v_fmac_f32_e32 v118, v103, v128
	v_fma_f32 v116, v102, v128, -v120
	ds_read_b128 v[100:103], v1 offset:560
	s_waitcnt vmcnt(11) lgkmcnt(1)
	v_mul_f32_e32 v120, v2, v127
	v_mul_f32_e32 v121, v3, v127
	s_waitcnt vmcnt(10)
	v_mul_f32_e32 v127, v4, v126
	v_mul_f32_e32 v126, v5, v126
	v_fmac_f32_e32 v120, v3, v125
	v_fma_f32 v121, v2, v125, -v121
	v_fmac_f32_e32 v127, v5, v123
	v_fma_f32 v123, v4, v123, -v126
	ds_read_b128 v[2:5], v1 offset:576
	s_waitcnt vmcnt(8) lgkmcnt(1)
	v_mul_f32_e32 v126, v102, v129
	v_mul_f32_e32 v128, v103, v129
	buffer_load_dword v129, off, s[0:3], 0 offset:228
	v_mul_f32_e32 v125, v100, v124
	v_mul_f32_e32 v124, v101, v124
	s_waitcnt vmcnt(5)
	v_fmac_f32_e32 v126, v103, v143
	v_fmac_f32_e32 v125, v101, v122
	v_fma_f32 v122, v100, v122, -v124
	v_fma_f32 v124, v102, v143, -v128
	ds_read_b128 v[100:103], v1 offset:592
	s_waitcnt vmcnt(4) lgkmcnt(1)
	v_mul_f32_e32 v128, v2, v144
	v_mul_f32_e32 v134, v3, v144
	s_waitcnt vmcnt(3)
	v_mul_f32_e32 v135, v4, v145
	v_mul_f32_e32 v136, v5, v145
	v_fmac_f32_e32 v128, v3, v142
	v_fma_f32 v134, v2, v142, -v134
	v_fmac_f32_e32 v135, v5, v141
	v_fma_f32 v136, v4, v141, -v136
	s_clause 0x4
	buffer_load_dword v141, off, s[0:3], 0 offset:256
	buffer_load_dword v142, off, s[0:3], 0 offset:248
	;; [unrolled: 1-line block ×5, first 2 shown]
	s_waitcnt vmcnt(6) lgkmcnt(0)
	v_mul_f32_e32 v4, v103, v137
	s_waitcnt vmcnt(5)
	v_mul_f32_e32 v144, v100, v129
	v_mul_f32_e32 v3, v101, v129
	;; [unrolled: 1-line block ×3, first 2 shown]
	v_fmac_f32_e32 v144, v101, v140
	v_fma_f32 v137, v100, v140, -v3
	buffer_load_dword v140, off, s[0:3], 0 offset:244
	v_add_f32_e32 v3, 0, v149
	v_add_f32_e32 v3, v3, v150
	;; [unrolled: 1-line block ×4, first 2 shown]
	s_waitcnt vmcnt(2)
	v_fmac_f32_e32 v129, v103, v2
	v_fma_f32 v145, v102, v2, -v4
	v_add_f32_e32 v2, 0, v146
	buffer_load_dword v146, off, s[0:3], 0 offset:260
	v_add_f32_e32 v3, v3, v130
	v_add_f32_e32 v2, v2, v147
	buffer_load_dword v147, off, s[0:3], 0 offset:268
	v_add_f32_e32 v3, v3, v131
	v_add_f32_e32 v2, v2, v151
	s_clause 0x3
	buffer_load_dword v149, off, s[0:3], 0 offset:288
	buffer_load_dword v150, off, s[0:3], 0 offset:280
	;; [unrolled: 1-line block ×4, first 2 shown]
	v_add_f32_e32 v3, v3, v105
	v_add_f32_e32 v2, v2, v152
	s_clause 0x1
	buffer_load_dword v139, off, s[0:3], 0 offset:276
	buffer_load_dword v152, off, s[0:3], 0 offset:284
	v_add_f32_e32 v3, v3, v113
	v_add_f32_e32 v2, v2, v138
	buffer_load_dword v138, off, s[0:3], 0 offset:292
	v_add_f32_e32 v3, v3, v109
	v_add_f32_e32 v2, v2, v153
	s_clause 0x3
	buffer_load_dword v130, off, s[0:3], 0 offset:300
	buffer_load_dword v153, off, s[0:3], 0 offset:308
	;; [unrolled: 1-line block ×4, first 2 shown]
	v_add_f32_e32 v3, v3, v6
	v_add_f32_e32 v2, v2, v132
	s_clause 0x1
	buffer_load_dword v131, off, s[0:3], 0 offset:332
	buffer_load_dword v132, off, s[0:3], 0 offset:340
	v_add_f32_e32 v3, v3, v106
	v_add_f32_e32 v2, v2, v8
	s_clause 0x1
	buffer_load_dword v8, off, s[0:3], 0 offset:348
	buffer_load_dword v158, off, s[0:3], 0 offset:356
	;; [unrolled: 5-line block ×3, first 2 shown]
	buffer_load_dword v160, off, s[0:3], 0 offset:304
	buffer_load_dword v161, off, s[0:3], 0 offset:296
	;; [unrolled: 1-line block ×7, first 2 shown]
	v_add_f32_e32 v3, v3, v112
	v_add_f32_e32 v2, v2, v111
	ds_read_b128 v[100:103], v1 offset:624
	v_add_f32_e32 v2, v2, v7
	v_add_f32_e32 v7, v3, v115
	v_add_f32_e32 v2, v2, v108
	v_add_f32_e32 v7, v7, v114
	v_add_f32_e32 v2, v2, v110
	v_add_f32_e32 v7, v7, v116
	v_add_f32_e32 v6, v2, v119
	ds_read_b128 v[2:5], v1 offset:608
	v_add_f32_e32 v7, v7, v121
	v_add_f32_e32 v6, v6, v117
	;; [unrolled: 1-line block ×6, first 2 shown]
	s_waitcnt vmcnt(27) lgkmcnt(0)
	v_mul_f32_e32 v117, v4, v154
	v_mul_f32_e32 v105, v5, v154
	v_add_f32_e32 v6, v6, v125
	v_fmac_f32_e32 v117, v5, v142
	v_fma_f32 v119, v4, v142, -v105
	v_add_f32_e32 v6, v6, v126
	v_add_f32_e32 v6, v6, v128
	;; [unrolled: 1-line block ×3, first 2 shown]
	s_waitcnt vmcnt(26)
	v_mul_f32_e32 v116, v2, v140
	v_mul_f32_e32 v104, v3, v140
	v_fmac_f32_e32 v116, v3, v143
	v_add_f32_e32 v3, v7, v122
	v_fma_f32 v118, v2, v143, -v104
	v_add_f32_e32 v7, v3, v124
	ds_read_b128 v[2:5], v1 offset:640
	ds_read_b128 v[104:107], v1 offset:656
	v_add_f32_e32 v124, v6, v144
	ds_read_b128 v[108:111], v1 offset:672
	v_add_f32_e32 v7, v7, v134
	v_add_f32_e32 v124, v124, v129
	;; [unrolled: 1-line block ×3, first 2 shown]
	s_waitcnt vmcnt(25)
	v_mul_f32_e32 v112, v101, v146
	v_mul_f32_e32 v120, v100, v146
	v_add_f32_e32 v116, v124, v116
	v_add_f32_e32 v7, v7, v137
	s_waitcnt vmcnt(24)
	v_mul_f32_e32 v122, v103, v147
	v_fma_f32 v123, v100, v141, -v112
	v_mul_f32_e32 v121, v102, v147
	v_fmac_f32_e32 v120, v101, v141
	v_add_f32_e32 v125, v7, v145
	v_add_f32_e32 v116, v116, v117
	s_waitcnt vmcnt(20)
	v_fma_f32 v122, v102, v155, -v122
	v_fmac_f32_e32 v121, v103, v155
	ds_read_b128 v[112:115], v1 offset:688
	v_add_f32_e32 v118, v125, v118
	s_waitcnt vmcnt(19) lgkmcnt(3)
	v_mul_f32_e32 v125, v3, v139
	v_mul_f32_e32 v126, v2, v139
	v_add_f32_e32 v116, v116, v120
	s_waitcnt vmcnt(18)
	v_mul_f32_e32 v128, v5, v152
	v_add_f32_e32 v118, v118, v119
	v_fma_f32 v2, v2, v151, -v125
	v_mul_f32_e32 v127, v4, v152
	v_fmac_f32_e32 v126, v3, v151
	v_add_f32_e32 v116, v116, v121
	v_add_f32_e32 v118, v118, v123
	s_waitcnt vmcnt(17) lgkmcnt(2)
	v_mul_f32_e32 v125, v105, v138
	v_fma_f32 v4, v4, v150, -v128
	v_mul_f32_e32 v124, v104, v138
	v_fmac_f32_e32 v127, v5, v150
	v_add_f32_e32 v118, v118, v122
	v_add_f32_e32 v5, v116, v126
	s_waitcnt vmcnt(16)
	v_mul_f32_e32 v116, v107, v130
	v_fma_f32 v104, v104, v149, -v125
	v_mul_f32_e32 v119, v106, v130
	v_add_f32_e32 v2, v118, v2
	v_fmac_f32_e32 v124, v105, v149
	ds_read_b128 v[100:103], v1 offset:704
	ds_read_b64 v[6:7], v1 offset:720
	s_waitcnt vmcnt(15) lgkmcnt(3)
	v_mul_f32_e32 v129, v108, v153
	s_waitcnt vmcnt(14)
	v_mul_f32_e32 v117, v110, v156
	v_add_f32_e32 v2, v2, v4
	v_add_f32_e32 v4, v5, v127
	v_mul_f32_e32 v5, v109, v153
	s_waitcnt vmcnt(5)
	v_fma_f32 v105, v106, v161, -v116
	v_fmac_f32_e32 v119, v107, v161
	v_add_f32_e32 v2, v2, v104
	v_add_f32_e32 v4, v4, v124
	v_mul_f32_e32 v104, v111, v156
	v_fma_f32 v5, v108, v160, -v5
	v_fmac_f32_e32 v129, v109, v160
	v_add_f32_e32 v2, v2, v105
	v_add_f32_e32 v4, v4, v119
	s_waitcnt lgkmcnt(2)
	v_mul_f32_e32 v105, v113, v157
	v_fma_f32 v104, v110, v159, -v104
	v_mul_f32_e32 v123, v112, v157
	v_add_f32_e32 v2, v2, v5
	v_fmac_f32_e32 v117, v111, v159
	v_add_f32_e32 v4, v4, v129
	v_mul_f32_e32 v5, v115, v131
	v_fma_f32 v105, v112, v133, -v105
	v_add_f32_e32 v2, v2, v104
	v_mul_f32_e32 v3, v114, v131
	v_fmac_f32_e32 v123, v113, v133
	v_add_f32_e32 v4, v4, v117
	s_waitcnt lgkmcnt(1)
	v_mul_f32_e32 v104, v101, v132
	s_waitcnt vmcnt(1)
	v_fma_f32 v5, v114, v165, -v5
	v_add_f32_e32 v2, v2, v105
	v_mul_f32_e32 v120, v100, v132
	v_fmac_f32_e32 v3, v115, v165
	v_add_f32_e32 v4, v4, v123
	v_mul_f32_e32 v122, v102, v8
	v_mul_f32_e32 v8, v103, v8
	v_fma_f32 v100, v100, v164, -v104
	v_add_f32_e32 v2, v2, v5
	v_fmac_f32_e32 v120, v101, v164
	v_add_f32_e32 v3, v4, v3
	s_waitcnt lgkmcnt(0)
	v_mul_f32_e32 v4, v7, v158
	v_fma_f32 v5, v102, v163, -v8
	v_add_f32_e32 v2, v2, v100
	v_mul_f32_e32 v121, v6, v158
	v_fmac_f32_e32 v122, v103, v163
	v_add_f32_e32 v3, v3, v120
	v_fma_f32 v4, v6, v162, -v4
	v_add_f32_e32 v2, v2, v5
	v_fmac_f32_e32 v121, v7, v162
	v_add_f32_e32 v3, v3, v122
	v_add_f32_e32 v2, v2, v4
	v_add_f32_e32 v3, v3, v121
	s_waitcnt vmcnt(0)
	v_sub_f32_e32 v2, v166, v2
	v_sub_f32_e32 v3, v148, v3
	buffer_store_dword v2, off, s[0:3], 0 offset:40
	buffer_store_dword v3, off, s[0:3], 0 offset:44
	v_cmpx_lt_u32_e32 4, v0
	s_cbranch_execz .LBB44_275
; %bb.274:
	s_clause 0x1
	buffer_load_dword v2, off, s[0:3], 0 offset:32
	buffer_load_dword v3, off, s[0:3], 0 offset:36
	buffer_store_dword v1, off, s[0:3], 0 offset:32
	buffer_store_dword v1, off, s[0:3], 0 offset:36
	s_waitcnt vmcnt(0)
	ds_write_b64 v99, v[2:3]
.LBB44_275:
	s_or_b32 exec_lo, exec_lo, s4
	s_waitcnt lgkmcnt(0)
	s_waitcnt_vscnt null, 0x0
	s_barrier
	buffer_gl0_inv
	s_clause 0x2c
	buffer_load_dword v6, off, s[0:3], 0 offset:44
	buffer_load_dword v7, off, s[0:3], 0 offset:52
	;; [unrolled: 1-line block ×45, first 2 shown]
	ds_read2_b64 v[2:5], v1 offset0:51 offset1:52
	ds_read2_b64 v[100:103], v1 offset0:53 offset1:54
	s_clause 0x2
	buffer_load_dword v148, off, s[0:3], 0 offset:36
	buffer_load_dword v149, off, s[0:3], 0 offset:220
	;; [unrolled: 1-line block ×3, first 2 shown]
	s_mov_b32 s4, exec_lo
	s_waitcnt vmcnt(47) lgkmcnt(1)
	v_mul_f32_e32 v146, v3, v6
	v_mul_f32_e32 v6, v2, v6
	s_waitcnt vmcnt(46)
	v_mul_f32_e32 v147, v4, v7
	v_mul_f32_e32 v7, v5, v7
	s_waitcnt vmcnt(43)
	v_fma_f32 v146, v2, v105, -v146
	v_fmac_f32_e32 v6, v3, v105
	v_fmac_f32_e32 v147, v5, v104
	v_fma_f32 v7, v4, v104, -v7
	ds_read2_b64 v[2:5], v1 offset0:55 offset1:56
	s_waitcnt vmcnt(42) lgkmcnt(1)
	v_mul_f32_e32 v104, v100, v106
	v_mul_f32_e32 v105, v101, v106
	s_waitcnt vmcnt(41)
	v_mul_f32_e32 v106, v102, v107
	v_mul_f32_e32 v107, v103, v107
	v_fmac_f32_e32 v104, v101, v8
	v_fma_f32 v8, v100, v8, -v105
	s_waitcnt vmcnt(37)
	v_fmac_f32_e32 v106, v103, v111
	v_fma_f32 v105, v102, v111, -v107
	ds_read2_b64 v[100:103], v1 offset0:57 offset1:58
	s_waitcnt vmcnt(36) lgkmcnt(1)
	v_mul_f32_e32 v107, v2, v112
	v_mul_f32_e32 v111, v3, v112
	s_waitcnt vmcnt(35)
	v_mul_f32_e32 v112, v4, v113
	v_mul_f32_e32 v113, v5, v113
	v_fmac_f32_e32 v107, v3, v110
	v_fma_f32 v110, v2, v110, -v111
	v_fmac_f32_e32 v112, v5, v109
	v_fma_f32 v109, v4, v109, -v113
	ds_read2_b64 v[2:5], v1 offset0:59 offset1:60
	s_waitcnt vmcnt(34) lgkmcnt(1)
	v_mul_f32_e32 v111, v100, v114
	v_mul_f32_e32 v113, v101, v114
	s_waitcnt vmcnt(33)
	v_mul_f32_e32 v114, v102, v115
	v_mul_f32_e32 v115, v103, v115
	v_fmac_f32_e32 v111, v101, v108
	v_fma_f32 v108, v100, v108, -v113
	s_waitcnt vmcnt(29)
	v_fmac_f32_e32 v114, v103, v119
	v_fma_f32 v113, v102, v119, -v115
	ds_read2_b64 v[100:103], v1 offset0:61 offset1:62
	s_waitcnt vmcnt(28) lgkmcnt(1)
	v_mul_f32_e32 v115, v2, v120
	v_mul_f32_e32 v119, v3, v120
	s_waitcnt vmcnt(27)
	v_mul_f32_e32 v120, v4, v121
	v_mul_f32_e32 v121, v5, v121
	v_fmac_f32_e32 v115, v3, v118
	v_fma_f32 v118, v2, v118, -v119
	;; [unrolled: 23-line block ×5, first 2 shown]
	v_fmac_f32_e32 v144, v5, v141
	v_fma_f32 v141, v4, v141, -v145
	s_clause 0x5
	buffer_load_dword v143, off, s[0:3], 0 offset:248
	buffer_load_dword v145, off, s[0:3], 0 offset:240
	;; [unrolled: 1-line block ×6, first 2 shown]
	v_add_f32_e32 v4, 0, v6
	buffer_load_dword v6, off, s[0:3], 0 offset:252
	v_add_f32_e32 v3, 0, v146
	s_waitcnt vmcnt(8) lgkmcnt(0)
	v_mul_f32_e32 v5, v101, v149
	s_waitcnt vmcnt(7)
	v_mul_f32_e32 v156, v102, v150
	v_add_f32_e32 v4, v4, v147
	v_add_f32_e32 v3, v3, v7
	v_mul_f32_e32 v7, v100, v149
	v_add_f32_e32 v4, v4, v104
	v_add_f32_e32 v3, v3, v8
	s_clause 0x7
	buffer_load_dword v8, off, s[0:3], 0 offset:260
	buffer_load_dword v146, off, s[0:3], 0 offset:280
	;; [unrolled: 1-line block ×8, first 2 shown]
	v_add_f32_e32 v3, v3, v105
	v_add_f32_e32 v4, v4, v106
	v_fmac_f32_e32 v7, v101, v140
	v_fma_f32 v140, v100, v140, -v5
	v_mul_f32_e32 v5, v103, v150
	v_add_f32_e32 v3, v3, v110
	v_add_f32_e32 v4, v4, v107
	s_clause 0x7
	buffer_load_dword v150, off, s[0:3], 0 offset:276
	buffer_load_dword v159, off, s[0:3], 0 offset:300
	;; [unrolled: 1-line block ×8, first 2 shown]
	v_add_f32_e32 v3, v3, v109
	v_add_f32_e32 v4, v4, v112
	buffer_load_dword v166, off, s[0:3], 0 offset:356
	s_waitcnt vmcnt(20)
	v_fmac_f32_e32 v156, v103, v2
	v_fma_f32 v112, v102, v2, -v5
	v_add_f32_e32 v2, v3, v108
	v_add_f32_e32 v3, v4, v111
	;; [unrolled: 1-line block ×8, first 2 shown]
	s_clause 0x3
	buffer_load_dword v120, off, s[0:3], 0 offset:312
	buffer_load_dword v167, off, s[0:3], 0 offset:304
	;; [unrolled: 1-line block ×4, first 2 shown]
	v_add_f32_e32 v2, v2, v116
	v_add_f32_e32 v3, v3, v119
	;; [unrolled: 1-line block ×4, first 2 shown]
	s_clause 0x3
	buffer_load_dword v121, off, s[0:3], 0 offset:344
	buffer_load_dword v122, off, s[0:3], 0 offset:336
	;; [unrolled: 1-line block ×4, first 2 shown]
	v_add_f32_e32 v2, v2, v126
	buffer_load_dword v126, off, s[0:3], 0 offset:352
	v_add_f32_e32 v3, v3, v123
	buffer_load_dword v123, off, s[0:3], 0 offset:32
	v_add_f32_e32 v2, v2, v125
	v_add_f32_e32 v3, v3, v128
	;; [unrolled: 1-line block ×4, first 2 shown]
	ds_read2_b64 v[2:5], v1 offset0:75 offset1:76
	v_add_f32_e32 v100, v100, v129
	v_add_f32_e32 v101, v101, v130
	;; [unrolled: 1-line block ×4, first 2 shown]
	ds_read2_b64 v[100:103], v1 offset0:77 offset1:78
	v_add_f32_e32 v104, v104, v133
	v_add_f32_e32 v105, v105, v136
	;; [unrolled: 1-line block ×4, first 2 shown]
	s_waitcnt vmcnt(29) lgkmcnt(1)
	v_mul_f32_e32 v124, v2, v152
	v_mul_f32_e32 v106, v3, v152
	s_waitcnt vmcnt(28)
	v_mul_f32_e32 v125, v4, v153
	v_mul_f32_e32 v107, v5, v153
	v_add_f32_e32 v109, v104, v137
	v_fmac_f32_e32 v124, v3, v151
	v_fma_f32 v116, v2, v151, -v106
	v_fmac_f32_e32 v125, v5, v145
	v_fma_f32 v127, v4, v145, -v107
	ds_read2_b64 v[2:5], v1 offset0:79 offset1:80
	ds_read2_b64 v[104:107], v1 offset0:81 offset1:82
	v_add_f32_e32 v108, v108, v138
	s_waitcnt vmcnt(27) lgkmcnt(2)
	v_mul_f32_e32 v128, v100, v6
	v_add_f32_e32 v109, v109, v142
	v_mul_f32_e32 v6, v101, v6
	s_waitcnt vmcnt(26)
	v_mul_f32_e32 v129, v102, v8
	v_add_f32_e32 v108, v108, v139
	v_fmac_f32_e32 v128, v101, v143
	v_add_f32_e32 v101, v109, v141
	v_mul_f32_e32 v8, v103, v8
	v_fma_f32 v6, v100, v143, -v6
	v_add_f32_e32 v113, v108, v144
	s_waitcnt vmcnt(22)
	v_fmac_f32_e32 v129, v103, v154
	v_add_f32_e32 v114, v101, v140
	v_fma_f32 v8, v102, v154, -v8
	ds_read2_b64 v[100:103], v1 offset0:83 offset1:84
	ds_read2_b64 v[108:111], v1 offset0:85 offset1:86
	v_add_f32_e32 v7, v113, v7
	v_add_f32_e32 v118, v114, v112
	s_waitcnt vmcnt(21) lgkmcnt(3)
	v_mul_f32_e32 v130, v2, v155
	v_mul_f32_e32 v117, v3, v155
	v_add_f32_e32 v7, v7, v156
	ds_read2_b64 v[112:115], v1 offset0:87 offset1:88
	s_waitcnt vmcnt(20) lgkmcnt(3)
	v_mul_f32_e32 v131, v105, v157
	v_fmac_f32_e32 v130, v3, v149
	v_add_f32_e32 v3, v118, v116
	v_fma_f32 v2, v2, v149, -v117
	ds_read2_b64 v[116:119], v1 offset0:89 offset1:90
	v_add_f32_e32 v1, v7, v124
	s_waitcnt vmcnt(18)
	v_mul_f32_e32 v124, v5, v150
	v_add_f32_e32 v3, v3, v127
	v_mul_f32_e32 v7, v4, v150
	v_mul_f32_e32 v127, v104, v157
	v_add_f32_e32 v1, v1, v125
	v_fma_f32 v4, v4, v147, -v124
	v_add_f32_e32 v3, v3, v6
	v_fmac_f32_e32 v7, v5, v147
	v_fma_f32 v104, v104, v146, -v131
	v_add_f32_e32 v1, v1, v128
	v_mul_f32_e32 v125, v106, v158
	v_add_f32_e32 v3, v3, v8
	v_mul_f32_e32 v8, v107, v158
	v_fmac_f32_e32 v127, v105, v146
	v_add_f32_e32 v1, v1, v129
	s_waitcnt vmcnt(17) lgkmcnt(3)
	v_mul_f32_e32 v5, v100, v159
	v_add_f32_e32 v2, v3, v2
	s_waitcnt vmcnt(16)
	v_mul_f32_e32 v124, v102, v160
	s_waitcnt vmcnt(15) lgkmcnt(2)
	v_mul_f32_e32 v6, v108, v161
	v_add_f32_e32 v1, v1, v130
	s_waitcnt vmcnt(14)
	v_mul_f32_e32 v128, v110, v162
	v_add_f32_e32 v2, v2, v4
	v_mul_f32_e32 v4, v101, v159
	s_waitcnt vmcnt(13) lgkmcnt(1)
	v_mul_f32_e32 v132, v112, v163
	v_add_f32_e32 v1, v1, v7
	s_waitcnt vmcnt(12)
	v_mul_f32_e32 v129, v114, v164
	v_add_f32_e32 v2, v2, v104
	s_waitcnt vmcnt(11) lgkmcnt(0)
	v_mul_f32_e32 v133, v116, v165
	s_waitcnt vmcnt(10)
	v_mul_f32_e32 v3, v118, v166
	v_add_f32_e32 v1, v1, v127
	s_waitcnt vmcnt(9)
	v_fmac_f32_e32 v6, v109, v120
	s_waitcnt vmcnt(8)
	v_fmac_f32_e32 v124, v103, v167
	s_waitcnt vmcnt(7)
	v_fma_f32 v4, v100, v168, -v4
	s_waitcnt vmcnt(6)
	v_fma_f32 v7, v106, v169, -v8
	v_fmac_f32_e32 v125, v107, v169
	v_mul_f32_e32 v8, v103, v160
	v_fmac_f32_e32 v5, v101, v168
	v_add_f32_e32 v2, v2, v7
	v_add_f32_e32 v1, v1, v125
	v_mul_f32_e32 v7, v109, v161
	v_fma_f32 v8, v102, v167, -v8
	s_waitcnt vmcnt(3)
	v_fmac_f32_e32 v132, v113, v170
	v_add_f32_e32 v2, v2, v4
	v_add_f32_e32 v1, v1, v5
	v_mul_f32_e32 v4, v111, v162
	v_fma_f32 v5, v108, v120, -v7
	v_mul_f32_e32 v7, v113, v163
	v_add_f32_e32 v2, v2, v8
	v_add_f32_e32 v1, v1, v124
	s_waitcnt vmcnt(2)
	v_fma_f32 v4, v110, v171, -v4
	v_fmac_f32_e32 v128, v111, v171
	v_fmac_f32_e32 v129, v115, v122
	v_add_f32_e32 v2, v2, v5
	v_add_f32_e32 v1, v1, v6
	v_mul_f32_e32 v5, v115, v164
	v_fma_f32 v6, v112, v170, -v7
	v_fmac_f32_e32 v133, v117, v121
	v_add_f32_e32 v2, v2, v4
	v_add_f32_e32 v1, v1, v128
	v_mul_f32_e32 v4, v117, v165
	v_fma_f32 v5, v114, v122, -v5
	s_waitcnt vmcnt(1)
	v_fmac_f32_e32 v3, v119, v126
	v_add_f32_e32 v2, v2, v6
	v_add_f32_e32 v1, v1, v132
	v_mul_f32_e32 v6, v119, v166
	v_fma_f32 v4, v116, v121, -v4
	v_add_f32_e32 v2, v2, v5
	v_add_f32_e32 v1, v1, v129
	v_fma_f32 v5, v118, v126, -v6
	v_add_f32_e32 v2, v2, v4
	v_add_f32_e32 v1, v1, v133
	;; [unrolled: 1-line block ×4, first 2 shown]
	s_waitcnt vmcnt(0)
	v_sub_f32_e32 v2, v123, v2
	v_sub_f32_e32 v1, v148, v1
	buffer_store_dword v2, off, s[0:3], 0 offset:32
	buffer_store_dword v1, off, s[0:3], 0 offset:36
	v_cmpx_lt_u32_e32 3, v0
	s_cbranch_execz .LBB44_277
; %bb.276:
	s_clause 0x1
	buffer_load_dword v1, off, s[0:3], 0 offset:24
	buffer_load_dword v2, off, s[0:3], 0 offset:28
	v_mov_b32_e32 v3, 0
	buffer_store_dword v3, off, s[0:3], 0 offset:24
	buffer_store_dword v3, off, s[0:3], 0 offset:28
	s_waitcnt vmcnt(0)
	ds_write_b64 v99, v[1:2]
.LBB44_277:
	s_or_b32 exec_lo, exec_lo, s4
	s_waitcnt lgkmcnt(0)
	s_waitcnt_vscnt null, 0x0
	s_barrier
	buffer_gl0_inv
	s_clause 0x24
	buffer_load_dword v2, off, s[0:3], 0 offset:36
	buffer_load_dword v3, off, s[0:3], 0 offset:44
	buffer_load_dword v124, off, s[0:3], 0 offset:48
	buffer_load_dword v125, off, s[0:3], 0 offset:40
	buffer_load_dword v126, off, s[0:3], 0 offset:32
	buffer_load_dword v127, off, s[0:3], 0 offset:52
	buffer_load_dword v128, off, s[0:3], 0 offset:60
	buffer_load_dword v129, off, s[0:3], 0 offset:68
	buffer_load_dword v130, off, s[0:3], 0 offset:76
	buffer_load_dword v131, off, s[0:3], 0 offset:80
	buffer_load_dword v132, off, s[0:3], 0 offset:72
	buffer_load_dword v133, off, s[0:3], 0 offset:64
	buffer_load_dword v134, off, s[0:3], 0 offset:56
	buffer_load_dword v135, off, s[0:3], 0 offset:84
	buffer_load_dword v136, off, s[0:3], 0 offset:92
	buffer_load_dword v137, off, s[0:3], 0 offset:100
	buffer_load_dword v8, off, s[0:3], 0 offset:112
	buffer_load_dword v105, off, s[0:3], 0 offset:104
	buffer_load_dword v138, off, s[0:3], 0 offset:96
	buffer_load_dword v139, off, s[0:3], 0 offset:88
	buffer_load_dword v140, off, s[0:3], 0 offset:108
	buffer_load_dword v141, off, s[0:3], 0 offset:116
	buffer_load_dword v142, off, s[0:3], 0 offset:124
	buffer_load_dword v5, off, s[0:3], 0 offset:144
	buffer_load_dword v100, off, s[0:3], 0 offset:136
	buffer_load_dword v106, off, s[0:3], 0 offset:128
	buffer_load_dword v143, off, s[0:3], 0 offset:120
	buffer_load_dword v144, off, s[0:3], 0 offset:132
	buffer_load_dword v145, off, s[0:3], 0 offset:140
	buffer_load_dword v102, off, s[0:3], 0 offset:148
	buffer_load_dword v101, off, s[0:3], 0 offset:156
	buffer_load_dword v4, off, s[0:3], 0 offset:176
	buffer_load_dword v6, off, s[0:3], 0 offset:168
	buffer_load_dword v7, off, s[0:3], 0 offset:160
	buffer_load_dword v107, off, s[0:3], 0 offset:152
	buffer_load_dword v104, off, s[0:3], 0 offset:164
	buffer_load_dword v103, off, s[0:3], 0 offset:172
	v_mov_b32_e32 v1, 0
	ds_read_b128 v[108:111], v1 offset:400
	ds_read_b128 v[112:115], v1 offset:416
	;; [unrolled: 1-line block ×3, first 2 shown]
	s_clause 0x1
	buffer_load_dword v146, off, s[0:3], 0 offset:180
	buffer_load_dword v147, off, s[0:3], 0 offset:28
	ds_read_b128 v[120:123], v1 offset:448
	s_mov_b32 s4, exec_lo
	s_waitcnt vmcnt(38) lgkmcnt(3)
	v_mul_f32_e32 v148, v109, v2
	v_mul_f32_e32 v2, v108, v2
	s_waitcnt vmcnt(37)
	v_mul_f32_e32 v149, v110, v3
	v_mul_f32_e32 v3, v111, v3
	s_waitcnt vmcnt(34)
	v_fma_f32 v148, v108, v126, -v148
	v_fmac_f32_e32 v2, v109, v126
	v_fmac_f32_e32 v149, v111, v125
	v_fma_f32 v3, v110, v125, -v3
	ds_read_b128 v[108:111], v1 offset:464
	s_waitcnt vmcnt(33) lgkmcnt(3)
	v_mul_f32_e32 v125, v112, v127
	v_mul_f32_e32 v126, v113, v127
	s_waitcnt vmcnt(32)
	v_mul_f32_e32 v127, v114, v128
	v_mul_f32_e32 v128, v115, v128
	s_waitcnt vmcnt(31) lgkmcnt(2)
	v_mul_f32_e32 v150, v116, v129
	v_fmac_f32_e32 v125, v113, v124
	v_fma_f32 v124, v112, v124, -v126
	s_waitcnt vmcnt(26)
	v_fmac_f32_e32 v127, v115, v134
	v_fma_f32 v128, v114, v134, -v128
	ds_read_b128 v[112:115], v1 offset:480
	v_mul_f32_e32 v129, v117, v129
	v_mul_f32_e32 v126, v118, v130
	;; [unrolled: 1-line block ×3, first 2 shown]
	v_fmac_f32_e32 v150, v117, v133
	s_waitcnt vmcnt(24) lgkmcnt(2)
	v_mul_f32_e32 v134, v122, v136
	v_fma_f32 v129, v116, v133, -v129
	v_fmac_f32_e32 v126, v119, v132
	v_fma_f32 v130, v118, v132, -v130
	v_mul_f32_e32 v132, v120, v135
	v_mul_f32_e32 v133, v121, v135
	v_mul_f32_e32 v135, v123, v136
	ds_read_b128 v[116:119], v1 offset:496
	s_waitcnt vmcnt(19)
	v_fmac_f32_e32 v134, v123, v139
	v_fmac_f32_e32 v132, v121, v131
	v_fma_f32 v120, v120, v131, -v133
	v_fma_f32 v121, v122, v139, -v135
	s_clause 0x4
	buffer_load_dword v122, off, s[0:3], 0 offset:188
	buffer_load_dword v123, off, s[0:3], 0 offset:208
	;; [unrolled: 1-line block ×5, first 2 shown]
	s_waitcnt lgkmcnt(2)
	v_mul_f32_e32 v136, v108, v137
	v_mul_f32_e32 v137, v109, v137
	s_waitcnt vmcnt(23)
	v_mul_f32_e32 v139, v110, v140
	v_mul_f32_e32 v140, v111, v140
	s_waitcnt vmcnt(21) lgkmcnt(1)
	v_mul_f32_e32 v151, v114, v142
	v_fmac_f32_e32 v136, v109, v138
	v_fma_f32 v137, v108, v138, -v137
	v_mul_f32_e32 v138, v112, v141
	v_mul_f32_e32 v108, v113, v141
	buffer_load_dword v141, off, s[0:3], 0 offset:196
	v_fmac_f32_e32 v139, v111, v105
	v_fma_f32 v140, v110, v105, -v140
	v_mul_f32_e32 v105, v115, v142
	v_fmac_f32_e32 v138, v113, v8
	v_fma_f32 v8, v112, v8, -v108
	ds_read_b128 v[108:111], v1 offset:512
	s_waitcnt vmcnt(18)
	v_fmac_f32_e32 v151, v115, v143
	v_fma_f32 v142, v114, v143, -v105
	ds_read_b128 v[112:115], v1 offset:528
	s_waitcnt vmcnt(17) lgkmcnt(2)
	v_mul_f32_e32 v143, v116, v144
	v_mul_f32_e32 v105, v117, v144
	s_waitcnt vmcnt(16)
	v_mul_f32_e32 v144, v118, v145
	v_mul_f32_e32 v145, v119, v145
	v_add_f32_e32 v2, 0, v2
	v_fmac_f32_e32 v143, v117, v106
	v_fma_f32 v116, v116, v106, -v105
	v_fmac_f32_e32 v144, v119, v100
	v_fma_f32 v117, v118, v100, -v145
	s_clause 0x2
	buffer_load_dword v118, off, s[0:3], 0 offset:204
	buffer_load_dword v119, off, s[0:3], 0 offset:212
	buffer_load_dword v153, off, s[0:3], 0 offset:220
	s_waitcnt vmcnt(18) lgkmcnt(1)
	v_mul_f32_e32 v145, v108, v102
	v_mul_f32_e32 v100, v109, v102
	s_waitcnt vmcnt(17)
	v_mul_f32_e32 v152, v110, v101
	v_mul_f32_e32 v101, v111, v101
	v_fmac_f32_e32 v145, v109, v5
	v_fma_f32 v109, v108, v5, -v100
	s_waitcnt vmcnt(13)
	v_fmac_f32_e32 v152, v111, v107
	s_waitcnt vmcnt(12) lgkmcnt(0)
	v_mul_f32_e32 v111, v112, v104
	v_mul_f32_e32 v5, v113, v104
	s_waitcnt vmcnt(11)
	v_mul_f32_e32 v104, v114, v103
	v_mul_f32_e32 v100, v115, v103
	v_fma_f32 v110, v110, v107, -v101
	ds_read_b128 v[105:108], v1 offset:544
	v_fmac_f32_e32 v111, v113, v7
	v_fma_f32 v7, v112, v7, -v5
	v_fmac_f32_e32 v104, v115, v6
	v_fma_f32 v6, v114, v6, -v100
	s_clause 0x4
	buffer_load_dword v112, off, s[0:3], 0 offset:240
	buffer_load_dword v113, off, s[0:3], 0 offset:232
	;; [unrolled: 1-line block ×5, first 2 shown]
	v_add_f32_e32 v5, 0, v148
	v_add_f32_e32 v3, v5, v3
	;; [unrolled: 1-line block ×3, first 2 shown]
	s_waitcnt vmcnt(15) lgkmcnt(0)
	v_mul_f32_e32 v148, v105, v146
	v_mul_f32_e32 v100, v106, v146
	v_add_f32_e32 v101, v101, v128
	v_fmac_f32_e32 v148, v106, v4
	buffer_load_dword v106, off, s[0:3], 0 offset:236
	v_fma_f32 v105, v105, v4, -v100
	v_add_f32_e32 v100, v2, v149
	ds_read_b128 v[2:5], v1 offset:560
	v_add_f32_e32 v101, v101, v129
	v_add_f32_e32 v100, v100, v125
	buffer_load_dword v125, off, s[0:3], 0 offset:252
	v_add_f32_e32 v100, v100, v127
	v_add_f32_e32 v127, v101, v130
	;; [unrolled: 1-line block ×3, first 2 shown]
	s_waitcnt vmcnt(15)
	v_mul_f32_e32 v124, v107, v122
	v_mul_f32_e32 v102, v108, v122
	buffer_load_dword v122, off, s[0:3], 0 offset:244
	s_waitcnt vmcnt(12)
	v_fmac_f32_e32 v124, v108, v135
	v_add_f32_e32 v108, v100, v150
	v_fma_f32 v107, v107, v135, -v102
	ds_read_b128 v[100:103], v1 offset:576
	v_add_f32_e32 v108, v108, v126
	s_clause 0x3
	buffer_load_dword v126, off, s[0:3], 0 offset:272
	buffer_load_dword v127, off, s[0:3], 0 offset:264
	buffer_load_dword v130, off, s[0:3], 0 offset:256
	buffer_load_dword v135, off, s[0:3], 0 offset:248
	s_waitcnt vmcnt(15) lgkmcnt(1)
	v_mul_f32_e32 v128, v2, v141
	v_mul_f32_e32 v129, v3, v141
	v_fmac_f32_e32 v128, v3, v133
	v_fma_f32 v129, v2, v133, -v129
	v_add_f32_e32 v2, v108, v132
	s_clause 0x1
	buffer_load_dword v132, off, s[0:3], 0 offset:260
	buffer_load_dword v133, off, s[0:3], 0 offset:268
	v_add_f32_e32 v3, v120, v121
	buffer_load_dword v120, off, s[0:3], 0 offset:276
	v_add_f32_e32 v2, v2, v134
	v_add_f32_e32 v3, v3, v137
	;; [unrolled: 1-line block ×3, first 2 shown]
	s_waitcnt vmcnt(17)
	v_mul_f32_e32 v108, v4, v118
	v_add_f32_e32 v140, v3, v140
	v_mul_f32_e32 v118, v5, v118
	v_add_f32_e32 v121, v121, v139
	s_waitcnt vmcnt(16) lgkmcnt(0)
	v_mul_f32_e32 v139, v100, v119
	v_add_f32_e32 v8, v140, v8
	v_mul_f32_e32 v119, v101, v119
	v_fmac_f32_e32 v108, v5, v131
	v_add_f32_e32 v121, v121, v138
	v_fma_f32 v118, v4, v131, -v118
	s_clause 0x3
	buffer_load_dword v131, off, s[0:3], 0 offset:284
	buffer_load_dword v134, off, s[0:3], 0 offset:292
	;; [unrolled: 1-line block ×4, first 2 shown]
	ds_read_b128 v[2:5], v1 offset:592
	v_add_f32_e32 v8, v8, v142
	s_waitcnt vmcnt(19)
	v_mul_f32_e32 v140, v102, v153
	v_mul_f32_e32 v138, v103, v153
	v_fma_f32 v119, v100, v123, -v119
	v_add_f32_e32 v100, v121, v151
	v_add_f32_e32 v8, v8, v116
	v_fmac_f32_e32 v139, v101, v123
	s_clause 0x3
	buffer_load_dword v121, off, s[0:3], 0 offset:316
	buffer_load_dword v123, off, s[0:3], 0 offset:324
	;; [unrolled: 1-line block ×4, first 2 shown]
	v_add_f32_e32 v100, v100, v143
	v_add_f32_e32 v8, v8, v117
	s_waitcnt vmcnt(19)
	v_fmac_f32_e32 v140, v103, v115
	v_fma_f32 v115, v102, v115, -v138
	s_clause 0x5
	buffer_load_dword v138, off, s[0:3], 0 offset:348
	buffer_load_dword v116, off, s[0:3], 0 offset:304
	;; [unrolled: 1-line block ×6, first 2 shown]
	v_add_f32_e32 v117, v100, v144
	v_add_f32_e32 v8, v8, v109
	ds_read_b128 v[100:103], v1 offset:608
	s_waitcnt vmcnt(24) lgkmcnt(1)
	v_mul_f32_e32 v144, v3, v154
	v_add_f32_e32 v109, v117, v145
	v_mul_f32_e32 v117, v2, v154
	v_add_f32_e32 v8, v8, v110
	v_fmac_f32_e32 v117, v3, v114
	v_fma_f32 v114, v2, v114, -v144
	v_add_f32_e32 v3, v8, v7
	s_clause 0x3
	buffer_load_dword v8, off, s[0:3], 0 offset:336
	buffer_load_dword v144, off, s[0:3], 0 offset:328
	;; [unrolled: 1-line block ×4, first 2 shown]
	v_add_f32_e32 v2, v109, v152
	s_clause 0x2
	buffer_load_dword v152, off, s[0:3], 0 offset:352
	buffer_load_dword v153, off, s[0:3], 0 offset:344
	;; [unrolled: 1-line block ×3, first 2 shown]
	v_add_f32_e32 v3, v3, v6
	s_waitcnt vmcnt(30)
	v_mul_f32_e32 v155, v4, v106
	v_add_f32_e32 v2, v2, v111
	v_add_f32_e32 v6, v3, v105
	v_mul_f32_e32 v3, v5, v106
	v_add_f32_e32 v2, v2, v104
	v_fmac_f32_e32 v155, v5, v113
	s_waitcnt vmcnt(29) lgkmcnt(0)
	v_mul_f32_e32 v110, v103, v125
	v_add_f32_e32 v6, v6, v107
	ds_read_b128 v[104:107], v1 offset:640
	v_add_f32_e32 v7, v2, v148
	v_fma_f32 v148, v4, v113, -v3
	ds_read_b128 v[2:5], v1 offset:624
	v_add_f32_e32 v6, v6, v129
	v_add_f32_e32 v7, v7, v124
	;; [unrolled: 1-line block ×9, first 2 shown]
	s_waitcnt vmcnt(28)
	v_mul_f32_e32 v124, v100, v122
	v_mul_f32_e32 v109, v101, v122
	;; [unrolled: 1-line block ×3, first 2 shown]
	v_fmac_f32_e32 v124, v101, v112
	v_fma_f32 v125, v100, v112, -v109
	s_waitcnt vmcnt(24)
	v_fma_f32 v118, v102, v135, -v110
	v_fmac_f32_e32 v122, v103, v135
	ds_read_b128 v[100:103], v1 offset:656
	ds_read_b128 v[108:111], v1 offset:672
	s_waitcnt vmcnt(23) lgkmcnt(2)
	v_mul_f32_e32 v119, v2, v132
	v_mul_f32_e32 v112, v3, v132
	s_waitcnt vmcnt(22)
	v_mul_f32_e32 v128, v4, v133
	v_mul_f32_e32 v129, v5, v133
	s_waitcnt vmcnt(21)
	v_mul_f32_e32 v132, v104, v120
	v_fmac_f32_e32 v119, v3, v130
	v_fma_f32 v130, v2, v130, -v112
	v_add_f32_e32 v2, v7, v140
	v_fmac_f32_e32 v128, v5, v127
	v_fma_f32 v127, v4, v127, -v129
	v_add_f32_e32 v129, v6, v148
	v_mul_f32_e32 v120, v105, v120
	v_add_f32_e32 v117, v2, v117
	v_fmac_f32_e32 v132, v105, v126
	ds_read_b128 v[112:115], v1 offset:688
	ds_read_b128 v[2:5], v1 offset:704
	v_add_f32_e32 v125, v129, v125
	v_add_f32_e32 v117, v117, v155
	v_fma_f32 v104, v104, v126, -v120
	s_waitcnt vmcnt(20)
	v_mul_f32_e32 v129, v107, v131
	v_mul_f32_e32 v133, v106, v131
	v_add_f32_e32 v118, v125, v118
	v_add_f32_e32 v117, v117, v124
	s_waitcnt vmcnt(19) lgkmcnt(3)
	v_mul_f32_e32 v124, v100, v134
	v_mul_f32_e32 v126, v101, v134
	s_waitcnt vmcnt(18)
	v_mul_f32_e32 v125, v102, v136
	v_add_f32_e32 v118, v118, v130
	v_add_f32_e32 v117, v117, v122
	s_waitcnt vmcnt(17) lgkmcnt(2)
	v_mul_f32_e32 v131, v108, v137
	s_waitcnt vmcnt(16)
	v_mul_f32_e32 v122, v110, v121
	ds_read_b64 v[6:7], v1 offset:720
	v_add_f32_e32 v118, v118, v127
	v_add_f32_e32 v117, v117, v119
	s_waitcnt vmcnt(15) lgkmcnt(2)
	v_mul_f32_e32 v130, v112, v123
	s_waitcnt vmcnt(11)
	v_fmac_f32_e32 v131, v109, v116
	v_add_f32_e32 v104, v118, v104
	v_add_f32_e32 v117, v117, v128
	s_waitcnt vmcnt(8)
	v_fma_f32 v106, v106, v149, -v129
	v_fmac_f32_e32 v133, v107, v149
	v_fmac_f32_e32 v124, v101, v146
	v_fma_f32 v100, v100, v146, -v126
	v_add_f32_e32 v107, v117, v132
	v_mul_f32_e32 v117, v103, v136
	v_add_f32_e32 v101, v104, v106
	v_mul_f32_e32 v106, v109, v137
	v_fmac_f32_e32 v125, v103, v143
	v_add_f32_e32 v104, v107, v133
	v_fma_f32 v102, v102, v143, -v117
	v_add_f32_e32 v100, v101, v100
	v_mul_f32_e32 v103, v111, v121
	v_mul_f32_e32 v105, v114, v141
	v_add_f32_e32 v101, v104, v124
	v_fma_f32 v104, v108, v116, -v106
	v_add_f32_e32 v100, v100, v102
	v_mul_f32_e32 v102, v113, v123
	s_waitcnt vmcnt(3)
	v_fma_f32 v103, v110, v151, -v103
	v_add_f32_e32 v101, v101, v125
	v_fmac_f32_e32 v122, v111, v151
	v_add_f32_e32 v100, v100, v104
	v_mul_f32_e32 v104, v115, v141
	v_fma_f32 v102, v112, v145, -v102
	v_add_f32_e32 v101, v101, v131
	v_fmac_f32_e32 v130, v113, v145
	v_add_f32_e32 v100, v100, v103
	s_waitcnt lgkmcnt(1)
	v_mul_f32_e32 v119, v2, v142
	v_mul_f32_e32 v103, v3, v142
	v_add_f32_e32 v101, v101, v122
	v_fma_f32 v104, v114, v144, -v104
	v_add_f32_e32 v100, v100, v102
	v_fmac_f32_e32 v105, v115, v144
	v_mul_f32_e32 v102, v5, v138
	v_add_f32_e32 v101, v101, v130
	v_fmac_f32_e32 v119, v3, v8
	v_fma_f32 v2, v2, v8, -v103
	v_add_f32_e32 v3, v100, v104
	v_mul_f32_e32 v120, v4, v138
	v_add_f32_e32 v8, v101, v105
	s_waitcnt lgkmcnt(0)
	v_mul_f32_e32 v100, v7, v150
	s_waitcnt vmcnt(1)
	v_fma_f32 v4, v4, v153, -v102
	v_add_f32_e32 v2, v3, v2
	v_mul_f32_e32 v127, v6, v150
	v_fmac_f32_e32 v120, v5, v153
	v_add_f32_e32 v3, v8, v119
	v_fma_f32 v5, v6, v152, -v100
	v_add_f32_e32 v2, v2, v4
	v_fmac_f32_e32 v127, v7, v152
	v_add_f32_e32 v3, v3, v120
	v_add_f32_e32 v2, v2, v5
	;; [unrolled: 1-line block ×3, first 2 shown]
	s_waitcnt vmcnt(0)
	v_sub_f32_e32 v2, v154, v2
	v_sub_f32_e32 v3, v147, v3
	buffer_store_dword v2, off, s[0:3], 0 offset:24
	buffer_store_dword v3, off, s[0:3], 0 offset:28
	v_cmpx_lt_u32_e32 2, v0
	s_cbranch_execz .LBB44_279
; %bb.278:
	s_clause 0x1
	buffer_load_dword v2, off, s[0:3], 0 offset:16
	buffer_load_dword v3, off, s[0:3], 0 offset:20
	buffer_store_dword v1, off, s[0:3], 0 offset:16
	buffer_store_dword v1, off, s[0:3], 0 offset:20
	s_waitcnt vmcnt(0)
	ds_write_b64 v99, v[2:3]
.LBB44_279:
	s_or_b32 exec_lo, exec_lo, s4
	s_waitcnt lgkmcnt(0)
	s_waitcnt_vscnt null, 0x0
	s_barrier
	buffer_gl0_inv
	s_clause 0x24
	buffer_load_dword v128, off, s[0:3], 0 offset:28
	buffer_load_dword v2, off, s[0:3], 0 offset:36
	;; [unrolled: 1-line block ×37, first 2 shown]
	ds_read2_b64 v[112:115], v1 offset0:49 offset1:50
	ds_read2_b64 v[116:119], v1 offset0:51 offset1:52
	;; [unrolled: 1-line block ×3, first 2 shown]
	s_clause 0x1
	buffer_load_dword v146, off, s[0:3], 0 offset:172
	buffer_load_dword v147, off, s[0:3], 0 offset:180
	ds_read2_b64 v[124:127], v1 offset0:55 offset1:56
	buffer_load_dword v149, off, s[0:3], 0 offset:20
	s_mov_b32 s4, exec_lo
	s_waitcnt vmcnt(39) lgkmcnt(3)
	v_mul_f32_e32 v148, v113, v128
	v_mul_f32_e32 v128, v112, v128
	s_waitcnt vmcnt(38)
	v_mul_f32_e32 v150, v114, v2
	v_mul_f32_e32 v2, v115, v2
	s_waitcnt vmcnt(35)
	v_fma_f32 v148, v112, v131, -v148
	v_fmac_f32_e32 v128, v113, v131
	v_fmac_f32_e32 v150, v115, v130
	v_fma_f32 v2, v114, v130, -v2
	s_waitcnt vmcnt(33) lgkmcnt(2)
	v_mul_f32_e32 v130, v118, v133
	v_mul_f32_e32 v113, v119, v133
	;; [unrolled: 1-line block ×4, first 2 shown]
	s_waitcnt vmcnt(32) lgkmcnt(1)
	v_mul_f32_e32 v132, v120, v134
	v_mul_f32_e32 v133, v121, v134
	s_waitcnt vmcnt(28)
	v_fmac_f32_e32 v130, v119, v137
	v_fma_f32 v134, v118, v137, -v113
	s_waitcnt vmcnt(27)
	v_mul_f32_e32 v137, v122, v138
	v_mul_f32_e32 v138, v123, v138
	v_fmac_f32_e32 v131, v117, v129
	v_fma_f32 v129, v116, v129, -v112
	ds_read2_b64 v[112:115], v1 offset0:57 offset1:58
	ds_read2_b64 v[116:119], v1 offset0:59 offset1:60
	v_fmac_f32_e32 v132, v121, v136
	v_fma_f32 v133, v120, v136, -v133
	s_waitcnt vmcnt(26) lgkmcnt(2)
	v_mul_f32_e32 v136, v124, v139
	v_mul_f32_e32 v120, v125, v139
	v_fmac_f32_e32 v137, v123, v135
	v_fma_f32 v135, v122, v135, -v138
	s_waitcnt vmcnt(25)
	v_mul_f32_e32 v138, v126, v140
	v_mul_f32_e32 v121, v127, v140
	s_clause 0x3
	buffer_load_dword v139, off, s[0:3], 0 offset:200
	buffer_load_dword v140, off, s[0:3], 0 offset:192
	;; [unrolled: 1-line block ×4, first 2 shown]
	v_fmac_f32_e32 v136, v125, v102
	v_fma_f32 v124, v124, v102, -v120
	s_waitcnt vmcnt(25)
	v_fmac_f32_e32 v138, v127, v141
	v_fma_f32 v125, v126, v141, -v121
	ds_read2_b64 v[120:123], v1 offset0:61 offset1:62
	s_clause 0x1
	buffer_load_dword v153, off, s[0:3], 0 offset:188
	buffer_load_dword v154, off, s[0:3], 0 offset:196
	s_waitcnt vmcnt(26) lgkmcnt(2)
	v_mul_f32_e32 v126, v112, v142
	v_mul_f32_e32 v102, v113, v142
	s_waitcnt vmcnt(25)
	v_mul_f32_e32 v127, v114, v143
	v_mul_f32_e32 v141, v115, v143
	s_waitcnt vmcnt(24) lgkmcnt(1)
	v_mul_f32_e32 v143, v116, v144
	v_fmac_f32_e32 v126, v113, v109
	v_fma_f32 v142, v112, v109, -v102
	v_fmac_f32_e32 v127, v115, v103
	v_fma_f32 v141, v114, v103, -v141
	ds_read2_b64 v[112:115], v1 offset0:63 offset1:64
	v_mul_f32_e32 v102, v117, v144
	s_waitcnt vmcnt(23)
	v_mul_f32_e32 v103, v119, v108
	v_mul_f32_e32 v144, v118, v108
	v_fmac_f32_e32 v143, v117, v6
	v_fma_f32 v6, v116, v6, -v102
	s_waitcnt vmcnt(19)
	v_fma_f32 v116, v118, v145, -v103
	s_waitcnt vmcnt(18) lgkmcnt(1)
	v_mul_f32_e32 v117, v120, v111
	v_mul_f32_e32 v102, v121, v111
	s_waitcnt vmcnt(17)
	v_mul_f32_e32 v118, v122, v110
	v_mul_f32_e32 v103, v123, v110
	ds_read2_b64 v[108:111], v1 offset0:65 offset1:66
	v_fmac_f32_e32 v144, v119, v145
	v_fmac_f32_e32 v117, v121, v104
	buffer_load_dword v119, off, s[0:3], 0 offset:204
	v_fma_f32 v104, v120, v104, -v102
	v_fmac_f32_e32 v118, v123, v8
	v_fma_f32 v8, v122, v8, -v103
	s_waitcnt vmcnt(16) lgkmcnt(1)
	v_mul_f32_e32 v121, v114, v100
	v_mul_f32_e32 v100, v115, v100
	;; [unrolled: 1-line block ×4, first 2 shown]
	s_waitcnt vmcnt(12)
	v_fmac_f32_e32 v121, v115, v107
	v_fma_f32 v107, v114, v107, -v100
	buffer_load_dword v114, off, s[0:3], 0 offset:212
	v_fmac_f32_e32 v120, v113, v4
	v_fma_f32 v112, v112, v4, -v101
	ds_read2_b64 v[100:103], v1 offset0:67 offset1:68
	s_waitcnt vmcnt(12) lgkmcnt(1)
	v_mul_f32_e32 v113, v108, v106
	v_mul_f32_e32 v4, v109, v106
	s_waitcnt vmcnt(11)
	v_mul_f32_e32 v106, v110, v105
	v_mul_f32_e32 v105, v111, v105
	v_fmac_f32_e32 v113, v109, v7
	v_fma_f32 v7, v108, v7, -v4
	v_fmac_f32_e32 v106, v111, v5
	v_fma_f32 v105, v110, v5, -v105
	s_clause 0x4
	buffer_load_dword v108, off, s[0:3], 0 offset:232
	buffer_load_dword v109, off, s[0:3], 0 offset:224
	;; [unrolled: 1-line block ×5, first 2 shown]
	v_add_f32_e32 v4, 0, v148
	v_add_f32_e32 v5, 0, v128
	s_clause 0x1
	buffer_load_dword v122, off, s[0:3], 0 offset:228
	buffer_load_dword v123, off, s[0:3], 0 offset:236
	v_add_f32_e32 v2, v4, v2
	v_add_f32_e32 v4, v5, v150
	s_waitcnt vmcnt(17) lgkmcnt(0)
	v_mul_f32_e32 v128, v100, v146
	v_mul_f32_e32 v5, v101, v146
	v_add_f32_e32 v2, v2, v129
	v_add_f32_e32 v4, v4, v131
	s_waitcnt vmcnt(16)
	v_mul_f32_e32 v131, v103, v147
	v_fmac_f32_e32 v128, v101, v3
	v_fma_f32 v145, v100, v3, -v5
	v_add_f32_e32 v100, v2, v134
	v_add_f32_e32 v101, v4, v130
	ds_read2_b64 v[2:5], v1 offset0:69 offset1:70
	v_mul_f32_e32 v129, v102, v147
	v_add_f32_e32 v100, v100, v133
	v_add_f32_e32 v101, v101, v132
	;; [unrolled: 1-line block ×10, first 2 shown]
	s_waitcnt vmcnt(11)
	v_fma_f32 v130, v102, v152, -v131
	s_clause 0x7
	buffer_load_dword v131, off, s[0:3], 0 offset:244
	buffer_load_dword v132, off, s[0:3], 0 offset:264
	;; [unrolled: 1-line block ×8, first 2 shown]
	v_fmac_f32_e32 v129, v103, v152
	ds_read2_b64 v[100:103], v1 offset0:71 offset1:72
	s_waitcnt vmcnt(18) lgkmcnt(1)
	v_mul_f32_e32 v138, v2, v153
	v_mul_f32_e32 v147, v3, v153
	s_waitcnt vmcnt(17)
	v_mul_f32_e32 v137, v4, v154
	v_mul_f32_e32 v142, v5, v154
	v_fmac_f32_e32 v138, v3, v151
	v_add_f32_e32 v3, v125, v141
	v_add_f32_e32 v125, v126, v127
	v_fma_f32 v126, v2, v151, -v147
	v_fmac_f32_e32 v137, v5, v140
	v_fma_f32 v127, v4, v140, -v142
	v_add_f32_e32 v2, v3, v6
	v_add_f32_e32 v3, v125, v143
	s_clause 0x7
	buffer_load_dword v6, off, s[0:3], 0 offset:276
	buffer_load_dword v125, off, s[0:3], 0 offset:284
	;; [unrolled: 1-line block ×8, first 2 shown]
	v_add_f32_e32 v2, v2, v116
	v_add_f32_e32 v3, v3, v144
	s_clause 0x3
	buffer_load_dword v144, off, s[0:3], 0 offset:308
	buffer_load_dword v151, off, s[0:3], 0 offset:316
	buffer_load_dword v152, off, s[0:3], 0 offset:324
	buffer_load_dword v153, off, s[0:3], 0 offset:332
	v_add_f32_e32 v2, v2, v104
	v_add_f32_e32 v8, v2, v8
	s_waitcnt vmcnt(28) lgkmcnt(0)
	v_mul_f32_e32 v4, v101, v119
	v_mul_f32_e32 v150, v100, v119
	v_add_f32_e32 v8, v8, v112
	v_fma_f32 v116, v100, v139, -v4
	v_add_f32_e32 v100, v3, v117
	v_fmac_f32_e32 v150, v101, v139
	s_clause 0x2
	buffer_load_dword v139, off, s[0:3], 0 offset:340
	buffer_load_dword v154, off, s[0:3], 0 offset:348
	;; [unrolled: 1-line block ×3, first 2 shown]
	v_add_f32_e32 v8, v8, v107
	v_add_f32_e32 v100, v100, v118
	s_waitcnt vmcnt(30)
	v_mul_f32_e32 v3, v103, v114
	v_mul_f32_e32 v117, v102, v114
	v_add_f32_e32 v7, v8, v7
	v_add_f32_e32 v100, v100, v120
	v_add_f32_e32 v7, v7, v105
	v_add_f32_e32 v100, v100, v121
	s_waitcnt vmcnt(26)
	v_fma_f32 v114, v102, v111, -v3
	ds_read2_b64 v[2:5], v1 offset0:73 offset1:74
	s_clause 0x3
	buffer_load_dword v120, off, s[0:3], 0 offset:328
	buffer_load_dword v156, off, s[0:3], 0 offset:320
	;; [unrolled: 1-line block ×4, first 2 shown]
	v_add_f32_e32 v8, v100, v113
	v_fmac_f32_e32 v117, v103, v111
	ds_read2_b64 v[100:103], v1 offset0:75 offset1:76
	s_waitcnt vmcnt(29) lgkmcnt(1)
	v_mul_f32_e32 v112, v2, v115
	v_mul_f32_e32 v104, v3, v115
	s_waitcnt vmcnt(28)
	v_mul_f32_e32 v118, v4, v122
	s_waitcnt vmcnt(27) lgkmcnt(0)
	v_mul_f32_e32 v111, v101, v123
	v_fmac_f32_e32 v112, v3, v110
	v_fma_f32 v113, v2, v110, -v104
	v_add_f32_e32 v2, v8, v106
	v_add_f32_e32 v3, v7, v145
	s_clause 0x2
	buffer_load_dword v7, off, s[0:3], 0 offset:352
	buffer_load_dword v8, off, s[0:3], 0 offset:344
	buffer_load_dword v121, off, s[0:3], 0 offset:336
	v_mul_f32_e32 v104, v5, v122
	v_fmac_f32_e32 v118, v5, v109
	v_add_f32_e32 v2, v2, v128
	buffer_load_dword v128, off, s[0:3], 0 offset:16
	v_add_f32_e32 v3, v3, v130
	v_fma_f32 v115, v4, v109, -v104
	v_mul_f32_e32 v122, v100, v123
	v_add_f32_e32 v105, v2, v129
	v_add_f32_e32 v109, v3, v126
	ds_read2_b64 v[2:5], v1 offset0:77 offset1:78
	v_fma_f32 v126, v100, v108, -v111
	v_add_f32_e32 v110, v105, v138
	ds_read2_b64 v[104:107], v1 offset0:79 offset1:80
	v_add_f32_e32 v109, v109, v127
	v_fmac_f32_e32 v122, v101, v108
	v_add_f32_e32 v110, v110, v137
	v_add_f32_e32 v116, v109, v116
	;; [unrolled: 1-line block ×4, first 2 shown]
	s_waitcnt vmcnt(30)
	v_mul_f32_e32 v119, v103, v131
	v_mul_f32_e32 v123, v102, v131
	s_waitcnt vmcnt(25) lgkmcnt(1)
	v_mul_f32_e32 v129, v2, v124
	v_mul_f32_e32 v116, v3, v124
	v_fma_f32 v127, v102, v146, -v119
	v_add_f32_e32 v119, v110, v150
	s_waitcnt vmcnt(23) lgkmcnt(0)
	v_mul_f32_e32 v130, v104, v136
	v_fmac_f32_e32 v129, v3, v134
	v_fma_f32 v134, v2, v134, -v116
	v_mul_f32_e32 v124, v4, v135
	v_add_f32_e32 v117, v119, v117
	v_mul_f32_e32 v119, v5, v135
	v_mul_f32_e32 v131, v105, v136
	v_fmac_f32_e32 v130, v105, v132
	v_fmac_f32_e32 v123, v103, v146
	v_add_f32_e32 v116, v117, v112
	v_add_f32_e32 v117, v113, v115
	ds_read2_b64 v[100:103], v1 offset0:81 offset1:82
	ds_read2_b64 v[108:111], v1 offset0:83 offset1:84
	v_fmac_f32_e32 v124, v5, v133
	v_fma_f32 v133, v4, v133, -v119
	v_add_f32_e32 v135, v116, v118
	v_add_f32_e32 v105, v117, v126
	ds_read2_b64 v[2:5], v1 offset0:85 offset1:86
	ds_read2_b64 v[112:115], v1 offset0:87 offset1:88
	;; [unrolled: 1-line block ×3, first 2 shown]
	v_fma_f32 v104, v104, v132, -v131
	v_add_f32_e32 v1, v135, v122
	v_add_f32_e32 v105, v105, v127
	s_waitcnt vmcnt(22)
	v_mul_f32_e32 v122, v106, v6
	v_mul_f32_e32 v6, v107, v6
	v_add_f32_e32 v1, v1, v123
	v_add_f32_e32 v105, v105, v134
	s_waitcnt vmcnt(15)
	v_fmac_f32_e32 v122, v107, v148
	v_fma_f32 v6, v106, v148, -v6
	v_add_f32_e32 v1, v1, v129
	v_add_f32_e32 v105, v105, v133
	s_waitcnt lgkmcnt(4)
	v_mul_f32_e32 v126, v100, v125
	v_mul_f32_e32 v125, v101, v125
	;; [unrolled: 1-line block ×3, first 2 shown]
	v_add_f32_e32 v1, v1, v124
	v_add_f32_e32 v104, v105, v104
	v_mul_f32_e32 v124, v103, v140
	v_fma_f32 v100, v100, v147, -v125
	v_fmac_f32_e32 v126, v101, v147
	v_add_f32_e32 v1, v1, v130
	v_add_f32_e32 v6, v104, v6
	s_waitcnt lgkmcnt(3)
	v_mul_f32_e32 v101, v109, v141
	v_fma_f32 v102, v102, v143, -v124
	v_mul_f32_e32 v106, v108, v141
	v_add_f32_e32 v1, v1, v122
	v_add_f32_e32 v6, v6, v100
	v_fmac_f32_e32 v123, v103, v143
	s_waitcnt vmcnt(14)
	v_mul_f32_e32 v100, v111, v144
	v_fma_f32 v101, v108, v142, -v101
	v_add_f32_e32 v1, v1, v126
	v_add_f32_e32 v6, v6, v102
	v_mul_f32_e32 v107, v110, v144
	v_fmac_f32_e32 v106, v109, v142
	s_waitcnt vmcnt(13) lgkmcnt(2)
	v_mul_f32_e32 v127, v2, v151
	v_add_f32_e32 v1, v1, v123
	v_mul_f32_e32 v102, v3, v151
	v_add_f32_e32 v6, v6, v101
	s_waitcnt vmcnt(4)
	v_fma_f32 v100, v110, v158, -v100
	v_fmac_f32_e32 v107, v111, v158
	v_add_f32_e32 v1, v1, v106
	v_mul_f32_e32 v101, v5, v152
	v_fmac_f32_e32 v127, v3, v157
	v_fma_f32 v2, v2, v157, -v102
	v_add_f32_e32 v3, v6, v100
	v_mul_f32_e32 v129, v4, v152
	v_add_f32_e32 v1, v1, v107
	s_waitcnt lgkmcnt(1)
	v_mul_f32_e32 v6, v113, v153
	v_fma_f32 v4, v4, v156, -v101
	v_add_f32_e32 v2, v3, v2
	v_mul_f32_e32 v131, v112, v153
	v_fmac_f32_e32 v129, v5, v156
	v_add_f32_e32 v1, v1, v127
	v_mul_f32_e32 v3, v115, v139
	v_fma_f32 v5, v112, v120, -v6
	v_add_f32_e32 v2, v2, v4
	v_mul_f32_e32 v132, v114, v139
	v_fmac_f32_e32 v131, v113, v120
	v_add_f32_e32 v1, v1, v129
	s_waitcnt lgkmcnt(0)
	v_mul_f32_e32 v4, v117, v154
	v_add_f32_e32 v2, v2, v5
	v_mul_f32_e32 v133, v116, v154
	v_mul_f32_e32 v5, v119, v155
	v_add_f32_e32 v1, v1, v131
	v_mul_f32_e32 v105, v118, v155
	s_waitcnt vmcnt(2)
	v_fma_f32 v4, v116, v8, -v4
	s_waitcnt vmcnt(1)
	v_fma_f32 v3, v114, v121, -v3
	v_fmac_f32_e32 v132, v115, v121
	v_fmac_f32_e32 v133, v117, v8
	v_fmac_f32_e32 v105, v119, v7
	v_add_f32_e32 v2, v2, v3
	v_add_f32_e32 v1, v1, v132
	v_fma_f32 v3, v118, v7, -v5
	v_add_f32_e32 v2, v2, v4
	v_add_f32_e32 v1, v1, v133
	;; [unrolled: 1-line block ×4, first 2 shown]
	s_waitcnt vmcnt(0)
	v_sub_f32_e32 v2, v128, v2
	v_sub_f32_e32 v1, v149, v1
	buffer_store_dword v2, off, s[0:3], 0 offset:16
	buffer_store_dword v1, off, s[0:3], 0 offset:20
	v_cmpx_lt_u32_e32 1, v0
	s_cbranch_execz .LBB44_281
; %bb.280:
	s_clause 0x1
	buffer_load_dword v1, off, s[0:3], 0 offset:8
	buffer_load_dword v2, off, s[0:3], 0 offset:12
	v_mov_b32_e32 v3, 0
	buffer_store_dword v3, off, s[0:3], 0 offset:8
	buffer_store_dword v3, off, s[0:3], 0 offset:12
	s_waitcnt vmcnt(0)
	ds_write_b64 v99, v[1:2]
.LBB44_281:
	s_or_b32 exec_lo, exec_lo, s4
	s_waitcnt lgkmcnt(0)
	s_waitcnt_vscnt null, 0x0
	s_barrier
	buffer_gl0_inv
	s_clause 0x2c
	buffer_load_dword v138, off, s[0:3], 0 offset:20
	buffer_load_dword v139, off, s[0:3], 0 offset:28
	;; [unrolled: 1-line block ×45, first 2 shown]
	v_mov_b32_e32 v1, 0
	ds_read_b128 v[130:133], v1 offset:384
	ds_read_b128 v[134:137], v1 offset:400
	buffer_load_dword v148, off, s[0:3], 0 offset:12
	s_mov_b32 s4, exec_lo
	s_waitcnt vmcnt(45) lgkmcnt(1)
	v_mul_f32_e32 v146, v131, v138
	v_mul_f32_e32 v138, v130, v138
	s_waitcnt vmcnt(44)
	v_mul_f32_e32 v147, v132, v139
	v_mul_f32_e32 v139, v133, v139
	s_waitcnt vmcnt(41)
	v_fma_f32 v146, v130, v127, -v146
	v_fmac_f32_e32 v138, v131, v127
	v_fmac_f32_e32 v147, v133, v123
	v_fma_f32 v139, v132, v123, -v139
	ds_read_b128 v[130:133], v1 offset:416
	s_waitcnt vmcnt(40) lgkmcnt(1)
	v_mul_f32_e32 v149, v134, v122
	v_mul_f32_e32 v122, v135, v122
	s_waitcnt vmcnt(39)
	v_mul_f32_e32 v150, v136, v120
	v_mul_f32_e32 v120, v137, v120
	v_fmac_f32_e32 v149, v135, v109
	v_fma_f32 v109, v134, v109, -v122
	s_waitcnt vmcnt(35)
	v_fmac_f32_e32 v150, v137, v128
	v_fma_f32 v151, v136, v128, -v120
	ds_read_b128 v[134:137], v1 offset:432
	s_waitcnt vmcnt(34) lgkmcnt(1)
	v_mul_f32_e32 v152, v130, v126
	v_mul_f32_e32 v120, v131, v126
	s_waitcnt vmcnt(33)
	v_mul_f32_e32 v153, v132, v125
	v_mul_f32_e32 v122, v133, v125
	ds_read_b128 v[125:128], v1 offset:448
	v_fmac_f32_e32 v152, v131, v117
	v_fma_f32 v117, v130, v117, -v120
	v_fmac_f32_e32 v153, v133, v112
	v_fma_f32 v154, v132, v112, -v122
	ds_read_b128 v[130:133], v1 offset:464
	s_waitcnt vmcnt(32) lgkmcnt(2)
	v_mul_f32_e32 v155, v134, v116
	v_mul_f32_e32 v112, v135, v116
	s_waitcnt vmcnt(31)
	v_mul_f32_e32 v116, v136, v114
	v_mul_f32_e32 v114, v137, v114
	v_fmac_f32_e32 v155, v135, v8
	v_fma_f32 v8, v134, v8, -v112
	s_waitcnt vmcnt(27)
	v_fmac_f32_e32 v116, v137, v124
	v_fma_f32 v134, v136, v124, -v114
	s_waitcnt vmcnt(26) lgkmcnt(1)
	v_mul_f32_e32 v135, v125, v121
	v_mul_f32_e32 v112, v126, v121
	s_waitcnt vmcnt(25)
	v_mul_f32_e32 v136, v127, v119
	v_mul_f32_e32 v114, v128, v119
	ds_read_b128 v[119:122], v1 offset:480
	v_fmac_f32_e32 v135, v126, v110
	v_fma_f32 v110, v125, v110, -v112
	ds_read_b128 v[123:126], v1 offset:496
	v_fmac_f32_e32 v136, v128, v104
	v_fma_f32 v127, v127, v104, -v114
	s_waitcnt vmcnt(24) lgkmcnt(2)
	v_mul_f32_e32 v128, v130, v108
	v_mul_f32_e32 v104, v131, v108
	s_waitcnt vmcnt(23)
	v_mul_f32_e32 v108, v132, v106
	v_mul_f32_e32 v106, v133, v106
	v_fmac_f32_e32 v128, v131, v4
	v_fma_f32 v130, v130, v4, -v104
	s_waitcnt vmcnt(19)
	v_fmac_f32_e32 v108, v133, v118
	v_fma_f32 v118, v132, v118, -v106
	s_waitcnt vmcnt(18) lgkmcnt(1)
	v_mul_f32_e32 v131, v119, v115
	v_mul_f32_e32 v4, v120, v115
	s_waitcnt vmcnt(17)
	v_mul_f32_e32 v132, v121, v113
	v_mul_f32_e32 v104, v122, v113
	ds_read_b128 v[112:115], v1 offset:512
	v_fmac_f32_e32 v131, v120, v103
	v_fma_f32 v119, v119, v103, -v4
	v_fmac_f32_e32 v132, v122, v100
	v_fma_f32 v120, v121, v100, -v104
	s_waitcnt vmcnt(15) lgkmcnt(1)
	v_mul_f32_e32 v122, v125, v101
	v_mul_f32_e32 v100, v126, v101
	;; [unrolled: 1-line block ×4, first 2 shown]
	s_waitcnt vmcnt(11)
	v_fmac_f32_e32 v122, v126, v111
	v_fma_f32 v111, v125, v111, -v100
	ds_read_b128 v[100:103], v1 offset:528
	v_fmac_f32_e32 v121, v124, v3
	v_fma_f32 v123, v123, v3, -v4
	s_waitcnt vmcnt(10) lgkmcnt(1)
	v_mul_f32_e32 v124, v112, v107
	v_mul_f32_e32 v3, v113, v107
	s_waitcnt vmcnt(9)
	v_mul_f32_e32 v125, v114, v105
	v_mul_f32_e32 v4, v115, v105
	ds_read_b128 v[104:107], v1 offset:544
	v_fmac_f32_e32 v124, v113, v7
	v_fma_f32 v7, v112, v7, -v3
	v_fmac_f32_e32 v125, v115, v5
	v_fma_f32 v112, v114, v5, -v4
	buffer_load_dword v114, off, s[0:3], 0 offset:196
	s_waitcnt vmcnt(8) lgkmcnt(1)
	v_mul_f32_e32 v4, v103, v129
	v_mul_f32_e32 v113, v100, v6
	;; [unrolled: 1-line block ×4, first 2 shown]
	s_waitcnt vmcnt(4)
	v_fma_f32 v126, v102, v143, -v4
	buffer_load_dword v102, off, s[0:3], 0 offset:204
	v_fmac_f32_e32 v113, v101, v2
	v_fma_f32 v115, v100, v2, -v3
	ds_read_b128 v[2:5], v1 offset:560
	v_fmac_f32_e32 v6, v103, v143
	s_waitcnt vmcnt(4) lgkmcnt(1)
	v_mul_f32_e32 v129, v104, v144
	v_mul_f32_e32 v100, v105, v144
	s_waitcnt vmcnt(3)
	v_mul_f32_e32 v133, v106, v145
	v_mul_f32_e32 v101, v107, v145
	v_fmac_f32_e32 v129, v105, v142
	v_fma_f32 v104, v104, v142, -v100
	v_fmac_f32_e32 v133, v107, v141
	v_fma_f32 v105, v106, v141, -v101
	s_clause 0x4
	buffer_load_dword v106, off, s[0:3], 0 offset:224
	buffer_load_dword v107, off, s[0:3], 0 offset:216
	;; [unrolled: 1-line block ×5, first 2 shown]
	s_waitcnt vmcnt(6) lgkmcnt(0)
	v_mul_f32_e32 v142, v2, v114
	v_mul_f32_e32 v101, v3, v114
	v_fmac_f32_e32 v142, v3, v140
	v_fma_f32 v114, v2, v140, -v101
	s_waitcnt vmcnt(5)
	v_mul_f32_e32 v140, v4, v102
	v_mul_f32_e32 v2, v5, v102
	s_waitcnt vmcnt(1)
	v_fmac_f32_e32 v140, v5, v100
	v_fma_f32 v143, v4, v100, -v2
	ds_read_b128 v[2:5], v1 offset:576
	ds_read_b128 v[100:103], v1 offset:592
	s_waitcnt vmcnt(0) lgkmcnt(1)
	v_mul_f32_e32 v144, v2, v141
	v_mul_f32_e32 v141, v3, v141
	v_fmac_f32_e32 v144, v3, v137
	v_fma_f32 v137, v2, v137, -v141
	buffer_load_dword v2, off, s[0:3], 0 offset:220
	s_waitcnt vmcnt(0)
	v_mul_f32_e32 v141, v4, v2
	v_mul_f32_e32 v2, v5, v2
	v_fmac_f32_e32 v141, v5, v107
	v_fma_f32 v145, v4, v107, -v2
	buffer_load_dword v2, off, s[0:3], 0 offset:228
	s_waitcnt vmcnt(0) lgkmcnt(0)
	v_mul_f32_e32 v156, v100, v2
	v_mul_f32_e32 v2, v101, v2
	v_fmac_f32_e32 v156, v101, v106
	v_fma_f32 v157, v100, v106, -v2
	s_clause 0x4
	buffer_load_dword v2, off, s[0:3], 0 offset:236
	buffer_load_dword v158, off, s[0:3], 0 offset:256
	;; [unrolled: 1-line block ×5, first 2 shown]
	s_waitcnt vmcnt(4)
	v_mul_f32_e32 v159, v102, v2
	v_mul_f32_e32 v2, v103, v2
	s_waitcnt vmcnt(0)
	v_fmac_f32_e32 v159, v103, v3
	v_fma_f32 v160, v102, v3, -v2
	v_add_f32_e32 v2, 0, v146
	v_add_f32_e32 v3, 0, v138
	buffer_load_dword v138, off, s[0:3], 0 offset:252
	v_add_f32_e32 v2, v2, v139
	v_add_f32_e32 v3, v3, v147
	buffer_load_dword v139, off, s[0:3], 0 offset:268
	v_add_f32_e32 v2, v2, v109
	buffer_load_dword v109, off, s[0:3], 0 offset:244
	v_add_f32_e32 v3, v3, v149
	v_add_f32_e32 v2, v2, v151
	;; [unrolled: 1-line block ×4, first 2 shown]
	buffer_load_dword v117, off, s[0:3], 0 offset:260
	v_add_f32_e32 v3, v3, v152
	v_add_f32_e32 v2, v2, v154
	;; [unrolled: 1-line block ×4, first 2 shown]
	s_clause 0x3
	buffer_load_dword v8, off, s[0:3], 0 offset:288
	buffer_load_dword v146, off, s[0:3], 0 offset:280
	;; [unrolled: 1-line block ×4, first 2 shown]
	v_add_f32_e32 v3, v3, v155
	v_add_f32_e32 v2, v2, v134
	s_clause 0x1
	buffer_load_dword v134, off, s[0:3], 0 offset:276
	buffer_load_dword v150, off, s[0:3], 0 offset:284
	v_add_f32_e32 v3, v3, v116
	buffer_load_dword v116, off, s[0:3], 0 offset:292
	v_add_f32_e32 v2, v2, v110
	v_add_f32_e32 v3, v3, v135
	;; [unrolled: 1-line block ×3, first 2 shown]
	s_clause 0x3
	buffer_load_dword v127, off, s[0:3], 0 offset:300
	buffer_load_dword v135, off, s[0:3], 0 offset:308
	;; [unrolled: 1-line block ×4, first 2 shown]
	v_add_f32_e32 v3, v3, v136
	v_add_f32_e32 v2, v2, v130
	s_clause 0x1
	buffer_load_dword v130, off, s[0:3], 0 offset:332
	buffer_load_dword v136, off, s[0:3], 0 offset:340
	v_add_f32_e32 v3, v3, v128
	v_add_f32_e32 v2, v2, v118
	s_clause 0x1
	buffer_load_dword v118, off, s[0:3], 0 offset:348
	buffer_load_dword v128, off, s[0:3], 0 offset:356
	v_add_f32_e32 v3, v3, v108
	v_add_f32_e32 v2, v2, v119
	;; [unrolled: 1-line block ×4, first 2 shown]
	s_clause 0x3
	buffer_load_dword v119, off, s[0:3], 0 offset:320
	buffer_load_dword v120, off, s[0:3], 0 offset:312
	;; [unrolled: 1-line block ×4, first 2 shown]
	v_add_f32_e32 v3, v3, v132
	v_add_f32_e32 v2, v2, v123
	;; [unrolled: 1-line block ×3, first 2 shown]
	s_clause 0x3
	buffer_load_dword v121, off, s[0:3], 0 offset:352
	buffer_load_dword v123, off, s[0:3], 0 offset:344
	;; [unrolled: 1-line block ×4, first 2 shown]
	v_add_f32_e32 v2, v2, v111
	v_add_f32_e32 v3, v3, v122
	buffer_load_dword v122, off, s[0:3], 0 offset:8
	v_add_f32_e32 v2, v2, v7
	v_add_f32_e32 v3, v3, v124
	;; [unrolled: 1-line block ×4, first 2 shown]
	ds_read_b128 v[2:5], v1 offset:608
	v_add_f32_e32 v7, v7, v115
	v_add_f32_e32 v100, v100, v113
	;; [unrolled: 1-line block ×4, first 2 shown]
	ds_read_b128 v[100:103], v1 offset:624
	v_add_f32_e32 v7, v7, v104
	v_add_f32_e32 v6, v6, v129
	;; [unrolled: 1-line block ×8, first 2 shown]
	s_waitcnt vmcnt(27) lgkmcnt(1)
	v_mul_f32_e32 v125, v4, v138
	v_mul_f32_e32 v105, v5, v138
	v_fmac_f32_e32 v125, v5, v106
	v_fma_f32 v129, v4, v106, -v105
	s_waitcnt vmcnt(25)
	v_mul_f32_e32 v124, v2, v109
	v_mul_f32_e32 v104, v3, v109
	v_fmac_f32_e32 v124, v3, v107
	v_add_f32_e32 v3, v7, v114
	v_fma_f32 v126, v2, v107, -v104
	s_waitcnt vmcnt(24) lgkmcnt(0)
	v_mul_f32_e32 v133, v100, v117
	v_add_f32_e32 v7, v3, v143
	ds_read_b128 v[2:5], v1 offset:640
	ds_read_b128 v[104:107], v1 offset:656
	v_mul_f32_e32 v112, v101, v117
	v_mul_f32_e32 v117, v102, v139
	v_fmac_f32_e32 v133, v101, v158
	v_add_f32_e32 v7, v7, v137
	v_mul_f32_e32 v137, v103, v139
	v_add_f32_e32 v139, v6, v156
	v_fma_f32 v138, v100, v158, -v112
	ds_read_b128 v[108:111], v1 offset:672
	ds_read_b128 v[112:115], v1 offset:688
	v_add_f32_e32 v7, v7, v145
	v_add_f32_e32 v139, v139, v159
	s_waitcnt vmcnt(20)
	v_fma_f32 v137, v102, v149, -v137
	v_fmac_f32_e32 v117, v103, v149
	v_add_f32_e32 v7, v7, v157
	v_add_f32_e32 v124, v139, v124
	s_waitcnt vmcnt(19) lgkmcnt(3)
	v_mul_f32_e32 v141, v2, v134
	v_add_f32_e32 v140, v7, v160
	v_add_f32_e32 v124, v124, v125
	v_mul_f32_e32 v134, v3, v134
	s_waitcnt vmcnt(18)
	v_mul_f32_e32 v142, v4, v150
	v_fmac_f32_e32 v141, v3, v147
	v_add_f32_e32 v126, v140, v126
	v_add_f32_e32 v124, v124, v133
	v_mul_f32_e32 v140, v5, v150
	v_fma_f32 v2, v2, v147, -v134
	s_waitcnt vmcnt(17) lgkmcnt(2)
	v_mul_f32_e32 v139, v104, v116
	v_add_f32_e32 v126, v126, v129
	v_add_f32_e32 v117, v124, v117
	v_mul_f32_e32 v116, v105, v116
	v_fma_f32 v4, v4, v146, -v140
	v_fmac_f32_e32 v142, v5, v146
	v_add_f32_e32 v126, v126, v138
	v_add_f32_e32 v5, v117, v141
	s_waitcnt vmcnt(16)
	v_mul_f32_e32 v117, v107, v127
	v_fmac_f32_e32 v139, v105, v8
	v_fma_f32 v8, v104, v8, -v116
	v_add_f32_e32 v126, v126, v137
	v_mul_f32_e32 v129, v106, v127
	ds_read_b128 v[100:103], v1 offset:704
	ds_read_b64 v[6:7], v1 offset:720
	s_waitcnt vmcnt(5)
	v_fma_f32 v104, v106, v153, -v117
	s_waitcnt lgkmcnt(3)
	v_mul_f32_e32 v143, v108, v135
	v_add_f32_e32 v2, v126, v2
	v_fmac_f32_e32 v129, v107, v153
	v_mul_f32_e32 v125, v110, v151
	s_waitcnt lgkmcnt(2)
	v_mul_f32_e32 v138, v112, v152
	v_fmac_f32_e32 v143, v109, v131
	v_add_f32_e32 v2, v2, v4
	v_add_f32_e32 v4, v5, v142
	v_mul_f32_e32 v5, v109, v135
	v_fmac_f32_e32 v125, v111, v120
	v_mul_f32_e32 v3, v114, v130
	v_add_f32_e32 v2, v2, v8
	v_add_f32_e32 v4, v4, v139
	v_mul_f32_e32 v8, v111, v151
	v_fma_f32 v5, v108, v131, -v5
	v_fmac_f32_e32 v138, v113, v119
	v_add_f32_e32 v2, v2, v104
	v_add_f32_e32 v4, v4, v129
	v_mul_f32_e32 v104, v113, v152
	v_fma_f32 v8, v110, v120, -v8
	s_waitcnt lgkmcnt(1)
	v_mul_f32_e32 v133, v100, v136
	v_add_f32_e32 v2, v2, v5
	v_add_f32_e32 v4, v4, v143
	v_mul_f32_e32 v5, v115, v130
	v_fma_f32 v104, v112, v119, -v104
	s_waitcnt vmcnt(1)
	v_fmac_f32_e32 v3, v115, v154
	v_add_f32_e32 v2, v2, v8
	v_add_f32_e32 v4, v4, v125
	v_mul_f32_e32 v8, v101, v136
	v_fma_f32 v5, v114, v154, -v5
	v_mul_f32_e32 v134, v102, v118
	v_add_f32_e32 v2, v2, v104
	v_add_f32_e32 v4, v4, v138
	v_mul_f32_e32 v104, v103, v118
	v_fma_f32 v8, v100, v132, -v8
	v_fmac_f32_e32 v133, v101, v132
	v_add_f32_e32 v2, v2, v5
	v_add_f32_e32 v3, v4, v3
	s_waitcnt lgkmcnt(0)
	v_mul_f32_e32 v4, v7, v128
	v_fma_f32 v5, v102, v123, -v104
	v_mul_f32_e32 v124, v6, v128
	v_add_f32_e32 v2, v2, v8
	v_fmac_f32_e32 v134, v103, v123
	v_add_f32_e32 v3, v3, v133
	v_fma_f32 v4, v6, v121, -v4
	v_fmac_f32_e32 v124, v7, v121
	v_add_f32_e32 v2, v2, v5
	v_add_f32_e32 v3, v3, v134
	v_add_f32_e32 v2, v2, v4
	v_add_f32_e32 v3, v3, v124
	s_waitcnt vmcnt(0)
	v_sub_f32_e32 v2, v122, v2
	v_sub_f32_e32 v3, v148, v3
	buffer_store_dword v2, off, s[0:3], 0 offset:8
	buffer_store_dword v3, off, s[0:3], 0 offset:12
	v_cmpx_ne_u32_e32 0, v0
	s_cbranch_execz .LBB44_283
; %bb.282:
	s_clause 0x1
	buffer_load_dword v2, off, s[0:3], 0
	buffer_load_dword v3, off, s[0:3], 0 offset:4
	buffer_store_dword v1, off, s[0:3], 0
	buffer_store_dword v1, off, s[0:3], 0 offset:4
	s_waitcnt vmcnt(0)
	ds_write_b64 v99, v[2:3]
.LBB44_283:
	s_or_b32 exec_lo, exec_lo, s4
	s_waitcnt lgkmcnt(0)
	s_waitcnt_vscnt null, 0x0
	s_barrier
	buffer_gl0_inv
	s_clause 0x24
	buffer_load_dword v0, off, s[0:3], 0 offset:12
	buffer_load_dword v2, off, s[0:3], 0 offset:20
	;; [unrolled: 1-line block ×37, first 2 shown]
	ds_read2_b64 v[129:132], v1 offset0:47 offset1:48
	ds_read2_b64 v[133:136], v1 offset0:49 offset1:50
	buffer_load_dword v126, off, s[0:3], 0 offset:156
	ds_read2_b64 v[137:140], v1 offset0:51 offset1:52
	ds_read2_b64 v[141:144], v1 offset0:53 offset1:54
	buffer_load_dword v145, off, s[0:3], 0 offset:4
	s_and_b32 vcc_lo, exec_lo, s22
	s_waitcnt vmcnt(38) lgkmcnt(3)
	v_mul_f32_e32 v146, v130, v0
	v_mul_f32_e32 v0, v129, v0
	s_waitcnt vmcnt(37)
	v_mul_f32_e32 v147, v131, v2
	v_mul_f32_e32 v2, v132, v2
	s_waitcnt vmcnt(36) lgkmcnt(2)
	v_mul_f32_e32 v148, v133, v124
	v_mul_f32_e32 v124, v134, v124
	s_waitcnt vmcnt(35)
	v_mul_f32_e32 v149, v135, v120
	v_mul_f32_e32 v120, v136, v120
	s_waitcnt vmcnt(32)
	v_fma_f32 v146, v129, v123, -v146
	v_fmac_f32_e32 v0, v130, v123
	v_fmac_f32_e32 v147, v132, v118
	v_fma_f32 v150, v131, v118, -v2
	v_fmac_f32_e32 v148, v134, v117
	v_fma_f32 v151, v133, v117, -v124
	s_waitcnt vmcnt(28)
	v_fmac_f32_e32 v149, v136, v128
	v_fma_f32 v136, v135, v128, -v120
	ds_read2_b64 v[128:131], v1 offset0:55 offset1:56
	ds_read2_b64 v[132:135], v1 offset0:57 offset1:58
	s_waitcnt vmcnt(27) lgkmcnt(3)
	v_mul_f32_e32 v152, v137, v127
	v_mul_f32_e32 v2, v138, v127
	s_waitcnt vmcnt(26)
	v_mul_f32_e32 v117, v140, v125
	v_mul_f32_e32 v127, v139, v125
	s_waitcnt vmcnt(25) lgkmcnt(2)
	v_mul_f32_e32 v125, v141, v121
	v_mul_f32_e32 v121, v142, v121
	s_waitcnt vmcnt(24)
	v_mul_f32_e32 v123, v144, v119
	v_mul_f32_e32 v153, v143, v119
	v_fmac_f32_e32 v152, v138, v114
	v_fma_f32 v114, v137, v114, -v2
	v_fma_f32 v137, v139, v112, -v117
	ds_read2_b64 v[117:120], v1 offset0:59 offset1:60
	v_fmac_f32_e32 v127, v140, v112
	v_fmac_f32_e32 v125, v142, v106
	v_fma_f32 v138, v141, v106, -v121
	s_waitcnt vmcnt(20)
	v_fma_f32 v139, v143, v122, -v123
	s_clause 0x4
	buffer_load_dword v2, off, s[0:3], 0 offset:164
	buffer_load_dword v140, off, s[0:3], 0 offset:184
	;; [unrolled: 1-line block ×5, first 2 shown]
	v_fmac_f32_e32 v153, v144, v122
	s_waitcnt vmcnt(24) lgkmcnt(2)
	v_mul_f32_e32 v144, v128, v116
	v_mul_f32_e32 v106, v129, v116
	s_waitcnt vmcnt(23)
	v_mul_f32_e32 v116, v130, v115
	v_mul_f32_e32 v112, v131, v115
	ds_read2_b64 v[121:124], v1 offset0:61 offset1:62
	v_fmac_f32_e32 v144, v129, v111
	v_fma_f32 v115, v128, v111, -v106
	v_fmac_f32_e32 v116, v131, v107
	v_fma_f32 v128, v130, v107, -v112
	s_waitcnt vmcnt(22) lgkmcnt(2)
	v_mul_f32_e32 v129, v132, v110
	v_mul_f32_e32 v106, v133, v110
	s_waitcnt vmcnt(21)
	v_mul_f32_e32 v107, v135, v108
	v_mul_f32_e32 v130, v134, v108
	s_waitcnt vmcnt(20) lgkmcnt(1)
	v_mul_f32_e32 v131, v117, v109
	v_mul_f32_e32 v110, v118, v109
	v_fmac_f32_e32 v129, v133, v6
	v_fma_f32 v6, v132, v6, -v106
	s_waitcnt vmcnt(16)
	v_fma_f32 v132, v134, v113, -v107
	s_clause 0x1
	buffer_load_dword v133, off, s[0:3], 0 offset:172
	buffer_load_dword v134, off, s[0:3], 0 offset:180
	v_fmac_f32_e32 v131, v118, v103
	v_fma_f32 v103, v117, v103, -v110
	s_waitcnt vmcnt(17)
	v_mul_f32_e32 v117, v119, v104
	v_mul_f32_e32 v104, v120, v104
	ds_read2_b64 v[106:109], v1 offset0:63 offset1:64
	s_waitcnt vmcnt(16) lgkmcnt(1)
	v_mul_f32_e32 v118, v121, v100
	v_mul_f32_e32 v100, v122, v100
	v_fmac_f32_e32 v117, v120, v8
	v_fma_f32 v8, v119, v8, -v104
	s_clause 0x1
	buffer_load_dword v104, off, s[0:3], 0 offset:188
	buffer_load_dword v120, off, s[0:3], 0 offset:196
	s_waitcnt vmcnt(17)
	v_mul_f32_e32 v119, v123, v99
	v_mul_f32_e32 v99, v124, v99
	v_fmac_f32_e32 v130, v135, v113
	v_fmac_f32_e32 v118, v122, v4
	v_fma_f32 v121, v121, v4, -v100
	s_waitcnt vmcnt(13)
	v_fmac_f32_e32 v119, v124, v105
	v_fma_f32 v105, v123, v105, -v99
	ds_read2_b64 v[110:113], v1 offset0:65 offset1:66
	v_add_f32_e32 v0, 0, v0
	s_waitcnt vmcnt(12) lgkmcnt(1)
	v_mul_f32_e32 v122, v106, v102
	v_mul_f32_e32 v4, v107, v102
	s_waitcnt vmcnt(11)
	v_mul_f32_e32 v123, v108, v101
	v_mul_f32_e32 v99, v109, v101
	v_add_f32_e32 v0, v0, v147
	v_fmac_f32_e32 v122, v107, v7
	v_fma_f32 v7, v106, v7, -v4
	v_fmac_f32_e32 v123, v109, v5
	v_fma_f32 v106, v108, v5, -v99
	s_clause 0x5
	buffer_load_dword v107, off, s[0:3], 0 offset:216
	buffer_load_dword v108, off, s[0:3], 0 offset:208
	;; [unrolled: 1-line block ×6, first 2 shown]
	v_add_f32_e32 v99, 0, v146
	v_add_f32_e32 v0, v0, v148
	s_waitcnt vmcnt(16) lgkmcnt(0)
	v_mul_f32_e32 v155, v110, v126
	v_mul_f32_e32 v4, v111, v126
	v_add_f32_e32 v99, v99, v150
	buffer_load_dword v126, off, s[0:3], 0 offset:220
	v_add_f32_e32 v0, v0, v149
	v_fmac_f32_e32 v155, v111, v3
	v_fma_f32 v110, v110, v3, -v4
	v_add_f32_e32 v0, v0, v152
	v_add_f32_e32 v0, v0, v127
	;; [unrolled: 1-line block ×15, first 2 shown]
	s_waitcnt vmcnt(15)
	v_mul_f32_e32 v111, v112, v2
	v_mul_f32_e32 v2, v113, v2
	s_waitcnt vmcnt(11)
	v_fmac_f32_e32 v111, v113, v143
	v_fma_f32 v112, v112, v143, -v2
	ds_read2_b64 v[2:5], v1 offset0:67 offset1:68
	v_add_f32_e32 v113, v99, v151
	ds_read2_b64 v[99:102], v1 offset0:69 offset1:70
	v_add_f32_e32 v0, v0, v111
	v_add_f32_e32 v113, v113, v136
	;; [unrolled: 1-line block ×4, first 2 shown]
	s_waitcnt vmcnt(10) lgkmcnt(1)
	v_mul_f32_e32 v136, v2, v133
	v_mul_f32_e32 v133, v3, v133
	s_waitcnt vmcnt(9)
	v_mul_f32_e32 v143, v4, v134
	v_mul_f32_e32 v134, v5, v134
	v_add_f32_e32 v113, v113, v138
	v_fmac_f32_e32 v136, v3, v142
	v_fma_f32 v133, v2, v142, -v133
	v_fmac_f32_e32 v143, v5, v141
	v_fma_f32 v114, v4, v141, -v134
	ds_read2_b64 v[2:5], v1 offset0:71 offset1:72
	s_clause 0x5
	buffer_load_dword v127, off, s[0:3], 0 offset:228
	buffer_load_dword v134, off, s[0:3], 0 offset:236
	;; [unrolled: 1-line block ×6, first 2 shown]
	s_waitcnt vmcnt(14) lgkmcnt(1)
	v_mul_f32_e32 v138, v99, v104
	v_mul_f32_e32 v104, v100, v104
	s_waitcnt vmcnt(13)
	v_mul_f32_e32 v125, v101, v120
	v_mul_f32_e32 v120, v102, v120
	v_add_f32_e32 v0, v0, v136
	v_fmac_f32_e32 v138, v100, v140
	v_fma_f32 v104, v99, v140, -v104
	v_add_f32_e32 v99, v113, v139
	s_clause 0x2
	buffer_load_dword v113, off, s[0:3], 0 offset:244
	buffer_load_dword v139, off, s[0:3], 0 offset:252
	;; [unrolled: 1-line block ×3, first 2 shown]
	v_add_f32_e32 v0, v0, v143
	v_add_f32_e32 v115, v99, v115
	;; [unrolled: 1-line block ×4, first 2 shown]
	s_waitcnt vmcnt(12)
	v_fmac_f32_e32 v125, v102, v124
	v_fma_f32 v120, v101, v124, -v120
	ds_read2_b64 v[99:102], v1 offset0:73 offset1:74
	s_clause 0x3
	buffer_load_dword v128, off, s[0:3], 0 offset:280
	buffer_load_dword v144, off, s[0:3], 0 offset:272
	;; [unrolled: 1-line block ×4, first 2 shown]
	s_waitcnt vmcnt(15) lgkmcnt(1)
	v_mul_f32_e32 v124, v2, v135
	v_mul_f32_e32 v135, v3, v135
	v_add_f32_e32 v0, v0, v125
	v_fmac_f32_e32 v124, v3, v109
	v_fma_f32 v109, v2, v109, -v135
	v_add_f32_e32 v2, v115, v6
	s_clause 0x4
	buffer_load_dword v6, off, s[0:3], 0 offset:268
	buffer_load_dword v135, off, s[0:3], 0 offset:276
	;; [unrolled: 1-line block ×5, first 2 shown]
	s_waitcnt vmcnt(19)
	v_mul_f32_e32 v115, v4, v154
	v_add_f32_e32 v2, v2, v132
	v_mul_f32_e32 v3, v5, v154
	s_clause 0x1
	buffer_load_dword v130, off, s[0:3], 0 offset:308
	buffer_load_dword v150, off, s[0:3], 0 offset:316
	v_add_f32_e32 v0, v0, v124
	v_fmac_f32_e32 v115, v5, v108
	v_add_f32_e32 v2, v2, v103
	v_fma_f32 v132, v4, v108, -v3
	s_waitcnt vmcnt(20) lgkmcnt(0)
	v_mul_f32_e32 v111, v99, v126
	v_add_f32_e32 v0, v0, v115
	v_add_f32_e32 v2, v2, v8
	s_clause 0x3
	buffer_load_dword v8, off, s[0:3], 0 offset:324
	buffer_load_dword v131, off, s[0:3], 0 offset:332
	;; [unrolled: 1-line block ×4, first 2 shown]
	v_fmac_f32_e32 v111, v100, v107
	v_add_f32_e32 v2, v2, v121
	s_clause 0x4
	buffer_load_dword v121, off, s[0:3], 0 offset:356
	buffer_load_dword v153, off, s[0:3], 0 offset:312
	;; [unrolled: 1-line block ×5, first 2 shown]
	v_add_f32_e32 v0, v0, v111
	v_add_f32_e32 v2, v2, v105
	v_mul_f32_e32 v105, v100, v126
	v_add_f32_e32 v2, v2, v7
	s_clause 0x5
	buffer_load_dword v7, off, s[0:3], 0 offset:344
	buffer_load_dword v119, off, s[0:3], 0 offset:336
	;; [unrolled: 1-line block ×5, first 2 shown]
	buffer_load_dword v159, off, s[0:3], 0
	v_add_f32_e32 v2, v2, v106
	v_add_f32_e32 v2, v2, v110
	;; [unrolled: 1-line block ×3, first 2 shown]
	v_fma_f32 v112, v99, v107, -v105
	v_add_f32_e32 v103, v2, v133
	ds_read2_b64 v[2:5], v1 offset0:75 offset1:76
	v_add_f32_e32 v103, v103, v114
	v_add_f32_e32 v99, v103, v104
	ds_read2_b64 v[103:106], v1 offset0:77 offset1:78
	v_add_f32_e32 v99, v99, v120
	s_waitcnt vmcnt(34)
	v_mul_f32_e32 v100, v102, v127
	s_waitcnt vmcnt(33) lgkmcnt(1)
	v_mul_f32_e32 v107, v3, v134
	v_mul_f32_e32 v120, v2, v134
	;; [unrolled: 1-line block ×3, first 2 shown]
	s_waitcnt vmcnt(29)
	v_fma_f32 v118, v101, v146, -v100
	v_fma_f32 v125, v2, v142, -v107
	v_add_f32_e32 v2, v99, v109
	v_fmac_f32_e32 v120, v3, v142
	v_fmac_f32_e32 v117, v102, v146
	ds_read2_b64 v[99:102], v1 offset0:79 offset1:80
	ds_read2_b64 v[107:110], v1 offset0:81 offset1:82
	v_add_f32_e32 v2, v2, v132
	s_waitcnt vmcnt(28)
	v_mul_f32_e32 v124, v4, v113
	v_mul_f32_e32 v3, v5, v113
	s_waitcnt vmcnt(27) lgkmcnt(2)
	v_mul_f32_e32 v113, v104, v139
	v_mul_f32_e32 v126, v103, v139
	s_waitcnt vmcnt(26)
	v_mul_f32_e32 v127, v105, v140
	v_mul_f32_e32 v115, v106, v140
	v_add_f32_e32 v0, v0, v117
	v_fma_f32 v133, v103, v137, -v113
	v_add_f32_e32 v103, v2, v112
	v_fmac_f32_e32 v124, v5, v141
	v_fma_f32 v132, v4, v141, -v3
	v_fmac_f32_e32 v126, v104, v137
	ds_read2_b64 v[2:5], v1 offset0:83 offset1:84
	ds_read2_b64 v[111:114], v1 offset0:85 offset1:86
	v_add_f32_e32 v134, v103, v118
	s_waitcnt vmcnt(22)
	v_fmac_f32_e32 v127, v106, v116
	v_fma_f32 v136, v105, v116, -v115
	ds_read2_b64 v[103:106], v1 offset0:87 offset1:88
	ds_read2_b64 v[115:118], v1 offset0:89 offset1:90
	v_add_f32_e32 v0, v0, v120
	v_add_f32_e32 v1, v134, v125
	;; [unrolled: 1-line block ×4, first 2 shown]
	s_waitcnt vmcnt(21) lgkmcnt(5)
	v_mul_f32_e32 v125, v99, v6
	v_mul_f32_e32 v6, v100, v6
	s_waitcnt vmcnt(20)
	v_mul_f32_e32 v134, v102, v135
	v_add_f32_e32 v0, v0, v126
	v_add_f32_e32 v1, v1, v133
	v_mul_f32_e32 v120, v101, v135
	v_fma_f32 v6, v99, v147, -v6
	v_fmac_f32_e32 v125, v100, v147
	v_add_f32_e32 v0, v0, v127
	v_add_f32_e32 v1, v1, v136
	s_waitcnt vmcnt(19) lgkmcnt(4)
	v_mul_f32_e32 v132, v107, v129
	v_mul_f32_e32 v129, v108, v129
	v_fma_f32 v101, v101, v144, -v134
	v_fmac_f32_e32 v120, v102, v144
	v_add_f32_e32 v1, v1, v6
	v_add_f32_e32 v0, v0, v125
	s_waitcnt vmcnt(18)
	v_mul_f32_e32 v135, v110, v148
	v_fma_f32 v107, v107, v128, -v129
	v_mul_f32_e32 v99, v109, v148
	v_add_f32_e32 v1, v1, v101
	v_fmac_f32_e32 v132, v108, v128
	v_add_f32_e32 v0, v0, v120
	s_waitcnt vmcnt(17) lgkmcnt(3)
	v_mul_f32_e32 v101, v3, v149
	s_waitcnt vmcnt(6)
	v_fma_f32 v108, v109, v157, -v135
	v_add_f32_e32 v1, v1, v107
	v_mul_f32_e32 v100, v2, v149
	v_fmac_f32_e32 v99, v110, v157
	v_add_f32_e32 v0, v0, v132
	v_mul_f32_e32 v107, v5, v130
	v_fma_f32 v2, v2, v156, -v101
	v_add_f32_e32 v1, v1, v108
	v_mul_f32_e32 v124, v4, v130
	v_fmac_f32_e32 v100, v3, v156
	v_add_f32_e32 v0, v0, v99
	s_waitcnt lgkmcnt(2)
	v_mul_f32_e32 v3, v112, v150
	v_fma_f32 v4, v4, v154, -v107
	v_add_f32_e32 v1, v1, v2
	v_mul_f32_e32 v126, v111, v150
	v_fmac_f32_e32 v124, v5, v154
	v_add_f32_e32 v0, v0, v100
	v_mul_f32_e32 v2, v114, v8
	v_fma_f32 v3, v111, v153, -v3
	v_add_f32_e32 v1, v1, v4
	v_mul_f32_e32 v102, v113, v8
	v_fmac_f32_e32 v126, v112, v153
	v_add_f32_e32 v0, v0, v124
	s_waitcnt lgkmcnt(1)
	v_mul_f32_e32 v4, v104, v131
	s_waitcnt vmcnt(2)
	v_fma_f32 v2, v113, v158, -v2
	v_add_f32_e32 v1, v1, v3
	v_mul_f32_e32 v133, v103, v131
	v_fmac_f32_e32 v102, v114, v158
	v_add_f32_e32 v0, v0, v126
	v_mul_f32_e32 v3, v106, v151
	v_fma_f32 v4, v103, v122, -v4
	v_add_f32_e32 v1, v1, v2
	v_mul_f32_e32 v127, v105, v151
	v_fmac_f32_e32 v133, v104, v122
	v_add_f32_e32 v0, v0, v102
	s_waitcnt lgkmcnt(0)
	v_mul_f32_e32 v2, v116, v152
	v_fma_f32 v3, v105, v119, -v3
	v_add_f32_e32 v1, v1, v4
	v_mul_f32_e32 v134, v115, v152
	v_fmac_f32_e32 v127, v106, v119
	v_add_f32_e32 v0, v0, v133
	v_mul_f32_e32 v4, v118, v121
	v_fma_f32 v2, v115, v7, -v2
	v_add_f32_e32 v1, v1, v3
	v_mul_f32_e32 v6, v117, v121
	v_fmac_f32_e32 v134, v116, v7
	v_add_f32_e32 v0, v0, v127
	s_waitcnt vmcnt(1)
	v_fma_f32 v3, v117, v123, -v4
	v_add_f32_e32 v1, v1, v2
	v_fmac_f32_e32 v6, v118, v123
	v_add_f32_e32 v0, v0, v134
	v_add_f32_e32 v1, v1, v3
	;; [unrolled: 1-line block ×3, first 2 shown]
	s_waitcnt vmcnt(0)
	v_sub_f32_e32 v1, v159, v1
	v_sub_f32_e32 v0, v145, v0
	buffer_store_dword v1, off, s[0:3], 0
	buffer_store_dword v0, off, s[0:3], 0 offset:4
	s_cbranch_vccz .LBB44_372
; %bb.284:
	v_mov_b32_e32 v0, 0
	global_load_dword v1, v0, s[20:21] offset:172
	s_waitcnt vmcnt(0)
	v_add_nc_u32_e32 v1, -1, v1
	v_cmp_ne_u32_e32 vcc_lo, 43, v1
	s_cbranch_vccz .LBB44_286
; %bb.285:
	v_lshlrev_b32_e32 v1, 3, v1
	s_clause 0x3
	buffer_load_dword v2, v1, s[0:3], 0 offen
	buffer_load_dword v3, v1, s[0:3], 0 offen offset:4
	buffer_load_dword v4, off, s[0:3], 0 offset:344
	buffer_load_dword v5, off, s[0:3], 0 offset:348
	s_waitcnt vmcnt(3)
	buffer_store_dword v2, off, s[0:3], 0 offset:344
	s_waitcnt vmcnt(2)
	buffer_store_dword v3, off, s[0:3], 0 offset:348
	s_waitcnt vmcnt(1)
	buffer_store_dword v4, v1, s[0:3], 0 offen
	s_waitcnt vmcnt(0)
	buffer_store_dword v5, v1, s[0:3], 0 offen offset:4
.LBB44_286:
	global_load_dword v0, v0, s[20:21] offset:168
	s_waitcnt vmcnt(0)
	v_add_nc_u32_e32 v0, -1, v0
	v_cmp_eq_u32_e32 vcc_lo, 42, v0
	s_cbranch_vccnz .LBB44_288
; %bb.287:
	v_lshlrev_b32_e32 v0, 3, v0
	s_clause 0x3
	buffer_load_dword v1, v0, s[0:3], 0 offen
	buffer_load_dword v2, v0, s[0:3], 0 offen offset:4
	buffer_load_dword v3, off, s[0:3], 0 offset:340
	buffer_load_dword v4, off, s[0:3], 0 offset:336
	s_waitcnt vmcnt(3)
	buffer_store_dword v1, off, s[0:3], 0 offset:336
	s_waitcnt vmcnt(2)
	buffer_store_dword v2, off, s[0:3], 0 offset:340
	s_waitcnt vmcnt(1)
	buffer_store_dword v3, v0, s[0:3], 0 offen offset:4
	s_waitcnt vmcnt(0)
	buffer_store_dword v4, v0, s[0:3], 0 offen
.LBB44_288:
	v_mov_b32_e32 v0, 0
	global_load_dword v1, v0, s[20:21] offset:164
	s_waitcnt vmcnt(0)
	v_add_nc_u32_e32 v1, -1, v1
	v_cmp_eq_u32_e32 vcc_lo, 41, v1
	s_cbranch_vccnz .LBB44_290
; %bb.289:
	v_lshlrev_b32_e32 v1, 3, v1
	s_clause 0x3
	buffer_load_dword v2, v1, s[0:3], 0 offen
	buffer_load_dword v3, v1, s[0:3], 0 offen offset:4
	buffer_load_dword v4, off, s[0:3], 0 offset:328
	buffer_load_dword v5, off, s[0:3], 0 offset:332
	s_waitcnt vmcnt(3)
	buffer_store_dword v2, off, s[0:3], 0 offset:328
	s_waitcnt vmcnt(2)
	buffer_store_dword v3, off, s[0:3], 0 offset:332
	s_waitcnt vmcnt(1)
	buffer_store_dword v4, v1, s[0:3], 0 offen
	s_waitcnt vmcnt(0)
	buffer_store_dword v5, v1, s[0:3], 0 offen offset:4
.LBB44_290:
	global_load_dword v0, v0, s[20:21] offset:160
	s_waitcnt vmcnt(0)
	v_add_nc_u32_e32 v0, -1, v0
	v_cmp_eq_u32_e32 vcc_lo, 40, v0
	s_cbranch_vccnz .LBB44_292
; %bb.291:
	v_lshlrev_b32_e32 v0, 3, v0
	s_clause 0x3
	buffer_load_dword v1, v0, s[0:3], 0 offen
	buffer_load_dword v2, v0, s[0:3], 0 offen offset:4
	buffer_load_dword v3, off, s[0:3], 0 offset:324
	buffer_load_dword v4, off, s[0:3], 0 offset:320
	s_waitcnt vmcnt(3)
	buffer_store_dword v1, off, s[0:3], 0 offset:320
	s_waitcnt vmcnt(2)
	buffer_store_dword v2, off, s[0:3], 0 offset:324
	s_waitcnt vmcnt(1)
	buffer_store_dword v3, v0, s[0:3], 0 offen offset:4
	s_waitcnt vmcnt(0)
	buffer_store_dword v4, v0, s[0:3], 0 offen
.LBB44_292:
	v_mov_b32_e32 v0, 0
	global_load_dword v1, v0, s[20:21] offset:156
	s_waitcnt vmcnt(0)
	v_add_nc_u32_e32 v1, -1, v1
	v_cmp_eq_u32_e32 vcc_lo, 39, v1
	s_cbranch_vccnz .LBB44_294
; %bb.293:
	v_lshlrev_b32_e32 v1, 3, v1
	s_clause 0x3
	buffer_load_dword v2, v1, s[0:3], 0 offen
	buffer_load_dword v3, v1, s[0:3], 0 offen offset:4
	buffer_load_dword v4, off, s[0:3], 0 offset:312
	buffer_load_dword v5, off, s[0:3], 0 offset:316
	s_waitcnt vmcnt(3)
	buffer_store_dword v2, off, s[0:3], 0 offset:312
	s_waitcnt vmcnt(2)
	buffer_store_dword v3, off, s[0:3], 0 offset:316
	s_waitcnt vmcnt(1)
	buffer_store_dword v4, v1, s[0:3], 0 offen
	s_waitcnt vmcnt(0)
	buffer_store_dword v5, v1, s[0:3], 0 offen offset:4
.LBB44_294:
	;; [unrolled: 43-line block ×21, first 2 shown]
	global_load_dword v0, v0, s[20:21]
	s_waitcnt vmcnt(0)
	v_add_nc_u32_e32 v0, -1, v0
	v_cmp_eq_u32_e32 vcc_lo, 0, v0
	s_cbranch_vccnz .LBB44_372
; %bb.371:
	v_lshlrev_b32_e32 v0, 3, v0
	s_clause 0x3
	buffer_load_dword v1, v0, s[0:3], 0 offen
	buffer_load_dword v2, v0, s[0:3], 0 offen offset:4
	buffer_load_dword v3, off, s[0:3], 0 offset:4
	buffer_load_dword v4, off, s[0:3], 0
	s_waitcnt vmcnt(3)
	buffer_store_dword v1, off, s[0:3], 0
	s_waitcnt vmcnt(2)
	buffer_store_dword v2, off, s[0:3], 0 offset:4
	s_waitcnt vmcnt(1)
	buffer_store_dword v3, v0, s[0:3], 0 offen offset:4
	s_waitcnt vmcnt(0)
	buffer_store_dword v4, v0, s[0:3], 0 offen
.LBB44_372:
	s_clause 0x3e
	buffer_load_dword v0, off, s[0:3], 0
	buffer_load_dword v1, off, s[0:3], 0 offset:4
	buffer_load_dword v2, off, s[0:3], 0 offset:8
	;; [unrolled: 1-line block ×62, first 2 shown]
	s_clause 0x1a
	buffer_load_dword v154, off, s[0:3], 0 offset:252
	buffer_load_dword v155, off, s[0:3], 0 offset:256
	;; [unrolled: 1-line block ×27, first 2 shown]
	s_waitcnt vmcnt(62)
	global_store_dwordx2 v[83:84], v[0:1], off
	global_store_dwordx2 v[87:88], v[2:3], off
	;; [unrolled: 1-line block ×14, first 2 shown]
	s_waitcnt vmcnt(60)
	global_store_dwordx2 v[33:34], v[119:120], off
	s_waitcnt vmcnt(58)
	global_store_dwordx2 v[35:36], v[121:122], off
	;; [unrolled: 2-line block ×31, first 2 shown]
	s_endpgm
	.section	.rodata,"a",@progbits
	.p2align	6, 0x0
	.amdhsa_kernel _ZN9rocsolver6v33100L18getri_kernel_smallILi45E19rocblas_complex_numIfEPS3_EEvT1_iilPiilS6_bb
		.amdhsa_group_segment_fixed_size 728
		.amdhsa_private_segment_fixed_size 368
		.amdhsa_kernarg_size 60
		.amdhsa_user_sgpr_count 6
		.amdhsa_user_sgpr_private_segment_buffer 1
		.amdhsa_user_sgpr_dispatch_ptr 0
		.amdhsa_user_sgpr_queue_ptr 0
		.amdhsa_user_sgpr_kernarg_segment_ptr 1
		.amdhsa_user_sgpr_dispatch_id 0
		.amdhsa_user_sgpr_flat_scratch_init 0
		.amdhsa_user_sgpr_private_segment_size 0
		.amdhsa_wavefront_size32 1
		.amdhsa_uses_dynamic_stack 0
		.amdhsa_system_sgpr_private_segment_wavefront_offset 1
		.amdhsa_system_sgpr_workgroup_id_x 1
		.amdhsa_system_sgpr_workgroup_id_y 0
		.amdhsa_system_sgpr_workgroup_id_z 0
		.amdhsa_system_sgpr_workgroup_info 0
		.amdhsa_system_vgpr_workitem_id 0
		.amdhsa_next_free_vgpr 254
		.amdhsa_next_free_sgpr 23
		.amdhsa_reserve_vcc 1
		.amdhsa_reserve_flat_scratch 0
		.amdhsa_float_round_mode_32 0
		.amdhsa_float_round_mode_16_64 0
		.amdhsa_float_denorm_mode_32 3
		.amdhsa_float_denorm_mode_16_64 3
		.amdhsa_dx10_clamp 1
		.amdhsa_ieee_mode 1
		.amdhsa_fp16_overflow 0
		.amdhsa_workgroup_processor_mode 1
		.amdhsa_memory_ordered 1
		.amdhsa_forward_progress 1
		.amdhsa_shared_vgpr_count 0
		.amdhsa_exception_fp_ieee_invalid_op 0
		.amdhsa_exception_fp_denorm_src 0
		.amdhsa_exception_fp_ieee_div_zero 0
		.amdhsa_exception_fp_ieee_overflow 0
		.amdhsa_exception_fp_ieee_underflow 0
		.amdhsa_exception_fp_ieee_inexact 0
		.amdhsa_exception_int_div_zero 0
	.end_amdhsa_kernel
	.section	.text._ZN9rocsolver6v33100L18getri_kernel_smallILi45E19rocblas_complex_numIfEPS3_EEvT1_iilPiilS6_bb,"axG",@progbits,_ZN9rocsolver6v33100L18getri_kernel_smallILi45E19rocblas_complex_numIfEPS3_EEvT1_iilPiilS6_bb,comdat
.Lfunc_end44:
	.size	_ZN9rocsolver6v33100L18getri_kernel_smallILi45E19rocblas_complex_numIfEPS3_EEvT1_iilPiilS6_bb, .Lfunc_end44-_ZN9rocsolver6v33100L18getri_kernel_smallILi45E19rocblas_complex_numIfEPS3_EEvT1_iilPiilS6_bb
                                        ; -- End function
	.set _ZN9rocsolver6v33100L18getri_kernel_smallILi45E19rocblas_complex_numIfEPS3_EEvT1_iilPiilS6_bb.num_vgpr, 254
	.set _ZN9rocsolver6v33100L18getri_kernel_smallILi45E19rocblas_complex_numIfEPS3_EEvT1_iilPiilS6_bb.num_agpr, 0
	.set _ZN9rocsolver6v33100L18getri_kernel_smallILi45E19rocblas_complex_numIfEPS3_EEvT1_iilPiilS6_bb.numbered_sgpr, 23
	.set _ZN9rocsolver6v33100L18getri_kernel_smallILi45E19rocblas_complex_numIfEPS3_EEvT1_iilPiilS6_bb.num_named_barrier, 0
	.set _ZN9rocsolver6v33100L18getri_kernel_smallILi45E19rocblas_complex_numIfEPS3_EEvT1_iilPiilS6_bb.private_seg_size, 368
	.set _ZN9rocsolver6v33100L18getri_kernel_smallILi45E19rocblas_complex_numIfEPS3_EEvT1_iilPiilS6_bb.uses_vcc, 1
	.set _ZN9rocsolver6v33100L18getri_kernel_smallILi45E19rocblas_complex_numIfEPS3_EEvT1_iilPiilS6_bb.uses_flat_scratch, 0
	.set _ZN9rocsolver6v33100L18getri_kernel_smallILi45E19rocblas_complex_numIfEPS3_EEvT1_iilPiilS6_bb.has_dyn_sized_stack, 0
	.set _ZN9rocsolver6v33100L18getri_kernel_smallILi45E19rocblas_complex_numIfEPS3_EEvT1_iilPiilS6_bb.has_recursion, 0
	.set _ZN9rocsolver6v33100L18getri_kernel_smallILi45E19rocblas_complex_numIfEPS3_EEvT1_iilPiilS6_bb.has_indirect_call, 0
	.section	.AMDGPU.csdata,"",@progbits
; Kernel info:
; codeLenInByte = 81572
; TotalNumSgprs: 25
; NumVgprs: 254
; ScratchSize: 368
; MemoryBound: 0
; FloatMode: 240
; IeeeMode: 1
; LDSByteSize: 728 bytes/workgroup (compile time only)
; SGPRBlocks: 0
; VGPRBlocks: 31
; NumSGPRsForWavesPerEU: 25
; NumVGPRsForWavesPerEU: 254
; Occupancy: 4
; WaveLimiterHint : 1
; COMPUTE_PGM_RSRC2:SCRATCH_EN: 1
; COMPUTE_PGM_RSRC2:USER_SGPR: 6
; COMPUTE_PGM_RSRC2:TRAP_HANDLER: 0
; COMPUTE_PGM_RSRC2:TGID_X_EN: 1
; COMPUTE_PGM_RSRC2:TGID_Y_EN: 0
; COMPUTE_PGM_RSRC2:TGID_Z_EN: 0
; COMPUTE_PGM_RSRC2:TIDIG_COMP_CNT: 0
	.section	.text._ZN9rocsolver6v33100L18getri_kernel_smallILi46E19rocblas_complex_numIfEPS3_EEvT1_iilPiilS6_bb,"axG",@progbits,_ZN9rocsolver6v33100L18getri_kernel_smallILi46E19rocblas_complex_numIfEPS3_EEvT1_iilPiilS6_bb,comdat
	.globl	_ZN9rocsolver6v33100L18getri_kernel_smallILi46E19rocblas_complex_numIfEPS3_EEvT1_iilPiilS6_bb ; -- Begin function _ZN9rocsolver6v33100L18getri_kernel_smallILi46E19rocblas_complex_numIfEPS3_EEvT1_iilPiilS6_bb
	.p2align	8
	.type	_ZN9rocsolver6v33100L18getri_kernel_smallILi46E19rocblas_complex_numIfEPS3_EEvT1_iilPiilS6_bb,@function
_ZN9rocsolver6v33100L18getri_kernel_smallILi46E19rocblas_complex_numIfEPS3_EEvT1_iilPiilS6_bb: ; @_ZN9rocsolver6v33100L18getri_kernel_smallILi46E19rocblas_complex_numIfEPS3_EEvT1_iilPiilS6_bb
; %bb.0:
	s_add_u32 s0, s0, s7
	s_addc_u32 s1, s1, 0
	s_mov_b32 s7, exec_lo
	v_cmpx_gt_u32_e32 46, v0
	s_cbranch_execz .LBB45_198
; %bb.1:
	s_clause 0x2
	s_load_dword s7, s[4:5], 0x38
	s_load_dwordx4 s[16:19], s[4:5], 0x10
	s_load_dwordx4 s[8:11], s[4:5], 0x28
                                        ; implicit-def: $sgpr20_sgpr21
	s_waitcnt lgkmcnt(0)
	s_bitcmp1_b32 s7, 8
	s_cselect_b32 s22, -1, 0
	s_bfe_u32 s12, s7, 0x10008
	s_ashr_i32 s7, s6, 31
	s_cmp_eq_u32 s12, 0
	s_cbranch_scc1 .LBB45_3
; %bb.2:
	s_load_dword s12, s[4:5], 0x20
	s_mul_i32 s13, s8, s7
	s_mul_hi_u32 s14, s8, s6
	s_mul_i32 s9, s9, s6
	s_add_i32 s13, s14, s13
	s_mul_i32 s8, s8, s6
	s_add_i32 s9, s13, s9
	s_lshl_b64 s[8:9], s[8:9], 2
	s_waitcnt lgkmcnt(0)
	s_ashr_i32 s13, s12, 31
	s_add_u32 s14, s18, s8
	s_addc_u32 s15, s19, s9
	s_lshl_b64 s[8:9], s[12:13], 2
	s_add_u32 s20, s14, s8
	s_addc_u32 s21, s15, s9
.LBB45_3:
	s_clause 0x1
	s_load_dwordx4 s[12:15], s[4:5], 0x0
	s_load_dword s8, s[4:5], 0x38
	s_mul_i32 s4, s16, s7
	s_mul_hi_u32 s5, s16, s6
	s_mul_i32 s9, s17, s6
	s_add_i32 s5, s5, s4
	s_mul_i32 s4, s16, s6
	s_add_i32 s5, s5, s9
	s_lshl_b64 s[4:5], s[4:5], 3
	s_waitcnt lgkmcnt(0)
	v_add3_u32 v1, s15, s15, v0
	s_ashr_i32 s17, s14, 31
	s_mov_b32 s16, s14
	s_add_u32 s9, s12, s4
	s_addc_u32 s12, s13, s5
	v_add_nc_u32_e32 v3, s15, v1
	v_ashrrev_i32_e32 v2, 31, v1
	s_lshl_b64 s[4:5], s[16:17], 3
	s_add_u32 s4, s9, s4
	v_add_nc_u32_e32 v5, s15, v3
	v_ashrrev_i32_e32 v4, 31, v3
	v_lshlrev_b64 v[1:2], 3, v[1:2]
	s_addc_u32 s5, s12, s5
	s_mov_b32 s12, s15
	v_ashrrev_i32_e32 v6, 31, v5
	v_add_nc_u32_e32 v7, s15, v5
	v_lshlrev_b64 v[3:4], 3, v[3:4]
	v_add_co_u32 v9, vcc_lo, s4, v1
	v_add_co_ci_u32_e64 v10, null, s5, v2, vcc_lo
	v_lshlrev_b64 v[1:2], 3, v[5:6]
	v_ashrrev_i32_e32 v8, 31, v7
	v_add_nc_u32_e32 v5, s15, v7
	v_add_co_u32 v11, vcc_lo, s4, v3
	v_add_co_ci_u32_e64 v12, null, s5, v4, vcc_lo
	v_lshlrev_b64 v[3:4], 3, v[7:8]
	v_ashrrev_i32_e32 v6, 31, v5
	v_add_nc_u32_e32 v7, s15, v5
	;; [unrolled: 5-line block ×31, first 2 shown]
	v_add_co_u32 v71, vcc_lo, s4, v3
	v_add_co_ci_u32_e64 v72, null, s5, v4, vcc_lo
	v_lshlrev_b64 v[3:4], 3, v[7:8]
	v_add_nc_u32_e32 v7, s15, v5
	v_ashrrev_i32_e32 v6, 31, v5
	v_add_co_u32 v73, vcc_lo, s4, v1
	v_add_co_ci_u32_e64 v74, null, s5, v2, vcc_lo
	v_ashrrev_i32_e32 v8, 31, v7
	v_lshlrev_b64 v[1:2], 3, v[5:6]
	v_add_nc_u32_e32 v5, s15, v7
	v_add_co_u32 v75, vcc_lo, s4, v3
	v_add_co_ci_u32_e64 v76, null, s5, v4, vcc_lo
	v_lshlrev_b64 v[3:4], 3, v[7:8]
	v_ashrrev_i32_e32 v6, 31, v5
	v_add_co_u32 v77, vcc_lo, s4, v1
	v_add_co_ci_u32_e64 v78, null, s5, v2, vcc_lo
	v_add_co_u32 v79, vcc_lo, s4, v3
	v_lshlrev_b64 v[1:2], 3, v[5:6]
	v_add_co_ci_u32_e64 v80, null, s5, v4, vcc_lo
	v_add_nc_u32_e32 v4, s15, v5
	v_lshlrev_b32_e32 v3, 3, v0
	s_ashr_i32 s13, s15, 31
	v_add_co_u32 v81, vcc_lo, s4, v1
	v_add_nc_u32_e32 v1, s15, v4
	v_ashrrev_i32_e32 v5, 31, v4
	v_add_co_ci_u32_e64 v82, null, s5, v2, vcc_lo
	v_add_co_u32 v85, s9, s4, v3
	v_add_nc_u32_e32 v6, s15, v1
	v_ashrrev_i32_e32 v2, 31, v1
	v_lshlrev_b64 v[4:5], 3, v[4:5]
	v_add_co_ci_u32_e64 v86, null, s5, 0, s9
	v_add_nc_u32_e32 v93, s15, v6
	v_ashrrev_i32_e32 v7, 31, v6
	s_lshl_b64 s[12:13], s[12:13], 3
	v_lshlrev_b64 v[1:2], 3, v[1:2]
	v_add_co_u32 v89, vcc_lo, v85, s12
	v_add_nc_u32_e32 v95, s15, v93
	v_ashrrev_i32_e32 v94, 31, v93
	v_lshlrev_b64 v[6:7], 3, v[6:7]
	v_add_co_ci_u32_e64 v90, null, s13, v86, vcc_lo
	v_add_nc_u32_e32 v97, s15, v95
	v_ashrrev_i32_e32 v96, 31, v95
	v_add_co_u32 v83, vcc_lo, s4, v4
	v_lshlrev_b64 v[93:94], 3, v[93:94]
	v_add_nc_u32_e32 v99, s15, v97
	v_ashrrev_i32_e32 v98, 31, v97
	v_add_co_ci_u32_e64 v84, null, s5, v5, vcc_lo
	v_add_co_u32 v87, vcc_lo, s4, v1
	v_ashrrev_i32_e32 v100, 31, v99
	v_lshlrev_b64 v[95:96], 3, v[95:96]
	v_add_co_ci_u32_e64 v88, null, s5, v2, vcc_lo
	v_add_co_u32 v91, vcc_lo, s4, v6
	v_lshlrev_b64 v[97:98], 3, v[97:98]
	v_add_co_ci_u32_e64 v92, null, s5, v7, vcc_lo
	v_add_co_u32 v93, vcc_lo, s4, v93
	;; [unrolled: 3-line block ×3, first 2 shown]
	v_add_co_ci_u32_e64 v96, null, s5, v96, vcc_lo
	v_add_co_u32 v97, vcc_lo, s4, v97
	v_add_co_ci_u32_e64 v98, null, s5, v98, vcc_lo
	v_add_co_u32 v99, vcc_lo, s4, v99
	v_add_co_ci_u32_e64 v100, null, s5, v100, vcc_lo
	s_clause 0x2d
	global_load_dwordx2 v[101:102], v3, s[4:5]
	global_load_dwordx2 v[103:104], v[89:90], off
	global_load_dwordx2 v[105:106], v[9:10], off
	;; [unrolled: 1-line block ×45, first 2 shown]
	s_mov_b32 s5, -1
	s_bitcmp0_b32 s8, 0
	s_waitcnt vmcnt(45)
	buffer_store_dword v102, off, s[0:3], 0 offset:4
	buffer_store_dword v101, off, s[0:3], 0
	s_waitcnt vmcnt(44)
	buffer_store_dword v104, off, s[0:3], 0 offset:12
	buffer_store_dword v103, off, s[0:3], 0 offset:8
	s_waitcnt vmcnt(43)
	buffer_store_dword v106, off, s[0:3], 0 offset:20
	buffer_store_dword v105, off, s[0:3], 0 offset:16
	;; [unrolled: 3-line block ×45, first 2 shown]
	s_cbranch_scc1 .LBB45_196
; %bb.4:
	v_cmp_eq_u32_e64 s4, 0, v0
	s_and_saveexec_b32 s5, s4
; %bb.5:
	v_mov_b32_e32 v1, 0
	ds_write_b32 v1, v1 offset:736
; %bb.6:
	s_or_b32 exec_lo, exec_lo, s5
	v_lshl_add_u32 v5, v0, 3, 0
	s_waitcnt lgkmcnt(0)
	s_waitcnt_vscnt null, 0x0
	s_barrier
	buffer_gl0_inv
	s_clause 0x1
	buffer_load_dword v1, v5, s[0:3], 0 offen
	buffer_load_dword v2, v5, s[0:3], 0 offen offset:4
	s_waitcnt vmcnt(1)
	v_cmp_eq_f32_e32 vcc_lo, 0, v1
	s_waitcnt vmcnt(0)
	v_cmp_eq_f32_e64 s5, 0, v2
	s_and_b32 s5, vcc_lo, s5
	s_and_saveexec_b32 s8, s5
	s_cbranch_execz .LBB45_10
; %bb.7:
	v_mov_b32_e32 v1, 0
	s_mov_b32 s9, 0
	ds_read_b32 v2, v1 offset:736
	s_waitcnt lgkmcnt(0)
	v_readfirstlane_b32 s5, v2
	v_add_nc_u32_e32 v2, 1, v0
	s_cmp_eq_u32 s5, 0
	v_cmp_gt_i32_e32 vcc_lo, s5, v2
	s_cselect_b32 s12, -1, 0
	s_or_b32 s12, s12, vcc_lo
	s_and_b32 exec_lo, exec_lo, s12
	s_cbranch_execz .LBB45_10
; %bb.8:
	v_mov_b32_e32 v4, s5
.LBB45_9:                               ; =>This Inner Loop Header: Depth=1
	ds_cmpst_rtn_b32 v4, v1, v4, v2 offset:736
	s_waitcnt lgkmcnt(0)
	v_cmp_ne_u32_e32 vcc_lo, 0, v4
	v_cmp_le_i32_e64 s5, v4, v2
	s_and_b32 s5, vcc_lo, s5
	s_and_b32 s5, exec_lo, s5
	s_or_b32 s9, s5, s9
	s_andn2_b32 exec_lo, exec_lo, s9
	s_cbranch_execnz .LBB45_9
.LBB45_10:
	s_or_b32 exec_lo, exec_lo, s8
	v_mov_b32_e32 v1, 0
	s_barrier
	buffer_gl0_inv
	ds_read_b32 v2, v1 offset:736
	s_and_saveexec_b32 s5, s4
	s_cbranch_execz .LBB45_12
; %bb.11:
	s_lshl_b64 s[8:9], s[6:7], 2
	s_add_u32 s8, s10, s8
	s_addc_u32 s9, s11, s9
	s_waitcnt lgkmcnt(0)
	global_store_dword v1, v2, s[8:9]
.LBB45_12:
	s_or_b32 exec_lo, exec_lo, s5
	s_waitcnt lgkmcnt(0)
	v_cmp_ne_u32_e32 vcc_lo, 0, v2
	s_mov_b32 s5, 0
	s_cbranch_vccnz .LBB45_196
; %bb.13:
	s_clause 0x1
	buffer_load_dword v2, v5, s[0:3], 0 offen
	buffer_load_dword v4, v5, s[0:3], 0 offen offset:4
                                        ; implicit-def: $vgpr7
                                        ; implicit-def: $vgpr6
                                        ; implicit-def: $vgpr1
	s_waitcnt vmcnt(0)
	v_cmp_ngt_f32_e64 s5, |v2|, |v4|
	s_and_saveexec_b32 s8, s5
	s_xor_b32 s5, exec_lo, s8
	s_cbranch_execz .LBB45_15
; %bb.14:
	v_div_scale_f32 v1, null, v4, v4, v2
	v_div_scale_f32 v8, vcc_lo, v2, v4, v2
	v_rcp_f32_e32 v6, v1
	v_fma_f32 v7, -v1, v6, 1.0
	v_fmac_f32_e32 v6, v7, v6
	v_mul_f32_e32 v7, v8, v6
	v_fma_f32 v101, -v1, v7, v8
	v_fmac_f32_e32 v7, v101, v6
	v_fma_f32 v1, -v1, v7, v8
	v_div_fmas_f32 v1, v1, v6, v7
	v_div_fixup_f32 v1, v1, v4, v2
	v_fmac_f32_e32 v4, v2, v1
	v_div_scale_f32 v2, null, v4, v4, 1.0
	v_rcp_f32_e32 v6, v2
	v_fma_f32 v7, -v2, v6, 1.0
	v_fmac_f32_e32 v6, v7, v6
	v_div_scale_f32 v7, vcc_lo, 1.0, v4, 1.0
	v_mul_f32_e32 v8, v7, v6
	v_fma_f32 v101, -v2, v8, v7
	v_fmac_f32_e32 v8, v101, v6
	v_fma_f32 v2, -v2, v8, v7
	v_div_fmas_f32 v2, v2, v6, v8
	v_div_fixup_f32 v2, v2, v4, 1.0
                                        ; implicit-def: $vgpr4
	v_mul_f32_e32 v7, v1, v2
	v_xor_b32_e32 v6, 0x80000000, v2
                                        ; implicit-def: $vgpr2
	v_xor_b32_e32 v1, 0x80000000, v7
.LBB45_15:
	s_andn2_saveexec_b32 s5, s5
	s_cbranch_execz .LBB45_17
; %bb.16:
	v_div_scale_f32 v1, null, v2, v2, v4
	v_div_scale_f32 v8, vcc_lo, v4, v2, v4
	v_rcp_f32_e32 v6, v1
	v_fma_f32 v7, -v1, v6, 1.0
	v_fmac_f32_e32 v6, v7, v6
	v_mul_f32_e32 v7, v8, v6
	v_fma_f32 v101, -v1, v7, v8
	v_fmac_f32_e32 v7, v101, v6
	v_fma_f32 v1, -v1, v7, v8
	v_div_fmas_f32 v1, v1, v6, v7
	v_div_fixup_f32 v6, v1, v2, v4
	v_fmac_f32_e32 v2, v4, v6
	v_div_scale_f32 v1, null, v2, v2, 1.0
	v_div_scale_f32 v8, vcc_lo, 1.0, v2, 1.0
	v_rcp_f32_e32 v4, v1
	v_fma_f32 v7, -v1, v4, 1.0
	v_fmac_f32_e32 v4, v7, v4
	v_mul_f32_e32 v7, v8, v4
	v_fma_f32 v101, -v1, v7, v8
	v_fmac_f32_e32 v7, v101, v4
	v_fma_f32 v1, -v1, v7, v8
	v_div_fmas_f32 v1, v1, v4, v7
	v_div_fixup_f32 v7, v1, v2, 1.0
	v_xor_b32_e32 v1, 0x80000000, v7
	v_mul_f32_e64 v6, v6, -v7
.LBB45_17:
	s_or_b32 exec_lo, exec_lo, s5
	buffer_store_dword v7, v5, s[0:3], 0 offen
	buffer_store_dword v6, v5, s[0:3], 0 offen offset:4
	s_clause 0x1
	buffer_load_dword v8, off, s[0:3], 0 offset:12
	buffer_load_dword v7, off, s[0:3], 0 offset:8
	v_xor_b32_e32 v2, 0x80000000, v6
	v_add_nc_u32_e32 v4, 0x170, v3
	s_waitcnt vmcnt(0)
	ds_write2_b64 v3, v[1:2], v[7:8] offset1:46
	s_waitcnt lgkmcnt(0)
	s_waitcnt_vscnt null, 0x0
	s_barrier
	buffer_gl0_inv
	s_and_saveexec_b32 s5, s4
	s_cbranch_execz .LBB45_19
; %bb.18:
	s_clause 0x1
	buffer_load_dword v8, v5, s[0:3], 0 offen offset:4
	buffer_load_dword v101, v5, s[0:3], 0 offen
	ds_read_b64 v[1:2], v4
	v_mov_b32_e32 v6, 0
	ds_read_b64 v[6:7], v6 offset:8
	s_waitcnt vmcnt(1) lgkmcnt(1)
	v_mul_f32_e32 v102, v1, v8
	v_mul_f32_e32 v8, v2, v8
	s_waitcnt vmcnt(0)
	v_fmac_f32_e32 v102, v2, v101
	v_fma_f32 v1, v1, v101, -v8
	v_add_f32_e32 v2, 0, v102
	v_add_f32_e32 v1, 0, v1
	s_waitcnt lgkmcnt(0)
	v_mul_f32_e32 v8, v2, v7
	v_mul_f32_e32 v7, v1, v7
	v_fma_f32 v1, v1, v6, -v8
	v_fmac_f32_e32 v7, v2, v6
	buffer_store_dword v1, off, s[0:3], 0 offset:8
	buffer_store_dword v7, off, s[0:3], 0 offset:12
.LBB45_19:
	s_or_b32 exec_lo, exec_lo, s5
	s_waitcnt_vscnt null, 0x0
	s_barrier
	buffer_gl0_inv
	s_clause 0x1
	buffer_load_dword v1, off, s[0:3], 0 offset:16
	buffer_load_dword v2, off, s[0:3], 0 offset:20
	s_mov_b32 s5, exec_lo
	s_waitcnt vmcnt(0)
	ds_write_b64 v4, v[1:2]
	s_waitcnt lgkmcnt(0)
	s_barrier
	buffer_gl0_inv
	v_cmpx_gt_u32_e32 2, v0
	s_cbranch_execz .LBB45_23
; %bb.20:
	s_clause 0x1
	buffer_load_dword v6, v5, s[0:3], 0 offen offset:4
	buffer_load_dword v5, v5, s[0:3], 0 offen
	ds_read_b64 v[1:2], v4
	s_waitcnt vmcnt(1) lgkmcnt(0)
	v_mul_f32_e32 v7, v2, v6
	v_mul_f32_e32 v6, v1, v6
	s_waitcnt vmcnt(0)
	v_fma_f32 v1, v1, v5, -v7
	v_fmac_f32_e32 v6, v2, v5
	v_add_f32_e32 v2, 0, v1
	v_add_f32_e32 v1, 0, v6
	s_and_saveexec_b32 s8, s4
	s_cbranch_execz .LBB45_22
; %bb.21:
	s_clause 0x1
	buffer_load_dword v7, off, s[0:3], 0 offset:12
	buffer_load_dword v8, off, s[0:3], 0 offset:8
	v_mov_b32_e32 v5, 0
	ds_read_b64 v[5:6], v5 offset:376
	s_waitcnt vmcnt(1) lgkmcnt(0)
	v_mul_f32_e32 v101, v5, v7
	v_mul_f32_e32 v7, v6, v7
	s_waitcnt vmcnt(0)
	v_fmac_f32_e32 v101, v6, v8
	v_fma_f32 v5, v5, v8, -v7
	v_add_f32_e32 v1, v1, v101
	v_add_f32_e32 v2, v2, v5
.LBB45_22:
	s_or_b32 exec_lo, exec_lo, s8
	v_mov_b32_e32 v5, 0
	ds_read_b64 v[5:6], v5 offset:16
	s_waitcnt lgkmcnt(0)
	v_mul_f32_e32 v7, v1, v6
	v_mul_f32_e32 v6, v2, v6
	v_fma_f32 v2, v2, v5, -v7
	v_fmac_f32_e32 v6, v1, v5
	buffer_store_dword v2, off, s[0:3], 0 offset:16
	buffer_store_dword v6, off, s[0:3], 0 offset:20
.LBB45_23:
	s_or_b32 exec_lo, exec_lo, s5
	s_waitcnt_vscnt null, 0x0
	s_barrier
	buffer_gl0_inv
	s_clause 0x1
	buffer_load_dword v5, off, s[0:3], 0 offset:24
	buffer_load_dword v6, off, s[0:3], 0 offset:28
	v_add_nc_u32_e32 v1, -1, v0
	s_mov_b32 s4, exec_lo
	s_waitcnt vmcnt(0)
	ds_write_b64 v4, v[5:6]
	s_waitcnt lgkmcnt(0)
	s_barrier
	buffer_gl0_inv
	v_cmpx_gt_u32_e32 3, v0
	s_cbranch_execz .LBB45_27
; %bb.24:
	v_add_nc_u32_e32 v5, -1, v0
	v_add_nc_u32_e32 v6, 0x170, v3
	v_mov_b32_e32 v7, v3
	v_mov_b32_e32 v2, 0
	;; [unrolled: 1-line block ×3, first 2 shown]
	s_mov_b32 s5, 0
	.p2align	6
.LBB45_25:                              ; =>This Inner Loop Header: Depth=1
	s_clause 0x1
	buffer_load_dword v103, v7, s[0:3], 0 offen offset:4
	buffer_load_dword v104, v7, s[0:3], 0 offen
	ds_read_b64 v[101:102], v6
	v_add_nc_u32_e32 v5, 1, v5
	v_add_nc_u32_e32 v6, 8, v6
	;; [unrolled: 1-line block ×3, first 2 shown]
	v_cmp_lt_u32_e32 vcc_lo, 1, v5
	s_or_b32 s5, vcc_lo, s5
	s_waitcnt vmcnt(1) lgkmcnt(0)
	v_mul_f32_e32 v105, v102, v103
	v_mul_f32_e32 v103, v101, v103
	s_waitcnt vmcnt(0)
	v_fma_f32 v101, v101, v104, -v105
	v_fmac_f32_e32 v103, v102, v104
	v_add_f32_e32 v8, v8, v101
	v_add_f32_e32 v2, v2, v103
	s_andn2_b32 exec_lo, exec_lo, s5
	s_cbranch_execnz .LBB45_25
; %bb.26:
	s_or_b32 exec_lo, exec_lo, s5
	v_mov_b32_e32 v5, 0
	ds_read_b64 v[5:6], v5 offset:24
	s_waitcnt lgkmcnt(0)
	v_mul_f32_e32 v7, v2, v6
	v_mul_f32_e32 v6, v8, v6
	v_fma_f32 v7, v8, v5, -v7
	v_fmac_f32_e32 v6, v2, v5
	buffer_store_dword v7, off, s[0:3], 0 offset:24
	buffer_store_dword v6, off, s[0:3], 0 offset:28
.LBB45_27:
	s_or_b32 exec_lo, exec_lo, s4
	s_waitcnt_vscnt null, 0x0
	s_barrier
	buffer_gl0_inv
	s_clause 0x1
	buffer_load_dword v5, off, s[0:3], 0 offset:32
	buffer_load_dword v6, off, s[0:3], 0 offset:36
	s_mov_b32 s4, exec_lo
	s_waitcnt vmcnt(0)
	ds_write_b64 v4, v[5:6]
	s_waitcnt lgkmcnt(0)
	s_barrier
	buffer_gl0_inv
	v_cmpx_gt_u32_e32 4, v0
	s_cbranch_execz .LBB45_31
; %bb.28:
	v_add_nc_u32_e32 v5, -1, v0
	v_add_nc_u32_e32 v6, 0x170, v3
	v_mov_b32_e32 v7, v3
	v_mov_b32_e32 v2, 0
	v_mov_b32_e32 v8, 0
	s_mov_b32 s5, 0
	.p2align	6
.LBB45_29:                              ; =>This Inner Loop Header: Depth=1
	s_clause 0x1
	buffer_load_dword v103, v7, s[0:3], 0 offen offset:4
	buffer_load_dword v104, v7, s[0:3], 0 offen
	ds_read_b64 v[101:102], v6
	v_add_nc_u32_e32 v5, 1, v5
	v_add_nc_u32_e32 v6, 8, v6
	;; [unrolled: 1-line block ×3, first 2 shown]
	v_cmp_lt_u32_e32 vcc_lo, 2, v5
	s_or_b32 s5, vcc_lo, s5
	s_waitcnt vmcnt(1) lgkmcnt(0)
	v_mul_f32_e32 v105, v102, v103
	v_mul_f32_e32 v103, v101, v103
	s_waitcnt vmcnt(0)
	v_fma_f32 v101, v101, v104, -v105
	v_fmac_f32_e32 v103, v102, v104
	v_add_f32_e32 v8, v8, v101
	v_add_f32_e32 v2, v2, v103
	s_andn2_b32 exec_lo, exec_lo, s5
	s_cbranch_execnz .LBB45_29
; %bb.30:
	s_or_b32 exec_lo, exec_lo, s5
	v_mov_b32_e32 v5, 0
	ds_read_b64 v[5:6], v5 offset:32
	s_waitcnt lgkmcnt(0)
	v_mul_f32_e32 v7, v2, v6
	v_mul_f32_e32 v6, v8, v6
	v_fma_f32 v7, v8, v5, -v7
	v_fmac_f32_e32 v6, v2, v5
	buffer_store_dword v7, off, s[0:3], 0 offset:32
	buffer_store_dword v6, off, s[0:3], 0 offset:36
.LBB45_31:
	s_or_b32 exec_lo, exec_lo, s4
	s_waitcnt_vscnt null, 0x0
	s_barrier
	buffer_gl0_inv
	s_clause 0x1
	buffer_load_dword v5, off, s[0:3], 0 offset:40
	buffer_load_dword v6, off, s[0:3], 0 offset:44
	s_mov_b32 s4, exec_lo
	s_waitcnt vmcnt(0)
	ds_write_b64 v4, v[5:6]
	s_waitcnt lgkmcnt(0)
	s_barrier
	buffer_gl0_inv
	v_cmpx_gt_u32_e32 5, v0
	s_cbranch_execz .LBB45_35
; %bb.32:
	v_add_nc_u32_e32 v5, -1, v0
	v_add_nc_u32_e32 v6, 0x170, v3
	v_mov_b32_e32 v7, v3
	v_mov_b32_e32 v2, 0
	v_mov_b32_e32 v8, 0
	s_mov_b32 s5, 0
	.p2align	6
.LBB45_33:                              ; =>This Inner Loop Header: Depth=1
	s_clause 0x1
	buffer_load_dword v103, v7, s[0:3], 0 offen offset:4
	buffer_load_dword v104, v7, s[0:3], 0 offen
	ds_read_b64 v[101:102], v6
	v_add_nc_u32_e32 v5, 1, v5
	v_add_nc_u32_e32 v6, 8, v6
	;; [unrolled: 1-line block ×3, first 2 shown]
	v_cmp_lt_u32_e32 vcc_lo, 3, v5
	s_or_b32 s5, vcc_lo, s5
	s_waitcnt vmcnt(1) lgkmcnt(0)
	v_mul_f32_e32 v105, v102, v103
	v_mul_f32_e32 v103, v101, v103
	s_waitcnt vmcnt(0)
	v_fma_f32 v101, v101, v104, -v105
	v_fmac_f32_e32 v103, v102, v104
	v_add_f32_e32 v8, v8, v101
	v_add_f32_e32 v2, v2, v103
	s_andn2_b32 exec_lo, exec_lo, s5
	s_cbranch_execnz .LBB45_33
; %bb.34:
	s_or_b32 exec_lo, exec_lo, s5
	v_mov_b32_e32 v5, 0
	ds_read_b64 v[5:6], v5 offset:40
	s_waitcnt lgkmcnt(0)
	v_mul_f32_e32 v7, v2, v6
	v_mul_f32_e32 v6, v8, v6
	v_fma_f32 v7, v8, v5, -v7
	v_fmac_f32_e32 v6, v2, v5
	buffer_store_dword v7, off, s[0:3], 0 offset:40
	buffer_store_dword v6, off, s[0:3], 0 offset:44
.LBB45_35:
	s_or_b32 exec_lo, exec_lo, s4
	s_waitcnt_vscnt null, 0x0
	s_barrier
	buffer_gl0_inv
	s_clause 0x1
	buffer_load_dword v5, off, s[0:3], 0 offset:48
	buffer_load_dword v6, off, s[0:3], 0 offset:52
	s_mov_b32 s4, exec_lo
	s_waitcnt vmcnt(0)
	ds_write_b64 v4, v[5:6]
	s_waitcnt lgkmcnt(0)
	s_barrier
	buffer_gl0_inv
	v_cmpx_gt_u32_e32 6, v0
	s_cbranch_execz .LBB45_39
; %bb.36:
	v_add_nc_u32_e32 v5, -1, v0
	v_add_nc_u32_e32 v6, 0x170, v3
	v_mov_b32_e32 v7, v3
	v_mov_b32_e32 v2, 0
	v_mov_b32_e32 v8, 0
	s_mov_b32 s5, 0
	.p2align	6
.LBB45_37:                              ; =>This Inner Loop Header: Depth=1
	s_clause 0x1
	buffer_load_dword v103, v7, s[0:3], 0 offen offset:4
	buffer_load_dword v104, v7, s[0:3], 0 offen
	ds_read_b64 v[101:102], v6
	v_add_nc_u32_e32 v5, 1, v5
	v_add_nc_u32_e32 v6, 8, v6
	;; [unrolled: 1-line block ×3, first 2 shown]
	v_cmp_lt_u32_e32 vcc_lo, 4, v5
	s_or_b32 s5, vcc_lo, s5
	s_waitcnt vmcnt(1) lgkmcnt(0)
	v_mul_f32_e32 v105, v102, v103
	v_mul_f32_e32 v103, v101, v103
	s_waitcnt vmcnt(0)
	v_fma_f32 v101, v101, v104, -v105
	v_fmac_f32_e32 v103, v102, v104
	v_add_f32_e32 v8, v8, v101
	v_add_f32_e32 v2, v2, v103
	s_andn2_b32 exec_lo, exec_lo, s5
	s_cbranch_execnz .LBB45_37
; %bb.38:
	s_or_b32 exec_lo, exec_lo, s5
	v_mov_b32_e32 v5, 0
	ds_read_b64 v[5:6], v5 offset:48
	s_waitcnt lgkmcnt(0)
	v_mul_f32_e32 v7, v2, v6
	v_mul_f32_e32 v6, v8, v6
	v_fma_f32 v7, v8, v5, -v7
	v_fmac_f32_e32 v6, v2, v5
	buffer_store_dword v7, off, s[0:3], 0 offset:48
	buffer_store_dword v6, off, s[0:3], 0 offset:52
.LBB45_39:
	s_or_b32 exec_lo, exec_lo, s4
	s_waitcnt_vscnt null, 0x0
	s_barrier
	buffer_gl0_inv
	s_clause 0x1
	buffer_load_dword v5, off, s[0:3], 0 offset:56
	buffer_load_dword v6, off, s[0:3], 0 offset:60
	s_mov_b32 s4, exec_lo
	s_waitcnt vmcnt(0)
	ds_write_b64 v4, v[5:6]
	s_waitcnt lgkmcnt(0)
	s_barrier
	buffer_gl0_inv
	v_cmpx_gt_u32_e32 7, v0
	s_cbranch_execz .LBB45_43
; %bb.40:
	v_add_nc_u32_e32 v5, -1, v0
	v_add_nc_u32_e32 v6, 0x170, v3
	v_mov_b32_e32 v7, v3
	v_mov_b32_e32 v2, 0
	;; [unrolled: 1-line block ×3, first 2 shown]
	s_mov_b32 s5, 0
	.p2align	6
.LBB45_41:                              ; =>This Inner Loop Header: Depth=1
	s_clause 0x1
	buffer_load_dword v103, v7, s[0:3], 0 offen offset:4
	buffer_load_dword v104, v7, s[0:3], 0 offen
	ds_read_b64 v[101:102], v6
	v_add_nc_u32_e32 v5, 1, v5
	v_add_nc_u32_e32 v6, 8, v6
	;; [unrolled: 1-line block ×3, first 2 shown]
	v_cmp_lt_u32_e32 vcc_lo, 5, v5
	s_or_b32 s5, vcc_lo, s5
	s_waitcnt vmcnt(1) lgkmcnt(0)
	v_mul_f32_e32 v105, v102, v103
	v_mul_f32_e32 v103, v101, v103
	s_waitcnt vmcnt(0)
	v_fma_f32 v101, v101, v104, -v105
	v_fmac_f32_e32 v103, v102, v104
	v_add_f32_e32 v8, v8, v101
	v_add_f32_e32 v2, v2, v103
	s_andn2_b32 exec_lo, exec_lo, s5
	s_cbranch_execnz .LBB45_41
; %bb.42:
	s_or_b32 exec_lo, exec_lo, s5
	v_mov_b32_e32 v5, 0
	ds_read_b64 v[5:6], v5 offset:56
	s_waitcnt lgkmcnt(0)
	v_mul_f32_e32 v7, v2, v6
	v_mul_f32_e32 v6, v8, v6
	v_fma_f32 v7, v8, v5, -v7
	v_fmac_f32_e32 v6, v2, v5
	buffer_store_dword v7, off, s[0:3], 0 offset:56
	buffer_store_dword v6, off, s[0:3], 0 offset:60
.LBB45_43:
	s_or_b32 exec_lo, exec_lo, s4
	s_waitcnt_vscnt null, 0x0
	s_barrier
	buffer_gl0_inv
	s_clause 0x1
	buffer_load_dword v5, off, s[0:3], 0 offset:64
	buffer_load_dword v6, off, s[0:3], 0 offset:68
	s_mov_b32 s4, exec_lo
	s_waitcnt vmcnt(0)
	ds_write_b64 v4, v[5:6]
	s_waitcnt lgkmcnt(0)
	s_barrier
	buffer_gl0_inv
	v_cmpx_gt_u32_e32 8, v0
	s_cbranch_execz .LBB45_47
; %bb.44:
	v_add_nc_u32_e32 v5, -1, v0
	v_add_nc_u32_e32 v6, 0x170, v3
	v_mov_b32_e32 v7, v3
	v_mov_b32_e32 v2, 0
	;; [unrolled: 1-line block ×3, first 2 shown]
	s_mov_b32 s5, 0
	.p2align	6
.LBB45_45:                              ; =>This Inner Loop Header: Depth=1
	s_clause 0x1
	buffer_load_dword v103, v7, s[0:3], 0 offen offset:4
	buffer_load_dword v104, v7, s[0:3], 0 offen
	ds_read_b64 v[101:102], v6
	v_add_nc_u32_e32 v5, 1, v5
	v_add_nc_u32_e32 v6, 8, v6
	;; [unrolled: 1-line block ×3, first 2 shown]
	v_cmp_lt_u32_e32 vcc_lo, 6, v5
	s_or_b32 s5, vcc_lo, s5
	s_waitcnt vmcnt(1) lgkmcnt(0)
	v_mul_f32_e32 v105, v102, v103
	v_mul_f32_e32 v103, v101, v103
	s_waitcnt vmcnt(0)
	v_fma_f32 v101, v101, v104, -v105
	v_fmac_f32_e32 v103, v102, v104
	v_add_f32_e32 v8, v8, v101
	v_add_f32_e32 v2, v2, v103
	s_andn2_b32 exec_lo, exec_lo, s5
	s_cbranch_execnz .LBB45_45
; %bb.46:
	s_or_b32 exec_lo, exec_lo, s5
	v_mov_b32_e32 v5, 0
	ds_read_b64 v[5:6], v5 offset:64
	s_waitcnt lgkmcnt(0)
	v_mul_f32_e32 v7, v2, v6
	v_mul_f32_e32 v6, v8, v6
	v_fma_f32 v7, v8, v5, -v7
	v_fmac_f32_e32 v6, v2, v5
	buffer_store_dword v7, off, s[0:3], 0 offset:64
	buffer_store_dword v6, off, s[0:3], 0 offset:68
.LBB45_47:
	s_or_b32 exec_lo, exec_lo, s4
	s_waitcnt_vscnt null, 0x0
	s_barrier
	buffer_gl0_inv
	s_clause 0x1
	buffer_load_dword v5, off, s[0:3], 0 offset:72
	buffer_load_dword v6, off, s[0:3], 0 offset:76
	s_mov_b32 s4, exec_lo
	s_waitcnt vmcnt(0)
	ds_write_b64 v4, v[5:6]
	s_waitcnt lgkmcnt(0)
	s_barrier
	buffer_gl0_inv
	v_cmpx_gt_u32_e32 9, v0
	s_cbranch_execz .LBB45_51
; %bb.48:
	v_add_nc_u32_e32 v5, -1, v0
	v_add_nc_u32_e32 v6, 0x170, v3
	v_mov_b32_e32 v7, v3
	v_mov_b32_e32 v2, 0
	;; [unrolled: 1-line block ×3, first 2 shown]
	s_mov_b32 s5, 0
	.p2align	6
.LBB45_49:                              ; =>This Inner Loop Header: Depth=1
	s_clause 0x1
	buffer_load_dword v103, v7, s[0:3], 0 offen offset:4
	buffer_load_dword v104, v7, s[0:3], 0 offen
	ds_read_b64 v[101:102], v6
	v_add_nc_u32_e32 v5, 1, v5
	v_add_nc_u32_e32 v6, 8, v6
	;; [unrolled: 1-line block ×3, first 2 shown]
	v_cmp_lt_u32_e32 vcc_lo, 7, v5
	s_or_b32 s5, vcc_lo, s5
	s_waitcnt vmcnt(1) lgkmcnt(0)
	v_mul_f32_e32 v105, v102, v103
	v_mul_f32_e32 v103, v101, v103
	s_waitcnt vmcnt(0)
	v_fma_f32 v101, v101, v104, -v105
	v_fmac_f32_e32 v103, v102, v104
	v_add_f32_e32 v8, v8, v101
	v_add_f32_e32 v2, v2, v103
	s_andn2_b32 exec_lo, exec_lo, s5
	s_cbranch_execnz .LBB45_49
; %bb.50:
	s_or_b32 exec_lo, exec_lo, s5
	v_mov_b32_e32 v5, 0
	ds_read_b64 v[5:6], v5 offset:72
	s_waitcnt lgkmcnt(0)
	v_mul_f32_e32 v7, v2, v6
	v_mul_f32_e32 v6, v8, v6
	v_fma_f32 v7, v8, v5, -v7
	v_fmac_f32_e32 v6, v2, v5
	buffer_store_dword v7, off, s[0:3], 0 offset:72
	buffer_store_dword v6, off, s[0:3], 0 offset:76
.LBB45_51:
	s_or_b32 exec_lo, exec_lo, s4
	s_waitcnt_vscnt null, 0x0
	s_barrier
	buffer_gl0_inv
	s_clause 0x1
	buffer_load_dword v5, off, s[0:3], 0 offset:80
	buffer_load_dword v6, off, s[0:3], 0 offset:84
	s_mov_b32 s4, exec_lo
	s_waitcnt vmcnt(0)
	ds_write_b64 v4, v[5:6]
	s_waitcnt lgkmcnt(0)
	s_barrier
	buffer_gl0_inv
	v_cmpx_gt_u32_e32 10, v0
	s_cbranch_execz .LBB45_55
; %bb.52:
	v_add_nc_u32_e32 v5, -1, v0
	v_add_nc_u32_e32 v6, 0x170, v3
	v_mov_b32_e32 v7, v3
	v_mov_b32_e32 v2, 0
	;; [unrolled: 1-line block ×3, first 2 shown]
	s_mov_b32 s5, 0
	.p2align	6
.LBB45_53:                              ; =>This Inner Loop Header: Depth=1
	s_clause 0x1
	buffer_load_dword v103, v7, s[0:3], 0 offen offset:4
	buffer_load_dword v104, v7, s[0:3], 0 offen
	ds_read_b64 v[101:102], v6
	v_add_nc_u32_e32 v5, 1, v5
	v_add_nc_u32_e32 v6, 8, v6
	;; [unrolled: 1-line block ×3, first 2 shown]
	v_cmp_lt_u32_e32 vcc_lo, 8, v5
	s_or_b32 s5, vcc_lo, s5
	s_waitcnt vmcnt(1) lgkmcnt(0)
	v_mul_f32_e32 v105, v102, v103
	v_mul_f32_e32 v103, v101, v103
	s_waitcnt vmcnt(0)
	v_fma_f32 v101, v101, v104, -v105
	v_fmac_f32_e32 v103, v102, v104
	v_add_f32_e32 v8, v8, v101
	v_add_f32_e32 v2, v2, v103
	s_andn2_b32 exec_lo, exec_lo, s5
	s_cbranch_execnz .LBB45_53
; %bb.54:
	s_or_b32 exec_lo, exec_lo, s5
	v_mov_b32_e32 v5, 0
	ds_read_b64 v[5:6], v5 offset:80
	s_waitcnt lgkmcnt(0)
	v_mul_f32_e32 v7, v2, v6
	v_mul_f32_e32 v6, v8, v6
	v_fma_f32 v7, v8, v5, -v7
	v_fmac_f32_e32 v6, v2, v5
	buffer_store_dword v7, off, s[0:3], 0 offset:80
	buffer_store_dword v6, off, s[0:3], 0 offset:84
.LBB45_55:
	s_or_b32 exec_lo, exec_lo, s4
	s_waitcnt_vscnt null, 0x0
	s_barrier
	buffer_gl0_inv
	s_clause 0x1
	buffer_load_dword v5, off, s[0:3], 0 offset:88
	buffer_load_dword v6, off, s[0:3], 0 offset:92
	s_mov_b32 s4, exec_lo
	s_waitcnt vmcnt(0)
	ds_write_b64 v4, v[5:6]
	s_waitcnt lgkmcnt(0)
	s_barrier
	buffer_gl0_inv
	v_cmpx_gt_u32_e32 11, v0
	s_cbranch_execz .LBB45_59
; %bb.56:
	v_add_nc_u32_e32 v5, -1, v0
	v_add_nc_u32_e32 v6, 0x170, v3
	v_mov_b32_e32 v7, v3
	v_mov_b32_e32 v2, 0
	v_mov_b32_e32 v8, 0
	s_mov_b32 s5, 0
	.p2align	6
.LBB45_57:                              ; =>This Inner Loop Header: Depth=1
	s_clause 0x1
	buffer_load_dword v103, v7, s[0:3], 0 offen offset:4
	buffer_load_dword v104, v7, s[0:3], 0 offen
	ds_read_b64 v[101:102], v6
	v_add_nc_u32_e32 v5, 1, v5
	v_add_nc_u32_e32 v6, 8, v6
	;; [unrolled: 1-line block ×3, first 2 shown]
	v_cmp_lt_u32_e32 vcc_lo, 9, v5
	s_or_b32 s5, vcc_lo, s5
	s_waitcnt vmcnt(1) lgkmcnt(0)
	v_mul_f32_e32 v105, v102, v103
	v_mul_f32_e32 v103, v101, v103
	s_waitcnt vmcnt(0)
	v_fma_f32 v101, v101, v104, -v105
	v_fmac_f32_e32 v103, v102, v104
	v_add_f32_e32 v8, v8, v101
	v_add_f32_e32 v2, v2, v103
	s_andn2_b32 exec_lo, exec_lo, s5
	s_cbranch_execnz .LBB45_57
; %bb.58:
	s_or_b32 exec_lo, exec_lo, s5
	v_mov_b32_e32 v5, 0
	ds_read_b64 v[5:6], v5 offset:88
	s_waitcnt lgkmcnt(0)
	v_mul_f32_e32 v7, v2, v6
	v_mul_f32_e32 v6, v8, v6
	v_fma_f32 v7, v8, v5, -v7
	v_fmac_f32_e32 v6, v2, v5
	buffer_store_dword v7, off, s[0:3], 0 offset:88
	buffer_store_dword v6, off, s[0:3], 0 offset:92
.LBB45_59:
	s_or_b32 exec_lo, exec_lo, s4
	s_waitcnt_vscnt null, 0x0
	s_barrier
	buffer_gl0_inv
	s_clause 0x1
	buffer_load_dword v5, off, s[0:3], 0 offset:96
	buffer_load_dword v6, off, s[0:3], 0 offset:100
	s_mov_b32 s4, exec_lo
	s_waitcnt vmcnt(0)
	ds_write_b64 v4, v[5:6]
	s_waitcnt lgkmcnt(0)
	s_barrier
	buffer_gl0_inv
	v_cmpx_gt_u32_e32 12, v0
	s_cbranch_execz .LBB45_63
; %bb.60:
	v_add_nc_u32_e32 v5, -1, v0
	v_add_nc_u32_e32 v6, 0x170, v3
	v_mov_b32_e32 v7, v3
	v_mov_b32_e32 v2, 0
	;; [unrolled: 1-line block ×3, first 2 shown]
	s_mov_b32 s5, 0
	.p2align	6
.LBB45_61:                              ; =>This Inner Loop Header: Depth=1
	s_clause 0x1
	buffer_load_dword v103, v7, s[0:3], 0 offen offset:4
	buffer_load_dword v104, v7, s[0:3], 0 offen
	ds_read_b64 v[101:102], v6
	v_add_nc_u32_e32 v5, 1, v5
	v_add_nc_u32_e32 v6, 8, v6
	;; [unrolled: 1-line block ×3, first 2 shown]
	v_cmp_lt_u32_e32 vcc_lo, 10, v5
	s_or_b32 s5, vcc_lo, s5
	s_waitcnt vmcnt(1) lgkmcnt(0)
	v_mul_f32_e32 v105, v102, v103
	v_mul_f32_e32 v103, v101, v103
	s_waitcnt vmcnt(0)
	v_fma_f32 v101, v101, v104, -v105
	v_fmac_f32_e32 v103, v102, v104
	v_add_f32_e32 v8, v8, v101
	v_add_f32_e32 v2, v2, v103
	s_andn2_b32 exec_lo, exec_lo, s5
	s_cbranch_execnz .LBB45_61
; %bb.62:
	s_or_b32 exec_lo, exec_lo, s5
	v_mov_b32_e32 v5, 0
	ds_read_b64 v[5:6], v5 offset:96
	s_waitcnt lgkmcnt(0)
	v_mul_f32_e32 v7, v2, v6
	v_mul_f32_e32 v6, v8, v6
	v_fma_f32 v7, v8, v5, -v7
	v_fmac_f32_e32 v6, v2, v5
	buffer_store_dword v7, off, s[0:3], 0 offset:96
	buffer_store_dword v6, off, s[0:3], 0 offset:100
.LBB45_63:
	s_or_b32 exec_lo, exec_lo, s4
	s_waitcnt_vscnt null, 0x0
	s_barrier
	buffer_gl0_inv
	s_clause 0x1
	buffer_load_dword v5, off, s[0:3], 0 offset:104
	buffer_load_dword v6, off, s[0:3], 0 offset:108
	s_mov_b32 s4, exec_lo
	s_waitcnt vmcnt(0)
	ds_write_b64 v4, v[5:6]
	s_waitcnt lgkmcnt(0)
	s_barrier
	buffer_gl0_inv
	v_cmpx_gt_u32_e32 13, v0
	s_cbranch_execz .LBB45_67
; %bb.64:
	v_add_nc_u32_e32 v5, -1, v0
	v_add_nc_u32_e32 v6, 0x170, v3
	v_mov_b32_e32 v7, v3
	v_mov_b32_e32 v2, 0
	;; [unrolled: 1-line block ×3, first 2 shown]
	s_mov_b32 s5, 0
	.p2align	6
.LBB45_65:                              ; =>This Inner Loop Header: Depth=1
	s_clause 0x1
	buffer_load_dword v103, v7, s[0:3], 0 offen offset:4
	buffer_load_dword v104, v7, s[0:3], 0 offen
	ds_read_b64 v[101:102], v6
	v_add_nc_u32_e32 v5, 1, v5
	v_add_nc_u32_e32 v6, 8, v6
	;; [unrolled: 1-line block ×3, first 2 shown]
	v_cmp_lt_u32_e32 vcc_lo, 11, v5
	s_or_b32 s5, vcc_lo, s5
	s_waitcnt vmcnt(1) lgkmcnt(0)
	v_mul_f32_e32 v105, v102, v103
	v_mul_f32_e32 v103, v101, v103
	s_waitcnt vmcnt(0)
	v_fma_f32 v101, v101, v104, -v105
	v_fmac_f32_e32 v103, v102, v104
	v_add_f32_e32 v8, v8, v101
	v_add_f32_e32 v2, v2, v103
	s_andn2_b32 exec_lo, exec_lo, s5
	s_cbranch_execnz .LBB45_65
; %bb.66:
	s_or_b32 exec_lo, exec_lo, s5
	v_mov_b32_e32 v5, 0
	ds_read_b64 v[5:6], v5 offset:104
	s_waitcnt lgkmcnt(0)
	v_mul_f32_e32 v7, v2, v6
	v_mul_f32_e32 v6, v8, v6
	v_fma_f32 v7, v8, v5, -v7
	v_fmac_f32_e32 v6, v2, v5
	buffer_store_dword v7, off, s[0:3], 0 offset:104
	buffer_store_dword v6, off, s[0:3], 0 offset:108
.LBB45_67:
	s_or_b32 exec_lo, exec_lo, s4
	s_waitcnt_vscnt null, 0x0
	s_barrier
	buffer_gl0_inv
	s_clause 0x1
	buffer_load_dword v5, off, s[0:3], 0 offset:112
	buffer_load_dword v6, off, s[0:3], 0 offset:116
	s_mov_b32 s4, exec_lo
	s_waitcnt vmcnt(0)
	ds_write_b64 v4, v[5:6]
	s_waitcnt lgkmcnt(0)
	s_barrier
	buffer_gl0_inv
	v_cmpx_gt_u32_e32 14, v0
	s_cbranch_execz .LBB45_71
; %bb.68:
	v_add_nc_u32_e32 v5, -1, v0
	v_add_nc_u32_e32 v6, 0x170, v3
	v_mov_b32_e32 v7, v3
	v_mov_b32_e32 v2, 0
	;; [unrolled: 1-line block ×3, first 2 shown]
	s_mov_b32 s5, 0
	.p2align	6
.LBB45_69:                              ; =>This Inner Loop Header: Depth=1
	s_clause 0x1
	buffer_load_dword v103, v7, s[0:3], 0 offen offset:4
	buffer_load_dword v104, v7, s[0:3], 0 offen
	ds_read_b64 v[101:102], v6
	v_add_nc_u32_e32 v5, 1, v5
	v_add_nc_u32_e32 v6, 8, v6
	;; [unrolled: 1-line block ×3, first 2 shown]
	v_cmp_lt_u32_e32 vcc_lo, 12, v5
	s_or_b32 s5, vcc_lo, s5
	s_waitcnt vmcnt(1) lgkmcnt(0)
	v_mul_f32_e32 v105, v102, v103
	v_mul_f32_e32 v103, v101, v103
	s_waitcnt vmcnt(0)
	v_fma_f32 v101, v101, v104, -v105
	v_fmac_f32_e32 v103, v102, v104
	v_add_f32_e32 v8, v8, v101
	v_add_f32_e32 v2, v2, v103
	s_andn2_b32 exec_lo, exec_lo, s5
	s_cbranch_execnz .LBB45_69
; %bb.70:
	s_or_b32 exec_lo, exec_lo, s5
	v_mov_b32_e32 v5, 0
	ds_read_b64 v[5:6], v5 offset:112
	s_waitcnt lgkmcnt(0)
	v_mul_f32_e32 v7, v2, v6
	v_mul_f32_e32 v6, v8, v6
	v_fma_f32 v7, v8, v5, -v7
	v_fmac_f32_e32 v6, v2, v5
	buffer_store_dword v7, off, s[0:3], 0 offset:112
	buffer_store_dword v6, off, s[0:3], 0 offset:116
.LBB45_71:
	s_or_b32 exec_lo, exec_lo, s4
	s_waitcnt_vscnt null, 0x0
	s_barrier
	buffer_gl0_inv
	s_clause 0x1
	buffer_load_dword v5, off, s[0:3], 0 offset:120
	buffer_load_dword v6, off, s[0:3], 0 offset:124
	s_mov_b32 s4, exec_lo
	s_waitcnt vmcnt(0)
	ds_write_b64 v4, v[5:6]
	s_waitcnt lgkmcnt(0)
	s_barrier
	buffer_gl0_inv
	v_cmpx_gt_u32_e32 15, v0
	s_cbranch_execz .LBB45_75
; %bb.72:
	v_add_nc_u32_e32 v5, -1, v0
	v_add_nc_u32_e32 v6, 0x170, v3
	v_mov_b32_e32 v7, v3
	v_mov_b32_e32 v2, 0
	;; [unrolled: 1-line block ×3, first 2 shown]
	s_mov_b32 s5, 0
	.p2align	6
.LBB45_73:                              ; =>This Inner Loop Header: Depth=1
	s_clause 0x1
	buffer_load_dword v103, v7, s[0:3], 0 offen offset:4
	buffer_load_dword v104, v7, s[0:3], 0 offen
	ds_read_b64 v[101:102], v6
	v_add_nc_u32_e32 v5, 1, v5
	v_add_nc_u32_e32 v6, 8, v6
	;; [unrolled: 1-line block ×3, first 2 shown]
	v_cmp_lt_u32_e32 vcc_lo, 13, v5
	s_or_b32 s5, vcc_lo, s5
	s_waitcnt vmcnt(1) lgkmcnt(0)
	v_mul_f32_e32 v105, v102, v103
	v_mul_f32_e32 v103, v101, v103
	s_waitcnt vmcnt(0)
	v_fma_f32 v101, v101, v104, -v105
	v_fmac_f32_e32 v103, v102, v104
	v_add_f32_e32 v8, v8, v101
	v_add_f32_e32 v2, v2, v103
	s_andn2_b32 exec_lo, exec_lo, s5
	s_cbranch_execnz .LBB45_73
; %bb.74:
	s_or_b32 exec_lo, exec_lo, s5
	v_mov_b32_e32 v5, 0
	ds_read_b64 v[5:6], v5 offset:120
	s_waitcnt lgkmcnt(0)
	v_mul_f32_e32 v7, v2, v6
	v_mul_f32_e32 v6, v8, v6
	v_fma_f32 v7, v8, v5, -v7
	v_fmac_f32_e32 v6, v2, v5
	buffer_store_dword v7, off, s[0:3], 0 offset:120
	buffer_store_dword v6, off, s[0:3], 0 offset:124
.LBB45_75:
	s_or_b32 exec_lo, exec_lo, s4
	s_waitcnt_vscnt null, 0x0
	s_barrier
	buffer_gl0_inv
	s_clause 0x1
	buffer_load_dword v5, off, s[0:3], 0 offset:128
	buffer_load_dword v6, off, s[0:3], 0 offset:132
	s_mov_b32 s4, exec_lo
	s_waitcnt vmcnt(0)
	ds_write_b64 v4, v[5:6]
	s_waitcnt lgkmcnt(0)
	s_barrier
	buffer_gl0_inv
	v_cmpx_gt_u32_e32 16, v0
	s_cbranch_execz .LBB45_79
; %bb.76:
	v_add_nc_u32_e32 v5, -1, v0
	v_add_nc_u32_e32 v6, 0x170, v3
	v_mov_b32_e32 v7, v3
	v_mov_b32_e32 v2, 0
	;; [unrolled: 1-line block ×3, first 2 shown]
	s_mov_b32 s5, 0
	.p2align	6
.LBB45_77:                              ; =>This Inner Loop Header: Depth=1
	s_clause 0x1
	buffer_load_dword v103, v7, s[0:3], 0 offen offset:4
	buffer_load_dword v104, v7, s[0:3], 0 offen
	ds_read_b64 v[101:102], v6
	v_add_nc_u32_e32 v5, 1, v5
	v_add_nc_u32_e32 v6, 8, v6
	;; [unrolled: 1-line block ×3, first 2 shown]
	v_cmp_lt_u32_e32 vcc_lo, 14, v5
	s_or_b32 s5, vcc_lo, s5
	s_waitcnt vmcnt(1) lgkmcnt(0)
	v_mul_f32_e32 v105, v102, v103
	v_mul_f32_e32 v103, v101, v103
	s_waitcnt vmcnt(0)
	v_fma_f32 v101, v101, v104, -v105
	v_fmac_f32_e32 v103, v102, v104
	v_add_f32_e32 v8, v8, v101
	v_add_f32_e32 v2, v2, v103
	s_andn2_b32 exec_lo, exec_lo, s5
	s_cbranch_execnz .LBB45_77
; %bb.78:
	s_or_b32 exec_lo, exec_lo, s5
	v_mov_b32_e32 v5, 0
	ds_read_b64 v[5:6], v5 offset:128
	s_waitcnt lgkmcnt(0)
	v_mul_f32_e32 v7, v2, v6
	v_mul_f32_e32 v6, v8, v6
	v_fma_f32 v7, v8, v5, -v7
	v_fmac_f32_e32 v6, v2, v5
	buffer_store_dword v7, off, s[0:3], 0 offset:128
	buffer_store_dword v6, off, s[0:3], 0 offset:132
.LBB45_79:
	s_or_b32 exec_lo, exec_lo, s4
	s_waitcnt_vscnt null, 0x0
	s_barrier
	buffer_gl0_inv
	s_clause 0x1
	buffer_load_dword v5, off, s[0:3], 0 offset:136
	buffer_load_dword v6, off, s[0:3], 0 offset:140
	s_mov_b32 s4, exec_lo
	s_waitcnt vmcnt(0)
	ds_write_b64 v4, v[5:6]
	s_waitcnt lgkmcnt(0)
	s_barrier
	buffer_gl0_inv
	v_cmpx_gt_u32_e32 17, v0
	s_cbranch_execz .LBB45_83
; %bb.80:
	v_add_nc_u32_e32 v5, -1, v0
	v_add_nc_u32_e32 v6, 0x170, v3
	v_mov_b32_e32 v7, v3
	v_mov_b32_e32 v2, 0
	v_mov_b32_e32 v8, 0
	s_mov_b32 s5, 0
	.p2align	6
.LBB45_81:                              ; =>This Inner Loop Header: Depth=1
	s_clause 0x1
	buffer_load_dword v103, v7, s[0:3], 0 offen offset:4
	buffer_load_dword v104, v7, s[0:3], 0 offen
	ds_read_b64 v[101:102], v6
	v_add_nc_u32_e32 v5, 1, v5
	v_add_nc_u32_e32 v6, 8, v6
	;; [unrolled: 1-line block ×3, first 2 shown]
	v_cmp_lt_u32_e32 vcc_lo, 15, v5
	s_or_b32 s5, vcc_lo, s5
	s_waitcnt vmcnt(1) lgkmcnt(0)
	v_mul_f32_e32 v105, v102, v103
	v_mul_f32_e32 v103, v101, v103
	s_waitcnt vmcnt(0)
	v_fma_f32 v101, v101, v104, -v105
	v_fmac_f32_e32 v103, v102, v104
	v_add_f32_e32 v8, v8, v101
	v_add_f32_e32 v2, v2, v103
	s_andn2_b32 exec_lo, exec_lo, s5
	s_cbranch_execnz .LBB45_81
; %bb.82:
	s_or_b32 exec_lo, exec_lo, s5
	v_mov_b32_e32 v5, 0
	ds_read_b64 v[5:6], v5 offset:136
	s_waitcnt lgkmcnt(0)
	v_mul_f32_e32 v7, v2, v6
	v_mul_f32_e32 v6, v8, v6
	v_fma_f32 v7, v8, v5, -v7
	v_fmac_f32_e32 v6, v2, v5
	buffer_store_dword v7, off, s[0:3], 0 offset:136
	buffer_store_dword v6, off, s[0:3], 0 offset:140
.LBB45_83:
	s_or_b32 exec_lo, exec_lo, s4
	s_waitcnt_vscnt null, 0x0
	s_barrier
	buffer_gl0_inv
	s_clause 0x1
	buffer_load_dword v5, off, s[0:3], 0 offset:144
	buffer_load_dword v6, off, s[0:3], 0 offset:148
	s_mov_b32 s4, exec_lo
	s_waitcnt vmcnt(0)
	ds_write_b64 v4, v[5:6]
	s_waitcnt lgkmcnt(0)
	s_barrier
	buffer_gl0_inv
	v_cmpx_gt_u32_e32 18, v0
	s_cbranch_execz .LBB45_87
; %bb.84:
	v_add_nc_u32_e32 v5, -1, v0
	v_add_nc_u32_e32 v6, 0x170, v3
	v_mov_b32_e32 v7, v3
	v_mov_b32_e32 v2, 0
	;; [unrolled: 1-line block ×3, first 2 shown]
	s_mov_b32 s5, 0
	.p2align	6
.LBB45_85:                              ; =>This Inner Loop Header: Depth=1
	s_clause 0x1
	buffer_load_dword v103, v7, s[0:3], 0 offen offset:4
	buffer_load_dword v104, v7, s[0:3], 0 offen
	ds_read_b64 v[101:102], v6
	v_add_nc_u32_e32 v5, 1, v5
	v_add_nc_u32_e32 v6, 8, v6
	;; [unrolled: 1-line block ×3, first 2 shown]
	v_cmp_lt_u32_e32 vcc_lo, 16, v5
	s_or_b32 s5, vcc_lo, s5
	s_waitcnt vmcnt(1) lgkmcnt(0)
	v_mul_f32_e32 v105, v102, v103
	v_mul_f32_e32 v103, v101, v103
	s_waitcnt vmcnt(0)
	v_fma_f32 v101, v101, v104, -v105
	v_fmac_f32_e32 v103, v102, v104
	v_add_f32_e32 v8, v8, v101
	v_add_f32_e32 v2, v2, v103
	s_andn2_b32 exec_lo, exec_lo, s5
	s_cbranch_execnz .LBB45_85
; %bb.86:
	s_or_b32 exec_lo, exec_lo, s5
	v_mov_b32_e32 v5, 0
	ds_read_b64 v[5:6], v5 offset:144
	s_waitcnt lgkmcnt(0)
	v_mul_f32_e32 v7, v2, v6
	v_mul_f32_e32 v6, v8, v6
	v_fma_f32 v7, v8, v5, -v7
	v_fmac_f32_e32 v6, v2, v5
	buffer_store_dword v7, off, s[0:3], 0 offset:144
	buffer_store_dword v6, off, s[0:3], 0 offset:148
.LBB45_87:
	s_or_b32 exec_lo, exec_lo, s4
	s_waitcnt_vscnt null, 0x0
	s_barrier
	buffer_gl0_inv
	s_clause 0x1
	buffer_load_dword v5, off, s[0:3], 0 offset:152
	buffer_load_dword v6, off, s[0:3], 0 offset:156
	s_mov_b32 s4, exec_lo
	s_waitcnt vmcnt(0)
	ds_write_b64 v4, v[5:6]
	s_waitcnt lgkmcnt(0)
	s_barrier
	buffer_gl0_inv
	v_cmpx_gt_u32_e32 19, v0
	s_cbranch_execz .LBB45_91
; %bb.88:
	v_add_nc_u32_e32 v5, -1, v0
	v_add_nc_u32_e32 v6, 0x170, v3
	v_mov_b32_e32 v7, v3
	v_mov_b32_e32 v2, 0
	;; [unrolled: 1-line block ×3, first 2 shown]
	s_mov_b32 s5, 0
	.p2align	6
.LBB45_89:                              ; =>This Inner Loop Header: Depth=1
	s_clause 0x1
	buffer_load_dword v103, v7, s[0:3], 0 offen offset:4
	buffer_load_dword v104, v7, s[0:3], 0 offen
	ds_read_b64 v[101:102], v6
	v_add_nc_u32_e32 v5, 1, v5
	v_add_nc_u32_e32 v6, 8, v6
	;; [unrolled: 1-line block ×3, first 2 shown]
	v_cmp_lt_u32_e32 vcc_lo, 17, v5
	s_or_b32 s5, vcc_lo, s5
	s_waitcnt vmcnt(1) lgkmcnt(0)
	v_mul_f32_e32 v105, v102, v103
	v_mul_f32_e32 v103, v101, v103
	s_waitcnt vmcnt(0)
	v_fma_f32 v101, v101, v104, -v105
	v_fmac_f32_e32 v103, v102, v104
	v_add_f32_e32 v8, v8, v101
	v_add_f32_e32 v2, v2, v103
	s_andn2_b32 exec_lo, exec_lo, s5
	s_cbranch_execnz .LBB45_89
; %bb.90:
	s_or_b32 exec_lo, exec_lo, s5
	v_mov_b32_e32 v5, 0
	ds_read_b64 v[5:6], v5 offset:152
	s_waitcnt lgkmcnt(0)
	v_mul_f32_e32 v7, v2, v6
	v_mul_f32_e32 v6, v8, v6
	v_fma_f32 v7, v8, v5, -v7
	v_fmac_f32_e32 v6, v2, v5
	buffer_store_dword v7, off, s[0:3], 0 offset:152
	buffer_store_dword v6, off, s[0:3], 0 offset:156
.LBB45_91:
	s_or_b32 exec_lo, exec_lo, s4
	s_waitcnt_vscnt null, 0x0
	s_barrier
	buffer_gl0_inv
	s_clause 0x1
	buffer_load_dword v5, off, s[0:3], 0 offset:160
	buffer_load_dword v6, off, s[0:3], 0 offset:164
	s_mov_b32 s4, exec_lo
	s_waitcnt vmcnt(0)
	ds_write_b64 v4, v[5:6]
	s_waitcnt lgkmcnt(0)
	s_barrier
	buffer_gl0_inv
	v_cmpx_gt_u32_e32 20, v0
	s_cbranch_execz .LBB45_95
; %bb.92:
	v_add_nc_u32_e32 v5, -1, v0
	v_add_nc_u32_e32 v6, 0x170, v3
	v_mov_b32_e32 v7, v3
	v_mov_b32_e32 v2, 0
	;; [unrolled: 1-line block ×3, first 2 shown]
	s_mov_b32 s5, 0
	.p2align	6
.LBB45_93:                              ; =>This Inner Loop Header: Depth=1
	s_clause 0x1
	buffer_load_dword v103, v7, s[0:3], 0 offen offset:4
	buffer_load_dword v104, v7, s[0:3], 0 offen
	ds_read_b64 v[101:102], v6
	v_add_nc_u32_e32 v5, 1, v5
	v_add_nc_u32_e32 v6, 8, v6
	;; [unrolled: 1-line block ×3, first 2 shown]
	v_cmp_lt_u32_e32 vcc_lo, 18, v5
	s_or_b32 s5, vcc_lo, s5
	s_waitcnt vmcnt(1) lgkmcnt(0)
	v_mul_f32_e32 v105, v102, v103
	v_mul_f32_e32 v103, v101, v103
	s_waitcnt vmcnt(0)
	v_fma_f32 v101, v101, v104, -v105
	v_fmac_f32_e32 v103, v102, v104
	v_add_f32_e32 v8, v8, v101
	v_add_f32_e32 v2, v2, v103
	s_andn2_b32 exec_lo, exec_lo, s5
	s_cbranch_execnz .LBB45_93
; %bb.94:
	s_or_b32 exec_lo, exec_lo, s5
	v_mov_b32_e32 v5, 0
	ds_read_b64 v[5:6], v5 offset:160
	s_waitcnt lgkmcnt(0)
	v_mul_f32_e32 v7, v2, v6
	v_mul_f32_e32 v6, v8, v6
	v_fma_f32 v7, v8, v5, -v7
	v_fmac_f32_e32 v6, v2, v5
	buffer_store_dword v7, off, s[0:3], 0 offset:160
	buffer_store_dword v6, off, s[0:3], 0 offset:164
.LBB45_95:
	s_or_b32 exec_lo, exec_lo, s4
	s_waitcnt_vscnt null, 0x0
	s_barrier
	buffer_gl0_inv
	s_clause 0x1
	buffer_load_dword v5, off, s[0:3], 0 offset:168
	buffer_load_dword v6, off, s[0:3], 0 offset:172
	s_mov_b32 s4, exec_lo
	s_waitcnt vmcnt(0)
	ds_write_b64 v4, v[5:6]
	s_waitcnt lgkmcnt(0)
	s_barrier
	buffer_gl0_inv
	v_cmpx_gt_u32_e32 21, v0
	s_cbranch_execz .LBB45_99
; %bb.96:
	v_add_nc_u32_e32 v5, -1, v0
	v_add_nc_u32_e32 v6, 0x170, v3
	v_mov_b32_e32 v7, v3
	v_mov_b32_e32 v2, 0
	;; [unrolled: 1-line block ×3, first 2 shown]
	s_mov_b32 s5, 0
	.p2align	6
.LBB45_97:                              ; =>This Inner Loop Header: Depth=1
	s_clause 0x1
	buffer_load_dword v103, v7, s[0:3], 0 offen offset:4
	buffer_load_dword v104, v7, s[0:3], 0 offen
	ds_read_b64 v[101:102], v6
	v_add_nc_u32_e32 v5, 1, v5
	v_add_nc_u32_e32 v6, 8, v6
	;; [unrolled: 1-line block ×3, first 2 shown]
	v_cmp_lt_u32_e32 vcc_lo, 19, v5
	s_or_b32 s5, vcc_lo, s5
	s_waitcnt vmcnt(1) lgkmcnt(0)
	v_mul_f32_e32 v105, v102, v103
	v_mul_f32_e32 v103, v101, v103
	s_waitcnt vmcnt(0)
	v_fma_f32 v101, v101, v104, -v105
	v_fmac_f32_e32 v103, v102, v104
	v_add_f32_e32 v8, v8, v101
	v_add_f32_e32 v2, v2, v103
	s_andn2_b32 exec_lo, exec_lo, s5
	s_cbranch_execnz .LBB45_97
; %bb.98:
	s_or_b32 exec_lo, exec_lo, s5
	v_mov_b32_e32 v5, 0
	ds_read_b64 v[5:6], v5 offset:168
	s_waitcnt lgkmcnt(0)
	v_mul_f32_e32 v7, v2, v6
	v_mul_f32_e32 v6, v8, v6
	v_fma_f32 v7, v8, v5, -v7
	v_fmac_f32_e32 v6, v2, v5
	buffer_store_dword v7, off, s[0:3], 0 offset:168
	buffer_store_dword v6, off, s[0:3], 0 offset:172
.LBB45_99:
	s_or_b32 exec_lo, exec_lo, s4
	s_waitcnt_vscnt null, 0x0
	s_barrier
	buffer_gl0_inv
	s_clause 0x1
	buffer_load_dword v5, off, s[0:3], 0 offset:176
	buffer_load_dword v6, off, s[0:3], 0 offset:180
	s_mov_b32 s4, exec_lo
	s_waitcnt vmcnt(0)
	ds_write_b64 v4, v[5:6]
	s_waitcnt lgkmcnt(0)
	s_barrier
	buffer_gl0_inv
	v_cmpx_gt_u32_e32 22, v0
	s_cbranch_execz .LBB45_103
; %bb.100:
	v_add_nc_u32_e32 v5, -1, v0
	v_add_nc_u32_e32 v6, 0x170, v3
	v_mov_b32_e32 v7, v3
	v_mov_b32_e32 v2, 0
	;; [unrolled: 1-line block ×3, first 2 shown]
	s_mov_b32 s5, 0
	.p2align	6
.LBB45_101:                             ; =>This Inner Loop Header: Depth=1
	s_clause 0x1
	buffer_load_dword v103, v7, s[0:3], 0 offen offset:4
	buffer_load_dword v104, v7, s[0:3], 0 offen
	ds_read_b64 v[101:102], v6
	v_add_nc_u32_e32 v5, 1, v5
	v_add_nc_u32_e32 v6, 8, v6
	;; [unrolled: 1-line block ×3, first 2 shown]
	v_cmp_lt_u32_e32 vcc_lo, 20, v5
	s_or_b32 s5, vcc_lo, s5
	s_waitcnt vmcnt(1) lgkmcnt(0)
	v_mul_f32_e32 v105, v102, v103
	v_mul_f32_e32 v103, v101, v103
	s_waitcnt vmcnt(0)
	v_fma_f32 v101, v101, v104, -v105
	v_fmac_f32_e32 v103, v102, v104
	v_add_f32_e32 v8, v8, v101
	v_add_f32_e32 v2, v2, v103
	s_andn2_b32 exec_lo, exec_lo, s5
	s_cbranch_execnz .LBB45_101
; %bb.102:
	s_or_b32 exec_lo, exec_lo, s5
	v_mov_b32_e32 v5, 0
	ds_read_b64 v[5:6], v5 offset:176
	s_waitcnt lgkmcnt(0)
	v_mul_f32_e32 v7, v2, v6
	v_mul_f32_e32 v6, v8, v6
	v_fma_f32 v7, v8, v5, -v7
	v_fmac_f32_e32 v6, v2, v5
	buffer_store_dword v7, off, s[0:3], 0 offset:176
	buffer_store_dword v6, off, s[0:3], 0 offset:180
.LBB45_103:
	s_or_b32 exec_lo, exec_lo, s4
	s_waitcnt_vscnt null, 0x0
	s_barrier
	buffer_gl0_inv
	s_clause 0x1
	buffer_load_dword v5, off, s[0:3], 0 offset:184
	buffer_load_dword v6, off, s[0:3], 0 offset:188
	s_mov_b32 s4, exec_lo
	s_waitcnt vmcnt(0)
	ds_write_b64 v4, v[5:6]
	s_waitcnt lgkmcnt(0)
	s_barrier
	buffer_gl0_inv
	v_cmpx_gt_u32_e32 23, v0
	s_cbranch_execz .LBB45_107
; %bb.104:
	v_add_nc_u32_e32 v5, -1, v0
	v_add_nc_u32_e32 v6, 0x170, v3
	v_mov_b32_e32 v7, v3
	v_mov_b32_e32 v2, 0
	;; [unrolled: 1-line block ×3, first 2 shown]
	s_mov_b32 s5, 0
	.p2align	6
.LBB45_105:                             ; =>This Inner Loop Header: Depth=1
	s_clause 0x1
	buffer_load_dword v103, v7, s[0:3], 0 offen offset:4
	buffer_load_dword v104, v7, s[0:3], 0 offen
	ds_read_b64 v[101:102], v6
	v_add_nc_u32_e32 v5, 1, v5
	v_add_nc_u32_e32 v6, 8, v6
	;; [unrolled: 1-line block ×3, first 2 shown]
	v_cmp_lt_u32_e32 vcc_lo, 21, v5
	s_or_b32 s5, vcc_lo, s5
	s_waitcnt vmcnt(1) lgkmcnt(0)
	v_mul_f32_e32 v105, v102, v103
	v_mul_f32_e32 v103, v101, v103
	s_waitcnt vmcnt(0)
	v_fma_f32 v101, v101, v104, -v105
	v_fmac_f32_e32 v103, v102, v104
	v_add_f32_e32 v8, v8, v101
	v_add_f32_e32 v2, v2, v103
	s_andn2_b32 exec_lo, exec_lo, s5
	s_cbranch_execnz .LBB45_105
; %bb.106:
	s_or_b32 exec_lo, exec_lo, s5
	v_mov_b32_e32 v5, 0
	ds_read_b64 v[5:6], v5 offset:184
	s_waitcnt lgkmcnt(0)
	v_mul_f32_e32 v7, v2, v6
	v_mul_f32_e32 v6, v8, v6
	v_fma_f32 v7, v8, v5, -v7
	v_fmac_f32_e32 v6, v2, v5
	buffer_store_dword v7, off, s[0:3], 0 offset:184
	buffer_store_dword v6, off, s[0:3], 0 offset:188
.LBB45_107:
	s_or_b32 exec_lo, exec_lo, s4
	s_waitcnt_vscnt null, 0x0
	s_barrier
	buffer_gl0_inv
	s_clause 0x1
	buffer_load_dword v5, off, s[0:3], 0 offset:192
	buffer_load_dword v6, off, s[0:3], 0 offset:196
	s_mov_b32 s4, exec_lo
	s_waitcnt vmcnt(0)
	ds_write_b64 v4, v[5:6]
	s_waitcnt lgkmcnt(0)
	s_barrier
	buffer_gl0_inv
	v_cmpx_gt_u32_e32 24, v0
	s_cbranch_execz .LBB45_111
; %bb.108:
	v_add_nc_u32_e32 v5, -1, v0
	v_add_nc_u32_e32 v6, 0x170, v3
	v_mov_b32_e32 v7, v3
	v_mov_b32_e32 v2, 0
	;; [unrolled: 1-line block ×3, first 2 shown]
	s_mov_b32 s5, 0
	.p2align	6
.LBB45_109:                             ; =>This Inner Loop Header: Depth=1
	s_clause 0x1
	buffer_load_dword v103, v7, s[0:3], 0 offen offset:4
	buffer_load_dword v104, v7, s[0:3], 0 offen
	ds_read_b64 v[101:102], v6
	v_add_nc_u32_e32 v5, 1, v5
	v_add_nc_u32_e32 v6, 8, v6
	;; [unrolled: 1-line block ×3, first 2 shown]
	v_cmp_lt_u32_e32 vcc_lo, 22, v5
	s_or_b32 s5, vcc_lo, s5
	s_waitcnt vmcnt(1) lgkmcnt(0)
	v_mul_f32_e32 v105, v102, v103
	v_mul_f32_e32 v103, v101, v103
	s_waitcnt vmcnt(0)
	v_fma_f32 v101, v101, v104, -v105
	v_fmac_f32_e32 v103, v102, v104
	v_add_f32_e32 v8, v8, v101
	v_add_f32_e32 v2, v2, v103
	s_andn2_b32 exec_lo, exec_lo, s5
	s_cbranch_execnz .LBB45_109
; %bb.110:
	s_or_b32 exec_lo, exec_lo, s5
	v_mov_b32_e32 v5, 0
	ds_read_b64 v[5:6], v5 offset:192
	s_waitcnt lgkmcnt(0)
	v_mul_f32_e32 v7, v2, v6
	v_mul_f32_e32 v6, v8, v6
	v_fma_f32 v7, v8, v5, -v7
	v_fmac_f32_e32 v6, v2, v5
	buffer_store_dword v7, off, s[0:3], 0 offset:192
	buffer_store_dword v6, off, s[0:3], 0 offset:196
.LBB45_111:
	s_or_b32 exec_lo, exec_lo, s4
	s_waitcnt_vscnt null, 0x0
	s_barrier
	buffer_gl0_inv
	s_clause 0x1
	buffer_load_dword v5, off, s[0:3], 0 offset:200
	buffer_load_dword v6, off, s[0:3], 0 offset:204
	s_mov_b32 s4, exec_lo
	s_waitcnt vmcnt(0)
	ds_write_b64 v4, v[5:6]
	s_waitcnt lgkmcnt(0)
	s_barrier
	buffer_gl0_inv
	v_cmpx_gt_u32_e32 25, v0
	s_cbranch_execz .LBB45_115
; %bb.112:
	v_add_nc_u32_e32 v5, -1, v0
	v_add_nc_u32_e32 v6, 0x170, v3
	v_mov_b32_e32 v7, v3
	v_mov_b32_e32 v2, 0
	;; [unrolled: 1-line block ×3, first 2 shown]
	s_mov_b32 s5, 0
	.p2align	6
.LBB45_113:                             ; =>This Inner Loop Header: Depth=1
	s_clause 0x1
	buffer_load_dword v103, v7, s[0:3], 0 offen offset:4
	buffer_load_dword v104, v7, s[0:3], 0 offen
	ds_read_b64 v[101:102], v6
	v_add_nc_u32_e32 v5, 1, v5
	v_add_nc_u32_e32 v6, 8, v6
	;; [unrolled: 1-line block ×3, first 2 shown]
	v_cmp_lt_u32_e32 vcc_lo, 23, v5
	s_or_b32 s5, vcc_lo, s5
	s_waitcnt vmcnt(1) lgkmcnt(0)
	v_mul_f32_e32 v105, v102, v103
	v_mul_f32_e32 v103, v101, v103
	s_waitcnt vmcnt(0)
	v_fma_f32 v101, v101, v104, -v105
	v_fmac_f32_e32 v103, v102, v104
	v_add_f32_e32 v8, v8, v101
	v_add_f32_e32 v2, v2, v103
	s_andn2_b32 exec_lo, exec_lo, s5
	s_cbranch_execnz .LBB45_113
; %bb.114:
	s_or_b32 exec_lo, exec_lo, s5
	v_mov_b32_e32 v5, 0
	ds_read_b64 v[5:6], v5 offset:200
	s_waitcnt lgkmcnt(0)
	v_mul_f32_e32 v7, v2, v6
	v_mul_f32_e32 v6, v8, v6
	v_fma_f32 v7, v8, v5, -v7
	v_fmac_f32_e32 v6, v2, v5
	buffer_store_dword v7, off, s[0:3], 0 offset:200
	buffer_store_dword v6, off, s[0:3], 0 offset:204
.LBB45_115:
	s_or_b32 exec_lo, exec_lo, s4
	s_waitcnt_vscnt null, 0x0
	s_barrier
	buffer_gl0_inv
	s_clause 0x1
	buffer_load_dword v5, off, s[0:3], 0 offset:208
	buffer_load_dword v6, off, s[0:3], 0 offset:212
	s_mov_b32 s4, exec_lo
	s_waitcnt vmcnt(0)
	ds_write_b64 v4, v[5:6]
	s_waitcnt lgkmcnt(0)
	s_barrier
	buffer_gl0_inv
	v_cmpx_gt_u32_e32 26, v0
	s_cbranch_execz .LBB45_119
; %bb.116:
	v_add_nc_u32_e32 v5, -1, v0
	v_add_nc_u32_e32 v6, 0x170, v3
	v_mov_b32_e32 v7, v3
	v_mov_b32_e32 v2, 0
	;; [unrolled: 1-line block ×3, first 2 shown]
	s_mov_b32 s5, 0
	.p2align	6
.LBB45_117:                             ; =>This Inner Loop Header: Depth=1
	s_clause 0x1
	buffer_load_dword v103, v7, s[0:3], 0 offen offset:4
	buffer_load_dword v104, v7, s[0:3], 0 offen
	ds_read_b64 v[101:102], v6
	v_add_nc_u32_e32 v5, 1, v5
	v_add_nc_u32_e32 v6, 8, v6
	;; [unrolled: 1-line block ×3, first 2 shown]
	v_cmp_lt_u32_e32 vcc_lo, 24, v5
	s_or_b32 s5, vcc_lo, s5
	s_waitcnt vmcnt(1) lgkmcnt(0)
	v_mul_f32_e32 v105, v102, v103
	v_mul_f32_e32 v103, v101, v103
	s_waitcnt vmcnt(0)
	v_fma_f32 v101, v101, v104, -v105
	v_fmac_f32_e32 v103, v102, v104
	v_add_f32_e32 v8, v8, v101
	v_add_f32_e32 v2, v2, v103
	s_andn2_b32 exec_lo, exec_lo, s5
	s_cbranch_execnz .LBB45_117
; %bb.118:
	s_or_b32 exec_lo, exec_lo, s5
	v_mov_b32_e32 v5, 0
	ds_read_b64 v[5:6], v5 offset:208
	s_waitcnt lgkmcnt(0)
	v_mul_f32_e32 v7, v2, v6
	v_mul_f32_e32 v6, v8, v6
	v_fma_f32 v7, v8, v5, -v7
	v_fmac_f32_e32 v6, v2, v5
	buffer_store_dword v7, off, s[0:3], 0 offset:208
	buffer_store_dword v6, off, s[0:3], 0 offset:212
.LBB45_119:
	s_or_b32 exec_lo, exec_lo, s4
	s_waitcnt_vscnt null, 0x0
	s_barrier
	buffer_gl0_inv
	s_clause 0x1
	buffer_load_dword v5, off, s[0:3], 0 offset:216
	buffer_load_dword v6, off, s[0:3], 0 offset:220
	s_mov_b32 s4, exec_lo
	s_waitcnt vmcnt(0)
	ds_write_b64 v4, v[5:6]
	s_waitcnt lgkmcnt(0)
	s_barrier
	buffer_gl0_inv
	v_cmpx_gt_u32_e32 27, v0
	s_cbranch_execz .LBB45_123
; %bb.120:
	v_add_nc_u32_e32 v5, -1, v0
	v_add_nc_u32_e32 v6, 0x170, v3
	v_mov_b32_e32 v7, v3
	v_mov_b32_e32 v2, 0
	;; [unrolled: 1-line block ×3, first 2 shown]
	s_mov_b32 s5, 0
	.p2align	6
.LBB45_121:                             ; =>This Inner Loop Header: Depth=1
	s_clause 0x1
	buffer_load_dword v103, v7, s[0:3], 0 offen offset:4
	buffer_load_dword v104, v7, s[0:3], 0 offen
	ds_read_b64 v[101:102], v6
	v_add_nc_u32_e32 v5, 1, v5
	v_add_nc_u32_e32 v6, 8, v6
	;; [unrolled: 1-line block ×3, first 2 shown]
	v_cmp_lt_u32_e32 vcc_lo, 25, v5
	s_or_b32 s5, vcc_lo, s5
	s_waitcnt vmcnt(1) lgkmcnt(0)
	v_mul_f32_e32 v105, v102, v103
	v_mul_f32_e32 v103, v101, v103
	s_waitcnt vmcnt(0)
	v_fma_f32 v101, v101, v104, -v105
	v_fmac_f32_e32 v103, v102, v104
	v_add_f32_e32 v8, v8, v101
	v_add_f32_e32 v2, v2, v103
	s_andn2_b32 exec_lo, exec_lo, s5
	s_cbranch_execnz .LBB45_121
; %bb.122:
	s_or_b32 exec_lo, exec_lo, s5
	v_mov_b32_e32 v5, 0
	ds_read_b64 v[5:6], v5 offset:216
	s_waitcnt lgkmcnt(0)
	v_mul_f32_e32 v7, v2, v6
	v_mul_f32_e32 v6, v8, v6
	v_fma_f32 v7, v8, v5, -v7
	v_fmac_f32_e32 v6, v2, v5
	buffer_store_dword v7, off, s[0:3], 0 offset:216
	buffer_store_dword v6, off, s[0:3], 0 offset:220
.LBB45_123:
	s_or_b32 exec_lo, exec_lo, s4
	s_waitcnt_vscnt null, 0x0
	s_barrier
	buffer_gl0_inv
	s_clause 0x1
	buffer_load_dword v5, off, s[0:3], 0 offset:224
	buffer_load_dword v6, off, s[0:3], 0 offset:228
	s_mov_b32 s4, exec_lo
	s_waitcnt vmcnt(0)
	ds_write_b64 v4, v[5:6]
	s_waitcnt lgkmcnt(0)
	s_barrier
	buffer_gl0_inv
	v_cmpx_gt_u32_e32 28, v0
	s_cbranch_execz .LBB45_127
; %bb.124:
	v_add_nc_u32_e32 v5, -1, v0
	v_add_nc_u32_e32 v6, 0x170, v3
	v_mov_b32_e32 v7, v3
	v_mov_b32_e32 v2, 0
	;; [unrolled: 1-line block ×3, first 2 shown]
	s_mov_b32 s5, 0
	.p2align	6
.LBB45_125:                             ; =>This Inner Loop Header: Depth=1
	s_clause 0x1
	buffer_load_dword v103, v7, s[0:3], 0 offen offset:4
	buffer_load_dword v104, v7, s[0:3], 0 offen
	ds_read_b64 v[101:102], v6
	v_add_nc_u32_e32 v5, 1, v5
	v_add_nc_u32_e32 v6, 8, v6
	;; [unrolled: 1-line block ×3, first 2 shown]
	v_cmp_lt_u32_e32 vcc_lo, 26, v5
	s_or_b32 s5, vcc_lo, s5
	s_waitcnt vmcnt(1) lgkmcnt(0)
	v_mul_f32_e32 v105, v102, v103
	v_mul_f32_e32 v103, v101, v103
	s_waitcnt vmcnt(0)
	v_fma_f32 v101, v101, v104, -v105
	v_fmac_f32_e32 v103, v102, v104
	v_add_f32_e32 v8, v8, v101
	v_add_f32_e32 v2, v2, v103
	s_andn2_b32 exec_lo, exec_lo, s5
	s_cbranch_execnz .LBB45_125
; %bb.126:
	s_or_b32 exec_lo, exec_lo, s5
	v_mov_b32_e32 v5, 0
	ds_read_b64 v[5:6], v5 offset:224
	s_waitcnt lgkmcnt(0)
	v_mul_f32_e32 v7, v2, v6
	v_mul_f32_e32 v6, v8, v6
	v_fma_f32 v7, v8, v5, -v7
	v_fmac_f32_e32 v6, v2, v5
	buffer_store_dword v7, off, s[0:3], 0 offset:224
	buffer_store_dword v6, off, s[0:3], 0 offset:228
.LBB45_127:
	s_or_b32 exec_lo, exec_lo, s4
	s_waitcnt_vscnt null, 0x0
	s_barrier
	buffer_gl0_inv
	s_clause 0x1
	buffer_load_dword v5, off, s[0:3], 0 offset:232
	buffer_load_dword v6, off, s[0:3], 0 offset:236
	s_mov_b32 s4, exec_lo
	s_waitcnt vmcnt(0)
	ds_write_b64 v4, v[5:6]
	s_waitcnt lgkmcnt(0)
	s_barrier
	buffer_gl0_inv
	v_cmpx_gt_u32_e32 29, v0
	s_cbranch_execz .LBB45_131
; %bb.128:
	v_add_nc_u32_e32 v5, -1, v0
	v_add_nc_u32_e32 v6, 0x170, v3
	v_mov_b32_e32 v7, v3
	v_mov_b32_e32 v2, 0
	v_mov_b32_e32 v8, 0
	s_mov_b32 s5, 0
	.p2align	6
.LBB45_129:                             ; =>This Inner Loop Header: Depth=1
	s_clause 0x1
	buffer_load_dword v103, v7, s[0:3], 0 offen offset:4
	buffer_load_dword v104, v7, s[0:3], 0 offen
	ds_read_b64 v[101:102], v6
	v_add_nc_u32_e32 v5, 1, v5
	v_add_nc_u32_e32 v6, 8, v6
	;; [unrolled: 1-line block ×3, first 2 shown]
	v_cmp_lt_u32_e32 vcc_lo, 27, v5
	s_or_b32 s5, vcc_lo, s5
	s_waitcnt vmcnt(1) lgkmcnt(0)
	v_mul_f32_e32 v105, v102, v103
	v_mul_f32_e32 v103, v101, v103
	s_waitcnt vmcnt(0)
	v_fma_f32 v101, v101, v104, -v105
	v_fmac_f32_e32 v103, v102, v104
	v_add_f32_e32 v8, v8, v101
	v_add_f32_e32 v2, v2, v103
	s_andn2_b32 exec_lo, exec_lo, s5
	s_cbranch_execnz .LBB45_129
; %bb.130:
	s_or_b32 exec_lo, exec_lo, s5
	v_mov_b32_e32 v5, 0
	ds_read_b64 v[5:6], v5 offset:232
	s_waitcnt lgkmcnt(0)
	v_mul_f32_e32 v7, v2, v6
	v_mul_f32_e32 v6, v8, v6
	v_fma_f32 v7, v8, v5, -v7
	v_fmac_f32_e32 v6, v2, v5
	buffer_store_dword v7, off, s[0:3], 0 offset:232
	buffer_store_dword v6, off, s[0:3], 0 offset:236
.LBB45_131:
	s_or_b32 exec_lo, exec_lo, s4
	s_waitcnt_vscnt null, 0x0
	s_barrier
	buffer_gl0_inv
	s_clause 0x1
	buffer_load_dword v5, off, s[0:3], 0 offset:240
	buffer_load_dword v6, off, s[0:3], 0 offset:244
	s_mov_b32 s4, exec_lo
	s_waitcnt vmcnt(0)
	ds_write_b64 v4, v[5:6]
	s_waitcnt lgkmcnt(0)
	s_barrier
	buffer_gl0_inv
	v_cmpx_gt_u32_e32 30, v0
	s_cbranch_execz .LBB45_135
; %bb.132:
	v_add_nc_u32_e32 v5, -1, v0
	v_add_nc_u32_e32 v6, 0x170, v3
	v_mov_b32_e32 v7, v3
	v_mov_b32_e32 v2, 0
	;; [unrolled: 1-line block ×3, first 2 shown]
	s_mov_b32 s5, 0
	.p2align	6
.LBB45_133:                             ; =>This Inner Loop Header: Depth=1
	s_clause 0x1
	buffer_load_dword v103, v7, s[0:3], 0 offen offset:4
	buffer_load_dword v104, v7, s[0:3], 0 offen
	ds_read_b64 v[101:102], v6
	v_add_nc_u32_e32 v5, 1, v5
	v_add_nc_u32_e32 v6, 8, v6
	;; [unrolled: 1-line block ×3, first 2 shown]
	v_cmp_lt_u32_e32 vcc_lo, 28, v5
	s_or_b32 s5, vcc_lo, s5
	s_waitcnt vmcnt(1) lgkmcnt(0)
	v_mul_f32_e32 v105, v102, v103
	v_mul_f32_e32 v103, v101, v103
	s_waitcnt vmcnt(0)
	v_fma_f32 v101, v101, v104, -v105
	v_fmac_f32_e32 v103, v102, v104
	v_add_f32_e32 v8, v8, v101
	v_add_f32_e32 v2, v2, v103
	s_andn2_b32 exec_lo, exec_lo, s5
	s_cbranch_execnz .LBB45_133
; %bb.134:
	s_or_b32 exec_lo, exec_lo, s5
	v_mov_b32_e32 v5, 0
	ds_read_b64 v[5:6], v5 offset:240
	s_waitcnt lgkmcnt(0)
	v_mul_f32_e32 v7, v2, v6
	v_mul_f32_e32 v6, v8, v6
	v_fma_f32 v7, v8, v5, -v7
	v_fmac_f32_e32 v6, v2, v5
	buffer_store_dword v7, off, s[0:3], 0 offset:240
	buffer_store_dword v6, off, s[0:3], 0 offset:244
.LBB45_135:
	s_or_b32 exec_lo, exec_lo, s4
	s_waitcnt_vscnt null, 0x0
	s_barrier
	buffer_gl0_inv
	s_clause 0x1
	buffer_load_dword v5, off, s[0:3], 0 offset:248
	buffer_load_dword v6, off, s[0:3], 0 offset:252
	s_mov_b32 s4, exec_lo
	s_waitcnt vmcnt(0)
	ds_write_b64 v4, v[5:6]
	s_waitcnt lgkmcnt(0)
	s_barrier
	buffer_gl0_inv
	v_cmpx_gt_u32_e32 31, v0
	s_cbranch_execz .LBB45_139
; %bb.136:
	v_add_nc_u32_e32 v5, -1, v0
	v_add_nc_u32_e32 v6, 0x170, v3
	v_mov_b32_e32 v7, v3
	v_mov_b32_e32 v2, 0
	;; [unrolled: 1-line block ×3, first 2 shown]
	s_mov_b32 s5, 0
	.p2align	6
.LBB45_137:                             ; =>This Inner Loop Header: Depth=1
	s_clause 0x1
	buffer_load_dword v103, v7, s[0:3], 0 offen offset:4
	buffer_load_dword v104, v7, s[0:3], 0 offen
	ds_read_b64 v[101:102], v6
	v_add_nc_u32_e32 v5, 1, v5
	v_add_nc_u32_e32 v6, 8, v6
	;; [unrolled: 1-line block ×3, first 2 shown]
	v_cmp_lt_u32_e32 vcc_lo, 29, v5
	s_or_b32 s5, vcc_lo, s5
	s_waitcnt vmcnt(1) lgkmcnt(0)
	v_mul_f32_e32 v105, v102, v103
	v_mul_f32_e32 v103, v101, v103
	s_waitcnt vmcnt(0)
	v_fma_f32 v101, v101, v104, -v105
	v_fmac_f32_e32 v103, v102, v104
	v_add_f32_e32 v8, v8, v101
	v_add_f32_e32 v2, v2, v103
	s_andn2_b32 exec_lo, exec_lo, s5
	s_cbranch_execnz .LBB45_137
; %bb.138:
	s_or_b32 exec_lo, exec_lo, s5
	v_mov_b32_e32 v5, 0
	ds_read_b64 v[5:6], v5 offset:248
	s_waitcnt lgkmcnt(0)
	v_mul_f32_e32 v7, v2, v6
	v_mul_f32_e32 v6, v8, v6
	v_fma_f32 v7, v8, v5, -v7
	v_fmac_f32_e32 v6, v2, v5
	buffer_store_dword v7, off, s[0:3], 0 offset:248
	buffer_store_dword v6, off, s[0:3], 0 offset:252
.LBB45_139:
	s_or_b32 exec_lo, exec_lo, s4
	s_waitcnt_vscnt null, 0x0
	s_barrier
	buffer_gl0_inv
	s_clause 0x1
	buffer_load_dword v5, off, s[0:3], 0 offset:256
	buffer_load_dword v6, off, s[0:3], 0 offset:260
	s_mov_b32 s4, exec_lo
	s_waitcnt vmcnt(0)
	ds_write_b64 v4, v[5:6]
	s_waitcnt lgkmcnt(0)
	s_barrier
	buffer_gl0_inv
	v_cmpx_gt_u32_e32 32, v0
	s_cbranch_execz .LBB45_143
; %bb.140:
	v_add_nc_u32_e32 v5, -1, v0
	v_add_nc_u32_e32 v6, 0x170, v3
	v_mov_b32_e32 v7, v3
	v_mov_b32_e32 v2, 0
	v_mov_b32_e32 v8, 0
	s_mov_b32 s5, 0
	.p2align	6
.LBB45_141:                             ; =>This Inner Loop Header: Depth=1
	s_clause 0x1
	buffer_load_dword v103, v7, s[0:3], 0 offen offset:4
	buffer_load_dword v104, v7, s[0:3], 0 offen
	ds_read_b64 v[101:102], v6
	v_add_nc_u32_e32 v5, 1, v5
	v_add_nc_u32_e32 v6, 8, v6
	;; [unrolled: 1-line block ×3, first 2 shown]
	v_cmp_lt_u32_e32 vcc_lo, 30, v5
	s_or_b32 s5, vcc_lo, s5
	s_waitcnt vmcnt(1) lgkmcnt(0)
	v_mul_f32_e32 v105, v102, v103
	v_mul_f32_e32 v103, v101, v103
	s_waitcnt vmcnt(0)
	v_fma_f32 v101, v101, v104, -v105
	v_fmac_f32_e32 v103, v102, v104
	v_add_f32_e32 v8, v8, v101
	v_add_f32_e32 v2, v2, v103
	s_andn2_b32 exec_lo, exec_lo, s5
	s_cbranch_execnz .LBB45_141
; %bb.142:
	s_or_b32 exec_lo, exec_lo, s5
	v_mov_b32_e32 v5, 0
	ds_read_b64 v[5:6], v5 offset:256
	s_waitcnt lgkmcnt(0)
	v_mul_f32_e32 v7, v2, v6
	v_mul_f32_e32 v6, v8, v6
	v_fma_f32 v7, v8, v5, -v7
	v_fmac_f32_e32 v6, v2, v5
	buffer_store_dword v7, off, s[0:3], 0 offset:256
	buffer_store_dword v6, off, s[0:3], 0 offset:260
.LBB45_143:
	s_or_b32 exec_lo, exec_lo, s4
	s_waitcnt_vscnt null, 0x0
	s_barrier
	buffer_gl0_inv
	s_clause 0x1
	buffer_load_dword v5, off, s[0:3], 0 offset:264
	buffer_load_dword v6, off, s[0:3], 0 offset:268
	s_mov_b32 s4, exec_lo
	s_waitcnt vmcnt(0)
	ds_write_b64 v4, v[5:6]
	s_waitcnt lgkmcnt(0)
	s_barrier
	buffer_gl0_inv
	v_cmpx_gt_u32_e32 33, v0
	s_cbranch_execz .LBB45_147
; %bb.144:
	v_add_nc_u32_e32 v5, -1, v0
	v_add_nc_u32_e32 v6, 0x170, v3
	v_mov_b32_e32 v7, v3
	v_mov_b32_e32 v2, 0
	;; [unrolled: 1-line block ×3, first 2 shown]
	s_mov_b32 s5, 0
	.p2align	6
.LBB45_145:                             ; =>This Inner Loop Header: Depth=1
	s_clause 0x1
	buffer_load_dword v103, v7, s[0:3], 0 offen offset:4
	buffer_load_dword v104, v7, s[0:3], 0 offen
	ds_read_b64 v[101:102], v6
	v_add_nc_u32_e32 v5, 1, v5
	v_add_nc_u32_e32 v6, 8, v6
	;; [unrolled: 1-line block ×3, first 2 shown]
	v_cmp_lt_u32_e32 vcc_lo, 31, v5
	s_or_b32 s5, vcc_lo, s5
	s_waitcnt vmcnt(1) lgkmcnt(0)
	v_mul_f32_e32 v105, v102, v103
	v_mul_f32_e32 v103, v101, v103
	s_waitcnt vmcnt(0)
	v_fma_f32 v101, v101, v104, -v105
	v_fmac_f32_e32 v103, v102, v104
	v_add_f32_e32 v8, v8, v101
	v_add_f32_e32 v2, v2, v103
	s_andn2_b32 exec_lo, exec_lo, s5
	s_cbranch_execnz .LBB45_145
; %bb.146:
	s_or_b32 exec_lo, exec_lo, s5
	v_mov_b32_e32 v5, 0
	ds_read_b64 v[5:6], v5 offset:264
	s_waitcnt lgkmcnt(0)
	v_mul_f32_e32 v7, v2, v6
	v_mul_f32_e32 v6, v8, v6
	v_fma_f32 v7, v8, v5, -v7
	v_fmac_f32_e32 v6, v2, v5
	buffer_store_dword v7, off, s[0:3], 0 offset:264
	buffer_store_dword v6, off, s[0:3], 0 offset:268
.LBB45_147:
	s_or_b32 exec_lo, exec_lo, s4
	s_waitcnt_vscnt null, 0x0
	s_barrier
	buffer_gl0_inv
	s_clause 0x1
	buffer_load_dword v5, off, s[0:3], 0 offset:272
	buffer_load_dword v6, off, s[0:3], 0 offset:276
	s_mov_b32 s4, exec_lo
	s_waitcnt vmcnt(0)
	ds_write_b64 v4, v[5:6]
	s_waitcnt lgkmcnt(0)
	s_barrier
	buffer_gl0_inv
	v_cmpx_gt_u32_e32 34, v0
	s_cbranch_execz .LBB45_151
; %bb.148:
	v_add_nc_u32_e32 v5, -1, v0
	v_add_nc_u32_e32 v6, 0x170, v3
	v_mov_b32_e32 v7, v3
	v_mov_b32_e32 v2, 0
	;; [unrolled: 1-line block ×3, first 2 shown]
	s_mov_b32 s5, 0
	.p2align	6
.LBB45_149:                             ; =>This Inner Loop Header: Depth=1
	s_clause 0x1
	buffer_load_dword v103, v7, s[0:3], 0 offen offset:4
	buffer_load_dword v104, v7, s[0:3], 0 offen
	ds_read_b64 v[101:102], v6
	v_add_nc_u32_e32 v5, 1, v5
	v_add_nc_u32_e32 v6, 8, v6
	;; [unrolled: 1-line block ×3, first 2 shown]
	v_cmp_lt_u32_e32 vcc_lo, 32, v5
	s_or_b32 s5, vcc_lo, s5
	s_waitcnt vmcnt(1) lgkmcnt(0)
	v_mul_f32_e32 v105, v102, v103
	v_mul_f32_e32 v103, v101, v103
	s_waitcnt vmcnt(0)
	v_fma_f32 v101, v101, v104, -v105
	v_fmac_f32_e32 v103, v102, v104
	v_add_f32_e32 v8, v8, v101
	v_add_f32_e32 v2, v2, v103
	s_andn2_b32 exec_lo, exec_lo, s5
	s_cbranch_execnz .LBB45_149
; %bb.150:
	s_or_b32 exec_lo, exec_lo, s5
	v_mov_b32_e32 v5, 0
	ds_read_b64 v[5:6], v5 offset:272
	s_waitcnt lgkmcnt(0)
	v_mul_f32_e32 v7, v2, v6
	v_mul_f32_e32 v6, v8, v6
	v_fma_f32 v7, v8, v5, -v7
	v_fmac_f32_e32 v6, v2, v5
	buffer_store_dword v7, off, s[0:3], 0 offset:272
	buffer_store_dword v6, off, s[0:3], 0 offset:276
.LBB45_151:
	s_or_b32 exec_lo, exec_lo, s4
	s_waitcnt_vscnt null, 0x0
	s_barrier
	buffer_gl0_inv
	s_clause 0x1
	buffer_load_dword v5, off, s[0:3], 0 offset:280
	buffer_load_dword v6, off, s[0:3], 0 offset:284
	s_mov_b32 s4, exec_lo
	s_waitcnt vmcnt(0)
	ds_write_b64 v4, v[5:6]
	s_waitcnt lgkmcnt(0)
	s_barrier
	buffer_gl0_inv
	v_cmpx_gt_u32_e32 35, v0
	s_cbranch_execz .LBB45_155
; %bb.152:
	v_add_nc_u32_e32 v5, -1, v0
	v_add_nc_u32_e32 v6, 0x170, v3
	v_mov_b32_e32 v7, v3
	v_mov_b32_e32 v2, 0
	;; [unrolled: 1-line block ×3, first 2 shown]
	s_mov_b32 s5, 0
	.p2align	6
.LBB45_153:                             ; =>This Inner Loop Header: Depth=1
	s_clause 0x1
	buffer_load_dword v103, v7, s[0:3], 0 offen offset:4
	buffer_load_dword v104, v7, s[0:3], 0 offen
	ds_read_b64 v[101:102], v6
	v_add_nc_u32_e32 v5, 1, v5
	v_add_nc_u32_e32 v6, 8, v6
	;; [unrolled: 1-line block ×3, first 2 shown]
	v_cmp_lt_u32_e32 vcc_lo, 33, v5
	s_or_b32 s5, vcc_lo, s5
	s_waitcnt vmcnt(1) lgkmcnt(0)
	v_mul_f32_e32 v105, v102, v103
	v_mul_f32_e32 v103, v101, v103
	s_waitcnt vmcnt(0)
	v_fma_f32 v101, v101, v104, -v105
	v_fmac_f32_e32 v103, v102, v104
	v_add_f32_e32 v8, v8, v101
	v_add_f32_e32 v2, v2, v103
	s_andn2_b32 exec_lo, exec_lo, s5
	s_cbranch_execnz .LBB45_153
; %bb.154:
	s_or_b32 exec_lo, exec_lo, s5
	v_mov_b32_e32 v5, 0
	ds_read_b64 v[5:6], v5 offset:280
	s_waitcnt lgkmcnt(0)
	v_mul_f32_e32 v7, v2, v6
	v_mul_f32_e32 v6, v8, v6
	v_fma_f32 v7, v8, v5, -v7
	v_fmac_f32_e32 v6, v2, v5
	buffer_store_dword v7, off, s[0:3], 0 offset:280
	buffer_store_dword v6, off, s[0:3], 0 offset:284
.LBB45_155:
	s_or_b32 exec_lo, exec_lo, s4
	s_waitcnt_vscnt null, 0x0
	s_barrier
	buffer_gl0_inv
	s_clause 0x1
	buffer_load_dword v5, off, s[0:3], 0 offset:288
	buffer_load_dword v6, off, s[0:3], 0 offset:292
	s_mov_b32 s4, exec_lo
	s_waitcnt vmcnt(0)
	ds_write_b64 v4, v[5:6]
	s_waitcnt lgkmcnt(0)
	s_barrier
	buffer_gl0_inv
	v_cmpx_gt_u32_e32 36, v0
	s_cbranch_execz .LBB45_159
; %bb.156:
	v_add_nc_u32_e32 v5, -1, v0
	v_add_nc_u32_e32 v6, 0x170, v3
	v_mov_b32_e32 v7, v3
	v_mov_b32_e32 v2, 0
	;; [unrolled: 1-line block ×3, first 2 shown]
	s_mov_b32 s5, 0
	.p2align	6
.LBB45_157:                             ; =>This Inner Loop Header: Depth=1
	s_clause 0x1
	buffer_load_dword v103, v7, s[0:3], 0 offen offset:4
	buffer_load_dword v104, v7, s[0:3], 0 offen
	ds_read_b64 v[101:102], v6
	v_add_nc_u32_e32 v5, 1, v5
	v_add_nc_u32_e32 v6, 8, v6
	v_add_nc_u32_e32 v7, 8, v7
	v_cmp_lt_u32_e32 vcc_lo, 34, v5
	s_or_b32 s5, vcc_lo, s5
	s_waitcnt vmcnt(1) lgkmcnt(0)
	v_mul_f32_e32 v105, v102, v103
	v_mul_f32_e32 v103, v101, v103
	s_waitcnt vmcnt(0)
	v_fma_f32 v101, v101, v104, -v105
	v_fmac_f32_e32 v103, v102, v104
	v_add_f32_e32 v8, v8, v101
	v_add_f32_e32 v2, v2, v103
	s_andn2_b32 exec_lo, exec_lo, s5
	s_cbranch_execnz .LBB45_157
; %bb.158:
	s_or_b32 exec_lo, exec_lo, s5
	v_mov_b32_e32 v5, 0
	ds_read_b64 v[5:6], v5 offset:288
	s_waitcnt lgkmcnt(0)
	v_mul_f32_e32 v7, v2, v6
	v_mul_f32_e32 v6, v8, v6
	v_fma_f32 v7, v8, v5, -v7
	v_fmac_f32_e32 v6, v2, v5
	buffer_store_dword v7, off, s[0:3], 0 offset:288
	buffer_store_dword v6, off, s[0:3], 0 offset:292
.LBB45_159:
	s_or_b32 exec_lo, exec_lo, s4
	s_waitcnt_vscnt null, 0x0
	s_barrier
	buffer_gl0_inv
	s_clause 0x1
	buffer_load_dword v5, off, s[0:3], 0 offset:296
	buffer_load_dword v6, off, s[0:3], 0 offset:300
	s_mov_b32 s4, exec_lo
	s_waitcnt vmcnt(0)
	ds_write_b64 v4, v[5:6]
	s_waitcnt lgkmcnt(0)
	s_barrier
	buffer_gl0_inv
	v_cmpx_gt_u32_e32 37, v0
	s_cbranch_execz .LBB45_163
; %bb.160:
	v_add_nc_u32_e32 v5, -1, v0
	v_add_nc_u32_e32 v6, 0x170, v3
	v_mov_b32_e32 v7, v3
	v_mov_b32_e32 v2, 0
	;; [unrolled: 1-line block ×3, first 2 shown]
	s_mov_b32 s5, 0
	.p2align	6
.LBB45_161:                             ; =>This Inner Loop Header: Depth=1
	s_clause 0x1
	buffer_load_dword v103, v7, s[0:3], 0 offen offset:4
	buffer_load_dword v104, v7, s[0:3], 0 offen
	ds_read_b64 v[101:102], v6
	v_add_nc_u32_e32 v5, 1, v5
	v_add_nc_u32_e32 v6, 8, v6
	;; [unrolled: 1-line block ×3, first 2 shown]
	v_cmp_lt_u32_e32 vcc_lo, 35, v5
	s_or_b32 s5, vcc_lo, s5
	s_waitcnt vmcnt(1) lgkmcnt(0)
	v_mul_f32_e32 v105, v102, v103
	v_mul_f32_e32 v103, v101, v103
	s_waitcnt vmcnt(0)
	v_fma_f32 v101, v101, v104, -v105
	v_fmac_f32_e32 v103, v102, v104
	v_add_f32_e32 v8, v8, v101
	v_add_f32_e32 v2, v2, v103
	s_andn2_b32 exec_lo, exec_lo, s5
	s_cbranch_execnz .LBB45_161
; %bb.162:
	s_or_b32 exec_lo, exec_lo, s5
	v_mov_b32_e32 v5, 0
	ds_read_b64 v[5:6], v5 offset:296
	s_waitcnt lgkmcnt(0)
	v_mul_f32_e32 v7, v2, v6
	v_mul_f32_e32 v6, v8, v6
	v_fma_f32 v7, v8, v5, -v7
	v_fmac_f32_e32 v6, v2, v5
	buffer_store_dword v7, off, s[0:3], 0 offset:296
	buffer_store_dword v6, off, s[0:3], 0 offset:300
.LBB45_163:
	s_or_b32 exec_lo, exec_lo, s4
	s_waitcnt_vscnt null, 0x0
	s_barrier
	buffer_gl0_inv
	s_clause 0x1
	buffer_load_dword v5, off, s[0:3], 0 offset:304
	buffer_load_dword v6, off, s[0:3], 0 offset:308
	s_mov_b32 s4, exec_lo
	s_waitcnt vmcnt(0)
	ds_write_b64 v4, v[5:6]
	s_waitcnt lgkmcnt(0)
	s_barrier
	buffer_gl0_inv
	v_cmpx_gt_u32_e32 38, v0
	s_cbranch_execz .LBB45_167
; %bb.164:
	v_add_nc_u32_e32 v5, -1, v0
	v_add_nc_u32_e32 v6, 0x170, v3
	v_mov_b32_e32 v7, v3
	v_mov_b32_e32 v2, 0
	;; [unrolled: 1-line block ×3, first 2 shown]
	s_mov_b32 s5, 0
	.p2align	6
.LBB45_165:                             ; =>This Inner Loop Header: Depth=1
	s_clause 0x1
	buffer_load_dword v103, v7, s[0:3], 0 offen offset:4
	buffer_load_dword v104, v7, s[0:3], 0 offen
	ds_read_b64 v[101:102], v6
	v_add_nc_u32_e32 v5, 1, v5
	v_add_nc_u32_e32 v6, 8, v6
	;; [unrolled: 1-line block ×3, first 2 shown]
	v_cmp_lt_u32_e32 vcc_lo, 36, v5
	s_or_b32 s5, vcc_lo, s5
	s_waitcnt vmcnt(1) lgkmcnt(0)
	v_mul_f32_e32 v105, v102, v103
	v_mul_f32_e32 v103, v101, v103
	s_waitcnt vmcnt(0)
	v_fma_f32 v101, v101, v104, -v105
	v_fmac_f32_e32 v103, v102, v104
	v_add_f32_e32 v8, v8, v101
	v_add_f32_e32 v2, v2, v103
	s_andn2_b32 exec_lo, exec_lo, s5
	s_cbranch_execnz .LBB45_165
; %bb.166:
	s_or_b32 exec_lo, exec_lo, s5
	v_mov_b32_e32 v5, 0
	ds_read_b64 v[5:6], v5 offset:304
	s_waitcnt lgkmcnt(0)
	v_mul_f32_e32 v7, v2, v6
	v_mul_f32_e32 v6, v8, v6
	v_fma_f32 v7, v8, v5, -v7
	v_fmac_f32_e32 v6, v2, v5
	buffer_store_dword v7, off, s[0:3], 0 offset:304
	buffer_store_dword v6, off, s[0:3], 0 offset:308
.LBB45_167:
	s_or_b32 exec_lo, exec_lo, s4
	s_waitcnt_vscnt null, 0x0
	s_barrier
	buffer_gl0_inv
	s_clause 0x1
	buffer_load_dword v5, off, s[0:3], 0 offset:312
	buffer_load_dword v6, off, s[0:3], 0 offset:316
	s_mov_b32 s4, exec_lo
	s_waitcnt vmcnt(0)
	ds_write_b64 v4, v[5:6]
	s_waitcnt lgkmcnt(0)
	s_barrier
	buffer_gl0_inv
	v_cmpx_gt_u32_e32 39, v0
	s_cbranch_execz .LBB45_171
; %bb.168:
	v_add_nc_u32_e32 v5, -1, v0
	v_add_nc_u32_e32 v6, 0x170, v3
	v_mov_b32_e32 v7, v3
	v_mov_b32_e32 v2, 0
	;; [unrolled: 1-line block ×3, first 2 shown]
	s_mov_b32 s5, 0
	.p2align	6
.LBB45_169:                             ; =>This Inner Loop Header: Depth=1
	s_clause 0x1
	buffer_load_dword v103, v7, s[0:3], 0 offen offset:4
	buffer_load_dword v104, v7, s[0:3], 0 offen
	ds_read_b64 v[101:102], v6
	v_add_nc_u32_e32 v5, 1, v5
	v_add_nc_u32_e32 v6, 8, v6
	;; [unrolled: 1-line block ×3, first 2 shown]
	v_cmp_lt_u32_e32 vcc_lo, 37, v5
	s_or_b32 s5, vcc_lo, s5
	s_waitcnt vmcnt(1) lgkmcnt(0)
	v_mul_f32_e32 v105, v102, v103
	v_mul_f32_e32 v103, v101, v103
	s_waitcnt vmcnt(0)
	v_fma_f32 v101, v101, v104, -v105
	v_fmac_f32_e32 v103, v102, v104
	v_add_f32_e32 v8, v8, v101
	v_add_f32_e32 v2, v2, v103
	s_andn2_b32 exec_lo, exec_lo, s5
	s_cbranch_execnz .LBB45_169
; %bb.170:
	s_or_b32 exec_lo, exec_lo, s5
	v_mov_b32_e32 v5, 0
	ds_read_b64 v[5:6], v5 offset:312
	s_waitcnt lgkmcnt(0)
	v_mul_f32_e32 v7, v2, v6
	v_mul_f32_e32 v6, v8, v6
	v_fma_f32 v7, v8, v5, -v7
	v_fmac_f32_e32 v6, v2, v5
	buffer_store_dword v7, off, s[0:3], 0 offset:312
	buffer_store_dword v6, off, s[0:3], 0 offset:316
.LBB45_171:
	s_or_b32 exec_lo, exec_lo, s4
	s_waitcnt_vscnt null, 0x0
	s_barrier
	buffer_gl0_inv
	s_clause 0x1
	buffer_load_dword v5, off, s[0:3], 0 offset:320
	buffer_load_dword v6, off, s[0:3], 0 offset:324
	s_mov_b32 s4, exec_lo
	s_waitcnt vmcnt(0)
	ds_write_b64 v4, v[5:6]
	s_waitcnt lgkmcnt(0)
	s_barrier
	buffer_gl0_inv
	v_cmpx_gt_u32_e32 40, v0
	s_cbranch_execz .LBB45_175
; %bb.172:
	v_add_nc_u32_e32 v5, -1, v0
	v_add_nc_u32_e32 v6, 0x170, v3
	v_mov_b32_e32 v7, v3
	v_mov_b32_e32 v2, 0
	;; [unrolled: 1-line block ×3, first 2 shown]
	s_mov_b32 s5, 0
	.p2align	6
.LBB45_173:                             ; =>This Inner Loop Header: Depth=1
	s_clause 0x1
	buffer_load_dword v103, v7, s[0:3], 0 offen offset:4
	buffer_load_dword v104, v7, s[0:3], 0 offen
	ds_read_b64 v[101:102], v6
	v_add_nc_u32_e32 v5, 1, v5
	v_add_nc_u32_e32 v6, 8, v6
	;; [unrolled: 1-line block ×3, first 2 shown]
	v_cmp_lt_u32_e32 vcc_lo, 38, v5
	s_or_b32 s5, vcc_lo, s5
	s_waitcnt vmcnt(1) lgkmcnt(0)
	v_mul_f32_e32 v105, v102, v103
	v_mul_f32_e32 v103, v101, v103
	s_waitcnt vmcnt(0)
	v_fma_f32 v101, v101, v104, -v105
	v_fmac_f32_e32 v103, v102, v104
	v_add_f32_e32 v8, v8, v101
	v_add_f32_e32 v2, v2, v103
	s_andn2_b32 exec_lo, exec_lo, s5
	s_cbranch_execnz .LBB45_173
; %bb.174:
	s_or_b32 exec_lo, exec_lo, s5
	v_mov_b32_e32 v5, 0
	ds_read_b64 v[5:6], v5 offset:320
	s_waitcnt lgkmcnt(0)
	v_mul_f32_e32 v7, v2, v6
	v_mul_f32_e32 v6, v8, v6
	v_fma_f32 v7, v8, v5, -v7
	v_fmac_f32_e32 v6, v2, v5
	buffer_store_dword v7, off, s[0:3], 0 offset:320
	buffer_store_dword v6, off, s[0:3], 0 offset:324
.LBB45_175:
	s_or_b32 exec_lo, exec_lo, s4
	s_waitcnt_vscnt null, 0x0
	s_barrier
	buffer_gl0_inv
	s_clause 0x1
	buffer_load_dword v5, off, s[0:3], 0 offset:328
	buffer_load_dword v6, off, s[0:3], 0 offset:332
	s_mov_b32 s4, exec_lo
	s_waitcnt vmcnt(0)
	ds_write_b64 v4, v[5:6]
	s_waitcnt lgkmcnt(0)
	s_barrier
	buffer_gl0_inv
	v_cmpx_gt_u32_e32 41, v0
	s_cbranch_execz .LBB45_179
; %bb.176:
	v_add_nc_u32_e32 v5, -1, v0
	v_add_nc_u32_e32 v6, 0x170, v3
	v_mov_b32_e32 v7, v3
	v_mov_b32_e32 v2, 0
	v_mov_b32_e32 v8, 0
	s_mov_b32 s5, 0
	.p2align	6
.LBB45_177:                             ; =>This Inner Loop Header: Depth=1
	s_clause 0x1
	buffer_load_dword v103, v7, s[0:3], 0 offen offset:4
	buffer_load_dword v104, v7, s[0:3], 0 offen
	ds_read_b64 v[101:102], v6
	v_add_nc_u32_e32 v5, 1, v5
	v_add_nc_u32_e32 v6, 8, v6
	;; [unrolled: 1-line block ×3, first 2 shown]
	v_cmp_lt_u32_e32 vcc_lo, 39, v5
	s_or_b32 s5, vcc_lo, s5
	s_waitcnt vmcnt(1) lgkmcnt(0)
	v_mul_f32_e32 v105, v102, v103
	v_mul_f32_e32 v103, v101, v103
	s_waitcnt vmcnt(0)
	v_fma_f32 v101, v101, v104, -v105
	v_fmac_f32_e32 v103, v102, v104
	v_add_f32_e32 v8, v8, v101
	v_add_f32_e32 v2, v2, v103
	s_andn2_b32 exec_lo, exec_lo, s5
	s_cbranch_execnz .LBB45_177
; %bb.178:
	s_or_b32 exec_lo, exec_lo, s5
	v_mov_b32_e32 v5, 0
	ds_read_b64 v[5:6], v5 offset:328
	s_waitcnt lgkmcnt(0)
	v_mul_f32_e32 v7, v2, v6
	v_mul_f32_e32 v6, v8, v6
	v_fma_f32 v7, v8, v5, -v7
	v_fmac_f32_e32 v6, v2, v5
	buffer_store_dword v7, off, s[0:3], 0 offset:328
	buffer_store_dword v6, off, s[0:3], 0 offset:332
.LBB45_179:
	s_or_b32 exec_lo, exec_lo, s4
	s_waitcnt_vscnt null, 0x0
	s_barrier
	buffer_gl0_inv
	s_clause 0x1
	buffer_load_dword v5, off, s[0:3], 0 offset:336
	buffer_load_dword v6, off, s[0:3], 0 offset:340
	s_mov_b32 s4, exec_lo
	s_waitcnt vmcnt(0)
	ds_write_b64 v4, v[5:6]
	s_waitcnt lgkmcnt(0)
	s_barrier
	buffer_gl0_inv
	v_cmpx_gt_u32_e32 42, v0
	s_cbranch_execz .LBB45_183
; %bb.180:
	v_add_nc_u32_e32 v5, -1, v0
	v_add_nc_u32_e32 v6, 0x170, v3
	v_mov_b32_e32 v7, v3
	v_mov_b32_e32 v2, 0
	;; [unrolled: 1-line block ×3, first 2 shown]
	s_mov_b32 s5, 0
	.p2align	6
.LBB45_181:                             ; =>This Inner Loop Header: Depth=1
	s_clause 0x1
	buffer_load_dword v103, v7, s[0:3], 0 offen offset:4
	buffer_load_dword v104, v7, s[0:3], 0 offen
	ds_read_b64 v[101:102], v6
	v_add_nc_u32_e32 v5, 1, v5
	v_add_nc_u32_e32 v6, 8, v6
	;; [unrolled: 1-line block ×3, first 2 shown]
	v_cmp_lt_u32_e32 vcc_lo, 40, v5
	s_or_b32 s5, vcc_lo, s5
	s_waitcnt vmcnt(1) lgkmcnt(0)
	v_mul_f32_e32 v105, v102, v103
	v_mul_f32_e32 v103, v101, v103
	s_waitcnt vmcnt(0)
	v_fma_f32 v101, v101, v104, -v105
	v_fmac_f32_e32 v103, v102, v104
	v_add_f32_e32 v8, v8, v101
	v_add_f32_e32 v2, v2, v103
	s_andn2_b32 exec_lo, exec_lo, s5
	s_cbranch_execnz .LBB45_181
; %bb.182:
	s_or_b32 exec_lo, exec_lo, s5
	v_mov_b32_e32 v5, 0
	ds_read_b64 v[5:6], v5 offset:336
	s_waitcnt lgkmcnt(0)
	v_mul_f32_e32 v7, v2, v6
	v_mul_f32_e32 v6, v8, v6
	v_fma_f32 v7, v8, v5, -v7
	v_fmac_f32_e32 v6, v2, v5
	buffer_store_dword v7, off, s[0:3], 0 offset:336
	buffer_store_dword v6, off, s[0:3], 0 offset:340
.LBB45_183:
	s_or_b32 exec_lo, exec_lo, s4
	s_waitcnt_vscnt null, 0x0
	s_barrier
	buffer_gl0_inv
	s_clause 0x1
	buffer_load_dword v5, off, s[0:3], 0 offset:344
	buffer_load_dword v6, off, s[0:3], 0 offset:348
	s_mov_b32 s4, exec_lo
	s_waitcnt vmcnt(0)
	ds_write_b64 v4, v[5:6]
	s_waitcnt lgkmcnt(0)
	s_barrier
	buffer_gl0_inv
	v_cmpx_gt_u32_e32 43, v0
	s_cbranch_execz .LBB45_187
; %bb.184:
	v_add_nc_u32_e32 v5, -1, v0
	v_add_nc_u32_e32 v6, 0x170, v3
	v_mov_b32_e32 v7, v3
	v_mov_b32_e32 v2, 0
	;; [unrolled: 1-line block ×3, first 2 shown]
	s_mov_b32 s5, 0
	.p2align	6
.LBB45_185:                             ; =>This Inner Loop Header: Depth=1
	s_clause 0x1
	buffer_load_dword v103, v7, s[0:3], 0 offen offset:4
	buffer_load_dword v104, v7, s[0:3], 0 offen
	ds_read_b64 v[101:102], v6
	v_add_nc_u32_e32 v5, 1, v5
	v_add_nc_u32_e32 v6, 8, v6
	;; [unrolled: 1-line block ×3, first 2 shown]
	v_cmp_lt_u32_e32 vcc_lo, 41, v5
	s_or_b32 s5, vcc_lo, s5
	s_waitcnt vmcnt(1) lgkmcnt(0)
	v_mul_f32_e32 v105, v102, v103
	v_mul_f32_e32 v103, v101, v103
	s_waitcnt vmcnt(0)
	v_fma_f32 v101, v101, v104, -v105
	v_fmac_f32_e32 v103, v102, v104
	v_add_f32_e32 v8, v8, v101
	v_add_f32_e32 v2, v2, v103
	s_andn2_b32 exec_lo, exec_lo, s5
	s_cbranch_execnz .LBB45_185
; %bb.186:
	s_or_b32 exec_lo, exec_lo, s5
	v_mov_b32_e32 v5, 0
	ds_read_b64 v[5:6], v5 offset:344
	s_waitcnt lgkmcnt(0)
	v_mul_f32_e32 v7, v2, v6
	v_mul_f32_e32 v6, v8, v6
	v_fma_f32 v7, v8, v5, -v7
	v_fmac_f32_e32 v6, v2, v5
	buffer_store_dword v7, off, s[0:3], 0 offset:344
	buffer_store_dword v6, off, s[0:3], 0 offset:348
.LBB45_187:
	s_or_b32 exec_lo, exec_lo, s4
	s_waitcnt_vscnt null, 0x0
	s_barrier
	buffer_gl0_inv
	s_clause 0x1
	buffer_load_dword v5, off, s[0:3], 0 offset:352
	buffer_load_dword v6, off, s[0:3], 0 offset:356
	s_mov_b32 s4, exec_lo
	s_waitcnt vmcnt(0)
	ds_write_b64 v4, v[5:6]
	s_waitcnt lgkmcnt(0)
	s_barrier
	buffer_gl0_inv
	v_cmpx_gt_u32_e32 44, v0
	s_cbranch_execz .LBB45_191
; %bb.188:
	v_add_nc_u32_e32 v5, -1, v0
	v_add_nc_u32_e32 v6, 0x170, v3
	v_mov_b32_e32 v7, v3
	v_mov_b32_e32 v2, 0
	;; [unrolled: 1-line block ×3, first 2 shown]
	s_mov_b32 s5, 0
	.p2align	6
.LBB45_189:                             ; =>This Inner Loop Header: Depth=1
	s_clause 0x1
	buffer_load_dword v103, v7, s[0:3], 0 offen offset:4
	buffer_load_dword v104, v7, s[0:3], 0 offen
	ds_read_b64 v[101:102], v6
	v_add_nc_u32_e32 v5, 1, v5
	v_add_nc_u32_e32 v6, 8, v6
	v_add_nc_u32_e32 v7, 8, v7
	v_cmp_lt_u32_e32 vcc_lo, 42, v5
	s_or_b32 s5, vcc_lo, s5
	s_waitcnt vmcnt(1) lgkmcnt(0)
	v_mul_f32_e32 v105, v102, v103
	v_mul_f32_e32 v103, v101, v103
	s_waitcnt vmcnt(0)
	v_fma_f32 v101, v101, v104, -v105
	v_fmac_f32_e32 v103, v102, v104
	v_add_f32_e32 v8, v8, v101
	v_add_f32_e32 v2, v2, v103
	s_andn2_b32 exec_lo, exec_lo, s5
	s_cbranch_execnz .LBB45_189
; %bb.190:
	s_or_b32 exec_lo, exec_lo, s5
	v_mov_b32_e32 v5, 0
	ds_read_b64 v[5:6], v5 offset:352
	s_waitcnt lgkmcnt(0)
	v_mul_f32_e32 v7, v2, v6
	v_mul_f32_e32 v6, v8, v6
	v_fma_f32 v7, v8, v5, -v7
	v_fmac_f32_e32 v6, v2, v5
	buffer_store_dword v7, off, s[0:3], 0 offset:352
	buffer_store_dword v6, off, s[0:3], 0 offset:356
.LBB45_191:
	s_or_b32 exec_lo, exec_lo, s4
	s_waitcnt_vscnt null, 0x0
	s_barrier
	buffer_gl0_inv
	s_clause 0x1
	buffer_load_dword v5, off, s[0:3], 0 offset:360
	buffer_load_dword v6, off, s[0:3], 0 offset:364
	s_mov_b32 s4, exec_lo
	s_waitcnt vmcnt(0)
	ds_write_b64 v4, v[5:6]
	s_waitcnt lgkmcnt(0)
	s_barrier
	buffer_gl0_inv
	v_cmpx_ne_u32_e32 45, v0
	s_cbranch_execz .LBB45_195
; %bb.192:
	v_mov_b32_e32 v2, 0
	v_mov_b32_e32 v5, 0
	s_mov_b32 s5, 0
	.p2align	6
.LBB45_193:                             ; =>This Inner Loop Header: Depth=1
	s_clause 0x1
	buffer_load_dword v8, v3, s[0:3], 0 offen offset:4
	buffer_load_dword v101, v3, s[0:3], 0 offen
	ds_read_b64 v[6:7], v4
	v_add_nc_u32_e32 v1, 1, v1
	v_add_nc_u32_e32 v4, 8, v4
	;; [unrolled: 1-line block ×3, first 2 shown]
	v_cmp_lt_u32_e32 vcc_lo, 43, v1
	s_or_b32 s5, vcc_lo, s5
	s_waitcnt vmcnt(1) lgkmcnt(0)
	v_mul_f32_e32 v102, v7, v8
	v_mul_f32_e32 v8, v6, v8
	s_waitcnt vmcnt(0)
	v_fma_f32 v6, v6, v101, -v102
	v_fmac_f32_e32 v8, v7, v101
	v_add_f32_e32 v5, v5, v6
	v_add_f32_e32 v2, v2, v8
	s_andn2_b32 exec_lo, exec_lo, s5
	s_cbranch_execnz .LBB45_193
; %bb.194:
	s_or_b32 exec_lo, exec_lo, s5
	v_mov_b32_e32 v1, 0
	ds_read_b64 v[3:4], v1 offset:360
	s_waitcnt lgkmcnt(0)
	v_mul_f32_e32 v1, v2, v4
	v_mul_f32_e32 v4, v5, v4
	v_fma_f32 v1, v5, v3, -v1
	v_fmac_f32_e32 v4, v2, v3
	buffer_store_dword v1, off, s[0:3], 0 offset:360
	buffer_store_dword v4, off, s[0:3], 0 offset:364
.LBB45_195:
	s_or_b32 exec_lo, exec_lo, s4
	s_mov_b32 s5, -1
	s_waitcnt_vscnt null, 0x0
	s_barrier
	buffer_gl0_inv
.LBB45_196:
	s_and_b32 vcc_lo, exec_lo, s5
	s_cbranch_vccz .LBB45_198
; %bb.197:
	s_lshl_b64 s[4:5], s[6:7], 2
	v_mov_b32_e32 v1, 0
	s_add_u32 s4, s10, s4
	s_addc_u32 s5, s11, s5
	global_load_dword v1, v1, s[4:5]
	s_waitcnt vmcnt(0)
	v_cmp_ne_u32_e32 vcc_lo, 0, v1
	s_cbranch_vccz .LBB45_199
.LBB45_198:
	s_endpgm
.LBB45_199:
	v_lshl_add_u32 v101, v0, 3, 0x170
	s_mov_b32 s4, exec_lo
	v_cmpx_eq_u32_e32 45, v0
	s_cbranch_execz .LBB45_201
; %bb.200:
	s_clause 0x1
	buffer_load_dword v1, off, s[0:3], 0 offset:352
	buffer_load_dword v2, off, s[0:3], 0 offset:356
	v_mov_b32_e32 v3, 0
	buffer_store_dword v3, off, s[0:3], 0 offset:352
	buffer_store_dword v3, off, s[0:3], 0 offset:356
	s_waitcnt vmcnt(0)
	ds_write_b64 v101, v[1:2]
.LBB45_201:
	s_or_b32 exec_lo, exec_lo, s4
	s_waitcnt lgkmcnt(0)
	s_waitcnt_vscnt null, 0x0
	s_barrier
	buffer_gl0_inv
	s_clause 0x3
	buffer_load_dword v4, off, s[0:3], 0 offset:364
	buffer_load_dword v5, off, s[0:3], 0 offset:360
	;; [unrolled: 1-line block ×4, first 2 shown]
	v_mov_b32_e32 v1, 0
	s_mov_b32 s4, exec_lo
	ds_read_b64 v[2:3], v1 offset:728
	s_waitcnt vmcnt(3) lgkmcnt(0)
	v_mul_f32_e32 v8, v3, v4
	v_mul_f32_e32 v4, v2, v4
	s_waitcnt vmcnt(2)
	v_fma_f32 v2, v2, v5, -v8
	v_fmac_f32_e32 v4, v3, v5
	v_add_f32_e32 v2, 0, v2
	v_add_f32_e32 v3, 0, v4
	s_waitcnt vmcnt(1)
	v_sub_f32_e32 v2, v6, v2
	s_waitcnt vmcnt(0)
	v_sub_f32_e32 v3, v7, v3
	buffer_store_dword v2, off, s[0:3], 0 offset:352
	buffer_store_dword v3, off, s[0:3], 0 offset:356
	v_cmpx_lt_u32_e32 43, v0
	s_cbranch_execz .LBB45_203
; %bb.202:
	s_clause 0x1
	buffer_load_dword v2, off, s[0:3], 0 offset:344
	buffer_load_dword v3, off, s[0:3], 0 offset:348
	buffer_store_dword v1, off, s[0:3], 0 offset:344
	buffer_store_dword v1, off, s[0:3], 0 offset:348
	s_waitcnt vmcnt(0)
	ds_write_b64 v101, v[2:3]
.LBB45_203:
	s_or_b32 exec_lo, exec_lo, s4
	s_waitcnt lgkmcnt(0)
	s_waitcnt_vscnt null, 0x0
	s_barrier
	buffer_gl0_inv
	s_clause 0x5
	buffer_load_dword v5, off, s[0:3], 0 offset:356
	buffer_load_dword v6, off, s[0:3], 0 offset:364
	;; [unrolled: 1-line block ×6, first 2 shown]
	ds_read_b128 v[1:4], v1 offset:720
	s_mov_b32 s4, exec_lo
	s_waitcnt vmcnt(5) lgkmcnt(0)
	v_mul_f32_e32 v104, v2, v5
	v_mul_f32_e32 v5, v1, v5
	s_waitcnt vmcnt(4)
	v_mul_f32_e32 v105, v3, v6
	v_mul_f32_e32 v6, v4, v6
	s_waitcnt vmcnt(3)
	v_fma_f32 v1, v1, v7, -v104
	v_fmac_f32_e32 v5, v2, v7
	s_waitcnt vmcnt(2)
	v_fmac_f32_e32 v105, v4, v8
	v_fma_f32 v2, v3, v8, -v6
	v_add_f32_e32 v1, 0, v1
	v_add_f32_e32 v3, 0, v5
	v_add_f32_e32 v1, v1, v2
	v_add_f32_e32 v2, v3, v105
	s_waitcnt vmcnt(1)
	v_sub_f32_e32 v1, v102, v1
	s_waitcnt vmcnt(0)
	v_sub_f32_e32 v2, v103, v2
	buffer_store_dword v1, off, s[0:3], 0 offset:344
	buffer_store_dword v2, off, s[0:3], 0 offset:348
	v_cmpx_lt_u32_e32 42, v0
	s_cbranch_execz .LBB45_205
; %bb.204:
	s_clause 0x1
	buffer_load_dword v1, off, s[0:3], 0 offset:336
	buffer_load_dword v2, off, s[0:3], 0 offset:340
	v_mov_b32_e32 v3, 0
	buffer_store_dword v3, off, s[0:3], 0 offset:336
	buffer_store_dword v3, off, s[0:3], 0 offset:340
	s_waitcnt vmcnt(0)
	ds_write_b64 v101, v[1:2]
.LBB45_205:
	s_or_b32 exec_lo, exec_lo, s4
	s_waitcnt lgkmcnt(0)
	s_waitcnt_vscnt null, 0x0
	s_barrier
	buffer_gl0_inv
	s_clause 0x7
	buffer_load_dword v8, off, s[0:3], 0 offset:348
	buffer_load_dword v102, off, s[0:3], 0 offset:356
	;; [unrolled: 1-line block ×8, first 2 shown]
	v_mov_b32_e32 v1, 0
	ds_read2_b64 v[2:5], v1 offset0:89 offset1:90
	ds_read_b64 v[6:7], v1 offset:728
	s_mov_b32 s4, exec_lo
	s_waitcnt vmcnt(7) lgkmcnt(1)
	v_mul_f32_e32 v109, v3, v8
	v_mul_f32_e32 v8, v2, v8
	s_waitcnt vmcnt(6)
	v_mul_f32_e32 v110, v4, v102
	v_mul_f32_e32 v102, v5, v102
	s_waitcnt vmcnt(5) lgkmcnt(0)
	v_mul_f32_e32 v111, v6, v103
	s_waitcnt vmcnt(4)
	v_fma_f32 v2, v2, v104, -v109
	v_fmac_f32_e32 v8, v3, v104
	v_mul_f32_e32 v3, v7, v103
	s_waitcnt vmcnt(3)
	v_fma_f32 v4, v4, v105, -v102
	v_fmac_f32_e32 v110, v5, v105
	v_add_f32_e32 v2, 0, v2
	v_add_f32_e32 v5, 0, v8
	s_waitcnt vmcnt(2)
	v_fma_f32 v3, v6, v106, -v3
	v_fmac_f32_e32 v111, v7, v106
	v_add_f32_e32 v2, v2, v4
	v_add_f32_e32 v4, v5, v110
	;; [unrolled: 1-line block ×4, first 2 shown]
	s_waitcnt vmcnt(1)
	v_sub_f32_e32 v2, v107, v2
	s_waitcnt vmcnt(0)
	v_sub_f32_e32 v3, v108, v3
	buffer_store_dword v2, off, s[0:3], 0 offset:336
	buffer_store_dword v3, off, s[0:3], 0 offset:340
	v_cmpx_lt_u32_e32 41, v0
	s_cbranch_execz .LBB45_207
; %bb.206:
	s_clause 0x1
	buffer_load_dword v2, off, s[0:3], 0 offset:328
	buffer_load_dword v3, off, s[0:3], 0 offset:332
	buffer_store_dword v1, off, s[0:3], 0 offset:328
	buffer_store_dword v1, off, s[0:3], 0 offset:332
	s_waitcnt vmcnt(0)
	ds_write_b64 v101, v[2:3]
.LBB45_207:
	s_or_b32 exec_lo, exec_lo, s4
	s_waitcnt lgkmcnt(0)
	s_waitcnt_vscnt null, 0x0
	s_barrier
	buffer_gl0_inv
	s_clause 0x9
	buffer_load_dword v6, off, s[0:3], 0 offset:340
	buffer_load_dword v7, off, s[0:3], 0 offset:348
	;; [unrolled: 1-line block ×10, first 2 shown]
	ds_read_b128 v[2:5], v1 offset:704
	ds_read_b128 v[102:105], v1 offset:720
	s_mov_b32 s4, exec_lo
	s_waitcnt vmcnt(9) lgkmcnt(1)
	v_mul_f32_e32 v1, v2, v6
	v_mul_f32_e32 v6, v3, v6
	s_waitcnt vmcnt(8)
	v_mul_f32_e32 v113, v4, v7
	v_mul_f32_e32 v7, v5, v7
	s_waitcnt vmcnt(7) lgkmcnt(0)
	v_mul_f32_e32 v114, v102, v8
	s_waitcnt vmcnt(5)
	v_fmac_f32_e32 v1, v3, v107
	v_fma_f32 v2, v2, v107, -v6
	v_mul_f32_e32 v3, v103, v8
	s_waitcnt vmcnt(4)
	v_fma_f32 v4, v4, v108, -v7
	v_fmac_f32_e32 v113, v5, v108
	v_add_f32_e32 v1, 0, v1
	v_add_f32_e32 v2, 0, v2
	v_mul_f32_e32 v5, v105, v106
	s_waitcnt vmcnt(3)
	v_fma_f32 v3, v102, v109, -v3
	v_mul_f32_e32 v115, v104, v106
	v_fmac_f32_e32 v114, v103, v109
	v_add_f32_e32 v2, v2, v4
	v_add_f32_e32 v1, v1, v113
	s_waitcnt vmcnt(2)
	v_fma_f32 v4, v104, v110, -v5
	v_fmac_f32_e32 v115, v105, v110
	v_add_f32_e32 v2, v2, v3
	v_add_f32_e32 v1, v1, v114
	;; [unrolled: 1-line block ×4, first 2 shown]
	s_waitcnt vmcnt(1)
	v_sub_f32_e32 v2, v111, v2
	s_waitcnt vmcnt(0)
	v_sub_f32_e32 v1, v112, v1
	buffer_store_dword v2, off, s[0:3], 0 offset:328
	buffer_store_dword v1, off, s[0:3], 0 offset:332
	v_cmpx_lt_u32_e32 40, v0
	s_cbranch_execz .LBB45_209
; %bb.208:
	s_clause 0x1
	buffer_load_dword v1, off, s[0:3], 0 offset:320
	buffer_load_dword v2, off, s[0:3], 0 offset:324
	v_mov_b32_e32 v3, 0
	buffer_store_dword v3, off, s[0:3], 0 offset:320
	buffer_store_dword v3, off, s[0:3], 0 offset:324
	s_waitcnt vmcnt(0)
	ds_write_b64 v101, v[1:2]
.LBB45_209:
	s_or_b32 exec_lo, exec_lo, s4
	s_waitcnt lgkmcnt(0)
	s_waitcnt_vscnt null, 0x0
	s_barrier
	buffer_gl0_inv
	s_clause 0xb
	buffer_load_dword v8, off, s[0:3], 0 offset:332
	buffer_load_dword v106, off, s[0:3], 0 offset:340
	;; [unrolled: 1-line block ×12, first 2 shown]
	v_mov_b32_e32 v1, 0
	ds_read2_b64 v[2:5], v1 offset0:87 offset1:88
	ds_read2_b64 v[102:105], v1 offset0:89 offset1:90
	ds_read_b64 v[6:7], v1 offset:728
	s_mov_b32 s4, exec_lo
	s_waitcnt vmcnt(11) lgkmcnt(2)
	v_mul_f32_e32 v117, v2, v8
	v_mul_f32_e32 v8, v3, v8
	s_waitcnt vmcnt(10)
	v_mul_f32_e32 v118, v4, v106
	v_mul_f32_e32 v106, v5, v106
	s_waitcnt vmcnt(9) lgkmcnt(1)
	v_mul_f32_e32 v119, v102, v107
	s_waitcnt vmcnt(6)
	v_fmac_f32_e32 v117, v3, v110
	v_fma_f32 v2, v2, v110, -v8
	v_mul_f32_e32 v3, v103, v107
	s_waitcnt vmcnt(5)
	v_fma_f32 v4, v4, v111, -v106
	v_fmac_f32_e32 v118, v5, v111
	v_add_f32_e32 v5, 0, v117
	v_add_f32_e32 v2, 0, v2
	v_mul_f32_e32 v8, v105, v108
	s_waitcnt vmcnt(4)
	v_fma_f32 v3, v102, v112, -v3
	v_mul_f32_e32 v120, v104, v108
	v_fmac_f32_e32 v119, v103, v112
	v_add_f32_e32 v2, v2, v4
	v_add_f32_e32 v4, v5, v118
	s_waitcnt lgkmcnt(0)
	v_mul_f32_e32 v5, v7, v109
	s_waitcnt vmcnt(3)
	v_fma_f32 v8, v104, v113, -v8
	v_mul_f32_e32 v121, v6, v109
	v_add_f32_e32 v2, v2, v3
	v_fmac_f32_e32 v120, v105, v113
	v_add_f32_e32 v3, v4, v119
	s_waitcnt vmcnt(2)
	v_fma_f32 v4, v6, v114, -v5
	v_fmac_f32_e32 v121, v7, v114
	v_add_f32_e32 v2, v2, v8
	v_add_f32_e32 v3, v3, v120
	v_add_f32_e32 v2, v2, v4
	v_add_f32_e32 v3, v3, v121
	s_waitcnt vmcnt(1)
	v_sub_f32_e32 v2, v115, v2
	s_waitcnt vmcnt(0)
	v_sub_f32_e32 v3, v116, v3
	buffer_store_dword v2, off, s[0:3], 0 offset:320
	buffer_store_dword v3, off, s[0:3], 0 offset:324
	v_cmpx_lt_u32_e32 39, v0
	s_cbranch_execz .LBB45_211
; %bb.210:
	s_clause 0x1
	buffer_load_dword v2, off, s[0:3], 0 offset:312
	buffer_load_dword v3, off, s[0:3], 0 offset:316
	buffer_store_dword v1, off, s[0:3], 0 offset:312
	buffer_store_dword v1, off, s[0:3], 0 offset:316
	s_waitcnt vmcnt(0)
	ds_write_b64 v101, v[2:3]
.LBB45_211:
	s_or_b32 exec_lo, exec_lo, s4
	s_waitcnt lgkmcnt(0)
	s_waitcnt_vscnt null, 0x0
	s_barrier
	buffer_gl0_inv
	s_clause 0xd
	buffer_load_dword v6, off, s[0:3], 0 offset:324
	buffer_load_dword v7, off, s[0:3], 0 offset:332
	;; [unrolled: 1-line block ×14, first 2 shown]
	ds_read_b128 v[2:5], v1 offset:688
	ds_read_b128 v[102:105], v1 offset:704
	;; [unrolled: 1-line block ×3, first 2 shown]
	s_mov_b32 s4, exec_lo
	s_waitcnt vmcnt(13) lgkmcnt(2)
	v_mul_f32_e32 v1, v2, v6
	v_mul_f32_e32 v6, v3, v6
	s_waitcnt vmcnt(12)
	v_mul_f32_e32 v121, v4, v7
	v_mul_f32_e32 v7, v5, v7
	s_waitcnt vmcnt(11) lgkmcnt(1)
	v_mul_f32_e32 v122, v102, v8
	s_waitcnt vmcnt(10)
	v_mul_f32_e32 v123, v104, v110
	s_waitcnt vmcnt(7)
	v_fma_f32 v2, v2, v113, -v6
	v_fmac_f32_e32 v1, v3, v113
	v_mul_f32_e32 v3, v103, v8
	s_waitcnt vmcnt(6)
	v_fma_f32 v4, v4, v114, -v7
	v_fmac_f32_e32 v121, v5, v114
	v_add_f32_e32 v2, 0, v2
	v_add_f32_e32 v1, 0, v1
	v_mul_f32_e32 v5, v105, v110
	s_waitcnt vmcnt(5)
	v_fma_f32 v3, v102, v115, -v3
	v_fmac_f32_e32 v122, v103, v115
	v_add_f32_e32 v2, v2, v4
	v_add_f32_e32 v1, v1, v121
	s_waitcnt lgkmcnt(0)
	v_mul_f32_e32 v4, v107, v111
	s_waitcnt vmcnt(4)
	v_fma_f32 v5, v104, v116, -v5
	v_mul_f32_e32 v124, v106, v111
	v_add_f32_e32 v2, v2, v3
	v_fmac_f32_e32 v123, v105, v116
	v_add_f32_e32 v1, v1, v122
	v_mul_f32_e32 v3, v109, v112
	s_waitcnt vmcnt(3)
	v_fma_f32 v4, v106, v117, -v4
	v_add_f32_e32 v2, v2, v5
	v_mul_f32_e32 v125, v108, v112
	v_fmac_f32_e32 v124, v107, v117
	v_add_f32_e32 v1, v1, v123
	s_waitcnt vmcnt(2)
	v_fma_f32 v3, v108, v118, -v3
	v_add_f32_e32 v2, v2, v4
	v_fmac_f32_e32 v125, v109, v118
	v_add_f32_e32 v1, v1, v124
	v_add_f32_e32 v2, v2, v3
	;; [unrolled: 1-line block ×3, first 2 shown]
	s_waitcnt vmcnt(1)
	v_sub_f32_e32 v2, v119, v2
	s_waitcnt vmcnt(0)
	v_sub_f32_e32 v1, v120, v1
	buffer_store_dword v2, off, s[0:3], 0 offset:312
	buffer_store_dword v1, off, s[0:3], 0 offset:316
	v_cmpx_lt_u32_e32 38, v0
	s_cbranch_execz .LBB45_213
; %bb.212:
	s_clause 0x1
	buffer_load_dword v1, off, s[0:3], 0 offset:304
	buffer_load_dword v2, off, s[0:3], 0 offset:308
	v_mov_b32_e32 v3, 0
	buffer_store_dword v3, off, s[0:3], 0 offset:304
	buffer_store_dword v3, off, s[0:3], 0 offset:308
	s_waitcnt vmcnt(0)
	ds_write_b64 v101, v[1:2]
.LBB45_213:
	s_or_b32 exec_lo, exec_lo, s4
	s_waitcnt lgkmcnt(0)
	s_waitcnt_vscnt null, 0x0
	s_barrier
	buffer_gl0_inv
	s_clause 0xf
	buffer_load_dword v8, off, s[0:3], 0 offset:316
	buffer_load_dword v110, off, s[0:3], 0 offset:324
	;; [unrolled: 1-line block ×16, first 2 shown]
	v_mov_b32_e32 v1, 0
	ds_read2_b64 v[2:5], v1 offset0:85 offset1:86
	ds_read2_b64 v[102:105], v1 offset0:87 offset1:88
	;; [unrolled: 1-line block ×3, first 2 shown]
	ds_read_b64 v[6:7], v1 offset:728
	s_mov_b32 s4, exec_lo
	s_waitcnt vmcnt(15) lgkmcnt(3)
	v_mul_f32_e32 v125, v2, v8
	v_mul_f32_e32 v8, v3, v8
	s_waitcnt vmcnt(14)
	v_mul_f32_e32 v126, v4, v110
	v_mul_f32_e32 v110, v5, v110
	s_waitcnt vmcnt(13) lgkmcnt(2)
	v_mul_f32_e32 v127, v102, v111
	s_waitcnt vmcnt(12)
	v_mul_f32_e32 v128, v104, v112
	s_waitcnt vmcnt(11) lgkmcnt(1)
	v_mul_f32_e32 v129, v106, v113
	s_waitcnt vmcnt(8)
	v_fma_f32 v2, v2, v116, -v8
	v_fmac_f32_e32 v125, v3, v116
	v_mul_f32_e32 v3, v103, v111
	s_waitcnt vmcnt(7)
	v_fma_f32 v4, v4, v117, -v110
	v_fmac_f32_e32 v126, v5, v117
	v_add_f32_e32 v2, 0, v2
	v_add_f32_e32 v5, 0, v125
	v_mul_f32_e32 v8, v105, v112
	s_waitcnt vmcnt(6)
	v_fma_f32 v3, v102, v118, -v3
	v_fmac_f32_e32 v127, v103, v118
	v_add_f32_e32 v2, v2, v4
	v_add_f32_e32 v4, v5, v126
	;; [unrolled: 6-line block ×3, first 2 shown]
	v_mul_f32_e32 v4, v109, v114
	s_waitcnt vmcnt(4)
	v_fma_f32 v5, v106, v120, -v5
	v_mul_f32_e32 v130, v108, v114
	v_add_f32_e32 v2, v2, v8
	v_fmac_f32_e32 v129, v107, v120
	v_add_f32_e32 v3, v3, v128
	s_waitcnt lgkmcnt(0)
	v_mul_f32_e32 v8, v7, v115
	s_waitcnt vmcnt(3)
	v_fma_f32 v4, v108, v121, -v4
	v_add_f32_e32 v2, v2, v5
	v_mul_f32_e32 v131, v6, v115
	v_fmac_f32_e32 v130, v109, v121
	v_add_f32_e32 v3, v3, v129
	s_waitcnt vmcnt(2)
	v_fma_f32 v5, v6, v122, -v8
	v_add_f32_e32 v2, v2, v4
	v_fmac_f32_e32 v131, v7, v122
	v_add_f32_e32 v3, v3, v130
	v_add_f32_e32 v2, v2, v5
	;; [unrolled: 1-line block ×3, first 2 shown]
	s_waitcnt vmcnt(1)
	v_sub_f32_e32 v2, v123, v2
	s_waitcnt vmcnt(0)
	v_sub_f32_e32 v3, v124, v3
	buffer_store_dword v2, off, s[0:3], 0 offset:304
	buffer_store_dword v3, off, s[0:3], 0 offset:308
	v_cmpx_lt_u32_e32 37, v0
	s_cbranch_execz .LBB45_215
; %bb.214:
	s_clause 0x1
	buffer_load_dword v2, off, s[0:3], 0 offset:296
	buffer_load_dword v3, off, s[0:3], 0 offset:300
	buffer_store_dword v1, off, s[0:3], 0 offset:296
	buffer_store_dword v1, off, s[0:3], 0 offset:300
	s_waitcnt vmcnt(0)
	ds_write_b64 v101, v[2:3]
.LBB45_215:
	s_or_b32 exec_lo, exec_lo, s4
	s_waitcnt lgkmcnt(0)
	s_waitcnt_vscnt null, 0x0
	s_barrier
	buffer_gl0_inv
	s_clause 0x11
	buffer_load_dword v6, off, s[0:3], 0 offset:308
	buffer_load_dword v7, off, s[0:3], 0 offset:316
	;; [unrolled: 1-line block ×18, first 2 shown]
	ds_read_b128 v[2:5], v1 offset:672
	ds_read_b128 v[102:105], v1 offset:688
	;; [unrolled: 1-line block ×4, first 2 shown]
	s_mov_b32 s4, exec_lo
	s_waitcnt vmcnt(17) lgkmcnt(3)
	v_mul_f32_e32 v1, v2, v6
	v_mul_f32_e32 v6, v3, v6
	s_waitcnt vmcnt(16)
	v_mul_f32_e32 v129, v4, v7
	v_mul_f32_e32 v7, v5, v7
	s_waitcnt vmcnt(15) lgkmcnt(2)
	v_mul_f32_e32 v130, v102, v8
	s_waitcnt vmcnt(14)
	v_mul_f32_e32 v131, v104, v114
	s_waitcnt vmcnt(13) lgkmcnt(1)
	v_mul_f32_e32 v132, v106, v115
	s_waitcnt vmcnt(12)
	v_mul_f32_e32 v133, v108, v116
	s_waitcnt vmcnt(9)
	v_fma_f32 v2, v2, v119, -v6
	v_fmac_f32_e32 v1, v3, v119
	v_mul_f32_e32 v3, v103, v8
	s_waitcnt vmcnt(8)
	v_fma_f32 v4, v4, v120, -v7
	v_fmac_f32_e32 v129, v5, v120
	v_add_f32_e32 v2, 0, v2
	v_add_f32_e32 v1, 0, v1
	v_mul_f32_e32 v5, v105, v114
	s_waitcnt vmcnt(7)
	v_fma_f32 v3, v102, v121, -v3
	v_fmac_f32_e32 v130, v103, v121
	v_add_f32_e32 v2, v2, v4
	v_add_f32_e32 v1, v1, v129
	;; [unrolled: 6-line block ×4, first 2 shown]
	s_waitcnt lgkmcnt(0)
	v_mul_f32_e32 v5, v111, v117
	s_waitcnt vmcnt(4)
	v_fma_f32 v3, v108, v124, -v3
	v_mul_f32_e32 v134, v110, v117
	v_add_f32_e32 v2, v2, v4
	v_fmac_f32_e32 v133, v109, v124
	v_add_f32_e32 v1, v1, v132
	v_mul_f32_e32 v4, v113, v118
	s_waitcnt vmcnt(3)
	v_fma_f32 v5, v110, v125, -v5
	v_add_f32_e32 v2, v2, v3
	v_mul_f32_e32 v135, v112, v118
	v_fmac_f32_e32 v134, v111, v125
	v_add_f32_e32 v1, v1, v133
	s_waitcnt vmcnt(2)
	v_fma_f32 v3, v112, v126, -v4
	v_add_f32_e32 v2, v2, v5
	v_fmac_f32_e32 v135, v113, v126
	v_add_f32_e32 v1, v1, v134
	v_add_f32_e32 v2, v2, v3
	;; [unrolled: 1-line block ×3, first 2 shown]
	s_waitcnt vmcnt(1)
	v_sub_f32_e32 v2, v127, v2
	s_waitcnt vmcnt(0)
	v_sub_f32_e32 v1, v128, v1
	buffer_store_dword v2, off, s[0:3], 0 offset:296
	buffer_store_dword v1, off, s[0:3], 0 offset:300
	v_cmpx_lt_u32_e32 36, v0
	s_cbranch_execz .LBB45_217
; %bb.216:
	s_clause 0x1
	buffer_load_dword v1, off, s[0:3], 0 offset:288
	buffer_load_dword v2, off, s[0:3], 0 offset:292
	v_mov_b32_e32 v3, 0
	buffer_store_dword v3, off, s[0:3], 0 offset:288
	buffer_store_dword v3, off, s[0:3], 0 offset:292
	s_waitcnt vmcnt(0)
	ds_write_b64 v101, v[1:2]
.LBB45_217:
	s_or_b32 exec_lo, exec_lo, s4
	s_waitcnt lgkmcnt(0)
	s_waitcnt_vscnt null, 0x0
	s_barrier
	buffer_gl0_inv
	s_clause 0x13
	buffer_load_dword v8, off, s[0:3], 0 offset:300
	buffer_load_dword v114, off, s[0:3], 0 offset:308
	;; [unrolled: 1-line block ×20, first 2 shown]
	v_mov_b32_e32 v1, 0
	ds_read2_b64 v[2:5], v1 offset0:83 offset1:84
	ds_read2_b64 v[102:105], v1 offset0:85 offset1:86
	;; [unrolled: 1-line block ×4, first 2 shown]
	ds_read_b64 v[6:7], v1 offset:728
	s_mov_b32 s4, exec_lo
	s_waitcnt vmcnt(19) lgkmcnt(4)
	v_mul_f32_e32 v133, v2, v8
	v_mul_f32_e32 v8, v3, v8
	s_waitcnt vmcnt(18)
	v_mul_f32_e32 v134, v4, v114
	v_mul_f32_e32 v114, v5, v114
	s_waitcnt vmcnt(17) lgkmcnt(3)
	v_mul_f32_e32 v135, v102, v115
	s_waitcnt vmcnt(16)
	v_mul_f32_e32 v136, v104, v116
	s_waitcnt vmcnt(15) lgkmcnt(2)
	v_mul_f32_e32 v137, v106, v117
	s_waitcnt vmcnt(14)
	;; [unrolled: 4-line block ×3, first 2 shown]
	v_fma_f32 v2, v2, v122, -v8
	v_fmac_f32_e32 v133, v3, v122
	v_mul_f32_e32 v3, v103, v115
	s_waitcnt vmcnt(9)
	v_fma_f32 v4, v4, v123, -v114
	v_fmac_f32_e32 v134, v5, v123
	v_add_f32_e32 v2, 0, v2
	v_add_f32_e32 v5, 0, v133
	v_mul_f32_e32 v8, v105, v116
	s_waitcnt vmcnt(8)
	v_fma_f32 v3, v102, v124, -v3
	v_fmac_f32_e32 v135, v103, v124
	v_add_f32_e32 v2, v2, v4
	v_add_f32_e32 v4, v5, v134
	;; [unrolled: 6-line block ×5, first 2 shown]
	v_mul_f32_e32 v5, v113, v120
	s_waitcnt vmcnt(4)
	v_fma_f32 v8, v110, v128, -v8
	v_mul_f32_e32 v140, v112, v120
	v_add_f32_e32 v2, v2, v4
	v_fmac_f32_e32 v139, v111, v128
	v_add_f32_e32 v3, v3, v138
	s_waitcnt lgkmcnt(0)
	v_mul_f32_e32 v4, v7, v121
	s_waitcnt vmcnt(3)
	v_fma_f32 v5, v112, v129, -v5
	v_add_f32_e32 v2, v2, v8
	v_mul_f32_e32 v141, v6, v121
	v_fmac_f32_e32 v140, v113, v129
	v_add_f32_e32 v3, v3, v139
	s_waitcnt vmcnt(2)
	v_fma_f32 v4, v6, v130, -v4
	v_add_f32_e32 v2, v2, v5
	v_fmac_f32_e32 v141, v7, v130
	v_add_f32_e32 v3, v3, v140
	v_add_f32_e32 v2, v2, v4
	;; [unrolled: 1-line block ×3, first 2 shown]
	s_waitcnt vmcnt(1)
	v_sub_f32_e32 v2, v131, v2
	s_waitcnt vmcnt(0)
	v_sub_f32_e32 v3, v132, v3
	buffer_store_dword v2, off, s[0:3], 0 offset:288
	buffer_store_dword v3, off, s[0:3], 0 offset:292
	v_cmpx_lt_u32_e32 35, v0
	s_cbranch_execz .LBB45_219
; %bb.218:
	s_clause 0x1
	buffer_load_dword v2, off, s[0:3], 0 offset:280
	buffer_load_dword v3, off, s[0:3], 0 offset:284
	buffer_store_dword v1, off, s[0:3], 0 offset:280
	buffer_store_dword v1, off, s[0:3], 0 offset:284
	s_waitcnt vmcnt(0)
	ds_write_b64 v101, v[2:3]
.LBB45_219:
	s_or_b32 exec_lo, exec_lo, s4
	s_waitcnt lgkmcnt(0)
	s_waitcnt_vscnt null, 0x0
	s_barrier
	buffer_gl0_inv
	s_clause 0x15
	buffer_load_dword v6, off, s[0:3], 0 offset:292
	buffer_load_dword v7, off, s[0:3], 0 offset:300
	;; [unrolled: 1-line block ×22, first 2 shown]
	ds_read_b128 v[2:5], v1 offset:656
	ds_read_b128 v[102:105], v1 offset:672
	;; [unrolled: 1-line block ×5, first 2 shown]
	s_mov_b32 s4, exec_lo
	s_waitcnt vmcnt(21) lgkmcnt(4)
	v_mul_f32_e32 v1, v2, v6
	v_mul_f32_e32 v6, v3, v6
	s_waitcnt vmcnt(20)
	v_mul_f32_e32 v137, v4, v7
	v_mul_f32_e32 v7, v5, v7
	s_waitcnt vmcnt(19) lgkmcnt(3)
	v_mul_f32_e32 v138, v102, v8
	s_waitcnt vmcnt(18)
	v_mul_f32_e32 v139, v104, v118
	s_waitcnt vmcnt(17) lgkmcnt(2)
	v_mul_f32_e32 v140, v106, v119
	s_waitcnt vmcnt(16)
	;; [unrolled: 4-line block ×3, first 2 shown]
	v_mul_f32_e32 v143, v112, v122
	s_waitcnt vmcnt(11)
	v_fma_f32 v2, v2, v125, -v6
	v_fmac_f32_e32 v1, v3, v125
	v_mul_f32_e32 v3, v103, v8
	s_waitcnt vmcnt(10)
	v_fma_f32 v4, v4, v126, -v7
	v_fmac_f32_e32 v137, v5, v126
	v_add_f32_e32 v2, 0, v2
	v_add_f32_e32 v1, 0, v1
	v_mul_f32_e32 v5, v105, v118
	s_waitcnt vmcnt(9)
	v_fma_f32 v3, v102, v127, -v3
	v_fmac_f32_e32 v138, v103, v127
	v_add_f32_e32 v2, v2, v4
	v_add_f32_e32 v1, v1, v137
	;; [unrolled: 6-line block ×6, first 2 shown]
	s_waitcnt lgkmcnt(0)
	v_mul_f32_e32 v3, v115, v123
	s_waitcnt vmcnt(4)
	v_fma_f32 v4, v112, v132, -v4
	v_mul_f32_e32 v144, v114, v123
	v_add_f32_e32 v2, v2, v5
	v_fmac_f32_e32 v143, v113, v132
	v_add_f32_e32 v1, v1, v142
	v_mul_f32_e32 v5, v117, v124
	s_waitcnt vmcnt(3)
	v_fma_f32 v3, v114, v133, -v3
	v_add_f32_e32 v2, v2, v4
	v_mul_f32_e32 v145, v116, v124
	v_fmac_f32_e32 v144, v115, v133
	v_add_f32_e32 v1, v1, v143
	s_waitcnt vmcnt(2)
	v_fma_f32 v4, v116, v134, -v5
	v_add_f32_e32 v2, v2, v3
	v_fmac_f32_e32 v145, v117, v134
	v_add_f32_e32 v1, v1, v144
	v_add_f32_e32 v2, v2, v4
	;; [unrolled: 1-line block ×3, first 2 shown]
	s_waitcnt vmcnt(1)
	v_sub_f32_e32 v2, v135, v2
	s_waitcnt vmcnt(0)
	v_sub_f32_e32 v1, v136, v1
	buffer_store_dword v2, off, s[0:3], 0 offset:280
	buffer_store_dword v1, off, s[0:3], 0 offset:284
	v_cmpx_lt_u32_e32 34, v0
	s_cbranch_execz .LBB45_221
; %bb.220:
	s_clause 0x1
	buffer_load_dword v1, off, s[0:3], 0 offset:272
	buffer_load_dword v2, off, s[0:3], 0 offset:276
	v_mov_b32_e32 v3, 0
	buffer_store_dword v3, off, s[0:3], 0 offset:272
	buffer_store_dword v3, off, s[0:3], 0 offset:276
	s_waitcnt vmcnt(0)
	ds_write_b64 v101, v[1:2]
.LBB45_221:
	s_or_b32 exec_lo, exec_lo, s4
	s_waitcnt lgkmcnt(0)
	s_waitcnt_vscnt null, 0x0
	s_barrier
	buffer_gl0_inv
	s_clause 0x17
	buffer_load_dword v8, off, s[0:3], 0 offset:284
	buffer_load_dword v118, off, s[0:3], 0 offset:292
	;; [unrolled: 1-line block ×24, first 2 shown]
	v_mov_b32_e32 v1, 0
	ds_read2_b64 v[2:5], v1 offset0:81 offset1:82
	ds_read2_b64 v[102:105], v1 offset0:83 offset1:84
	;; [unrolled: 1-line block ×5, first 2 shown]
	ds_read_b64 v[6:7], v1 offset:728
	s_mov_b32 s4, exec_lo
	s_waitcnt vmcnt(23) lgkmcnt(5)
	v_mul_f32_e32 v141, v2, v8
	v_mul_f32_e32 v8, v3, v8
	s_waitcnt vmcnt(22)
	v_mul_f32_e32 v142, v4, v118
	v_mul_f32_e32 v118, v5, v118
	s_waitcnt vmcnt(21) lgkmcnt(4)
	v_mul_f32_e32 v143, v102, v119
	s_waitcnt vmcnt(20)
	v_mul_f32_e32 v144, v104, v120
	s_waitcnt vmcnt(19) lgkmcnt(3)
	v_mul_f32_e32 v145, v106, v121
	s_waitcnt vmcnt(18)
	;; [unrolled: 4-line block ×4, first 2 shown]
	v_fma_f32 v2, v2, v128, -v8
	v_fmac_f32_e32 v141, v3, v128
	v_mul_f32_e32 v3, v103, v119
	s_waitcnt vmcnt(11)
	v_fma_f32 v4, v4, v129, -v118
	v_fmac_f32_e32 v142, v5, v129
	v_add_f32_e32 v2, 0, v2
	v_add_f32_e32 v5, 0, v141
	v_mul_f32_e32 v8, v105, v120
	s_waitcnt vmcnt(10)
	v_fma_f32 v3, v102, v130, -v3
	v_fmac_f32_e32 v143, v103, v130
	v_add_f32_e32 v2, v2, v4
	v_add_f32_e32 v4, v5, v142
	;; [unrolled: 6-line block ×7, first 2 shown]
	v_mul_f32_e32 v8, v117, v126
	s_waitcnt vmcnt(4)
	v_fma_f32 v4, v114, v136, -v4
	v_mul_f32_e32 v150, v116, v126
	v_add_f32_e32 v2, v2, v5
	v_fmac_f32_e32 v149, v115, v136
	v_add_f32_e32 v3, v3, v148
	s_waitcnt lgkmcnt(0)
	v_mul_f32_e32 v5, v7, v127
	s_waitcnt vmcnt(3)
	v_fma_f32 v8, v116, v137, -v8
	v_add_f32_e32 v2, v2, v4
	v_mul_f32_e32 v151, v6, v127
	v_fmac_f32_e32 v150, v117, v137
	v_add_f32_e32 v3, v3, v149
	s_waitcnt vmcnt(2)
	v_fma_f32 v4, v6, v138, -v5
	v_add_f32_e32 v2, v2, v8
	v_fmac_f32_e32 v151, v7, v138
	v_add_f32_e32 v3, v3, v150
	v_add_f32_e32 v2, v2, v4
	;; [unrolled: 1-line block ×3, first 2 shown]
	s_waitcnt vmcnt(1)
	v_sub_f32_e32 v2, v139, v2
	s_waitcnt vmcnt(0)
	v_sub_f32_e32 v3, v140, v3
	buffer_store_dword v2, off, s[0:3], 0 offset:272
	buffer_store_dword v3, off, s[0:3], 0 offset:276
	v_cmpx_lt_u32_e32 33, v0
	s_cbranch_execz .LBB45_223
; %bb.222:
	s_clause 0x1
	buffer_load_dword v2, off, s[0:3], 0 offset:264
	buffer_load_dword v3, off, s[0:3], 0 offset:268
	buffer_store_dword v1, off, s[0:3], 0 offset:264
	buffer_store_dword v1, off, s[0:3], 0 offset:268
	s_waitcnt vmcnt(0)
	ds_write_b64 v101, v[2:3]
.LBB45_223:
	s_or_b32 exec_lo, exec_lo, s4
	s_waitcnt lgkmcnt(0)
	s_waitcnt_vscnt null, 0x0
	s_barrier
	buffer_gl0_inv
	s_clause 0x19
	buffer_load_dword v6, off, s[0:3], 0 offset:276
	buffer_load_dword v7, off, s[0:3], 0 offset:284
	;; [unrolled: 1-line block ×26, first 2 shown]
	ds_read_b128 v[2:5], v1 offset:640
	ds_read_b128 v[102:105], v1 offset:656
	;; [unrolled: 1-line block ×6, first 2 shown]
	s_mov_b32 s4, exec_lo
	s_waitcnt vmcnt(25) lgkmcnt(5)
	v_mul_f32_e32 v1, v2, v6
	v_mul_f32_e32 v6, v3, v6
	s_waitcnt vmcnt(24)
	v_mul_f32_e32 v145, v4, v7
	v_mul_f32_e32 v7, v5, v7
	s_waitcnt vmcnt(23) lgkmcnt(4)
	v_mul_f32_e32 v146, v102, v8
	s_waitcnt vmcnt(22)
	v_mul_f32_e32 v147, v104, v122
	s_waitcnt vmcnt(21) lgkmcnt(3)
	v_mul_f32_e32 v148, v106, v123
	s_waitcnt vmcnt(20)
	;; [unrolled: 4-line block ×4, first 2 shown]
	v_mul_f32_e32 v153, v116, v128
	s_waitcnt vmcnt(13)
	v_fma_f32 v2, v2, v131, -v6
	v_fmac_f32_e32 v1, v3, v131
	v_mul_f32_e32 v3, v103, v8
	s_waitcnt vmcnt(12)
	v_fma_f32 v4, v4, v132, -v7
	v_fmac_f32_e32 v145, v5, v132
	v_add_f32_e32 v2, 0, v2
	v_add_f32_e32 v1, 0, v1
	v_mul_f32_e32 v5, v105, v122
	s_waitcnt vmcnt(11)
	v_fma_f32 v3, v102, v133, -v3
	v_fmac_f32_e32 v146, v103, v133
	v_add_f32_e32 v2, v2, v4
	v_add_f32_e32 v1, v1, v145
	;; [unrolled: 6-line block ×8, first 2 shown]
	s_waitcnt lgkmcnt(0)
	v_mul_f32_e32 v4, v119, v129
	s_waitcnt vmcnt(4)
	v_fma_f32 v5, v116, v140, -v5
	v_mul_f32_e32 v154, v118, v129
	v_add_f32_e32 v2, v2, v3
	v_fmac_f32_e32 v153, v117, v140
	v_add_f32_e32 v1, v1, v152
	v_mul_f32_e32 v3, v121, v130
	s_waitcnt vmcnt(3)
	v_fma_f32 v4, v118, v141, -v4
	v_add_f32_e32 v2, v2, v5
	v_mul_f32_e32 v155, v120, v130
	v_fmac_f32_e32 v154, v119, v141
	v_add_f32_e32 v1, v1, v153
	s_waitcnt vmcnt(2)
	v_fma_f32 v3, v120, v142, -v3
	v_add_f32_e32 v2, v2, v4
	v_fmac_f32_e32 v155, v121, v142
	v_add_f32_e32 v1, v1, v154
	v_add_f32_e32 v2, v2, v3
	;; [unrolled: 1-line block ×3, first 2 shown]
	s_waitcnt vmcnt(1)
	v_sub_f32_e32 v2, v143, v2
	s_waitcnt vmcnt(0)
	v_sub_f32_e32 v1, v144, v1
	buffer_store_dword v2, off, s[0:3], 0 offset:264
	buffer_store_dword v1, off, s[0:3], 0 offset:268
	v_cmpx_lt_u32_e32 32, v0
	s_cbranch_execz .LBB45_225
; %bb.224:
	s_clause 0x1
	buffer_load_dword v1, off, s[0:3], 0 offset:256
	buffer_load_dword v2, off, s[0:3], 0 offset:260
	v_mov_b32_e32 v3, 0
	buffer_store_dword v3, off, s[0:3], 0 offset:256
	buffer_store_dword v3, off, s[0:3], 0 offset:260
	s_waitcnt vmcnt(0)
	ds_write_b64 v101, v[1:2]
.LBB45_225:
	s_or_b32 exec_lo, exec_lo, s4
	s_waitcnt lgkmcnt(0)
	s_waitcnt_vscnt null, 0x0
	s_barrier
	buffer_gl0_inv
	s_clause 0x1b
	buffer_load_dword v8, off, s[0:3], 0 offset:268
	buffer_load_dword v122, off, s[0:3], 0 offset:276
	;; [unrolled: 1-line block ×28, first 2 shown]
	v_mov_b32_e32 v1, 0
	ds_read2_b64 v[2:5], v1 offset0:79 offset1:80
	ds_read2_b64 v[102:105], v1 offset0:81 offset1:82
	;; [unrolled: 1-line block ×6, first 2 shown]
	ds_read_b64 v[6:7], v1 offset:728
	s_mov_b32 s4, exec_lo
	s_waitcnt vmcnt(27) lgkmcnt(6)
	v_mul_f32_e32 v149, v2, v8
	v_mul_f32_e32 v8, v3, v8
	s_waitcnt vmcnt(26)
	v_mul_f32_e32 v150, v4, v122
	v_mul_f32_e32 v122, v5, v122
	s_waitcnt vmcnt(25) lgkmcnt(5)
	v_mul_f32_e32 v151, v102, v123
	s_waitcnt vmcnt(24)
	v_mul_f32_e32 v152, v104, v124
	s_waitcnt vmcnt(23) lgkmcnt(4)
	v_mul_f32_e32 v153, v106, v125
	s_waitcnt vmcnt(22)
	;; [unrolled: 4-line block ×5, first 2 shown]
	v_fma_f32 v2, v2, v134, -v8
	v_fmac_f32_e32 v149, v3, v134
	v_mul_f32_e32 v3, v103, v123
	s_waitcnt vmcnt(13)
	v_fma_f32 v4, v4, v135, -v122
	v_fmac_f32_e32 v150, v5, v135
	v_add_f32_e32 v2, 0, v2
	v_add_f32_e32 v5, 0, v149
	v_mul_f32_e32 v8, v105, v124
	s_waitcnt vmcnt(12)
	v_fma_f32 v3, v102, v136, -v3
	v_fmac_f32_e32 v151, v103, v136
	v_add_f32_e32 v2, v2, v4
	v_add_f32_e32 v4, v5, v150
	v_mul_f32_e32 v5, v107, v125
	s_waitcnt vmcnt(11)
	v_fma_f32 v8, v104, v137, -v8
	v_fmac_f32_e32 v152, v105, v137
	v_add_f32_e32 v2, v2, v3
	v_add_f32_e32 v3, v4, v151
	v_mul_f32_e32 v4, v109, v126
	s_waitcnt vmcnt(10)
	v_fma_f32 v5, v106, v138, -v5
	v_fmac_f32_e32 v153, v107, v138
	v_add_f32_e32 v2, v2, v8
	v_add_f32_e32 v3, v3, v152
	v_mul_f32_e32 v8, v111, v127
	s_waitcnt vmcnt(9)
	v_fma_f32 v4, v108, v139, -v4
	v_fmac_f32_e32 v154, v109, v139
	v_add_f32_e32 v2, v2, v5
	v_add_f32_e32 v3, v3, v153
	v_mul_f32_e32 v5, v113, v128
	s_waitcnt vmcnt(8)
	v_fma_f32 v8, v110, v140, -v8
	v_fmac_f32_e32 v155, v111, v140
	v_add_f32_e32 v2, v2, v4
	v_add_f32_e32 v3, v3, v154
	v_mul_f32_e32 v4, v115, v129
	s_waitcnt vmcnt(7)
	v_fma_f32 v5, v112, v141, -v5
	v_fmac_f32_e32 v156, v113, v141
	v_add_f32_e32 v2, v2, v8
	v_add_f32_e32 v3, v3, v155
	v_mul_f32_e32 v8, v117, v130
	s_waitcnt vmcnt(6)
	v_fma_f32 v4, v114, v142, -v4
	v_fmac_f32_e32 v157, v115, v142
	v_add_f32_e32 v2, v2, v5
	v_add_f32_e32 v3, v3, v156
	v_mul_f32_e32 v5, v119, v131
	s_waitcnt vmcnt(5)
	v_fma_f32 v8, v116, v143, -v8
	v_fmac_f32_e32 v158, v117, v143
	v_add_f32_e32 v2, v2, v4
	v_add_f32_e32 v3, v3, v157
	v_mul_f32_e32 v4, v121, v132
	s_waitcnt vmcnt(4)
	v_fma_f32 v5, v118, v144, -v5
	v_mul_f32_e32 v160, v120, v132
	v_add_f32_e32 v2, v2, v8
	v_fmac_f32_e32 v159, v119, v144
	v_add_f32_e32 v3, v3, v158
	s_waitcnt lgkmcnt(0)
	v_mul_f32_e32 v8, v7, v133
	s_waitcnt vmcnt(3)
	v_fma_f32 v4, v120, v145, -v4
	v_add_f32_e32 v2, v2, v5
	v_mul_f32_e32 v161, v6, v133
	v_fmac_f32_e32 v160, v121, v145
	v_add_f32_e32 v3, v3, v159
	s_waitcnt vmcnt(2)
	v_fma_f32 v5, v6, v146, -v8
	v_add_f32_e32 v2, v2, v4
	v_fmac_f32_e32 v161, v7, v146
	v_add_f32_e32 v3, v3, v160
	v_add_f32_e32 v2, v2, v5
	;; [unrolled: 1-line block ×3, first 2 shown]
	s_waitcnt vmcnt(1)
	v_sub_f32_e32 v2, v147, v2
	s_waitcnt vmcnt(0)
	v_sub_f32_e32 v3, v148, v3
	buffer_store_dword v2, off, s[0:3], 0 offset:256
	buffer_store_dword v3, off, s[0:3], 0 offset:260
	v_cmpx_lt_u32_e32 31, v0
	s_cbranch_execz .LBB45_227
; %bb.226:
	s_clause 0x1
	buffer_load_dword v2, off, s[0:3], 0 offset:248
	buffer_load_dword v3, off, s[0:3], 0 offset:252
	buffer_store_dword v1, off, s[0:3], 0 offset:248
	buffer_store_dword v1, off, s[0:3], 0 offset:252
	s_waitcnt vmcnt(0)
	ds_write_b64 v101, v[2:3]
.LBB45_227:
	s_or_b32 exec_lo, exec_lo, s4
	s_waitcnt lgkmcnt(0)
	s_waitcnt_vscnt null, 0x0
	s_barrier
	buffer_gl0_inv
	s_clause 0x1d
	buffer_load_dword v6, off, s[0:3], 0 offset:260
	buffer_load_dword v7, off, s[0:3], 0 offset:268
	;; [unrolled: 1-line block ×30, first 2 shown]
	ds_read_b128 v[2:5], v1 offset:624
	ds_read_b128 v[102:105], v1 offset:640
	;; [unrolled: 1-line block ×7, first 2 shown]
	s_mov_b32 s4, exec_lo
	s_waitcnt vmcnt(29) lgkmcnt(6)
	v_mul_f32_e32 v1, v2, v6
	v_mul_f32_e32 v6, v3, v6
	s_waitcnt vmcnt(28)
	v_mul_f32_e32 v153, v4, v7
	v_mul_f32_e32 v7, v5, v7
	s_waitcnt vmcnt(27) lgkmcnt(5)
	v_mul_f32_e32 v154, v102, v8
	s_waitcnt vmcnt(26)
	v_mul_f32_e32 v155, v104, v126
	s_waitcnt vmcnt(25) lgkmcnt(4)
	v_mul_f32_e32 v156, v106, v127
	s_waitcnt vmcnt(24)
	;; [unrolled: 4-line block ×5, first 2 shown]
	v_mul_f32_e32 v163, v120, v134
	s_waitcnt vmcnt(15)
	v_fma_f32 v2, v2, v137, -v6
	v_fmac_f32_e32 v1, v3, v137
	v_mul_f32_e32 v3, v103, v8
	s_waitcnt vmcnt(14)
	v_fma_f32 v4, v4, v138, -v7
	v_fmac_f32_e32 v153, v5, v138
	v_add_f32_e32 v2, 0, v2
	v_add_f32_e32 v1, 0, v1
	v_mul_f32_e32 v5, v105, v126
	s_waitcnt vmcnt(13)
	v_fma_f32 v3, v102, v139, -v3
	v_fmac_f32_e32 v154, v103, v139
	v_add_f32_e32 v2, v2, v4
	v_add_f32_e32 v1, v1, v153
	v_mul_f32_e32 v4, v107, v127
	s_waitcnt vmcnt(12)
	v_fma_f32 v5, v104, v140, -v5
	v_fmac_f32_e32 v155, v105, v140
	v_add_f32_e32 v2, v2, v3
	v_add_f32_e32 v1, v1, v154
	v_mul_f32_e32 v3, v109, v128
	s_waitcnt vmcnt(11)
	v_fma_f32 v4, v106, v141, -v4
	v_fmac_f32_e32 v156, v107, v141
	v_add_f32_e32 v2, v2, v5
	v_add_f32_e32 v1, v1, v155
	v_mul_f32_e32 v5, v111, v129
	s_waitcnt vmcnt(10)
	v_fma_f32 v3, v108, v142, -v3
	v_fmac_f32_e32 v157, v109, v142
	v_add_f32_e32 v2, v2, v4
	v_add_f32_e32 v1, v1, v156
	v_mul_f32_e32 v4, v113, v130
	s_waitcnt vmcnt(9)
	v_fma_f32 v5, v110, v143, -v5
	v_fmac_f32_e32 v158, v111, v143
	v_add_f32_e32 v2, v2, v3
	v_add_f32_e32 v1, v1, v157
	v_mul_f32_e32 v3, v115, v131
	s_waitcnt vmcnt(8)
	v_fma_f32 v4, v112, v144, -v4
	v_fmac_f32_e32 v159, v113, v144
	v_add_f32_e32 v2, v2, v5
	v_add_f32_e32 v1, v1, v158
	v_mul_f32_e32 v5, v117, v132
	s_waitcnt vmcnt(7)
	v_fma_f32 v3, v114, v145, -v3
	v_fmac_f32_e32 v160, v115, v145
	v_add_f32_e32 v2, v2, v4
	v_add_f32_e32 v1, v1, v159
	v_mul_f32_e32 v4, v119, v133
	s_waitcnt vmcnt(6)
	v_fma_f32 v5, v116, v146, -v5
	v_fmac_f32_e32 v161, v117, v146
	v_add_f32_e32 v2, v2, v3
	v_add_f32_e32 v1, v1, v160
	v_mul_f32_e32 v3, v121, v134
	s_waitcnt vmcnt(5)
	v_fma_f32 v4, v118, v147, -v4
	v_fmac_f32_e32 v162, v119, v147
	v_add_f32_e32 v2, v2, v5
	v_add_f32_e32 v1, v1, v161
	s_waitcnt lgkmcnt(0)
	v_mul_f32_e32 v5, v123, v135
	s_waitcnt vmcnt(4)
	v_fma_f32 v3, v120, v148, -v3
	v_mul_f32_e32 v164, v122, v135
	v_add_f32_e32 v2, v2, v4
	v_fmac_f32_e32 v163, v121, v148
	v_add_f32_e32 v1, v1, v162
	v_mul_f32_e32 v4, v125, v136
	s_waitcnt vmcnt(3)
	v_fma_f32 v5, v122, v149, -v5
	v_add_f32_e32 v2, v2, v3
	v_mul_f32_e32 v165, v124, v136
	v_fmac_f32_e32 v164, v123, v149
	v_add_f32_e32 v1, v1, v163
	s_waitcnt vmcnt(2)
	v_fma_f32 v3, v124, v150, -v4
	v_add_f32_e32 v2, v2, v5
	v_fmac_f32_e32 v165, v125, v150
	v_add_f32_e32 v1, v1, v164
	v_add_f32_e32 v2, v2, v3
	;; [unrolled: 1-line block ×3, first 2 shown]
	s_waitcnt vmcnt(1)
	v_sub_f32_e32 v2, v151, v2
	s_waitcnt vmcnt(0)
	v_sub_f32_e32 v1, v152, v1
	buffer_store_dword v2, off, s[0:3], 0 offset:248
	buffer_store_dword v1, off, s[0:3], 0 offset:252
	v_cmpx_lt_u32_e32 30, v0
	s_cbranch_execz .LBB45_229
; %bb.228:
	s_clause 0x1
	buffer_load_dword v1, off, s[0:3], 0 offset:240
	buffer_load_dword v2, off, s[0:3], 0 offset:244
	v_mov_b32_e32 v3, 0
	buffer_store_dword v3, off, s[0:3], 0 offset:240
	buffer_store_dword v3, off, s[0:3], 0 offset:244
	s_waitcnt vmcnt(0)
	ds_write_b64 v101, v[1:2]
.LBB45_229:
	s_or_b32 exec_lo, exec_lo, s4
	s_waitcnt lgkmcnt(0)
	s_waitcnt_vscnt null, 0x0
	s_barrier
	buffer_gl0_inv
	s_clause 0x1f
	buffer_load_dword v8, off, s[0:3], 0 offset:252
	buffer_load_dword v126, off, s[0:3], 0 offset:260
	;; [unrolled: 1-line block ×32, first 2 shown]
	v_mov_b32_e32 v1, 0
	ds_read2_b64 v[2:5], v1 offset0:77 offset1:78
	ds_read2_b64 v[102:105], v1 offset0:79 offset1:80
	;; [unrolled: 1-line block ×7, first 2 shown]
	ds_read_b64 v[6:7], v1 offset:728
	s_mov_b32 s4, exec_lo
	s_waitcnt vmcnt(31) lgkmcnt(7)
	v_mul_f32_e32 v157, v2, v8
	v_mul_f32_e32 v8, v3, v8
	s_waitcnt vmcnt(30)
	v_mul_f32_e32 v158, v4, v126
	v_mul_f32_e32 v126, v5, v126
	s_waitcnt vmcnt(29) lgkmcnt(6)
	v_mul_f32_e32 v159, v102, v127
	s_waitcnt vmcnt(28)
	v_mul_f32_e32 v160, v104, v128
	s_waitcnt vmcnt(27) lgkmcnt(5)
	v_mul_f32_e32 v161, v106, v129
	s_waitcnt vmcnt(26)
	;; [unrolled: 4-line block ×6, first 2 shown]
	v_fma_f32 v2, v2, v140, -v8
	v_fmac_f32_e32 v157, v3, v140
	v_mul_f32_e32 v3, v103, v127
	s_waitcnt vmcnt(15)
	v_fma_f32 v4, v4, v141, -v126
	v_fmac_f32_e32 v158, v5, v141
	v_add_f32_e32 v2, 0, v2
	v_add_f32_e32 v5, 0, v157
	v_mul_f32_e32 v8, v105, v128
	s_waitcnt vmcnt(14)
	v_fma_f32 v3, v102, v142, -v3
	v_fmac_f32_e32 v159, v103, v142
	v_add_f32_e32 v2, v2, v4
	v_add_f32_e32 v4, v5, v158
	;; [unrolled: 6-line block ×11, first 2 shown]
	v_mul_f32_e32 v5, v125, v138
	s_waitcnt vmcnt(4)
	v_fma_f32 v8, v122, v152, -v8
	v_mul_f32_e32 v170, v124, v138
	v_add_f32_e32 v2, v2, v4
	v_fmac_f32_e32 v169, v123, v152
	v_add_f32_e32 v3, v3, v168
	s_waitcnt lgkmcnt(0)
	v_mul_f32_e32 v4, v7, v139
	s_waitcnt vmcnt(3)
	v_fma_f32 v5, v124, v153, -v5
	v_add_f32_e32 v2, v2, v8
	v_mul_f32_e32 v171, v6, v139
	v_fmac_f32_e32 v170, v125, v153
	v_add_f32_e32 v3, v3, v169
	s_waitcnt vmcnt(2)
	v_fma_f32 v4, v6, v154, -v4
	v_add_f32_e32 v2, v2, v5
	v_fmac_f32_e32 v171, v7, v154
	v_add_f32_e32 v3, v3, v170
	v_add_f32_e32 v2, v2, v4
	;; [unrolled: 1-line block ×3, first 2 shown]
	s_waitcnt vmcnt(1)
	v_sub_f32_e32 v2, v155, v2
	s_waitcnt vmcnt(0)
	v_sub_f32_e32 v3, v156, v3
	buffer_store_dword v2, off, s[0:3], 0 offset:240
	buffer_store_dword v3, off, s[0:3], 0 offset:244
	v_cmpx_lt_u32_e32 29, v0
	s_cbranch_execz .LBB45_231
; %bb.230:
	s_clause 0x1
	buffer_load_dword v2, off, s[0:3], 0 offset:232
	buffer_load_dword v3, off, s[0:3], 0 offset:236
	buffer_store_dword v1, off, s[0:3], 0 offset:232
	buffer_store_dword v1, off, s[0:3], 0 offset:236
	s_waitcnt vmcnt(0)
	ds_write_b64 v101, v[2:3]
.LBB45_231:
	s_or_b32 exec_lo, exec_lo, s4
	s_waitcnt lgkmcnt(0)
	s_waitcnt_vscnt null, 0x0
	s_barrier
	buffer_gl0_inv
	s_clause 0x21
	buffer_load_dword v6, off, s[0:3], 0 offset:244
	buffer_load_dword v7, off, s[0:3], 0 offset:252
	;; [unrolled: 1-line block ×34, first 2 shown]
	ds_read_b128 v[2:5], v1 offset:608
	ds_read_b128 v[102:105], v1 offset:624
	;; [unrolled: 1-line block ×8, first 2 shown]
	s_mov_b32 s4, exec_lo
	s_waitcnt vmcnt(33) lgkmcnt(7)
	v_mul_f32_e32 v1, v2, v6
	v_mul_f32_e32 v6, v3, v6
	s_waitcnt vmcnt(32)
	v_mul_f32_e32 v161, v4, v7
	v_mul_f32_e32 v7, v5, v7
	s_waitcnt vmcnt(31) lgkmcnt(6)
	v_mul_f32_e32 v162, v102, v8
	s_waitcnt vmcnt(30)
	v_mul_f32_e32 v163, v104, v130
	s_waitcnt vmcnt(29) lgkmcnt(5)
	v_mul_f32_e32 v164, v106, v131
	s_waitcnt vmcnt(28)
	;; [unrolled: 4-line block ×6, first 2 shown]
	v_mul_f32_e32 v173, v124, v140
	s_waitcnt vmcnt(17)
	v_fma_f32 v2, v2, v143, -v6
	v_fmac_f32_e32 v1, v3, v143
	v_mul_f32_e32 v3, v103, v8
	s_waitcnt vmcnt(16)
	v_fma_f32 v4, v4, v144, -v7
	v_fmac_f32_e32 v161, v5, v144
	v_add_f32_e32 v2, 0, v2
	v_add_f32_e32 v1, 0, v1
	v_mul_f32_e32 v5, v105, v130
	s_waitcnt vmcnt(15)
	v_fma_f32 v3, v102, v145, -v3
	v_fmac_f32_e32 v162, v103, v145
	v_add_f32_e32 v2, v2, v4
	v_add_f32_e32 v1, v1, v161
	;; [unrolled: 6-line block ×12, first 2 shown]
	s_waitcnt lgkmcnt(0)
	v_mul_f32_e32 v3, v127, v141
	s_waitcnt vmcnt(4)
	v_fma_f32 v4, v124, v156, -v4
	v_mul_f32_e32 v174, v126, v141
	v_add_f32_e32 v2, v2, v5
	v_fmac_f32_e32 v173, v125, v156
	v_add_f32_e32 v1, v1, v172
	v_mul_f32_e32 v5, v129, v142
	s_waitcnt vmcnt(3)
	v_fma_f32 v3, v126, v157, -v3
	v_add_f32_e32 v2, v2, v4
	v_mul_f32_e32 v175, v128, v142
	v_fmac_f32_e32 v174, v127, v157
	v_add_f32_e32 v1, v1, v173
	s_waitcnt vmcnt(2)
	v_fma_f32 v4, v128, v158, -v5
	v_add_f32_e32 v2, v2, v3
	v_fmac_f32_e32 v175, v129, v158
	v_add_f32_e32 v1, v1, v174
	v_add_f32_e32 v2, v2, v4
	v_add_f32_e32 v1, v1, v175
	s_waitcnt vmcnt(1)
	v_sub_f32_e32 v2, v159, v2
	s_waitcnt vmcnt(0)
	v_sub_f32_e32 v1, v160, v1
	buffer_store_dword v2, off, s[0:3], 0 offset:232
	buffer_store_dword v1, off, s[0:3], 0 offset:236
	v_cmpx_lt_u32_e32 28, v0
	s_cbranch_execz .LBB45_233
; %bb.232:
	s_clause 0x1
	buffer_load_dword v1, off, s[0:3], 0 offset:224
	buffer_load_dword v2, off, s[0:3], 0 offset:228
	v_mov_b32_e32 v3, 0
	buffer_store_dword v3, off, s[0:3], 0 offset:224
	buffer_store_dword v3, off, s[0:3], 0 offset:228
	s_waitcnt vmcnt(0)
	ds_write_b64 v101, v[1:2]
.LBB45_233:
	s_or_b32 exec_lo, exec_lo, s4
	s_waitcnt lgkmcnt(0)
	s_waitcnt_vscnt null, 0x0
	s_barrier
	buffer_gl0_inv
	s_clause 0x23
	buffer_load_dword v8, off, s[0:3], 0 offset:236
	buffer_load_dword v130, off, s[0:3], 0 offset:244
	;; [unrolled: 1-line block ×36, first 2 shown]
	v_mov_b32_e32 v1, 0
	ds_read2_b64 v[2:5], v1 offset0:75 offset1:76
	ds_read2_b64 v[102:105], v1 offset0:77 offset1:78
	;; [unrolled: 1-line block ×8, first 2 shown]
	ds_read_b64 v[6:7], v1 offset:728
	s_mov_b32 s4, exec_lo
	s_waitcnt vmcnt(35) lgkmcnt(8)
	v_mul_f32_e32 v165, v2, v8
	v_mul_f32_e32 v8, v3, v8
	s_waitcnt vmcnt(34)
	v_mul_f32_e32 v166, v4, v130
	v_mul_f32_e32 v130, v5, v130
	s_waitcnt vmcnt(33) lgkmcnt(7)
	v_mul_f32_e32 v167, v102, v131
	s_waitcnt vmcnt(32)
	v_mul_f32_e32 v168, v104, v132
	s_waitcnt vmcnt(31) lgkmcnt(6)
	v_mul_f32_e32 v169, v106, v133
	s_waitcnt vmcnt(30)
	v_mul_f32_e32 v170, v108, v134
	s_waitcnt vmcnt(29) lgkmcnt(5)
	v_mul_f32_e32 v171, v110, v135
	s_waitcnt vmcnt(28)
	v_mul_f32_e32 v172, v112, v136
	s_waitcnt vmcnt(27) lgkmcnt(4)
	v_mul_f32_e32 v173, v114, v137
	s_waitcnt vmcnt(26)
	v_mul_f32_e32 v174, v116, v138
	s_waitcnt vmcnt(25) lgkmcnt(3)
	v_mul_f32_e32 v175, v118, v139
	s_waitcnt vmcnt(24)
	v_mul_f32_e32 v176, v120, v140
	s_waitcnt vmcnt(23) lgkmcnt(2)
	v_mul_f32_e32 v177, v122, v141
	s_waitcnt vmcnt(22)
	v_mul_f32_e32 v178, v124, v142
	s_waitcnt vmcnt(21) lgkmcnt(1)
	v_mul_f32_e32 v179, v126, v143
	s_waitcnt vmcnt(18)
	v_fma_f32 v2, v2, v146, -v8
	v_fmac_f32_e32 v165, v3, v146
	v_mul_f32_e32 v3, v103, v131
	s_waitcnt vmcnt(17)
	v_fma_f32 v4, v4, v147, -v130
	v_fmac_f32_e32 v166, v5, v147
	v_add_f32_e32 v2, 0, v2
	v_add_f32_e32 v5, 0, v165
	v_mul_f32_e32 v8, v105, v132
	s_waitcnt vmcnt(16)
	v_fma_f32 v3, v102, v148, -v3
	v_fmac_f32_e32 v167, v103, v148
	v_add_f32_e32 v2, v2, v4
	v_add_f32_e32 v4, v5, v166
	;; [unrolled: 6-line block ×13, first 2 shown]
	v_mul_f32_e32 v8, v129, v144
	s_waitcnt vmcnt(4)
	v_fma_f32 v4, v126, v160, -v4
	v_mul_f32_e32 v180, v128, v144
	v_add_f32_e32 v2, v2, v5
	v_fmac_f32_e32 v179, v127, v160
	v_add_f32_e32 v3, v3, v178
	s_waitcnt lgkmcnt(0)
	v_mul_f32_e32 v5, v7, v145
	s_waitcnt vmcnt(3)
	v_fma_f32 v8, v128, v161, -v8
	v_add_f32_e32 v2, v2, v4
	v_mul_f32_e32 v181, v6, v145
	v_fmac_f32_e32 v180, v129, v161
	v_add_f32_e32 v3, v3, v179
	s_waitcnt vmcnt(2)
	v_fma_f32 v4, v6, v162, -v5
	v_add_f32_e32 v2, v2, v8
	v_fmac_f32_e32 v181, v7, v162
	v_add_f32_e32 v3, v3, v180
	v_add_f32_e32 v2, v2, v4
	;; [unrolled: 1-line block ×3, first 2 shown]
	s_waitcnt vmcnt(1)
	v_sub_f32_e32 v2, v163, v2
	s_waitcnt vmcnt(0)
	v_sub_f32_e32 v3, v164, v3
	buffer_store_dword v2, off, s[0:3], 0 offset:224
	buffer_store_dword v3, off, s[0:3], 0 offset:228
	v_cmpx_lt_u32_e32 27, v0
	s_cbranch_execz .LBB45_235
; %bb.234:
	s_clause 0x1
	buffer_load_dword v2, off, s[0:3], 0 offset:216
	buffer_load_dword v3, off, s[0:3], 0 offset:220
	buffer_store_dword v1, off, s[0:3], 0 offset:216
	buffer_store_dword v1, off, s[0:3], 0 offset:220
	s_waitcnt vmcnt(0)
	ds_write_b64 v101, v[2:3]
.LBB45_235:
	s_or_b32 exec_lo, exec_lo, s4
	s_waitcnt lgkmcnt(0)
	s_waitcnt_vscnt null, 0x0
	s_barrier
	buffer_gl0_inv
	s_clause 0x25
	buffer_load_dword v6, off, s[0:3], 0 offset:228
	buffer_load_dword v7, off, s[0:3], 0 offset:236
	;; [unrolled: 1-line block ×38, first 2 shown]
	ds_read_b128 v[2:5], v1 offset:592
	ds_read_b128 v[102:105], v1 offset:608
	;; [unrolled: 1-line block ×9, first 2 shown]
	s_mov_b32 s4, exec_lo
	s_waitcnt vmcnt(37) lgkmcnt(8)
	v_mul_f32_e32 v1, v2, v6
	v_mul_f32_e32 v6, v3, v6
	s_waitcnt vmcnt(36)
	v_mul_f32_e32 v169, v4, v7
	v_mul_f32_e32 v7, v5, v7
	s_waitcnt vmcnt(35) lgkmcnt(7)
	v_mul_f32_e32 v170, v102, v8
	s_waitcnt vmcnt(34)
	v_mul_f32_e32 v171, v104, v134
	s_waitcnt vmcnt(33) lgkmcnt(6)
	v_mul_f32_e32 v172, v106, v135
	s_waitcnt vmcnt(32)
	;; [unrolled: 4-line block ×7, first 2 shown]
	v_mul_f32_e32 v183, v128, v146
	s_waitcnt vmcnt(19)
	v_fma_f32 v2, v2, v149, -v6
	v_fmac_f32_e32 v1, v3, v149
	v_mul_f32_e32 v3, v103, v8
	s_waitcnt vmcnt(18)
	v_fma_f32 v4, v4, v150, -v7
	v_fmac_f32_e32 v169, v5, v150
	v_add_f32_e32 v2, 0, v2
	v_add_f32_e32 v1, 0, v1
	v_mul_f32_e32 v5, v105, v134
	s_waitcnt vmcnt(17)
	v_fma_f32 v3, v102, v151, -v3
	v_fmac_f32_e32 v170, v103, v151
	v_add_f32_e32 v2, v2, v4
	v_add_f32_e32 v1, v1, v169
	;; [unrolled: 6-line block ×14, first 2 shown]
	s_waitcnt lgkmcnt(0)
	v_mul_f32_e32 v4, v131, v147
	s_waitcnt vmcnt(4)
	v_fma_f32 v5, v128, v164, -v5
	v_mul_f32_e32 v184, v130, v147
	v_add_f32_e32 v2, v2, v3
	v_fmac_f32_e32 v183, v129, v164
	v_add_f32_e32 v1, v1, v182
	v_mul_f32_e32 v3, v133, v148
	s_waitcnt vmcnt(3)
	v_fma_f32 v4, v130, v165, -v4
	v_add_f32_e32 v2, v2, v5
	v_mul_f32_e32 v185, v132, v148
	v_fmac_f32_e32 v184, v131, v165
	v_add_f32_e32 v1, v1, v183
	s_waitcnt vmcnt(2)
	v_fma_f32 v3, v132, v166, -v3
	v_add_f32_e32 v2, v2, v4
	v_fmac_f32_e32 v185, v133, v166
	v_add_f32_e32 v1, v1, v184
	v_add_f32_e32 v2, v2, v3
	;; [unrolled: 1-line block ×3, first 2 shown]
	s_waitcnt vmcnt(1)
	v_sub_f32_e32 v2, v167, v2
	s_waitcnt vmcnt(0)
	v_sub_f32_e32 v1, v168, v1
	buffer_store_dword v2, off, s[0:3], 0 offset:216
	buffer_store_dword v1, off, s[0:3], 0 offset:220
	v_cmpx_lt_u32_e32 26, v0
	s_cbranch_execz .LBB45_237
; %bb.236:
	s_clause 0x1
	buffer_load_dword v1, off, s[0:3], 0 offset:208
	buffer_load_dword v2, off, s[0:3], 0 offset:212
	v_mov_b32_e32 v3, 0
	buffer_store_dword v3, off, s[0:3], 0 offset:208
	buffer_store_dword v3, off, s[0:3], 0 offset:212
	s_waitcnt vmcnt(0)
	ds_write_b64 v101, v[1:2]
.LBB45_237:
	s_or_b32 exec_lo, exec_lo, s4
	s_waitcnt lgkmcnt(0)
	s_waitcnt_vscnt null, 0x0
	s_barrier
	buffer_gl0_inv
	s_clause 0x27
	buffer_load_dword v8, off, s[0:3], 0 offset:220
	buffer_load_dword v134, off, s[0:3], 0 offset:228
	;; [unrolled: 1-line block ×40, first 2 shown]
	v_mov_b32_e32 v1, 0
	ds_read2_b64 v[2:5], v1 offset0:73 offset1:74
	ds_read2_b64 v[102:105], v1 offset0:75 offset1:76
	;; [unrolled: 1-line block ×9, first 2 shown]
	ds_read_b64 v[6:7], v1 offset:728
	s_mov_b32 s4, exec_lo
	s_waitcnt vmcnt(39) lgkmcnt(9)
	v_mul_f32_e32 v173, v2, v8
	v_mul_f32_e32 v8, v3, v8
	s_waitcnt vmcnt(38)
	v_mul_f32_e32 v174, v4, v134
	v_mul_f32_e32 v134, v5, v134
	s_waitcnt vmcnt(37) lgkmcnt(8)
	v_mul_f32_e32 v175, v102, v135
	s_waitcnt vmcnt(36)
	v_mul_f32_e32 v176, v104, v136
	s_waitcnt vmcnt(35) lgkmcnt(7)
	v_mul_f32_e32 v177, v106, v137
	s_waitcnt vmcnt(34)
	v_mul_f32_e32 v178, v108, v138
	s_waitcnt vmcnt(33) lgkmcnt(6)
	v_mul_f32_e32 v179, v110, v139
	s_waitcnt vmcnt(32)
	v_mul_f32_e32 v180, v112, v140
	s_waitcnt vmcnt(31) lgkmcnt(5)
	v_mul_f32_e32 v181, v114, v141
	s_waitcnt vmcnt(30)
	v_mul_f32_e32 v182, v116, v142
	s_waitcnt vmcnt(29) lgkmcnt(4)
	v_mul_f32_e32 v183, v118, v143
	s_waitcnt vmcnt(28)
	v_mul_f32_e32 v184, v120, v144
	s_waitcnt vmcnt(27) lgkmcnt(3)
	v_mul_f32_e32 v185, v122, v145
	s_waitcnt vmcnt(26)
	v_mul_f32_e32 v186, v124, v146
	s_waitcnt vmcnt(25) lgkmcnt(2)
	v_mul_f32_e32 v187, v126, v147
	s_waitcnt vmcnt(24)
	v_mul_f32_e32 v188, v128, v148
	s_waitcnt vmcnt(23) lgkmcnt(1)
	v_mul_f32_e32 v189, v130, v149
	s_waitcnt vmcnt(20)
	v_fma_f32 v2, v2, v152, -v8
	v_fmac_f32_e32 v173, v3, v152
	v_mul_f32_e32 v3, v103, v135
	s_waitcnt vmcnt(19)
	v_fma_f32 v4, v4, v153, -v134
	v_fmac_f32_e32 v174, v5, v153
	v_add_f32_e32 v2, 0, v2
	v_add_f32_e32 v5, 0, v173
	v_mul_f32_e32 v8, v105, v136
	s_waitcnt vmcnt(18)
	v_fma_f32 v3, v102, v154, -v3
	v_fmac_f32_e32 v175, v103, v154
	v_add_f32_e32 v2, v2, v4
	v_add_f32_e32 v4, v5, v174
	;; [unrolled: 6-line block ×15, first 2 shown]
	v_mul_f32_e32 v4, v133, v150
	s_waitcnt vmcnt(4)
	v_fma_f32 v5, v130, v168, -v5
	v_mul_f32_e32 v190, v132, v150
	v_add_f32_e32 v2, v2, v8
	v_fmac_f32_e32 v189, v131, v168
	v_add_f32_e32 v3, v3, v188
	s_waitcnt lgkmcnt(0)
	v_mul_f32_e32 v8, v7, v151
	s_waitcnt vmcnt(3)
	v_fma_f32 v4, v132, v169, -v4
	v_add_f32_e32 v2, v2, v5
	v_mul_f32_e32 v191, v6, v151
	v_fmac_f32_e32 v190, v133, v169
	v_add_f32_e32 v3, v3, v189
	s_waitcnt vmcnt(2)
	v_fma_f32 v5, v6, v170, -v8
	v_add_f32_e32 v2, v2, v4
	v_fmac_f32_e32 v191, v7, v170
	v_add_f32_e32 v3, v3, v190
	v_add_f32_e32 v2, v2, v5
	;; [unrolled: 1-line block ×3, first 2 shown]
	s_waitcnt vmcnt(1)
	v_sub_f32_e32 v2, v171, v2
	s_waitcnt vmcnt(0)
	v_sub_f32_e32 v3, v172, v3
	buffer_store_dword v2, off, s[0:3], 0 offset:208
	buffer_store_dword v3, off, s[0:3], 0 offset:212
	v_cmpx_lt_u32_e32 25, v0
	s_cbranch_execz .LBB45_239
; %bb.238:
	s_clause 0x1
	buffer_load_dword v2, off, s[0:3], 0 offset:200
	buffer_load_dword v3, off, s[0:3], 0 offset:204
	buffer_store_dword v1, off, s[0:3], 0 offset:200
	buffer_store_dword v1, off, s[0:3], 0 offset:204
	s_waitcnt vmcnt(0)
	ds_write_b64 v101, v[2:3]
.LBB45_239:
	s_or_b32 exec_lo, exec_lo, s4
	s_waitcnt lgkmcnt(0)
	s_waitcnt_vscnt null, 0x0
	s_barrier
	buffer_gl0_inv
	s_clause 0x29
	buffer_load_dword v6, off, s[0:3], 0 offset:212
	buffer_load_dword v7, off, s[0:3], 0 offset:220
	;; [unrolled: 1-line block ×42, first 2 shown]
	ds_read_b128 v[2:5], v1 offset:576
	ds_read_b128 v[102:105], v1 offset:592
	;; [unrolled: 1-line block ×10, first 2 shown]
	s_mov_b32 s4, exec_lo
	s_waitcnt vmcnt(41) lgkmcnt(9)
	v_mul_f32_e32 v1, v2, v6
	v_mul_f32_e32 v6, v3, v6
	s_waitcnt vmcnt(40)
	v_mul_f32_e32 v177, v4, v7
	v_mul_f32_e32 v7, v5, v7
	s_waitcnt vmcnt(39) lgkmcnt(8)
	v_mul_f32_e32 v178, v102, v8
	s_waitcnt vmcnt(38)
	v_mul_f32_e32 v179, v104, v138
	s_waitcnt vmcnt(37) lgkmcnt(7)
	v_mul_f32_e32 v180, v106, v139
	s_waitcnt vmcnt(36)
	;; [unrolled: 4-line block ×8, first 2 shown]
	v_mul_f32_e32 v193, v132, v152
	s_waitcnt vmcnt(21)
	v_fma_f32 v2, v2, v155, -v6
	v_fmac_f32_e32 v1, v3, v155
	v_mul_f32_e32 v3, v103, v8
	s_waitcnt vmcnt(20)
	v_fma_f32 v4, v4, v156, -v7
	v_fmac_f32_e32 v177, v5, v156
	v_add_f32_e32 v2, 0, v2
	v_add_f32_e32 v1, 0, v1
	v_mul_f32_e32 v5, v105, v138
	s_waitcnt vmcnt(19)
	v_fma_f32 v3, v102, v157, -v3
	v_fmac_f32_e32 v178, v103, v157
	v_add_f32_e32 v2, v2, v4
	v_add_f32_e32 v1, v1, v177
	;; [unrolled: 6-line block ×16, first 2 shown]
	s_waitcnt lgkmcnt(0)
	v_mul_f32_e32 v5, v135, v153
	s_waitcnt vmcnt(4)
	v_fma_f32 v3, v132, v172, -v3
	v_mul_f32_e32 v194, v134, v153
	v_add_f32_e32 v2, v2, v4
	v_fmac_f32_e32 v193, v133, v172
	v_add_f32_e32 v1, v1, v192
	v_mul_f32_e32 v4, v137, v154
	s_waitcnt vmcnt(3)
	v_fma_f32 v5, v134, v173, -v5
	v_add_f32_e32 v2, v2, v3
	v_mul_f32_e32 v195, v136, v154
	v_fmac_f32_e32 v194, v135, v173
	v_add_f32_e32 v1, v1, v193
	s_waitcnt vmcnt(2)
	v_fma_f32 v3, v136, v174, -v4
	v_add_f32_e32 v2, v2, v5
	v_fmac_f32_e32 v195, v137, v174
	v_add_f32_e32 v1, v1, v194
	v_add_f32_e32 v2, v2, v3
	;; [unrolled: 1-line block ×3, first 2 shown]
	s_waitcnt vmcnt(1)
	v_sub_f32_e32 v2, v175, v2
	s_waitcnt vmcnt(0)
	v_sub_f32_e32 v1, v176, v1
	buffer_store_dword v2, off, s[0:3], 0 offset:200
	buffer_store_dword v1, off, s[0:3], 0 offset:204
	v_cmpx_lt_u32_e32 24, v0
	s_cbranch_execz .LBB45_241
; %bb.240:
	s_clause 0x1
	buffer_load_dword v1, off, s[0:3], 0 offset:192
	buffer_load_dword v2, off, s[0:3], 0 offset:196
	v_mov_b32_e32 v3, 0
	buffer_store_dword v3, off, s[0:3], 0 offset:192
	buffer_store_dword v3, off, s[0:3], 0 offset:196
	s_waitcnt vmcnt(0)
	ds_write_b64 v101, v[1:2]
.LBB45_241:
	s_or_b32 exec_lo, exec_lo, s4
	s_waitcnt lgkmcnt(0)
	s_waitcnt_vscnt null, 0x0
	s_barrier
	buffer_gl0_inv
	s_clause 0x2b
	buffer_load_dword v8, off, s[0:3], 0 offset:204
	buffer_load_dword v138, off, s[0:3], 0 offset:212
	;; [unrolled: 1-line block ×44, first 2 shown]
	v_mov_b32_e32 v1, 0
	ds_read2_b64 v[2:5], v1 offset0:71 offset1:72
	ds_read2_b64 v[102:105], v1 offset0:73 offset1:74
	;; [unrolled: 1-line block ×10, first 2 shown]
	ds_read_b64 v[6:7], v1 offset:728
	s_mov_b32 s4, exec_lo
	s_waitcnt vmcnt(43) lgkmcnt(10)
	v_mul_f32_e32 v181, v2, v8
	v_mul_f32_e32 v8, v3, v8
	s_waitcnt vmcnt(42)
	v_mul_f32_e32 v182, v4, v138
	v_mul_f32_e32 v138, v5, v138
	s_waitcnt vmcnt(41) lgkmcnt(9)
	v_mul_f32_e32 v183, v102, v139
	s_waitcnt vmcnt(40)
	v_mul_f32_e32 v184, v104, v140
	s_waitcnt vmcnt(39) lgkmcnt(8)
	v_mul_f32_e32 v185, v106, v141
	s_waitcnt vmcnt(38)
	;; [unrolled: 4-line block ×9, first 2 shown]
	v_fma_f32 v2, v2, v158, -v8
	v_fmac_f32_e32 v181, v3, v158
	v_mul_f32_e32 v3, v103, v139
	s_waitcnt vmcnt(21)
	v_fma_f32 v4, v4, v159, -v138
	v_fmac_f32_e32 v182, v5, v159
	v_add_f32_e32 v2, 0, v2
	v_add_f32_e32 v5, 0, v181
	v_mul_f32_e32 v8, v105, v140
	s_waitcnt vmcnt(20)
	v_fma_f32 v3, v102, v160, -v3
	v_fmac_f32_e32 v183, v103, v160
	v_add_f32_e32 v2, v2, v4
	v_add_f32_e32 v4, v5, v182
	;; [unrolled: 6-line block ×17, first 2 shown]
	v_mul_f32_e32 v5, v137, v156
	s_waitcnt vmcnt(4)
	v_fma_f32 v8, v134, v176, -v8
	v_mul_f32_e32 v200, v136, v156
	v_add_f32_e32 v2, v2, v4
	v_fmac_f32_e32 v199, v135, v176
	v_add_f32_e32 v3, v3, v198
	s_waitcnt lgkmcnt(0)
	v_mul_f32_e32 v4, v7, v157
	s_waitcnt vmcnt(3)
	v_fma_f32 v5, v136, v177, -v5
	v_add_f32_e32 v2, v2, v8
	v_mul_f32_e32 v201, v6, v157
	v_fmac_f32_e32 v200, v137, v177
	v_add_f32_e32 v3, v3, v199
	s_waitcnt vmcnt(2)
	v_fma_f32 v4, v6, v178, -v4
	v_add_f32_e32 v2, v2, v5
	v_fmac_f32_e32 v201, v7, v178
	v_add_f32_e32 v3, v3, v200
	v_add_f32_e32 v2, v2, v4
	;; [unrolled: 1-line block ×3, first 2 shown]
	s_waitcnt vmcnt(1)
	v_sub_f32_e32 v2, v179, v2
	s_waitcnt vmcnt(0)
	v_sub_f32_e32 v3, v180, v3
	buffer_store_dword v2, off, s[0:3], 0 offset:192
	buffer_store_dword v3, off, s[0:3], 0 offset:196
	v_cmpx_lt_u32_e32 23, v0
	s_cbranch_execz .LBB45_243
; %bb.242:
	s_clause 0x1
	buffer_load_dword v2, off, s[0:3], 0 offset:184
	buffer_load_dword v3, off, s[0:3], 0 offset:188
	buffer_store_dword v1, off, s[0:3], 0 offset:184
	buffer_store_dword v1, off, s[0:3], 0 offset:188
	s_waitcnt vmcnt(0)
	ds_write_b64 v101, v[2:3]
.LBB45_243:
	s_or_b32 exec_lo, exec_lo, s4
	s_waitcnt lgkmcnt(0)
	s_waitcnt_vscnt null, 0x0
	s_barrier
	buffer_gl0_inv
	s_clause 0x2d
	buffer_load_dword v6, off, s[0:3], 0 offset:196
	buffer_load_dword v7, off, s[0:3], 0 offset:204
	;; [unrolled: 1-line block ×46, first 2 shown]
	ds_read_b128 v[2:5], v1 offset:560
	ds_read_b128 v[102:105], v1 offset:576
	;; [unrolled: 1-line block ×11, first 2 shown]
	s_mov_b32 s4, exec_lo
	s_waitcnt vmcnt(45) lgkmcnt(10)
	v_mul_f32_e32 v1, v2, v6
	v_mul_f32_e32 v6, v3, v6
	s_waitcnt vmcnt(44)
	v_mul_f32_e32 v185, v4, v7
	v_mul_f32_e32 v7, v5, v7
	s_waitcnt vmcnt(43) lgkmcnt(9)
	v_mul_f32_e32 v186, v102, v8
	s_waitcnt vmcnt(42)
	v_mul_f32_e32 v187, v104, v142
	s_waitcnt vmcnt(41) lgkmcnt(8)
	v_mul_f32_e32 v188, v106, v143
	s_waitcnt vmcnt(40)
	;; [unrolled: 4-line block ×9, first 2 shown]
	v_mul_f32_e32 v203, v136, v158
	s_waitcnt vmcnt(23)
	v_fma_f32 v2, v2, v161, -v6
	v_fmac_f32_e32 v1, v3, v161
	v_mul_f32_e32 v3, v103, v8
	s_waitcnt vmcnt(22)
	v_fma_f32 v4, v4, v162, -v7
	v_fmac_f32_e32 v185, v5, v162
	v_add_f32_e32 v2, 0, v2
	v_add_f32_e32 v1, 0, v1
	v_mul_f32_e32 v5, v105, v142
	s_waitcnt vmcnt(21)
	v_fma_f32 v3, v102, v163, -v3
	v_fmac_f32_e32 v186, v103, v163
	v_add_f32_e32 v2, v2, v4
	v_add_f32_e32 v1, v1, v185
	;; [unrolled: 6-line block ×18, first 2 shown]
	s_waitcnt lgkmcnt(0)
	v_mul_f32_e32 v3, v139, v159
	s_waitcnt vmcnt(4)
	v_fma_f32 v4, v136, v180, -v4
	v_mul_f32_e32 v204, v138, v159
	v_add_f32_e32 v2, v2, v5
	v_fmac_f32_e32 v203, v137, v180
	v_add_f32_e32 v1, v1, v202
	v_mul_f32_e32 v5, v141, v160
	s_waitcnt vmcnt(3)
	v_fma_f32 v3, v138, v181, -v3
	v_add_f32_e32 v2, v2, v4
	v_mul_f32_e32 v205, v140, v160
	v_fmac_f32_e32 v204, v139, v181
	v_add_f32_e32 v1, v1, v203
	s_waitcnt vmcnt(2)
	v_fma_f32 v4, v140, v182, -v5
	v_add_f32_e32 v2, v2, v3
	v_fmac_f32_e32 v205, v141, v182
	v_add_f32_e32 v1, v1, v204
	v_add_f32_e32 v2, v2, v4
	;; [unrolled: 1-line block ×3, first 2 shown]
	s_waitcnt vmcnt(1)
	v_sub_f32_e32 v2, v183, v2
	s_waitcnt vmcnt(0)
	v_sub_f32_e32 v1, v184, v1
	buffer_store_dword v2, off, s[0:3], 0 offset:184
	buffer_store_dword v1, off, s[0:3], 0 offset:188
	v_cmpx_lt_u32_e32 22, v0
	s_cbranch_execz .LBB45_245
; %bb.244:
	s_clause 0x1
	buffer_load_dword v1, off, s[0:3], 0 offset:176
	buffer_load_dword v2, off, s[0:3], 0 offset:180
	v_mov_b32_e32 v3, 0
	buffer_store_dword v3, off, s[0:3], 0 offset:176
	buffer_store_dword v3, off, s[0:3], 0 offset:180
	s_waitcnt vmcnt(0)
	ds_write_b64 v101, v[1:2]
.LBB45_245:
	s_or_b32 exec_lo, exec_lo, s4
	s_waitcnt lgkmcnt(0)
	s_waitcnt_vscnt null, 0x0
	s_barrier
	buffer_gl0_inv
	s_clause 0x2f
	buffer_load_dword v8, off, s[0:3], 0 offset:188
	buffer_load_dword v142, off, s[0:3], 0 offset:196
	;; [unrolled: 1-line block ×48, first 2 shown]
	v_mov_b32_e32 v1, 0
	ds_read2_b64 v[2:5], v1 offset0:69 offset1:70
	ds_read2_b64 v[102:105], v1 offset0:71 offset1:72
	;; [unrolled: 1-line block ×11, first 2 shown]
	ds_read_b64 v[6:7], v1 offset:728
	s_mov_b32 s4, exec_lo
	s_waitcnt vmcnt(47) lgkmcnt(11)
	v_mul_f32_e32 v189, v2, v8
	v_mul_f32_e32 v8, v3, v8
	s_waitcnt vmcnt(46)
	v_mul_f32_e32 v190, v4, v142
	v_mul_f32_e32 v142, v5, v142
	s_waitcnt vmcnt(45) lgkmcnt(10)
	v_mul_f32_e32 v191, v102, v143
	s_waitcnt vmcnt(44)
	v_mul_f32_e32 v192, v104, v144
	s_waitcnt vmcnt(43) lgkmcnt(9)
	v_mul_f32_e32 v193, v106, v145
	s_waitcnt vmcnt(42)
	;; [unrolled: 4-line block ×10, first 2 shown]
	v_fma_f32 v2, v2, v164, -v8
	v_fmac_f32_e32 v189, v3, v164
	v_mul_f32_e32 v3, v103, v143
	s_waitcnt vmcnt(23)
	v_fma_f32 v4, v4, v165, -v142
	v_fmac_f32_e32 v190, v5, v165
	v_add_f32_e32 v2, 0, v2
	v_add_f32_e32 v5, 0, v189
	v_mul_f32_e32 v8, v105, v144
	s_waitcnt vmcnt(22)
	v_fma_f32 v3, v102, v166, -v3
	v_fmac_f32_e32 v191, v103, v166
	v_add_f32_e32 v2, v2, v4
	v_add_f32_e32 v4, v5, v190
	;; [unrolled: 6-line block ×19, first 2 shown]
	v_mul_f32_e32 v8, v141, v162
	s_waitcnt vmcnt(4)
	v_fma_f32 v4, v138, v184, -v4
	v_mul_f32_e32 v210, v140, v162
	v_add_f32_e32 v2, v2, v5
	v_fmac_f32_e32 v209, v139, v184
	v_add_f32_e32 v3, v3, v208
	s_waitcnt lgkmcnt(0)
	v_mul_f32_e32 v5, v7, v163
	s_waitcnt vmcnt(3)
	v_fma_f32 v8, v140, v185, -v8
	v_add_f32_e32 v2, v2, v4
	v_mul_f32_e32 v211, v6, v163
	v_fmac_f32_e32 v210, v141, v185
	v_add_f32_e32 v3, v3, v209
	s_waitcnt vmcnt(2)
	v_fma_f32 v4, v6, v186, -v5
	v_add_f32_e32 v2, v2, v8
	v_fmac_f32_e32 v211, v7, v186
	v_add_f32_e32 v3, v3, v210
	v_add_f32_e32 v2, v2, v4
	;; [unrolled: 1-line block ×3, first 2 shown]
	s_waitcnt vmcnt(1)
	v_sub_f32_e32 v2, v187, v2
	s_waitcnt vmcnt(0)
	v_sub_f32_e32 v3, v188, v3
	buffer_store_dword v2, off, s[0:3], 0 offset:176
	buffer_store_dword v3, off, s[0:3], 0 offset:180
	v_cmpx_lt_u32_e32 21, v0
	s_cbranch_execz .LBB45_247
; %bb.246:
	s_clause 0x1
	buffer_load_dword v2, off, s[0:3], 0 offset:168
	buffer_load_dword v3, off, s[0:3], 0 offset:172
	buffer_store_dword v1, off, s[0:3], 0 offset:168
	buffer_store_dword v1, off, s[0:3], 0 offset:172
	s_waitcnt vmcnt(0)
	ds_write_b64 v101, v[2:3]
.LBB45_247:
	s_or_b32 exec_lo, exec_lo, s4
	s_waitcnt lgkmcnt(0)
	s_waitcnt_vscnt null, 0x0
	s_barrier
	buffer_gl0_inv
	s_clause 0x31
	buffer_load_dword v6, off, s[0:3], 0 offset:180
	buffer_load_dword v7, off, s[0:3], 0 offset:188
	buffer_load_dword v8, off, s[0:3], 0 offset:196
	buffer_load_dword v146, off, s[0:3], 0 offset:204
	buffer_load_dword v147, off, s[0:3], 0 offset:212
	buffer_load_dword v148, off, s[0:3], 0 offset:220
	buffer_load_dword v149, off, s[0:3], 0 offset:228
	buffer_load_dword v150, off, s[0:3], 0 offset:236
	buffer_load_dword v151, off, s[0:3], 0 offset:244
	buffer_load_dword v152, off, s[0:3], 0 offset:252
	buffer_load_dword v153, off, s[0:3], 0 offset:260
	buffer_load_dword v154, off, s[0:3], 0 offset:268
	buffer_load_dword v155, off, s[0:3], 0 offset:276
	buffer_load_dword v156, off, s[0:3], 0 offset:284
	buffer_load_dword v157, off, s[0:3], 0 offset:292
	buffer_load_dword v158, off, s[0:3], 0 offset:300
	buffer_load_dword v159, off, s[0:3], 0 offset:308
	buffer_load_dword v160, off, s[0:3], 0 offset:316
	buffer_load_dword v161, off, s[0:3], 0 offset:324
	buffer_load_dword v162, off, s[0:3], 0 offset:332
	buffer_load_dword v163, off, s[0:3], 0 offset:340
	buffer_load_dword v164, off, s[0:3], 0 offset:348
	buffer_load_dword v165, off, s[0:3], 0 offset:356
	buffer_load_dword v166, off, s[0:3], 0 offset:364
	buffer_load_dword v167, off, s[0:3], 0 offset:176
	buffer_load_dword v168, off, s[0:3], 0 offset:184
	buffer_load_dword v169, off, s[0:3], 0 offset:192
	buffer_load_dword v170, off, s[0:3], 0 offset:200
	buffer_load_dword v171, off, s[0:3], 0 offset:208
	buffer_load_dword v172, off, s[0:3], 0 offset:216
	buffer_load_dword v173, off, s[0:3], 0 offset:224
	buffer_load_dword v174, off, s[0:3], 0 offset:232
	buffer_load_dword v175, off, s[0:3], 0 offset:240
	buffer_load_dword v176, off, s[0:3], 0 offset:248
	buffer_load_dword v177, off, s[0:3], 0 offset:256
	buffer_load_dword v178, off, s[0:3], 0 offset:264
	buffer_load_dword v179, off, s[0:3], 0 offset:272
	buffer_load_dword v180, off, s[0:3], 0 offset:280
	buffer_load_dword v181, off, s[0:3], 0 offset:288
	buffer_load_dword v182, off, s[0:3], 0 offset:296
	buffer_load_dword v183, off, s[0:3], 0 offset:304
	buffer_load_dword v184, off, s[0:3], 0 offset:312
	buffer_load_dword v185, off, s[0:3], 0 offset:320
	buffer_load_dword v186, off, s[0:3], 0 offset:328
	buffer_load_dword v187, off, s[0:3], 0 offset:336
	buffer_load_dword v188, off, s[0:3], 0 offset:344
	buffer_load_dword v189, off, s[0:3], 0 offset:352
	buffer_load_dword v190, off, s[0:3], 0 offset:360
	buffer_load_dword v191, off, s[0:3], 0 offset:168
	buffer_load_dword v192, off, s[0:3], 0 offset:172
	ds_read_b128 v[2:5], v1 offset:544
	ds_read_b128 v[102:105], v1 offset:560
	;; [unrolled: 1-line block ×12, first 2 shown]
	s_mov_b32 s4, exec_lo
	s_waitcnt vmcnt(49) lgkmcnt(11)
	v_mul_f32_e32 v1, v2, v6
	v_mul_f32_e32 v6, v3, v6
	s_waitcnt vmcnt(48)
	v_mul_f32_e32 v193, v4, v7
	v_mul_f32_e32 v7, v5, v7
	s_waitcnt vmcnt(47) lgkmcnt(10)
	v_mul_f32_e32 v194, v102, v8
	s_waitcnt vmcnt(46)
	v_mul_f32_e32 v195, v104, v146
	s_waitcnt vmcnt(45) lgkmcnt(9)
	v_mul_f32_e32 v196, v106, v147
	s_waitcnt vmcnt(44)
	;; [unrolled: 4-line block ×10, first 2 shown]
	v_mul_f32_e32 v213, v140, v164
	s_waitcnt vmcnt(25)
	v_fma_f32 v2, v2, v167, -v6
	v_fmac_f32_e32 v1, v3, v167
	v_mul_f32_e32 v3, v103, v8
	s_waitcnt vmcnt(24)
	v_fma_f32 v4, v4, v168, -v7
	v_fmac_f32_e32 v193, v5, v168
	v_add_f32_e32 v2, 0, v2
	v_add_f32_e32 v1, 0, v1
	v_mul_f32_e32 v5, v105, v146
	s_waitcnt vmcnt(23)
	v_fma_f32 v3, v102, v169, -v3
	v_fmac_f32_e32 v194, v103, v169
	v_add_f32_e32 v2, v2, v4
	v_add_f32_e32 v1, v1, v193
	;; [unrolled: 6-line block ×20, first 2 shown]
	s_waitcnt lgkmcnt(0)
	v_mul_f32_e32 v4, v143, v165
	s_waitcnt vmcnt(4)
	v_fma_f32 v5, v140, v188, -v5
	v_mul_f32_e32 v214, v142, v165
	v_add_f32_e32 v2, v2, v3
	v_fmac_f32_e32 v213, v141, v188
	v_add_f32_e32 v1, v1, v212
	v_mul_f32_e32 v3, v145, v166
	s_waitcnt vmcnt(3)
	v_fma_f32 v4, v142, v189, -v4
	v_add_f32_e32 v2, v2, v5
	v_mul_f32_e32 v215, v144, v166
	v_fmac_f32_e32 v214, v143, v189
	v_add_f32_e32 v1, v1, v213
	s_waitcnt vmcnt(2)
	v_fma_f32 v3, v144, v190, -v3
	v_add_f32_e32 v2, v2, v4
	v_fmac_f32_e32 v215, v145, v190
	v_add_f32_e32 v1, v1, v214
	v_add_f32_e32 v2, v2, v3
	;; [unrolled: 1-line block ×3, first 2 shown]
	s_waitcnt vmcnt(1)
	v_sub_f32_e32 v2, v191, v2
	s_waitcnt vmcnt(0)
	v_sub_f32_e32 v1, v192, v1
	buffer_store_dword v2, off, s[0:3], 0 offset:168
	buffer_store_dword v1, off, s[0:3], 0 offset:172
	v_cmpx_lt_u32_e32 20, v0
	s_cbranch_execz .LBB45_249
; %bb.248:
	s_clause 0x1
	buffer_load_dword v1, off, s[0:3], 0 offset:160
	buffer_load_dword v2, off, s[0:3], 0 offset:164
	v_mov_b32_e32 v3, 0
	buffer_store_dword v3, off, s[0:3], 0 offset:160
	buffer_store_dword v3, off, s[0:3], 0 offset:164
	s_waitcnt vmcnt(0)
	ds_write_b64 v101, v[1:2]
.LBB45_249:
	s_or_b32 exec_lo, exec_lo, s4
	s_waitcnt lgkmcnt(0)
	s_waitcnt_vscnt null, 0x0
	s_barrier
	buffer_gl0_inv
	s_clause 0x33
	buffer_load_dword v8, off, s[0:3], 0 offset:172
	buffer_load_dword v146, off, s[0:3], 0 offset:180
	buffer_load_dword v147, off, s[0:3], 0 offset:188
	buffer_load_dword v148, off, s[0:3], 0 offset:196
	buffer_load_dword v149, off, s[0:3], 0 offset:204
	buffer_load_dword v150, off, s[0:3], 0 offset:212
	buffer_load_dword v151, off, s[0:3], 0 offset:220
	buffer_load_dword v152, off, s[0:3], 0 offset:228
	buffer_load_dword v153, off, s[0:3], 0 offset:236
	buffer_load_dword v154, off, s[0:3], 0 offset:244
	buffer_load_dword v155, off, s[0:3], 0 offset:252
	buffer_load_dword v156, off, s[0:3], 0 offset:260
	buffer_load_dword v157, off, s[0:3], 0 offset:268
	buffer_load_dword v158, off, s[0:3], 0 offset:276
	buffer_load_dword v159, off, s[0:3], 0 offset:284
	buffer_load_dword v160, off, s[0:3], 0 offset:292
	buffer_load_dword v161, off, s[0:3], 0 offset:300
	buffer_load_dword v162, off, s[0:3], 0 offset:308
	buffer_load_dword v163, off, s[0:3], 0 offset:316
	buffer_load_dword v164, off, s[0:3], 0 offset:324
	buffer_load_dword v165, off, s[0:3], 0 offset:332
	buffer_load_dword v166, off, s[0:3], 0 offset:340
	buffer_load_dword v167, off, s[0:3], 0 offset:348
	buffer_load_dword v168, off, s[0:3], 0 offset:356
	buffer_load_dword v169, off, s[0:3], 0 offset:364
	buffer_load_dword v170, off, s[0:3], 0 offset:168
	buffer_load_dword v171, off, s[0:3], 0 offset:176
	buffer_load_dword v172, off, s[0:3], 0 offset:184
	buffer_load_dword v173, off, s[0:3], 0 offset:192
	buffer_load_dword v174, off, s[0:3], 0 offset:200
	buffer_load_dword v175, off, s[0:3], 0 offset:208
	buffer_load_dword v176, off, s[0:3], 0 offset:216
	buffer_load_dword v177, off, s[0:3], 0 offset:224
	buffer_load_dword v178, off, s[0:3], 0 offset:232
	buffer_load_dword v179, off, s[0:3], 0 offset:240
	buffer_load_dword v180, off, s[0:3], 0 offset:248
	buffer_load_dword v181, off, s[0:3], 0 offset:256
	buffer_load_dword v182, off, s[0:3], 0 offset:264
	buffer_load_dword v183, off, s[0:3], 0 offset:272
	buffer_load_dword v184, off, s[0:3], 0 offset:280
	buffer_load_dword v185, off, s[0:3], 0 offset:288
	buffer_load_dword v186, off, s[0:3], 0 offset:296
	buffer_load_dword v187, off, s[0:3], 0 offset:304
	buffer_load_dword v188, off, s[0:3], 0 offset:312
	buffer_load_dword v189, off, s[0:3], 0 offset:320
	buffer_load_dword v190, off, s[0:3], 0 offset:328
	buffer_load_dword v191, off, s[0:3], 0 offset:336
	buffer_load_dword v192, off, s[0:3], 0 offset:344
	buffer_load_dword v193, off, s[0:3], 0 offset:352
	buffer_load_dword v194, off, s[0:3], 0 offset:360
	buffer_load_dword v195, off, s[0:3], 0 offset:160
	buffer_load_dword v196, off, s[0:3], 0 offset:164
	v_mov_b32_e32 v1, 0
	ds_read2_b64 v[2:5], v1 offset0:67 offset1:68
	ds_read2_b64 v[102:105], v1 offset0:69 offset1:70
	ds_read2_b64 v[106:109], v1 offset0:71 offset1:72
	ds_read2_b64 v[110:113], v1 offset0:73 offset1:74
	ds_read2_b64 v[114:117], v1 offset0:75 offset1:76
	ds_read2_b64 v[118:121], v1 offset0:77 offset1:78
	ds_read2_b64 v[122:125], v1 offset0:79 offset1:80
	ds_read2_b64 v[126:129], v1 offset0:81 offset1:82
	ds_read2_b64 v[130:133], v1 offset0:83 offset1:84
	ds_read2_b64 v[134:137], v1 offset0:85 offset1:86
	ds_read2_b64 v[138:141], v1 offset0:87 offset1:88
	ds_read2_b64 v[142:145], v1 offset0:89 offset1:90
	ds_read_b64 v[6:7], v1 offset:728
	s_mov_b32 s4, exec_lo
	s_waitcnt vmcnt(51) lgkmcnt(12)
	v_mul_f32_e32 v197, v2, v8
	v_mul_f32_e32 v8, v3, v8
	s_waitcnt vmcnt(50)
	v_mul_f32_e32 v198, v4, v146
	v_mul_f32_e32 v146, v5, v146
	s_waitcnt vmcnt(49) lgkmcnt(11)
	v_mul_f32_e32 v199, v102, v147
	s_waitcnt vmcnt(48)
	v_mul_f32_e32 v200, v104, v148
	s_waitcnt vmcnt(47) lgkmcnt(10)
	v_mul_f32_e32 v201, v106, v149
	s_waitcnt vmcnt(46)
	;; [unrolled: 4-line block ×11, first 2 shown]
	v_fma_f32 v2, v2, v170, -v8
	v_fmac_f32_e32 v197, v3, v170
	v_mul_f32_e32 v3, v103, v147
	s_waitcnt vmcnt(25)
	v_fma_f32 v4, v4, v171, -v146
	v_fmac_f32_e32 v198, v5, v171
	v_add_f32_e32 v2, 0, v2
	v_add_f32_e32 v5, 0, v197
	v_mul_f32_e32 v8, v105, v148
	s_waitcnt vmcnt(24)
	v_fma_f32 v3, v102, v172, -v3
	v_fmac_f32_e32 v199, v103, v172
	v_add_f32_e32 v2, v2, v4
	v_add_f32_e32 v4, v5, v198
	;; [unrolled: 6-line block ×21, first 2 shown]
	v_mul_f32_e32 v4, v145, v168
	s_waitcnt vmcnt(4)
	v_fma_f32 v5, v142, v192, -v5
	v_mul_f32_e32 v220, v144, v168
	v_add_f32_e32 v2, v2, v8
	v_fmac_f32_e32 v219, v143, v192
	v_add_f32_e32 v3, v3, v218
	s_waitcnt lgkmcnt(0)
	v_mul_f32_e32 v8, v7, v169
	s_waitcnt vmcnt(3)
	v_fma_f32 v4, v144, v193, -v4
	v_add_f32_e32 v2, v2, v5
	v_mul_f32_e32 v221, v6, v169
	v_fmac_f32_e32 v220, v145, v193
	v_add_f32_e32 v3, v3, v219
	s_waitcnt vmcnt(2)
	v_fma_f32 v5, v6, v194, -v8
	v_add_f32_e32 v2, v2, v4
	v_fmac_f32_e32 v221, v7, v194
	v_add_f32_e32 v3, v3, v220
	v_add_f32_e32 v2, v2, v5
	v_add_f32_e32 v3, v3, v221
	s_waitcnt vmcnt(1)
	v_sub_f32_e32 v2, v195, v2
	s_waitcnt vmcnt(0)
	v_sub_f32_e32 v3, v196, v3
	buffer_store_dword v2, off, s[0:3], 0 offset:160
	buffer_store_dword v3, off, s[0:3], 0 offset:164
	v_cmpx_lt_u32_e32 19, v0
	s_cbranch_execz .LBB45_251
; %bb.250:
	s_clause 0x1
	buffer_load_dword v2, off, s[0:3], 0 offset:152
	buffer_load_dword v3, off, s[0:3], 0 offset:156
	buffer_store_dword v1, off, s[0:3], 0 offset:152
	buffer_store_dword v1, off, s[0:3], 0 offset:156
	s_waitcnt vmcnt(0)
	ds_write_b64 v101, v[2:3]
.LBB45_251:
	s_or_b32 exec_lo, exec_lo, s4
	s_waitcnt lgkmcnt(0)
	s_waitcnt_vscnt null, 0x0
	s_barrier
	buffer_gl0_inv
	s_clause 0x35
	buffer_load_dword v6, off, s[0:3], 0 offset:164
	buffer_load_dword v7, off, s[0:3], 0 offset:172
	;; [unrolled: 1-line block ×54, first 2 shown]
	ds_read_b128 v[2:5], v1 offset:528
	ds_read_b128 v[102:105], v1 offset:544
	;; [unrolled: 1-line block ×13, first 2 shown]
	s_mov_b32 s4, exec_lo
	s_waitcnt vmcnt(53) lgkmcnt(12)
	v_mul_f32_e32 v1, v2, v6
	v_mul_f32_e32 v6, v3, v6
	s_waitcnt vmcnt(52)
	v_mul_f32_e32 v201, v4, v7
	v_mul_f32_e32 v7, v5, v7
	s_waitcnt vmcnt(51) lgkmcnt(11)
	v_mul_f32_e32 v202, v102, v8
	s_waitcnt vmcnt(50)
	v_mul_f32_e32 v203, v104, v150
	s_waitcnt vmcnt(49) lgkmcnt(10)
	v_mul_f32_e32 v204, v106, v151
	s_waitcnt vmcnt(48)
	;; [unrolled: 4-line block ×11, first 2 shown]
	v_mul_f32_e32 v223, v144, v170
	s_waitcnt vmcnt(27)
	v_fma_f32 v2, v2, v173, -v6
	v_fmac_f32_e32 v1, v3, v173
	v_mul_f32_e32 v3, v103, v8
	s_waitcnt vmcnt(26)
	v_fma_f32 v4, v4, v174, -v7
	v_fmac_f32_e32 v201, v5, v174
	v_add_f32_e32 v2, 0, v2
	v_add_f32_e32 v1, 0, v1
	v_mul_f32_e32 v5, v105, v150
	s_waitcnt vmcnt(25)
	v_fma_f32 v3, v102, v175, -v3
	v_fmac_f32_e32 v202, v103, v175
	v_add_f32_e32 v2, v2, v4
	v_add_f32_e32 v1, v1, v201
	;; [unrolled: 6-line block ×22, first 2 shown]
	s_waitcnt lgkmcnt(0)
	v_mul_f32_e32 v5, v147, v171
	s_waitcnt vmcnt(4)
	v_fma_f32 v3, v144, v196, -v3
	v_mul_f32_e32 v224, v146, v171
	v_add_f32_e32 v2, v2, v4
	v_fmac_f32_e32 v223, v145, v196
	v_add_f32_e32 v1, v1, v222
	v_mul_f32_e32 v4, v149, v172
	s_waitcnt vmcnt(3)
	v_fma_f32 v5, v146, v197, -v5
	v_add_f32_e32 v2, v2, v3
	v_mul_f32_e32 v225, v148, v172
	v_fmac_f32_e32 v224, v147, v197
	v_add_f32_e32 v1, v1, v223
	s_waitcnt vmcnt(2)
	v_fma_f32 v3, v148, v198, -v4
	v_add_f32_e32 v2, v2, v5
	v_fmac_f32_e32 v225, v149, v198
	v_add_f32_e32 v1, v1, v224
	v_add_f32_e32 v2, v2, v3
	;; [unrolled: 1-line block ×3, first 2 shown]
	s_waitcnt vmcnt(1)
	v_sub_f32_e32 v2, v199, v2
	s_waitcnt vmcnt(0)
	v_sub_f32_e32 v1, v200, v1
	buffer_store_dword v2, off, s[0:3], 0 offset:152
	buffer_store_dword v1, off, s[0:3], 0 offset:156
	v_cmpx_lt_u32_e32 18, v0
	s_cbranch_execz .LBB45_253
; %bb.252:
	s_clause 0x1
	buffer_load_dword v1, off, s[0:3], 0 offset:144
	buffer_load_dword v2, off, s[0:3], 0 offset:148
	v_mov_b32_e32 v3, 0
	buffer_store_dword v3, off, s[0:3], 0 offset:144
	buffer_store_dword v3, off, s[0:3], 0 offset:148
	s_waitcnt vmcnt(0)
	ds_write_b64 v101, v[1:2]
.LBB45_253:
	s_or_b32 exec_lo, exec_lo, s4
	s_waitcnt lgkmcnt(0)
	s_waitcnt_vscnt null, 0x0
	s_barrier
	buffer_gl0_inv
	s_clause 0x37
	buffer_load_dword v8, off, s[0:3], 0 offset:156
	buffer_load_dword v150, off, s[0:3], 0 offset:164
	;; [unrolled: 1-line block ×56, first 2 shown]
	v_mov_b32_e32 v1, 0
	ds_read2_b64 v[2:5], v1 offset0:65 offset1:66
	ds_read2_b64 v[102:105], v1 offset0:67 offset1:68
	;; [unrolled: 1-line block ×13, first 2 shown]
	ds_read_b64 v[6:7], v1 offset:728
	s_mov_b32 s4, exec_lo
	s_waitcnt vmcnt(55) lgkmcnt(13)
	v_mul_f32_e32 v205, v2, v8
	v_mul_f32_e32 v8, v3, v8
	s_waitcnt vmcnt(54)
	v_mul_f32_e32 v206, v4, v150
	v_mul_f32_e32 v150, v5, v150
	s_waitcnt vmcnt(53) lgkmcnt(12)
	v_mul_f32_e32 v207, v102, v151
	s_waitcnt vmcnt(52)
	v_mul_f32_e32 v208, v104, v152
	s_waitcnt vmcnt(51) lgkmcnt(11)
	v_mul_f32_e32 v209, v106, v153
	s_waitcnt vmcnt(50)
	;; [unrolled: 4-line block ×12, first 2 shown]
	v_fma_f32 v2, v2, v176, -v8
	v_fmac_f32_e32 v205, v3, v176
	v_mul_f32_e32 v3, v103, v151
	s_waitcnt vmcnt(27)
	v_fma_f32 v4, v4, v177, -v150
	v_fmac_f32_e32 v206, v5, v177
	v_add_f32_e32 v2, 0, v2
	v_add_f32_e32 v5, 0, v205
	v_mul_f32_e32 v8, v105, v152
	s_waitcnt vmcnt(26)
	v_fma_f32 v3, v102, v178, -v3
	v_fmac_f32_e32 v207, v103, v178
	v_add_f32_e32 v2, v2, v4
	v_add_f32_e32 v4, v5, v206
	;; [unrolled: 6-line block ×23, first 2 shown]
	v_mul_f32_e32 v5, v149, v174
	s_waitcnt vmcnt(4)
	v_fma_f32 v8, v146, v200, -v8
	v_mul_f32_e32 v230, v148, v174
	v_add_f32_e32 v2, v2, v4
	v_fmac_f32_e32 v229, v147, v200
	v_add_f32_e32 v3, v3, v228
	s_waitcnt lgkmcnt(0)
	v_mul_f32_e32 v4, v7, v175
	s_waitcnt vmcnt(3)
	v_fma_f32 v5, v148, v201, -v5
	v_add_f32_e32 v2, v2, v8
	v_mul_f32_e32 v231, v6, v175
	v_fmac_f32_e32 v230, v149, v201
	v_add_f32_e32 v3, v3, v229
	s_waitcnt vmcnt(2)
	v_fma_f32 v4, v6, v202, -v4
	v_add_f32_e32 v2, v2, v5
	v_fmac_f32_e32 v231, v7, v202
	v_add_f32_e32 v3, v3, v230
	v_add_f32_e32 v2, v2, v4
	;; [unrolled: 1-line block ×3, first 2 shown]
	s_waitcnt vmcnt(1)
	v_sub_f32_e32 v2, v203, v2
	s_waitcnt vmcnt(0)
	v_sub_f32_e32 v3, v204, v3
	buffer_store_dword v2, off, s[0:3], 0 offset:144
	buffer_store_dword v3, off, s[0:3], 0 offset:148
	v_cmpx_lt_u32_e32 17, v0
	s_cbranch_execz .LBB45_255
; %bb.254:
	s_clause 0x1
	buffer_load_dword v2, off, s[0:3], 0 offset:136
	buffer_load_dword v3, off, s[0:3], 0 offset:140
	buffer_store_dword v1, off, s[0:3], 0 offset:136
	buffer_store_dword v1, off, s[0:3], 0 offset:140
	s_waitcnt vmcnt(0)
	ds_write_b64 v101, v[2:3]
.LBB45_255:
	s_or_b32 exec_lo, exec_lo, s4
	s_waitcnt lgkmcnt(0)
	s_waitcnt_vscnt null, 0x0
	s_barrier
	buffer_gl0_inv
	s_clause 0x39
	buffer_load_dword v6, off, s[0:3], 0 offset:148
	buffer_load_dword v7, off, s[0:3], 0 offset:156
	;; [unrolled: 1-line block ×58, first 2 shown]
	ds_read_b128 v[2:5], v1 offset:512
	ds_read_b128 v[102:105], v1 offset:528
	;; [unrolled: 1-line block ×14, first 2 shown]
	s_mov_b32 s4, exec_lo
	s_waitcnt vmcnt(57) lgkmcnt(13)
	v_mul_f32_e32 v1, v2, v6
	v_mul_f32_e32 v6, v3, v6
	s_waitcnt vmcnt(56)
	v_mul_f32_e32 v209, v4, v7
	v_mul_f32_e32 v7, v5, v7
	s_waitcnt vmcnt(55) lgkmcnt(12)
	v_mul_f32_e32 v210, v102, v8
	s_waitcnt vmcnt(54)
	v_mul_f32_e32 v211, v104, v154
	s_waitcnt vmcnt(53) lgkmcnt(11)
	v_mul_f32_e32 v212, v106, v155
	s_waitcnt vmcnt(52)
	;; [unrolled: 4-line block ×12, first 2 shown]
	v_mul_f32_e32 v233, v148, v176
	s_waitcnt vmcnt(29)
	v_fma_f32 v2, v2, v179, -v6
	v_fmac_f32_e32 v1, v3, v179
	v_mul_f32_e32 v3, v103, v8
	s_waitcnt vmcnt(28)
	v_fma_f32 v4, v4, v180, -v7
	v_fmac_f32_e32 v209, v5, v180
	v_add_f32_e32 v2, 0, v2
	v_add_f32_e32 v1, 0, v1
	v_mul_f32_e32 v5, v105, v154
	s_waitcnt vmcnt(27)
	v_fma_f32 v3, v102, v181, -v3
	v_fmac_f32_e32 v210, v103, v181
	v_add_f32_e32 v2, v2, v4
	v_add_f32_e32 v1, v1, v209
	;; [unrolled: 6-line block ×24, first 2 shown]
	s_waitcnt lgkmcnt(0)
	v_mul_f32_e32 v3, v151, v177
	s_waitcnt vmcnt(4)
	v_fma_f32 v4, v148, v204, -v4
	v_mul_f32_e32 v234, v150, v177
	v_add_f32_e32 v2, v2, v5
	v_fmac_f32_e32 v233, v149, v204
	v_add_f32_e32 v1, v1, v232
	v_mul_f32_e32 v5, v153, v178
	s_waitcnt vmcnt(3)
	v_fma_f32 v3, v150, v205, -v3
	v_add_f32_e32 v2, v2, v4
	v_mul_f32_e32 v235, v152, v178
	v_fmac_f32_e32 v234, v151, v205
	v_add_f32_e32 v1, v1, v233
	s_waitcnt vmcnt(2)
	v_fma_f32 v4, v152, v206, -v5
	v_add_f32_e32 v2, v2, v3
	v_fmac_f32_e32 v235, v153, v206
	v_add_f32_e32 v1, v1, v234
	v_add_f32_e32 v2, v2, v4
	v_add_f32_e32 v1, v1, v235
	s_waitcnt vmcnt(1)
	v_sub_f32_e32 v2, v207, v2
	s_waitcnt vmcnt(0)
	v_sub_f32_e32 v1, v208, v1
	buffer_store_dword v2, off, s[0:3], 0 offset:136
	buffer_store_dword v1, off, s[0:3], 0 offset:140
	v_cmpx_lt_u32_e32 16, v0
	s_cbranch_execz .LBB45_257
; %bb.256:
	s_clause 0x1
	buffer_load_dword v1, off, s[0:3], 0 offset:128
	buffer_load_dword v2, off, s[0:3], 0 offset:132
	v_mov_b32_e32 v3, 0
	buffer_store_dword v3, off, s[0:3], 0 offset:128
	buffer_store_dword v3, off, s[0:3], 0 offset:132
	s_waitcnt vmcnt(0)
	ds_write_b64 v101, v[1:2]
.LBB45_257:
	s_or_b32 exec_lo, exec_lo, s4
	s_waitcnt lgkmcnt(0)
	s_waitcnt_vscnt null, 0x0
	s_barrier
	buffer_gl0_inv
	s_clause 0x3b
	buffer_load_dword v8, off, s[0:3], 0 offset:140
	buffer_load_dword v154, off, s[0:3], 0 offset:148
	buffer_load_dword v155, off, s[0:3], 0 offset:156
	buffer_load_dword v156, off, s[0:3], 0 offset:164
	buffer_load_dword v157, off, s[0:3], 0 offset:172
	buffer_load_dword v158, off, s[0:3], 0 offset:180
	buffer_load_dword v159, off, s[0:3], 0 offset:188
	buffer_load_dword v160, off, s[0:3], 0 offset:196
	buffer_load_dword v161, off, s[0:3], 0 offset:204
	buffer_load_dword v162, off, s[0:3], 0 offset:212
	buffer_load_dword v163, off, s[0:3], 0 offset:220
	buffer_load_dword v164, off, s[0:3], 0 offset:228
	buffer_load_dword v165, off, s[0:3], 0 offset:236
	buffer_load_dword v166, off, s[0:3], 0 offset:244
	buffer_load_dword v167, off, s[0:3], 0 offset:252
	buffer_load_dword v168, off, s[0:3], 0 offset:260
	buffer_load_dword v169, off, s[0:3], 0 offset:268
	buffer_load_dword v170, off, s[0:3], 0 offset:276
	buffer_load_dword v171, off, s[0:3], 0 offset:284
	buffer_load_dword v172, off, s[0:3], 0 offset:292
	buffer_load_dword v173, off, s[0:3], 0 offset:300
	buffer_load_dword v174, off, s[0:3], 0 offset:308
	buffer_load_dword v175, off, s[0:3], 0 offset:316
	buffer_load_dword v176, off, s[0:3], 0 offset:324
	buffer_load_dword v177, off, s[0:3], 0 offset:332
	buffer_load_dword v178, off, s[0:3], 0 offset:340
	buffer_load_dword v179, off, s[0:3], 0 offset:348
	buffer_load_dword v180, off, s[0:3], 0 offset:356
	buffer_load_dword v181, off, s[0:3], 0 offset:364
	buffer_load_dword v182, off, s[0:3], 0 offset:136
	buffer_load_dword v183, off, s[0:3], 0 offset:144
	buffer_load_dword v184, off, s[0:3], 0 offset:152
	buffer_load_dword v185, off, s[0:3], 0 offset:160
	buffer_load_dword v186, off, s[0:3], 0 offset:168
	buffer_load_dword v187, off, s[0:3], 0 offset:176
	buffer_load_dword v188, off, s[0:3], 0 offset:184
	buffer_load_dword v189, off, s[0:3], 0 offset:192
	buffer_load_dword v190, off, s[0:3], 0 offset:200
	buffer_load_dword v191, off, s[0:3], 0 offset:208
	buffer_load_dword v192, off, s[0:3], 0 offset:216
	buffer_load_dword v193, off, s[0:3], 0 offset:224
	buffer_load_dword v194, off, s[0:3], 0 offset:232
	buffer_load_dword v195, off, s[0:3], 0 offset:240
	buffer_load_dword v196, off, s[0:3], 0 offset:248
	buffer_load_dword v197, off, s[0:3], 0 offset:256
	buffer_load_dword v198, off, s[0:3], 0 offset:264
	buffer_load_dword v199, off, s[0:3], 0 offset:272
	buffer_load_dword v200, off, s[0:3], 0 offset:280
	buffer_load_dword v201, off, s[0:3], 0 offset:288
	buffer_load_dword v202, off, s[0:3], 0 offset:296
	buffer_load_dword v203, off, s[0:3], 0 offset:304
	buffer_load_dword v204, off, s[0:3], 0 offset:312
	buffer_load_dword v205, off, s[0:3], 0 offset:320
	buffer_load_dword v206, off, s[0:3], 0 offset:328
	buffer_load_dword v207, off, s[0:3], 0 offset:336
	buffer_load_dword v208, off, s[0:3], 0 offset:344
	buffer_load_dword v209, off, s[0:3], 0 offset:352
	buffer_load_dword v210, off, s[0:3], 0 offset:360
	buffer_load_dword v211, off, s[0:3], 0 offset:128
	buffer_load_dword v212, off, s[0:3], 0 offset:132
	v_mov_b32_e32 v1, 0
	ds_read2_b64 v[2:5], v1 offset0:63 offset1:64
	ds_read2_b64 v[102:105], v1 offset0:65 offset1:66
	ds_read2_b64 v[106:109], v1 offset0:67 offset1:68
	ds_read2_b64 v[110:113], v1 offset0:69 offset1:70
	ds_read2_b64 v[114:117], v1 offset0:71 offset1:72
	ds_read2_b64 v[118:121], v1 offset0:73 offset1:74
	ds_read2_b64 v[122:125], v1 offset0:75 offset1:76
	ds_read2_b64 v[126:129], v1 offset0:77 offset1:78
	ds_read2_b64 v[130:133], v1 offset0:79 offset1:80
	ds_read2_b64 v[134:137], v1 offset0:81 offset1:82
	ds_read2_b64 v[138:141], v1 offset0:83 offset1:84
	ds_read2_b64 v[142:145], v1 offset0:85 offset1:86
	ds_read2_b64 v[146:149], v1 offset0:87 offset1:88
	ds_read2_b64 v[150:153], v1 offset0:89 offset1:90
	ds_read_b64 v[6:7], v1 offset:728
	s_mov_b32 s4, exec_lo
	s_waitcnt vmcnt(59) lgkmcnt(14)
	v_mul_f32_e32 v213, v2, v8
	v_mul_f32_e32 v8, v3, v8
	s_waitcnt vmcnt(58)
	v_mul_f32_e32 v214, v4, v154
	v_mul_f32_e32 v154, v5, v154
	s_waitcnt vmcnt(57) lgkmcnt(13)
	v_mul_f32_e32 v215, v102, v155
	s_waitcnt vmcnt(56)
	v_mul_f32_e32 v216, v104, v156
	s_waitcnt vmcnt(55) lgkmcnt(12)
	v_mul_f32_e32 v217, v106, v157
	s_waitcnt vmcnt(54)
	;; [unrolled: 4-line block ×13, first 2 shown]
	v_fma_f32 v2, v2, v182, -v8
	v_fmac_f32_e32 v213, v3, v182
	v_mul_f32_e32 v3, v103, v155
	s_waitcnt vmcnt(29)
	v_fma_f32 v4, v4, v183, -v154
	v_fmac_f32_e32 v214, v5, v183
	v_add_f32_e32 v2, 0, v2
	v_add_f32_e32 v5, 0, v213
	v_mul_f32_e32 v8, v105, v156
	s_waitcnt vmcnt(28)
	v_fma_f32 v3, v102, v184, -v3
	v_fmac_f32_e32 v215, v103, v184
	v_add_f32_e32 v2, v2, v4
	v_add_f32_e32 v4, v5, v214
	v_mul_f32_e32 v5, v107, v157
	s_waitcnt vmcnt(27)
	v_fma_f32 v8, v104, v185, -v8
	v_fmac_f32_e32 v216, v105, v185
	v_add_f32_e32 v2, v2, v3
	v_add_f32_e32 v3, v4, v215
	v_mul_f32_e32 v4, v109, v158
	s_waitcnt vmcnt(26)
	v_fma_f32 v5, v106, v186, -v5
	v_fmac_f32_e32 v217, v107, v186
	v_add_f32_e32 v2, v2, v8
	v_add_f32_e32 v3, v3, v216
	v_mul_f32_e32 v8, v111, v159
	s_waitcnt vmcnt(25)
	v_fma_f32 v4, v108, v187, -v4
	v_fmac_f32_e32 v218, v109, v187
	v_add_f32_e32 v2, v2, v5
	v_add_f32_e32 v3, v3, v217
	v_mul_f32_e32 v5, v113, v160
	s_waitcnt vmcnt(24)
	v_fma_f32 v8, v110, v188, -v8
	v_fmac_f32_e32 v219, v111, v188
	v_add_f32_e32 v2, v2, v4
	v_add_f32_e32 v3, v3, v218
	v_mul_f32_e32 v4, v115, v161
	s_waitcnt vmcnt(23)
	v_fma_f32 v5, v112, v189, -v5
	v_fmac_f32_e32 v220, v113, v189
	v_add_f32_e32 v2, v2, v8
	v_add_f32_e32 v3, v3, v219
	v_mul_f32_e32 v8, v117, v162
	s_waitcnt vmcnt(22)
	v_fma_f32 v4, v114, v190, -v4
	v_fmac_f32_e32 v221, v115, v190
	v_add_f32_e32 v2, v2, v5
	v_add_f32_e32 v3, v3, v220
	v_mul_f32_e32 v5, v119, v163
	s_waitcnt vmcnt(21)
	v_fma_f32 v8, v116, v191, -v8
	v_fmac_f32_e32 v222, v117, v191
	v_add_f32_e32 v2, v2, v4
	v_add_f32_e32 v3, v3, v221
	v_mul_f32_e32 v4, v121, v164
	s_waitcnt vmcnt(20)
	v_fma_f32 v5, v118, v192, -v5
	v_fmac_f32_e32 v223, v119, v192
	v_add_f32_e32 v2, v2, v8
	v_add_f32_e32 v3, v3, v222
	v_mul_f32_e32 v8, v123, v165
	s_waitcnt vmcnt(19)
	v_fma_f32 v4, v120, v193, -v4
	v_fmac_f32_e32 v224, v121, v193
	v_add_f32_e32 v2, v2, v5
	v_add_f32_e32 v3, v3, v223
	v_mul_f32_e32 v5, v125, v166
	s_waitcnt vmcnt(18)
	v_fma_f32 v8, v122, v194, -v8
	v_fmac_f32_e32 v225, v123, v194
	v_add_f32_e32 v2, v2, v4
	v_add_f32_e32 v3, v3, v224
	v_mul_f32_e32 v4, v127, v167
	s_waitcnt vmcnt(17)
	v_fma_f32 v5, v124, v195, -v5
	v_fmac_f32_e32 v226, v125, v195
	v_add_f32_e32 v2, v2, v8
	v_add_f32_e32 v3, v3, v225
	v_mul_f32_e32 v8, v129, v168
	s_waitcnt vmcnt(16)
	v_fma_f32 v4, v126, v196, -v4
	v_fmac_f32_e32 v227, v127, v196
	v_add_f32_e32 v2, v2, v5
	v_add_f32_e32 v3, v3, v226
	v_mul_f32_e32 v5, v131, v169
	s_waitcnt vmcnt(15)
	v_fma_f32 v8, v128, v197, -v8
	v_fmac_f32_e32 v228, v129, v197
	v_add_f32_e32 v2, v2, v4
	v_add_f32_e32 v3, v3, v227
	v_mul_f32_e32 v4, v133, v170
	s_waitcnt vmcnt(14)
	v_fma_f32 v5, v130, v198, -v5
	v_fmac_f32_e32 v229, v131, v198
	v_add_f32_e32 v2, v2, v8
	v_add_f32_e32 v3, v3, v228
	v_mul_f32_e32 v8, v135, v171
	s_waitcnt vmcnt(13)
	v_fma_f32 v4, v132, v199, -v4
	v_fmac_f32_e32 v230, v133, v199
	v_add_f32_e32 v2, v2, v5
	v_add_f32_e32 v3, v3, v229
	v_mul_f32_e32 v5, v137, v172
	s_waitcnt vmcnt(12)
	v_fma_f32 v8, v134, v200, -v8
	v_fmac_f32_e32 v231, v135, v200
	v_add_f32_e32 v2, v2, v4
	v_add_f32_e32 v3, v3, v230
	v_mul_f32_e32 v4, v139, v173
	s_waitcnt vmcnt(11)
	v_fma_f32 v5, v136, v201, -v5
	v_fmac_f32_e32 v232, v137, v201
	v_add_f32_e32 v2, v2, v8
	v_add_f32_e32 v3, v3, v231
	v_mul_f32_e32 v8, v141, v174
	s_waitcnt vmcnt(10)
	v_fma_f32 v4, v138, v202, -v4
	v_fmac_f32_e32 v233, v139, v202
	v_add_f32_e32 v2, v2, v5
	v_add_f32_e32 v3, v3, v232
	v_mul_f32_e32 v5, v143, v175
	s_waitcnt vmcnt(9)
	v_fma_f32 v8, v140, v203, -v8
	v_fmac_f32_e32 v234, v141, v203
	v_add_f32_e32 v2, v2, v4
	v_add_f32_e32 v3, v3, v233
	v_mul_f32_e32 v4, v145, v176
	s_waitcnt vmcnt(8)
	v_fma_f32 v5, v142, v204, -v5
	v_fmac_f32_e32 v235, v143, v204
	v_add_f32_e32 v2, v2, v8
	v_add_f32_e32 v3, v3, v234
	v_mul_f32_e32 v8, v147, v177
	s_waitcnt vmcnt(7)
	v_fma_f32 v4, v144, v205, -v4
	v_fmac_f32_e32 v236, v145, v205
	v_add_f32_e32 v2, v2, v5
	v_add_f32_e32 v3, v3, v235
	v_mul_f32_e32 v5, v149, v178
	s_waitcnt vmcnt(6)
	v_fma_f32 v8, v146, v206, -v8
	v_fmac_f32_e32 v237, v147, v206
	v_add_f32_e32 v2, v2, v4
	v_add_f32_e32 v3, v3, v236
	v_mul_f32_e32 v4, v151, v179
	s_waitcnt vmcnt(5)
	v_fma_f32 v5, v148, v207, -v5
	v_fmac_f32_e32 v238, v149, v207
	v_add_f32_e32 v2, v2, v8
	v_add_f32_e32 v3, v3, v237
	v_mul_f32_e32 v8, v153, v180
	s_waitcnt vmcnt(4)
	v_fma_f32 v4, v150, v208, -v4
	v_mul_f32_e32 v240, v152, v180
	v_add_f32_e32 v2, v2, v5
	v_fmac_f32_e32 v239, v151, v208
	v_add_f32_e32 v3, v3, v238
	s_waitcnt lgkmcnt(0)
	v_mul_f32_e32 v5, v7, v181
	s_waitcnt vmcnt(3)
	v_fma_f32 v8, v152, v209, -v8
	v_add_f32_e32 v2, v2, v4
	v_mul_f32_e32 v241, v6, v181
	v_fmac_f32_e32 v240, v153, v209
	v_add_f32_e32 v3, v3, v239
	s_waitcnt vmcnt(2)
	v_fma_f32 v4, v6, v210, -v5
	v_add_f32_e32 v2, v2, v8
	v_fmac_f32_e32 v241, v7, v210
	v_add_f32_e32 v3, v3, v240
	v_add_f32_e32 v2, v2, v4
	;; [unrolled: 1-line block ×3, first 2 shown]
	s_waitcnt vmcnt(1)
	v_sub_f32_e32 v2, v211, v2
	s_waitcnt vmcnt(0)
	v_sub_f32_e32 v3, v212, v3
	buffer_store_dword v2, off, s[0:3], 0 offset:128
	buffer_store_dword v3, off, s[0:3], 0 offset:132
	v_cmpx_lt_u32_e32 15, v0
	s_cbranch_execz .LBB45_259
; %bb.258:
	s_clause 0x1
	buffer_load_dword v2, off, s[0:3], 0 offset:120
	buffer_load_dword v3, off, s[0:3], 0 offset:124
	buffer_store_dword v1, off, s[0:3], 0 offset:120
	buffer_store_dword v1, off, s[0:3], 0 offset:124
	s_waitcnt vmcnt(0)
	ds_write_b64 v101, v[2:3]
.LBB45_259:
	s_or_b32 exec_lo, exec_lo, s4
	s_waitcnt lgkmcnt(0)
	s_waitcnt_vscnt null, 0x0
	s_barrier
	buffer_gl0_inv
	s_clause 0x3d
	buffer_load_dword v6, off, s[0:3], 0 offset:132
	buffer_load_dword v7, off, s[0:3], 0 offset:140
	;; [unrolled: 1-line block ×62, first 2 shown]
	ds_read_b128 v[2:5], v1 offset:496
	ds_read_b128 v[102:105], v1 offset:512
	;; [unrolled: 1-line block ×15, first 2 shown]
	s_mov_b32 s4, exec_lo
	s_waitcnt vmcnt(61) lgkmcnt(14)
	v_mul_f32_e32 v1, v2, v6
	v_mul_f32_e32 v6, v3, v6
	s_waitcnt vmcnt(60)
	v_mul_f32_e32 v217, v4, v7
	v_mul_f32_e32 v7, v5, v7
	s_waitcnt vmcnt(59) lgkmcnt(13)
	v_mul_f32_e32 v218, v102, v8
	s_waitcnt vmcnt(58)
	v_mul_f32_e32 v219, v104, v158
	s_waitcnt vmcnt(57) lgkmcnt(12)
	v_mul_f32_e32 v220, v106, v159
	s_waitcnt vmcnt(56)
	;; [unrolled: 4-line block ×13, first 2 shown]
	v_mul_f32_e32 v243, v152, v182
	s_waitcnt vmcnt(31)
	v_fma_f32 v2, v2, v185, -v6
	v_fmac_f32_e32 v1, v3, v185
	v_mul_f32_e32 v3, v103, v8
	s_waitcnt vmcnt(30)
	v_fma_f32 v4, v4, v186, -v7
	v_fmac_f32_e32 v217, v5, v186
	v_add_f32_e32 v2, 0, v2
	v_add_f32_e32 v1, 0, v1
	v_mul_f32_e32 v5, v105, v158
	s_waitcnt vmcnt(29)
	v_fma_f32 v3, v102, v187, -v3
	v_fmac_f32_e32 v218, v103, v187
	v_add_f32_e32 v2, v2, v4
	v_add_f32_e32 v1, v1, v217
	;; [unrolled: 6-line block ×26, first 2 shown]
	s_waitcnt lgkmcnt(0)
	v_mul_f32_e32 v4, v155, v183
	s_waitcnt vmcnt(4)
	v_fma_f32 v5, v152, v212, -v5
	v_mul_f32_e32 v244, v154, v183
	v_add_f32_e32 v2, v2, v3
	v_fmac_f32_e32 v243, v153, v212
	v_add_f32_e32 v1, v1, v242
	v_mul_f32_e32 v3, v157, v184
	s_waitcnt vmcnt(3)
	v_fma_f32 v4, v154, v213, -v4
	v_add_f32_e32 v2, v2, v5
	v_mul_f32_e32 v245, v156, v184
	v_fmac_f32_e32 v244, v155, v213
	v_add_f32_e32 v1, v1, v243
	s_waitcnt vmcnt(2)
	v_fma_f32 v3, v156, v214, -v3
	v_add_f32_e32 v2, v2, v4
	v_fmac_f32_e32 v245, v157, v214
	v_add_f32_e32 v1, v1, v244
	v_add_f32_e32 v2, v2, v3
	;; [unrolled: 1-line block ×3, first 2 shown]
	s_waitcnt vmcnt(1)
	v_sub_f32_e32 v2, v215, v2
	s_waitcnt vmcnt(0)
	v_sub_f32_e32 v1, v216, v1
	buffer_store_dword v2, off, s[0:3], 0 offset:120
	buffer_store_dword v1, off, s[0:3], 0 offset:124
	v_cmpx_lt_u32_e32 14, v0
	s_cbranch_execz .LBB45_261
; %bb.260:
	s_clause 0x1
	buffer_load_dword v1, off, s[0:3], 0 offset:112
	buffer_load_dword v2, off, s[0:3], 0 offset:116
	v_mov_b32_e32 v3, 0
	buffer_store_dword v3, off, s[0:3], 0 offset:112
	buffer_store_dword v3, off, s[0:3], 0 offset:116
	s_waitcnt vmcnt(0)
	ds_write_b64 v101, v[1:2]
.LBB45_261:
	s_or_b32 exec_lo, exec_lo, s4
	s_waitcnt lgkmcnt(0)
	s_waitcnt_vscnt null, 0x0
	s_barrier
	buffer_gl0_inv
	s_clause 0x3e
	buffer_load_dword v8, off, s[0:3], 0 offset:124
	buffer_load_dword v158, off, s[0:3], 0 offset:132
	buffer_load_dword v159, off, s[0:3], 0 offset:140
	buffer_load_dword v160, off, s[0:3], 0 offset:148
	buffer_load_dword v161, off, s[0:3], 0 offset:156
	buffer_load_dword v162, off, s[0:3], 0 offset:164
	buffer_load_dword v163, off, s[0:3], 0 offset:172
	buffer_load_dword v164, off, s[0:3], 0 offset:180
	buffer_load_dword v165, off, s[0:3], 0 offset:188
	buffer_load_dword v166, off, s[0:3], 0 offset:196
	buffer_load_dword v167, off, s[0:3], 0 offset:204
	buffer_load_dword v168, off, s[0:3], 0 offset:212
	buffer_load_dword v169, off, s[0:3], 0 offset:220
	buffer_load_dword v170, off, s[0:3], 0 offset:228
	buffer_load_dword v171, off, s[0:3], 0 offset:236
	buffer_load_dword v172, off, s[0:3], 0 offset:244
	buffer_load_dword v173, off, s[0:3], 0 offset:252
	buffer_load_dword v174, off, s[0:3], 0 offset:260
	buffer_load_dword v175, off, s[0:3], 0 offset:268
	buffer_load_dword v176, off, s[0:3], 0 offset:276
	buffer_load_dword v177, off, s[0:3], 0 offset:284
	buffer_load_dword v178, off, s[0:3], 0 offset:292
	buffer_load_dword v179, off, s[0:3], 0 offset:300
	buffer_load_dword v180, off, s[0:3], 0 offset:308
	buffer_load_dword v181, off, s[0:3], 0 offset:316
	buffer_load_dword v182, off, s[0:3], 0 offset:324
	buffer_load_dword v183, off, s[0:3], 0 offset:332
	buffer_load_dword v184, off, s[0:3], 0 offset:340
	buffer_load_dword v185, off, s[0:3], 0 offset:348
	buffer_load_dword v186, off, s[0:3], 0 offset:356
	buffer_load_dword v187, off, s[0:3], 0 offset:364
	buffer_load_dword v188, off, s[0:3], 0 offset:120
	buffer_load_dword v189, off, s[0:3], 0 offset:128
	buffer_load_dword v190, off, s[0:3], 0 offset:136
	buffer_load_dword v191, off, s[0:3], 0 offset:144
	buffer_load_dword v192, off, s[0:3], 0 offset:152
	buffer_load_dword v193, off, s[0:3], 0 offset:160
	buffer_load_dword v194, off, s[0:3], 0 offset:168
	buffer_load_dword v195, off, s[0:3], 0 offset:176
	buffer_load_dword v196, off, s[0:3], 0 offset:184
	buffer_load_dword v197, off, s[0:3], 0 offset:192
	buffer_load_dword v198, off, s[0:3], 0 offset:200
	buffer_load_dword v199, off, s[0:3], 0 offset:208
	buffer_load_dword v200, off, s[0:3], 0 offset:216
	buffer_load_dword v201, off, s[0:3], 0 offset:224
	buffer_load_dword v202, off, s[0:3], 0 offset:232
	buffer_load_dword v203, off, s[0:3], 0 offset:240
	buffer_load_dword v204, off, s[0:3], 0 offset:248
	buffer_load_dword v205, off, s[0:3], 0 offset:256
	buffer_load_dword v206, off, s[0:3], 0 offset:264
	buffer_load_dword v207, off, s[0:3], 0 offset:272
	buffer_load_dword v208, off, s[0:3], 0 offset:280
	buffer_load_dword v209, off, s[0:3], 0 offset:288
	buffer_load_dword v210, off, s[0:3], 0 offset:296
	buffer_load_dword v211, off, s[0:3], 0 offset:304
	buffer_load_dword v212, off, s[0:3], 0 offset:312
	buffer_load_dword v213, off, s[0:3], 0 offset:320
	buffer_load_dword v214, off, s[0:3], 0 offset:328
	buffer_load_dword v215, off, s[0:3], 0 offset:336
	buffer_load_dword v216, off, s[0:3], 0 offset:344
	buffer_load_dword v217, off, s[0:3], 0 offset:352
	buffer_load_dword v218, off, s[0:3], 0 offset:360
	buffer_load_dword v219, off, s[0:3], 0 offset:112
	buffer_load_dword v220, off, s[0:3], 0 offset:116
	v_mov_b32_e32 v1, 0
	ds_read2_b64 v[2:5], v1 offset0:61 offset1:62
	ds_read2_b64 v[102:105], v1 offset0:63 offset1:64
	;; [unrolled: 1-line block ×15, first 2 shown]
	ds_read_b64 v[6:7], v1 offset:728
	s_mov_b32 s4, exec_lo
	s_waitcnt vmcnt(62) lgkmcnt(15)
	v_mul_f32_e32 v221, v2, v8
	v_mul_f32_e32 v8, v3, v8
	;; [unrolled: 1-line block ×4, first 2 shown]
	s_waitcnt vmcnt(61) lgkmcnt(14)
	v_mul_f32_e32 v223, v102, v159
	s_waitcnt vmcnt(60)
	v_mul_f32_e32 v224, v104, v160
	s_waitcnt vmcnt(59) lgkmcnt(13)
	v_mul_f32_e32 v225, v106, v161
	s_waitcnt vmcnt(58)
	v_mul_f32_e32 v226, v108, v162
	;; [unrolled: 4-line block ×13, first 2 shown]
	s_waitcnt vmcnt(35) lgkmcnt(1)
	v_mul_f32_e32 v249, v154, v185
	s_waitcnt vmcnt(32)
	v_fma_f32 v2, v2, v188, -v8
	v_fmac_f32_e32 v221, v3, v188
	v_mul_f32_e32 v3, v103, v159
	s_waitcnt vmcnt(31)
	v_fma_f32 v4, v4, v189, -v158
	v_fmac_f32_e32 v222, v5, v189
	v_add_f32_e32 v2, 0, v2
	v_add_f32_e32 v5, 0, v221
	v_mul_f32_e32 v8, v105, v160
	s_waitcnt vmcnt(30)
	v_fma_f32 v3, v102, v190, -v3
	v_fmac_f32_e32 v223, v103, v190
	v_add_f32_e32 v2, v2, v4
	v_add_f32_e32 v4, v5, v222
	;; [unrolled: 6-line block ×27, first 2 shown]
	v_mul_f32_e32 v4, v157, v186
	s_waitcnt vmcnt(4)
	v_fma_f32 v5, v154, v216, -v5
	v_mul_f32_e32 v250, v156, v186
	v_add_f32_e32 v2, v2, v8
	v_fmac_f32_e32 v249, v155, v216
	v_add_f32_e32 v3, v3, v248
	s_waitcnt lgkmcnt(0)
	v_mul_f32_e32 v8, v7, v187
	s_waitcnt vmcnt(3)
	v_fma_f32 v4, v156, v217, -v4
	v_add_f32_e32 v2, v2, v5
	v_mul_f32_e32 v251, v6, v187
	v_fmac_f32_e32 v250, v157, v217
	v_add_f32_e32 v3, v3, v249
	s_waitcnt vmcnt(2)
	v_fma_f32 v5, v6, v218, -v8
	v_add_f32_e32 v2, v2, v4
	v_fmac_f32_e32 v251, v7, v218
	v_add_f32_e32 v3, v3, v250
	v_add_f32_e32 v2, v2, v5
	v_add_f32_e32 v3, v3, v251
	s_waitcnt vmcnt(1)
	v_sub_f32_e32 v2, v219, v2
	s_waitcnt vmcnt(0)
	v_sub_f32_e32 v3, v220, v3
	buffer_store_dword v2, off, s[0:3], 0 offset:112
	buffer_store_dword v3, off, s[0:3], 0 offset:116
	v_cmpx_lt_u32_e32 13, v0
	s_cbranch_execz .LBB45_263
; %bb.262:
	s_clause 0x1
	buffer_load_dword v2, off, s[0:3], 0 offset:104
	buffer_load_dword v3, off, s[0:3], 0 offset:108
	buffer_store_dword v1, off, s[0:3], 0 offset:104
	buffer_store_dword v1, off, s[0:3], 0 offset:108
	s_waitcnt vmcnt(0)
	ds_write_b64 v101, v[2:3]
.LBB45_263:
	s_or_b32 exec_lo, exec_lo, s4
	s_waitcnt lgkmcnt(0)
	s_waitcnt_vscnt null, 0x0
	s_barrier
	buffer_gl0_inv
	s_clause 0x23
	buffer_load_dword v3, off, s[0:3], 0 offset:116
	buffer_load_dword v4, off, s[0:3], 0 offset:124
	;; [unrolled: 1-line block ×36, first 2 shown]
	ds_read_b128 v[126:129], v1 offset:480
	ds_read_b128 v[130:133], v1 offset:496
	s_clause 0x1
	buffer_load_dword v147, off, s[0:3], 0 offset:244
	buffer_load_dword v148, off, s[0:3], 0 offset:252
	ds_read_b128 v[134:137], v1 offset:512
	ds_read_b128 v[138:141], v1 offset:528
	buffer_load_dword v149, off, s[0:3], 0 offset:108
	s_mov_b32 s4, exec_lo
	s_waitcnt vmcnt(38) lgkmcnt(3)
	v_mul_f32_e32 v150, v126, v3
	v_mul_f32_e32 v3, v127, v3
	s_waitcnt vmcnt(37)
	v_mul_f32_e32 v151, v128, v4
	v_mul_f32_e32 v4, v129, v4
	s_waitcnt vmcnt(36) lgkmcnt(2)
	v_mul_f32_e32 v152, v130, v5
	s_waitcnt vmcnt(33)
	v_fmac_f32_e32 v150, v127, v8
	v_fma_f32 v8, v126, v8, -v3
	v_mul_f32_e32 v3, v131, v5
	s_waitcnt vmcnt(32)
	v_mul_f32_e32 v5, v133, v7
	v_mul_f32_e32 v153, v132, v7
	v_fmac_f32_e32 v151, v129, v6
	v_fma_f32 v6, v128, v6, -v4
	v_fmac_f32_e32 v152, v131, v2
	v_fma_f32 v7, v130, v2, -v3
	s_waitcnt vmcnt(28)
	v_fma_f32 v130, v132, v109, -v5
	ds_read_b128 v[2:5], v1 offset:544
	ds_read_b128 v[126:129], v1 offset:560
	s_waitcnt vmcnt(27) lgkmcnt(3)
	v_mul_f32_e32 v131, v134, v108
	v_mul_f32_e32 v108, v135, v108
	v_fmac_f32_e32 v153, v133, v109
	s_waitcnt vmcnt(26)
	v_mul_f32_e32 v132, v136, v107
	v_mul_f32_e32 v107, v137, v107
	s_waitcnt vmcnt(25) lgkmcnt(2)
	v_mul_f32_e32 v133, v138, v105
	v_fmac_f32_e32 v131, v135, v104
	v_fma_f32 v134, v134, v104, -v108
	s_waitcnt vmcnt(24)
	v_mul_f32_e32 v135, v140, v106
	v_mul_f32_e32 v104, v139, v105
	;; [unrolled: 1-line block ×3, first 2 shown]
	v_fmac_f32_e32 v132, v137, v103
	v_fma_f32 v136, v136, v103, -v107
	v_fmac_f32_e32 v133, v139, v102
	s_waitcnt vmcnt(20)
	v_fmac_f32_e32 v135, v141, v117
	v_fma_f32 v137, v138, v102, -v104
	v_fma_f32 v117, v140, v117, -v105
	ds_read_b128 v[102:105], v1 offset:576
	ds_read_b128 v[106:109], v1 offset:592
	s_waitcnt vmcnt(19) lgkmcnt(3)
	v_mul_f32_e32 v138, v2, v115
	s_waitcnt vmcnt(18)
	v_mul_f32_e32 v139, v4, v116
	v_mul_f32_e32 v115, v3, v115
	;; [unrolled: 1-line block ×3, first 2 shown]
	buffer_load_dword v140, off, s[0:3], 0 offset:268
	v_fmac_f32_e32 v138, v3, v114
	v_fmac_f32_e32 v139, v5, v113
	v_fma_f32 v114, v2, v114, -v115
	v_fma_f32 v113, v4, v113, -v116
	s_clause 0x3
	buffer_load_dword v141, off, s[0:3], 0 offset:288
	buffer_load_dword v154, off, s[0:3], 0 offset:280
	;; [unrolled: 1-line block ×4, first 2 shown]
	s_waitcnt vmcnt(22) lgkmcnt(2)
	v_mul_f32_e32 v116, v126, v112
	v_mul_f32_e32 v2, v127, v112
	s_waitcnt vmcnt(21)
	v_mul_f32_e32 v3, v129, v111
	v_mul_f32_e32 v112, v128, v111
	v_fmac_f32_e32 v116, v127, v110
	v_fma_f32 v110, v126, v110, -v2
	buffer_load_dword v126, off, s[0:3], 0 offset:276
	s_waitcnt vmcnt(18)
	v_fma_f32 v111, v128, v125, -v3
	s_waitcnt vmcnt(17) lgkmcnt(1)
	v_mul_f32_e32 v128, v102, v123
	v_mul_f32_e32 v2, v103, v123
	v_fmac_f32_e32 v112, v129, v125
	s_clause 0x1
	buffer_load_dword v125, off, s[0:3], 0 offset:284
	buffer_load_dword v127, off, s[0:3], 0 offset:292
	s_waitcnt vmcnt(18)
	v_mul_f32_e32 v129, v104, v124
	v_mul_f32_e32 v3, v105, v124
	v_fmac_f32_e32 v128, v103, v121
	v_fma_f32 v121, v102, v121, -v2
	s_waitcnt vmcnt(16) lgkmcnt(0)
	v_mul_f32_e32 v2, v109, v120
	v_fmac_f32_e32 v129, v105, v119
	v_fma_f32 v119, v104, v119, -v3
	v_mul_f32_e32 v158, v108, v120
	v_add_f32_e32 v3, 0, v8
	s_waitcnt vmcnt(11)
	v_fma_f32 v120, v108, v146, -v2
	v_add_f32_e32 v2, 0, v150
	v_mul_f32_e32 v123, v106, v122
	v_mul_f32_e32 v4, v107, v122
	s_clause 0x5
	buffer_load_dword v122, off, s[0:3], 0 offset:300
	buffer_load_dword v124, off, s[0:3], 0 offset:308
	buffer_load_dword v156, off, s[0:3], 0 offset:316
	buffer_load_dword v157, off, s[0:3], 0 offset:324
	buffer_load_dword v159, off, s[0:3], 0 offset:332
	buffer_load_dword v160, off, s[0:3], 0 offset:340
	v_fmac_f32_e32 v158, v109, v146
	s_clause 0x2
	buffer_load_dword v146, off, s[0:3], 0 offset:348
	buffer_load_dword v161, off, s[0:3], 0 offset:356
	;; [unrolled: 1-line block ×3, first 2 shown]
	v_add_f32_e32 v2, v2, v151
	v_add_f32_e32 v3, v3, v6
	s_clause 0x3
	buffer_load_dword v6, off, s[0:3], 0 offset:320
	buffer_load_dword v150, off, s[0:3], 0 offset:312
	;; [unrolled: 1-line block ×4, first 2 shown]
	v_fmac_f32_e32 v123, v107, v118
	v_fma_f32 v118, v106, v118, -v4
	v_add_f32_e32 v2, v2, v152
	v_add_f32_e32 v3, v3, v7
	;; [unrolled: 1-line block ×4, first 2 shown]
	s_clause 0x3
	buffer_load_dword v7, off, s[0:3], 0 offset:352
	buffer_load_dword v130, off, s[0:3], 0 offset:344
	;; [unrolled: 1-line block ×4, first 2 shown]
	v_add_f32_e32 v2, v2, v131
	buffer_load_dword v131, off, s[0:3], 0 offset:360
	v_add_f32_e32 v3, v3, v134
	buffer_load_dword v134, off, s[0:3], 0 offset:104
	v_add_f32_e32 v2, v2, v132
	v_add_f32_e32 v3, v3, v136
	;; [unrolled: 1-line block ×4, first 2 shown]
	ds_read_b128 v[2:5], v1 offset:608
	v_add_f32_e32 v102, v102, v135
	v_add_f32_e32 v103, v103, v117
	;; [unrolled: 1-line block ×4, first 2 shown]
	ds_read_b128 v[102:105], v1 offset:624
	v_add_f32_e32 v106, v106, v139
	v_add_f32_e32 v107, v107, v113
	;; [unrolled: 1-line block ×4, first 2 shown]
	s_waitcnt vmcnt(29) lgkmcnt(1)
	v_mul_f32_e32 v132, v2, v147
	v_mul_f32_e32 v108, v3, v147
	s_waitcnt vmcnt(28)
	v_mul_f32_e32 v133, v4, v148
	v_mul_f32_e32 v109, v5, v148
	v_add_f32_e32 v112, v106, v112
	v_fmac_f32_e32 v132, v3, v145
	v_fma_f32 v135, v2, v145, -v108
	v_fmac_f32_e32 v133, v5, v144
	v_fma_f32 v136, v4, v144, -v109
	ds_read_b128 v[2:5], v1 offset:640
	ds_read_b128 v[106:109], v1 offset:656
	v_add_f32_e32 v110, v110, v111
	s_waitcnt lgkmcnt(2)
	v_mul_f32_e32 v137, v102, v143
	v_add_f32_e32 v111, v112, v128
	v_mul_f32_e32 v112, v103, v143
	v_add_f32_e32 v110, v110, v121
	v_fmac_f32_e32 v137, v103, v142
	v_add_f32_e32 v103, v111, v129
	v_fma_f32 v128, v102, v142, -v112
	v_add_f32_e32 v114, v110, v119
	v_add_f32_e32 v118, v114, v118
	s_waitcnt vmcnt(26)
	v_mul_f32_e32 v138, v104, v140
	v_mul_f32_e32 v113, v105, v140
	s_waitcnt vmcnt(22)
	v_fmac_f32_e32 v138, v105, v115
	v_fma_f32 v129, v104, v115, -v113
	v_add_f32_e32 v115, v103, v123
	ds_read_b128 v[102:105], v1 offset:672
	ds_read_b128 v[110:113], v1 offset:688
	v_add_f32_e32 v121, v115, v158
	s_waitcnt vmcnt(21) lgkmcnt(3)
	v_mul_f32_e32 v123, v2, v126
	v_mul_f32_e32 v119, v3, v126
	v_add_f32_e32 v126, v118, v120
	ds_read_b128 v[114:117], v1 offset:704
	v_fmac_f32_e32 v123, v3, v155
	v_fma_f32 v2, v2, v155, -v119
	v_add_f32_e32 v3, v121, v132
	ds_read_b128 v[118:121], v1 offset:720
	v_add_f32_e32 v1, v126, v135
	s_waitcnt vmcnt(20)
	v_mul_f32_e32 v126, v4, v125
	v_mul_f32_e32 v125, v5, v125
	v_add_f32_e32 v3, v3, v133
	s_waitcnt vmcnt(19) lgkmcnt(4)
	v_mul_f32_e32 v132, v106, v127
	v_add_f32_e32 v1, v1, v136
	v_mul_f32_e32 v127, v107, v127
	v_fma_f32 v4, v4, v154, -v125
	v_add_f32_e32 v3, v3, v137
	v_fmac_f32_e32 v126, v5, v154
	v_add_f32_e32 v1, v1, v128
	s_waitcnt vmcnt(18)
	v_mul_f32_e32 v133, v108, v122
	v_mul_f32_e32 v122, v109, v122
	v_add_f32_e32 v3, v3, v138
	v_fma_f32 v106, v106, v141, -v127
	v_add_f32_e32 v1, v1, v129
	v_fmac_f32_e32 v132, v107, v141
	s_waitcnt vmcnt(6)
	v_fma_f32 v107, v108, v162, -v122
	s_waitcnt lgkmcnt(3)
	v_mul_f32_e32 v5, v102, v124
	v_fmac_f32_e32 v133, v109, v162
	v_add_f32_e32 v1, v1, v2
	v_add_f32_e32 v2, v3, v123
	v_mul_f32_e32 v125, v104, v156
	v_fmac_f32_e32 v5, v103, v151
	s_waitcnt lgkmcnt(2)
	v_mul_f32_e32 v128, v110, v157
	v_add_f32_e32 v1, v1, v4
	v_add_f32_e32 v2, v2, v126
	v_mul_f32_e32 v4, v103, v124
	v_fmac_f32_e32 v125, v105, v150
	v_mul_f32_e32 v135, v112, v159
	v_add_f32_e32 v1, v1, v106
	v_add_f32_e32 v2, v2, v132
	v_mul_f32_e32 v106, v105, v156
	v_fma_f32 v4, v102, v151, -v4
	v_mul_f32_e32 v102, v111, v157
	v_add_f32_e32 v1, v1, v107
	v_add_f32_e32 v2, v2, v133
	v_fma_f32 v103, v104, v150, -v106
	v_fmac_f32_e32 v128, v111, v6
	s_waitcnt lgkmcnt(1)
	v_mul_f32_e32 v136, v114, v160
	v_add_f32_e32 v1, v1, v4
	v_add_f32_e32 v2, v2, v5
	v_mul_f32_e32 v4, v113, v159
	v_fma_f32 v5, v110, v6, -v102
	v_mul_f32_e32 v6, v115, v160
	v_add_f32_e32 v1, v1, v103
	v_add_f32_e32 v2, v2, v125
	s_waitcnt vmcnt(2)
	v_fma_f32 v4, v112, v153, -v4
	v_fmac_f32_e32 v135, v113, v153
	v_fma_f32 v6, v114, v152, -v6
	v_add_f32_e32 v1, v1, v5
	v_add_f32_e32 v2, v2, v128
	v_mul_f32_e32 v5, v117, v146
	v_mul_f32_e32 v129, v116, v146
	v_fmac_f32_e32 v136, v115, v152
	v_add_f32_e32 v1, v1, v4
	v_add_f32_e32 v2, v2, v135
	s_waitcnt lgkmcnt(0)
	v_mul_f32_e32 v4, v119, v161
	v_fma_f32 v5, v116, v130, -v5
	v_mul_f32_e32 v137, v118, v161
	v_add_f32_e32 v1, v1, v6
	v_fmac_f32_e32 v129, v117, v130
	v_add_f32_e32 v2, v2, v136
	v_mul_f32_e32 v6, v121, v8
	v_fma_f32 v4, v118, v7, -v4
	v_add_f32_e32 v1, v1, v5
	v_mul_f32_e32 v3, v120, v8
	v_fmac_f32_e32 v137, v119, v7
	v_add_f32_e32 v2, v2, v129
	s_waitcnt vmcnt(1)
	v_fma_f32 v5, v120, v131, -v6
	v_add_f32_e32 v1, v1, v4
	v_fmac_f32_e32 v3, v121, v131
	v_add_f32_e32 v2, v2, v137
	v_add_f32_e32 v1, v1, v5
	;; [unrolled: 1-line block ×3, first 2 shown]
	s_waitcnt vmcnt(0)
	v_sub_f32_e32 v1, v134, v1
	v_sub_f32_e32 v2, v149, v2
	buffer_store_dword v1, off, s[0:3], 0 offset:104
	buffer_store_dword v2, off, s[0:3], 0 offset:108
	v_cmpx_lt_u32_e32 12, v0
	s_cbranch_execz .LBB45_265
; %bb.264:
	s_clause 0x1
	buffer_load_dword v1, off, s[0:3], 0 offset:96
	buffer_load_dword v2, off, s[0:3], 0 offset:100
	v_mov_b32_e32 v3, 0
	buffer_store_dword v3, off, s[0:3], 0 offset:96
	buffer_store_dword v3, off, s[0:3], 0 offset:100
	s_waitcnt vmcnt(0)
	ds_write_b64 v101, v[1:2]
.LBB45_265:
	s_or_b32 exec_lo, exec_lo, s4
	s_waitcnt lgkmcnt(0)
	s_waitcnt_vscnt null, 0x0
	s_barrier
	buffer_gl0_inv
	s_clause 0x23
	buffer_load_dword v103, off, s[0:3], 0 offset:108
	buffer_load_dword v105, off, s[0:3], 0 offset:116
	;; [unrolled: 1-line block ×36, first 2 shown]
	v_mov_b32_e32 v102, 0
	ds_read2_b64 v[5:8], v102 offset0:59 offset1:60
	ds_read2_b64 v[1:4], v102 offset0:61 offset1:62
	buffer_load_dword v147, off, s[0:3], 0 offset:100
	ds_read2_b64 v[139:142], v102 offset0:63 offset1:64
	ds_read2_b64 v[143:146], v102 offset0:65 offset1:66
	s_mov_b32 s4, exec_lo
	s_waitcnt vmcnt(36) lgkmcnt(3)
	v_mul_f32_e32 v148, v5, v103
	s_waitcnt vmcnt(35)
	v_mul_f32_e32 v149, v7, v105
	v_mul_f32_e32 v103, v6, v103
	;; [unrolled: 1-line block ×3, first 2 shown]
	s_waitcnt vmcnt(34) lgkmcnt(2)
	v_mul_f32_e32 v150, v1, v106
	v_mul_f32_e32 v106, v2, v106
	s_waitcnt vmcnt(30)
	v_mul_f32_e32 v151, v3, v107
	v_mul_f32_e32 v107, v4, v107
	v_fmac_f32_e32 v148, v6, v109
	v_fmac_f32_e32 v149, v8, v108
	v_fma_f32 v109, v5, v109, -v103
	v_fma_f32 v108, v7, v108, -v105
	ds_read2_b64 v[5:8], v102 offset0:67 offset1:68
	v_fmac_f32_e32 v150, v2, v104
	v_fma_f32 v152, v1, v104, -v106
	ds_read2_b64 v[103:106], v102 offset0:69 offset1:70
	s_waitcnt vmcnt(26)
	v_fmac_f32_e32 v151, v4, v118
	v_fma_f32 v107, v3, v118, -v107
	s_waitcnt vmcnt(25) lgkmcnt(3)
	v_mul_f32_e32 v118, v139, v116
	s_waitcnt vmcnt(24)
	v_mul_f32_e32 v153, v141, v117
	v_mul_f32_e32 v1, v140, v116
	;; [unrolled: 1-line block ×3, first 2 shown]
	s_clause 0x1
	buffer_load_dword v116, off, s[0:3], 0 offset:244
	buffer_load_dword v117, off, s[0:3], 0 offset:252
	v_fmac_f32_e32 v118, v140, v113
	v_fmac_f32_e32 v153, v142, v111
	v_fma_f32 v113, v139, v113, -v1
	v_fma_f32 v111, v141, v111, -v2
	ds_read2_b64 v[1:4], v102 offset0:71 offset1:72
	s_waitcnt vmcnt(25) lgkmcnt(3)
	v_mul_f32_e32 v139, v143, v114
	v_mul_f32_e32 v114, v144, v114
	s_waitcnt vmcnt(24)
	v_mul_f32_e32 v140, v145, v112
	v_mul_f32_e32 v112, v146, v112
	s_waitcnt vmcnt(23) lgkmcnt(2)
	v_mul_f32_e32 v141, v5, v115
	v_fmac_f32_e32 v139, v144, v110
	v_fma_f32 v110, v143, v110, -v114
	s_waitcnt vmcnt(22)
	v_mul_f32_e32 v114, v7, v119
	v_mul_f32_e32 v115, v6, v115
	;; [unrolled: 1-line block ×3, first 2 shown]
	s_waitcnt vmcnt(18)
	v_fma_f32 v112, v145, v126, -v112
	v_fmac_f32_e32 v141, v6, v124
	v_fmac_f32_e32 v114, v8, v123
	v_fma_f32 v115, v5, v124, -v115
	v_fma_f32 v119, v7, v123, -v119
	s_clause 0x5
	buffer_load_dword v123, off, s[0:3], 0 offset:260
	buffer_load_dword v124, off, s[0:3], 0 offset:268
	;; [unrolled: 1-line block ×6, first 2 shown]
	v_fmac_f32_e32 v140, v146, v126
	s_waitcnt vmcnt(23) lgkmcnt(1)
	v_mul_f32_e32 v126, v103, v125
	v_mul_f32_e32 v125, v104, v125
	s_waitcnt vmcnt(22)
	v_mul_f32_e32 v146, v105, v121
	v_mul_f32_e32 v121, v106, v121
	ds_read2_b64 v[5:8], v102 offset0:73 offset1:74
	v_fmac_f32_e32 v126, v104, v120
	v_fma_f32 v103, v103, v120, -v125
	s_waitcnt vmcnt(18)
	v_fmac_f32_e32 v146, v106, v137
	v_fma_f32 v104, v105, v137, -v121
	s_waitcnt vmcnt(17) lgkmcnt(1)
	v_mul_f32_e32 v105, v1, v135
	v_mul_f32_e32 v106, v2, v135
	s_clause 0x1
	buffer_load_dword v125, off, s[0:3], 0 offset:276
	buffer_load_dword v135, off, s[0:3], 0 offset:284
	v_add_f32_e32 v109, 0, v109
	s_waitcnt vmcnt(18)
	v_mul_f32_e32 v120, v3, v136
	v_mul_f32_e32 v121, v4, v136
	v_fma_f32 v106, v1, v132, -v106
	v_add_f32_e32 v1, 0, v148
	v_add_f32_e32 v108, v109, v108
	v_fmac_f32_e32 v105, v2, v132
	v_fmac_f32_e32 v120, v4, v131
	v_fma_f32 v121, v3, v131, -v121
	v_add_f32_e32 v148, v1, v149
	s_clause 0x3
	buffer_load_dword v131, off, s[0:3], 0 offset:292
	buffer_load_dword v132, off, s[0:3], 0 offset:300
	;; [unrolled: 1-line block ×4, first 2 shown]
	ds_read2_b64 v[1:4], v102 offset0:75 offset1:76
	s_waitcnt vmcnt(21) lgkmcnt(1)
	v_mul_f32_e32 v149, v5, v130
	v_mul_f32_e32 v109, v6, v130
	v_add_f32_e32 v130, v148, v150
	s_waitcnt vmcnt(20)
	v_mul_f32_e32 v148, v7, v129
	v_mul_f32_e32 v129, v8, v129
	v_fmac_f32_e32 v149, v6, v127
	v_fma_f32 v127, v5, v127, -v109
	v_add_f32_e32 v5, v130, v151
	v_add_f32_e32 v108, v108, v152
	s_clause 0x3
	buffer_load_dword v130, off, s[0:3], 0 offset:324
	buffer_load_dword v150, off, s[0:3], 0 offset:332
	;; [unrolled: 1-line block ×4, first 2 shown]
	s_waitcnt vmcnt(20)
	v_fmac_f32_e32 v148, v8, v138
	v_fma_f32 v129, v7, v138, -v129
	v_add_f32_e32 v5, v5, v118
	s_clause 0x5
	buffer_load_dword v138, off, s[0:3], 0 offset:356
	buffer_load_dword v118, off, s[0:3], 0 offset:312
	;; [unrolled: 1-line block ×6, first 2 shown]
	v_add_f32_e32 v6, v108, v107
	v_add_f32_e32 v5, v5, v153
	s_waitcnt vmcnt(25) lgkmcnt(0)
	v_mul_f32_e32 v109, v2, v134
	v_add_f32_e32 v6, v6, v113
	v_add_f32_e32 v108, v5, v139
	v_mul_f32_e32 v139, v1, v134
	v_add_f32_e32 v107, v6, v111
	ds_read2_b64 v[5:8], v102 offset0:77 offset1:78
	v_add_f32_e32 v108, v108, v140
	v_fmac_f32_e32 v139, v2, v133
	v_fma_f32 v111, v1, v133, -v109
	v_add_f32_e32 v107, v107, v110
	v_add_f32_e32 v2, v108, v141
	s_clause 0x5
	buffer_load_dword v133, off, s[0:3], 0 offset:344
	buffer_load_dword v134, off, s[0:3], 0 offset:336
	;; [unrolled: 1-line block ×6, first 2 shown]
	v_add_f32_e32 v1, v107, v112
	v_add_f32_e32 v2, v2, v114
	v_add_f32_e32 v1, v1, v115
	v_add_f32_e32 v107, v2, v126
	v_add_f32_e32 v1, v1, v119
	buffer_load_dword v119, off, s[0:3], 0 offset:96
	v_add_f32_e32 v107, v107, v146
	v_add_f32_e32 v103, v1, v103
	;; [unrolled: 1-line block ×6, first 2 shown]
	ds_read2_b64 v[103:106], v102 offset0:81 offset1:82
	v_add_f32_e32 v113, v113, v149
	v_add_f32_e32 v112, v109, v121
	;; [unrolled: 1-line block ×4, first 2 shown]
	s_waitcnt vmcnt(30)
	v_mul_f32_e32 v126, v3, v116
	v_mul_f32_e32 v2, v4, v116
	s_waitcnt vmcnt(29) lgkmcnt(1)
	v_mul_f32_e32 v108, v6, v117
	v_fmac_f32_e32 v126, v4, v128
	v_fma_f32 v115, v3, v128, -v2
	ds_read2_b64 v[1:4], v102 offset0:79 offset1:80
	v_mul_f32_e32 v128, v5, v117
	v_fmac_f32_e32 v128, v6, v122
	v_fma_f32 v122, v5, v122, -v108
	s_waitcnt vmcnt(28)
	v_mul_f32_e32 v117, v7, v123
	v_mul_f32_e32 v110, v8, v123
	s_waitcnt vmcnt(23)
	v_fmac_f32_e32 v117, v8, v145
	v_fma_f32 v121, v7, v145, -v110
	ds_read2_b64 v[5:8], v102 offset0:83 offset1:84
	ds_read2_b64 v[107:110], v102 offset0:85 offset1:86
	s_waitcnt lgkmcnt(2)
	v_mul_f32_e32 v114, v2, v124
	v_mul_f32_e32 v120, v1, v124
	v_fma_f32 v124, v1, v144, -v114
	v_add_f32_e32 v1, v113, v148
	s_waitcnt vmcnt(22)
	v_mul_f32_e32 v123, v3, v125
	v_mul_f32_e32 v116, v4, v125
	v_add_f32_e32 v125, v112, v111
	v_fmac_f32_e32 v120, v2, v144
	v_add_f32_e32 v129, v1, v139
	v_fmac_f32_e32 v123, v4, v143
	v_fma_f32 v127, v3, v143, -v116
	v_add_f32_e32 v125, v125, v115
	s_waitcnt vmcnt(21)
	v_mul_f32_e32 v139, v103, v135
	v_add_f32_e32 v126, v129, v126
	s_waitcnt vmcnt(20)
	v_mul_f32_e32 v129, v105, v131
	v_mul_f32_e32 v131, v106, v131
	v_add_f32_e32 v122, v125, v122
	v_mul_f32_e32 v125, v104, v135
	v_add_f32_e32 v126, v126, v128
	v_fmac_f32_e32 v139, v104, v142
	ds_read2_b64 v[111:114], v102 offset0:87 offset1:88
	ds_read2_b64 v[1:4], v102 offset0:89 offset1:90
	v_add_f32_e32 v121, v122, v121
	v_add_f32_e32 v117, v126, v117
	v_fma_f32 v103, v103, v142, -v125
	s_waitcnt vmcnt(19) lgkmcnt(3)
	v_mul_f32_e32 v128, v5, v132
	s_waitcnt vmcnt(18)
	v_mul_f32_e32 v122, v7, v136
	v_add_f32_e32 v121, v121, v124
	v_add_f32_e32 v117, v117, v120
	s_waitcnt vmcnt(17) lgkmcnt(2)
	v_mul_f32_e32 v135, v107, v137
	s_waitcnt vmcnt(9)
	v_fmac_f32_e32 v128, v6, v155
	s_waitcnt vmcnt(8)
	v_fma_f32 v105, v105, v156, -v131
	v_add_f32_e32 v121, v121, v127
	v_add_f32_e32 v117, v117, v123
	v_mul_f32_e32 v127, v6, v132
	v_fmac_f32_e32 v129, v106, v156
	v_fmac_f32_e32 v122, v8, v154
	v_add_f32_e32 v103, v121, v103
	v_add_f32_e32 v106, v117, v139
	v_mul_f32_e32 v117, v8, v136
	v_fma_f32 v5, v5, v155, -v127
	v_mul_f32_e32 v8, v110, v130
	v_add_f32_e32 v6, v103, v105
	v_add_f32_e32 v103, v106, v129
	v_mul_f32_e32 v105, v108, v137
	v_fma_f32 v7, v7, v154, -v117
	v_mul_f32_e32 v126, v109, v130
	v_add_f32_e32 v5, v6, v5
	v_add_f32_e32 v6, v103, v128
	v_fma_f32 v103, v107, v118, -v105
	v_fmac_f32_e32 v135, v108, v118
	ds_read_b64 v[115:116], v102 offset:728
	v_add_f32_e32 v5, v5, v7
	v_add_f32_e32 v6, v6, v122
	s_waitcnt lgkmcnt(2)
	v_mul_f32_e32 v7, v112, v150
	s_waitcnt vmcnt(3)
	v_fma_f32 v8, v109, v141, -v8
	v_mul_f32_e32 v124, v111, v150
	v_add_f32_e32 v5, v5, v103
	v_fmac_f32_e32 v126, v110, v141
	v_add_f32_e32 v6, v6, v135
	v_mul_f32_e32 v103, v114, v151
	v_fma_f32 v7, v111, v140, -v7
	v_add_f32_e32 v5, v5, v8
	v_mul_f32_e32 v104, v113, v151
	v_fmac_f32_e32 v124, v112, v140
	v_add_f32_e32 v6, v6, v126
	s_waitcnt lgkmcnt(1)
	v_mul_f32_e32 v120, v1, v152
	v_mul_f32_e32 v8, v2, v152
	v_fma_f32 v103, v113, v134, -v103
	v_add_f32_e32 v5, v5, v7
	v_fmac_f32_e32 v104, v114, v134
	v_add_f32_e32 v6, v6, v124
	v_mul_f32_e32 v7, v4, v138
	v_fmac_f32_e32 v120, v2, v133
	v_fma_f32 v1, v1, v133, -v8
	v_add_f32_e32 v2, v5, v103
	v_mul_f32_e32 v125, v3, v138
	v_add_f32_e32 v5, v6, v104
	s_waitcnt lgkmcnt(0)
	v_mul_f32_e32 v6, v116, v157
	s_waitcnt vmcnt(1)
	v_fma_f32 v3, v3, v158, -v7
	v_add_f32_e32 v1, v2, v1
	v_mul_f32_e32 v123, v115, v157
	v_fmac_f32_e32 v125, v4, v158
	v_add_f32_e32 v2, v5, v120
	v_fma_f32 v4, v115, v153, -v6
	v_add_f32_e32 v1, v1, v3
	v_fmac_f32_e32 v123, v116, v153
	v_add_f32_e32 v2, v2, v125
	v_add_f32_e32 v1, v1, v4
	;; [unrolled: 1-line block ×3, first 2 shown]
	s_waitcnt vmcnt(0)
	v_sub_f32_e32 v1, v119, v1
	v_sub_f32_e32 v2, v147, v2
	buffer_store_dword v1, off, s[0:3], 0 offset:96
	buffer_store_dword v2, off, s[0:3], 0 offset:100
	v_cmpx_lt_u32_e32 11, v0
	s_cbranch_execz .LBB45_267
; %bb.266:
	s_clause 0x1
	buffer_load_dword v1, off, s[0:3], 0 offset:88
	buffer_load_dword v2, off, s[0:3], 0 offset:92
	buffer_store_dword v102, off, s[0:3], 0 offset:88
	buffer_store_dword v102, off, s[0:3], 0 offset:92
	s_waitcnt vmcnt(0)
	ds_write_b64 v101, v[1:2]
.LBB45_267:
	s_or_b32 exec_lo, exec_lo, s4
	s_waitcnt lgkmcnt(0)
	s_waitcnt_vscnt null, 0x0
	s_barrier
	buffer_gl0_inv
	s_clause 0x23
	buffer_load_dword v137, off, s[0:3], 0 offset:100
	buffer_load_dword v138, off, s[0:3], 0 offset:108
	buffer_load_dword v103, off, s[0:3], 0 offset:112
	buffer_load_dword v108, off, s[0:3], 0 offset:104
	buffer_load_dword v109, off, s[0:3], 0 offset:96
	buffer_load_dword v106, off, s[0:3], 0 offset:116
	buffer_load_dword v105, off, s[0:3], 0 offset:124
	buffer_load_dword v104, off, s[0:3], 0 offset:132
	buffer_load_dword v107, off, s[0:3], 0 offset:140
	buffer_load_dword v110, off, s[0:3], 0 offset:144
	buffer_load_dword v113, off, s[0:3], 0 offset:136
	buffer_load_dword v114, off, s[0:3], 0 offset:128
	buffer_load_dword v115, off, s[0:3], 0 offset:120
	buffer_load_dword v111, off, s[0:3], 0 offset:148
	buffer_load_dword v112, off, s[0:3], 0 offset:156
	buffer_load_dword v116, off, s[0:3], 0 offset:164
	buffer_load_dword v117, off, s[0:3], 0 offset:176
	buffer_load_dword v118, off, s[0:3], 0 offset:168
	buffer_load_dword v121, off, s[0:3], 0 offset:160
	buffer_load_dword v126, off, s[0:3], 0 offset:152
	buffer_load_dword v122, off, s[0:3], 0 offset:172
	buffer_load_dword v119, off, s[0:3], 0 offset:180
	buffer_load_dword v120, off, s[0:3], 0 offset:188
	buffer_load_dword v124, off, s[0:3], 0 offset:208
	buffer_load_dword v129, off, s[0:3], 0 offset:200
	buffer_load_dword v130, off, s[0:3], 0 offset:192
	buffer_load_dword v135, off, s[0:3], 0 offset:184
	buffer_load_dword v132, off, s[0:3], 0 offset:196
	buffer_load_dword v133, off, s[0:3], 0 offset:204
	buffer_load_dword v127, off, s[0:3], 0 offset:212
	buffer_load_dword v125, off, s[0:3], 0 offset:220
	buffer_load_dword v123, off, s[0:3], 0 offset:240
	buffer_load_dword v128, off, s[0:3], 0 offset:232
	buffer_load_dword v131, off, s[0:3], 0 offset:224
	buffer_load_dword v136, off, s[0:3], 0 offset:216
	buffer_load_dword v134, off, s[0:3], 0 offset:228
	ds_read_b128 v[5:8], v102 offset:464
	ds_read_b128 v[1:4], v102 offset:480
	;; [unrolled: 1-line block ×3, first 2 shown]
	s_clause 0x1
	buffer_load_dword v147, off, s[0:3], 0 offset:236
	buffer_load_dword v148, off, s[0:3], 0 offset:244
	ds_read_b128 v[143:146], v102 offset:512
	buffer_load_dword v151, off, s[0:3], 0 offset:92
	s_mov_b32 s4, exec_lo
	s_waitcnt vmcnt(38) lgkmcnt(3)
	v_mul_f32_e32 v149, v5, v137
	s_waitcnt vmcnt(37)
	v_mul_f32_e32 v150, v7, v138
	v_mul_f32_e32 v137, v6, v137
	;; [unrolled: 1-line block ×3, first 2 shown]
	s_waitcnt vmcnt(34)
	v_fmac_f32_e32 v149, v6, v109
	v_fmac_f32_e32 v150, v8, v108
	v_fma_f32 v109, v5, v109, -v137
	v_fma_f32 v108, v7, v108, -v138
	ds_read_b128 v[5:8], v102 offset:528
	s_waitcnt vmcnt(33) lgkmcnt(3)
	v_mul_f32_e32 v137, v1, v106
	v_mul_f32_e32 v106, v2, v106
	s_waitcnt vmcnt(32)
	v_mul_f32_e32 v138, v3, v105
	v_mul_f32_e32 v105, v4, v105
	s_waitcnt vmcnt(31) lgkmcnt(2)
	v_mul_f32_e32 v152, v139, v104
	v_fmac_f32_e32 v137, v2, v103
	v_fma_f32 v153, v1, v103, -v106
	s_waitcnt vmcnt(30)
	v_mul_f32_e32 v154, v141, v107
	v_mul_f32_e32 v103, v140, v104
	;; [unrolled: 1-line block ×3, first 2 shown]
	s_waitcnt vmcnt(26)
	v_fmac_f32_e32 v138, v4, v115
	v_fma_f32 v107, v3, v115, -v105
	ds_read_b128 v[1:4], v102 offset:544
	v_fmac_f32_e32 v152, v140, v114
	v_fma_f32 v114, v139, v114, -v103
	s_waitcnt vmcnt(25) lgkmcnt(2)
	v_mul_f32_e32 v115, v143, v111
	s_waitcnt vmcnt(24)
	v_mul_f32_e32 v139, v145, v112
	v_mul_f32_e32 v111, v144, v111
	;; [unrolled: 1-line block ×3, first 2 shown]
	v_fmac_f32_e32 v154, v142, v113
	v_fma_f32 v113, v141, v113, -v104
	ds_read_b128 v[103:106], v102 offset:560
	v_fmac_f32_e32 v115, v144, v110
	s_waitcnt vmcnt(19)
	v_fmac_f32_e32 v139, v146, v126
	v_fma_f32 v110, v143, v110, -v111
	v_fma_f32 v111, v145, v126, -v112
	s_clause 0x4
	buffer_load_dword v112, off, s[0:3], 0 offset:252
	buffer_load_dword v126, off, s[0:3], 0 offset:272
	;; [unrolled: 1-line block ×5, first 2 shown]
	s_waitcnt lgkmcnt(2)
	v_mul_f32_e32 v140, v5, v116
	v_mul_f32_e32 v116, v6, v116
	s_waitcnt vmcnt(23)
	v_mul_f32_e32 v144, v7, v122
	v_mul_f32_e32 v122, v8, v122
	v_fmac_f32_e32 v140, v6, v121
	v_fma_f32 v5, v5, v121, -v116
	s_waitcnt vmcnt(22) lgkmcnt(1)
	v_mul_f32_e32 v116, v1, v119
	v_fmac_f32_e32 v144, v8, v118
	v_fma_f32 v118, v7, v118, -v122
	s_waitcnt vmcnt(21)
	v_mul_f32_e32 v121, v3, v120
	v_mul_f32_e32 v6, v2, v119
	;; [unrolled: 1-line block ×3, first 2 shown]
	s_clause 0x2
	buffer_load_dword v119, off, s[0:3], 0 offset:260
	buffer_load_dword v120, off, s[0:3], 0 offset:268
	;; [unrolled: 1-line block ×3, first 2 shown]
	v_fmac_f32_e32 v116, v2, v117
	s_waitcnt vmcnt(20)
	v_fmac_f32_e32 v121, v4, v135
	v_fma_f32 v117, v1, v117, -v6
	v_fma_f32 v135, v3, v135, -v7
	ds_read_b128 v[1:4], v102 offset:576
	v_add_f32_e32 v6, 0, v149
	v_add_f32_e32 v7, 0, v109
	s_waitcnt vmcnt(19) lgkmcnt(1)
	v_mul_f32_e32 v145, v103, v132
	s_waitcnt vmcnt(18)
	v_mul_f32_e32 v146, v105, v133
	v_mul_f32_e32 v8, v104, v132
	v_add_f32_e32 v6, v6, v150
	v_mul_f32_e32 v109, v106, v133
	v_add_f32_e32 v7, v7, v108
	v_fmac_f32_e32 v145, v104, v130
	v_fmac_f32_e32 v146, v106, v129
	v_add_f32_e32 v6, v6, v137
	v_fma_f32 v103, v103, v130, -v8
	v_fma_f32 v108, v105, v129, -v109
	v_add_f32_e32 v7, v7, v153
	s_clause 0x7
	buffer_load_dword v129, off, s[0:3], 0 offset:284
	buffer_load_dword v130, off, s[0:3], 0 offset:292
	;; [unrolled: 1-line block ×8, first 2 shown]
	v_add_f32_e32 v6, v6, v138
	v_add_f32_e32 v7, v7, v107
	s_waitcnt vmcnt(25) lgkmcnt(0)
	v_mul_f32_e32 v8, v2, v127
	v_mul_f32_e32 v109, v1, v127
	s_clause 0x3
	buffer_load_dword v127, off, s[0:3], 0 offset:316
	buffer_load_dword v138, off, s[0:3], 0 offset:324
	buffer_load_dword v155, off, s[0:3], 0 offset:332
	buffer_load_dword v156, off, s[0:3], 0 offset:340
	v_fma_f32 v107, v1, v124, -v8
	v_add_f32_e32 v1, v6, v152
	v_fmac_f32_e32 v109, v2, v124
	v_add_f32_e32 v6, v7, v114
	s_waitcnt vmcnt(28)
	v_mul_f32_e32 v114, v3, v125
	v_mul_f32_e32 v2, v4, v125
	v_add_f32_e32 v7, v1, v154
	s_clause 0x2
	buffer_load_dword v124, off, s[0:3], 0 offset:348
	buffer_load_dword v152, off, s[0:3], 0 offset:356
	;; [unrolled: 1-line block ×3, first 2 shown]
	s_waitcnt vmcnt(27)
	v_fmac_f32_e32 v114, v4, v136
	v_fma_f32 v136, v3, v136, -v2
	ds_read_b128 v[1:4], v102 offset:592
	v_add_f32_e32 v7, v7, v115
	v_add_f32_e32 v6, v6, v113
	;; [unrolled: 1-line block ×3, first 2 shown]
	s_clause 0x3
	buffer_load_dword v139, off, s[0:3], 0 offset:336
	buffer_load_dword v154, off, s[0:3], 0 offset:328
	;; [unrolled: 1-line block ×4, first 2 shown]
	v_add_f32_e32 v6, v6, v110
	v_add_f32_e32 v104, v7, v140
	v_add_f32_e32 v6, v6, v111
	v_add_f32_e32 v104, v104, v144
	v_add_f32_e32 v105, v6, v5
	ds_read_b128 v[5:8], v102 offset:608
	s_waitcnt vmcnt(30) lgkmcnt(1)
	v_mul_f32_e32 v111, v1, v134
	v_mul_f32_e32 v106, v2, v134
	s_waitcnt vmcnt(29)
	v_mul_f32_e32 v115, v3, v147
	v_fmac_f32_e32 v111, v2, v131
	v_fma_f32 v113, v1, v131, -v106
	s_clause 0x3
	buffer_load_dword v131, off, s[0:3], 0 offset:360
	buffer_load_dword v134, off, s[0:3], 0 offset:352
	;; [unrolled: 1-line block ×4, first 2 shown]
	v_add_f32_e32 v1, v105, v118
	v_add_f32_e32 v2, v104, v116
	v_mul_f32_e32 v104, v4, v147
	v_fmac_f32_e32 v115, v4, v128
	v_add_f32_e32 v1, v1, v117
	v_add_f32_e32 v2, v2, v121
	v_fma_f32 v116, v3, v128, -v104
	v_add_f32_e32 v105, v1, v135
	v_add_f32_e32 v110, v2, v145
	ds_read_b128 v[1:4], v102 offset:624
	s_waitcnt vmcnt(32) lgkmcnt(1)
	v_mul_f32_e32 v118, v5, v148
	v_mul_f32_e32 v121, v6, v148
	v_add_f32_e32 v117, v105, v103
	ds_read_b128 v[103:106], v102 offset:640
	v_add_f32_e32 v110, v110, v146
	v_fmac_f32_e32 v118, v6, v123
	v_fma_f32 v121, v5, v123, -v121
	v_add_f32_e32 v108, v117, v108
	v_add_f32_e32 v117, v110, v109
	;; [unrolled: 1-line block ×5, first 2 shown]
	s_waitcnt vmcnt(30)
	v_mul_f32_e32 v128, v7, v112
	v_mul_f32_e32 v112, v8, v112
	s_waitcnt vmcnt(26)
	v_fmac_f32_e32 v128, v8, v143
	v_fma_f32 v123, v7, v143, -v112
	v_add_f32_e32 v112, v108, v107
	ds_read_b128 v[5:8], v102 offset:656
	ds_read_b128 v[107:110], v102 offset:672
	v_add_f32_e32 v112, v112, v136
	s_waitcnt vmcnt(25) lgkmcnt(3)
	v_mul_f32_e32 v135, v1, v119
	v_mul_f32_e32 v117, v2, v119
	s_waitcnt vmcnt(24)
	v_mul_f32_e32 v136, v3, v120
	v_mul_f32_e32 v119, v4, v120
	s_waitcnt vmcnt(23) lgkmcnt(2)
	v_mul_f32_e32 v120, v103, v122
	v_fmac_f32_e32 v135, v2, v142
	v_fma_f32 v142, v1, v142, -v117
	v_add_f32_e32 v117, v112, v113
	v_fmac_f32_e32 v136, v4, v141
	v_fma_f32 v119, v3, v141, -v119
	v_mul_f32_e32 v122, v104, v122
	ds_read_b128 v[1:4], v102 offset:688
	ds_read_b128 v[111:114], v102 offset:704
	v_add_f32_e32 v141, v117, v116
	v_fmac_f32_e32 v120, v104, v126
	v_add_f32_e32 v104, v115, v118
	ds_read_b128 v[115:118], v102 offset:720
	v_fma_f32 v103, v103, v126, -v122
	v_add_f32_e32 v102, v141, v121
	s_waitcnt vmcnt(22)
	v_mul_f32_e32 v122, v106, v129
	v_add_f32_e32 v104, v104, v128
	v_mul_f32_e32 v121, v105, v129
	s_waitcnt vmcnt(21) lgkmcnt(4)
	v_mul_f32_e32 v126, v5, v130
	v_add_f32_e32 v102, v102, v123
	v_mul_f32_e32 v128, v6, v130
	v_add_f32_e32 v104, v104, v135
	s_waitcnt vmcnt(15)
	v_fma_f32 v105, v105, v153, -v122
	v_fmac_f32_e32 v121, v106, v153
	v_add_f32_e32 v102, v102, v142
	v_fmac_f32_e32 v126, v6, v150
	v_add_f32_e32 v104, v104, v136
	v_fma_f32 v5, v5, v150, -v128
	v_mul_f32_e32 v123, v7, v132
	v_add_f32_e32 v102, v102, v119
	v_mul_f32_e32 v119, v8, v132
	s_waitcnt lgkmcnt(3)
	v_mul_f32_e32 v106, v107, v133
	s_waitcnt vmcnt(14)
	v_mul_f32_e32 v122, v109, v127
	v_fmac_f32_e32 v123, v8, v149
	v_add_f32_e32 v102, v102, v103
	v_add_f32_e32 v103, v104, v120
	v_fma_f32 v7, v7, v149, -v119
	v_mul_f32_e32 v8, v110, v127
	v_fmac_f32_e32 v106, v108, v137
	v_add_f32_e32 v6, v102, v105
	v_add_f32_e32 v102, v103, v121
	v_mul_f32_e32 v103, v108, v133
	s_waitcnt vmcnt(13) lgkmcnt(2)
	v_mul_f32_e32 v129, v1, v138
	s_waitcnt vmcnt(12)
	v_mul_f32_e32 v130, v3, v155
	v_add_f32_e32 v5, v6, v5
	v_add_f32_e32 v6, v102, v126
	v_fma_f32 v102, v107, v137, -v103
	s_waitcnt vmcnt(4)
	v_fma_f32 v8, v109, v158, -v8
	v_fmac_f32_e32 v122, v110, v158
	v_add_f32_e32 v5, v5, v7
	v_add_f32_e32 v6, v6, v123
	v_mul_f32_e32 v7, v2, v138
	v_fmac_f32_e32 v129, v2, v157
	s_waitcnt lgkmcnt(1)
	v_mul_f32_e32 v135, v111, v156
	v_add_f32_e32 v5, v5, v102
	v_add_f32_e32 v6, v6, v106
	v_mul_f32_e32 v102, v4, v155
	v_fma_f32 v1, v1, v157, -v7
	v_fmac_f32_e32 v130, v4, v154
	v_add_f32_e32 v2, v5, v8
	v_add_f32_e32 v5, v6, v122
	v_mul_f32_e32 v6, v112, v156
	v_fma_f32 v3, v3, v154, -v102
	v_mul_f32_e32 v4, v114, v124
	v_add_f32_e32 v1, v2, v1
	v_add_f32_e32 v2, v5, v129
	v_fma_f32 v5, v111, v139, -v6
	v_mul_f32_e32 v132, v113, v124
	v_fmac_f32_e32 v135, v112, v139
	v_add_f32_e32 v1, v1, v3
	v_add_f32_e32 v2, v2, v130
	s_waitcnt lgkmcnt(0)
	v_mul_f32_e32 v3, v116, v152
	s_waitcnt vmcnt(1)
	v_fma_f32 v4, v113, v140, -v4
	v_mul_f32_e32 v136, v115, v152
	v_add_f32_e32 v1, v1, v5
	v_fmac_f32_e32 v132, v114, v140
	v_add_f32_e32 v2, v2, v135
	v_mul_f32_e32 v5, v118, v125
	v_fma_f32 v3, v115, v134, -v3
	v_add_f32_e32 v1, v1, v4
	v_mul_f32_e32 v104, v117, v125
	v_fmac_f32_e32 v136, v116, v134
	v_add_f32_e32 v2, v2, v132
	v_fma_f32 v4, v117, v131, -v5
	v_add_f32_e32 v1, v1, v3
	v_fmac_f32_e32 v104, v118, v131
	v_add_f32_e32 v2, v2, v136
	v_add_f32_e32 v1, v1, v4
	;; [unrolled: 1-line block ×3, first 2 shown]
	s_waitcnt vmcnt(0)
	v_sub_f32_e32 v1, v144, v1
	v_sub_f32_e32 v2, v151, v2
	buffer_store_dword v1, off, s[0:3], 0 offset:88
	buffer_store_dword v2, off, s[0:3], 0 offset:92
	v_cmpx_lt_u32_e32 10, v0
	s_cbranch_execz .LBB45_269
; %bb.268:
	s_clause 0x1
	buffer_load_dword v1, off, s[0:3], 0 offset:80
	buffer_load_dword v2, off, s[0:3], 0 offset:84
	v_mov_b32_e32 v3, 0
	buffer_store_dword v3, off, s[0:3], 0 offset:80
	buffer_store_dword v3, off, s[0:3], 0 offset:84
	s_waitcnt vmcnt(0)
	ds_write_b64 v101, v[1:2]
.LBB45_269:
	s_or_b32 exec_lo, exec_lo, s4
	s_waitcnt lgkmcnt(0)
	s_waitcnt_vscnt null, 0x0
	s_barrier
	buffer_gl0_inv
	s_clause 0x2a
	buffer_load_dword v7, off, s[0:3], 0 offset:92
	buffer_load_dword v8, off, s[0:3], 0 offset:100
	;; [unrolled: 1-line block ×43, first 2 shown]
	v_mov_b32_e32 v1, 0
	ds_read2_b64 v[134:137], v1 offset0:57 offset1:58
	ds_read2_b64 v[138:141], v1 offset0:59 offset1:60
	;; [unrolled: 1-line block ×3, first 2 shown]
	buffer_load_dword v152, off, s[0:3], 0 offset:84
	s_mov_b32 s4, exec_lo
	s_waitcnt vmcnt(43) lgkmcnt(2)
	v_mul_f32_e32 v150, v134, v7
	s_waitcnt vmcnt(42)
	v_mul_f32_e32 v151, v136, v8
	v_mul_f32_e32 v7, v135, v7
	;; [unrolled: 1-line block ×3, first 2 shown]
	s_waitcnt vmcnt(39)
	v_fmac_f32_e32 v150, v135, v6
	v_fmac_f32_e32 v151, v137, v5
	v_fma_f32 v153, v134, v6, -v7
	v_fma_f32 v154, v136, v5, -v8
	ds_read2_b64 v[5:8], v1 offset0:63 offset1:64
	ds_read2_b64 v[134:137], v1 offset0:65 offset1:66
	s_waitcnt vmcnt(38) lgkmcnt(3)
	v_mul_f32_e32 v155, v138, v3
	v_mul_f32_e32 v3, v139, v3
	s_waitcnt vmcnt(37)
	v_mul_f32_e32 v156, v140, v4
	v_mul_f32_e32 v4, v141, v4
	s_waitcnt vmcnt(32) lgkmcnt(2)
	v_mul_f32_e32 v158, v142, v109
	v_fmac_f32_e32 v155, v139, v2
	v_fma_f32 v157, v138, v2, -v3
	v_mul_f32_e32 v2, v143, v109
	s_waitcnt vmcnt(31)
	v_mul_f32_e32 v159, v144, v108
	v_mul_f32_e32 v3, v145, v108
	v_fmac_f32_e32 v156, v141, v110
	v_fma_f32 v110, v140, v110, -v4
	v_fmac_f32_e32 v158, v143, v105
	v_fma_f32 v142, v142, v105, -v2
	;; [unrolled: 2-line block ×3, first 2 shown]
	ds_read2_b64 v[138:141], v1 offset0:67 offset1:68
	s_waitcnt vmcnt(30) lgkmcnt(2)
	v_mul_f32_e32 v143, v5, v106
	v_mul_f32_e32 v2, v6, v106
	s_waitcnt vmcnt(29)
	v_mul_f32_e32 v145, v7, v104
	v_mul_f32_e32 v3, v8, v104
	s_waitcnt vmcnt(28) lgkmcnt(1)
	v_mul_f32_e32 v160, v134, v107
	v_fmac_f32_e32 v143, v6, v102
	v_fma_f32 v6, v5, v102, -v2
	s_waitcnt vmcnt(24)
	v_fmac_f32_e32 v145, v8, v117
	v_fma_f32 v7, v7, v117, -v3
	s_waitcnt vmcnt(23)
	v_mul_f32_e32 v8, v136, v116
	v_mul_f32_e32 v102, v135, v107
	;; [unrolled: 1-line block ×3, first 2 shown]
	ds_read2_b64 v[2:5], v1 offset0:69 offset1:70
	v_fmac_f32_e32 v160, v135, v115
	v_fmac_f32_e32 v8, v137, v112
	v_fma_f32 v115, v134, v115, -v102
	v_fma_f32 v112, v136, v112, -v103
	ds_read2_b64 v[102:105], v1 offset0:71 offset1:72
	s_waitcnt vmcnt(22) lgkmcnt(2)
	v_mul_f32_e32 v116, v138, v114
	v_mul_f32_e32 v106, v139, v114
	s_waitcnt vmcnt(21)
	v_mul_f32_e32 v114, v140, v113
	v_mul_f32_e32 v107, v141, v113
	buffer_load_dword v113, off, s[0:3], 0 offset:252
	v_fmac_f32_e32 v116, v139, v111
	v_fma_f32 v111, v138, v111, -v106
	s_waitcnt vmcnt(18)
	v_fmac_f32_e32 v114, v141, v125
	v_fma_f32 v117, v140, v125, -v107
	s_waitcnt vmcnt(17) lgkmcnt(1)
	v_mul_f32_e32 v125, v2, v123
	s_waitcnt vmcnt(16)
	v_mul_f32_e32 v134, v4, v124
	v_mul_f32_e32 v106, v3, v123
	;; [unrolled: 1-line block ×3, first 2 shown]
	v_fmac_f32_e32 v125, v3, v120
	v_fmac_f32_e32 v134, v5, v119
	v_fma_f32 v120, v2, v120, -v106
	v_fma_f32 v119, v4, v119, -v107
	ds_read2_b64 v[2:5], v1 offset0:73 offset1:74
	s_waitcnt vmcnt(15) lgkmcnt(1)
	v_mul_f32_e32 v123, v102, v122
	v_mul_f32_e32 v108, v103, v122
	s_waitcnt vmcnt(14)
	v_mul_f32_e32 v122, v104, v121
	v_mul_f32_e32 v121, v105, v121
	v_fmac_f32_e32 v123, v103, v118
	v_fma_f32 v118, v102, v118, -v108
	ds_read2_b64 v[106:109], v1 offset0:75 offset1:76
	s_waitcnt vmcnt(10)
	v_fmac_f32_e32 v122, v105, v133
	v_fma_f32 v121, v104, v133, -v121
	s_clause 0x1
	buffer_load_dword v124, off, s[0:3], 0 offset:260
	buffer_load_dword v133, off, s[0:3], 0 offset:268
	s_waitcnt vmcnt(11) lgkmcnt(1)
	v_mul_f32_e32 v135, v2, v132
	v_mul_f32_e32 v102, v3, v132
	s_waitcnt vmcnt(10)
	v_mul_f32_e32 v136, v4, v131
	v_mul_f32_e32 v103, v5, v131
	buffer_load_dword v132, off, s[0:3], 0 offset:276
	v_fmac_f32_e32 v135, v3, v129
	v_fma_f32 v129, v2, v129, -v102
	v_fmac_f32_e32 v136, v5, v127
	s_waitcnt vmcnt(10) lgkmcnt(0)
	v_mul_f32_e32 v131, v106, v130
	v_mul_f32_e32 v2, v107, v130
	s_waitcnt vmcnt(9)
	v_mul_f32_e32 v3, v109, v128
	s_clause 0x3
	buffer_load_dword v130, off, s[0:3], 0 offset:296
	buffer_load_dword v137, off, s[0:3], 0 offset:288
	;; [unrolled: 1-line block ×4, first 2 shown]
	v_mul_f32_e32 v140, v108, v128
	v_fmac_f32_e32 v131, v107, v126
	v_fma_f32 v126, v106, v126, -v2
	v_add_f32_e32 v2, 0, v150
	s_clause 0x1
	buffer_load_dword v128, off, s[0:3], 0 offset:284
	buffer_load_dword v150, off, s[0:3], 0 offset:300
	s_waitcnt vmcnt(11)
	v_fma_f32 v141, v108, v149, -v3
	v_add_f32_e32 v3, 0, v153
	v_add_f32_e32 v2, v2, v151
	v_fmac_f32_e32 v140, v109, v149
	s_clause 0x4
	buffer_load_dword v149, off, s[0:3], 0 offset:292
	buffer_load_dword v151, off, s[0:3], 0 offset:308
	;; [unrolled: 1-line block ×5, first 2 shown]
	v_add_f32_e32 v3, v3, v154
	v_add_f32_e32 v2, v2, v155
	s_clause 0x1
	buffer_load_dword v154, off, s[0:3], 0 offset:340
	buffer_load_dword v155, off, s[0:3], 0 offset:348
	v_fma_f32 v127, v4, v127, -v103
	v_add_f32_e32 v3, v3, v157
	v_add_f32_e32 v2, v2, v156
	s_clause 0x1
	buffer_load_dword v156, off, s[0:3], 0 offset:356
	buffer_load_dword v157, off, s[0:3], 0 offset:364
	v_add_f32_e32 v3, v3, v110
	v_add_f32_e32 v2, v2, v158
	;; [unrolled: 1-line block ×4, first 2 shown]
	s_clause 0x3
	buffer_load_dword v142, off, s[0:3], 0 offset:328
	buffer_load_dword v158, off, s[0:3], 0 offset:320
	;; [unrolled: 1-line block ×4, first 2 shown]
	v_add_f32_e32 v3, v3, v144
	v_add_f32_e32 v2, v2, v143
	v_add_f32_e32 v3, v3, v6
	v_add_f32_e32 v2, v2, v145
	s_clause 0x4
	buffer_load_dword v143, off, s[0:3], 0 offset:360
	buffer_load_dword v144, off, s[0:3], 0 offset:352
	;; [unrolled: 1-line block ×5, first 2 shown]
	ds_read2_b64 v[102:105], v1 offset0:79 offset1:80
	v_add_f32_e32 v3, v3, v7
	v_add_f32_e32 v2, v2, v160
	;; [unrolled: 1-line block ×5, first 2 shown]
	ds_read2_b64 v[2:5], v1 offset0:77 offset1:78
	v_add_f32_e32 v6, v6, v116
	v_add_f32_e32 v7, v7, v111
	;; [unrolled: 1-line block ×14, first 2 shown]
	s_waitcnt vmcnt(27) lgkmcnt(0)
	v_mul_f32_e32 v8, v2, v113
	v_mul_f32_e32 v106, v3, v113
	v_fmac_f32_e32 v8, v3, v148
	v_add_f32_e32 v3, v7, v118
	v_fma_f32 v118, v2, v148, -v106
	v_add_f32_e32 v8, v125, v8
	v_add_f32_e32 v7, v3, v121
	;; [unrolled: 1-line block ×5, first 2 shown]
	s_waitcnt vmcnt(26)
	v_mul_f32_e32 v119, v4, v124
	v_mul_f32_e32 v107, v5, v124
	v_add_f32_e32 v126, v7, v141
	s_waitcnt vmcnt(25)
	v_mul_f32_e32 v114, v103, v133
	v_mul_f32_e32 v121, v102, v133
	v_fmac_f32_e32 v119, v5, v147
	v_fma_f32 v120, v4, v147, -v107
	ds_read2_b64 v[2:5], v1 offset0:81 offset1:82
	ds_read2_b64 v[106:109], v1 offset0:83 offset1:84
	v_add_f32_e32 v118, v126, v118
	v_fma_f32 v124, v102, v146, -v114
	v_fmac_f32_e32 v121, v103, v146
	v_add_f32_e32 v8, v8, v119
	ds_read2_b64 v[110:113], v1 offset0:85 offset1:86
	ds_read2_b64 v[114:117], v1 offset0:87 offset1:88
	s_waitcnt vmcnt(24)
	v_mul_f32_e32 v123, v105, v132
	v_add_f32_e32 v118, v118, v120
	v_mul_f32_e32 v122, v104, v132
	v_add_f32_e32 v8, v8, v121
	v_add_f32_e32 v118, v118, v124
	s_waitcnt vmcnt(20)
	v_fma_f32 v123, v104, v139, -v123
	v_fmac_f32_e32 v122, v105, v139
	ds_read2_b64 v[102:105], v1 offset0:89 offset1:90
	ds_read_b64 v[6:7], v1 offset:728
	s_waitcnt vmcnt(19) lgkmcnt(5)
	v_mul_f32_e32 v126, v3, v128
	v_mul_f32_e32 v127, v2, v128
	v_add_f32_e32 v118, v118, v123
	v_add_f32_e32 v8, v8, v122
	s_waitcnt vmcnt(18) lgkmcnt(4)
	v_mul_f32_e32 v125, v106, v150
	v_fma_f32 v2, v2, v138, -v126
	s_waitcnt vmcnt(17)
	v_mul_f32_e32 v128, v5, v149
	v_mul_f32_e32 v129, v4, v149
	v_fmac_f32_e32 v127, v3, v138
	v_mul_f32_e32 v126, v107, v150
	v_add_f32_e32 v2, v118, v2
	v_fma_f32 v4, v4, v137, -v128
	v_fmac_f32_e32 v129, v5, v137
	v_add_f32_e32 v5, v8, v127
	s_waitcnt vmcnt(16)
	v_mul_f32_e32 v8, v109, v151
	v_fma_f32 v106, v106, v130, -v126
	v_add_f32_e32 v2, v2, v4
	v_mul_f32_e32 v120, v108, v151
	v_fmac_f32_e32 v125, v107, v130
	v_add_f32_e32 v4, v5, v129
	s_waitcnt vmcnt(15) lgkmcnt(3)
	v_mul_f32_e32 v5, v111, v153
	v_add_f32_e32 v2, v2, v106
	v_mul_f32_e32 v131, v110, v153
	s_waitcnt vmcnt(14)
	v_mul_f32_e32 v106, v113, v161
	v_add_f32_e32 v4, v4, v125
	s_waitcnt vmcnt(5)
	v_fma_f32 v8, v108, v163, -v8
	v_fmac_f32_e32 v120, v109, v163
	v_fma_f32 v5, v110, v159, -v5
	v_mul_f32_e32 v119, v112, v161
	v_fmac_f32_e32 v131, v111, v159
	v_add_f32_e32 v2, v2, v8
	v_add_f32_e32 v4, v4, v120
	s_waitcnt lgkmcnt(2)
	v_mul_f32_e32 v8, v115, v162
	v_fma_f32 v106, v112, v158, -v106
	v_mul_f32_e32 v124, v114, v162
	v_add_f32_e32 v2, v2, v5
	v_fmac_f32_e32 v119, v113, v158
	v_add_f32_e32 v4, v4, v131
	v_mul_f32_e32 v5, v117, v154
	v_fma_f32 v8, v114, v142, -v8
	v_add_f32_e32 v2, v2, v106
	v_mul_f32_e32 v3, v116, v154
	v_fmac_f32_e32 v124, v115, v142
	v_add_f32_e32 v4, v4, v119
	s_waitcnt lgkmcnt(1)
	v_mul_f32_e32 v106, v103, v155
	s_waitcnt vmcnt(1)
	v_fma_f32 v5, v116, v164, -v5
	v_add_f32_e32 v2, v2, v8
	v_mul_f32_e32 v121, v102, v155
	v_fmac_f32_e32 v3, v117, v164
	v_add_f32_e32 v4, v4, v124
	v_mul_f32_e32 v8, v105, v156
	v_fma_f32 v102, v102, v145, -v106
	v_add_f32_e32 v2, v2, v5
	v_mul_f32_e32 v123, v104, v156
	v_fmac_f32_e32 v121, v103, v145
	v_add_f32_e32 v3, v4, v3
	s_waitcnt lgkmcnt(0)
	v_mul_f32_e32 v4, v7, v157
	v_fma_f32 v5, v104, v144, -v8
	v_add_f32_e32 v2, v2, v102
	v_mul_f32_e32 v122, v6, v157
	v_fmac_f32_e32 v123, v105, v144
	v_add_f32_e32 v3, v3, v121
	v_fma_f32 v4, v6, v143, -v4
	v_add_f32_e32 v2, v2, v5
	v_fmac_f32_e32 v122, v7, v143
	v_add_f32_e32 v3, v3, v123
	v_add_f32_e32 v2, v2, v4
	;; [unrolled: 1-line block ×3, first 2 shown]
	s_waitcnt vmcnt(0)
	v_sub_f32_e32 v2, v165, v2
	v_sub_f32_e32 v3, v152, v3
	buffer_store_dword v2, off, s[0:3], 0 offset:80
	buffer_store_dword v3, off, s[0:3], 0 offset:84
	v_cmpx_lt_u32_e32 9, v0
	s_cbranch_execz .LBB45_271
; %bb.270:
	s_clause 0x1
	buffer_load_dword v2, off, s[0:3], 0 offset:72
	buffer_load_dword v3, off, s[0:3], 0 offset:76
	buffer_store_dword v1, off, s[0:3], 0 offset:72
	buffer_store_dword v1, off, s[0:3], 0 offset:76
	s_waitcnt vmcnt(0)
	ds_write_b64 v101, v[2:3]
.LBB45_271:
	s_or_b32 exec_lo, exec_lo, s4
	s_waitcnt lgkmcnt(0)
	s_waitcnt_vscnt null, 0x0
	s_barrier
	buffer_gl0_inv
	s_clause 0x2a
	buffer_load_dword v8, off, s[0:3], 0 offset:84
	buffer_load_dword v102, off, s[0:3], 0 offset:92
	;; [unrolled: 1-line block ×43, first 2 shown]
	ds_read_b128 v[134:137], v1 offset:448
	ds_read_b128 v[138:141], v1 offset:464
	;; [unrolled: 1-line block ×3, first 2 shown]
	buffer_load_dword v152, off, s[0:3], 0 offset:76
	s_mov_b32 s4, exec_lo
	s_waitcnt vmcnt(43) lgkmcnt(2)
	v_mul_f32_e32 v150, v134, v8
	s_waitcnt vmcnt(42)
	v_mul_f32_e32 v151, v136, v102
	v_mul_f32_e32 v8, v135, v8
	;; [unrolled: 1-line block ×3, first 2 shown]
	s_waitcnt vmcnt(39)
	v_fmac_f32_e32 v150, v135, v6
	v_fmac_f32_e32 v151, v137, v5
	v_fma_f32 v6, v134, v6, -v8
	v_fma_f32 v8, v136, v5, -v102
	ds_read_b128 v[134:137], v1 offset:496
	s_waitcnt vmcnt(38) lgkmcnt(2)
	v_mul_f32_e32 v153, v138, v3
	s_waitcnt vmcnt(37)
	v_mul_f32_e32 v154, v140, v4
	v_mul_f32_e32 v3, v139, v3
	;; [unrolled: 1-line block ×3, first 2 shown]
	s_waitcnt vmcnt(32) lgkmcnt(1)
	v_mul_f32_e32 v102, v143, v107
	v_fmac_f32_e32 v153, v139, v2
	v_fmac_f32_e32 v154, v141, v109
	v_fma_f32 v138, v138, v2, -v3
	v_fma_f32 v139, v140, v109, -v4
	ds_read_b128 v[2:5], v1 offset:512
	v_mul_f32_e32 v140, v142, v107
	s_waitcnt vmcnt(31)
	v_mul_f32_e32 v141, v144, v108
	v_mul_f32_e32 v107, v145, v108
	v_fma_f32 v142, v142, v106, -v102
	v_fmac_f32_e32 v140, v143, v106
	v_fmac_f32_e32 v141, v145, v103
	v_fma_f32 v143, v144, v103, -v107
	ds_read_b128 v[106:109], v1 offset:528
	s_waitcnt vmcnt(30) lgkmcnt(2)
	v_mul_f32_e32 v144, v134, v104
	s_waitcnt vmcnt(29)
	v_mul_f32_e32 v145, v136, v105
	v_mul_f32_e32 v102, v135, v104
	v_mul_f32_e32 v103, v137, v105
	v_fmac_f32_e32 v144, v135, v7
	s_waitcnt vmcnt(25)
	v_fmac_f32_e32 v145, v137, v117
	v_fma_f32 v7, v134, v7, -v102
	v_fma_f32 v117, v136, v117, -v103
	ds_read_b128 v[102:105], v1 offset:544
	s_waitcnt vmcnt(24) lgkmcnt(2)
	v_mul_f32_e32 v134, v2, v115
	s_waitcnt vmcnt(23)
	v_mul_f32_e32 v135, v4, v116
	v_mul_f32_e32 v115, v3, v115
	;; [unrolled: 1-line block ×3, first 2 shown]
	v_fmac_f32_e32 v134, v3, v114
	v_fmac_f32_e32 v135, v5, v111
	v_fma_f32 v114, v2, v114, -v115
	v_fma_f32 v111, v4, v111, -v116
	ds_read_b128 v[2:5], v1 offset:560
	s_waitcnt vmcnt(22) lgkmcnt(2)
	v_mul_f32_e32 v115, v106, v112
	s_waitcnt vmcnt(21)
	v_mul_f32_e32 v116, v108, v113
	v_mul_f32_e32 v112, v107, v112
	v_mul_f32_e32 v113, v109, v113
	v_fmac_f32_e32 v115, v107, v110
	s_waitcnt vmcnt(17)
	v_fmac_f32_e32 v116, v109, v125
	v_fma_f32 v110, v106, v110, -v112
	v_fma_f32 v112, v108, v125, -v113
	s_waitcnt vmcnt(16) lgkmcnt(1)
	v_mul_f32_e32 v113, v102, v123
	v_mul_f32_e32 v123, v103, v123
	ds_read_b128 v[106:109], v1 offset:576
	s_waitcnt vmcnt(15)
	v_mul_f32_e32 v125, v104, v124
	v_mul_f32_e32 v124, v105, v124
	v_fmac_f32_e32 v113, v103, v122
	v_fma_f32 v102, v102, v122, -v123
	s_clause 0x1
	buffer_load_dword v122, off, s[0:3], 0 offset:244
	buffer_load_dword v123, off, s[0:3], 0 offset:252
	v_fmac_f32_e32 v125, v105, v119
	v_fma_f32 v119, v104, v119, -v124
	s_waitcnt vmcnt(16) lgkmcnt(1)
	v_mul_f32_e32 v124, v2, v120
	s_waitcnt vmcnt(15)
	v_mul_f32_e32 v136, v4, v121
	v_mul_f32_e32 v103, v3, v120
	;; [unrolled: 1-line block ×3, first 2 shown]
	buffer_load_dword v121, off, s[0:3], 0 offset:260
	v_fmac_f32_e32 v124, v3, v118
	s_waitcnt vmcnt(12)
	v_fmac_f32_e32 v136, v5, v133
	v_fma_f32 v118, v2, v118, -v103
	v_fma_f32 v120, v4, v133, -v104
	ds_read_b128 v[2:5], v1 offset:592
	s_waitcnt vmcnt(11) lgkmcnt(1)
	v_mul_f32_e32 v133, v106, v131
	s_waitcnt vmcnt(10)
	v_mul_f32_e32 v137, v108, v132
	v_mul_f32_e32 v103, v107, v131
	v_mul_f32_e32 v104, v109, v132
	s_clause 0x5
	buffer_load_dword v131, off, s[0:3], 0 offset:268
	buffer_load_dword v132, off, s[0:3], 0 offset:288
	;; [unrolled: 1-line block ×6, first 2 shown]
	v_fmac_f32_e32 v133, v107, v130
	v_fma_f32 v130, v106, v130, -v103
	v_fmac_f32_e32 v137, v109, v129
	v_fma_f32 v129, v108, v129, -v104
	s_waitcnt vmcnt(15) lgkmcnt(0)
	v_mul_f32_e32 v158, v2, v128
	v_mul_f32_e32 v103, v3, v128
	v_fmac_f32_e32 v158, v3, v126
	v_add_f32_e32 v3, 0, v150
	v_fma_f32 v126, v2, v126, -v103
	v_add_f32_e32 v2, 0, v6
	s_waitcnt vmcnt(14)
	v_mul_f32_e32 v6, v4, v127
	v_mul_f32_e32 v103, v5, v127
	v_add_f32_e32 v3, v3, v151
	buffer_load_dword v127, off, s[0:3], 0 offset:284
	v_add_f32_e32 v2, v2, v8
	buffer_load_dword v8, off, s[0:3], 0 offset:292
	s_waitcnt vmcnt(12)
	v_fmac_f32_e32 v6, v5, v149
	v_add_f32_e32 v3, v3, v153
	v_fma_f32 v128, v4, v149, -v103
	v_add_f32_e32 v2, v2, v138
	s_clause 0x3
	buffer_load_dword v149, off, s[0:3], 0 offset:300
	buffer_load_dword v138, off, s[0:3], 0 offset:308
	;; [unrolled: 1-line block ×4, first 2 shown]
	v_add_f32_e32 v3, v3, v154
	v_add_f32_e32 v2, v2, v139
	s_clause 0x3
	buffer_load_dword v139, off, s[0:3], 0 offset:332
	buffer_load_dword v153, off, s[0:3], 0 offset:340
	;; [unrolled: 1-line block ×4, first 2 shown]
	v_add_f32_e32 v3, v3, v140
	buffer_load_dword v140, off, s[0:3], 0 offset:364
	v_add_f32_e32 v2, v2, v142
	v_add_f32_e32 v3, v3, v141
	;; [unrolled: 1-line block ×3, first 2 shown]
	s_clause 0x3
	buffer_load_dword v141, off, s[0:3], 0 offset:320
	buffer_load_dword v142, off, s[0:3], 0 offset:312
	;; [unrolled: 1-line block ×4, first 2 shown]
	v_add_f32_e32 v3, v3, v144
	v_add_f32_e32 v2, v2, v7
	;; [unrolled: 1-line block ×3, first 2 shown]
	s_clause 0x4
	buffer_load_dword v7, off, s[0:3], 0 offset:352
	buffer_load_dword v144, off, s[0:3], 0 offset:344
	buffer_load_dword v145, off, s[0:3], 0 offset:336
	buffer_load_dword v162, off, s[0:3], 0 offset:328
	buffer_load_dword v163, off, s[0:3], 0 offset:72
	v_add_f32_e32 v2, v2, v117
	v_add_f32_e32 v3, v3, v134
	buffer_load_dword v134, off, s[0:3], 0 offset:360
	v_add_f32_e32 v2, v2, v114
	v_add_f32_e32 v3, v3, v135
	;; [unrolled: 1-line block ×5, first 2 shown]
	ds_read_b128 v[2:5], v1 offset:608
	v_add_f32_e32 v103, v103, v116
	v_add_f32_e32 v104, v104, v112
	;; [unrolled: 1-line block ×4, first 2 shown]
	ds_read_b128 v[102:105], v1 offset:624
	v_add_f32_e32 v106, v106, v125
	v_add_f32_e32 v107, v107, v119
	;; [unrolled: 1-line block ×11, first 2 shown]
	s_waitcnt vmcnt(29) lgkmcnt(1)
	v_mul_f32_e32 v125, v2, v122
	v_mul_f32_e32 v108, v3, v122
	s_waitcnt vmcnt(28)
	v_mul_f32_e32 v122, v4, v123
	v_mul_f32_e32 v109, v5, v123
	v_fmac_f32_e32 v125, v3, v148
	v_fma_f32 v123, v2, v148, -v108
	v_fmac_f32_e32 v122, v5, v147
	v_fma_f32 v124, v4, v147, -v109
	ds_read_b128 v[2:5], v1 offset:640
	ds_read_b128 v[106:109], v1 offset:656
	s_waitcnt vmcnt(27) lgkmcnt(2)
	v_mul_f32_e32 v135, v102, v121
	v_mul_f32_e32 v112, v103, v121
	v_fmac_f32_e32 v135, v103, v146
	v_add_f32_e32 v103, v111, v137
	v_fma_f32 v130, v102, v146, -v112
	s_waitcnt vmcnt(26)
	v_mul_f32_e32 v136, v104, v131
	v_mul_f32_e32 v113, v105, v131
	v_add_f32_e32 v115, v103, v158
	s_waitcnt vmcnt(22)
	v_fmac_f32_e32 v136, v105, v157
	v_fma_f32 v129, v104, v157, -v113
	v_add_f32_e32 v6, v115, v6
	ds_read_b128 v[102:105], v1 offset:672
	ds_read_b128 v[110:113], v1 offset:688
	s_waitcnt vmcnt(21) lgkmcnt(3)
	v_mul_f32_e32 v119, v3, v159
	v_mul_f32_e32 v126, v2, v159
	ds_read_b128 v[114:117], v1 offset:704
	v_fma_f32 v2, v2, v156, -v119
	ds_read_b128 v[118:121], v1 offset:720
	v_add_f32_e32 v1, v128, v123
	v_fmac_f32_e32 v126, v3, v156
	v_add_f32_e32 v3, v6, v125
	v_add_f32_e32 v1, v1, v124
	;; [unrolled: 1-line block ×3, first 2 shown]
	s_waitcnt vmcnt(20)
	v_mul_f32_e32 v123, v5, v127
	v_add_f32_e32 v1, v1, v130
	v_mul_f32_e32 v6, v4, v127
	v_add_f32_e32 v3, v3, v135
	s_waitcnt vmcnt(19) lgkmcnt(4)
	v_mul_f32_e32 v122, v106, v8
	v_mul_f32_e32 v8, v107, v8
	v_add_f32_e32 v1, v1, v129
	v_fma_f32 v4, v4, v155, -v123
	v_add_f32_e32 v3, v3, v136
	v_fmac_f32_e32 v6, v5, v155
	s_waitcnt vmcnt(18)
	v_mul_f32_e32 v129, v109, v149
	v_add_f32_e32 v1, v1, v2
	v_fma_f32 v8, v106, v132, -v8
	v_add_f32_e32 v2, v3, v126
	v_mul_f32_e32 v124, v108, v149
	v_fmac_f32_e32 v122, v107, v132
	v_add_f32_e32 v1, v1, v4
	s_waitcnt vmcnt(17) lgkmcnt(3)
	v_mul_f32_e32 v4, v103, v138
	v_add_f32_e32 v2, v2, v6
	v_mul_f32_e32 v5, v102, v138
	s_waitcnt vmcnt(16)
	v_mul_f32_e32 v123, v104, v150
	v_add_f32_e32 v1, v1, v8
	s_waitcnt vmcnt(6)
	v_fma_f32 v6, v108, v161, -v129
	v_fmac_f32_e32 v124, v109, v161
	v_add_f32_e32 v2, v2, v122
	v_mul_f32_e32 v8, v105, v150
	v_fma_f32 v4, v102, v143, -v4
	v_add_f32_e32 v1, v1, v6
	v_fmac_f32_e32 v5, v103, v143
	v_add_f32_e32 v2, v2, v124
	s_waitcnt lgkmcnt(2)
	v_mul_f32_e32 v6, v111, v151
	v_fma_f32 v8, v104, v142, -v8
	v_add_f32_e32 v1, v1, v4
	v_mul_f32_e32 v125, v110, v151
	v_fmac_f32_e32 v123, v105, v142
	v_add_f32_e32 v2, v2, v5
	v_mul_f32_e32 v4, v113, v139
	v_fma_f32 v5, v110, v141, -v6
	v_add_f32_e32 v1, v1, v8
	v_mul_f32_e32 v127, v112, v139
	v_fmac_f32_e32 v125, v111, v141
	v_add_f32_e32 v2, v2, v123
	s_waitcnt lgkmcnt(1)
	v_mul_f32_e32 v6, v115, v153
	s_waitcnt vmcnt(2)
	v_fma_f32 v4, v112, v162, -v4
	v_add_f32_e32 v1, v1, v5
	v_mul_f32_e32 v128, v114, v153
	v_fmac_f32_e32 v127, v113, v162
	v_add_f32_e32 v2, v2, v125
	v_mul_f32_e32 v5, v117, v154
	v_fma_f32 v6, v114, v145, -v6
	v_add_f32_e32 v1, v1, v4
	v_mul_f32_e32 v130, v116, v154
	v_fmac_f32_e32 v128, v115, v145
	v_add_f32_e32 v2, v2, v127
	s_waitcnt lgkmcnt(0)
	v_mul_f32_e32 v4, v119, v160
	v_fma_f32 v5, v116, v144, -v5
	v_add_f32_e32 v1, v1, v6
	v_mul_f32_e32 v131, v118, v160
	v_fmac_f32_e32 v130, v117, v144
	v_add_f32_e32 v2, v2, v128
	v_mul_f32_e32 v6, v121, v140
	v_fma_f32 v4, v118, v7, -v4
	v_add_f32_e32 v1, v1, v5
	v_mul_f32_e32 v3, v120, v140
	v_fmac_f32_e32 v131, v119, v7
	v_add_f32_e32 v2, v2, v130
	s_waitcnt vmcnt(0)
	v_fma_f32 v5, v120, v134, -v6
	v_add_f32_e32 v1, v1, v4
	v_fmac_f32_e32 v3, v121, v134
	v_add_f32_e32 v2, v2, v131
	v_add_f32_e32 v1, v1, v5
	;; [unrolled: 1-line block ×3, first 2 shown]
	v_sub_f32_e32 v1, v163, v1
	v_sub_f32_e32 v2, v152, v2
	buffer_store_dword v1, off, s[0:3], 0 offset:72
	buffer_store_dword v2, off, s[0:3], 0 offset:76
	v_cmpx_lt_u32_e32 8, v0
	s_cbranch_execz .LBB45_273
; %bb.272:
	s_clause 0x1
	buffer_load_dword v1, off, s[0:3], 0 offset:64
	buffer_load_dword v2, off, s[0:3], 0 offset:68
	v_mov_b32_e32 v3, 0
	buffer_store_dword v3, off, s[0:3], 0 offset:64
	buffer_store_dword v3, off, s[0:3], 0 offset:68
	s_waitcnt vmcnt(0)
	ds_write_b64 v101, v[1:2]
.LBB45_273:
	s_or_b32 exec_lo, exec_lo, s4
	s_waitcnt lgkmcnt(0)
	s_waitcnt_vscnt null, 0x0
	s_barrier
	buffer_gl0_inv
	s_clause 0x2b
	buffer_load_dword v133, off, s[0:3], 0 offset:76
	buffer_load_dword v2, off, s[0:3], 0 offset:88
	;; [unrolled: 1-line block ×44, first 2 shown]
	v_mov_b32_e32 v1, 0
	ds_read2_b64 v[134:137], v1 offset0:55 offset1:56
	ds_read2_b64 v[138:141], v1 offset0:57 offset1:58
	;; [unrolled: 1-line block ×3, first 2 shown]
	buffer_load_dword v152, off, s[0:3], 0 offset:68
	s_mov_b32 s4, exec_lo
	s_waitcnt vmcnt(44) lgkmcnt(2)
	v_mul_f32_e32 v151, v134, v133
	v_mul_f32_e32 v133, v135, v133
	s_waitcnt vmcnt(40)
	v_mul_f32_e32 v154, v136, v102
	v_mul_f32_e32 v102, v137, v102
	v_fmac_f32_e32 v151, v135, v103
	v_fma_f32 v153, v134, v103, -v133
	s_waitcnt vmcnt(39) lgkmcnt(1)
	v_mul_f32_e32 v156, v138, v7
	v_fmac_f32_e32 v154, v137, v5
	v_fma_f32 v155, v136, v5, -v102
	v_mul_f32_e32 v5, v139, v7
	ds_read2_b64 v[133:136], v1 offset0:61 offset1:62
	v_fmac_f32_e32 v156, v139, v2
	s_waitcnt vmcnt(38)
	v_mul_f32_e32 v158, v140, v4
	v_fma_f32 v157, v138, v2, -v5
	v_mul_f32_e32 v2, v141, v4
	s_waitcnt vmcnt(34)
	v_fmac_f32_e32 v158, v141, v107
	s_waitcnt vmcnt(33) lgkmcnt(1)
	v_mul_f32_e32 v141, v142, v106
	v_fma_f32 v107, v140, v107, -v2
	v_mul_f32_e32 v2, v143, v106
	ds_read2_b64 v[137:140], v1 offset0:63 offset1:64
	v_fmac_f32_e32 v141, v143, v104
	v_fma_f32 v106, v142, v104, -v2
	s_waitcnt vmcnt(32)
	v_mul_f32_e32 v142, v144, v105
	v_mul_f32_e32 v2, v145, v105
	ds_read2_b64 v[102:105], v1 offset0:67 offset1:68
	v_fmac_f32_e32 v142, v145, v6
	v_fma_f32 v143, v144, v6, -v2
	s_waitcnt vmcnt(31) lgkmcnt(2)
	v_mul_f32_e32 v2, v134, v8
	ds_read2_b64 v[4:7], v1 offset0:65 offset1:66
	v_mul_f32_e32 v144, v133, v8
	v_fma_f32 v8, v133, v3, -v2
	s_waitcnt vmcnt(30)
	v_mul_f32_e32 v2, v136, v108
	v_mul_f32_e32 v133, v135, v108
	v_fmac_f32_e32 v144, v134, v3
	s_waitcnt vmcnt(24) lgkmcnt(2)
	v_mul_f32_e32 v134, v139, v113
	v_fma_f32 v108, v135, v116, -v2
	v_mul_f32_e32 v2, v138, v115
	v_fmac_f32_e32 v133, v136, v116
	v_mul_f32_e32 v116, v137, v115
	v_fmac_f32_e32 v134, v140, v110
	v_fma_f32 v115, v137, v112, -v2
	v_mul_f32_e32 v2, v140, v113
	v_fmac_f32_e32 v116, v138, v112
	s_waitcnt vmcnt(23) lgkmcnt(0)
	v_mul_f32_e32 v136, v4, v111
	s_waitcnt vmcnt(22)
	v_mul_f32_e32 v137, v6, v114
	v_fma_f32 v135, v139, v110, -v2
	v_mul_f32_e32 v2, v5, v111
	ds_read2_b64 v[110:113], v1 offset0:69 offset1:70
	v_fmac_f32_e32 v136, v5, v109
	s_waitcnt vmcnt(18)
	v_fmac_f32_e32 v137, v7, v125
	v_fma_f32 v109, v4, v109, -v2
	v_mul_f32_e32 v2, v7, v114
	s_waitcnt vmcnt(17)
	v_mul_f32_e32 v7, v102, v124
	s_waitcnt vmcnt(16)
	v_mul_f32_e32 v114, v104, v123
	v_mul_f32_e32 v123, v105, v123
	v_fma_f32 v6, v6, v125, -v2
	v_mul_f32_e32 v2, v103, v124
	v_fmac_f32_e32 v7, v103, v121
	v_fmac_f32_e32 v114, v105, v118
	v_fma_f32 v118, v104, v118, -v123
	v_add_f32_e32 v104, 0, v151
	v_fma_f32 v121, v102, v121, -v2
	ds_read2_b64 v[2:5], v1 offset0:71 offset1:72
	s_clause 0x2
	buffer_load_dword v123, off, s[0:3], 0 offset:244
	buffer_load_dword v124, off, s[0:3], 0 offset:252
	;; [unrolled: 1-line block ×3, first 2 shown]
	s_waitcnt vmcnt(18) lgkmcnt(1)
	v_mul_f32_e32 v125, v110, v119
	v_mul_f32_e32 v102, v111, v119
	s_waitcnt vmcnt(17)
	v_mul_f32_e32 v119, v112, v122
	v_mul_f32_e32 v103, v113, v122
	v_fmac_f32_e32 v125, v111, v117
	v_fma_f32 v110, v110, v117, -v102
	s_waitcnt vmcnt(13)
	v_fmac_f32_e32 v119, v113, v132
	v_fma_f32 v111, v112, v132, -v103
	v_add_f32_e32 v113, v104, v154
	ds_read2_b64 v[102:105], v1 offset0:73 offset1:74
	v_add_f32_e32 v112, 0, v153
	v_add_f32_e32 v113, v113, v156
	;; [unrolled: 1-line block ×3, first 2 shown]
	s_waitcnt vmcnt(12) lgkmcnt(1)
	v_mul_f32_e32 v117, v2, v131
	v_mul_f32_e32 v122, v3, v131
	s_clause 0x3
	buffer_load_dword v131, off, s[0:3], 0 offset:280
	buffer_load_dword v132, off, s[0:3], 0 offset:272
	;; [unrolled: 1-line block ×4, first 2 shown]
	v_fmac_f32_e32 v117, v3, v130
	v_fma_f32 v122, v2, v130, -v122
	s_clause 0x1
	buffer_load_dword v130, off, s[0:3], 0 offset:268
	buffer_load_dword v145, off, s[0:3], 0 offset:276
	v_add_f32_e32 v2, v112, v157
	v_add_f32_e32 v3, v113, v158
	s_waitcnt vmcnt(17)
	v_mul_f32_e32 v112, v4, v129
	v_mul_f32_e32 v113, v5, v129
	buffer_load_dword v129, off, s[0:3], 0 offset:284
	v_add_f32_e32 v2, v2, v107
	v_add_f32_e32 v3, v3, v141
	v_fmac_f32_e32 v112, v5, v127
	v_fma_f32 v113, v4, v127, -v113
	s_clause 0x3
	buffer_load_dword v127, off, s[0:3], 0 offset:292
	buffer_load_dword v141, off, s[0:3], 0 offset:300
	;; [unrolled: 1-line block ×4, first 2 shown]
	v_add_f32_e32 v106, v2, v106
	v_add_f32_e32 v107, v3, v142
	ds_read2_b64 v[2:5], v1 offset0:75 offset1:76
	s_waitcnt vmcnt(21) lgkmcnt(1)
	v_mul_f32_e32 v142, v102, v126
	v_mul_f32_e32 v126, v103, v126
	v_add_f32_e32 v106, v106, v143
	v_add_f32_e32 v107, v107, v144
	s_waitcnt vmcnt(20)
	v_mul_f32_e32 v143, v104, v128
	v_fmac_f32_e32 v142, v103, v120
	v_fma_f32 v120, v102, v120, -v126
	v_add_f32_e32 v8, v106, v8
	v_add_f32_e32 v102, v107, v133
	v_mul_f32_e32 v106, v105, v128
	s_clause 0x4
	buffer_load_dword v126, off, s[0:3], 0 offset:324
	buffer_load_dword v128, off, s[0:3], 0 offset:332
	;; [unrolled: 1-line block ×5, first 2 shown]
	v_add_f32_e32 v8, v8, v108
	s_clause 0x4
	buffer_load_dword v155, off, s[0:3], 0 offset:312
	buffer_load_dword v156, off, s[0:3], 0 offset:304
	;; [unrolled: 1-line block ×5, first 2 shown]
	v_add_f32_e32 v102, v102, v116
	s_waitcnt vmcnt(26)
	v_fmac_f32_e32 v143, v105, v149
	v_fma_f32 v149, v104, v149, -v106
	v_add_f32_e32 v8, v8, v115
	v_add_f32_e32 v102, v102, v134
	s_waitcnt vmcnt(25) lgkmcnt(0)
	v_mul_f32_e32 v107, v3, v150
	v_mul_f32_e32 v134, v2, v150
	v_add_f32_e32 v8, v8, v135
	v_add_f32_e32 v106, v102, v136
	ds_read2_b64 v[102:105], v1 offset0:77 offset1:78
	v_fma_f32 v115, v2, v148, -v107
	v_add_f32_e32 v8, v8, v109
	v_fmac_f32_e32 v134, v3, v148
	v_add_f32_e32 v106, v106, v137
	v_add_f32_e32 v2, v8, v6
	s_clause 0x3
	buffer_load_dword v8, off, s[0:3], 0 offset:344
	buffer_load_dword v135, off, s[0:3], 0 offset:336
	;; [unrolled: 1-line block ×4, first 2 shown]
	v_add_f32_e32 v3, v106, v7
	v_add_f32_e32 v2, v2, v121
	s_clause 0x1
	buffer_load_dword v121, off, s[0:3], 0 offset:360
	buffer_load_dword v148, off, s[0:3], 0 offset:352
	v_add_f32_e32 v3, v3, v114
	ds_read2_b64 v[106:109], v1 offset0:81 offset1:82
	v_add_f32_e32 v2, v2, v118
	buffer_load_dword v118, off, s[0:3], 0 offset:64
	v_add_f32_e32 v6, v3, v125
	v_add_f32_e32 v7, v2, v110
	;; [unrolled: 1-line block ×11, first 2 shown]
	s_waitcnt vmcnt(30)
	v_mul_f32_e32 v125, v4, v123
	v_mul_f32_e32 v3, v5, v123
	s_waitcnt vmcnt(29) lgkmcnt(1)
	v_mul_f32_e32 v110, v103, v124
	v_mul_f32_e32 v119, v102, v124
	s_waitcnt vmcnt(28)
	v_mul_f32_e32 v111, v105, v138
	v_fmac_f32_e32 v125, v5, v147
	v_fma_f32 v123, v4, v147, -v3
	ds_read2_b64 v[2:5], v1 offset0:79 offset1:80
	v_fma_f32 v122, v102, v146, -v110
	v_mul_f32_e32 v124, v104, v138
	v_fmac_f32_e32 v119, v103, v146
	s_waitcnt vmcnt(24)
	v_fma_f32 v138, v104, v140, -v111
	v_fmac_f32_e32 v124, v105, v140
	ds_read2_b64 v[102:105], v1 offset0:83 offset1:84
	ds_read2_b64 v[110:113], v1 offset0:85 offset1:86
	s_waitcnt vmcnt(23) lgkmcnt(2)
	v_mul_f32_e32 v120, v2, v130
	v_mul_f32_e32 v114, v3, v130
	s_waitcnt vmcnt(22)
	v_mul_f32_e32 v130, v4, v145
	v_mul_f32_e32 v140, v5, v145
	v_fmac_f32_e32 v120, v3, v139
	v_fma_f32 v139, v2, v139, -v114
	v_add_f32_e32 v2, v6, v143
	v_add_f32_e32 v6, v7, v115
	v_fmac_f32_e32 v130, v5, v132
	v_fma_f32 v132, v4, v132, -v140
	s_waitcnt vmcnt(21)
	v_mul_f32_e32 v140, v106, v129
	v_add_f32_e32 v134, v2, v134
	v_add_f32_e32 v123, v6, v123
	ds_read2_b64 v[114:117], v1 offset0:87 offset1:88
	ds_read2_b64 v[2:5], v1 offset0:89 offset1:90
	v_fmac_f32_e32 v140, v107, v131
	v_add_f32_e32 v125, v134, v125
	v_add_f32_e32 v122, v123, v122
	v_mul_f32_e32 v123, v107, v129
	s_waitcnt vmcnt(20)
	v_mul_f32_e32 v134, v108, v127
	v_mul_f32_e32 v127, v109, v127
	v_add_f32_e32 v119, v125, v119
	v_add_f32_e32 v122, v122, v138
	v_fma_f32 v106, v106, v131, -v123
	s_waitcnt vmcnt(19) lgkmcnt(3)
	v_mul_f32_e32 v125, v102, v141
	v_mul_f32_e32 v131, v103, v141
	v_add_f32_e32 v119, v119, v124
	v_add_f32_e32 v122, v122, v139
	s_waitcnt vmcnt(8)
	v_fma_f32 v108, v108, v158, -v127
	v_fmac_f32_e32 v134, v109, v158
	v_fmac_f32_e32 v125, v103, v157
	v_add_f32_e32 v119, v119, v120
	v_add_f32_e32 v122, v122, v132
	v_fma_f32 v102, v102, v157, -v131
	v_mul_f32_e32 v129, v104, v151
	s_waitcnt lgkmcnt(2)
	v_mul_f32_e32 v138, v110, v153
	v_add_f32_e32 v119, v119, v130
	v_add_f32_e32 v106, v122, v106
	v_mul_f32_e32 v124, v112, v126
	v_fmac_f32_e32 v129, v105, v156
	v_fmac_f32_e32 v138, v111, v155
	v_add_f32_e32 v109, v119, v140
	v_mul_f32_e32 v119, v105, v151
	v_add_f32_e32 v103, v106, v108
	v_mul_f32_e32 v108, v111, v153
	v_mul_f32_e32 v105, v113, v126
	v_add_f32_e32 v106, v109, v134
	v_fma_f32 v104, v104, v156, -v119
	v_add_f32_e32 v102, v103, v102
	ds_read_b64 v[6:7], v1 offset:728
	s_waitcnt vmcnt(3)
	v_fma_f32 v105, v112, v137, -v105
	v_add_f32_e32 v103, v106, v125
	v_fma_f32 v106, v110, v155, -v108
	v_add_f32_e32 v102, v102, v104
	s_waitcnt lgkmcnt(2)
	v_mul_f32_e32 v104, v115, v128
	v_mul_f32_e32 v139, v114, v128
	v_add_f32_e32 v103, v103, v129
	v_fmac_f32_e32 v124, v113, v137
	v_add_f32_e32 v102, v102, v106
	v_mul_f32_e32 v106, v117, v133
	v_fma_f32 v104, v114, v136, -v104
	v_add_f32_e32 v103, v103, v138
	v_mul_f32_e32 v107, v116, v133
	v_add_f32_e32 v102, v102, v105
	v_fmac_f32_e32 v139, v115, v136
	s_waitcnt lgkmcnt(1)
	v_mul_f32_e32 v120, v2, v144
	v_add_f32_e32 v103, v103, v124
	v_mul_f32_e32 v105, v3, v144
	v_fma_f32 v106, v116, v135, -v106
	v_add_f32_e32 v102, v102, v104
	v_fmac_f32_e32 v107, v117, v135
	v_add_f32_e32 v103, v103, v139
	v_mul_f32_e32 v104, v5, v154
	v_fmac_f32_e32 v120, v3, v8
	v_fma_f32 v2, v2, v8, -v105
	v_add_f32_e32 v3, v102, v106
	v_mul_f32_e32 v123, v4, v154
	v_add_f32_e32 v8, v103, v107
	s_waitcnt lgkmcnt(0)
	v_mul_f32_e32 v102, v7, v159
	s_waitcnt vmcnt(1)
	v_fma_f32 v4, v4, v148, -v104
	v_add_f32_e32 v2, v3, v2
	v_mul_f32_e32 v130, v6, v159
	v_fmac_f32_e32 v123, v5, v148
	v_add_f32_e32 v3, v8, v120
	v_fma_f32 v5, v6, v121, -v102
	v_add_f32_e32 v2, v2, v4
	v_fmac_f32_e32 v130, v7, v121
	v_add_f32_e32 v3, v3, v123
	v_add_f32_e32 v2, v2, v5
	;; [unrolled: 1-line block ×3, first 2 shown]
	s_waitcnt vmcnt(0)
	v_sub_f32_e32 v2, v118, v2
	v_sub_f32_e32 v3, v152, v3
	buffer_store_dword v2, off, s[0:3], 0 offset:64
	buffer_store_dword v3, off, s[0:3], 0 offset:68
	v_cmpx_lt_u32_e32 7, v0
	s_cbranch_execz .LBB45_275
; %bb.274:
	s_clause 0x1
	buffer_load_dword v2, off, s[0:3], 0 offset:56
	buffer_load_dword v3, off, s[0:3], 0 offset:60
	buffer_store_dword v1, off, s[0:3], 0 offset:56
	buffer_store_dword v1, off, s[0:3], 0 offset:60
	s_waitcnt vmcnt(0)
	ds_write_b64 v101, v[2:3]
.LBB45_275:
	s_or_b32 exec_lo, exec_lo, s4
	s_waitcnt lgkmcnt(0)
	s_waitcnt_vscnt null, 0x0
	s_barrier
	buffer_gl0_inv
	s_clause 0x2b
	buffer_load_dword v133, off, s[0:3], 0 offset:68
	buffer_load_dword v2, off, s[0:3], 0 offset:80
	;; [unrolled: 1-line block ×44, first 2 shown]
	ds_read_b128 v[134:137], v1 offset:432
	ds_read_b128 v[138:141], v1 offset:448
	ds_read_b128 v[142:145], v1 offset:464
	buffer_load_dword v152, off, s[0:3], 0 offset:60
	s_mov_b32 s4, exec_lo
	s_waitcnt vmcnt(44) lgkmcnt(2)
	v_mul_f32_e32 v151, v134, v133
	v_mul_f32_e32 v133, v135, v133
	s_waitcnt vmcnt(40)
	v_mul_f32_e32 v154, v136, v102
	v_mul_f32_e32 v102, v137, v102
	s_waitcnt vmcnt(39) lgkmcnt(1)
	v_mul_f32_e32 v156, v138, v7
	v_fmac_f32_e32 v151, v135, v103
	v_fma_f32 v153, v134, v103, -v133
	v_fmac_f32_e32 v154, v137, v5
	v_fma_f32 v155, v136, v5, -v102
	v_mul_f32_e32 v5, v139, v7
	ds_read_b128 v[133:136], v1 offset:480
	v_fmac_f32_e32 v156, v139, v2
	s_waitcnt vmcnt(38)
	v_mul_f32_e32 v158, v140, v4
	v_fma_f32 v157, v138, v2, -v5
	v_mul_f32_e32 v2, v141, v4
	s_waitcnt vmcnt(34)
	v_fmac_f32_e32 v158, v141, v107
	s_waitcnt vmcnt(33) lgkmcnt(1)
	v_mul_f32_e32 v141, v142, v106
	v_fma_f32 v107, v140, v107, -v2
	v_mul_f32_e32 v2, v143, v106
	ds_read_b128 v[137:140], v1 offset:496
	v_fmac_f32_e32 v141, v143, v104
	v_fma_f32 v106, v142, v104, -v2
	s_waitcnt vmcnt(32)
	v_mul_f32_e32 v142, v144, v105
	v_mul_f32_e32 v2, v145, v105
	ds_read_b128 v[102:105], v1 offset:528
	v_fmac_f32_e32 v142, v145, v6
	v_fma_f32 v143, v144, v6, -v2
	ds_read_b128 v[4:7], v1 offset:512
	s_waitcnt vmcnt(31) lgkmcnt(3)
	v_mul_f32_e32 v2, v134, v8
	v_mul_f32_e32 v144, v133, v8
	s_waitcnt vmcnt(30)
	v_mul_f32_e32 v145, v135, v108
	v_fma_f32 v8, v133, v3, -v2
	v_mul_f32_e32 v2, v136, v108
	s_waitcnt vmcnt(26)
	v_fmac_f32_e32 v145, v136, v116
	v_fmac_f32_e32 v144, v134, v3
	s_waitcnt vmcnt(24) lgkmcnt(2)
	v_mul_f32_e32 v3, v140, v114
	v_fma_f32 v108, v135, v116, -v2
	v_mul_f32_e32 v116, v137, v115
	v_mul_f32_e32 v2, v138, v115
	;; [unrolled: 1-line block ×3, first 2 shown]
	ds_read_b128 v[133:136], v1 offset:544
	v_fmac_f32_e32 v116, v138, v112
	v_fma_f32 v112, v137, v112, -v2
	s_waitcnt vmcnt(23) lgkmcnt(1)
	v_mul_f32_e32 v114, v4, v111
	v_mul_f32_e32 v2, v5, v111
	s_waitcnt vmcnt(22)
	v_mul_f32_e32 v111, v6, v113
	v_fmac_f32_e32 v115, v140, v110
	v_fma_f32 v110, v139, v110, -v3
	v_fmac_f32_e32 v114, v5, v109
	v_fma_f32 v109, v4, v109, -v2
	v_mul_f32_e32 v2, v7, v113
	s_waitcnt vmcnt(18)
	v_fmac_f32_e32 v111, v7, v126
	s_clause 0x1
	buffer_load_dword v7, off, s[0:3], 0 offset:236
	buffer_load_dword v113, off, s[0:3], 0 offset:244
	s_waitcnt vmcnt(18)
	v_mul_f32_e32 v3, v105, v123
	v_fma_f32 v6, v6, v126, -v2
	v_mul_f32_e32 v126, v102, v124
	v_mul_f32_e32 v2, v103, v124
	;; [unrolled: 1-line block ×3, first 2 shown]
	s_waitcnt vmcnt(17) lgkmcnt(0)
	v_mul_f32_e32 v123, v133, v122
	v_mul_f32_e32 v122, v134, v122
	v_fmac_f32_e32 v126, v103, v120
	v_fma_f32 v120, v102, v120, -v2
	s_waitcnt vmcnt(16)
	v_mul_f32_e32 v137, v135, v127
	v_mul_f32_e32 v102, v136, v127
	v_fmac_f32_e32 v124, v105, v119
	v_fma_f32 v119, v104, v119, -v3
	ds_read_b128 v[2:5], v1 offset:560
	v_fmac_f32_e32 v123, v134, v117
	v_fma_f32 v117, v133, v117, -v122
	s_waitcnt vmcnt(12)
	v_fmac_f32_e32 v137, v136, v132
	v_fma_f32 v122, v135, v132, -v102
	s_clause 0x7
	buffer_load_dword v127, off, s[0:3], 0 offset:252
	buffer_load_dword v132, off, s[0:3], 0 offset:272
	;; [unrolled: 1-line block ×8, first 2 shown]
	v_add_f32_e32 v102, 0, v151
	v_add_f32_e32 v103, 0, v153
	;; [unrolled: 1-line block ×6, first 2 shown]
	s_waitcnt vmcnt(19) lgkmcnt(0)
	v_mul_f32_e32 v151, v2, v131
	v_mul_f32_e32 v131, v3, v131
	v_add_f32_e32 v140, v102, v158
	v_add_f32_e32 v107, v103, v107
	ds_read_b128 v[102:105], v1 offset:576
	v_fmac_f32_e32 v151, v3, v129
	v_fma_f32 v129, v2, v129, -v131
	v_add_f32_e32 v140, v140, v141
	v_add_f32_e32 v106, v107, v106
	s_waitcnt vmcnt(18)
	v_mul_f32_e32 v141, v4, v130
	v_mul_f32_e32 v107, v5, v130
	v_add_f32_e32 v3, v140, v142
	v_add_f32_e32 v106, v106, v143
	v_fmac_f32_e32 v141, v5, v128
	v_fma_f32 v128, v4, v128, -v107
	v_add_f32_e32 v2, v3, v144
	v_add_f32_e32 v3, v106, v8
	s_clause 0x7
	buffer_load_dword v8, off, s[0:3], 0 offset:284
	buffer_load_dword v130, off, s[0:3], 0 offset:292
	;; [unrolled: 1-line block ×8, first 2 shown]
	v_add_f32_e32 v2, v2, v145
	v_add_f32_e32 v3, v3, v108
	s_waitcnt vmcnt(25) lgkmcnt(0)
	v_mul_f32_e32 v154, v102, v125
	v_mul_f32_e32 v4, v103, v125
	s_clause 0x3
	buffer_load_dword v125, off, s[0:3], 0 offset:316
	buffer_load_dword v145, off, s[0:3], 0 offset:324
	;; [unrolled: 1-line block ×4, first 2 shown]
	v_add_f32_e32 v2, v2, v116
	s_clause 0x1
	buffer_load_dword v157, off, s[0:3], 0 offset:348
	buffer_load_dword v158, off, s[0:3], 0 offset:356
	v_fmac_f32_e32 v154, v103, v118
	v_fma_f32 v118, v102, v118, -v4
	v_add_f32_e32 v102, v3, v112
	s_waitcnt vmcnt(30)
	v_mul_f32_e32 v3, v105, v121
	v_mul_f32_e32 v116, v104, v121
	v_add_f32_e32 v103, v2, v115
	buffer_load_dword v159, off, s[0:3], 0 offset:364
	v_add_f32_e32 v102, v102, v110
	s_waitcnt vmcnt(27)
	v_fma_f32 v115, v104, v149, -v3
	ds_read_b128 v[2:5], v1 offset:592
	v_fmac_f32_e32 v116, v105, v149
	v_add_f32_e32 v103, v103, v114
	s_clause 0x3
	buffer_load_dword v149, off, s[0:3], 0 offset:336
	buffer_load_dword v160, off, s[0:3], 0 offset:328
	;; [unrolled: 1-line block ×4, first 2 shown]
	v_add_f32_e32 v102, v102, v109
	v_add_f32_e32 v103, v103, v111
	;; [unrolled: 1-line block ×4, first 2 shown]
	ds_read_b128 v[102:105], v1 offset:608
	v_add_f32_e32 v6, v6, v120
	v_add_f32_e32 v106, v106, v124
	s_waitcnt vmcnt(30) lgkmcnt(1)
	v_mul_f32_e32 v114, v2, v150
	v_mul_f32_e32 v107, v3, v150
	v_fmac_f32_e32 v114, v3, v148
	v_fma_f32 v120, v2, v148, -v107
	v_add_f32_e32 v2, v6, v119
	v_add_f32_e32 v3, v106, v123
	s_clause 0x3
	buffer_load_dword v6, off, s[0:3], 0 offset:360
	buffer_load_dword v123, off, s[0:3], 0 offset:352
	;; [unrolled: 1-line block ×4, first 2 shown]
	v_add_f32_e32 v2, v2, v117
	v_add_f32_e32 v3, v3, v137
	;; [unrolled: 1-line block ×6, first 2 shown]
	ds_read_b128 v[106:109], v1 offset:640
	v_add_f32_e32 v111, v111, v128
	v_add_f32_e32 v121, v110, v154
	;; [unrolled: 1-line block ×6, first 2 shown]
	s_waitcnt vmcnt(32)
	v_mul_f32_e32 v117, v4, v7
	v_mul_f32_e32 v7, v5, v7
	s_waitcnt vmcnt(31) lgkmcnt(1)
	v_mul_f32_e32 v119, v102, v113
	v_mul_f32_e32 v112, v103, v113
	v_fmac_f32_e32 v117, v5, v147
	v_fma_f32 v7, v4, v147, -v7
	ds_read_b128 v[2:5], v1 offset:624
	v_fmac_f32_e32 v119, v103, v146
	s_waitcnt vmcnt(30)
	v_mul_f32_e32 v122, v104, v127
	v_mul_f32_e32 v113, v105, v127
	v_fma_f32 v127, v102, v146, -v112
	s_waitcnt vmcnt(26)
	v_fmac_f32_e32 v122, v105, v135
	v_fma_f32 v128, v104, v135, -v113
	ds_read_b128 v[102:105], v1 offset:656
	ds_read_b128 v[110:113], v1 offset:672
	s_waitcnt vmcnt(23) lgkmcnt(3)
	v_mul_f32_e32 v137, v107, v139
	s_waitcnt lgkmcnt(2)
	v_mul_f32_e32 v129, v2, v136
	v_mul_f32_e32 v118, v3, v136
	;; [unrolled: 1-line block ×5, first 2 shown]
	v_fmac_f32_e32 v129, v3, v134
	v_fma_f32 v134, v2, v134, -v118
	v_add_f32_e32 v118, v115, v120
	v_add_f32_e32 v120, v114, v117
	v_fmac_f32_e32 v135, v5, v133
	v_fma_f32 v133, v4, v133, -v121
	ds_read_b128 v[2:5], v1 offset:688
	ds_read_b128 v[114:117], v1 offset:704
	v_add_f32_e32 v7, v118, v7
	v_fmac_f32_e32 v136, v107, v132
	v_add_f32_e32 v107, v120, v119
	ds_read_b128 v[118:121], v1 offset:720
	v_fma_f32 v106, v106, v132, -v137
	v_add_f32_e32 v1, v7, v127
	v_add_f32_e32 v107, v107, v122
	s_waitcnt vmcnt(22)
	v_mul_f32_e32 v7, v108, v8
	v_add_f32_e32 v1, v1, v128
	v_mul_f32_e32 v8, v109, v8
	v_add_f32_e32 v107, v107, v129
	s_waitcnt vmcnt(21) lgkmcnt(4)
	v_mul_f32_e32 v128, v103, v130
	v_mul_f32_e32 v122, v102, v130
	v_add_f32_e32 v1, v1, v134
	s_waitcnt vmcnt(15)
	v_fma_f32 v8, v108, v153, -v8
	v_add_f32_e32 v107, v107, v135
	v_fmac_f32_e32 v7, v109, v153
	v_mul_f32_e32 v127, v104, v131
	v_add_f32_e32 v1, v1, v133
	v_mul_f32_e32 v131, v105, v131
	v_fma_f32 v102, v102, v144, -v128
	v_fmac_f32_e32 v122, v103, v144
	s_waitcnt lgkmcnt(3)
	v_mul_f32_e32 v108, v110, v140
	v_add_f32_e32 v1, v1, v106
	v_add_f32_e32 v106, v107, v136
	v_fma_f32 v103, v104, v143, -v131
	v_fmac_f32_e32 v127, v105, v143
	s_waitcnt vmcnt(14)
	v_mul_f32_e32 v109, v112, v125
	v_add_f32_e32 v1, v1, v8
	v_add_f32_e32 v7, v106, v7
	v_mul_f32_e32 v8, v111, v140
	v_fmac_f32_e32 v108, v111, v142
	s_waitcnt vmcnt(13) lgkmcnt(2)
	v_mul_f32_e32 v129, v2, v145
	v_add_f32_e32 v1, v1, v102
	v_add_f32_e32 v7, v7, v122
	v_mul_f32_e32 v102, v113, v125
	v_fma_f32 v8, v110, v142, -v8
	s_waitcnt vmcnt(4)
	v_fmac_f32_e32 v109, v113, v162
	v_add_f32_e32 v1, v1, v103
	v_add_f32_e32 v7, v7, v127
	v_mul_f32_e32 v103, v3, v145
	v_fma_f32 v102, v112, v162, -v102
	v_mul_f32_e32 v130, v4, v155
	v_add_f32_e32 v1, v1, v8
	v_add_f32_e32 v7, v7, v108
	v_mul_f32_e32 v8, v5, v155
	v_fma_f32 v2, v2, v161, -v103
	v_fmac_f32_e32 v129, v3, v161
	v_add_f32_e32 v1, v1, v102
	v_add_f32_e32 v3, v7, v109
	s_waitcnt lgkmcnt(1)
	v_mul_f32_e32 v7, v115, v156
	v_fma_f32 v4, v4, v160, -v8
	v_mul_f32_e32 v132, v114, v156
	v_add_f32_e32 v1, v1, v2
	v_fmac_f32_e32 v130, v5, v160
	v_add_f32_e32 v2, v3, v129
	v_mul_f32_e32 v3, v117, v157
	v_fma_f32 v5, v114, v149, -v7
	v_add_f32_e32 v1, v1, v4
	v_mul_f32_e32 v133, v116, v157
	v_fmac_f32_e32 v132, v115, v149
	v_add_f32_e32 v2, v2, v130
	s_waitcnt lgkmcnt(0)
	v_mul_f32_e32 v4, v119, v158
	s_waitcnt vmcnt(1)
	v_fma_f32 v3, v116, v124, -v3
	v_add_f32_e32 v1, v1, v5
	v_mul_f32_e32 v134, v118, v158
	v_fmac_f32_e32 v133, v117, v124
	v_add_f32_e32 v2, v2, v132
	v_mul_f32_e32 v5, v121, v159
	v_fma_f32 v4, v118, v123, -v4
	v_add_f32_e32 v1, v1, v3
	v_mul_f32_e32 v107, v120, v159
	v_fmac_f32_e32 v134, v119, v123
	v_add_f32_e32 v2, v2, v133
	v_fma_f32 v3, v120, v6, -v5
	v_add_f32_e32 v1, v1, v4
	v_fmac_f32_e32 v107, v121, v6
	v_add_f32_e32 v2, v2, v134
	v_add_f32_e32 v1, v1, v3
	;; [unrolled: 1-line block ×3, first 2 shown]
	s_waitcnt vmcnt(0)
	v_sub_f32_e32 v1, v126, v1
	v_sub_f32_e32 v2, v152, v2
	buffer_store_dword v1, off, s[0:3], 0 offset:56
	buffer_store_dword v2, off, s[0:3], 0 offset:60
	v_cmpx_lt_u32_e32 6, v0
	s_cbranch_execz .LBB45_277
; %bb.276:
	s_clause 0x1
	buffer_load_dword v1, off, s[0:3], 0 offset:48
	buffer_load_dword v2, off, s[0:3], 0 offset:52
	v_mov_b32_e32 v3, 0
	buffer_store_dword v3, off, s[0:3], 0 offset:48
	buffer_store_dword v3, off, s[0:3], 0 offset:52
	s_waitcnt vmcnt(0)
	ds_write_b64 v101, v[1:2]
.LBB45_277:
	s_or_b32 exec_lo, exec_lo, s4
	s_waitcnt lgkmcnt(0)
	s_waitcnt_vscnt null, 0x0
	s_barrier
	buffer_gl0_inv
	s_clause 0x2c
	buffer_load_dword v132, off, s[0:3], 0 offset:60
	buffer_load_dword v133, off, s[0:3], 0 offset:68
	;; [unrolled: 1-line block ×45, first 2 shown]
	v_mov_b32_e32 v1, 0
	ds_read2_b64 v[134:137], v1 offset0:53 offset1:54
	ds_read2_b64 v[138:141], v1 offset0:55 offset1:56
	buffer_load_dword v150, off, s[0:3], 0 offset:52
	s_mov_b32 s4, exec_lo
	s_waitcnt vmcnt(45) lgkmcnt(1)
	v_mul_f32_e32 v148, v134, v132
	v_mul_f32_e32 v132, v135, v132
	s_waitcnt vmcnt(44)
	v_mul_f32_e32 v149, v136, v133
	v_mul_f32_e32 v133, v137, v133
	s_waitcnt vmcnt(41)
	v_fmac_f32_e32 v148, v135, v103
	v_fma_f32 v151, v134, v103, -v132
	s_waitcnt vmcnt(40) lgkmcnt(0)
	v_mul_f32_e32 v153, v138, v4
	v_fma_f32 v152, v136, v7, -v133
	ds_read2_b64 v[132:135], v1 offset0:57 offset1:58
	s_waitcnt vmcnt(39)
	v_mul_f32_e32 v154, v140, v5
	v_mul_f32_e32 v4, v139, v4
	v_fmac_f32_e32 v149, v137, v7
	v_mul_f32_e32 v5, v141, v5
	v_fmac_f32_e32 v153, v139, v2
	s_waitcnt vmcnt(35)
	v_fmac_f32_e32 v154, v141, v106
	v_fma_f32 v141, v138, v2, -v4
	ds_read2_b64 v[136:139], v1 offset0:59 offset1:60
	v_fma_f32 v106, v140, v106, -v5
	s_waitcnt vmcnt(34) lgkmcnt(1)
	v_mul_f32_e32 v140, v132, v105
	v_mul_f32_e32 v2, v133, v105
	s_waitcnt vmcnt(33)
	v_mul_f32_e32 v155, v134, v104
	v_mul_f32_e32 v4, v135, v104
	v_fmac_f32_e32 v140, v133, v102
	v_fma_f32 v132, v132, v102, -v2
	v_fmac_f32_e32 v155, v135, v6
	v_fma_f32 v133, v134, v6, -v4
	ds_read2_b64 v[4:7], v1 offset0:61 offset1:62
	s_waitcnt vmcnt(32) lgkmcnt(1)
	v_mul_f32_e32 v134, v136, v8
	v_mul_f32_e32 v2, v137, v8
	s_waitcnt vmcnt(31)
	v_mul_f32_e32 v8, v138, v107
	v_mul_f32_e32 v102, v139, v107
	v_fmac_f32_e32 v134, v137, v3
	v_fma_f32 v107, v136, v3, -v2
	s_waitcnt vmcnt(27)
	v_fmac_f32_e32 v8, v139, v115
	v_fma_f32 v115, v138, v115, -v102
	ds_read2_b64 v[102:105], v1 offset0:63 offset1:64
	buffer_load_dword v139, off, s[0:3], 0 offset:244
	s_waitcnt vmcnt(27) lgkmcnt(1)
	v_mul_f32_e32 v135, v4, v113
	v_mul_f32_e32 v2, v5, v113
	s_waitcnt vmcnt(26)
	v_mul_f32_e32 v113, v6, v112
	v_mul_f32_e32 v3, v7, v112
	v_fmac_f32_e32 v135, v5, v111
	v_fma_f32 v111, v4, v111, -v2
	v_fmac_f32_e32 v113, v7, v109
	v_fma_f32 v6, v6, v109, -v3
	ds_read2_b64 v[2:5], v1 offset0:65 offset1:66
	s_waitcnt vmcnt(25) lgkmcnt(1)
	v_mul_f32_e32 v7, v102, v110
	v_mul_f32_e32 v109, v103, v110
	s_waitcnt vmcnt(24)
	v_mul_f32_e32 v110, v104, v114
	v_mul_f32_e32 v112, v105, v114
	v_fmac_f32_e32 v7, v103, v108
	v_fma_f32 v108, v102, v108, -v109
	s_waitcnt vmcnt(20)
	v_fmac_f32_e32 v110, v105, v123
	v_fma_f32 v109, v104, v123, -v112
	ds_read2_b64 v[102:105], v1 offset0:67 offset1:68
	s_waitcnt vmcnt(19) lgkmcnt(1)
	v_mul_f32_e32 v112, v2, v121
	v_mul_f32_e32 v114, v3, v121
	s_waitcnt vmcnt(18)
	v_mul_f32_e32 v121, v4, v120
	v_mul_f32_e32 v120, v5, v120
	v_fmac_f32_e32 v112, v3, v119
	v_fma_f32 v114, v2, v119, -v114
	v_fmac_f32_e32 v121, v5, v117
	v_fma_f32 v117, v4, v117, -v120
	ds_read2_b64 v[2:5], v1 offset0:69 offset1:70
	s_waitcnt vmcnt(17) lgkmcnt(1)
	v_mul_f32_e32 v119, v102, v118
	v_mul_f32_e32 v118, v103, v118
	s_waitcnt vmcnt(16)
	v_mul_f32_e32 v120, v104, v122
	v_mul_f32_e32 v122, v105, v122
	v_fmac_f32_e32 v119, v103, v116
	v_fma_f32 v116, v102, v116, -v118
	s_waitcnt vmcnt(12)
	v_fmac_f32_e32 v120, v105, v130
	v_fma_f32 v118, v104, v130, -v122
	ds_read2_b64 v[102:105], v1 offset0:71 offset1:72
	s_waitcnt vmcnt(11) lgkmcnt(1)
	v_mul_f32_e32 v122, v2, v129
	v_mul_f32_e32 v123, v3, v129
	s_waitcnt vmcnt(10)
	v_mul_f32_e32 v129, v4, v128
	v_mul_f32_e32 v128, v5, v128
	v_fmac_f32_e32 v122, v3, v127
	v_fma_f32 v123, v2, v127, -v123
	v_fmac_f32_e32 v129, v5, v125
	v_fma_f32 v125, v4, v125, -v128
	ds_read2_b64 v[2:5], v1 offset0:73 offset1:74
	s_waitcnt vmcnt(8) lgkmcnt(1)
	v_mul_f32_e32 v128, v104, v131
	v_mul_f32_e32 v130, v105, v131
	buffer_load_dword v131, off, s[0:3], 0 offset:236
	v_mul_f32_e32 v127, v102, v126
	v_mul_f32_e32 v126, v103, v126
	s_waitcnt vmcnt(5)
	v_fmac_f32_e32 v128, v105, v145
	v_fmac_f32_e32 v127, v103, v124
	v_fma_f32 v124, v102, v124, -v126
	v_fma_f32 v126, v104, v145, -v130
	ds_read2_b64 v[102:105], v1 offset0:75 offset1:76
	s_waitcnt vmcnt(4) lgkmcnt(1)
	v_mul_f32_e32 v130, v2, v146
	v_mul_f32_e32 v136, v3, v146
	s_waitcnt vmcnt(3)
	v_mul_f32_e32 v137, v4, v147
	v_mul_f32_e32 v138, v5, v147
	v_fmac_f32_e32 v130, v3, v144
	v_fma_f32 v136, v2, v144, -v136
	v_fmac_f32_e32 v137, v5, v143
	v_fma_f32 v138, v4, v143, -v138
	s_clause 0x4
	buffer_load_dword v143, off, s[0:3], 0 offset:264
	buffer_load_dword v144, off, s[0:3], 0 offset:256
	;; [unrolled: 1-line block ×5, first 2 shown]
	s_waitcnt vmcnt(6) lgkmcnt(0)
	v_mul_f32_e32 v4, v105, v139
	s_waitcnt vmcnt(5)
	v_mul_f32_e32 v146, v102, v131
	v_mul_f32_e32 v3, v103, v131
	;; [unrolled: 1-line block ×3, first 2 shown]
	v_fmac_f32_e32 v146, v103, v142
	v_fma_f32 v139, v102, v142, -v3
	buffer_load_dword v142, off, s[0:3], 0 offset:252
	v_add_f32_e32 v3, 0, v151
	v_add_f32_e32 v3, v3, v152
	;; [unrolled: 1-line block ×4, first 2 shown]
	s_waitcnt vmcnt(2)
	v_fmac_f32_e32 v131, v105, v2
	v_fma_f32 v147, v104, v2, -v4
	v_add_f32_e32 v2, 0, v148
	buffer_load_dword v148, off, s[0:3], 0 offset:268
	v_add_f32_e32 v3, v3, v132
	v_add_f32_e32 v2, v2, v149
	buffer_load_dword v149, off, s[0:3], 0 offset:276
	v_add_f32_e32 v3, v3, v133
	v_add_f32_e32 v2, v2, v153
	s_clause 0x3
	buffer_load_dword v151, off, s[0:3], 0 offset:296
	buffer_load_dword v152, off, s[0:3], 0 offset:288
	;; [unrolled: 1-line block ×4, first 2 shown]
	v_add_f32_e32 v3, v3, v107
	v_add_f32_e32 v2, v2, v154
	s_clause 0x1
	buffer_load_dword v141, off, s[0:3], 0 offset:284
	buffer_load_dword v154, off, s[0:3], 0 offset:292
	v_add_f32_e32 v3, v3, v115
	v_add_f32_e32 v2, v2, v140
	buffer_load_dword v140, off, s[0:3], 0 offset:300
	v_add_f32_e32 v3, v3, v111
	v_add_f32_e32 v2, v2, v155
	s_clause 0x3
	buffer_load_dword v132, off, s[0:3], 0 offset:308
	buffer_load_dword v155, off, s[0:3], 0 offset:316
	;; [unrolled: 1-line block ×4, first 2 shown]
	v_add_f32_e32 v3, v3, v6
	v_add_f32_e32 v2, v2, v134
	s_clause 0x1
	buffer_load_dword v133, off, s[0:3], 0 offset:340
	buffer_load_dword v134, off, s[0:3], 0 offset:348
	v_add_f32_e32 v3, v3, v108
	v_add_f32_e32 v2, v2, v8
	s_clause 0x1
	buffer_load_dword v8, off, s[0:3], 0 offset:356
	buffer_load_dword v160, off, s[0:3], 0 offset:364
	;; [unrolled: 5-line block ×3, first 2 shown]
	buffer_load_dword v162, off, s[0:3], 0 offset:312
	buffer_load_dword v163, off, s[0:3], 0 offset:304
	buffer_load_dword v164, off, s[0:3], 0 offset:360
	buffer_load_dword v165, off, s[0:3], 0 offset:352
	buffer_load_dword v166, off, s[0:3], 0 offset:344
	buffer_load_dword v167, off, s[0:3], 0 offset:336
	buffer_load_dword v168, off, s[0:3], 0 offset:48
	v_add_f32_e32 v3, v3, v114
	v_add_f32_e32 v2, v2, v113
	ds_read2_b64 v[102:105], v1 offset0:79 offset1:80
	v_add_f32_e32 v2, v2, v7
	v_add_f32_e32 v7, v3, v117
	;; [unrolled: 1-line block ×7, first 2 shown]
	ds_read2_b64 v[2:5], v1 offset0:77 offset1:78
	v_add_f32_e32 v7, v7, v123
	v_add_f32_e32 v6, v6, v119
	;; [unrolled: 1-line block ×6, first 2 shown]
	s_waitcnt vmcnt(27) lgkmcnt(0)
	v_mul_f32_e32 v119, v4, v156
	v_mul_f32_e32 v107, v5, v156
	v_add_f32_e32 v6, v6, v127
	v_fmac_f32_e32 v119, v5, v144
	v_fma_f32 v121, v4, v144, -v107
	v_add_f32_e32 v6, v6, v128
	v_add_f32_e32 v6, v6, v130
	;; [unrolled: 1-line block ×3, first 2 shown]
	s_waitcnt vmcnt(26)
	v_mul_f32_e32 v118, v2, v142
	v_mul_f32_e32 v106, v3, v142
	v_fmac_f32_e32 v118, v3, v145
	v_add_f32_e32 v3, v7, v124
	v_fma_f32 v120, v2, v145, -v106
	v_add_f32_e32 v7, v3, v126
	ds_read2_b64 v[2:5], v1 offset0:81 offset1:82
	ds_read2_b64 v[106:109], v1 offset0:83 offset1:84
	v_add_f32_e32 v126, v6, v146
	ds_read2_b64 v[110:113], v1 offset0:85 offset1:86
	v_add_f32_e32 v7, v7, v136
	v_add_f32_e32 v126, v126, v131
	;; [unrolled: 1-line block ×3, first 2 shown]
	s_waitcnt vmcnt(25)
	v_mul_f32_e32 v114, v103, v148
	v_mul_f32_e32 v122, v102, v148
	v_add_f32_e32 v118, v126, v118
	v_add_f32_e32 v7, v7, v139
	s_waitcnt vmcnt(24)
	v_mul_f32_e32 v124, v105, v149
	v_fma_f32 v125, v102, v143, -v114
	v_mul_f32_e32 v123, v104, v149
	v_fmac_f32_e32 v122, v103, v143
	v_add_f32_e32 v127, v7, v147
	v_add_f32_e32 v118, v118, v119
	s_waitcnt vmcnt(20)
	v_fma_f32 v124, v104, v157, -v124
	v_fmac_f32_e32 v123, v105, v157
	ds_read2_b64 v[114:117], v1 offset0:87 offset1:88
	v_add_f32_e32 v120, v127, v120
	s_waitcnt vmcnt(19) lgkmcnt(3)
	v_mul_f32_e32 v127, v3, v141
	v_mul_f32_e32 v128, v2, v141
	v_add_f32_e32 v118, v118, v122
	s_waitcnt vmcnt(18)
	v_mul_f32_e32 v130, v5, v154
	v_add_f32_e32 v120, v120, v121
	v_fma_f32 v2, v2, v153, -v127
	v_mul_f32_e32 v129, v4, v154
	v_fmac_f32_e32 v128, v3, v153
	v_add_f32_e32 v118, v118, v123
	v_add_f32_e32 v120, v120, v125
	s_waitcnt vmcnt(17) lgkmcnt(2)
	v_mul_f32_e32 v127, v107, v140
	v_fma_f32 v4, v4, v152, -v130
	v_mul_f32_e32 v126, v106, v140
	v_fmac_f32_e32 v129, v5, v152
	v_add_f32_e32 v120, v120, v124
	v_add_f32_e32 v5, v118, v128
	s_waitcnt vmcnt(16)
	v_mul_f32_e32 v118, v109, v132
	v_fma_f32 v106, v106, v151, -v127
	v_mul_f32_e32 v121, v108, v132
	v_add_f32_e32 v2, v120, v2
	v_fmac_f32_e32 v126, v107, v151
	ds_read2_b64 v[102:105], v1 offset0:89 offset1:90
	ds_read_b64 v[6:7], v1 offset:728
	s_waitcnt vmcnt(15) lgkmcnt(3)
	v_mul_f32_e32 v131, v110, v155
	s_waitcnt vmcnt(14)
	v_mul_f32_e32 v119, v112, v158
	v_add_f32_e32 v2, v2, v4
	v_add_f32_e32 v4, v5, v129
	v_mul_f32_e32 v5, v111, v155
	s_waitcnt vmcnt(5)
	v_fma_f32 v107, v108, v163, -v118
	v_fmac_f32_e32 v121, v109, v163
	v_add_f32_e32 v2, v2, v106
	v_add_f32_e32 v4, v4, v126
	v_mul_f32_e32 v106, v113, v158
	v_fma_f32 v5, v110, v162, -v5
	v_fmac_f32_e32 v131, v111, v162
	v_add_f32_e32 v2, v2, v107
	v_add_f32_e32 v4, v4, v121
	s_waitcnt lgkmcnt(2)
	v_mul_f32_e32 v107, v115, v159
	v_fma_f32 v106, v112, v161, -v106
	v_mul_f32_e32 v125, v114, v159
	v_add_f32_e32 v2, v2, v5
	v_fmac_f32_e32 v119, v113, v161
	v_add_f32_e32 v4, v4, v131
	v_mul_f32_e32 v5, v117, v133
	v_fma_f32 v107, v114, v135, -v107
	v_add_f32_e32 v2, v2, v106
	v_mul_f32_e32 v3, v116, v133
	v_fmac_f32_e32 v125, v115, v135
	v_add_f32_e32 v4, v4, v119
	s_waitcnt lgkmcnt(1)
	v_mul_f32_e32 v106, v103, v134
	s_waitcnt vmcnt(1)
	v_fma_f32 v5, v116, v167, -v5
	v_add_f32_e32 v2, v2, v107
	v_mul_f32_e32 v122, v102, v134
	v_fmac_f32_e32 v3, v117, v167
	v_add_f32_e32 v4, v4, v125
	v_mul_f32_e32 v124, v104, v8
	v_mul_f32_e32 v8, v105, v8
	v_fma_f32 v102, v102, v166, -v106
	v_add_f32_e32 v2, v2, v5
	v_fmac_f32_e32 v122, v103, v166
	v_add_f32_e32 v3, v4, v3
	s_waitcnt lgkmcnt(0)
	v_mul_f32_e32 v4, v7, v160
	v_fma_f32 v5, v104, v165, -v8
	v_add_f32_e32 v2, v2, v102
	v_mul_f32_e32 v123, v6, v160
	v_fmac_f32_e32 v124, v105, v165
	v_add_f32_e32 v3, v3, v122
	v_fma_f32 v4, v6, v164, -v4
	v_add_f32_e32 v2, v2, v5
	v_fmac_f32_e32 v123, v7, v164
	v_add_f32_e32 v3, v3, v124
	v_add_f32_e32 v2, v2, v4
	;; [unrolled: 1-line block ×3, first 2 shown]
	s_waitcnt vmcnt(0)
	v_sub_f32_e32 v2, v168, v2
	v_sub_f32_e32 v3, v150, v3
	buffer_store_dword v2, off, s[0:3], 0 offset:48
	buffer_store_dword v3, off, s[0:3], 0 offset:52
	v_cmpx_lt_u32_e32 5, v0
	s_cbranch_execz .LBB45_279
; %bb.278:
	s_clause 0x1
	buffer_load_dword v2, off, s[0:3], 0 offset:40
	buffer_load_dword v3, off, s[0:3], 0 offset:44
	buffer_store_dword v1, off, s[0:3], 0 offset:40
	buffer_store_dword v1, off, s[0:3], 0 offset:44
	s_waitcnt vmcnt(0)
	ds_write_b64 v101, v[2:3]
.LBB45_279:
	s_or_b32 exec_lo, exec_lo, s4
	s_waitcnt lgkmcnt(0)
	s_waitcnt_vscnt null, 0x0
	s_barrier
	buffer_gl0_inv
	s_clause 0x2c
	buffer_load_dword v6, off, s[0:3], 0 offset:52
	buffer_load_dword v7, off, s[0:3], 0 offset:60
	;; [unrolled: 1-line block ×45, first 2 shown]
	ds_read_b128 v[2:5], v1 offset:416
	ds_read_b128 v[102:105], v1 offset:432
	s_clause 0x2
	buffer_load_dword v150, off, s[0:3], 0 offset:44
	buffer_load_dword v151, off, s[0:3], 0 offset:228
	;; [unrolled: 1-line block ×3, first 2 shown]
	s_mov_b32 s4, exec_lo
	s_waitcnt vmcnt(47) lgkmcnt(1)
	v_mul_f32_e32 v148, v3, v6
	v_mul_f32_e32 v6, v2, v6
	s_waitcnt vmcnt(46)
	v_mul_f32_e32 v149, v4, v7
	v_mul_f32_e32 v7, v5, v7
	s_waitcnt vmcnt(43)
	v_fma_f32 v148, v2, v107, -v148
	v_fmac_f32_e32 v6, v3, v107
	v_fmac_f32_e32 v149, v5, v106
	v_fma_f32 v7, v4, v106, -v7
	ds_read_b128 v[2:5], v1 offset:448
	s_waitcnt vmcnt(42) lgkmcnt(1)
	v_mul_f32_e32 v106, v102, v108
	v_mul_f32_e32 v107, v103, v108
	s_waitcnt vmcnt(41)
	v_mul_f32_e32 v108, v104, v109
	v_mul_f32_e32 v109, v105, v109
	v_fmac_f32_e32 v106, v103, v8
	v_fma_f32 v8, v102, v8, -v107
	s_waitcnt vmcnt(37)
	v_fmac_f32_e32 v108, v105, v113
	v_fma_f32 v107, v104, v113, -v109
	ds_read_b128 v[102:105], v1 offset:464
	s_waitcnt vmcnt(36) lgkmcnt(1)
	v_mul_f32_e32 v109, v2, v114
	v_mul_f32_e32 v113, v3, v114
	s_waitcnt vmcnt(35)
	v_mul_f32_e32 v114, v4, v115
	v_mul_f32_e32 v115, v5, v115
	v_fmac_f32_e32 v109, v3, v112
	v_fma_f32 v112, v2, v112, -v113
	v_fmac_f32_e32 v114, v5, v111
	v_fma_f32 v111, v4, v111, -v115
	ds_read_b128 v[2:5], v1 offset:480
	s_waitcnt vmcnt(34) lgkmcnt(1)
	v_mul_f32_e32 v113, v102, v116
	v_mul_f32_e32 v115, v103, v116
	s_waitcnt vmcnt(33)
	v_mul_f32_e32 v116, v104, v117
	v_mul_f32_e32 v117, v105, v117
	v_fmac_f32_e32 v113, v103, v110
	v_fma_f32 v110, v102, v110, -v115
	s_waitcnt vmcnt(29)
	v_fmac_f32_e32 v116, v105, v121
	v_fma_f32 v115, v104, v121, -v117
	ds_read_b128 v[102:105], v1 offset:496
	s_waitcnt vmcnt(28) lgkmcnt(1)
	v_mul_f32_e32 v117, v2, v122
	v_mul_f32_e32 v121, v3, v122
	s_waitcnt vmcnt(27)
	v_mul_f32_e32 v122, v4, v123
	v_mul_f32_e32 v123, v5, v123
	v_fmac_f32_e32 v117, v3, v120
	v_fma_f32 v120, v2, v120, -v121
	;; [unrolled: 23-line block ×5, first 2 shown]
	v_fmac_f32_e32 v146, v5, v143
	v_fma_f32 v143, v4, v143, -v147
	s_clause 0x5
	buffer_load_dword v145, off, s[0:3], 0 offset:256
	buffer_load_dword v147, off, s[0:3], 0 offset:248
	;; [unrolled: 1-line block ×6, first 2 shown]
	v_add_f32_e32 v4, 0, v6
	buffer_load_dword v6, off, s[0:3], 0 offset:260
	v_add_f32_e32 v3, 0, v148
	s_waitcnt vmcnt(8) lgkmcnt(0)
	v_mul_f32_e32 v5, v103, v151
	s_waitcnt vmcnt(7)
	v_mul_f32_e32 v158, v104, v152
	v_add_f32_e32 v4, v4, v149
	v_add_f32_e32 v3, v3, v7
	v_mul_f32_e32 v7, v102, v151
	v_add_f32_e32 v4, v4, v106
	v_add_f32_e32 v3, v3, v8
	s_clause 0x7
	buffer_load_dword v8, off, s[0:3], 0 offset:268
	buffer_load_dword v148, off, s[0:3], 0 offset:288
	buffer_load_dword v149, off, s[0:3], 0 offset:280
	buffer_load_dword v151, off, s[0:3], 0 offset:272
	buffer_load_dword v156, off, s[0:3], 0 offset:264
	buffer_load_dword v157, off, s[0:3], 0 offset:276
	buffer_load_dword v159, off, s[0:3], 0 offset:292
	buffer_load_dword v160, off, s[0:3], 0 offset:300
	v_add_f32_e32 v3, v3, v107
	v_add_f32_e32 v4, v4, v108
	v_fmac_f32_e32 v7, v103, v142
	v_fma_f32 v142, v102, v142, -v5
	v_mul_f32_e32 v5, v105, v152
	v_add_f32_e32 v3, v3, v112
	v_add_f32_e32 v4, v4, v109
	s_clause 0x7
	buffer_load_dword v152, off, s[0:3], 0 offset:284
	buffer_load_dword v161, off, s[0:3], 0 offset:308
	;; [unrolled: 1-line block ×8, first 2 shown]
	v_add_f32_e32 v3, v3, v111
	v_add_f32_e32 v4, v4, v114
	buffer_load_dword v168, off, s[0:3], 0 offset:364
	s_waitcnt vmcnt(20)
	v_fmac_f32_e32 v158, v105, v2
	v_fma_f32 v114, v104, v2, -v5
	v_add_f32_e32 v2, v3, v110
	v_add_f32_e32 v3, v4, v113
	;; [unrolled: 1-line block ×8, first 2 shown]
	s_clause 0x3
	buffer_load_dword v122, off, s[0:3], 0 offset:320
	buffer_load_dword v169, off, s[0:3], 0 offset:312
	;; [unrolled: 1-line block ×4, first 2 shown]
	v_add_f32_e32 v2, v2, v118
	v_add_f32_e32 v3, v3, v121
	;; [unrolled: 1-line block ×4, first 2 shown]
	s_clause 0x3
	buffer_load_dword v123, off, s[0:3], 0 offset:352
	buffer_load_dword v124, off, s[0:3], 0 offset:344
	;; [unrolled: 1-line block ×4, first 2 shown]
	v_add_f32_e32 v2, v2, v128
	buffer_load_dword v128, off, s[0:3], 0 offset:360
	v_add_f32_e32 v3, v3, v125
	buffer_load_dword v125, off, s[0:3], 0 offset:40
	v_add_f32_e32 v2, v2, v127
	v_add_f32_e32 v3, v3, v130
	;; [unrolled: 1-line block ×4, first 2 shown]
	ds_read_b128 v[2:5], v1 offset:608
	v_add_f32_e32 v102, v102, v131
	v_add_f32_e32 v103, v103, v132
	;; [unrolled: 1-line block ×4, first 2 shown]
	ds_read_b128 v[102:105], v1 offset:624
	v_add_f32_e32 v106, v106, v135
	v_add_f32_e32 v107, v107, v138
	;; [unrolled: 1-line block ×4, first 2 shown]
	s_waitcnt vmcnt(29) lgkmcnt(1)
	v_mul_f32_e32 v126, v2, v154
	v_mul_f32_e32 v108, v3, v154
	s_waitcnt vmcnt(28)
	v_mul_f32_e32 v127, v4, v155
	v_mul_f32_e32 v109, v5, v155
	v_add_f32_e32 v111, v106, v139
	v_fmac_f32_e32 v126, v3, v153
	v_fma_f32 v118, v2, v153, -v108
	v_fmac_f32_e32 v127, v5, v147
	v_fma_f32 v129, v4, v147, -v109
	ds_read_b128 v[2:5], v1 offset:640
	ds_read_b128 v[106:109], v1 offset:656
	v_add_f32_e32 v110, v110, v140
	s_waitcnt vmcnt(27) lgkmcnt(2)
	v_mul_f32_e32 v130, v102, v6
	v_add_f32_e32 v111, v111, v144
	v_mul_f32_e32 v6, v103, v6
	s_waitcnt vmcnt(26)
	v_mul_f32_e32 v131, v104, v8
	v_add_f32_e32 v110, v110, v141
	v_fmac_f32_e32 v130, v103, v145
	v_add_f32_e32 v103, v111, v143
	v_mul_f32_e32 v8, v105, v8
	v_fma_f32 v6, v102, v145, -v6
	v_add_f32_e32 v115, v110, v146
	s_waitcnt vmcnt(22)
	v_fmac_f32_e32 v131, v105, v156
	v_add_f32_e32 v116, v103, v142
	v_fma_f32 v8, v104, v156, -v8
	ds_read_b128 v[102:105], v1 offset:672
	ds_read_b128 v[110:113], v1 offset:688
	v_add_f32_e32 v7, v115, v7
	v_add_f32_e32 v120, v116, v114
	s_waitcnt vmcnt(21) lgkmcnt(3)
	v_mul_f32_e32 v132, v2, v157
	v_mul_f32_e32 v119, v3, v157
	v_add_f32_e32 v7, v7, v158
	ds_read_b128 v[114:117], v1 offset:704
	s_waitcnt vmcnt(20) lgkmcnt(3)
	v_mul_f32_e32 v133, v107, v159
	v_fmac_f32_e32 v132, v3, v151
	v_add_f32_e32 v3, v120, v118
	v_fma_f32 v2, v2, v151, -v119
	ds_read_b128 v[118:121], v1 offset:720
	v_add_f32_e32 v1, v7, v126
	s_waitcnt vmcnt(18)
	v_mul_f32_e32 v126, v5, v152
	v_add_f32_e32 v3, v3, v129
	v_mul_f32_e32 v7, v4, v152
	v_mul_f32_e32 v129, v106, v159
	v_add_f32_e32 v1, v1, v127
	v_fma_f32 v4, v4, v149, -v126
	v_add_f32_e32 v3, v3, v6
	v_fmac_f32_e32 v7, v5, v149
	v_fma_f32 v106, v106, v148, -v133
	v_add_f32_e32 v1, v1, v130
	v_mul_f32_e32 v127, v108, v160
	v_add_f32_e32 v3, v3, v8
	v_mul_f32_e32 v8, v109, v160
	v_fmac_f32_e32 v129, v107, v148
	v_add_f32_e32 v1, v1, v131
	s_waitcnt vmcnt(17) lgkmcnt(3)
	v_mul_f32_e32 v5, v102, v161
	v_add_f32_e32 v2, v3, v2
	s_waitcnt vmcnt(16)
	v_mul_f32_e32 v126, v104, v162
	s_waitcnt vmcnt(15) lgkmcnt(2)
	v_mul_f32_e32 v6, v110, v163
	v_add_f32_e32 v1, v1, v132
	s_waitcnt vmcnt(14)
	v_mul_f32_e32 v130, v112, v164
	v_add_f32_e32 v2, v2, v4
	v_mul_f32_e32 v4, v103, v161
	s_waitcnt vmcnt(13) lgkmcnt(1)
	v_mul_f32_e32 v134, v114, v165
	v_add_f32_e32 v1, v1, v7
	s_waitcnt vmcnt(12)
	v_mul_f32_e32 v131, v116, v166
	v_add_f32_e32 v2, v2, v106
	s_waitcnt vmcnt(11) lgkmcnt(0)
	v_mul_f32_e32 v135, v118, v167
	s_waitcnt vmcnt(10)
	v_mul_f32_e32 v3, v120, v168
	v_add_f32_e32 v1, v1, v129
	s_waitcnt vmcnt(9)
	v_fmac_f32_e32 v6, v111, v122
	s_waitcnt vmcnt(8)
	v_fmac_f32_e32 v126, v105, v169
	s_waitcnt vmcnt(7)
	v_fma_f32 v4, v102, v170, -v4
	s_waitcnt vmcnt(6)
	v_fma_f32 v7, v108, v171, -v8
	v_fmac_f32_e32 v127, v109, v171
	v_mul_f32_e32 v8, v105, v162
	v_fmac_f32_e32 v5, v103, v170
	v_add_f32_e32 v2, v2, v7
	v_add_f32_e32 v1, v1, v127
	v_mul_f32_e32 v7, v111, v163
	v_fma_f32 v8, v104, v169, -v8
	s_waitcnt vmcnt(3)
	v_fmac_f32_e32 v134, v115, v172
	v_add_f32_e32 v2, v2, v4
	v_add_f32_e32 v1, v1, v5
	v_mul_f32_e32 v4, v113, v164
	v_fma_f32 v5, v110, v122, -v7
	v_mul_f32_e32 v7, v115, v165
	v_add_f32_e32 v2, v2, v8
	v_add_f32_e32 v1, v1, v126
	s_waitcnt vmcnt(2)
	v_fma_f32 v4, v112, v173, -v4
	v_fmac_f32_e32 v130, v113, v173
	v_fmac_f32_e32 v131, v117, v124
	v_add_f32_e32 v2, v2, v5
	v_add_f32_e32 v1, v1, v6
	v_mul_f32_e32 v5, v117, v166
	v_fma_f32 v6, v114, v172, -v7
	v_fmac_f32_e32 v135, v119, v123
	v_add_f32_e32 v2, v2, v4
	v_add_f32_e32 v1, v1, v130
	v_mul_f32_e32 v4, v119, v167
	v_fma_f32 v5, v116, v124, -v5
	s_waitcnt vmcnt(1)
	v_fmac_f32_e32 v3, v121, v128
	v_add_f32_e32 v2, v2, v6
	v_add_f32_e32 v1, v1, v134
	v_mul_f32_e32 v6, v121, v168
	v_fma_f32 v4, v118, v123, -v4
	v_add_f32_e32 v2, v2, v5
	v_add_f32_e32 v1, v1, v131
	v_fma_f32 v5, v120, v128, -v6
	v_add_f32_e32 v2, v2, v4
	v_add_f32_e32 v1, v1, v135
	;; [unrolled: 1-line block ×4, first 2 shown]
	s_waitcnt vmcnt(0)
	v_sub_f32_e32 v2, v125, v2
	v_sub_f32_e32 v1, v150, v1
	buffer_store_dword v2, off, s[0:3], 0 offset:40
	buffer_store_dword v1, off, s[0:3], 0 offset:44
	v_cmpx_lt_u32_e32 4, v0
	s_cbranch_execz .LBB45_281
; %bb.280:
	s_clause 0x1
	buffer_load_dword v1, off, s[0:3], 0 offset:32
	buffer_load_dword v2, off, s[0:3], 0 offset:36
	v_mov_b32_e32 v3, 0
	buffer_store_dword v3, off, s[0:3], 0 offset:32
	buffer_store_dword v3, off, s[0:3], 0 offset:36
	s_waitcnt vmcnt(0)
	ds_write_b64 v101, v[1:2]
.LBB45_281:
	s_or_b32 exec_lo, exec_lo, s4
	s_waitcnt lgkmcnt(0)
	s_waitcnt_vscnt null, 0x0
	s_barrier
	buffer_gl0_inv
	s_clause 0x24
	buffer_load_dword v2, off, s[0:3], 0 offset:44
	buffer_load_dword v3, off, s[0:3], 0 offset:52
	;; [unrolled: 1-line block ×37, first 2 shown]
	v_mov_b32_e32 v1, 0
	ds_read2_b64 v[110:113], v1 offset0:51 offset1:52
	ds_read2_b64 v[114:117], v1 offset0:53 offset1:54
	;; [unrolled: 1-line block ×3, first 2 shown]
	s_clause 0x1
	buffer_load_dword v148, off, s[0:3], 0 offset:188
	buffer_load_dword v149, off, s[0:3], 0 offset:36
	ds_read2_b64 v[122:125], v1 offset0:57 offset1:58
	s_mov_b32 s4, exec_lo
	s_waitcnt vmcnt(38) lgkmcnt(3)
	v_mul_f32_e32 v150, v111, v2
	v_mul_f32_e32 v2, v110, v2
	s_waitcnt vmcnt(37)
	v_mul_f32_e32 v151, v112, v3
	v_mul_f32_e32 v3, v113, v3
	s_waitcnt vmcnt(34)
	v_fma_f32 v150, v110, v128, -v150
	v_fmac_f32_e32 v2, v111, v128
	v_fmac_f32_e32 v151, v113, v127
	v_fma_f32 v3, v112, v127, -v3
	ds_read2_b64 v[110:113], v1 offset0:59 offset1:60
	s_waitcnt vmcnt(33) lgkmcnt(3)
	v_mul_f32_e32 v127, v114, v129
	v_mul_f32_e32 v128, v115, v129
	s_waitcnt vmcnt(32)
	v_mul_f32_e32 v129, v116, v130
	v_mul_f32_e32 v130, v117, v130
	s_waitcnt vmcnt(31) lgkmcnt(2)
	v_mul_f32_e32 v152, v118, v131
	v_fmac_f32_e32 v127, v115, v126
	v_fma_f32 v126, v114, v126, -v128
	s_waitcnt vmcnt(26)
	v_fmac_f32_e32 v129, v117, v136
	v_fma_f32 v130, v116, v136, -v130
	ds_read2_b64 v[114:117], v1 offset0:61 offset1:62
	v_mul_f32_e32 v131, v119, v131
	v_mul_f32_e32 v128, v120, v132
	;; [unrolled: 1-line block ×3, first 2 shown]
	v_fmac_f32_e32 v152, v119, v135
	s_waitcnt vmcnt(24) lgkmcnt(2)
	v_mul_f32_e32 v136, v124, v138
	v_fma_f32 v131, v118, v135, -v131
	v_fmac_f32_e32 v128, v121, v134
	v_fma_f32 v132, v120, v134, -v132
	v_mul_f32_e32 v134, v122, v137
	v_mul_f32_e32 v135, v123, v137
	;; [unrolled: 1-line block ×3, first 2 shown]
	ds_read2_b64 v[118:121], v1 offset0:63 offset1:64
	s_waitcnt vmcnt(19)
	v_fmac_f32_e32 v136, v125, v141
	v_fmac_f32_e32 v134, v123, v133
	v_fma_f32 v122, v122, v133, -v135
	v_fma_f32 v123, v124, v141, -v137
	s_clause 0x4
	buffer_load_dword v124, off, s[0:3], 0 offset:196
	buffer_load_dword v125, off, s[0:3], 0 offset:216
	;; [unrolled: 1-line block ×5, first 2 shown]
	s_waitcnt lgkmcnt(2)
	v_mul_f32_e32 v138, v110, v139
	v_mul_f32_e32 v139, v111, v139
	s_waitcnt vmcnt(23)
	v_mul_f32_e32 v141, v112, v142
	v_mul_f32_e32 v142, v113, v142
	s_waitcnt vmcnt(21) lgkmcnt(1)
	v_mul_f32_e32 v153, v116, v144
	v_fmac_f32_e32 v138, v111, v140
	v_fma_f32 v139, v110, v140, -v139
	v_mul_f32_e32 v140, v114, v143
	v_mul_f32_e32 v110, v115, v143
	buffer_load_dword v143, off, s[0:3], 0 offset:204
	v_fmac_f32_e32 v141, v113, v107
	v_fma_f32 v142, v112, v107, -v142
	v_mul_f32_e32 v107, v117, v144
	v_fmac_f32_e32 v140, v115, v8
	v_fma_f32 v8, v114, v8, -v110
	ds_read2_b64 v[110:113], v1 offset0:65 offset1:66
	s_waitcnt vmcnt(18)
	v_fmac_f32_e32 v153, v117, v145
	v_fma_f32 v144, v116, v145, -v107
	ds_read2_b64 v[114:117], v1 offset0:67 offset1:68
	s_waitcnt vmcnt(17) lgkmcnt(2)
	v_mul_f32_e32 v145, v118, v146
	v_mul_f32_e32 v107, v119, v146
	s_waitcnt vmcnt(16)
	v_mul_f32_e32 v146, v120, v147
	v_mul_f32_e32 v147, v121, v147
	v_add_f32_e32 v2, 0, v2
	v_fmac_f32_e32 v145, v119, v108
	v_fma_f32 v118, v118, v108, -v107
	v_fmac_f32_e32 v146, v121, v102
	v_fma_f32 v119, v120, v102, -v147
	s_clause 0x2
	buffer_load_dword v120, off, s[0:3], 0 offset:212
	buffer_load_dword v121, off, s[0:3], 0 offset:220
	;; [unrolled: 1-line block ×3, first 2 shown]
	s_waitcnt vmcnt(18) lgkmcnt(1)
	v_mul_f32_e32 v147, v110, v104
	v_mul_f32_e32 v102, v111, v104
	s_waitcnt vmcnt(17)
	v_mul_f32_e32 v154, v112, v103
	v_mul_f32_e32 v103, v113, v103
	v_fmac_f32_e32 v147, v111, v5
	v_fma_f32 v111, v110, v5, -v102
	s_waitcnt vmcnt(13)
	v_fmac_f32_e32 v154, v113, v109
	s_waitcnt vmcnt(12) lgkmcnt(0)
	v_mul_f32_e32 v113, v114, v106
	v_mul_f32_e32 v5, v115, v106
	s_waitcnt vmcnt(11)
	v_mul_f32_e32 v106, v116, v105
	v_mul_f32_e32 v102, v117, v105
	v_fma_f32 v112, v112, v109, -v103
	ds_read2_b64 v[107:110], v1 offset0:69 offset1:70
	v_fmac_f32_e32 v113, v115, v7
	v_fma_f32 v7, v114, v7, -v5
	v_fmac_f32_e32 v106, v117, v6
	v_fma_f32 v6, v116, v6, -v102
	s_clause 0x4
	buffer_load_dword v114, off, s[0:3], 0 offset:248
	buffer_load_dword v115, off, s[0:3], 0 offset:240
	;; [unrolled: 1-line block ×5, first 2 shown]
	v_add_f32_e32 v5, 0, v150
	v_add_f32_e32 v3, v5, v3
	;; [unrolled: 1-line block ×3, first 2 shown]
	s_waitcnt vmcnt(15) lgkmcnt(0)
	v_mul_f32_e32 v150, v107, v148
	v_mul_f32_e32 v102, v108, v148
	v_add_f32_e32 v103, v103, v130
	v_fmac_f32_e32 v150, v108, v4
	buffer_load_dword v108, off, s[0:3], 0 offset:244
	v_fma_f32 v107, v107, v4, -v102
	v_add_f32_e32 v102, v2, v151
	ds_read2_b64 v[2:5], v1 offset0:71 offset1:72
	v_add_f32_e32 v103, v103, v131
	v_add_f32_e32 v102, v102, v127
	buffer_load_dword v127, off, s[0:3], 0 offset:260
	v_add_f32_e32 v102, v102, v129
	v_add_f32_e32 v129, v103, v132
	;; [unrolled: 1-line block ×3, first 2 shown]
	s_waitcnt vmcnt(15)
	v_mul_f32_e32 v126, v109, v124
	v_mul_f32_e32 v104, v110, v124
	buffer_load_dword v124, off, s[0:3], 0 offset:252
	s_waitcnt vmcnt(12)
	v_fmac_f32_e32 v126, v110, v137
	v_add_f32_e32 v110, v102, v152
	v_fma_f32 v109, v109, v137, -v104
	ds_read2_b64 v[102:105], v1 offset0:73 offset1:74
	v_add_f32_e32 v110, v110, v128
	s_clause 0x3
	buffer_load_dword v128, off, s[0:3], 0 offset:280
	buffer_load_dword v129, off, s[0:3], 0 offset:272
	;; [unrolled: 1-line block ×4, first 2 shown]
	s_waitcnt vmcnt(15) lgkmcnt(1)
	v_mul_f32_e32 v130, v2, v143
	v_mul_f32_e32 v131, v3, v143
	v_fmac_f32_e32 v130, v3, v135
	v_fma_f32 v131, v2, v135, -v131
	v_add_f32_e32 v2, v110, v134
	s_clause 0x1
	buffer_load_dword v134, off, s[0:3], 0 offset:268
	buffer_load_dword v135, off, s[0:3], 0 offset:276
	v_add_f32_e32 v3, v122, v123
	buffer_load_dword v122, off, s[0:3], 0 offset:284
	v_add_f32_e32 v2, v2, v136
	v_add_f32_e32 v3, v3, v139
	;; [unrolled: 1-line block ×3, first 2 shown]
	s_waitcnt vmcnt(17)
	v_mul_f32_e32 v110, v4, v120
	v_add_f32_e32 v142, v3, v142
	v_mul_f32_e32 v120, v5, v120
	v_add_f32_e32 v123, v123, v141
	s_waitcnt vmcnt(16) lgkmcnt(0)
	v_mul_f32_e32 v141, v102, v121
	v_add_f32_e32 v8, v142, v8
	v_mul_f32_e32 v121, v103, v121
	v_fmac_f32_e32 v110, v5, v133
	v_add_f32_e32 v123, v123, v140
	v_fma_f32 v120, v4, v133, -v120
	s_clause 0x3
	buffer_load_dword v133, off, s[0:3], 0 offset:292
	buffer_load_dword v136, off, s[0:3], 0 offset:300
	;; [unrolled: 1-line block ×4, first 2 shown]
	ds_read2_b64 v[2:5], v1 offset0:75 offset1:76
	v_add_f32_e32 v8, v8, v144
	s_waitcnt vmcnt(19)
	v_mul_f32_e32 v142, v104, v155
	v_mul_f32_e32 v140, v105, v155
	v_fma_f32 v121, v102, v125, -v121
	v_add_f32_e32 v102, v123, v153
	v_add_f32_e32 v8, v8, v118
	v_fmac_f32_e32 v141, v103, v125
	s_clause 0x3
	buffer_load_dword v123, off, s[0:3], 0 offset:324
	buffer_load_dword v125, off, s[0:3], 0 offset:332
	;; [unrolled: 1-line block ×4, first 2 shown]
	v_add_f32_e32 v102, v102, v145
	v_add_f32_e32 v8, v8, v119
	s_waitcnt vmcnt(19)
	v_fmac_f32_e32 v142, v105, v117
	v_fma_f32 v117, v104, v117, -v140
	s_clause 0x5
	buffer_load_dword v140, off, s[0:3], 0 offset:356
	buffer_load_dword v118, off, s[0:3], 0 offset:312
	;; [unrolled: 1-line block ×6, first 2 shown]
	v_add_f32_e32 v119, v102, v146
	v_add_f32_e32 v8, v8, v111
	ds_read2_b64 v[102:105], v1 offset0:77 offset1:78
	s_waitcnt vmcnt(24) lgkmcnt(1)
	v_mul_f32_e32 v146, v3, v156
	v_add_f32_e32 v111, v119, v147
	v_mul_f32_e32 v119, v2, v156
	v_add_f32_e32 v8, v8, v112
	v_fmac_f32_e32 v119, v3, v116
	v_fma_f32 v116, v2, v116, -v146
	v_add_f32_e32 v3, v8, v7
	s_clause 0x3
	buffer_load_dword v8, off, s[0:3], 0 offset:344
	buffer_load_dword v146, off, s[0:3], 0 offset:336
	;; [unrolled: 1-line block ×4, first 2 shown]
	v_add_f32_e32 v2, v111, v154
	s_clause 0x2
	buffer_load_dword v154, off, s[0:3], 0 offset:360
	buffer_load_dword v155, off, s[0:3], 0 offset:352
	;; [unrolled: 1-line block ×3, first 2 shown]
	v_add_f32_e32 v3, v3, v6
	s_waitcnt vmcnt(30)
	v_mul_f32_e32 v157, v4, v108
	v_add_f32_e32 v2, v2, v113
	v_add_f32_e32 v6, v3, v107
	v_mul_f32_e32 v3, v5, v108
	v_add_f32_e32 v2, v2, v106
	v_fmac_f32_e32 v157, v5, v115
	s_waitcnt vmcnt(29) lgkmcnt(0)
	v_mul_f32_e32 v112, v105, v127
	v_add_f32_e32 v6, v6, v109
	ds_read2_b64 v[106:109], v1 offset0:81 offset1:82
	v_add_f32_e32 v7, v2, v150
	v_fma_f32 v150, v4, v115, -v3
	ds_read2_b64 v[2:5], v1 offset0:79 offset1:80
	v_add_f32_e32 v6, v6, v131
	v_add_f32_e32 v7, v7, v126
	;; [unrolled: 1-line block ×9, first 2 shown]
	s_waitcnt vmcnt(28)
	v_mul_f32_e32 v126, v102, v124
	v_mul_f32_e32 v111, v103, v124
	;; [unrolled: 1-line block ×3, first 2 shown]
	v_fmac_f32_e32 v126, v103, v114
	v_fma_f32 v127, v102, v114, -v111
	s_waitcnt vmcnt(24)
	v_fma_f32 v120, v104, v137, -v112
	v_fmac_f32_e32 v124, v105, v137
	ds_read2_b64 v[102:105], v1 offset0:83 offset1:84
	ds_read2_b64 v[110:113], v1 offset0:85 offset1:86
	s_waitcnt vmcnt(23) lgkmcnt(2)
	v_mul_f32_e32 v121, v2, v134
	v_mul_f32_e32 v114, v3, v134
	s_waitcnt vmcnt(22)
	v_mul_f32_e32 v130, v4, v135
	v_mul_f32_e32 v131, v5, v135
	s_waitcnt vmcnt(21)
	v_mul_f32_e32 v134, v106, v122
	v_fmac_f32_e32 v121, v3, v132
	v_fma_f32 v132, v2, v132, -v114
	v_add_f32_e32 v2, v7, v142
	v_fmac_f32_e32 v130, v5, v129
	v_fma_f32 v129, v4, v129, -v131
	v_add_f32_e32 v131, v6, v150
	v_mul_f32_e32 v122, v107, v122
	v_add_f32_e32 v119, v2, v119
	v_fmac_f32_e32 v134, v107, v128
	ds_read2_b64 v[114:117], v1 offset0:87 offset1:88
	ds_read2_b64 v[2:5], v1 offset0:89 offset1:90
	v_add_f32_e32 v127, v131, v127
	v_add_f32_e32 v119, v119, v157
	v_fma_f32 v106, v106, v128, -v122
	s_waitcnt vmcnt(20)
	v_mul_f32_e32 v131, v109, v133
	v_mul_f32_e32 v135, v108, v133
	v_add_f32_e32 v120, v127, v120
	v_add_f32_e32 v119, v119, v126
	s_waitcnt vmcnt(19) lgkmcnt(3)
	v_mul_f32_e32 v126, v102, v136
	v_mul_f32_e32 v128, v103, v136
	s_waitcnt vmcnt(18)
	v_mul_f32_e32 v127, v104, v138
	v_add_f32_e32 v120, v120, v132
	v_add_f32_e32 v119, v119, v124
	s_waitcnt vmcnt(17) lgkmcnt(2)
	v_mul_f32_e32 v133, v110, v139
	s_waitcnt vmcnt(16)
	v_mul_f32_e32 v124, v112, v123
	ds_read_b64 v[6:7], v1 offset:728
	v_add_f32_e32 v120, v120, v129
	v_add_f32_e32 v119, v119, v121
	s_waitcnt vmcnt(15) lgkmcnt(2)
	v_mul_f32_e32 v132, v114, v125
	s_waitcnt vmcnt(11)
	v_fmac_f32_e32 v133, v111, v118
	v_add_f32_e32 v106, v120, v106
	v_add_f32_e32 v119, v119, v130
	s_waitcnt vmcnt(8)
	v_fma_f32 v108, v108, v151, -v131
	v_fmac_f32_e32 v135, v109, v151
	v_fmac_f32_e32 v126, v103, v148
	v_fma_f32 v102, v102, v148, -v128
	v_add_f32_e32 v109, v119, v134
	v_mul_f32_e32 v119, v105, v138
	v_add_f32_e32 v103, v106, v108
	v_mul_f32_e32 v108, v111, v139
	v_fmac_f32_e32 v127, v105, v145
	v_add_f32_e32 v106, v109, v135
	v_fma_f32 v104, v104, v145, -v119
	v_add_f32_e32 v102, v103, v102
	v_mul_f32_e32 v105, v113, v123
	v_mul_f32_e32 v107, v116, v143
	v_add_f32_e32 v103, v106, v126
	v_fma_f32 v106, v110, v118, -v108
	v_add_f32_e32 v102, v102, v104
	v_mul_f32_e32 v104, v115, v125
	s_waitcnt vmcnt(3)
	v_fma_f32 v105, v112, v153, -v105
	v_add_f32_e32 v103, v103, v127
	v_fmac_f32_e32 v124, v113, v153
	v_add_f32_e32 v102, v102, v106
	v_mul_f32_e32 v106, v117, v143
	v_fma_f32 v104, v114, v147, -v104
	v_add_f32_e32 v103, v103, v133
	v_fmac_f32_e32 v132, v115, v147
	v_add_f32_e32 v102, v102, v105
	s_waitcnt lgkmcnt(1)
	v_mul_f32_e32 v121, v2, v144
	v_mul_f32_e32 v105, v3, v144
	v_add_f32_e32 v103, v103, v124
	v_fma_f32 v106, v116, v146, -v106
	v_add_f32_e32 v102, v102, v104
	v_fmac_f32_e32 v107, v117, v146
	v_mul_f32_e32 v104, v5, v140
	v_add_f32_e32 v103, v103, v132
	v_fmac_f32_e32 v121, v3, v8
	v_fma_f32 v2, v2, v8, -v105
	v_add_f32_e32 v3, v102, v106
	v_mul_f32_e32 v122, v4, v140
	v_add_f32_e32 v8, v103, v107
	s_waitcnt lgkmcnt(0)
	v_mul_f32_e32 v102, v7, v152
	s_waitcnt vmcnt(1)
	v_fma_f32 v4, v4, v155, -v104
	v_add_f32_e32 v2, v3, v2
	v_mul_f32_e32 v129, v6, v152
	v_fmac_f32_e32 v122, v5, v155
	v_add_f32_e32 v3, v8, v121
	v_fma_f32 v5, v6, v154, -v102
	v_add_f32_e32 v2, v2, v4
	v_fmac_f32_e32 v129, v7, v154
	v_add_f32_e32 v3, v3, v122
	v_add_f32_e32 v2, v2, v5
	;; [unrolled: 1-line block ×3, first 2 shown]
	s_waitcnt vmcnt(0)
	v_sub_f32_e32 v2, v156, v2
	v_sub_f32_e32 v3, v149, v3
	buffer_store_dword v2, off, s[0:3], 0 offset:32
	buffer_store_dword v3, off, s[0:3], 0 offset:36
	v_cmpx_lt_u32_e32 3, v0
	s_cbranch_execz .LBB45_283
; %bb.282:
	s_clause 0x1
	buffer_load_dword v2, off, s[0:3], 0 offset:24
	buffer_load_dword v3, off, s[0:3], 0 offset:28
	buffer_store_dword v1, off, s[0:3], 0 offset:24
	buffer_store_dword v1, off, s[0:3], 0 offset:28
	s_waitcnt vmcnt(0)
	ds_write_b64 v101, v[2:3]
.LBB45_283:
	s_or_b32 exec_lo, exec_lo, s4
	s_waitcnt lgkmcnt(0)
	s_waitcnt_vscnt null, 0x0
	s_barrier
	buffer_gl0_inv
	s_clause 0x24
	buffer_load_dword v130, off, s[0:3], 0 offset:36
	buffer_load_dword v2, off, s[0:3], 0 offset:44
	;; [unrolled: 1-line block ×37, first 2 shown]
	ds_read_b128 v[114:117], v1 offset:400
	ds_read_b128 v[118:121], v1 offset:416
	;; [unrolled: 1-line block ×3, first 2 shown]
	s_clause 0x1
	buffer_load_dword v148, off, s[0:3], 0 offset:180
	buffer_load_dword v149, off, s[0:3], 0 offset:188
	ds_read_b128 v[126:129], v1 offset:448
	buffer_load_dword v151, off, s[0:3], 0 offset:28
	s_mov_b32 s4, exec_lo
	s_waitcnt vmcnt(39) lgkmcnt(3)
	v_mul_f32_e32 v150, v115, v130
	v_mul_f32_e32 v130, v114, v130
	s_waitcnt vmcnt(38)
	v_mul_f32_e32 v152, v116, v2
	v_mul_f32_e32 v2, v117, v2
	s_waitcnt vmcnt(35)
	v_fma_f32 v150, v114, v133, -v150
	v_fmac_f32_e32 v130, v115, v133
	v_fmac_f32_e32 v152, v117, v132
	v_fma_f32 v2, v116, v132, -v2
	s_waitcnt vmcnt(33) lgkmcnt(2)
	v_mul_f32_e32 v132, v120, v135
	v_mul_f32_e32 v115, v121, v135
	;; [unrolled: 1-line block ×4, first 2 shown]
	s_waitcnt vmcnt(32) lgkmcnt(1)
	v_mul_f32_e32 v134, v122, v136
	v_mul_f32_e32 v135, v123, v136
	s_waitcnt vmcnt(28)
	v_fmac_f32_e32 v132, v121, v139
	v_fma_f32 v136, v120, v139, -v115
	s_waitcnt vmcnt(27)
	v_mul_f32_e32 v139, v124, v140
	v_mul_f32_e32 v140, v125, v140
	v_fmac_f32_e32 v133, v119, v131
	v_fma_f32 v131, v118, v131, -v114
	ds_read_b128 v[114:117], v1 offset:464
	ds_read_b128 v[118:121], v1 offset:480
	v_fmac_f32_e32 v134, v123, v138
	v_fma_f32 v135, v122, v138, -v135
	s_waitcnt vmcnt(26) lgkmcnt(2)
	v_mul_f32_e32 v138, v126, v141
	v_mul_f32_e32 v122, v127, v141
	v_fmac_f32_e32 v139, v125, v137
	v_fma_f32 v137, v124, v137, -v140
	s_waitcnt vmcnt(25)
	v_mul_f32_e32 v140, v128, v142
	v_mul_f32_e32 v123, v129, v142
	s_clause 0x3
	buffer_load_dword v141, off, s[0:3], 0 offset:208
	buffer_load_dword v142, off, s[0:3], 0 offset:200
	;; [unrolled: 1-line block ×4, first 2 shown]
	v_fmac_f32_e32 v138, v127, v104
	v_fma_f32 v126, v126, v104, -v122
	s_waitcnt vmcnt(25)
	v_fmac_f32_e32 v140, v129, v143
	v_fma_f32 v127, v128, v143, -v123
	ds_read_b128 v[122:125], v1 offset:496
	s_clause 0x1
	buffer_load_dword v155, off, s[0:3], 0 offset:196
	buffer_load_dword v156, off, s[0:3], 0 offset:204
	s_waitcnt vmcnt(26) lgkmcnt(2)
	v_mul_f32_e32 v128, v114, v144
	v_mul_f32_e32 v104, v115, v144
	s_waitcnt vmcnt(25)
	v_mul_f32_e32 v129, v116, v145
	v_mul_f32_e32 v143, v117, v145
	s_waitcnt vmcnt(24) lgkmcnt(1)
	v_mul_f32_e32 v145, v118, v146
	v_fmac_f32_e32 v128, v115, v111
	v_fma_f32 v144, v114, v111, -v104
	v_fmac_f32_e32 v129, v117, v105
	v_fma_f32 v143, v116, v105, -v143
	ds_read_b128 v[114:117], v1 offset:512
	v_mul_f32_e32 v104, v119, v146
	s_waitcnt vmcnt(23)
	v_mul_f32_e32 v105, v121, v110
	v_mul_f32_e32 v146, v120, v110
	v_fmac_f32_e32 v145, v119, v6
	v_fma_f32 v6, v118, v6, -v104
	s_waitcnt vmcnt(19)
	v_fma_f32 v118, v120, v147, -v105
	s_waitcnt vmcnt(18) lgkmcnt(1)
	v_mul_f32_e32 v119, v122, v113
	v_mul_f32_e32 v104, v123, v113
	s_waitcnt vmcnt(17)
	v_mul_f32_e32 v120, v124, v112
	v_mul_f32_e32 v105, v125, v112
	ds_read_b128 v[110:113], v1 offset:528
	v_fmac_f32_e32 v146, v121, v147
	v_fmac_f32_e32 v119, v123, v106
	buffer_load_dword v121, off, s[0:3], 0 offset:212
	v_fma_f32 v106, v122, v106, -v104
	v_fmac_f32_e32 v120, v125, v8
	v_fma_f32 v8, v124, v8, -v105
	s_waitcnt vmcnt(16) lgkmcnt(1)
	v_mul_f32_e32 v123, v116, v102
	v_mul_f32_e32 v102, v117, v102
	;; [unrolled: 1-line block ×4, first 2 shown]
	s_waitcnt vmcnt(12)
	v_fmac_f32_e32 v123, v117, v109
	v_fma_f32 v109, v116, v109, -v102
	buffer_load_dword v116, off, s[0:3], 0 offset:220
	v_fmac_f32_e32 v122, v115, v4
	v_fma_f32 v114, v114, v4, -v103
	ds_read_b128 v[102:105], v1 offset:544
	s_waitcnt vmcnt(12) lgkmcnt(1)
	v_mul_f32_e32 v115, v110, v108
	v_mul_f32_e32 v4, v111, v108
	s_waitcnt vmcnt(11)
	v_mul_f32_e32 v108, v112, v107
	v_mul_f32_e32 v107, v113, v107
	v_fmac_f32_e32 v115, v111, v7
	v_fma_f32 v7, v110, v7, -v4
	v_fmac_f32_e32 v108, v113, v5
	v_fma_f32 v107, v112, v5, -v107
	s_clause 0x4
	buffer_load_dword v110, off, s[0:3], 0 offset:240
	buffer_load_dword v111, off, s[0:3], 0 offset:232
	;; [unrolled: 1-line block ×5, first 2 shown]
	v_add_f32_e32 v4, 0, v150
	v_add_f32_e32 v5, 0, v130
	s_clause 0x1
	buffer_load_dword v124, off, s[0:3], 0 offset:236
	buffer_load_dword v125, off, s[0:3], 0 offset:244
	v_add_f32_e32 v2, v4, v2
	v_add_f32_e32 v4, v5, v152
	s_waitcnt vmcnt(17) lgkmcnt(0)
	v_mul_f32_e32 v130, v102, v148
	v_mul_f32_e32 v5, v103, v148
	v_add_f32_e32 v2, v2, v131
	v_add_f32_e32 v4, v4, v133
	s_waitcnt vmcnt(16)
	v_mul_f32_e32 v133, v105, v149
	v_fmac_f32_e32 v130, v103, v3
	v_fma_f32 v147, v102, v3, -v5
	v_add_f32_e32 v102, v2, v136
	v_add_f32_e32 v103, v4, v132
	ds_read_b128 v[2:5], v1 offset:560
	v_mul_f32_e32 v131, v104, v149
	v_add_f32_e32 v102, v102, v135
	v_add_f32_e32 v103, v103, v134
	;; [unrolled: 1-line block ×10, first 2 shown]
	s_waitcnt vmcnt(11)
	v_fma_f32 v132, v104, v154, -v133
	s_clause 0x7
	buffer_load_dword v133, off, s[0:3], 0 offset:252
	buffer_load_dword v134, off, s[0:3], 0 offset:272
	;; [unrolled: 1-line block ×8, first 2 shown]
	v_fmac_f32_e32 v131, v105, v154
	ds_read_b128 v[102:105], v1 offset:576
	s_waitcnt vmcnt(18) lgkmcnt(1)
	v_mul_f32_e32 v140, v2, v155
	v_mul_f32_e32 v149, v3, v155
	s_waitcnt vmcnt(17)
	v_mul_f32_e32 v139, v4, v156
	v_mul_f32_e32 v144, v5, v156
	v_fmac_f32_e32 v140, v3, v153
	v_add_f32_e32 v3, v127, v143
	v_add_f32_e32 v127, v128, v129
	v_fma_f32 v128, v2, v153, -v149
	v_fmac_f32_e32 v139, v5, v142
	v_fma_f32 v129, v4, v142, -v144
	v_add_f32_e32 v2, v3, v6
	v_add_f32_e32 v3, v127, v145
	s_clause 0x7
	buffer_load_dword v6, off, s[0:3], 0 offset:284
	buffer_load_dword v127, off, s[0:3], 0 offset:292
	buffer_load_dword v142, off, s[0:3], 0 offset:300
	buffer_load_dword v143, off, s[0:3], 0 offset:308
	buffer_load_dword v144, off, s[0:3], 0 offset:304
	buffer_load_dword v145, off, s[0:3], 0 offset:296
	buffer_load_dword v149, off, s[0:3], 0 offset:288
	buffer_load_dword v150, off, s[0:3], 0 offset:280
	v_add_f32_e32 v2, v2, v118
	v_add_f32_e32 v3, v3, v146
	s_clause 0x3
	buffer_load_dword v146, off, s[0:3], 0 offset:316
	buffer_load_dword v153, off, s[0:3], 0 offset:324
	;; [unrolled: 1-line block ×4, first 2 shown]
	v_add_f32_e32 v2, v2, v106
	v_add_f32_e32 v8, v2, v8
	s_waitcnt vmcnt(28) lgkmcnt(0)
	v_mul_f32_e32 v4, v103, v121
	v_mul_f32_e32 v152, v102, v121
	v_add_f32_e32 v8, v8, v114
	v_fma_f32 v118, v102, v141, -v4
	v_add_f32_e32 v102, v3, v119
	v_fmac_f32_e32 v152, v103, v141
	s_clause 0x2
	buffer_load_dword v141, off, s[0:3], 0 offset:348
	buffer_load_dword v156, off, s[0:3], 0 offset:356
	buffer_load_dword v157, off, s[0:3], 0 offset:364
	v_add_f32_e32 v8, v8, v109
	v_add_f32_e32 v102, v102, v120
	s_waitcnt vmcnt(30)
	v_mul_f32_e32 v3, v105, v116
	v_mul_f32_e32 v119, v104, v116
	v_add_f32_e32 v7, v8, v7
	v_add_f32_e32 v102, v102, v122
	;; [unrolled: 1-line block ×4, first 2 shown]
	s_waitcnt vmcnt(26)
	v_fma_f32 v116, v104, v113, -v3
	ds_read_b128 v[2:5], v1 offset:592
	s_clause 0x3
	buffer_load_dword v122, off, s[0:3], 0 offset:336
	buffer_load_dword v158, off, s[0:3], 0 offset:328
	;; [unrolled: 1-line block ×4, first 2 shown]
	v_add_f32_e32 v8, v102, v115
	v_fmac_f32_e32 v119, v105, v113
	ds_read_b128 v[102:105], v1 offset:608
	s_waitcnt vmcnt(29) lgkmcnt(1)
	v_mul_f32_e32 v114, v2, v117
	v_mul_f32_e32 v106, v3, v117
	s_waitcnt vmcnt(28)
	v_mul_f32_e32 v120, v4, v124
	s_waitcnt vmcnt(27) lgkmcnt(0)
	v_mul_f32_e32 v113, v103, v125
	v_fmac_f32_e32 v114, v3, v112
	v_fma_f32 v115, v2, v112, -v106
	v_add_f32_e32 v2, v8, v108
	v_add_f32_e32 v3, v7, v147
	s_clause 0x2
	buffer_load_dword v7, off, s[0:3], 0 offset:360
	buffer_load_dword v8, off, s[0:3], 0 offset:352
	;; [unrolled: 1-line block ×3, first 2 shown]
	v_mul_f32_e32 v106, v5, v124
	v_fmac_f32_e32 v120, v5, v111
	v_add_f32_e32 v2, v2, v130
	buffer_load_dword v130, off, s[0:3], 0 offset:24
	v_add_f32_e32 v3, v3, v132
	v_fma_f32 v117, v4, v111, -v106
	v_mul_f32_e32 v124, v102, v125
	v_add_f32_e32 v107, v2, v131
	v_add_f32_e32 v111, v3, v128
	ds_read_b128 v[2:5], v1 offset:624
	v_fma_f32 v128, v102, v110, -v113
	v_add_f32_e32 v112, v107, v140
	ds_read_b128 v[106:109], v1 offset:640
	v_add_f32_e32 v111, v111, v129
	v_fmac_f32_e32 v124, v103, v110
	v_add_f32_e32 v112, v112, v139
	v_add_f32_e32 v118, v111, v118
	;; [unrolled: 1-line block ×4, first 2 shown]
	s_waitcnt vmcnt(30)
	v_mul_f32_e32 v121, v105, v133
	v_mul_f32_e32 v125, v104, v133
	s_waitcnt vmcnt(25) lgkmcnt(1)
	v_mul_f32_e32 v131, v2, v126
	v_mul_f32_e32 v118, v3, v126
	v_fma_f32 v129, v104, v148, -v121
	v_add_f32_e32 v121, v112, v152
	s_waitcnt vmcnt(23) lgkmcnt(0)
	v_mul_f32_e32 v132, v106, v138
	v_fmac_f32_e32 v131, v3, v136
	v_fma_f32 v136, v2, v136, -v118
	v_mul_f32_e32 v126, v4, v137
	v_add_f32_e32 v119, v121, v119
	v_mul_f32_e32 v121, v5, v137
	v_mul_f32_e32 v133, v107, v138
	v_fmac_f32_e32 v132, v107, v134
	v_fmac_f32_e32 v125, v105, v148
	v_add_f32_e32 v118, v119, v114
	v_add_f32_e32 v119, v115, v117
	ds_read_b128 v[102:105], v1 offset:656
	ds_read_b128 v[110:113], v1 offset:672
	v_fmac_f32_e32 v126, v5, v135
	v_fma_f32 v135, v4, v135, -v121
	v_add_f32_e32 v137, v118, v120
	v_add_f32_e32 v107, v119, v128
	ds_read_b128 v[2:5], v1 offset:688
	ds_read_b128 v[114:117], v1 offset:704
	;; [unrolled: 1-line block ×3, first 2 shown]
	v_fma_f32 v106, v106, v134, -v133
	v_add_f32_e32 v1, v137, v124
	v_add_f32_e32 v107, v107, v129
	s_waitcnt vmcnt(22)
	v_mul_f32_e32 v124, v108, v6
	v_mul_f32_e32 v6, v109, v6
	v_add_f32_e32 v1, v1, v125
	v_add_f32_e32 v107, v107, v136
	s_waitcnt vmcnt(15)
	v_fmac_f32_e32 v124, v109, v150
	v_fma_f32 v6, v108, v150, -v6
	v_add_f32_e32 v1, v1, v131
	v_add_f32_e32 v107, v107, v135
	s_waitcnt lgkmcnt(4)
	v_mul_f32_e32 v128, v102, v127
	v_mul_f32_e32 v127, v103, v127
	;; [unrolled: 1-line block ×3, first 2 shown]
	v_add_f32_e32 v1, v1, v126
	v_add_f32_e32 v106, v107, v106
	v_mul_f32_e32 v126, v105, v142
	v_fma_f32 v102, v102, v149, -v127
	v_fmac_f32_e32 v128, v103, v149
	v_add_f32_e32 v1, v1, v132
	v_add_f32_e32 v6, v106, v6
	s_waitcnt lgkmcnt(3)
	v_mul_f32_e32 v103, v111, v143
	v_fma_f32 v104, v104, v145, -v126
	v_mul_f32_e32 v108, v110, v143
	v_add_f32_e32 v1, v1, v124
	v_add_f32_e32 v6, v6, v102
	v_fmac_f32_e32 v125, v105, v145
	s_waitcnt vmcnt(14)
	v_mul_f32_e32 v102, v113, v146
	v_fma_f32 v103, v110, v144, -v103
	v_add_f32_e32 v1, v1, v128
	v_add_f32_e32 v6, v6, v104
	v_mul_f32_e32 v109, v112, v146
	v_fmac_f32_e32 v108, v111, v144
	s_waitcnt vmcnt(13) lgkmcnt(2)
	v_mul_f32_e32 v129, v2, v153
	v_add_f32_e32 v1, v1, v125
	v_mul_f32_e32 v104, v3, v153
	v_add_f32_e32 v6, v6, v103
	s_waitcnt vmcnt(4)
	v_fma_f32 v102, v112, v160, -v102
	v_fmac_f32_e32 v109, v113, v160
	v_add_f32_e32 v1, v1, v108
	v_mul_f32_e32 v103, v5, v154
	v_fmac_f32_e32 v129, v3, v159
	v_fma_f32 v2, v2, v159, -v104
	v_add_f32_e32 v3, v6, v102
	v_mul_f32_e32 v131, v4, v154
	v_add_f32_e32 v1, v1, v109
	s_waitcnt lgkmcnt(1)
	v_mul_f32_e32 v6, v115, v155
	v_fma_f32 v4, v4, v158, -v103
	v_add_f32_e32 v2, v3, v2
	v_mul_f32_e32 v133, v114, v155
	v_fmac_f32_e32 v131, v5, v158
	v_add_f32_e32 v1, v1, v129
	v_mul_f32_e32 v3, v117, v141
	v_fma_f32 v5, v114, v122, -v6
	v_add_f32_e32 v2, v2, v4
	v_mul_f32_e32 v134, v116, v141
	v_fmac_f32_e32 v133, v115, v122
	v_add_f32_e32 v1, v1, v131
	s_waitcnt lgkmcnt(0)
	v_mul_f32_e32 v4, v119, v156
	v_add_f32_e32 v2, v2, v5
	v_mul_f32_e32 v135, v118, v156
	v_mul_f32_e32 v5, v121, v157
	v_add_f32_e32 v1, v1, v133
	v_mul_f32_e32 v107, v120, v157
	s_waitcnt vmcnt(2)
	v_fma_f32 v4, v118, v8, -v4
	s_waitcnt vmcnt(1)
	v_fma_f32 v3, v116, v123, -v3
	v_fmac_f32_e32 v134, v117, v123
	v_fmac_f32_e32 v135, v119, v8
	;; [unrolled: 1-line block ×3, first 2 shown]
	v_add_f32_e32 v2, v2, v3
	v_add_f32_e32 v1, v1, v134
	v_fma_f32 v3, v120, v7, -v5
	v_add_f32_e32 v2, v2, v4
	v_add_f32_e32 v1, v1, v135
	v_add_f32_e32 v2, v2, v3
	v_add_f32_e32 v1, v1, v107
	s_waitcnt vmcnt(0)
	v_sub_f32_e32 v2, v130, v2
	v_sub_f32_e32 v1, v151, v1
	buffer_store_dword v2, off, s[0:3], 0 offset:24
	buffer_store_dword v1, off, s[0:3], 0 offset:28
	v_cmpx_lt_u32_e32 2, v0
	s_cbranch_execz .LBB45_285
; %bb.284:
	s_clause 0x1
	buffer_load_dword v1, off, s[0:3], 0 offset:16
	buffer_load_dword v2, off, s[0:3], 0 offset:20
	v_mov_b32_e32 v3, 0
	buffer_store_dword v3, off, s[0:3], 0 offset:16
	buffer_store_dword v3, off, s[0:3], 0 offset:20
	s_waitcnt vmcnt(0)
	ds_write_b64 v101, v[1:2]
.LBB45_285:
	s_or_b32 exec_lo, exec_lo, s4
	s_waitcnt lgkmcnt(0)
	s_waitcnt_vscnt null, 0x0
	s_barrier
	buffer_gl0_inv
	s_clause 0x2c
	buffer_load_dword v140, off, s[0:3], 0 offset:28
	buffer_load_dword v141, off, s[0:3], 0 offset:36
	;; [unrolled: 1-line block ×45, first 2 shown]
	v_mov_b32_e32 v1, 0
	ds_read2_b64 v[132:135], v1 offset0:49 offset1:50
	ds_read2_b64 v[136:139], v1 offset0:51 offset1:52
	buffer_load_dword v150, off, s[0:3], 0 offset:20
	s_mov_b32 s4, exec_lo
	s_waitcnt vmcnt(45) lgkmcnt(1)
	v_mul_f32_e32 v148, v133, v140
	v_mul_f32_e32 v140, v132, v140
	s_waitcnt vmcnt(44)
	v_mul_f32_e32 v149, v134, v141
	v_mul_f32_e32 v141, v135, v141
	s_waitcnt vmcnt(41)
	v_fma_f32 v148, v132, v129, -v148
	v_fmac_f32_e32 v140, v133, v129
	v_fmac_f32_e32 v149, v135, v125
	v_fma_f32 v141, v134, v125, -v141
	ds_read2_b64 v[132:135], v1 offset0:53 offset1:54
	s_waitcnt vmcnt(40) lgkmcnt(1)
	v_mul_f32_e32 v151, v136, v124
	v_mul_f32_e32 v124, v137, v124
	s_waitcnt vmcnt(39)
	v_mul_f32_e32 v152, v138, v122
	v_mul_f32_e32 v122, v139, v122
	v_fmac_f32_e32 v151, v137, v111
	v_fma_f32 v111, v136, v111, -v124
	s_waitcnt vmcnt(35)
	v_fmac_f32_e32 v152, v139, v130
	v_fma_f32 v153, v138, v130, -v122
	ds_read2_b64 v[136:139], v1 offset0:55 offset1:56
	s_waitcnt vmcnt(34) lgkmcnt(1)
	v_mul_f32_e32 v154, v132, v128
	v_mul_f32_e32 v122, v133, v128
	s_waitcnt vmcnt(33)
	v_mul_f32_e32 v155, v134, v127
	v_mul_f32_e32 v124, v135, v127
	ds_read2_b64 v[127:130], v1 offset0:57 offset1:58
	v_fmac_f32_e32 v154, v133, v119
	v_fma_f32 v119, v132, v119, -v122
	v_fmac_f32_e32 v155, v135, v114
	v_fma_f32 v156, v134, v114, -v124
	ds_read2_b64 v[132:135], v1 offset0:59 offset1:60
	s_waitcnt vmcnt(32) lgkmcnt(2)
	v_mul_f32_e32 v157, v136, v118
	v_mul_f32_e32 v114, v137, v118
	s_waitcnt vmcnt(31)
	v_mul_f32_e32 v118, v138, v116
	v_mul_f32_e32 v116, v139, v116
	v_fmac_f32_e32 v157, v137, v8
	v_fma_f32 v8, v136, v8, -v114
	s_waitcnt vmcnt(27)
	v_fmac_f32_e32 v118, v139, v126
	v_fma_f32 v136, v138, v126, -v116
	s_waitcnt vmcnt(26) lgkmcnt(1)
	v_mul_f32_e32 v137, v127, v123
	v_mul_f32_e32 v114, v128, v123
	s_waitcnt vmcnt(25)
	v_mul_f32_e32 v138, v129, v121
	v_mul_f32_e32 v116, v130, v121
	ds_read2_b64 v[121:124], v1 offset0:61 offset1:62
	v_fmac_f32_e32 v137, v128, v112
	v_fma_f32 v112, v127, v112, -v114
	ds_read2_b64 v[125:128], v1 offset0:63 offset1:64
	v_fmac_f32_e32 v138, v130, v106
	v_fma_f32 v129, v129, v106, -v116
	s_waitcnt vmcnt(24) lgkmcnt(2)
	v_mul_f32_e32 v130, v132, v110
	v_mul_f32_e32 v106, v133, v110
	s_waitcnt vmcnt(23)
	v_mul_f32_e32 v110, v134, v108
	v_mul_f32_e32 v108, v135, v108
	v_fmac_f32_e32 v130, v133, v4
	v_fma_f32 v132, v132, v4, -v106
	s_waitcnt vmcnt(19)
	v_fmac_f32_e32 v110, v135, v120
	v_fma_f32 v120, v134, v120, -v108
	s_waitcnt vmcnt(18) lgkmcnt(1)
	v_mul_f32_e32 v133, v121, v117
	v_mul_f32_e32 v4, v122, v117
	s_waitcnt vmcnt(17)
	v_mul_f32_e32 v134, v123, v115
	v_mul_f32_e32 v106, v124, v115
	ds_read2_b64 v[114:117], v1 offset0:65 offset1:66
	v_fmac_f32_e32 v133, v122, v105
	v_fma_f32 v121, v121, v105, -v4
	v_fmac_f32_e32 v134, v124, v102
	v_fma_f32 v122, v123, v102, -v106
	s_waitcnt vmcnt(15) lgkmcnt(1)
	v_mul_f32_e32 v124, v127, v103
	v_mul_f32_e32 v102, v128, v103
	v_mul_f32_e32 v123, v125, v104
	v_mul_f32_e32 v4, v126, v104
	s_waitcnt vmcnt(11)
	v_fmac_f32_e32 v124, v128, v113
	v_fma_f32 v113, v127, v113, -v102
	ds_read2_b64 v[102:105], v1 offset0:67 offset1:68
	v_fmac_f32_e32 v123, v126, v3
	v_fma_f32 v125, v125, v3, -v4
	s_waitcnt vmcnt(10) lgkmcnt(1)
	v_mul_f32_e32 v126, v114, v109
	v_mul_f32_e32 v3, v115, v109
	s_waitcnt vmcnt(9)
	v_mul_f32_e32 v127, v116, v107
	v_mul_f32_e32 v4, v117, v107
	ds_read2_b64 v[106:109], v1 offset0:69 offset1:70
	v_fmac_f32_e32 v126, v115, v7
	v_fma_f32 v7, v114, v7, -v3
	v_fmac_f32_e32 v127, v117, v5
	v_fma_f32 v114, v116, v5, -v4
	buffer_load_dword v116, off, s[0:3], 0 offset:204
	s_waitcnt vmcnt(8) lgkmcnt(1)
	v_mul_f32_e32 v4, v105, v131
	v_mul_f32_e32 v115, v102, v6
	;; [unrolled: 1-line block ×4, first 2 shown]
	s_waitcnt vmcnt(4)
	v_fma_f32 v128, v104, v145, -v4
	buffer_load_dword v104, off, s[0:3], 0 offset:212
	v_fmac_f32_e32 v115, v103, v2
	v_fma_f32 v117, v102, v2, -v3
	ds_read2_b64 v[2:5], v1 offset0:71 offset1:72
	v_fmac_f32_e32 v6, v105, v145
	s_waitcnt vmcnt(4) lgkmcnt(1)
	v_mul_f32_e32 v131, v106, v146
	v_mul_f32_e32 v102, v107, v146
	s_waitcnt vmcnt(3)
	v_mul_f32_e32 v135, v108, v147
	v_mul_f32_e32 v103, v109, v147
	v_fmac_f32_e32 v131, v107, v144
	v_fma_f32 v106, v106, v144, -v102
	v_fmac_f32_e32 v135, v109, v143
	v_fma_f32 v107, v108, v143, -v103
	s_clause 0x4
	buffer_load_dword v108, off, s[0:3], 0 offset:232
	buffer_load_dword v109, off, s[0:3], 0 offset:224
	;; [unrolled: 1-line block ×5, first 2 shown]
	s_waitcnt vmcnt(6) lgkmcnt(0)
	v_mul_f32_e32 v144, v2, v116
	v_mul_f32_e32 v103, v3, v116
	v_fmac_f32_e32 v144, v3, v142
	v_fma_f32 v116, v2, v142, -v103
	s_waitcnt vmcnt(5)
	v_mul_f32_e32 v142, v4, v104
	v_mul_f32_e32 v2, v5, v104
	s_waitcnt vmcnt(1)
	v_fmac_f32_e32 v142, v5, v102
	v_fma_f32 v145, v4, v102, -v2
	ds_read2_b64 v[2:5], v1 offset0:73 offset1:74
	ds_read2_b64 v[102:105], v1 offset0:75 offset1:76
	s_waitcnt vmcnt(0) lgkmcnt(1)
	v_mul_f32_e32 v146, v2, v143
	v_mul_f32_e32 v143, v3, v143
	v_fmac_f32_e32 v146, v3, v139
	v_fma_f32 v139, v2, v139, -v143
	buffer_load_dword v2, off, s[0:3], 0 offset:228
	s_waitcnt vmcnt(0)
	v_mul_f32_e32 v143, v4, v2
	v_mul_f32_e32 v2, v5, v2
	v_fmac_f32_e32 v143, v5, v109
	v_fma_f32 v147, v4, v109, -v2
	buffer_load_dword v2, off, s[0:3], 0 offset:236
	s_waitcnt vmcnt(0) lgkmcnt(0)
	v_mul_f32_e32 v158, v102, v2
	v_mul_f32_e32 v2, v103, v2
	v_fmac_f32_e32 v158, v103, v108
	v_fma_f32 v159, v102, v108, -v2
	s_clause 0x4
	buffer_load_dword v2, off, s[0:3], 0 offset:244
	buffer_load_dword v160, off, s[0:3], 0 offset:264
	;; [unrolled: 1-line block ×5, first 2 shown]
	s_waitcnt vmcnt(4)
	v_mul_f32_e32 v161, v104, v2
	v_mul_f32_e32 v2, v105, v2
	s_waitcnt vmcnt(0)
	v_fmac_f32_e32 v161, v105, v3
	v_fma_f32 v162, v104, v3, -v2
	v_add_f32_e32 v2, 0, v148
	v_add_f32_e32 v3, 0, v140
	buffer_load_dword v140, off, s[0:3], 0 offset:260
	v_add_f32_e32 v2, v2, v141
	v_add_f32_e32 v3, v3, v149
	buffer_load_dword v141, off, s[0:3], 0 offset:276
	v_add_f32_e32 v2, v2, v111
	buffer_load_dword v111, off, s[0:3], 0 offset:252
	v_add_f32_e32 v3, v3, v151
	v_add_f32_e32 v2, v2, v153
	;; [unrolled: 1-line block ×4, first 2 shown]
	buffer_load_dword v119, off, s[0:3], 0 offset:268
	v_add_f32_e32 v3, v3, v154
	v_add_f32_e32 v2, v2, v156
	;; [unrolled: 1-line block ×4, first 2 shown]
	s_clause 0x3
	buffer_load_dword v8, off, s[0:3], 0 offset:296
	buffer_load_dword v148, off, s[0:3], 0 offset:288
	;; [unrolled: 1-line block ×4, first 2 shown]
	v_add_f32_e32 v3, v3, v157
	v_add_f32_e32 v2, v2, v136
	s_clause 0x1
	buffer_load_dword v136, off, s[0:3], 0 offset:284
	buffer_load_dword v152, off, s[0:3], 0 offset:292
	v_add_f32_e32 v3, v3, v118
	buffer_load_dword v118, off, s[0:3], 0 offset:300
	v_add_f32_e32 v2, v2, v112
	v_add_f32_e32 v3, v3, v137
	;; [unrolled: 1-line block ×3, first 2 shown]
	s_clause 0x3
	buffer_load_dword v129, off, s[0:3], 0 offset:308
	buffer_load_dword v137, off, s[0:3], 0 offset:316
	;; [unrolled: 1-line block ×4, first 2 shown]
	v_add_f32_e32 v3, v3, v138
	v_add_f32_e32 v2, v2, v132
	s_clause 0x1
	buffer_load_dword v132, off, s[0:3], 0 offset:340
	buffer_load_dword v138, off, s[0:3], 0 offset:348
	v_add_f32_e32 v3, v3, v130
	v_add_f32_e32 v2, v2, v120
	s_clause 0x1
	buffer_load_dword v120, off, s[0:3], 0 offset:356
	buffer_load_dword v130, off, s[0:3], 0 offset:364
	v_add_f32_e32 v3, v3, v110
	v_add_f32_e32 v2, v2, v121
	;; [unrolled: 1-line block ×4, first 2 shown]
	s_clause 0x3
	buffer_load_dword v121, off, s[0:3], 0 offset:328
	buffer_load_dword v122, off, s[0:3], 0 offset:320
	;; [unrolled: 1-line block ×4, first 2 shown]
	v_add_f32_e32 v3, v3, v134
	v_add_f32_e32 v2, v2, v125
	;; [unrolled: 1-line block ×3, first 2 shown]
	s_clause 0x3
	buffer_load_dword v123, off, s[0:3], 0 offset:360
	buffer_load_dword v125, off, s[0:3], 0 offset:352
	;; [unrolled: 1-line block ×4, first 2 shown]
	v_add_f32_e32 v2, v2, v113
	v_add_f32_e32 v3, v3, v124
	buffer_load_dword v124, off, s[0:3], 0 offset:16
	v_add_f32_e32 v2, v2, v7
	v_add_f32_e32 v3, v3, v126
	;; [unrolled: 1-line block ×4, first 2 shown]
	ds_read2_b64 v[2:5], v1 offset0:77 offset1:78
	v_add_f32_e32 v7, v7, v117
	v_add_f32_e32 v102, v102, v115
	v_add_f32_e32 v7, v7, v128
	v_add_f32_e32 v6, v102, v6
	ds_read2_b64 v[102:105], v1 offset0:79 offset1:80
	v_add_f32_e32 v7, v7, v106
	v_add_f32_e32 v6, v6, v131
	v_add_f32_e32 v7, v7, v107
	v_add_f32_e32 v6, v6, v135
	v_add_f32_e32 v6, v6, v144
	v_add_f32_e32 v6, v6, v142
	v_add_f32_e32 v6, v6, v146
	v_add_f32_e32 v6, v6, v143
	s_waitcnt vmcnt(27) lgkmcnt(1)
	v_mul_f32_e32 v127, v4, v140
	v_mul_f32_e32 v107, v5, v140
	v_fmac_f32_e32 v127, v5, v108
	v_fma_f32 v131, v4, v108, -v107
	s_waitcnt vmcnt(25)
	v_mul_f32_e32 v126, v2, v111
	v_mul_f32_e32 v106, v3, v111
	v_fmac_f32_e32 v126, v3, v109
	v_add_f32_e32 v3, v7, v116
	v_fma_f32 v128, v2, v109, -v106
	s_waitcnt vmcnt(24) lgkmcnt(0)
	v_mul_f32_e32 v135, v102, v119
	v_add_f32_e32 v7, v3, v145
	ds_read2_b64 v[2:5], v1 offset0:81 offset1:82
	ds_read2_b64 v[106:109], v1 offset0:83 offset1:84
	v_mul_f32_e32 v114, v103, v119
	v_mul_f32_e32 v119, v104, v141
	v_fmac_f32_e32 v135, v103, v160
	v_add_f32_e32 v7, v7, v139
	v_mul_f32_e32 v139, v105, v141
	v_add_f32_e32 v141, v6, v158
	v_fma_f32 v140, v102, v160, -v114
	ds_read2_b64 v[110:113], v1 offset0:85 offset1:86
	ds_read2_b64 v[114:117], v1 offset0:87 offset1:88
	v_add_f32_e32 v7, v7, v147
	v_add_f32_e32 v141, v141, v161
	s_waitcnt vmcnt(20)
	v_fma_f32 v139, v104, v151, -v139
	v_fmac_f32_e32 v119, v105, v151
	v_add_f32_e32 v7, v7, v159
	v_add_f32_e32 v126, v141, v126
	s_waitcnt vmcnt(19) lgkmcnt(3)
	v_mul_f32_e32 v143, v2, v136
	v_add_f32_e32 v142, v7, v162
	v_add_f32_e32 v126, v126, v127
	v_mul_f32_e32 v136, v3, v136
	s_waitcnt vmcnt(18)
	v_mul_f32_e32 v144, v4, v152
	v_fmac_f32_e32 v143, v3, v149
	v_add_f32_e32 v128, v142, v128
	v_add_f32_e32 v126, v126, v135
	v_mul_f32_e32 v142, v5, v152
	v_fma_f32 v2, v2, v149, -v136
	s_waitcnt vmcnt(17) lgkmcnt(2)
	v_mul_f32_e32 v141, v106, v118
	v_add_f32_e32 v128, v128, v131
	v_add_f32_e32 v119, v126, v119
	v_mul_f32_e32 v118, v107, v118
	v_fma_f32 v4, v4, v148, -v142
	v_fmac_f32_e32 v144, v5, v148
	v_add_f32_e32 v128, v128, v140
	v_add_f32_e32 v5, v119, v143
	s_waitcnt vmcnt(16)
	v_mul_f32_e32 v119, v109, v129
	v_fmac_f32_e32 v141, v107, v8
	v_fma_f32 v8, v106, v8, -v118
	v_add_f32_e32 v128, v128, v139
	v_mul_f32_e32 v131, v108, v129
	ds_read2_b64 v[102:105], v1 offset0:89 offset1:90
	ds_read_b64 v[6:7], v1 offset:728
	s_waitcnt vmcnt(5)
	v_fma_f32 v106, v108, v155, -v119
	s_waitcnt lgkmcnt(3)
	v_mul_f32_e32 v145, v110, v137
	v_add_f32_e32 v2, v128, v2
	v_fmac_f32_e32 v131, v109, v155
	v_mul_f32_e32 v127, v112, v153
	s_waitcnt lgkmcnt(2)
	v_mul_f32_e32 v140, v114, v154
	v_fmac_f32_e32 v145, v111, v133
	v_add_f32_e32 v2, v2, v4
	v_add_f32_e32 v4, v5, v144
	v_mul_f32_e32 v5, v111, v137
	v_fmac_f32_e32 v127, v113, v122
	v_mul_f32_e32 v3, v116, v132
	v_add_f32_e32 v2, v2, v8
	v_add_f32_e32 v4, v4, v141
	v_mul_f32_e32 v8, v113, v153
	v_fma_f32 v5, v110, v133, -v5
	v_fmac_f32_e32 v140, v115, v121
	v_add_f32_e32 v2, v2, v106
	v_add_f32_e32 v4, v4, v131
	v_mul_f32_e32 v106, v115, v154
	v_fma_f32 v8, v112, v122, -v8
	s_waitcnt lgkmcnt(1)
	v_mul_f32_e32 v135, v102, v138
	v_add_f32_e32 v2, v2, v5
	v_add_f32_e32 v4, v4, v145
	v_mul_f32_e32 v5, v117, v132
	v_fma_f32 v106, v114, v121, -v106
	s_waitcnt vmcnt(1)
	v_fmac_f32_e32 v3, v117, v156
	v_add_f32_e32 v2, v2, v8
	v_add_f32_e32 v4, v4, v127
	v_mul_f32_e32 v8, v103, v138
	v_fma_f32 v5, v116, v156, -v5
	v_mul_f32_e32 v136, v104, v120
	v_add_f32_e32 v2, v2, v106
	v_add_f32_e32 v4, v4, v140
	v_mul_f32_e32 v106, v105, v120
	v_fma_f32 v8, v102, v134, -v8
	v_fmac_f32_e32 v135, v103, v134
	v_add_f32_e32 v2, v2, v5
	v_add_f32_e32 v3, v4, v3
	s_waitcnt lgkmcnt(0)
	v_mul_f32_e32 v4, v7, v130
	v_fma_f32 v5, v104, v125, -v106
	v_mul_f32_e32 v126, v6, v130
	v_add_f32_e32 v2, v2, v8
	v_fmac_f32_e32 v136, v105, v125
	v_add_f32_e32 v3, v3, v135
	v_fma_f32 v4, v6, v123, -v4
	v_fmac_f32_e32 v126, v7, v123
	v_add_f32_e32 v2, v2, v5
	v_add_f32_e32 v3, v3, v136
	;; [unrolled: 1-line block ×4, first 2 shown]
	s_waitcnt vmcnt(0)
	v_sub_f32_e32 v2, v124, v2
	v_sub_f32_e32 v3, v150, v3
	buffer_store_dword v2, off, s[0:3], 0 offset:16
	buffer_store_dword v3, off, s[0:3], 0 offset:20
	v_cmpx_lt_u32_e32 1, v0
	s_cbranch_execz .LBB45_287
; %bb.286:
	s_clause 0x1
	buffer_load_dword v2, off, s[0:3], 0 offset:8
	buffer_load_dword v3, off, s[0:3], 0 offset:12
	buffer_store_dword v1, off, s[0:3], 0 offset:8
	buffer_store_dword v1, off, s[0:3], 0 offset:12
	s_waitcnt vmcnt(0)
	ds_write_b64 v101, v[2:3]
.LBB45_287:
	s_or_b32 exec_lo, exec_lo, s4
	s_waitcnt lgkmcnt(0)
	s_waitcnt_vscnt null, 0x0
	s_barrier
	buffer_gl0_inv
	s_clause 0x2c
	buffer_load_dword v140, off, s[0:3], 0 offset:20
	buffer_load_dword v141, off, s[0:3], 0 offset:28
	;; [unrolled: 1-line block ×45, first 2 shown]
	ds_read_b128 v[132:135], v1 offset:384
	ds_read_b128 v[136:139], v1 offset:400
	buffer_load_dword v150, off, s[0:3], 0 offset:12
	s_mov_b32 s4, exec_lo
	s_waitcnt vmcnt(45) lgkmcnt(1)
	v_mul_f32_e32 v148, v133, v140
	v_mul_f32_e32 v140, v132, v140
	s_waitcnt vmcnt(44)
	v_mul_f32_e32 v149, v134, v141
	v_mul_f32_e32 v141, v135, v141
	s_waitcnt vmcnt(41)
	v_fma_f32 v148, v132, v130, -v148
	v_fmac_f32_e32 v140, v133, v130
	v_fmac_f32_e32 v149, v135, v126
	v_fma_f32 v141, v134, v126, -v141
	ds_read_b128 v[132:135], v1 offset:416
	s_waitcnt vmcnt(40) lgkmcnt(1)
	v_mul_f32_e32 v151, v136, v125
	v_mul_f32_e32 v125, v137, v125
	s_waitcnt vmcnt(39)
	v_mul_f32_e32 v152, v138, v123
	v_mul_f32_e32 v123, v139, v123
	v_fmac_f32_e32 v151, v137, v112
	v_fma_f32 v112, v136, v112, -v125
	s_waitcnt vmcnt(35)
	v_fmac_f32_e32 v152, v139, v131
	v_fma_f32 v153, v138, v131, -v123
	ds_read_b128 v[136:139], v1 offset:432
	s_waitcnt vmcnt(34) lgkmcnt(1)
	v_mul_f32_e32 v154, v132, v129
	v_mul_f32_e32 v123, v133, v129
	s_waitcnt vmcnt(33)
	v_mul_f32_e32 v155, v134, v128
	v_mul_f32_e32 v125, v135, v128
	ds_read_b128 v[128:131], v1 offset:448
	v_fmac_f32_e32 v154, v133, v120
	v_fma_f32 v120, v132, v120, -v123
	v_fmac_f32_e32 v155, v135, v115
	v_fma_f32 v156, v134, v115, -v125
	ds_read_b128 v[132:135], v1 offset:464
	s_waitcnt vmcnt(32) lgkmcnt(2)
	v_mul_f32_e32 v157, v136, v119
	v_mul_f32_e32 v115, v137, v119
	s_waitcnt vmcnt(31)
	v_mul_f32_e32 v119, v138, v117
	v_mul_f32_e32 v117, v139, v117
	v_fmac_f32_e32 v157, v137, v102
	v_fma_f32 v136, v136, v102, -v115
	s_waitcnt vmcnt(27)
	v_fmac_f32_e32 v119, v139, v127
	v_fma_f32 v137, v138, v127, -v117
	s_waitcnt vmcnt(26) lgkmcnt(1)
	v_mul_f32_e32 v138, v128, v124
	v_mul_f32_e32 v102, v129, v124
	s_waitcnt vmcnt(25)
	v_mul_f32_e32 v139, v130, v122
	v_mul_f32_e32 v115, v131, v122
	ds_read_b128 v[122:125], v1 offset:480
	v_fmac_f32_e32 v138, v129, v113
	v_fma_f32 v113, v128, v113, -v102
	ds_read_b128 v[126:129], v1 offset:496
	v_fmac_f32_e32 v139, v131, v107
	v_fma_f32 v130, v130, v107, -v115
	s_waitcnt vmcnt(24) lgkmcnt(2)
	v_mul_f32_e32 v131, v132, v111
	v_mul_f32_e32 v102, v133, v111
	s_waitcnt vmcnt(23)
	v_mul_f32_e32 v111, v134, v109
	v_mul_f32_e32 v107, v135, v109
	v_fmac_f32_e32 v131, v133, v4
	v_fma_f32 v132, v132, v4, -v102
	s_waitcnt vmcnt(19)
	v_fmac_f32_e32 v111, v135, v121
	v_fma_f32 v121, v134, v121, -v107
	s_waitcnt vmcnt(18) lgkmcnt(1)
	v_mul_f32_e32 v133, v122, v118
	v_mul_f32_e32 v4, v123, v118
	s_waitcnt vmcnt(17)
	v_mul_f32_e32 v134, v124, v116
	v_mul_f32_e32 v102, v125, v116
	ds_read_b128 v[115:118], v1 offset:512
	v_fmac_f32_e32 v133, v123, v106
	v_fma_f32 v122, v122, v106, -v4
	v_fmac_f32_e32 v134, v125, v103
	v_fma_f32 v123, v124, v103, -v102
	s_waitcnt vmcnt(15) lgkmcnt(1)
	v_mul_f32_e32 v125, v128, v104
	v_mul_f32_e32 v102, v129, v104
	;; [unrolled: 1-line block ×4, first 2 shown]
	s_waitcnt vmcnt(11)
	v_fmac_f32_e32 v125, v129, v114
	v_fma_f32 v114, v128, v114, -v102
	ds_read_b128 v[102:105], v1 offset:528
	v_fmac_f32_e32 v124, v127, v3
	v_fma_f32 v126, v126, v3, -v4
	s_waitcnt vmcnt(10) lgkmcnt(1)
	v_mul_f32_e32 v127, v115, v110
	v_mul_f32_e32 v3, v116, v110
	s_waitcnt vmcnt(9)
	v_mul_f32_e32 v110, v117, v108
	v_mul_f32_e32 v4, v118, v108
	ds_read_b128 v[106:109], v1 offset:544
	v_fmac_f32_e32 v127, v116, v8
	v_fma_f32 v8, v115, v8, -v3
	v_fmac_f32_e32 v110, v118, v5
	v_fma_f32 v115, v117, v5, -v4
	s_waitcnt vmcnt(8) lgkmcnt(1)
	v_mul_f32_e32 v116, v102, v7
	v_mul_f32_e32 v3, v103, v7
	s_waitcnt vmcnt(7)
	v_mul_f32_e32 v7, v104, v6
	v_mul_f32_e32 v4, v105, v6
	buffer_load_dword v6, off, s[0:3], 0 offset:196
	v_fmac_f32_e32 v116, v103, v2
	v_fma_f32 v117, v102, v2, -v3
	s_waitcnt vmcnt(4)
	v_fmac_f32_e32 v7, v105, v145
	v_fma_f32 v118, v104, v145, -v4
	buffer_load_dword v104, off, s[0:3], 0 offset:204
	ds_read_b128 v[2:5], v1 offset:560
	s_waitcnt vmcnt(4) lgkmcnt(1)
	v_mul_f32_e32 v128, v106, v146
	v_mul_f32_e32 v102, v107, v146
	s_waitcnt vmcnt(3)
	v_mul_f32_e32 v129, v108, v147
	v_mul_f32_e32 v103, v109, v147
	v_fmac_f32_e32 v128, v107, v144
	v_fma_f32 v106, v106, v144, -v102
	v_fmac_f32_e32 v129, v109, v143
	v_fma_f32 v107, v108, v143, -v103
	s_clause 0x4
	buffer_load_dword v108, off, s[0:3], 0 offset:224
	buffer_load_dword v109, off, s[0:3], 0 offset:216
	;; [unrolled: 1-line block ×5, first 2 shown]
	s_waitcnt vmcnt(6) lgkmcnt(0)
	v_mul_f32_e32 v144, v2, v6
	v_mul_f32_e32 v6, v3, v6
	v_fmac_f32_e32 v144, v3, v142
	v_fma_f32 v6, v2, v142, -v6
	s_waitcnt vmcnt(5)
	v_mul_f32_e32 v142, v4, v104
	v_mul_f32_e32 v2, v5, v104
	s_waitcnt vmcnt(1)
	v_fmac_f32_e32 v142, v5, v102
	v_fma_f32 v145, v4, v102, -v2
	ds_read_b128 v[2:5], v1 offset:576
	ds_read_b128 v[102:105], v1 offset:592
	s_waitcnt vmcnt(0) lgkmcnt(1)
	v_mul_f32_e32 v146, v2, v143
	v_mul_f32_e32 v143, v3, v143
	v_fmac_f32_e32 v146, v3, v135
	v_fma_f32 v135, v2, v135, -v143
	s_clause 0x1
	buffer_load_dword v2, off, s[0:3], 0 offset:220
	buffer_load_dword v3, off, s[0:3], 0 offset:228
	s_waitcnt vmcnt(1)
	v_mul_f32_e32 v143, v4, v2
	v_mul_f32_e32 v2, v5, v2
	v_fmac_f32_e32 v143, v5, v109
	v_fma_f32 v147, v4, v109, -v2
	v_add_f32_e32 v2, 0, v148
	buffer_load_dword v5, off, s[0:3], 0 offset:236
	v_add_f32_e32 v4, 0, v140
	v_add_f32_e32 v2, v2, v141
	;; [unrolled: 1-line block ×4, first 2 shown]
	s_clause 0x3
	buffer_load_dword v112, off, s[0:3], 0 offset:256
	buffer_load_dword v109, off, s[0:3], 0 offset:248
	;; [unrolled: 1-line block ×4, first 2 shown]
	v_add_f32_e32 v4, v4, v151
	s_clause 0x1
	buffer_load_dword v148, off, s[0:3], 0 offset:252
	buffer_load_dword v149, off, s[0:3], 0 offset:260
	v_add_f32_e32 v2, v2, v153
	s_waitcnt vmcnt(7) lgkmcnt(0)
	v_mul_f32_e32 v151, v102, v3
	v_add_f32_e32 v4, v4, v152
	v_mul_f32_e32 v3, v103, v3
	v_add_f32_e32 v2, v2, v120
	buffer_load_dword v120, off, s[0:3], 0 offset:244
	v_add_f32_e32 v4, v4, v154
	v_fma_f32 v152, v102, v108, -v3
	v_fmac_f32_e32 v151, v103, v108
	v_add_f32_e32 v2, v2, v156
	v_add_f32_e32 v4, v4, v155
	;; [unrolled: 1-line block ×3, first 2 shown]
	buffer_load_dword v136, off, s[0:3], 0 offset:268
	v_add_f32_e32 v4, v4, v157
	v_add_f32_e32 v2, v2, v137
	;; [unrolled: 1-line block ×3, first 2 shown]
	s_clause 0x5
	buffer_load_dword v137, off, s[0:3], 0 offset:288
	buffer_load_dword v153, off, s[0:3], 0 offset:280
	;; [unrolled: 1-line block ×6, first 2 shown]
	v_add_f32_e32 v2, v2, v113
	v_add_f32_e32 v3, v3, v138
	;; [unrolled: 1-line block ×4, first 2 shown]
	s_clause 0x1
	buffer_load_dword v130, off, s[0:3], 0 offset:284
	buffer_load_dword v139, off, s[0:3], 0 offset:292
	v_add_f32_e32 v2, v2, v132
	v_add_f32_e32 v3, v3, v131
	s_clause 0x6
	buffer_load_dword v131, off, s[0:3], 0 offset:308
	buffer_load_dword v132, off, s[0:3], 0 offset:316
	buffer_load_dword v157, off, s[0:3], 0 offset:324
	buffer_load_dword v158, off, s[0:3], 0 offset:332
	buffer_load_dword v159, off, s[0:3], 0 offset:340
	buffer_load_dword v160, off, s[0:3], 0 offset:348
	buffer_load_dword v161, off, s[0:3], 0 offset:356
	v_add_f32_e32 v2, v2, v121
	v_add_f32_e32 v3, v3, v111
	;; [unrolled: 1-line block ×4, first 2 shown]
	buffer_load_dword v122, off, s[0:3], 0 offset:364
	v_add_f32_e32 v2, v2, v123
	v_add_f32_e32 v3, v3, v134
	s_clause 0x3
	buffer_load_dword v123, off, s[0:3], 0 offset:320
	buffer_load_dword v133, off, s[0:3], 0 offset:312
	;; [unrolled: 1-line block ×4, first 2 shown]
	v_add_f32_e32 v2, v2, v126
	v_add_f32_e32 v3, v3, v124
	;; [unrolled: 1-line block ×4, first 2 shown]
	s_clause 0x3
	buffer_load_dword v124, off, s[0:3], 0 offset:352
	buffer_load_dword v125, off, s[0:3], 0 offset:344
	;; [unrolled: 1-line block ×4, first 2 shown]
	v_add_f32_e32 v2, v2, v8
	buffer_load_dword v8, off, s[0:3], 0 offset:360
	v_add_f32_e32 v3, v3, v127
	buffer_load_dword v127, off, s[0:3], 0 offset:8
	v_add_f32_e32 v2, v2, v115
	v_add_f32_e32 v3, v3, v110
	;; [unrolled: 1-line block ×20, first 2 shown]
	s_waitcnt vmcnt(34)
	v_mul_f32_e32 v138, v104, v5
	v_mul_f32_e32 v4, v105, v5
	s_waitcnt vmcnt(30)
	v_fmac_f32_e32 v138, v105, v141
	v_fma_f32 v141, v104, v141, -v4
	ds_read_b128 v[2:5], v1 offset:608
	ds_read_b128 v[102:105], v1 offset:624
	v_add_f32_e32 v7, v7, v138
	v_add_f32_e32 v6, v6, v141
	s_waitcnt vmcnt(27) lgkmcnt(1)
	v_mul_f32_e32 v128, v2, v120
	v_mul_f32_e32 v107, v3, v120
	;; [unrolled: 1-line block ×4, first 2 shown]
	s_waitcnt lgkmcnt(0)
	v_mul_f32_e32 v144, v102, v149
	v_fmac_f32_e32 v128, v3, v140
	v_fma_f32 v118, v2, v140, -v107
	v_fmac_f32_e32 v129, v5, v109
	v_fma_f32 v140, v4, v109, -v108
	ds_read_b128 v[2:5], v1 offset:640
	ds_read_b128 v[106:109], v1 offset:656
	v_mul_f32_e32 v110, v103, v149
	s_waitcnt vmcnt(26)
	v_mul_f32_e32 v135, v104, v136
	v_mul_f32_e32 v111, v105, v136
	v_fmac_f32_e32 v144, v103, v112
	v_fma_f32 v136, v102, v112, -v110
	s_waitcnt vmcnt(22)
	v_fmac_f32_e32 v135, v105, v154
	v_fma_f32 v142, v104, v154, -v111
	ds_read_b128 v[102:105], v1 offset:672
	ds_read_b128 v[110:113], v1 offset:688
	;; [unrolled: 1-line block ×3, first 2 shown]
	s_waitcnt vmcnt(21) lgkmcnt(4)
	v_mul_f32_e32 v143, v2, v155
	v_mul_f32_e32 v120, v3, v155
	v_fmac_f32_e32 v143, v3, v119
	v_add_f32_e32 v3, v6, v118
	v_fma_f32 v2, v2, v119, -v120
	ds_read_b128 v[118:121], v1 offset:720
	v_add_f32_e32 v1, v7, v128
	s_waitcnt vmcnt(19)
	v_mul_f32_e32 v7, v5, v130
	v_add_f32_e32 v3, v3, v140
	v_mul_f32_e32 v6, v4, v130
	s_waitcnt vmcnt(18) lgkmcnt(4)
	v_mul_f32_e32 v130, v107, v139
	v_add_f32_e32 v1, v1, v129
	v_fma_f32 v4, v4, v153, -v7
	v_add_f32_e32 v3, v3, v136
	v_mul_f32_e32 v128, v106, v139
	v_fmac_f32_e32 v6, v5, v153
	v_add_f32_e32 v1, v1, v144
	v_fma_f32 v106, v106, v137, -v130
	v_add_f32_e32 v3, v3, v142
	v_mul_f32_e32 v129, v108, v156
	v_fmac_f32_e32 v128, v107, v137
	v_add_f32_e32 v1, v1, v135
	v_mul_f32_e32 v135, v109, v156
	v_add_f32_e32 v2, v3, v2
	s_waitcnt vmcnt(17) lgkmcnt(3)
	v_mul_f32_e32 v5, v102, v131
	s_waitcnt vmcnt(6)
	v_fmac_f32_e32 v129, v109, v162
	v_add_f32_e32 v1, v1, v143
	v_mul_f32_e32 v7, v104, v132
	v_add_f32_e32 v2, v2, v4
	v_mul_f32_e32 v4, v103, v131
	v_fmac_f32_e32 v5, v103, v134
	v_add_f32_e32 v1, v1, v6
	v_fma_f32 v6, v108, v162, -v135
	v_add_f32_e32 v2, v2, v106
	v_mul_f32_e32 v106, v105, v132
	v_fma_f32 v4, v102, v134, -v4
	v_add_f32_e32 v1, v1, v128
	s_waitcnt lgkmcnt(2)
	v_mul_f32_e32 v136, v110, v157
	v_add_f32_e32 v2, v2, v6
	v_mul_f32_e32 v6, v111, v157
	v_fma_f32 v102, v104, v133, -v106
	v_add_f32_e32 v1, v1, v129
	v_fmac_f32_e32 v7, v105, v133
	v_add_f32_e32 v2, v2, v4
	v_mul_f32_e32 v4, v113, v158
	v_mul_f32_e32 v138, v112, v158
	v_add_f32_e32 v1, v1, v5
	v_fma_f32 v5, v110, v123, -v6
	v_add_f32_e32 v2, v2, v102
	v_fmac_f32_e32 v136, v111, v123
	s_waitcnt lgkmcnt(1)
	v_mul_f32_e32 v6, v115, v159
	v_add_f32_e32 v1, v1, v7
	s_waitcnt vmcnt(2)
	v_fma_f32 v4, v112, v163, -v4
	v_add_f32_e32 v2, v2, v5
	v_mul_f32_e32 v139, v114, v159
	v_fmac_f32_e32 v138, v113, v163
	v_add_f32_e32 v1, v1, v136
	v_mul_f32_e32 v5, v117, v160
	v_fma_f32 v6, v114, v126, -v6
	v_add_f32_e32 v2, v2, v4
	v_mul_f32_e32 v140, v116, v160
	v_fmac_f32_e32 v139, v115, v126
	v_add_f32_e32 v1, v1, v138
	s_waitcnt lgkmcnt(0)
	v_mul_f32_e32 v4, v119, v161
	v_fma_f32 v5, v116, v125, -v5
	v_add_f32_e32 v2, v2, v6
	v_mul_f32_e32 v141, v118, v161
	v_fmac_f32_e32 v140, v117, v125
	v_add_f32_e32 v1, v1, v139
	v_mul_f32_e32 v6, v121, v122
	v_fma_f32 v4, v118, v124, -v4
	v_add_f32_e32 v2, v2, v5
	v_mul_f32_e32 v3, v120, v122
	v_fmac_f32_e32 v141, v119, v124
	v_add_f32_e32 v1, v1, v140
	s_waitcnt vmcnt(1)
	v_fma_f32 v5, v120, v8, -v6
	v_add_f32_e32 v2, v2, v4
	v_fmac_f32_e32 v3, v121, v8
	v_add_f32_e32 v1, v1, v141
	v_add_f32_e32 v2, v2, v5
	;; [unrolled: 1-line block ×3, first 2 shown]
	s_waitcnt vmcnt(0)
	v_sub_f32_e32 v2, v127, v2
	v_sub_f32_e32 v1, v150, v1
	buffer_store_dword v2, off, s[0:3], 0 offset:8
	buffer_store_dword v1, off, s[0:3], 0 offset:12
	v_cmpx_ne_u32_e32 0, v0
	s_cbranch_execz .LBB45_289
; %bb.288:
	s_clause 0x1
	buffer_load_dword v0, off, s[0:3], 0
	buffer_load_dword v1, off, s[0:3], 0 offset:4
	v_mov_b32_e32 v2, 0
	buffer_store_dword v2, off, s[0:3], 0
	buffer_store_dword v2, off, s[0:3], 0 offset:4
	s_waitcnt vmcnt(0)
	ds_write_b64 v101, v[0:1]
.LBB45_289:
	s_or_b32 exec_lo, exec_lo, s4
	s_waitcnt lgkmcnt(0)
	s_waitcnt_vscnt null, 0x0
	s_barrier
	buffer_gl0_inv
	s_clause 0x2c
	buffer_load_dword v139, off, s[0:3], 0 offset:12
	buffer_load_dword v113, off, s[0:3], 0 offset:24
	;; [unrolled: 1-line block ×45, first 2 shown]
	v_mov_b32_e32 v0, 0
	ds_read2_b64 v[131:134], v0 offset0:47 offset1:48
	ds_read2_b64 v[135:138], v0 offset0:49 offset1:50
	buffer_load_dword v151, off, s[0:3], 0 offset:4
	s_and_b32 vcc_lo, exec_lo, s22
	s_waitcnt vmcnt(45) lgkmcnt(1)
	v_mul_f32_e32 v149, v132, v139
	v_mul_f32_e32 v150, v131, v139
	ds_read2_b64 v[139:142], v0 offset0:51 offset1:52
	s_waitcnt vmcnt(41)
	v_mul_f32_e32 v152, v133, v127
	v_mul_f32_e32 v127, v134, v127
	v_fma_f32 v149, v131, v129, -v149
	v_fmac_f32_e32 v150, v132, v129
	s_waitcnt vmcnt(40) lgkmcnt(1)
	v_mul_f32_e32 v154, v135, v125
	v_fmac_f32_e32 v152, v134, v122
	v_fma_f32 v153, v133, v122, -v127
	v_mul_f32_e32 v122, v136, v125
	ds_read2_b64 v[131:134], v0 offset0:53 offset1:54
	v_fmac_f32_e32 v154, v136, v113
	s_waitcnt vmcnt(39)
	v_mul_f32_e32 v155, v137, v118
	v_fma_f32 v125, v135, v113, -v122
	v_mul_f32_e32 v113, v138, v118
	s_waitcnt vmcnt(35)
	v_fmac_f32_e32 v155, v138, v130
	v_fma_f32 v156, v137, v130, -v113
	s_waitcnt vmcnt(34) lgkmcnt(1)
	v_mul_f32_e32 v157, v139, v128
	v_mul_f32_e32 v113, v140, v128
	ds_read2_b64 v[127:130], v0 offset0:55 offset1:56
	ds_read2_b64 v[135:138], v0 offset0:57 offset1:58
	v_fmac_f32_e32 v157, v140, v121
	v_fma_f32 v139, v139, v121, -v113
	s_waitcnt vmcnt(33)
	v_mul_f32_e32 v140, v141, v123
	v_mul_f32_e32 v113, v142, v123
	v_fmac_f32_e32 v140, v142, v114
	v_fma_f32 v141, v141, v114, -v113
	s_waitcnt vmcnt(32) lgkmcnt(2)
	v_mul_f32_e32 v142, v131, v119
	v_mul_f32_e32 v113, v132, v119
	v_fmac_f32_e32 v142, v132, v102
	v_fma_f32 v102, v131, v102, -v113
	s_waitcnt vmcnt(31)
	v_mul_f32_e32 v131, v133, v110
	v_mul_f32_e32 v110, v134, v110
	s_waitcnt vmcnt(26) lgkmcnt(1)
	v_mul_f32_e32 v132, v127, v124
	v_fmac_f32_e32 v131, v134, v126
	v_fma_f32 v126, v133, v126, -v110
	v_mul_f32_e32 v110, v128, v124
	ds_read2_b64 v[121:124], v0 offset0:59 offset1:60
	v_fmac_f32_e32 v132, v128, v115
	s_waitcnt vmcnt(25)
	v_mul_f32_e32 v128, v129, v116
	s_waitcnt vmcnt(23) lgkmcnt(1)
	v_mul_f32_e32 v134, v137, v104
	v_fma_f32 v127, v127, v115, -v110
	v_mul_f32_e32 v110, v130, v116
	ds_read2_b64 v[113:116], v0 offset0:61 offset1:62
	v_fmac_f32_e32 v128, v130, v106
	v_mul_f32_e32 v130, v135, v111
	s_waitcnt vmcnt(19)
	v_fmac_f32_e32 v134, v138, v120
	v_fma_f32 v129, v129, v106, -v110
	v_mul_f32_e32 v106, v136, v111
	v_fmac_f32_e32 v130, v136, v4
	v_fma_f32 v133, v135, v4, -v106
	v_mul_f32_e32 v4, v138, v104
	s_waitcnt vmcnt(18) lgkmcnt(1)
	v_mul_f32_e32 v136, v121, v117
	v_fma_f32 v135, v137, v120, -v4
	v_mul_f32_e32 v4, v122, v117
	ds_read2_b64 v[117:120], v0 offset0:63 offset1:64
	v_fmac_f32_e32 v136, v122, v107
	s_waitcnt vmcnt(17)
	v_mul_f32_e32 v122, v123, v108
	v_fma_f32 v121, v121, v107, -v4
	v_mul_f32_e32 v4, v124, v108
	v_fmac_f32_e32 v122, v124, v8
	s_waitcnt vmcnt(16) lgkmcnt(1)
	v_mul_f32_e32 v124, v113, v105
	v_fma_f32 v123, v123, v8, -v4
	v_mul_f32_e32 v4, v114, v105
	ds_read2_b64 v[104:107], v0 offset0:65 offset1:66
	v_fmac_f32_e32 v124, v114, v2
	s_waitcnt vmcnt(15)
	v_mul_f32_e32 v114, v115, v6
	v_fma_f32 v113, v113, v2, -v4
	v_mul_f32_e32 v2, v116, v6
	s_waitcnt vmcnt(11)
	v_fmac_f32_e32 v114, v116, v112
	s_waitcnt vmcnt(9) lgkmcnt(1)
	v_mul_f32_e32 v116, v119, v103
	v_fma_f32 v112, v115, v112, -v2
	v_mul_f32_e32 v115, v117, v109
	v_mul_f32_e32 v2, v118, v109
	ds_read2_b64 v[108:111], v0 offset0:67 offset1:68
	v_fmac_f32_e32 v116, v120, v3
	v_fmac_f32_e32 v115, v118, v101
	v_fma_f32 v101, v117, v101, -v2
	v_mul_f32_e32 v2, v120, v103
	buffer_load_dword v120, off, s[0:3], 0 offset:196
	s_waitcnt vmcnt(9) lgkmcnt(1)
	v_mul_f32_e32 v117, v104, v7
	s_waitcnt vmcnt(8)
	v_mul_f32_e32 v118, v106, v5
	v_fma_f32 v103, v119, v3, -v2
	buffer_load_dword v119, off, s[0:3], 0 offset:188
	v_mul_f32_e32 v2, v105, v7
	v_mul_f32_e32 v3, v107, v5
	v_fmac_f32_e32 v117, v105, v1
	s_waitcnt vmcnt(5)
	v_fmac_f32_e32 v118, v107, v146
	v_fma_f32 v104, v104, v1, -v2
	v_fma_f32 v105, v106, v146, -v3
	ds_read2_b64 v[1:4], v0 offset0:69 offset1:70
	s_waitcnt vmcnt(4) lgkmcnt(1)
	v_mul_f32_e32 v106, v108, v147
	v_mul_f32_e32 v5, v109, v147
	s_waitcnt vmcnt(3)
	v_mul_f32_e32 v107, v110, v148
	v_mul_f32_e32 v6, v111, v148
	v_fmac_f32_e32 v106, v109, v145
	v_fma_f32 v108, v108, v145, -v5
	v_fmac_f32_e32 v107, v111, v144
	v_fma_f32 v109, v110, v144, -v6
	s_clause 0x7
	buffer_load_dword v110, off, s[0:3], 0 offset:216
	buffer_load_dword v111, off, s[0:3], 0 offset:208
	;; [unrolled: 1-line block ×8, first 2 shown]
	v_add_f32_e32 v5, 0, v149
	v_add_f32_e32 v6, 0, v150
	;; [unrolled: 1-line block ×5, first 2 shown]
	s_clause 0x4
	buffer_load_dword v125, off, s[0:3], 0 offset:248
	buffer_load_dword v148, off, s[0:3], 0 offset:240
	;; [unrolled: 1-line block ×5, first 2 shown]
	v_add_f32_e32 v6, v6, v154
	v_add_f32_e32 v5, v5, v156
	;; [unrolled: 1-line block ×7, first 2 shown]
	buffer_load_dword v140, off, s[0:3], 0 offset:244
	v_add_f32_e32 v102, v5, v102
	ds_read2_b64 v[5:8], v0 offset0:71 offset1:72
	v_add_f32_e32 v139, v139, v142
	v_add_f32_e32 v102, v102, v126
	;; [unrolled: 1-line block ×3, first 2 shown]
	buffer_load_dword v139, off, s[0:3], 0 offset:252
	s_waitcnt vmcnt(16) lgkmcnt(1)
	v_mul_f32_e32 v126, v3, v120
	v_mul_f32_e32 v120, v4, v120
	s_waitcnt vmcnt(15)
	v_mul_f32_e32 v141, v1, v119
	v_mul_f32_e32 v119, v2, v119
	v_fmac_f32_e32 v141, v2, v143
	v_fma_f32 v119, v1, v143, -v119
	v_add_f32_e32 v1, v102, v127
	v_add_f32_e32 v102, v131, v132
	;; [unrolled: 1-line block ×4, first 2 shown]
	s_waitcnt vmcnt(11)
	v_fmac_f32_e32 v126, v4, v138
	s_waitcnt vmcnt(10) lgkmcnt(0)
	v_mul_f32_e32 v128, v5, v144
	v_mul_f32_e32 v143, v6, v144
	v_fma_f32 v120, v3, v138, -v120
	s_clause 0x4
	buffer_load_dword v127, off, s[0:3], 0 offset:260
	buffer_load_dword v131, off, s[0:3], 0 offset:280
	;; [unrolled: 1-line block ×5, first 2 shown]
	ds_read2_b64 v[1:4], v0 offset0:73 offset1:74
	v_fmac_f32_e32 v128, v6, v137
	v_fma_f32 v137, v5, v137, -v143
	v_add_f32_e32 v5, v129, v133
	s_clause 0x1
	buffer_load_dword v129, off, s[0:3], 0 offset:268
	buffer_load_dword v133, off, s[0:3], 0 offset:276
	v_add_f32_e32 v6, v102, v130
	s_waitcnt vmcnt(16)
	v_mul_f32_e32 v130, v7, v145
	v_mul_f32_e32 v102, v8, v145
	v_add_f32_e32 v5, v5, v135
	buffer_load_dword v135, off, s[0:3], 0 offset:284
	v_add_f32_e32 v6, v6, v134
	v_fmac_f32_e32 v130, v8, v111
	v_fma_f32 v111, v7, v111, -v102
	v_add_f32_e32 v102, v5, v121
	s_clause 0x3
	buffer_load_dword v121, off, s[0:3], 0 offset:292
	buffer_load_dword v134, off, s[0:3], 0 offset:300
	;; [unrolled: 1-line block ×4, first 2 shown]
	v_add_f32_e32 v136, v6, v136
	ds_read2_b64 v[5:8], v0 offset0:75 offset1:76
	v_add_f32_e32 v102, v102, v123
	s_waitcnt vmcnt(20) lgkmcnt(1)
	v_mul_f32_e32 v123, v1, v146
	v_mul_f32_e32 v145, v2, v146
	v_add_f32_e32 v122, v136, v122
	s_waitcnt vmcnt(19)
	v_mul_f32_e32 v136, v3, v147
	v_add_f32_e32 v102, v102, v113
	v_fmac_f32_e32 v123, v2, v110
	v_fma_f32 v110, v1, v110, -v145
	v_add_f32_e32 v1, v122, v124
	v_mul_f32_e32 v113, v4, v147
	v_add_f32_e32 v2, v102, v112
	s_clause 0x3
	buffer_load_dword v122, off, s[0:3], 0 offset:324
	buffer_load_dword v124, off, s[0:3], 0 offset:332
	;; [unrolled: 1-line block ×4, first 2 shown]
	s_waitcnt vmcnt(19)
	v_fmac_f32_e32 v136, v4, v150
	v_add_f32_e32 v1, v1, v114
	v_fma_f32 v112, v3, v150, -v113
	s_clause 0x5
	buffer_load_dword v147, off, s[0:3], 0 offset:356
	buffer_load_dword v150, off, s[0:3], 0 offset:312
	buffer_load_dword v153, off, s[0:3], 0 offset:304
	buffer_load_dword v154, off, s[0:3], 0 offset:296
	buffer_load_dword v155, off, s[0:3], 0 offset:288
	buffer_load_dword v156, off, s[0:3], 0 offset:364
	v_add_f32_e32 v2, v2, v101
	v_add_f32_e32 v1, v1, v115
	s_waitcnt vmcnt(24) lgkmcnt(0)
	v_mul_f32_e32 v113, v5, v152
	s_waitcnt vmcnt(23)
	v_mul_f32_e32 v158, v7, v140
	v_add_f32_e32 v101, v2, v103
	v_add_f32_e32 v102, v1, v116
	ds_read2_b64 v[1:4], v0 offset0:77 offset1:78
	v_mul_f32_e32 v103, v6, v152
	v_fmac_f32_e32 v113, v6, v149
	v_add_f32_e32 v101, v101, v104
	v_add_f32_e32 v102, v102, v117
	v_fmac_f32_e32 v158, v8, v148
	v_fma_f32 v114, v5, v149, -v103
	v_add_f32_e32 v5, v101, v105
	v_add_f32_e32 v6, v102, v118
	s_clause 0x6
	buffer_load_dword v115, off, s[0:3], 0 offset:344
	buffer_load_dword v116, off, s[0:3], 0 offset:336
	;; [unrolled: 1-line block ×6, first 2 shown]
	buffer_load_dword v157, off, s[0:3], 0
	v_add_f32_e32 v5, v5, v108
	v_add_f32_e32 v6, v6, v106
	;; [unrolled: 1-line block ×4, first 2 shown]
	v_mul_f32_e32 v6, v8, v140
	s_waitcnt vmcnt(29) lgkmcnt(0)
	v_mul_f32_e32 v105, v2, v139
	v_add_f32_e32 v102, v5, v119
	v_add_f32_e32 v101, v101, v141
	v_fma_f32 v119, v7, v148, -v6
	ds_read2_b64 v[5:8], v0 offset0:79 offset1:80
	v_add_f32_e32 v102, v102, v120
	v_add_f32_e32 v106, v101, v126
	v_mul_f32_e32 v120, v1, v139
	v_add_f32_e32 v107, v102, v137
	v_add_f32_e32 v109, v106, v128
	ds_read2_b64 v[101:104], v0 offset0:81 offset1:82
	v_fmac_f32_e32 v120, v2, v125
	v_fma_f32 v125, v1, v125, -v105
	v_add_f32_e32 v111, v107, v111
	v_add_f32_e32 v109, v109, v130
	;; [unrolled: 1-line block ×4, first 2 shown]
	s_waitcnt vmcnt(28)
	v_mul_f32_e32 v139, v3, v127
	v_mul_f32_e32 v108, v4, v127
	s_waitcnt vmcnt(24)
	v_fmac_f32_e32 v139, v4, v142
	v_fma_f32 v126, v3, v142, -v108
	ds_read2_b64 v[1:4], v0 offset0:83 offset1:84
	ds_read2_b64 v[105:108], v0 offset0:85 offset1:86
	s_waitcnt vmcnt(23) lgkmcnt(3)
	v_mul_f32_e32 v127, v5, v129
	v_mul_f32_e32 v128, v6, v129
	s_waitcnt vmcnt(22)
	v_mul_f32_e32 v129, v7, v133
	v_mul_f32_e32 v123, v8, v133
	v_fmac_f32_e32 v127, v6, v138
	v_add_f32_e32 v6, v110, v112
	v_fma_f32 v128, v5, v138, -v128
	v_add_f32_e32 v5, v109, v136
	v_fmac_f32_e32 v129, v8, v132
	v_fma_f32 v123, v7, v132, -v123
	v_add_f32_e32 v130, v6, v114
	s_waitcnt vmcnt(20) lgkmcnt(2)
	v_mul_f32_e32 v133, v103, v121
	v_add_f32_e32 v132, v5, v113
	v_mul_f32_e32 v121, v104, v121
	ds_read2_b64 v[109:112], v0 offset0:87 offset1:88
	v_add_f32_e32 v119, v130, v119
	v_mul_f32_e32 v130, v101, v135
	v_add_f32_e32 v132, v132, v158
	v_mul_f32_e32 v135, v102, v135
	ds_read2_b64 v[5:8], v0 offset0:89 offset1:90
	ds_read_b64 v[113:114], v0 offset:728
	v_add_f32_e32 v119, v119, v125
	v_fmac_f32_e32 v130, v102, v131
	v_add_f32_e32 v120, v132, v120
	v_fma_f32 v101, v101, v131, -v135
	s_waitcnt vmcnt(19) lgkmcnt(4)
	v_mul_f32_e32 v125, v1, v134
	v_add_f32_e32 v119, v119, v126
	v_mul_f32_e32 v131, v2, v134
	v_add_f32_e32 v120, v120, v139
	s_waitcnt vmcnt(18)
	v_mul_f32_e32 v132, v3, v143
	s_waitcnt vmcnt(9)
	v_fmac_f32_e32 v125, v2, v154
	v_add_f32_e32 v119, v119, v128
	s_waitcnt vmcnt(8)
	v_fma_f32 v103, v103, v155, -v121
	v_add_f32_e32 v120, v120, v127
	v_fmac_f32_e32 v133, v104, v155
	v_fma_f32 v1, v1, v154, -v131
	v_add_f32_e32 v119, v119, v123
	s_waitcnt lgkmcnt(3)
	v_mul_f32_e32 v126, v105, v144
	v_add_f32_e32 v120, v120, v129
	v_fmac_f32_e32 v132, v4, v153
	v_mul_f32_e32 v136, v107, v122
	v_add_f32_e32 v101, v119, v101
	v_mul_f32_e32 v119, v4, v143
	v_add_f32_e32 v104, v120, v130
	v_mul_f32_e32 v4, v108, v122
	v_fmac_f32_e32 v126, v106, v150
	v_add_f32_e32 v2, v101, v103
	v_mul_f32_e32 v103, v106, v144
	v_add_f32_e32 v101, v104, v133
	v_fma_f32 v3, v3, v153, -v119
	s_waitcnt vmcnt(3)
	v_fma_f32 v4, v107, v118, -v4
	v_add_f32_e32 v1, v2, v1
	s_waitcnt lgkmcnt(2)
	v_mul_f32_e32 v137, v109, v124
	v_add_f32_e32 v2, v101, v125
	v_fma_f32 v101, v105, v150, -v103
	v_fmac_f32_e32 v136, v108, v118
	v_add_f32_e32 v1, v1, v3
	v_mul_f32_e32 v3, v110, v124
	v_add_f32_e32 v2, v2, v132
	v_mul_f32_e32 v128, v111, v145
	v_fmac_f32_e32 v137, v110, v117
	v_add_f32_e32 v1, v1, v101
	v_mul_f32_e32 v101, v112, v145
	v_add_f32_e32 v2, v2, v126
	v_fma_f32 v3, v109, v117, -v3
	s_waitcnt lgkmcnt(1)
	v_mul_f32_e32 v127, v5, v146
	v_add_f32_e32 v1, v1, v4
	v_mul_f32_e32 v4, v6, v146
	v_add_f32_e32 v2, v2, v136
	v_fma_f32 v101, v111, v116, -v101
	v_fmac_f32_e32 v128, v112, v116
	v_add_f32_e32 v1, v1, v3
	v_mul_f32_e32 v3, v8, v147
	v_add_f32_e32 v2, v2, v137
	v_fma_f32 v4, v5, v115, -v4
	v_mul_f32_e32 v102, v7, v147
	v_add_f32_e32 v1, v1, v101
	v_fmac_f32_e32 v127, v6, v115
	v_add_f32_e32 v2, v2, v128
	s_waitcnt lgkmcnt(0)
	v_mul_f32_e32 v5, v114, v156
	s_waitcnt vmcnt(1)
	v_fma_f32 v3, v7, v152, -v3
	v_add_f32_e32 v1, v1, v4
	v_mul_f32_e32 v123, v113, v156
	v_fmac_f32_e32 v102, v8, v152
	v_add_f32_e32 v2, v2, v127
	v_fma_f32 v4, v113, v149, -v5
	v_add_f32_e32 v1, v1, v3
	v_fmac_f32_e32 v123, v114, v149
	v_add_f32_e32 v2, v2, v102
	v_add_f32_e32 v1, v1, v4
	;; [unrolled: 1-line block ×3, first 2 shown]
	s_waitcnt vmcnt(0)
	v_sub_f32_e32 v1, v157, v1
	v_sub_f32_e32 v2, v151, v2
	buffer_store_dword v1, off, s[0:3], 0
	buffer_store_dword v2, off, s[0:3], 0 offset:4
	s_cbranch_vccz .LBB45_380
; %bb.290:
	global_load_dword v0, v0, s[20:21] offset:176
	s_waitcnt vmcnt(0)
	v_add_nc_u32_e32 v0, -1, v0
	v_cmp_ne_u32_e32 vcc_lo, 44, v0
	s_cbranch_vccz .LBB45_292
; %bb.291:
	v_lshlrev_b32_e32 v0, 3, v0
	s_clause 0x3
	buffer_load_dword v1, v0, s[0:3], 0 offen
	buffer_load_dword v2, v0, s[0:3], 0 offen offset:4
	buffer_load_dword v3, off, s[0:3], 0 offset:356
	buffer_load_dword v4, off, s[0:3], 0 offset:352
	s_waitcnt vmcnt(3)
	buffer_store_dword v1, off, s[0:3], 0 offset:352
	s_waitcnt vmcnt(2)
	buffer_store_dword v2, off, s[0:3], 0 offset:356
	s_waitcnt vmcnt(1)
	buffer_store_dword v3, v0, s[0:3], 0 offen offset:4
	s_waitcnt vmcnt(0)
	buffer_store_dword v4, v0, s[0:3], 0 offen
.LBB45_292:
	v_mov_b32_e32 v0, 0
	global_load_dword v1, v0, s[20:21] offset:172
	s_waitcnt vmcnt(0)
	v_add_nc_u32_e32 v1, -1, v1
	v_cmp_eq_u32_e32 vcc_lo, 43, v1
	s_cbranch_vccnz .LBB45_294
; %bb.293:
	v_lshlrev_b32_e32 v1, 3, v1
	s_clause 0x3
	buffer_load_dword v2, v1, s[0:3], 0 offen
	buffer_load_dword v3, v1, s[0:3], 0 offen offset:4
	buffer_load_dword v4, off, s[0:3], 0 offset:344
	buffer_load_dword v5, off, s[0:3], 0 offset:348
	s_waitcnt vmcnt(3)
	buffer_store_dword v2, off, s[0:3], 0 offset:344
	s_waitcnt vmcnt(2)
	buffer_store_dword v3, off, s[0:3], 0 offset:348
	s_waitcnt vmcnt(1)
	buffer_store_dword v4, v1, s[0:3], 0 offen
	s_waitcnt vmcnt(0)
	buffer_store_dword v5, v1, s[0:3], 0 offen offset:4
.LBB45_294:
	global_load_dword v0, v0, s[20:21] offset:168
	s_waitcnt vmcnt(0)
	v_add_nc_u32_e32 v0, -1, v0
	v_cmp_eq_u32_e32 vcc_lo, 42, v0
	s_cbranch_vccnz .LBB45_296
; %bb.295:
	v_lshlrev_b32_e32 v0, 3, v0
	s_clause 0x3
	buffer_load_dword v1, v0, s[0:3], 0 offen
	buffer_load_dword v2, v0, s[0:3], 0 offen offset:4
	buffer_load_dword v3, off, s[0:3], 0 offset:340
	buffer_load_dword v4, off, s[0:3], 0 offset:336
	s_waitcnt vmcnt(3)
	buffer_store_dword v1, off, s[0:3], 0 offset:336
	s_waitcnt vmcnt(2)
	buffer_store_dword v2, off, s[0:3], 0 offset:340
	s_waitcnt vmcnt(1)
	buffer_store_dword v3, v0, s[0:3], 0 offen offset:4
	s_waitcnt vmcnt(0)
	buffer_store_dword v4, v0, s[0:3], 0 offen
.LBB45_296:
	v_mov_b32_e32 v0, 0
	global_load_dword v1, v0, s[20:21] offset:164
	s_waitcnt vmcnt(0)
	v_add_nc_u32_e32 v1, -1, v1
	v_cmp_eq_u32_e32 vcc_lo, 41, v1
	s_cbranch_vccnz .LBB45_298
; %bb.297:
	v_lshlrev_b32_e32 v1, 3, v1
	s_clause 0x3
	buffer_load_dword v2, v1, s[0:3], 0 offen
	buffer_load_dword v3, v1, s[0:3], 0 offen offset:4
	buffer_load_dword v4, off, s[0:3], 0 offset:328
	buffer_load_dword v5, off, s[0:3], 0 offset:332
	s_waitcnt vmcnt(3)
	buffer_store_dword v2, off, s[0:3], 0 offset:328
	s_waitcnt vmcnt(2)
	buffer_store_dword v3, off, s[0:3], 0 offset:332
	s_waitcnt vmcnt(1)
	buffer_store_dword v4, v1, s[0:3], 0 offen
	s_waitcnt vmcnt(0)
	buffer_store_dword v5, v1, s[0:3], 0 offen offset:4
.LBB45_298:
	global_load_dword v0, v0, s[20:21] offset:160
	s_waitcnt vmcnt(0)
	v_add_nc_u32_e32 v0, -1, v0
	v_cmp_eq_u32_e32 vcc_lo, 40, v0
	s_cbranch_vccnz .LBB45_300
; %bb.299:
	v_lshlrev_b32_e32 v0, 3, v0
	s_clause 0x3
	buffer_load_dword v1, v0, s[0:3], 0 offen
	buffer_load_dword v2, v0, s[0:3], 0 offen offset:4
	buffer_load_dword v3, off, s[0:3], 0 offset:324
	buffer_load_dword v4, off, s[0:3], 0 offset:320
	s_waitcnt vmcnt(3)
	buffer_store_dword v1, off, s[0:3], 0 offset:320
	s_waitcnt vmcnt(2)
	buffer_store_dword v2, off, s[0:3], 0 offset:324
	s_waitcnt vmcnt(1)
	buffer_store_dword v3, v0, s[0:3], 0 offen offset:4
	s_waitcnt vmcnt(0)
	buffer_store_dword v4, v0, s[0:3], 0 offen
.LBB45_300:
	;; [unrolled: 43-line block ×21, first 2 shown]
	v_mov_b32_e32 v0, 0
	global_load_dword v1, v0, s[20:21] offset:4
	s_waitcnt vmcnt(0)
	v_add_nc_u32_e32 v1, -1, v1
	v_cmp_eq_u32_e32 vcc_lo, 1, v1
	s_cbranch_vccnz .LBB45_378
; %bb.377:
	v_lshlrev_b32_e32 v1, 3, v1
	s_clause 0x3
	buffer_load_dword v2, v1, s[0:3], 0 offen
	buffer_load_dword v3, v1, s[0:3], 0 offen offset:4
	buffer_load_dword v4, off, s[0:3], 0 offset:8
	buffer_load_dword v5, off, s[0:3], 0 offset:12
	s_waitcnt vmcnt(3)
	buffer_store_dword v2, off, s[0:3], 0 offset:8
	s_waitcnt vmcnt(2)
	buffer_store_dword v3, off, s[0:3], 0 offset:12
	s_waitcnt vmcnt(1)
	buffer_store_dword v4, v1, s[0:3], 0 offen
	s_waitcnt vmcnt(0)
	buffer_store_dword v5, v1, s[0:3], 0 offen offset:4
.LBB45_378:
	global_load_dword v0, v0, s[20:21]
	s_waitcnt vmcnt(0)
	v_add_nc_u32_e32 v0, -1, v0
	v_cmp_eq_u32_e32 vcc_lo, 0, v0
	s_cbranch_vccnz .LBB45_380
; %bb.379:
	v_lshlrev_b32_e32 v0, 3, v0
	s_clause 0x3
	buffer_load_dword v1, v0, s[0:3], 0 offen
	buffer_load_dword v2, v0, s[0:3], 0 offen offset:4
	buffer_load_dword v3, off, s[0:3], 0 offset:4
	buffer_load_dword v4, off, s[0:3], 0
	s_waitcnt vmcnt(3)
	buffer_store_dword v1, off, s[0:3], 0
	s_waitcnt vmcnt(2)
	buffer_store_dword v2, off, s[0:3], 0 offset:4
	s_waitcnt vmcnt(1)
	buffer_store_dword v3, v0, s[0:3], 0 offen offset:4
	s_waitcnt vmcnt(0)
	buffer_store_dword v4, v0, s[0:3], 0 offen
.LBB45_380:
	s_clause 0x3e
	buffer_load_dword v0, off, s[0:3], 0
	buffer_load_dword v1, off, s[0:3], 0 offset:4
	buffer_load_dword v2, off, s[0:3], 0 offset:8
	;; [unrolled: 1-line block ×62, first 2 shown]
	s_clause 0x1c
	buffer_load_dword v156, off, s[0:3], 0 offset:252
	buffer_load_dword v157, off, s[0:3], 0 offset:256
	;; [unrolled: 1-line block ×29, first 2 shown]
	s_waitcnt vmcnt(62)
	global_store_dwordx2 v[85:86], v[0:1], off
	global_store_dwordx2 v[89:90], v[2:3], off
	global_store_dwordx2 v[9:10], v[4:5], off
	global_store_dwordx2 v[11:12], v[6:7], off
	global_store_dwordx2 v[13:14], v[101:102], off
	global_store_dwordx2 v[15:16], v[103:104], off
	global_store_dwordx2 v[17:18], v[105:106], off
	global_store_dwordx2 v[19:20], v[107:108], off
	global_store_dwordx2 v[21:22], v[109:110], off
	global_store_dwordx2 v[23:24], v[111:112], off
	global_store_dwordx2 v[25:26], v[113:114], off
	global_store_dwordx2 v[27:28], v[115:116], off
	global_store_dwordx2 v[29:30], v[117:118], off
	global_store_dwordx2 v[31:32], v[119:120], off
	global_store_dwordx2 v[33:34], v[121:122], off
	s_waitcnt vmcnt(60)
	global_store_dwordx2 v[35:36], v[123:124], off
	s_waitcnt vmcnt(58)
	global_store_dwordx2 v[37:38], v[125:126], off
	s_waitcnt vmcnt(56)
	global_store_dwordx2 v[39:40], v[127:128], off
	s_waitcnt vmcnt(54)
	global_store_dwordx2 v[41:42], v[129:130], off
	s_waitcnt vmcnt(52)
	global_store_dwordx2 v[43:44], v[131:132], off
	s_waitcnt vmcnt(50)
	global_store_dwordx2 v[45:46], v[133:134], off
	s_waitcnt vmcnt(48)
	global_store_dwordx2 v[47:48], v[135:136], off
	s_waitcnt vmcnt(46)
	global_store_dwordx2 v[49:50], v[137:138], off
	s_waitcnt vmcnt(44)
	global_store_dwordx2 v[51:52], v[139:140], off
	s_waitcnt vmcnt(42)
	global_store_dwordx2 v[53:54], v[141:142], off
	s_waitcnt vmcnt(40)
	global_store_dwordx2 v[55:56], v[143:144], off
	s_waitcnt vmcnt(38)
	global_store_dwordx2 v[57:58], v[145:146], off
	s_waitcnt vmcnt(36)
	global_store_dwordx2 v[59:60], v[147:148], off
	s_waitcnt vmcnt(34)
	global_store_dwordx2 v[61:62], v[149:150], off
	s_waitcnt vmcnt(32)
	global_store_dwordx2 v[63:64], v[151:152], off
	s_waitcnt vmcnt(30)
	global_store_dwordx2 v[65:66], v[153:154], off
	s_waitcnt vmcnt(28)
	global_store_dwordx2 v[67:68], v[155:156], off
	s_waitcnt vmcnt(26)
	global_store_dwordx2 v[69:70], v[157:158], off
	s_waitcnt vmcnt(24)
	global_store_dwordx2 v[71:72], v[159:160], off
	s_waitcnt vmcnt(22)
	global_store_dwordx2 v[73:74], v[161:162], off
	s_waitcnt vmcnt(20)
	global_store_dwordx2 v[75:76], v[163:164], off
	s_waitcnt vmcnt(18)
	global_store_dwordx2 v[77:78], v[165:166], off
	s_waitcnt vmcnt(16)
	global_store_dwordx2 v[79:80], v[167:168], off
	s_waitcnt vmcnt(14)
	global_store_dwordx2 v[81:82], v[169:170], off
	s_waitcnt vmcnt(12)
	global_store_dwordx2 v[83:84], v[171:172], off
	s_waitcnt vmcnt(10)
	global_store_dwordx2 v[87:88], v[173:174], off
	s_waitcnt vmcnt(8)
	global_store_dwordx2 v[91:92], v[175:176], off
	s_waitcnt vmcnt(6)
	global_store_dwordx2 v[93:94], v[177:178], off
	s_waitcnt vmcnt(4)
	global_store_dwordx2 v[95:96], v[179:180], off
	s_waitcnt vmcnt(2)
	global_store_dwordx2 v[97:98], v[181:182], off
	s_waitcnt vmcnt(0)
	global_store_dwordx2 v[99:100], v[183:184], off
	s_endpgm
	.section	.rodata,"a",@progbits
	.p2align	6, 0x0
	.amdhsa_kernel _ZN9rocsolver6v33100L18getri_kernel_smallILi46E19rocblas_complex_numIfEPS3_EEvT1_iilPiilS6_bb
		.amdhsa_group_segment_fixed_size 740
		.amdhsa_private_segment_fixed_size 384
		.amdhsa_kernarg_size 60
		.amdhsa_user_sgpr_count 6
		.amdhsa_user_sgpr_private_segment_buffer 1
		.amdhsa_user_sgpr_dispatch_ptr 0
		.amdhsa_user_sgpr_queue_ptr 0
		.amdhsa_user_sgpr_kernarg_segment_ptr 1
		.amdhsa_user_sgpr_dispatch_id 0
		.amdhsa_user_sgpr_flat_scratch_init 0
		.amdhsa_user_sgpr_private_segment_size 0
		.amdhsa_wavefront_size32 1
		.amdhsa_uses_dynamic_stack 0
		.amdhsa_system_sgpr_private_segment_wavefront_offset 1
		.amdhsa_system_sgpr_workgroup_id_x 1
		.amdhsa_system_sgpr_workgroup_id_y 0
		.amdhsa_system_sgpr_workgroup_id_z 0
		.amdhsa_system_sgpr_workgroup_info 0
		.amdhsa_system_vgpr_workitem_id 0
		.amdhsa_next_free_vgpr 252
		.amdhsa_next_free_sgpr 23
		.amdhsa_reserve_vcc 1
		.amdhsa_reserve_flat_scratch 0
		.amdhsa_float_round_mode_32 0
		.amdhsa_float_round_mode_16_64 0
		.amdhsa_float_denorm_mode_32 3
		.amdhsa_float_denorm_mode_16_64 3
		.amdhsa_dx10_clamp 1
		.amdhsa_ieee_mode 1
		.amdhsa_fp16_overflow 0
		.amdhsa_workgroup_processor_mode 1
		.amdhsa_memory_ordered 1
		.amdhsa_forward_progress 1
		.amdhsa_shared_vgpr_count 0
		.amdhsa_exception_fp_ieee_invalid_op 0
		.amdhsa_exception_fp_denorm_src 0
		.amdhsa_exception_fp_ieee_div_zero 0
		.amdhsa_exception_fp_ieee_overflow 0
		.amdhsa_exception_fp_ieee_underflow 0
		.amdhsa_exception_fp_ieee_inexact 0
		.amdhsa_exception_int_div_zero 0
	.end_amdhsa_kernel
	.section	.text._ZN9rocsolver6v33100L18getri_kernel_smallILi46E19rocblas_complex_numIfEPS3_EEvT1_iilPiilS6_bb,"axG",@progbits,_ZN9rocsolver6v33100L18getri_kernel_smallILi46E19rocblas_complex_numIfEPS3_EEvT1_iilPiilS6_bb,comdat
.Lfunc_end45:
	.size	_ZN9rocsolver6v33100L18getri_kernel_smallILi46E19rocblas_complex_numIfEPS3_EEvT1_iilPiilS6_bb, .Lfunc_end45-_ZN9rocsolver6v33100L18getri_kernel_smallILi46E19rocblas_complex_numIfEPS3_EEvT1_iilPiilS6_bb
                                        ; -- End function
	.set _ZN9rocsolver6v33100L18getri_kernel_smallILi46E19rocblas_complex_numIfEPS3_EEvT1_iilPiilS6_bb.num_vgpr, 252
	.set _ZN9rocsolver6v33100L18getri_kernel_smallILi46E19rocblas_complex_numIfEPS3_EEvT1_iilPiilS6_bb.num_agpr, 0
	.set _ZN9rocsolver6v33100L18getri_kernel_smallILi46E19rocblas_complex_numIfEPS3_EEvT1_iilPiilS6_bb.numbered_sgpr, 23
	.set _ZN9rocsolver6v33100L18getri_kernel_smallILi46E19rocblas_complex_numIfEPS3_EEvT1_iilPiilS6_bb.num_named_barrier, 0
	.set _ZN9rocsolver6v33100L18getri_kernel_smallILi46E19rocblas_complex_numIfEPS3_EEvT1_iilPiilS6_bb.private_seg_size, 384
	.set _ZN9rocsolver6v33100L18getri_kernel_smallILi46E19rocblas_complex_numIfEPS3_EEvT1_iilPiilS6_bb.uses_vcc, 1
	.set _ZN9rocsolver6v33100L18getri_kernel_smallILi46E19rocblas_complex_numIfEPS3_EEvT1_iilPiilS6_bb.uses_flat_scratch, 0
	.set _ZN9rocsolver6v33100L18getri_kernel_smallILi46E19rocblas_complex_numIfEPS3_EEvT1_iilPiilS6_bb.has_dyn_sized_stack, 0
	.set _ZN9rocsolver6v33100L18getri_kernel_smallILi46E19rocblas_complex_numIfEPS3_EEvT1_iilPiilS6_bb.has_recursion, 0
	.set _ZN9rocsolver6v33100L18getri_kernel_smallILi46E19rocblas_complex_numIfEPS3_EEvT1_iilPiilS6_bb.has_indirect_call, 0
	.section	.AMDGPU.csdata,"",@progbits
; Kernel info:
; codeLenInByte = 84444
; TotalNumSgprs: 25
; NumVgprs: 252
; ScratchSize: 384
; MemoryBound: 0
; FloatMode: 240
; IeeeMode: 1
; LDSByteSize: 740 bytes/workgroup (compile time only)
; SGPRBlocks: 0
; VGPRBlocks: 31
; NumSGPRsForWavesPerEU: 25
; NumVGPRsForWavesPerEU: 252
; Occupancy: 4
; WaveLimiterHint : 1
; COMPUTE_PGM_RSRC2:SCRATCH_EN: 1
; COMPUTE_PGM_RSRC2:USER_SGPR: 6
; COMPUTE_PGM_RSRC2:TRAP_HANDLER: 0
; COMPUTE_PGM_RSRC2:TGID_X_EN: 1
; COMPUTE_PGM_RSRC2:TGID_Y_EN: 0
; COMPUTE_PGM_RSRC2:TGID_Z_EN: 0
; COMPUTE_PGM_RSRC2:TIDIG_COMP_CNT: 0
	.section	.text._ZN9rocsolver6v33100L18getri_kernel_smallILi47E19rocblas_complex_numIfEPS3_EEvT1_iilPiilS6_bb,"axG",@progbits,_ZN9rocsolver6v33100L18getri_kernel_smallILi47E19rocblas_complex_numIfEPS3_EEvT1_iilPiilS6_bb,comdat
	.globl	_ZN9rocsolver6v33100L18getri_kernel_smallILi47E19rocblas_complex_numIfEPS3_EEvT1_iilPiilS6_bb ; -- Begin function _ZN9rocsolver6v33100L18getri_kernel_smallILi47E19rocblas_complex_numIfEPS3_EEvT1_iilPiilS6_bb
	.p2align	8
	.type	_ZN9rocsolver6v33100L18getri_kernel_smallILi47E19rocblas_complex_numIfEPS3_EEvT1_iilPiilS6_bb,@function
_ZN9rocsolver6v33100L18getri_kernel_smallILi47E19rocblas_complex_numIfEPS3_EEvT1_iilPiilS6_bb: ; @_ZN9rocsolver6v33100L18getri_kernel_smallILi47E19rocblas_complex_numIfEPS3_EEvT1_iilPiilS6_bb
; %bb.0:
	s_add_u32 s0, s0, s7
	s_addc_u32 s1, s1, 0
	s_mov_b32 s7, exec_lo
	v_cmpx_gt_u32_e32 47, v0
	s_cbranch_execz .LBB46_202
; %bb.1:
	s_clause 0x2
	s_load_dword s7, s[4:5], 0x38
	s_load_dwordx4 s[16:19], s[4:5], 0x10
	s_load_dwordx4 s[8:11], s[4:5], 0x28
                                        ; implicit-def: $sgpr20_sgpr21
	s_waitcnt lgkmcnt(0)
	s_bitcmp1_b32 s7, 8
	s_cselect_b32 s22, -1, 0
	s_bfe_u32 s12, s7, 0x10008
	s_ashr_i32 s7, s6, 31
	s_cmp_eq_u32 s12, 0
	s_cbranch_scc1 .LBB46_3
; %bb.2:
	s_load_dword s12, s[4:5], 0x20
	s_mul_i32 s13, s8, s7
	s_mul_hi_u32 s14, s8, s6
	s_mul_i32 s9, s9, s6
	s_add_i32 s13, s14, s13
	s_mul_i32 s8, s8, s6
	s_add_i32 s9, s13, s9
	s_lshl_b64 s[8:9], s[8:9], 2
	s_waitcnt lgkmcnt(0)
	s_ashr_i32 s13, s12, 31
	s_add_u32 s14, s18, s8
	s_addc_u32 s15, s19, s9
	s_lshl_b64 s[8:9], s[12:13], 2
	s_add_u32 s20, s14, s8
	s_addc_u32 s21, s15, s9
.LBB46_3:
	s_clause 0x1
	s_load_dwordx4 s[12:15], s[4:5], 0x0
	s_load_dword s8, s[4:5], 0x38
	s_mul_i32 s4, s16, s7
	s_mul_hi_u32 s5, s16, s6
	s_mul_i32 s9, s17, s6
	s_add_i32 s5, s5, s4
	s_mul_i32 s4, s16, s6
	s_add_i32 s5, s5, s9
	s_lshl_b64 s[4:5], s[4:5], 3
	s_waitcnt lgkmcnt(0)
	v_add3_u32 v1, s15, s15, v0
	s_ashr_i32 s17, s14, 31
	s_mov_b32 s16, s14
	s_add_u32 s9, s12, s4
	s_addc_u32 s12, s13, s5
	v_add_nc_u32_e32 v3, s15, v1
	v_ashrrev_i32_e32 v2, 31, v1
	s_lshl_b64 s[4:5], s[16:17], 3
	s_add_u32 s4, s9, s4
	v_add_nc_u32_e32 v5, s15, v3
	v_ashrrev_i32_e32 v4, 31, v3
	v_lshlrev_b64 v[1:2], 3, v[1:2]
	s_addc_u32 s5, s12, s5
	s_mov_b32 s12, s15
	v_ashrrev_i32_e32 v6, 31, v5
	v_add_nc_u32_e32 v7, s15, v5
	v_lshlrev_b64 v[3:4], 3, v[3:4]
	v_add_co_u32 v9, vcc_lo, s4, v1
	v_add_co_ci_u32_e64 v10, null, s5, v2, vcc_lo
	v_lshlrev_b64 v[1:2], 3, v[5:6]
	v_ashrrev_i32_e32 v8, 31, v7
	v_add_nc_u32_e32 v5, s15, v7
	v_add_co_u32 v11, vcc_lo, s4, v3
	v_add_co_ci_u32_e64 v12, null, s5, v4, vcc_lo
	v_lshlrev_b64 v[3:4], 3, v[7:8]
	v_ashrrev_i32_e32 v6, 31, v5
	v_add_nc_u32_e32 v7, s15, v5
	;; [unrolled: 5-line block ×33, first 2 shown]
	v_add_co_u32 v75, vcc_lo, s4, v3
	v_add_co_ci_u32_e64 v76, null, s5, v4, vcc_lo
	v_lshlrev_b64 v[3:4], 3, v[7:8]
	v_add_nc_u32_e32 v7, s15, v5
	v_ashrrev_i32_e32 v6, 31, v5
	v_add_co_u32 v77, vcc_lo, s4, v1
	v_add_co_ci_u32_e64 v78, null, s5, v2, vcc_lo
	v_ashrrev_i32_e32 v8, 31, v7
	v_lshlrev_b64 v[1:2], 3, v[5:6]
	v_add_co_u32 v79, vcc_lo, s4, v3
	v_add_co_ci_u32_e64 v80, null, s5, v4, vcc_lo
	v_lshlrev_b64 v[3:4], 3, v[7:8]
	v_add_co_u32 v81, vcc_lo, s4, v1
	v_add_nc_u32_e32 v1, s15, v7
	v_add_co_ci_u32_e64 v82, null, s5, v2, vcc_lo
	v_add_co_u32 v83, vcc_lo, s4, v3
	v_add_co_ci_u32_e64 v84, null, s5, v4, vcc_lo
	v_add_nc_u32_e32 v4, s15, v1
	v_lshlrev_b32_e32 v3, 3, v0
	v_ashrrev_i32_e32 v2, 31, v1
	s_ashr_i32 s13, s15, 31
	v_add_nc_u32_e32 v93, s15, v4
	v_ashrrev_i32_e32 v5, 31, v4
	v_add_co_u32 v87, s9, s4, v3
	v_lshlrev_b64 v[1:2], 3, v[1:2]
	v_add_nc_u32_e32 v95, s15, v93
	v_ashrrev_i32_e32 v94, 31, v93
	v_add_co_ci_u32_e64 v88, null, s5, 0, s9
	s_lshl_b64 s[12:13], s[12:13], 3
	v_add_nc_u32_e32 v97, s15, v95
	v_ashrrev_i32_e32 v96, 31, v95
	v_lshlrev_b64 v[4:5], 3, v[4:5]
	v_add_co_u32 v91, vcc_lo, v87, s12
	v_add_nc_u32_e32 v99, s15, v97
	v_ashrrev_i32_e32 v98, 31, v97
	v_lshlrev_b64 v[93:94], 3, v[93:94]
	v_add_co_ci_u32_e64 v92, null, s13, v88, vcc_lo
	v_add_nc_u32_e32 v101, s15, v99
	v_ashrrev_i32_e32 v100, 31, v99
	v_add_co_u32 v85, vcc_lo, s4, v1
	v_lshlrev_b64 v[95:96], 3, v[95:96]
	v_ashrrev_i32_e32 v102, 31, v101
	v_add_co_ci_u32_e64 v86, null, s5, v2, vcc_lo
	v_add_co_u32 v89, vcc_lo, s4, v4
	v_lshlrev_b64 v[97:98], 3, v[97:98]
	v_add_co_ci_u32_e64 v90, null, s5, v5, vcc_lo
	v_add_co_u32 v93, vcc_lo, s4, v93
	v_lshlrev_b64 v[99:100], 3, v[99:100]
	;; [unrolled: 3-line block ×3, first 2 shown]
	v_add_co_ci_u32_e64 v96, null, s5, v96, vcc_lo
	v_add_co_u32 v97, vcc_lo, s4, v97
	v_add_co_ci_u32_e64 v98, null, s5, v98, vcc_lo
	v_add_co_u32 v99, vcc_lo, s4, v99
	v_add_co_ci_u32_e64 v100, null, s5, v100, vcc_lo
	v_add_co_u32 v101, vcc_lo, s4, v101
	v_add_co_ci_u32_e64 v102, null, s5, v102, vcc_lo
	s_clause 0x2e
	global_load_dwordx2 v[6:7], v3, s[4:5]
	global_load_dwordx2 v[103:104], v[91:92], off
	global_load_dwordx2 v[105:106], v[9:10], off
	;; [unrolled: 1-line block ×46, first 2 shown]
	s_mov_b32 s5, -1
	s_bitcmp0_b32 s8, 0
	s_waitcnt vmcnt(46)
	buffer_store_dword v7, off, s[0:3], 0 offset:4
	buffer_store_dword v6, off, s[0:3], 0
	s_waitcnt vmcnt(45)
	buffer_store_dword v104, off, s[0:3], 0 offset:12
	buffer_store_dword v103, off, s[0:3], 0 offset:8
	s_waitcnt vmcnt(44)
	buffer_store_dword v106, off, s[0:3], 0 offset:20
	buffer_store_dword v105, off, s[0:3], 0 offset:16
	;; [unrolled: 3-line block ×46, first 2 shown]
	s_cbranch_scc1 .LBB46_200
; %bb.4:
	v_cmp_eq_u32_e64 s4, 0, v0
	s_and_saveexec_b32 s5, s4
; %bb.5:
	v_mov_b32_e32 v1, 0
	ds_write_b32 v1, v1 offset:376
; %bb.6:
	s_or_b32 exec_lo, exec_lo, s5
	v_lshl_add_u32 v5, v0, 3, 0
	s_waitcnt lgkmcnt(0)
	s_waitcnt_vscnt null, 0x0
	s_barrier
	buffer_gl0_inv
	s_clause 0x1
	buffer_load_dword v1, v5, s[0:3], 0 offen
	buffer_load_dword v2, v5, s[0:3], 0 offen offset:4
	s_waitcnt vmcnt(1)
	v_cmp_eq_f32_e32 vcc_lo, 0, v1
	s_waitcnt vmcnt(0)
	v_cmp_eq_f32_e64 s5, 0, v2
	s_and_b32 s5, vcc_lo, s5
	s_and_saveexec_b32 s8, s5
	s_cbranch_execz .LBB46_10
; %bb.7:
	v_mov_b32_e32 v1, 0
	s_mov_b32 s9, 0
	ds_read_b32 v2, v1 offset:376
	s_waitcnt lgkmcnt(0)
	v_readfirstlane_b32 s5, v2
	v_add_nc_u32_e32 v2, 1, v0
	s_cmp_eq_u32 s5, 0
	v_cmp_gt_i32_e32 vcc_lo, s5, v2
	s_cselect_b32 s12, -1, 0
	s_or_b32 s12, s12, vcc_lo
	s_and_b32 exec_lo, exec_lo, s12
	s_cbranch_execz .LBB46_10
; %bb.8:
	v_mov_b32_e32 v4, s5
.LBB46_9:                               ; =>This Inner Loop Header: Depth=1
	ds_cmpst_rtn_b32 v4, v1, v4, v2 offset:376
	s_waitcnt lgkmcnt(0)
	v_cmp_ne_u32_e32 vcc_lo, 0, v4
	v_cmp_le_i32_e64 s5, v4, v2
	s_and_b32 s5, vcc_lo, s5
	s_and_b32 s5, exec_lo, s5
	s_or_b32 s9, s5, s9
	s_andn2_b32 exec_lo, exec_lo, s9
	s_cbranch_execnz .LBB46_9
.LBB46_10:
	s_or_b32 exec_lo, exec_lo, s8
	v_mov_b32_e32 v1, 0
	s_barrier
	buffer_gl0_inv
	ds_read_b32 v2, v1 offset:376
	s_and_saveexec_b32 s5, s4
	s_cbranch_execz .LBB46_12
; %bb.11:
	s_lshl_b64 s[8:9], s[6:7], 2
	s_add_u32 s8, s10, s8
	s_addc_u32 s9, s11, s9
	s_waitcnt lgkmcnt(0)
	global_store_dword v1, v2, s[8:9]
.LBB46_12:
	s_or_b32 exec_lo, exec_lo, s5
	s_waitcnt lgkmcnt(0)
	v_cmp_ne_u32_e32 vcc_lo, 0, v2
	s_mov_b32 s5, 0
	s_cbranch_vccnz .LBB46_200
; %bb.13:
	s_clause 0x1
	buffer_load_dword v2, v5, s[0:3], 0 offen
	buffer_load_dword v4, v5, s[0:3], 0 offen offset:4
                                        ; implicit-def: $vgpr7
                                        ; implicit-def: $vgpr6
                                        ; implicit-def: $vgpr1
	s_waitcnt vmcnt(0)
	v_cmp_ngt_f32_e64 s5, |v2|, |v4|
	s_and_saveexec_b32 s8, s5
	s_xor_b32 s5, exec_lo, s8
	s_cbranch_execz .LBB46_15
; %bb.14:
	v_div_scale_f32 v1, null, v4, v4, v2
	v_div_scale_f32 v8, vcc_lo, v2, v4, v2
	v_rcp_f32_e32 v6, v1
	v_fma_f32 v7, -v1, v6, 1.0
	v_fmac_f32_e32 v6, v7, v6
	v_mul_f32_e32 v7, v8, v6
	v_fma_f32 v103, -v1, v7, v8
	v_fmac_f32_e32 v7, v103, v6
	v_fma_f32 v1, -v1, v7, v8
	v_div_fmas_f32 v1, v1, v6, v7
	v_div_fixup_f32 v1, v1, v4, v2
	v_fmac_f32_e32 v4, v2, v1
	v_div_scale_f32 v2, null, v4, v4, 1.0
	v_rcp_f32_e32 v6, v2
	v_fma_f32 v7, -v2, v6, 1.0
	v_fmac_f32_e32 v6, v7, v6
	v_div_scale_f32 v7, vcc_lo, 1.0, v4, 1.0
	v_mul_f32_e32 v8, v7, v6
	v_fma_f32 v103, -v2, v8, v7
	v_fmac_f32_e32 v8, v103, v6
	v_fma_f32 v2, -v2, v8, v7
	v_div_fmas_f32 v2, v2, v6, v8
	v_div_fixup_f32 v2, v2, v4, 1.0
                                        ; implicit-def: $vgpr4
	v_mul_f32_e32 v7, v1, v2
	v_xor_b32_e32 v6, 0x80000000, v2
                                        ; implicit-def: $vgpr2
	v_xor_b32_e32 v1, 0x80000000, v7
.LBB46_15:
	s_andn2_saveexec_b32 s5, s5
	s_cbranch_execz .LBB46_17
; %bb.16:
	v_div_scale_f32 v1, null, v2, v2, v4
	v_div_scale_f32 v8, vcc_lo, v4, v2, v4
	v_rcp_f32_e32 v6, v1
	v_fma_f32 v7, -v1, v6, 1.0
	v_fmac_f32_e32 v6, v7, v6
	v_mul_f32_e32 v7, v8, v6
	v_fma_f32 v103, -v1, v7, v8
	v_fmac_f32_e32 v7, v103, v6
	v_fma_f32 v1, -v1, v7, v8
	v_div_fmas_f32 v1, v1, v6, v7
	v_div_fixup_f32 v6, v1, v2, v4
	v_fmac_f32_e32 v2, v4, v6
	v_div_scale_f32 v1, null, v2, v2, 1.0
	v_div_scale_f32 v8, vcc_lo, 1.0, v2, 1.0
	v_rcp_f32_e32 v4, v1
	v_fma_f32 v7, -v1, v4, 1.0
	v_fmac_f32_e32 v4, v7, v4
	v_mul_f32_e32 v7, v8, v4
	v_fma_f32 v103, -v1, v7, v8
	v_fmac_f32_e32 v7, v103, v4
	v_fma_f32 v1, -v1, v7, v8
	v_div_fmas_f32 v1, v1, v4, v7
	v_div_fixup_f32 v7, v1, v2, 1.0
	v_xor_b32_e32 v1, 0x80000000, v7
	v_mul_f32_e64 v6, v6, -v7
.LBB46_17:
	s_or_b32 exec_lo, exec_lo, s5
	buffer_store_dword v7, v5, s[0:3], 0 offen
	buffer_store_dword v6, v5, s[0:3], 0 offen offset:4
	s_clause 0x1
	buffer_load_dword v8, off, s[0:3], 0 offset:12
	buffer_load_dword v7, off, s[0:3], 0 offset:8
	v_xor_b32_e32 v2, 0x80000000, v6
	v_add_nc_u32_e32 v4, 0x180, v3
	s_waitcnt vmcnt(0)
	ds_write2_b64 v3, v[1:2], v[7:8] offset1:48
	s_waitcnt lgkmcnt(0)
	s_waitcnt_vscnt null, 0x0
	s_barrier
	buffer_gl0_inv
	s_and_saveexec_b32 s5, s4
	s_cbranch_execz .LBB46_19
; %bb.18:
	s_clause 0x1
	buffer_load_dword v8, v5, s[0:3], 0 offen offset:4
	buffer_load_dword v103, v5, s[0:3], 0 offen
	ds_read_b64 v[1:2], v4
	v_mov_b32_e32 v6, 0
	ds_read_b64 v[6:7], v6 offset:8
	s_waitcnt vmcnt(1) lgkmcnt(1)
	v_mul_f32_e32 v104, v1, v8
	v_mul_f32_e32 v8, v2, v8
	s_waitcnt vmcnt(0)
	v_fmac_f32_e32 v104, v2, v103
	v_fma_f32 v1, v1, v103, -v8
	v_add_f32_e32 v2, 0, v104
	v_add_f32_e32 v1, 0, v1
	s_waitcnt lgkmcnt(0)
	v_mul_f32_e32 v8, v2, v7
	v_mul_f32_e32 v7, v1, v7
	v_fma_f32 v1, v1, v6, -v8
	v_fmac_f32_e32 v7, v2, v6
	buffer_store_dword v1, off, s[0:3], 0 offset:8
	buffer_store_dword v7, off, s[0:3], 0 offset:12
.LBB46_19:
	s_or_b32 exec_lo, exec_lo, s5
	s_waitcnt_vscnt null, 0x0
	s_barrier
	buffer_gl0_inv
	s_clause 0x1
	buffer_load_dword v1, off, s[0:3], 0 offset:16
	buffer_load_dword v2, off, s[0:3], 0 offset:20
	s_mov_b32 s5, exec_lo
	s_waitcnt vmcnt(0)
	ds_write_b64 v4, v[1:2]
	s_waitcnt lgkmcnt(0)
	s_barrier
	buffer_gl0_inv
	v_cmpx_gt_u32_e32 2, v0
	s_cbranch_execz .LBB46_23
; %bb.20:
	s_clause 0x1
	buffer_load_dword v6, v5, s[0:3], 0 offen offset:4
	buffer_load_dword v5, v5, s[0:3], 0 offen
	ds_read_b64 v[1:2], v4
	s_waitcnt vmcnt(1) lgkmcnt(0)
	v_mul_f32_e32 v7, v2, v6
	v_mul_f32_e32 v6, v1, v6
	s_waitcnt vmcnt(0)
	v_fma_f32 v1, v1, v5, -v7
	v_fmac_f32_e32 v6, v2, v5
	v_add_f32_e32 v2, 0, v1
	v_add_f32_e32 v1, 0, v6
	s_and_saveexec_b32 s8, s4
	s_cbranch_execz .LBB46_22
; %bb.21:
	s_clause 0x1
	buffer_load_dword v7, off, s[0:3], 0 offset:12
	buffer_load_dword v8, off, s[0:3], 0 offset:8
	v_mov_b32_e32 v5, 0
	ds_read_b64 v[5:6], v5 offset:392
	s_waitcnt vmcnt(1) lgkmcnt(0)
	v_mul_f32_e32 v103, v5, v7
	v_mul_f32_e32 v7, v6, v7
	s_waitcnt vmcnt(0)
	v_fmac_f32_e32 v103, v6, v8
	v_fma_f32 v5, v5, v8, -v7
	v_add_f32_e32 v1, v1, v103
	v_add_f32_e32 v2, v2, v5
.LBB46_22:
	s_or_b32 exec_lo, exec_lo, s8
	v_mov_b32_e32 v5, 0
	ds_read_b64 v[5:6], v5 offset:16
	s_waitcnt lgkmcnt(0)
	v_mul_f32_e32 v7, v1, v6
	v_mul_f32_e32 v6, v2, v6
	v_fma_f32 v2, v2, v5, -v7
	v_fmac_f32_e32 v6, v1, v5
	buffer_store_dword v2, off, s[0:3], 0 offset:16
	buffer_store_dword v6, off, s[0:3], 0 offset:20
.LBB46_23:
	s_or_b32 exec_lo, exec_lo, s5
	s_waitcnt_vscnt null, 0x0
	s_barrier
	buffer_gl0_inv
	s_clause 0x1
	buffer_load_dword v5, off, s[0:3], 0 offset:24
	buffer_load_dword v6, off, s[0:3], 0 offset:28
	v_add_nc_u32_e32 v1, -1, v0
	s_mov_b32 s4, exec_lo
	s_waitcnt vmcnt(0)
	ds_write_b64 v4, v[5:6]
	s_waitcnt lgkmcnt(0)
	s_barrier
	buffer_gl0_inv
	v_cmpx_gt_u32_e32 3, v0
	s_cbranch_execz .LBB46_27
; %bb.24:
	v_add_nc_u32_e32 v5, -1, v0
	v_add_nc_u32_e32 v6, 0x180, v3
	v_mov_b32_e32 v7, v3
	v_mov_b32_e32 v2, 0
	;; [unrolled: 1-line block ×3, first 2 shown]
	s_mov_b32 s5, 0
	.p2align	6
.LBB46_25:                              ; =>This Inner Loop Header: Depth=1
	s_clause 0x1
	buffer_load_dword v105, v7, s[0:3], 0 offen offset:4
	buffer_load_dword v106, v7, s[0:3], 0 offen
	ds_read_b64 v[103:104], v6
	v_add_nc_u32_e32 v5, 1, v5
	v_add_nc_u32_e32 v6, 8, v6
	;; [unrolled: 1-line block ×3, first 2 shown]
	v_cmp_lt_u32_e32 vcc_lo, 1, v5
	s_or_b32 s5, vcc_lo, s5
	s_waitcnt vmcnt(1) lgkmcnt(0)
	v_mul_f32_e32 v107, v104, v105
	v_mul_f32_e32 v105, v103, v105
	s_waitcnt vmcnt(0)
	v_fma_f32 v103, v103, v106, -v107
	v_fmac_f32_e32 v105, v104, v106
	v_add_f32_e32 v8, v8, v103
	v_add_f32_e32 v2, v2, v105
	s_andn2_b32 exec_lo, exec_lo, s5
	s_cbranch_execnz .LBB46_25
; %bb.26:
	s_or_b32 exec_lo, exec_lo, s5
	v_mov_b32_e32 v5, 0
	ds_read_b64 v[5:6], v5 offset:24
	s_waitcnt lgkmcnt(0)
	v_mul_f32_e32 v7, v2, v6
	v_mul_f32_e32 v6, v8, v6
	v_fma_f32 v7, v8, v5, -v7
	v_fmac_f32_e32 v6, v2, v5
	buffer_store_dword v7, off, s[0:3], 0 offset:24
	buffer_store_dword v6, off, s[0:3], 0 offset:28
.LBB46_27:
	s_or_b32 exec_lo, exec_lo, s4
	s_waitcnt_vscnt null, 0x0
	s_barrier
	buffer_gl0_inv
	s_clause 0x1
	buffer_load_dword v5, off, s[0:3], 0 offset:32
	buffer_load_dword v6, off, s[0:3], 0 offset:36
	s_mov_b32 s4, exec_lo
	s_waitcnt vmcnt(0)
	ds_write_b64 v4, v[5:6]
	s_waitcnt lgkmcnt(0)
	s_barrier
	buffer_gl0_inv
	v_cmpx_gt_u32_e32 4, v0
	s_cbranch_execz .LBB46_31
; %bb.28:
	v_add_nc_u32_e32 v5, -1, v0
	v_add_nc_u32_e32 v6, 0x180, v3
	v_mov_b32_e32 v7, v3
	v_mov_b32_e32 v2, 0
	;; [unrolled: 1-line block ×3, first 2 shown]
	s_mov_b32 s5, 0
	.p2align	6
.LBB46_29:                              ; =>This Inner Loop Header: Depth=1
	s_clause 0x1
	buffer_load_dword v105, v7, s[0:3], 0 offen offset:4
	buffer_load_dword v106, v7, s[0:3], 0 offen
	ds_read_b64 v[103:104], v6
	v_add_nc_u32_e32 v5, 1, v5
	v_add_nc_u32_e32 v6, 8, v6
	;; [unrolled: 1-line block ×3, first 2 shown]
	v_cmp_lt_u32_e32 vcc_lo, 2, v5
	s_or_b32 s5, vcc_lo, s5
	s_waitcnt vmcnt(1) lgkmcnt(0)
	v_mul_f32_e32 v107, v104, v105
	v_mul_f32_e32 v105, v103, v105
	s_waitcnt vmcnt(0)
	v_fma_f32 v103, v103, v106, -v107
	v_fmac_f32_e32 v105, v104, v106
	v_add_f32_e32 v8, v8, v103
	v_add_f32_e32 v2, v2, v105
	s_andn2_b32 exec_lo, exec_lo, s5
	s_cbranch_execnz .LBB46_29
; %bb.30:
	s_or_b32 exec_lo, exec_lo, s5
	v_mov_b32_e32 v5, 0
	ds_read_b64 v[5:6], v5 offset:32
	s_waitcnt lgkmcnt(0)
	v_mul_f32_e32 v7, v2, v6
	v_mul_f32_e32 v6, v8, v6
	v_fma_f32 v7, v8, v5, -v7
	v_fmac_f32_e32 v6, v2, v5
	buffer_store_dword v7, off, s[0:3], 0 offset:32
	buffer_store_dword v6, off, s[0:3], 0 offset:36
.LBB46_31:
	s_or_b32 exec_lo, exec_lo, s4
	s_waitcnt_vscnt null, 0x0
	s_barrier
	buffer_gl0_inv
	s_clause 0x1
	buffer_load_dword v5, off, s[0:3], 0 offset:40
	buffer_load_dword v6, off, s[0:3], 0 offset:44
	s_mov_b32 s4, exec_lo
	s_waitcnt vmcnt(0)
	ds_write_b64 v4, v[5:6]
	s_waitcnt lgkmcnt(0)
	s_barrier
	buffer_gl0_inv
	v_cmpx_gt_u32_e32 5, v0
	s_cbranch_execz .LBB46_35
; %bb.32:
	v_add_nc_u32_e32 v5, -1, v0
	v_add_nc_u32_e32 v6, 0x180, v3
	v_mov_b32_e32 v7, v3
	v_mov_b32_e32 v2, 0
	;; [unrolled: 1-line block ×3, first 2 shown]
	s_mov_b32 s5, 0
	.p2align	6
.LBB46_33:                              ; =>This Inner Loop Header: Depth=1
	s_clause 0x1
	buffer_load_dword v105, v7, s[0:3], 0 offen offset:4
	buffer_load_dword v106, v7, s[0:3], 0 offen
	ds_read_b64 v[103:104], v6
	v_add_nc_u32_e32 v5, 1, v5
	v_add_nc_u32_e32 v6, 8, v6
	;; [unrolled: 1-line block ×3, first 2 shown]
	v_cmp_lt_u32_e32 vcc_lo, 3, v5
	s_or_b32 s5, vcc_lo, s5
	s_waitcnt vmcnt(1) lgkmcnt(0)
	v_mul_f32_e32 v107, v104, v105
	v_mul_f32_e32 v105, v103, v105
	s_waitcnt vmcnt(0)
	v_fma_f32 v103, v103, v106, -v107
	v_fmac_f32_e32 v105, v104, v106
	v_add_f32_e32 v8, v8, v103
	v_add_f32_e32 v2, v2, v105
	s_andn2_b32 exec_lo, exec_lo, s5
	s_cbranch_execnz .LBB46_33
; %bb.34:
	s_or_b32 exec_lo, exec_lo, s5
	v_mov_b32_e32 v5, 0
	ds_read_b64 v[5:6], v5 offset:40
	s_waitcnt lgkmcnt(0)
	v_mul_f32_e32 v7, v2, v6
	v_mul_f32_e32 v6, v8, v6
	v_fma_f32 v7, v8, v5, -v7
	v_fmac_f32_e32 v6, v2, v5
	buffer_store_dword v7, off, s[0:3], 0 offset:40
	buffer_store_dword v6, off, s[0:3], 0 offset:44
.LBB46_35:
	s_or_b32 exec_lo, exec_lo, s4
	s_waitcnt_vscnt null, 0x0
	s_barrier
	buffer_gl0_inv
	s_clause 0x1
	buffer_load_dword v5, off, s[0:3], 0 offset:48
	buffer_load_dword v6, off, s[0:3], 0 offset:52
	s_mov_b32 s4, exec_lo
	s_waitcnt vmcnt(0)
	ds_write_b64 v4, v[5:6]
	s_waitcnt lgkmcnt(0)
	s_barrier
	buffer_gl0_inv
	v_cmpx_gt_u32_e32 6, v0
	s_cbranch_execz .LBB46_39
; %bb.36:
	v_add_nc_u32_e32 v5, -1, v0
	v_add_nc_u32_e32 v6, 0x180, v3
	v_mov_b32_e32 v7, v3
	v_mov_b32_e32 v2, 0
	;; [unrolled: 1-line block ×3, first 2 shown]
	s_mov_b32 s5, 0
	.p2align	6
.LBB46_37:                              ; =>This Inner Loop Header: Depth=1
	s_clause 0x1
	buffer_load_dword v105, v7, s[0:3], 0 offen offset:4
	buffer_load_dword v106, v7, s[0:3], 0 offen
	ds_read_b64 v[103:104], v6
	v_add_nc_u32_e32 v5, 1, v5
	v_add_nc_u32_e32 v6, 8, v6
	;; [unrolled: 1-line block ×3, first 2 shown]
	v_cmp_lt_u32_e32 vcc_lo, 4, v5
	s_or_b32 s5, vcc_lo, s5
	s_waitcnt vmcnt(1) lgkmcnt(0)
	v_mul_f32_e32 v107, v104, v105
	v_mul_f32_e32 v105, v103, v105
	s_waitcnt vmcnt(0)
	v_fma_f32 v103, v103, v106, -v107
	v_fmac_f32_e32 v105, v104, v106
	v_add_f32_e32 v8, v8, v103
	v_add_f32_e32 v2, v2, v105
	s_andn2_b32 exec_lo, exec_lo, s5
	s_cbranch_execnz .LBB46_37
; %bb.38:
	s_or_b32 exec_lo, exec_lo, s5
	v_mov_b32_e32 v5, 0
	ds_read_b64 v[5:6], v5 offset:48
	s_waitcnt lgkmcnt(0)
	v_mul_f32_e32 v7, v2, v6
	v_mul_f32_e32 v6, v8, v6
	v_fma_f32 v7, v8, v5, -v7
	v_fmac_f32_e32 v6, v2, v5
	buffer_store_dword v7, off, s[0:3], 0 offset:48
	buffer_store_dword v6, off, s[0:3], 0 offset:52
.LBB46_39:
	s_or_b32 exec_lo, exec_lo, s4
	s_waitcnt_vscnt null, 0x0
	s_barrier
	buffer_gl0_inv
	s_clause 0x1
	buffer_load_dword v5, off, s[0:3], 0 offset:56
	buffer_load_dword v6, off, s[0:3], 0 offset:60
	s_mov_b32 s4, exec_lo
	s_waitcnt vmcnt(0)
	ds_write_b64 v4, v[5:6]
	s_waitcnt lgkmcnt(0)
	s_barrier
	buffer_gl0_inv
	v_cmpx_gt_u32_e32 7, v0
	s_cbranch_execz .LBB46_43
; %bb.40:
	v_add_nc_u32_e32 v5, -1, v0
	v_add_nc_u32_e32 v6, 0x180, v3
	v_mov_b32_e32 v7, v3
	v_mov_b32_e32 v2, 0
	;; [unrolled: 1-line block ×3, first 2 shown]
	s_mov_b32 s5, 0
	.p2align	6
.LBB46_41:                              ; =>This Inner Loop Header: Depth=1
	s_clause 0x1
	buffer_load_dword v105, v7, s[0:3], 0 offen offset:4
	buffer_load_dword v106, v7, s[0:3], 0 offen
	ds_read_b64 v[103:104], v6
	v_add_nc_u32_e32 v5, 1, v5
	v_add_nc_u32_e32 v6, 8, v6
	;; [unrolled: 1-line block ×3, first 2 shown]
	v_cmp_lt_u32_e32 vcc_lo, 5, v5
	s_or_b32 s5, vcc_lo, s5
	s_waitcnt vmcnt(1) lgkmcnt(0)
	v_mul_f32_e32 v107, v104, v105
	v_mul_f32_e32 v105, v103, v105
	s_waitcnt vmcnt(0)
	v_fma_f32 v103, v103, v106, -v107
	v_fmac_f32_e32 v105, v104, v106
	v_add_f32_e32 v8, v8, v103
	v_add_f32_e32 v2, v2, v105
	s_andn2_b32 exec_lo, exec_lo, s5
	s_cbranch_execnz .LBB46_41
; %bb.42:
	s_or_b32 exec_lo, exec_lo, s5
	v_mov_b32_e32 v5, 0
	ds_read_b64 v[5:6], v5 offset:56
	s_waitcnt lgkmcnt(0)
	v_mul_f32_e32 v7, v2, v6
	v_mul_f32_e32 v6, v8, v6
	v_fma_f32 v7, v8, v5, -v7
	v_fmac_f32_e32 v6, v2, v5
	buffer_store_dword v7, off, s[0:3], 0 offset:56
	buffer_store_dword v6, off, s[0:3], 0 offset:60
.LBB46_43:
	s_or_b32 exec_lo, exec_lo, s4
	s_waitcnt_vscnt null, 0x0
	s_barrier
	buffer_gl0_inv
	s_clause 0x1
	buffer_load_dword v5, off, s[0:3], 0 offset:64
	buffer_load_dword v6, off, s[0:3], 0 offset:68
	s_mov_b32 s4, exec_lo
	s_waitcnt vmcnt(0)
	ds_write_b64 v4, v[5:6]
	s_waitcnt lgkmcnt(0)
	s_barrier
	buffer_gl0_inv
	v_cmpx_gt_u32_e32 8, v0
	s_cbranch_execz .LBB46_47
; %bb.44:
	v_add_nc_u32_e32 v5, -1, v0
	v_add_nc_u32_e32 v6, 0x180, v3
	v_mov_b32_e32 v7, v3
	v_mov_b32_e32 v2, 0
	;; [unrolled: 1-line block ×3, first 2 shown]
	s_mov_b32 s5, 0
	.p2align	6
.LBB46_45:                              ; =>This Inner Loop Header: Depth=1
	s_clause 0x1
	buffer_load_dword v105, v7, s[0:3], 0 offen offset:4
	buffer_load_dword v106, v7, s[0:3], 0 offen
	ds_read_b64 v[103:104], v6
	v_add_nc_u32_e32 v5, 1, v5
	v_add_nc_u32_e32 v6, 8, v6
	;; [unrolled: 1-line block ×3, first 2 shown]
	v_cmp_lt_u32_e32 vcc_lo, 6, v5
	s_or_b32 s5, vcc_lo, s5
	s_waitcnt vmcnt(1) lgkmcnt(0)
	v_mul_f32_e32 v107, v104, v105
	v_mul_f32_e32 v105, v103, v105
	s_waitcnt vmcnt(0)
	v_fma_f32 v103, v103, v106, -v107
	v_fmac_f32_e32 v105, v104, v106
	v_add_f32_e32 v8, v8, v103
	v_add_f32_e32 v2, v2, v105
	s_andn2_b32 exec_lo, exec_lo, s5
	s_cbranch_execnz .LBB46_45
; %bb.46:
	s_or_b32 exec_lo, exec_lo, s5
	v_mov_b32_e32 v5, 0
	ds_read_b64 v[5:6], v5 offset:64
	s_waitcnt lgkmcnt(0)
	v_mul_f32_e32 v7, v2, v6
	v_mul_f32_e32 v6, v8, v6
	v_fma_f32 v7, v8, v5, -v7
	v_fmac_f32_e32 v6, v2, v5
	buffer_store_dword v7, off, s[0:3], 0 offset:64
	buffer_store_dword v6, off, s[0:3], 0 offset:68
.LBB46_47:
	s_or_b32 exec_lo, exec_lo, s4
	s_waitcnt_vscnt null, 0x0
	s_barrier
	buffer_gl0_inv
	s_clause 0x1
	buffer_load_dword v5, off, s[0:3], 0 offset:72
	buffer_load_dword v6, off, s[0:3], 0 offset:76
	s_mov_b32 s4, exec_lo
	s_waitcnt vmcnt(0)
	ds_write_b64 v4, v[5:6]
	s_waitcnt lgkmcnt(0)
	s_barrier
	buffer_gl0_inv
	v_cmpx_gt_u32_e32 9, v0
	s_cbranch_execz .LBB46_51
; %bb.48:
	v_add_nc_u32_e32 v5, -1, v0
	v_add_nc_u32_e32 v6, 0x180, v3
	v_mov_b32_e32 v7, v3
	v_mov_b32_e32 v2, 0
	v_mov_b32_e32 v8, 0
	s_mov_b32 s5, 0
	.p2align	6
.LBB46_49:                              ; =>This Inner Loop Header: Depth=1
	s_clause 0x1
	buffer_load_dword v105, v7, s[0:3], 0 offen offset:4
	buffer_load_dword v106, v7, s[0:3], 0 offen
	ds_read_b64 v[103:104], v6
	v_add_nc_u32_e32 v5, 1, v5
	v_add_nc_u32_e32 v6, 8, v6
	v_add_nc_u32_e32 v7, 8, v7
	v_cmp_lt_u32_e32 vcc_lo, 7, v5
	s_or_b32 s5, vcc_lo, s5
	s_waitcnt vmcnt(1) lgkmcnt(0)
	v_mul_f32_e32 v107, v104, v105
	v_mul_f32_e32 v105, v103, v105
	s_waitcnt vmcnt(0)
	v_fma_f32 v103, v103, v106, -v107
	v_fmac_f32_e32 v105, v104, v106
	v_add_f32_e32 v8, v8, v103
	v_add_f32_e32 v2, v2, v105
	s_andn2_b32 exec_lo, exec_lo, s5
	s_cbranch_execnz .LBB46_49
; %bb.50:
	s_or_b32 exec_lo, exec_lo, s5
	v_mov_b32_e32 v5, 0
	ds_read_b64 v[5:6], v5 offset:72
	s_waitcnt lgkmcnt(0)
	v_mul_f32_e32 v7, v2, v6
	v_mul_f32_e32 v6, v8, v6
	v_fma_f32 v7, v8, v5, -v7
	v_fmac_f32_e32 v6, v2, v5
	buffer_store_dword v7, off, s[0:3], 0 offset:72
	buffer_store_dword v6, off, s[0:3], 0 offset:76
.LBB46_51:
	s_or_b32 exec_lo, exec_lo, s4
	s_waitcnt_vscnt null, 0x0
	s_barrier
	buffer_gl0_inv
	s_clause 0x1
	buffer_load_dword v5, off, s[0:3], 0 offset:80
	buffer_load_dword v6, off, s[0:3], 0 offset:84
	s_mov_b32 s4, exec_lo
	s_waitcnt vmcnt(0)
	ds_write_b64 v4, v[5:6]
	s_waitcnt lgkmcnt(0)
	s_barrier
	buffer_gl0_inv
	v_cmpx_gt_u32_e32 10, v0
	s_cbranch_execz .LBB46_55
; %bb.52:
	v_add_nc_u32_e32 v5, -1, v0
	v_add_nc_u32_e32 v6, 0x180, v3
	v_mov_b32_e32 v7, v3
	v_mov_b32_e32 v2, 0
	;; [unrolled: 1-line block ×3, first 2 shown]
	s_mov_b32 s5, 0
	.p2align	6
.LBB46_53:                              ; =>This Inner Loop Header: Depth=1
	s_clause 0x1
	buffer_load_dword v105, v7, s[0:3], 0 offen offset:4
	buffer_load_dword v106, v7, s[0:3], 0 offen
	ds_read_b64 v[103:104], v6
	v_add_nc_u32_e32 v5, 1, v5
	v_add_nc_u32_e32 v6, 8, v6
	;; [unrolled: 1-line block ×3, first 2 shown]
	v_cmp_lt_u32_e32 vcc_lo, 8, v5
	s_or_b32 s5, vcc_lo, s5
	s_waitcnt vmcnt(1) lgkmcnt(0)
	v_mul_f32_e32 v107, v104, v105
	v_mul_f32_e32 v105, v103, v105
	s_waitcnt vmcnt(0)
	v_fma_f32 v103, v103, v106, -v107
	v_fmac_f32_e32 v105, v104, v106
	v_add_f32_e32 v8, v8, v103
	v_add_f32_e32 v2, v2, v105
	s_andn2_b32 exec_lo, exec_lo, s5
	s_cbranch_execnz .LBB46_53
; %bb.54:
	s_or_b32 exec_lo, exec_lo, s5
	v_mov_b32_e32 v5, 0
	ds_read_b64 v[5:6], v5 offset:80
	s_waitcnt lgkmcnt(0)
	v_mul_f32_e32 v7, v2, v6
	v_mul_f32_e32 v6, v8, v6
	v_fma_f32 v7, v8, v5, -v7
	v_fmac_f32_e32 v6, v2, v5
	buffer_store_dword v7, off, s[0:3], 0 offset:80
	buffer_store_dword v6, off, s[0:3], 0 offset:84
.LBB46_55:
	s_or_b32 exec_lo, exec_lo, s4
	s_waitcnt_vscnt null, 0x0
	s_barrier
	buffer_gl0_inv
	s_clause 0x1
	buffer_load_dword v5, off, s[0:3], 0 offset:88
	buffer_load_dword v6, off, s[0:3], 0 offset:92
	s_mov_b32 s4, exec_lo
	s_waitcnt vmcnt(0)
	ds_write_b64 v4, v[5:6]
	s_waitcnt lgkmcnt(0)
	s_barrier
	buffer_gl0_inv
	v_cmpx_gt_u32_e32 11, v0
	s_cbranch_execz .LBB46_59
; %bb.56:
	v_add_nc_u32_e32 v5, -1, v0
	v_add_nc_u32_e32 v6, 0x180, v3
	v_mov_b32_e32 v7, v3
	v_mov_b32_e32 v2, 0
	;; [unrolled: 1-line block ×3, first 2 shown]
	s_mov_b32 s5, 0
	.p2align	6
.LBB46_57:                              ; =>This Inner Loop Header: Depth=1
	s_clause 0x1
	buffer_load_dword v105, v7, s[0:3], 0 offen offset:4
	buffer_load_dword v106, v7, s[0:3], 0 offen
	ds_read_b64 v[103:104], v6
	v_add_nc_u32_e32 v5, 1, v5
	v_add_nc_u32_e32 v6, 8, v6
	;; [unrolled: 1-line block ×3, first 2 shown]
	v_cmp_lt_u32_e32 vcc_lo, 9, v5
	s_or_b32 s5, vcc_lo, s5
	s_waitcnt vmcnt(1) lgkmcnt(0)
	v_mul_f32_e32 v107, v104, v105
	v_mul_f32_e32 v105, v103, v105
	s_waitcnt vmcnt(0)
	v_fma_f32 v103, v103, v106, -v107
	v_fmac_f32_e32 v105, v104, v106
	v_add_f32_e32 v8, v8, v103
	v_add_f32_e32 v2, v2, v105
	s_andn2_b32 exec_lo, exec_lo, s5
	s_cbranch_execnz .LBB46_57
; %bb.58:
	s_or_b32 exec_lo, exec_lo, s5
	v_mov_b32_e32 v5, 0
	ds_read_b64 v[5:6], v5 offset:88
	s_waitcnt lgkmcnt(0)
	v_mul_f32_e32 v7, v2, v6
	v_mul_f32_e32 v6, v8, v6
	v_fma_f32 v7, v8, v5, -v7
	v_fmac_f32_e32 v6, v2, v5
	buffer_store_dword v7, off, s[0:3], 0 offset:88
	buffer_store_dword v6, off, s[0:3], 0 offset:92
.LBB46_59:
	s_or_b32 exec_lo, exec_lo, s4
	s_waitcnt_vscnt null, 0x0
	s_barrier
	buffer_gl0_inv
	s_clause 0x1
	buffer_load_dword v5, off, s[0:3], 0 offset:96
	buffer_load_dword v6, off, s[0:3], 0 offset:100
	s_mov_b32 s4, exec_lo
	s_waitcnt vmcnt(0)
	ds_write_b64 v4, v[5:6]
	s_waitcnt lgkmcnt(0)
	s_barrier
	buffer_gl0_inv
	v_cmpx_gt_u32_e32 12, v0
	s_cbranch_execz .LBB46_63
; %bb.60:
	v_add_nc_u32_e32 v5, -1, v0
	v_add_nc_u32_e32 v6, 0x180, v3
	v_mov_b32_e32 v7, v3
	v_mov_b32_e32 v2, 0
	;; [unrolled: 1-line block ×3, first 2 shown]
	s_mov_b32 s5, 0
	.p2align	6
.LBB46_61:                              ; =>This Inner Loop Header: Depth=1
	s_clause 0x1
	buffer_load_dword v105, v7, s[0:3], 0 offen offset:4
	buffer_load_dword v106, v7, s[0:3], 0 offen
	ds_read_b64 v[103:104], v6
	v_add_nc_u32_e32 v5, 1, v5
	v_add_nc_u32_e32 v6, 8, v6
	;; [unrolled: 1-line block ×3, first 2 shown]
	v_cmp_lt_u32_e32 vcc_lo, 10, v5
	s_or_b32 s5, vcc_lo, s5
	s_waitcnt vmcnt(1) lgkmcnt(0)
	v_mul_f32_e32 v107, v104, v105
	v_mul_f32_e32 v105, v103, v105
	s_waitcnt vmcnt(0)
	v_fma_f32 v103, v103, v106, -v107
	v_fmac_f32_e32 v105, v104, v106
	v_add_f32_e32 v8, v8, v103
	v_add_f32_e32 v2, v2, v105
	s_andn2_b32 exec_lo, exec_lo, s5
	s_cbranch_execnz .LBB46_61
; %bb.62:
	s_or_b32 exec_lo, exec_lo, s5
	v_mov_b32_e32 v5, 0
	ds_read_b64 v[5:6], v5 offset:96
	s_waitcnt lgkmcnt(0)
	v_mul_f32_e32 v7, v2, v6
	v_mul_f32_e32 v6, v8, v6
	v_fma_f32 v7, v8, v5, -v7
	v_fmac_f32_e32 v6, v2, v5
	buffer_store_dword v7, off, s[0:3], 0 offset:96
	buffer_store_dword v6, off, s[0:3], 0 offset:100
.LBB46_63:
	s_or_b32 exec_lo, exec_lo, s4
	s_waitcnt_vscnt null, 0x0
	s_barrier
	buffer_gl0_inv
	s_clause 0x1
	buffer_load_dword v5, off, s[0:3], 0 offset:104
	buffer_load_dword v6, off, s[0:3], 0 offset:108
	s_mov_b32 s4, exec_lo
	s_waitcnt vmcnt(0)
	ds_write_b64 v4, v[5:6]
	s_waitcnt lgkmcnt(0)
	s_barrier
	buffer_gl0_inv
	v_cmpx_gt_u32_e32 13, v0
	s_cbranch_execz .LBB46_67
; %bb.64:
	v_add_nc_u32_e32 v5, -1, v0
	v_add_nc_u32_e32 v6, 0x180, v3
	v_mov_b32_e32 v7, v3
	v_mov_b32_e32 v2, 0
	;; [unrolled: 1-line block ×3, first 2 shown]
	s_mov_b32 s5, 0
	.p2align	6
.LBB46_65:                              ; =>This Inner Loop Header: Depth=1
	s_clause 0x1
	buffer_load_dword v105, v7, s[0:3], 0 offen offset:4
	buffer_load_dword v106, v7, s[0:3], 0 offen
	ds_read_b64 v[103:104], v6
	v_add_nc_u32_e32 v5, 1, v5
	v_add_nc_u32_e32 v6, 8, v6
	v_add_nc_u32_e32 v7, 8, v7
	v_cmp_lt_u32_e32 vcc_lo, 11, v5
	s_or_b32 s5, vcc_lo, s5
	s_waitcnt vmcnt(1) lgkmcnt(0)
	v_mul_f32_e32 v107, v104, v105
	v_mul_f32_e32 v105, v103, v105
	s_waitcnt vmcnt(0)
	v_fma_f32 v103, v103, v106, -v107
	v_fmac_f32_e32 v105, v104, v106
	v_add_f32_e32 v8, v8, v103
	v_add_f32_e32 v2, v2, v105
	s_andn2_b32 exec_lo, exec_lo, s5
	s_cbranch_execnz .LBB46_65
; %bb.66:
	s_or_b32 exec_lo, exec_lo, s5
	v_mov_b32_e32 v5, 0
	ds_read_b64 v[5:6], v5 offset:104
	s_waitcnt lgkmcnt(0)
	v_mul_f32_e32 v7, v2, v6
	v_mul_f32_e32 v6, v8, v6
	v_fma_f32 v7, v8, v5, -v7
	v_fmac_f32_e32 v6, v2, v5
	buffer_store_dword v7, off, s[0:3], 0 offset:104
	buffer_store_dword v6, off, s[0:3], 0 offset:108
.LBB46_67:
	s_or_b32 exec_lo, exec_lo, s4
	s_waitcnt_vscnt null, 0x0
	s_barrier
	buffer_gl0_inv
	s_clause 0x1
	buffer_load_dword v5, off, s[0:3], 0 offset:112
	buffer_load_dword v6, off, s[0:3], 0 offset:116
	s_mov_b32 s4, exec_lo
	s_waitcnt vmcnt(0)
	ds_write_b64 v4, v[5:6]
	s_waitcnt lgkmcnt(0)
	s_barrier
	buffer_gl0_inv
	v_cmpx_gt_u32_e32 14, v0
	s_cbranch_execz .LBB46_71
; %bb.68:
	v_add_nc_u32_e32 v5, -1, v0
	v_add_nc_u32_e32 v6, 0x180, v3
	v_mov_b32_e32 v7, v3
	v_mov_b32_e32 v2, 0
	;; [unrolled: 1-line block ×3, first 2 shown]
	s_mov_b32 s5, 0
	.p2align	6
.LBB46_69:                              ; =>This Inner Loop Header: Depth=1
	s_clause 0x1
	buffer_load_dword v105, v7, s[0:3], 0 offen offset:4
	buffer_load_dword v106, v7, s[0:3], 0 offen
	ds_read_b64 v[103:104], v6
	v_add_nc_u32_e32 v5, 1, v5
	v_add_nc_u32_e32 v6, 8, v6
	;; [unrolled: 1-line block ×3, first 2 shown]
	v_cmp_lt_u32_e32 vcc_lo, 12, v5
	s_or_b32 s5, vcc_lo, s5
	s_waitcnt vmcnt(1) lgkmcnt(0)
	v_mul_f32_e32 v107, v104, v105
	v_mul_f32_e32 v105, v103, v105
	s_waitcnt vmcnt(0)
	v_fma_f32 v103, v103, v106, -v107
	v_fmac_f32_e32 v105, v104, v106
	v_add_f32_e32 v8, v8, v103
	v_add_f32_e32 v2, v2, v105
	s_andn2_b32 exec_lo, exec_lo, s5
	s_cbranch_execnz .LBB46_69
; %bb.70:
	s_or_b32 exec_lo, exec_lo, s5
	v_mov_b32_e32 v5, 0
	ds_read_b64 v[5:6], v5 offset:112
	s_waitcnt lgkmcnt(0)
	v_mul_f32_e32 v7, v2, v6
	v_mul_f32_e32 v6, v8, v6
	v_fma_f32 v7, v8, v5, -v7
	v_fmac_f32_e32 v6, v2, v5
	buffer_store_dword v7, off, s[0:3], 0 offset:112
	buffer_store_dword v6, off, s[0:3], 0 offset:116
.LBB46_71:
	s_or_b32 exec_lo, exec_lo, s4
	s_waitcnt_vscnt null, 0x0
	s_barrier
	buffer_gl0_inv
	s_clause 0x1
	buffer_load_dword v5, off, s[0:3], 0 offset:120
	buffer_load_dword v6, off, s[0:3], 0 offset:124
	s_mov_b32 s4, exec_lo
	s_waitcnt vmcnt(0)
	ds_write_b64 v4, v[5:6]
	s_waitcnt lgkmcnt(0)
	s_barrier
	buffer_gl0_inv
	v_cmpx_gt_u32_e32 15, v0
	s_cbranch_execz .LBB46_75
; %bb.72:
	v_add_nc_u32_e32 v5, -1, v0
	v_add_nc_u32_e32 v6, 0x180, v3
	v_mov_b32_e32 v7, v3
	v_mov_b32_e32 v2, 0
	;; [unrolled: 1-line block ×3, first 2 shown]
	s_mov_b32 s5, 0
	.p2align	6
.LBB46_73:                              ; =>This Inner Loop Header: Depth=1
	s_clause 0x1
	buffer_load_dword v105, v7, s[0:3], 0 offen offset:4
	buffer_load_dword v106, v7, s[0:3], 0 offen
	ds_read_b64 v[103:104], v6
	v_add_nc_u32_e32 v5, 1, v5
	v_add_nc_u32_e32 v6, 8, v6
	v_add_nc_u32_e32 v7, 8, v7
	v_cmp_lt_u32_e32 vcc_lo, 13, v5
	s_or_b32 s5, vcc_lo, s5
	s_waitcnt vmcnt(1) lgkmcnt(0)
	v_mul_f32_e32 v107, v104, v105
	v_mul_f32_e32 v105, v103, v105
	s_waitcnt vmcnt(0)
	v_fma_f32 v103, v103, v106, -v107
	v_fmac_f32_e32 v105, v104, v106
	v_add_f32_e32 v8, v8, v103
	v_add_f32_e32 v2, v2, v105
	s_andn2_b32 exec_lo, exec_lo, s5
	s_cbranch_execnz .LBB46_73
; %bb.74:
	s_or_b32 exec_lo, exec_lo, s5
	v_mov_b32_e32 v5, 0
	ds_read_b64 v[5:6], v5 offset:120
	s_waitcnt lgkmcnt(0)
	v_mul_f32_e32 v7, v2, v6
	v_mul_f32_e32 v6, v8, v6
	v_fma_f32 v7, v8, v5, -v7
	v_fmac_f32_e32 v6, v2, v5
	buffer_store_dword v7, off, s[0:3], 0 offset:120
	buffer_store_dword v6, off, s[0:3], 0 offset:124
.LBB46_75:
	s_or_b32 exec_lo, exec_lo, s4
	s_waitcnt_vscnt null, 0x0
	s_barrier
	buffer_gl0_inv
	s_clause 0x1
	buffer_load_dword v5, off, s[0:3], 0 offset:128
	buffer_load_dword v6, off, s[0:3], 0 offset:132
	s_mov_b32 s4, exec_lo
	s_waitcnt vmcnt(0)
	ds_write_b64 v4, v[5:6]
	s_waitcnt lgkmcnt(0)
	s_barrier
	buffer_gl0_inv
	v_cmpx_gt_u32_e32 16, v0
	s_cbranch_execz .LBB46_79
; %bb.76:
	v_add_nc_u32_e32 v5, -1, v0
	v_add_nc_u32_e32 v6, 0x180, v3
	v_mov_b32_e32 v7, v3
	v_mov_b32_e32 v2, 0
	;; [unrolled: 1-line block ×3, first 2 shown]
	s_mov_b32 s5, 0
	.p2align	6
.LBB46_77:                              ; =>This Inner Loop Header: Depth=1
	s_clause 0x1
	buffer_load_dword v105, v7, s[0:3], 0 offen offset:4
	buffer_load_dword v106, v7, s[0:3], 0 offen
	ds_read_b64 v[103:104], v6
	v_add_nc_u32_e32 v5, 1, v5
	v_add_nc_u32_e32 v6, 8, v6
	;; [unrolled: 1-line block ×3, first 2 shown]
	v_cmp_lt_u32_e32 vcc_lo, 14, v5
	s_or_b32 s5, vcc_lo, s5
	s_waitcnt vmcnt(1) lgkmcnt(0)
	v_mul_f32_e32 v107, v104, v105
	v_mul_f32_e32 v105, v103, v105
	s_waitcnt vmcnt(0)
	v_fma_f32 v103, v103, v106, -v107
	v_fmac_f32_e32 v105, v104, v106
	v_add_f32_e32 v8, v8, v103
	v_add_f32_e32 v2, v2, v105
	s_andn2_b32 exec_lo, exec_lo, s5
	s_cbranch_execnz .LBB46_77
; %bb.78:
	s_or_b32 exec_lo, exec_lo, s5
	v_mov_b32_e32 v5, 0
	ds_read_b64 v[5:6], v5 offset:128
	s_waitcnt lgkmcnt(0)
	v_mul_f32_e32 v7, v2, v6
	v_mul_f32_e32 v6, v8, v6
	v_fma_f32 v7, v8, v5, -v7
	v_fmac_f32_e32 v6, v2, v5
	buffer_store_dword v7, off, s[0:3], 0 offset:128
	buffer_store_dword v6, off, s[0:3], 0 offset:132
.LBB46_79:
	s_or_b32 exec_lo, exec_lo, s4
	s_waitcnt_vscnt null, 0x0
	s_barrier
	buffer_gl0_inv
	s_clause 0x1
	buffer_load_dword v5, off, s[0:3], 0 offset:136
	buffer_load_dword v6, off, s[0:3], 0 offset:140
	s_mov_b32 s4, exec_lo
	s_waitcnt vmcnt(0)
	ds_write_b64 v4, v[5:6]
	s_waitcnt lgkmcnt(0)
	s_barrier
	buffer_gl0_inv
	v_cmpx_gt_u32_e32 17, v0
	s_cbranch_execz .LBB46_83
; %bb.80:
	v_add_nc_u32_e32 v5, -1, v0
	v_add_nc_u32_e32 v6, 0x180, v3
	v_mov_b32_e32 v7, v3
	v_mov_b32_e32 v2, 0
	;; [unrolled: 1-line block ×3, first 2 shown]
	s_mov_b32 s5, 0
	.p2align	6
.LBB46_81:                              ; =>This Inner Loop Header: Depth=1
	s_clause 0x1
	buffer_load_dword v105, v7, s[0:3], 0 offen offset:4
	buffer_load_dword v106, v7, s[0:3], 0 offen
	ds_read_b64 v[103:104], v6
	v_add_nc_u32_e32 v5, 1, v5
	v_add_nc_u32_e32 v6, 8, v6
	v_add_nc_u32_e32 v7, 8, v7
	v_cmp_lt_u32_e32 vcc_lo, 15, v5
	s_or_b32 s5, vcc_lo, s5
	s_waitcnt vmcnt(1) lgkmcnt(0)
	v_mul_f32_e32 v107, v104, v105
	v_mul_f32_e32 v105, v103, v105
	s_waitcnt vmcnt(0)
	v_fma_f32 v103, v103, v106, -v107
	v_fmac_f32_e32 v105, v104, v106
	v_add_f32_e32 v8, v8, v103
	v_add_f32_e32 v2, v2, v105
	s_andn2_b32 exec_lo, exec_lo, s5
	s_cbranch_execnz .LBB46_81
; %bb.82:
	s_or_b32 exec_lo, exec_lo, s5
	v_mov_b32_e32 v5, 0
	ds_read_b64 v[5:6], v5 offset:136
	s_waitcnt lgkmcnt(0)
	v_mul_f32_e32 v7, v2, v6
	v_mul_f32_e32 v6, v8, v6
	v_fma_f32 v7, v8, v5, -v7
	v_fmac_f32_e32 v6, v2, v5
	buffer_store_dword v7, off, s[0:3], 0 offset:136
	buffer_store_dword v6, off, s[0:3], 0 offset:140
.LBB46_83:
	s_or_b32 exec_lo, exec_lo, s4
	s_waitcnt_vscnt null, 0x0
	s_barrier
	buffer_gl0_inv
	s_clause 0x1
	buffer_load_dword v5, off, s[0:3], 0 offset:144
	buffer_load_dword v6, off, s[0:3], 0 offset:148
	s_mov_b32 s4, exec_lo
	s_waitcnt vmcnt(0)
	ds_write_b64 v4, v[5:6]
	s_waitcnt lgkmcnt(0)
	s_barrier
	buffer_gl0_inv
	v_cmpx_gt_u32_e32 18, v0
	s_cbranch_execz .LBB46_87
; %bb.84:
	v_add_nc_u32_e32 v5, -1, v0
	v_add_nc_u32_e32 v6, 0x180, v3
	v_mov_b32_e32 v7, v3
	v_mov_b32_e32 v2, 0
	;; [unrolled: 1-line block ×3, first 2 shown]
	s_mov_b32 s5, 0
	.p2align	6
.LBB46_85:                              ; =>This Inner Loop Header: Depth=1
	s_clause 0x1
	buffer_load_dword v105, v7, s[0:3], 0 offen offset:4
	buffer_load_dword v106, v7, s[0:3], 0 offen
	ds_read_b64 v[103:104], v6
	v_add_nc_u32_e32 v5, 1, v5
	v_add_nc_u32_e32 v6, 8, v6
	;; [unrolled: 1-line block ×3, first 2 shown]
	v_cmp_lt_u32_e32 vcc_lo, 16, v5
	s_or_b32 s5, vcc_lo, s5
	s_waitcnt vmcnt(1) lgkmcnt(0)
	v_mul_f32_e32 v107, v104, v105
	v_mul_f32_e32 v105, v103, v105
	s_waitcnt vmcnt(0)
	v_fma_f32 v103, v103, v106, -v107
	v_fmac_f32_e32 v105, v104, v106
	v_add_f32_e32 v8, v8, v103
	v_add_f32_e32 v2, v2, v105
	s_andn2_b32 exec_lo, exec_lo, s5
	s_cbranch_execnz .LBB46_85
; %bb.86:
	s_or_b32 exec_lo, exec_lo, s5
	v_mov_b32_e32 v5, 0
	ds_read_b64 v[5:6], v5 offset:144
	s_waitcnt lgkmcnt(0)
	v_mul_f32_e32 v7, v2, v6
	v_mul_f32_e32 v6, v8, v6
	v_fma_f32 v7, v8, v5, -v7
	v_fmac_f32_e32 v6, v2, v5
	buffer_store_dword v7, off, s[0:3], 0 offset:144
	buffer_store_dword v6, off, s[0:3], 0 offset:148
.LBB46_87:
	s_or_b32 exec_lo, exec_lo, s4
	s_waitcnt_vscnt null, 0x0
	s_barrier
	buffer_gl0_inv
	s_clause 0x1
	buffer_load_dword v5, off, s[0:3], 0 offset:152
	buffer_load_dword v6, off, s[0:3], 0 offset:156
	s_mov_b32 s4, exec_lo
	s_waitcnt vmcnt(0)
	ds_write_b64 v4, v[5:6]
	s_waitcnt lgkmcnt(0)
	s_barrier
	buffer_gl0_inv
	v_cmpx_gt_u32_e32 19, v0
	s_cbranch_execz .LBB46_91
; %bb.88:
	v_add_nc_u32_e32 v5, -1, v0
	v_add_nc_u32_e32 v6, 0x180, v3
	v_mov_b32_e32 v7, v3
	v_mov_b32_e32 v2, 0
	;; [unrolled: 1-line block ×3, first 2 shown]
	s_mov_b32 s5, 0
	.p2align	6
.LBB46_89:                              ; =>This Inner Loop Header: Depth=1
	s_clause 0x1
	buffer_load_dword v105, v7, s[0:3], 0 offen offset:4
	buffer_load_dword v106, v7, s[0:3], 0 offen
	ds_read_b64 v[103:104], v6
	v_add_nc_u32_e32 v5, 1, v5
	v_add_nc_u32_e32 v6, 8, v6
	;; [unrolled: 1-line block ×3, first 2 shown]
	v_cmp_lt_u32_e32 vcc_lo, 17, v5
	s_or_b32 s5, vcc_lo, s5
	s_waitcnt vmcnt(1) lgkmcnt(0)
	v_mul_f32_e32 v107, v104, v105
	v_mul_f32_e32 v105, v103, v105
	s_waitcnt vmcnt(0)
	v_fma_f32 v103, v103, v106, -v107
	v_fmac_f32_e32 v105, v104, v106
	v_add_f32_e32 v8, v8, v103
	v_add_f32_e32 v2, v2, v105
	s_andn2_b32 exec_lo, exec_lo, s5
	s_cbranch_execnz .LBB46_89
; %bb.90:
	s_or_b32 exec_lo, exec_lo, s5
	v_mov_b32_e32 v5, 0
	ds_read_b64 v[5:6], v5 offset:152
	s_waitcnt lgkmcnt(0)
	v_mul_f32_e32 v7, v2, v6
	v_mul_f32_e32 v6, v8, v6
	v_fma_f32 v7, v8, v5, -v7
	v_fmac_f32_e32 v6, v2, v5
	buffer_store_dword v7, off, s[0:3], 0 offset:152
	buffer_store_dword v6, off, s[0:3], 0 offset:156
.LBB46_91:
	s_or_b32 exec_lo, exec_lo, s4
	s_waitcnt_vscnt null, 0x0
	s_barrier
	buffer_gl0_inv
	s_clause 0x1
	buffer_load_dword v5, off, s[0:3], 0 offset:160
	buffer_load_dword v6, off, s[0:3], 0 offset:164
	s_mov_b32 s4, exec_lo
	s_waitcnt vmcnt(0)
	ds_write_b64 v4, v[5:6]
	s_waitcnt lgkmcnt(0)
	s_barrier
	buffer_gl0_inv
	v_cmpx_gt_u32_e32 20, v0
	s_cbranch_execz .LBB46_95
; %bb.92:
	v_add_nc_u32_e32 v5, -1, v0
	v_add_nc_u32_e32 v6, 0x180, v3
	v_mov_b32_e32 v7, v3
	v_mov_b32_e32 v2, 0
	;; [unrolled: 1-line block ×3, first 2 shown]
	s_mov_b32 s5, 0
	.p2align	6
.LBB46_93:                              ; =>This Inner Loop Header: Depth=1
	s_clause 0x1
	buffer_load_dword v105, v7, s[0:3], 0 offen offset:4
	buffer_load_dword v106, v7, s[0:3], 0 offen
	ds_read_b64 v[103:104], v6
	v_add_nc_u32_e32 v5, 1, v5
	v_add_nc_u32_e32 v6, 8, v6
	;; [unrolled: 1-line block ×3, first 2 shown]
	v_cmp_lt_u32_e32 vcc_lo, 18, v5
	s_or_b32 s5, vcc_lo, s5
	s_waitcnt vmcnt(1) lgkmcnt(0)
	v_mul_f32_e32 v107, v104, v105
	v_mul_f32_e32 v105, v103, v105
	s_waitcnt vmcnt(0)
	v_fma_f32 v103, v103, v106, -v107
	v_fmac_f32_e32 v105, v104, v106
	v_add_f32_e32 v8, v8, v103
	v_add_f32_e32 v2, v2, v105
	s_andn2_b32 exec_lo, exec_lo, s5
	s_cbranch_execnz .LBB46_93
; %bb.94:
	s_or_b32 exec_lo, exec_lo, s5
	v_mov_b32_e32 v5, 0
	ds_read_b64 v[5:6], v5 offset:160
	s_waitcnt lgkmcnt(0)
	v_mul_f32_e32 v7, v2, v6
	v_mul_f32_e32 v6, v8, v6
	v_fma_f32 v7, v8, v5, -v7
	v_fmac_f32_e32 v6, v2, v5
	buffer_store_dword v7, off, s[0:3], 0 offset:160
	buffer_store_dword v6, off, s[0:3], 0 offset:164
.LBB46_95:
	s_or_b32 exec_lo, exec_lo, s4
	s_waitcnt_vscnt null, 0x0
	s_barrier
	buffer_gl0_inv
	s_clause 0x1
	buffer_load_dword v5, off, s[0:3], 0 offset:168
	buffer_load_dword v6, off, s[0:3], 0 offset:172
	s_mov_b32 s4, exec_lo
	s_waitcnt vmcnt(0)
	ds_write_b64 v4, v[5:6]
	s_waitcnt lgkmcnt(0)
	s_barrier
	buffer_gl0_inv
	v_cmpx_gt_u32_e32 21, v0
	s_cbranch_execz .LBB46_99
; %bb.96:
	v_add_nc_u32_e32 v5, -1, v0
	v_add_nc_u32_e32 v6, 0x180, v3
	v_mov_b32_e32 v7, v3
	v_mov_b32_e32 v2, 0
	;; [unrolled: 1-line block ×3, first 2 shown]
	s_mov_b32 s5, 0
	.p2align	6
.LBB46_97:                              ; =>This Inner Loop Header: Depth=1
	s_clause 0x1
	buffer_load_dword v105, v7, s[0:3], 0 offen offset:4
	buffer_load_dword v106, v7, s[0:3], 0 offen
	ds_read_b64 v[103:104], v6
	v_add_nc_u32_e32 v5, 1, v5
	v_add_nc_u32_e32 v6, 8, v6
	;; [unrolled: 1-line block ×3, first 2 shown]
	v_cmp_lt_u32_e32 vcc_lo, 19, v5
	s_or_b32 s5, vcc_lo, s5
	s_waitcnt vmcnt(1) lgkmcnt(0)
	v_mul_f32_e32 v107, v104, v105
	v_mul_f32_e32 v105, v103, v105
	s_waitcnt vmcnt(0)
	v_fma_f32 v103, v103, v106, -v107
	v_fmac_f32_e32 v105, v104, v106
	v_add_f32_e32 v8, v8, v103
	v_add_f32_e32 v2, v2, v105
	s_andn2_b32 exec_lo, exec_lo, s5
	s_cbranch_execnz .LBB46_97
; %bb.98:
	s_or_b32 exec_lo, exec_lo, s5
	v_mov_b32_e32 v5, 0
	ds_read_b64 v[5:6], v5 offset:168
	s_waitcnt lgkmcnt(0)
	v_mul_f32_e32 v7, v2, v6
	v_mul_f32_e32 v6, v8, v6
	v_fma_f32 v7, v8, v5, -v7
	v_fmac_f32_e32 v6, v2, v5
	buffer_store_dword v7, off, s[0:3], 0 offset:168
	buffer_store_dword v6, off, s[0:3], 0 offset:172
.LBB46_99:
	s_or_b32 exec_lo, exec_lo, s4
	s_waitcnt_vscnt null, 0x0
	s_barrier
	buffer_gl0_inv
	s_clause 0x1
	buffer_load_dword v5, off, s[0:3], 0 offset:176
	buffer_load_dword v6, off, s[0:3], 0 offset:180
	s_mov_b32 s4, exec_lo
	s_waitcnt vmcnt(0)
	ds_write_b64 v4, v[5:6]
	s_waitcnt lgkmcnt(0)
	s_barrier
	buffer_gl0_inv
	v_cmpx_gt_u32_e32 22, v0
	s_cbranch_execz .LBB46_103
; %bb.100:
	v_add_nc_u32_e32 v5, -1, v0
	v_add_nc_u32_e32 v6, 0x180, v3
	v_mov_b32_e32 v7, v3
	v_mov_b32_e32 v2, 0
	;; [unrolled: 1-line block ×3, first 2 shown]
	s_mov_b32 s5, 0
	.p2align	6
.LBB46_101:                             ; =>This Inner Loop Header: Depth=1
	s_clause 0x1
	buffer_load_dword v105, v7, s[0:3], 0 offen offset:4
	buffer_load_dword v106, v7, s[0:3], 0 offen
	ds_read_b64 v[103:104], v6
	v_add_nc_u32_e32 v5, 1, v5
	v_add_nc_u32_e32 v6, 8, v6
	;; [unrolled: 1-line block ×3, first 2 shown]
	v_cmp_lt_u32_e32 vcc_lo, 20, v5
	s_or_b32 s5, vcc_lo, s5
	s_waitcnt vmcnt(1) lgkmcnt(0)
	v_mul_f32_e32 v107, v104, v105
	v_mul_f32_e32 v105, v103, v105
	s_waitcnt vmcnt(0)
	v_fma_f32 v103, v103, v106, -v107
	v_fmac_f32_e32 v105, v104, v106
	v_add_f32_e32 v8, v8, v103
	v_add_f32_e32 v2, v2, v105
	s_andn2_b32 exec_lo, exec_lo, s5
	s_cbranch_execnz .LBB46_101
; %bb.102:
	s_or_b32 exec_lo, exec_lo, s5
	v_mov_b32_e32 v5, 0
	ds_read_b64 v[5:6], v5 offset:176
	s_waitcnt lgkmcnt(0)
	v_mul_f32_e32 v7, v2, v6
	v_mul_f32_e32 v6, v8, v6
	v_fma_f32 v7, v8, v5, -v7
	v_fmac_f32_e32 v6, v2, v5
	buffer_store_dword v7, off, s[0:3], 0 offset:176
	buffer_store_dword v6, off, s[0:3], 0 offset:180
.LBB46_103:
	s_or_b32 exec_lo, exec_lo, s4
	s_waitcnt_vscnt null, 0x0
	s_barrier
	buffer_gl0_inv
	s_clause 0x1
	buffer_load_dword v5, off, s[0:3], 0 offset:184
	buffer_load_dword v6, off, s[0:3], 0 offset:188
	s_mov_b32 s4, exec_lo
	s_waitcnt vmcnt(0)
	ds_write_b64 v4, v[5:6]
	s_waitcnt lgkmcnt(0)
	s_barrier
	buffer_gl0_inv
	v_cmpx_gt_u32_e32 23, v0
	s_cbranch_execz .LBB46_107
; %bb.104:
	v_add_nc_u32_e32 v5, -1, v0
	v_add_nc_u32_e32 v6, 0x180, v3
	v_mov_b32_e32 v7, v3
	v_mov_b32_e32 v2, 0
	v_mov_b32_e32 v8, 0
	s_mov_b32 s5, 0
	.p2align	6
.LBB46_105:                             ; =>This Inner Loop Header: Depth=1
	s_clause 0x1
	buffer_load_dword v105, v7, s[0:3], 0 offen offset:4
	buffer_load_dword v106, v7, s[0:3], 0 offen
	ds_read_b64 v[103:104], v6
	v_add_nc_u32_e32 v5, 1, v5
	v_add_nc_u32_e32 v6, 8, v6
	;; [unrolled: 1-line block ×3, first 2 shown]
	v_cmp_lt_u32_e32 vcc_lo, 21, v5
	s_or_b32 s5, vcc_lo, s5
	s_waitcnt vmcnt(1) lgkmcnt(0)
	v_mul_f32_e32 v107, v104, v105
	v_mul_f32_e32 v105, v103, v105
	s_waitcnt vmcnt(0)
	v_fma_f32 v103, v103, v106, -v107
	v_fmac_f32_e32 v105, v104, v106
	v_add_f32_e32 v8, v8, v103
	v_add_f32_e32 v2, v2, v105
	s_andn2_b32 exec_lo, exec_lo, s5
	s_cbranch_execnz .LBB46_105
; %bb.106:
	s_or_b32 exec_lo, exec_lo, s5
	v_mov_b32_e32 v5, 0
	ds_read_b64 v[5:6], v5 offset:184
	s_waitcnt lgkmcnt(0)
	v_mul_f32_e32 v7, v2, v6
	v_mul_f32_e32 v6, v8, v6
	v_fma_f32 v7, v8, v5, -v7
	v_fmac_f32_e32 v6, v2, v5
	buffer_store_dword v7, off, s[0:3], 0 offset:184
	buffer_store_dword v6, off, s[0:3], 0 offset:188
.LBB46_107:
	s_or_b32 exec_lo, exec_lo, s4
	s_waitcnt_vscnt null, 0x0
	s_barrier
	buffer_gl0_inv
	s_clause 0x1
	buffer_load_dword v5, off, s[0:3], 0 offset:192
	buffer_load_dword v6, off, s[0:3], 0 offset:196
	s_mov_b32 s4, exec_lo
	s_waitcnt vmcnt(0)
	ds_write_b64 v4, v[5:6]
	s_waitcnt lgkmcnt(0)
	s_barrier
	buffer_gl0_inv
	v_cmpx_gt_u32_e32 24, v0
	s_cbranch_execz .LBB46_111
; %bb.108:
	v_add_nc_u32_e32 v5, -1, v0
	v_add_nc_u32_e32 v6, 0x180, v3
	v_mov_b32_e32 v7, v3
	v_mov_b32_e32 v2, 0
	;; [unrolled: 1-line block ×3, first 2 shown]
	s_mov_b32 s5, 0
	.p2align	6
.LBB46_109:                             ; =>This Inner Loop Header: Depth=1
	s_clause 0x1
	buffer_load_dword v105, v7, s[0:3], 0 offen offset:4
	buffer_load_dword v106, v7, s[0:3], 0 offen
	ds_read_b64 v[103:104], v6
	v_add_nc_u32_e32 v5, 1, v5
	v_add_nc_u32_e32 v6, 8, v6
	;; [unrolled: 1-line block ×3, first 2 shown]
	v_cmp_lt_u32_e32 vcc_lo, 22, v5
	s_or_b32 s5, vcc_lo, s5
	s_waitcnt vmcnt(1) lgkmcnt(0)
	v_mul_f32_e32 v107, v104, v105
	v_mul_f32_e32 v105, v103, v105
	s_waitcnt vmcnt(0)
	v_fma_f32 v103, v103, v106, -v107
	v_fmac_f32_e32 v105, v104, v106
	v_add_f32_e32 v8, v8, v103
	v_add_f32_e32 v2, v2, v105
	s_andn2_b32 exec_lo, exec_lo, s5
	s_cbranch_execnz .LBB46_109
; %bb.110:
	s_or_b32 exec_lo, exec_lo, s5
	v_mov_b32_e32 v5, 0
	ds_read_b64 v[5:6], v5 offset:192
	s_waitcnt lgkmcnt(0)
	v_mul_f32_e32 v7, v2, v6
	v_mul_f32_e32 v6, v8, v6
	v_fma_f32 v7, v8, v5, -v7
	v_fmac_f32_e32 v6, v2, v5
	buffer_store_dword v7, off, s[0:3], 0 offset:192
	buffer_store_dword v6, off, s[0:3], 0 offset:196
.LBB46_111:
	s_or_b32 exec_lo, exec_lo, s4
	s_waitcnt_vscnt null, 0x0
	s_barrier
	buffer_gl0_inv
	s_clause 0x1
	buffer_load_dword v5, off, s[0:3], 0 offset:200
	buffer_load_dword v6, off, s[0:3], 0 offset:204
	s_mov_b32 s4, exec_lo
	s_waitcnt vmcnt(0)
	ds_write_b64 v4, v[5:6]
	s_waitcnt lgkmcnt(0)
	s_barrier
	buffer_gl0_inv
	v_cmpx_gt_u32_e32 25, v0
	s_cbranch_execz .LBB46_115
; %bb.112:
	v_add_nc_u32_e32 v5, -1, v0
	v_add_nc_u32_e32 v6, 0x180, v3
	v_mov_b32_e32 v7, v3
	v_mov_b32_e32 v2, 0
	;; [unrolled: 1-line block ×3, first 2 shown]
	s_mov_b32 s5, 0
	.p2align	6
.LBB46_113:                             ; =>This Inner Loop Header: Depth=1
	s_clause 0x1
	buffer_load_dword v105, v7, s[0:3], 0 offen offset:4
	buffer_load_dword v106, v7, s[0:3], 0 offen
	ds_read_b64 v[103:104], v6
	v_add_nc_u32_e32 v5, 1, v5
	v_add_nc_u32_e32 v6, 8, v6
	;; [unrolled: 1-line block ×3, first 2 shown]
	v_cmp_lt_u32_e32 vcc_lo, 23, v5
	s_or_b32 s5, vcc_lo, s5
	s_waitcnt vmcnt(1) lgkmcnt(0)
	v_mul_f32_e32 v107, v104, v105
	v_mul_f32_e32 v105, v103, v105
	s_waitcnt vmcnt(0)
	v_fma_f32 v103, v103, v106, -v107
	v_fmac_f32_e32 v105, v104, v106
	v_add_f32_e32 v8, v8, v103
	v_add_f32_e32 v2, v2, v105
	s_andn2_b32 exec_lo, exec_lo, s5
	s_cbranch_execnz .LBB46_113
; %bb.114:
	s_or_b32 exec_lo, exec_lo, s5
	v_mov_b32_e32 v5, 0
	ds_read_b64 v[5:6], v5 offset:200
	s_waitcnt lgkmcnt(0)
	v_mul_f32_e32 v7, v2, v6
	v_mul_f32_e32 v6, v8, v6
	v_fma_f32 v7, v8, v5, -v7
	v_fmac_f32_e32 v6, v2, v5
	buffer_store_dword v7, off, s[0:3], 0 offset:200
	buffer_store_dword v6, off, s[0:3], 0 offset:204
.LBB46_115:
	s_or_b32 exec_lo, exec_lo, s4
	s_waitcnt_vscnt null, 0x0
	s_barrier
	buffer_gl0_inv
	s_clause 0x1
	buffer_load_dword v5, off, s[0:3], 0 offset:208
	buffer_load_dword v6, off, s[0:3], 0 offset:212
	s_mov_b32 s4, exec_lo
	s_waitcnt vmcnt(0)
	ds_write_b64 v4, v[5:6]
	s_waitcnt lgkmcnt(0)
	s_barrier
	buffer_gl0_inv
	v_cmpx_gt_u32_e32 26, v0
	s_cbranch_execz .LBB46_119
; %bb.116:
	v_add_nc_u32_e32 v5, -1, v0
	v_add_nc_u32_e32 v6, 0x180, v3
	v_mov_b32_e32 v7, v3
	v_mov_b32_e32 v2, 0
	;; [unrolled: 1-line block ×3, first 2 shown]
	s_mov_b32 s5, 0
	.p2align	6
.LBB46_117:                             ; =>This Inner Loop Header: Depth=1
	s_clause 0x1
	buffer_load_dword v105, v7, s[0:3], 0 offen offset:4
	buffer_load_dword v106, v7, s[0:3], 0 offen
	ds_read_b64 v[103:104], v6
	v_add_nc_u32_e32 v5, 1, v5
	v_add_nc_u32_e32 v6, 8, v6
	;; [unrolled: 1-line block ×3, first 2 shown]
	v_cmp_lt_u32_e32 vcc_lo, 24, v5
	s_or_b32 s5, vcc_lo, s5
	s_waitcnt vmcnt(1) lgkmcnt(0)
	v_mul_f32_e32 v107, v104, v105
	v_mul_f32_e32 v105, v103, v105
	s_waitcnt vmcnt(0)
	v_fma_f32 v103, v103, v106, -v107
	v_fmac_f32_e32 v105, v104, v106
	v_add_f32_e32 v8, v8, v103
	v_add_f32_e32 v2, v2, v105
	s_andn2_b32 exec_lo, exec_lo, s5
	s_cbranch_execnz .LBB46_117
; %bb.118:
	s_or_b32 exec_lo, exec_lo, s5
	v_mov_b32_e32 v5, 0
	ds_read_b64 v[5:6], v5 offset:208
	s_waitcnt lgkmcnt(0)
	v_mul_f32_e32 v7, v2, v6
	v_mul_f32_e32 v6, v8, v6
	v_fma_f32 v7, v8, v5, -v7
	v_fmac_f32_e32 v6, v2, v5
	buffer_store_dword v7, off, s[0:3], 0 offset:208
	buffer_store_dword v6, off, s[0:3], 0 offset:212
.LBB46_119:
	s_or_b32 exec_lo, exec_lo, s4
	s_waitcnt_vscnt null, 0x0
	s_barrier
	buffer_gl0_inv
	s_clause 0x1
	buffer_load_dword v5, off, s[0:3], 0 offset:216
	buffer_load_dword v6, off, s[0:3], 0 offset:220
	s_mov_b32 s4, exec_lo
	s_waitcnt vmcnt(0)
	ds_write_b64 v4, v[5:6]
	s_waitcnt lgkmcnt(0)
	s_barrier
	buffer_gl0_inv
	v_cmpx_gt_u32_e32 27, v0
	s_cbranch_execz .LBB46_123
; %bb.120:
	v_add_nc_u32_e32 v5, -1, v0
	v_add_nc_u32_e32 v6, 0x180, v3
	v_mov_b32_e32 v7, v3
	v_mov_b32_e32 v2, 0
	;; [unrolled: 1-line block ×3, first 2 shown]
	s_mov_b32 s5, 0
	.p2align	6
.LBB46_121:                             ; =>This Inner Loop Header: Depth=1
	s_clause 0x1
	buffer_load_dword v105, v7, s[0:3], 0 offen offset:4
	buffer_load_dword v106, v7, s[0:3], 0 offen
	ds_read_b64 v[103:104], v6
	v_add_nc_u32_e32 v5, 1, v5
	v_add_nc_u32_e32 v6, 8, v6
	;; [unrolled: 1-line block ×3, first 2 shown]
	v_cmp_lt_u32_e32 vcc_lo, 25, v5
	s_or_b32 s5, vcc_lo, s5
	s_waitcnt vmcnt(1) lgkmcnt(0)
	v_mul_f32_e32 v107, v104, v105
	v_mul_f32_e32 v105, v103, v105
	s_waitcnt vmcnt(0)
	v_fma_f32 v103, v103, v106, -v107
	v_fmac_f32_e32 v105, v104, v106
	v_add_f32_e32 v8, v8, v103
	v_add_f32_e32 v2, v2, v105
	s_andn2_b32 exec_lo, exec_lo, s5
	s_cbranch_execnz .LBB46_121
; %bb.122:
	s_or_b32 exec_lo, exec_lo, s5
	v_mov_b32_e32 v5, 0
	ds_read_b64 v[5:6], v5 offset:216
	s_waitcnt lgkmcnt(0)
	v_mul_f32_e32 v7, v2, v6
	v_mul_f32_e32 v6, v8, v6
	v_fma_f32 v7, v8, v5, -v7
	v_fmac_f32_e32 v6, v2, v5
	buffer_store_dword v7, off, s[0:3], 0 offset:216
	buffer_store_dword v6, off, s[0:3], 0 offset:220
.LBB46_123:
	s_or_b32 exec_lo, exec_lo, s4
	s_waitcnt_vscnt null, 0x0
	s_barrier
	buffer_gl0_inv
	s_clause 0x1
	buffer_load_dword v5, off, s[0:3], 0 offset:224
	buffer_load_dword v6, off, s[0:3], 0 offset:228
	s_mov_b32 s4, exec_lo
	s_waitcnt vmcnt(0)
	ds_write_b64 v4, v[5:6]
	s_waitcnt lgkmcnt(0)
	s_barrier
	buffer_gl0_inv
	v_cmpx_gt_u32_e32 28, v0
	s_cbranch_execz .LBB46_127
; %bb.124:
	v_add_nc_u32_e32 v5, -1, v0
	v_add_nc_u32_e32 v6, 0x180, v3
	v_mov_b32_e32 v7, v3
	v_mov_b32_e32 v2, 0
	;; [unrolled: 1-line block ×3, first 2 shown]
	s_mov_b32 s5, 0
	.p2align	6
.LBB46_125:                             ; =>This Inner Loop Header: Depth=1
	s_clause 0x1
	buffer_load_dword v105, v7, s[0:3], 0 offen offset:4
	buffer_load_dword v106, v7, s[0:3], 0 offen
	ds_read_b64 v[103:104], v6
	v_add_nc_u32_e32 v5, 1, v5
	v_add_nc_u32_e32 v6, 8, v6
	;; [unrolled: 1-line block ×3, first 2 shown]
	v_cmp_lt_u32_e32 vcc_lo, 26, v5
	s_or_b32 s5, vcc_lo, s5
	s_waitcnt vmcnt(1) lgkmcnt(0)
	v_mul_f32_e32 v107, v104, v105
	v_mul_f32_e32 v105, v103, v105
	s_waitcnt vmcnt(0)
	v_fma_f32 v103, v103, v106, -v107
	v_fmac_f32_e32 v105, v104, v106
	v_add_f32_e32 v8, v8, v103
	v_add_f32_e32 v2, v2, v105
	s_andn2_b32 exec_lo, exec_lo, s5
	s_cbranch_execnz .LBB46_125
; %bb.126:
	s_or_b32 exec_lo, exec_lo, s5
	v_mov_b32_e32 v5, 0
	ds_read_b64 v[5:6], v5 offset:224
	s_waitcnt lgkmcnt(0)
	v_mul_f32_e32 v7, v2, v6
	v_mul_f32_e32 v6, v8, v6
	v_fma_f32 v7, v8, v5, -v7
	v_fmac_f32_e32 v6, v2, v5
	buffer_store_dword v7, off, s[0:3], 0 offset:224
	buffer_store_dword v6, off, s[0:3], 0 offset:228
.LBB46_127:
	s_or_b32 exec_lo, exec_lo, s4
	s_waitcnt_vscnt null, 0x0
	s_barrier
	buffer_gl0_inv
	s_clause 0x1
	buffer_load_dword v5, off, s[0:3], 0 offset:232
	buffer_load_dword v6, off, s[0:3], 0 offset:236
	s_mov_b32 s4, exec_lo
	s_waitcnt vmcnt(0)
	ds_write_b64 v4, v[5:6]
	s_waitcnt lgkmcnt(0)
	s_barrier
	buffer_gl0_inv
	v_cmpx_gt_u32_e32 29, v0
	s_cbranch_execz .LBB46_131
; %bb.128:
	v_add_nc_u32_e32 v5, -1, v0
	v_add_nc_u32_e32 v6, 0x180, v3
	v_mov_b32_e32 v7, v3
	v_mov_b32_e32 v2, 0
	;; [unrolled: 1-line block ×3, first 2 shown]
	s_mov_b32 s5, 0
	.p2align	6
.LBB46_129:                             ; =>This Inner Loop Header: Depth=1
	s_clause 0x1
	buffer_load_dword v105, v7, s[0:3], 0 offen offset:4
	buffer_load_dword v106, v7, s[0:3], 0 offen
	ds_read_b64 v[103:104], v6
	v_add_nc_u32_e32 v5, 1, v5
	v_add_nc_u32_e32 v6, 8, v6
	;; [unrolled: 1-line block ×3, first 2 shown]
	v_cmp_lt_u32_e32 vcc_lo, 27, v5
	s_or_b32 s5, vcc_lo, s5
	s_waitcnt vmcnt(1) lgkmcnt(0)
	v_mul_f32_e32 v107, v104, v105
	v_mul_f32_e32 v105, v103, v105
	s_waitcnt vmcnt(0)
	v_fma_f32 v103, v103, v106, -v107
	v_fmac_f32_e32 v105, v104, v106
	v_add_f32_e32 v8, v8, v103
	v_add_f32_e32 v2, v2, v105
	s_andn2_b32 exec_lo, exec_lo, s5
	s_cbranch_execnz .LBB46_129
; %bb.130:
	s_or_b32 exec_lo, exec_lo, s5
	v_mov_b32_e32 v5, 0
	ds_read_b64 v[5:6], v5 offset:232
	s_waitcnt lgkmcnt(0)
	v_mul_f32_e32 v7, v2, v6
	v_mul_f32_e32 v6, v8, v6
	v_fma_f32 v7, v8, v5, -v7
	v_fmac_f32_e32 v6, v2, v5
	buffer_store_dword v7, off, s[0:3], 0 offset:232
	buffer_store_dword v6, off, s[0:3], 0 offset:236
.LBB46_131:
	s_or_b32 exec_lo, exec_lo, s4
	s_waitcnt_vscnt null, 0x0
	s_barrier
	buffer_gl0_inv
	s_clause 0x1
	buffer_load_dword v5, off, s[0:3], 0 offset:240
	buffer_load_dword v6, off, s[0:3], 0 offset:244
	s_mov_b32 s4, exec_lo
	s_waitcnt vmcnt(0)
	ds_write_b64 v4, v[5:6]
	s_waitcnt lgkmcnt(0)
	s_barrier
	buffer_gl0_inv
	v_cmpx_gt_u32_e32 30, v0
	s_cbranch_execz .LBB46_135
; %bb.132:
	v_add_nc_u32_e32 v5, -1, v0
	v_add_nc_u32_e32 v6, 0x180, v3
	v_mov_b32_e32 v7, v3
	v_mov_b32_e32 v2, 0
	;; [unrolled: 1-line block ×3, first 2 shown]
	s_mov_b32 s5, 0
	.p2align	6
.LBB46_133:                             ; =>This Inner Loop Header: Depth=1
	s_clause 0x1
	buffer_load_dword v105, v7, s[0:3], 0 offen offset:4
	buffer_load_dword v106, v7, s[0:3], 0 offen
	ds_read_b64 v[103:104], v6
	v_add_nc_u32_e32 v5, 1, v5
	v_add_nc_u32_e32 v6, 8, v6
	;; [unrolled: 1-line block ×3, first 2 shown]
	v_cmp_lt_u32_e32 vcc_lo, 28, v5
	s_or_b32 s5, vcc_lo, s5
	s_waitcnt vmcnt(1) lgkmcnt(0)
	v_mul_f32_e32 v107, v104, v105
	v_mul_f32_e32 v105, v103, v105
	s_waitcnt vmcnt(0)
	v_fma_f32 v103, v103, v106, -v107
	v_fmac_f32_e32 v105, v104, v106
	v_add_f32_e32 v8, v8, v103
	v_add_f32_e32 v2, v2, v105
	s_andn2_b32 exec_lo, exec_lo, s5
	s_cbranch_execnz .LBB46_133
; %bb.134:
	s_or_b32 exec_lo, exec_lo, s5
	v_mov_b32_e32 v5, 0
	ds_read_b64 v[5:6], v5 offset:240
	s_waitcnt lgkmcnt(0)
	v_mul_f32_e32 v7, v2, v6
	v_mul_f32_e32 v6, v8, v6
	v_fma_f32 v7, v8, v5, -v7
	v_fmac_f32_e32 v6, v2, v5
	buffer_store_dword v7, off, s[0:3], 0 offset:240
	buffer_store_dword v6, off, s[0:3], 0 offset:244
.LBB46_135:
	s_or_b32 exec_lo, exec_lo, s4
	s_waitcnt_vscnt null, 0x0
	s_barrier
	buffer_gl0_inv
	s_clause 0x1
	buffer_load_dword v5, off, s[0:3], 0 offset:248
	buffer_load_dword v6, off, s[0:3], 0 offset:252
	s_mov_b32 s4, exec_lo
	s_waitcnt vmcnt(0)
	ds_write_b64 v4, v[5:6]
	s_waitcnt lgkmcnt(0)
	s_barrier
	buffer_gl0_inv
	v_cmpx_gt_u32_e32 31, v0
	s_cbranch_execz .LBB46_139
; %bb.136:
	v_add_nc_u32_e32 v5, -1, v0
	v_add_nc_u32_e32 v6, 0x180, v3
	v_mov_b32_e32 v7, v3
	v_mov_b32_e32 v2, 0
	;; [unrolled: 1-line block ×3, first 2 shown]
	s_mov_b32 s5, 0
	.p2align	6
.LBB46_137:                             ; =>This Inner Loop Header: Depth=1
	s_clause 0x1
	buffer_load_dword v105, v7, s[0:3], 0 offen offset:4
	buffer_load_dword v106, v7, s[0:3], 0 offen
	ds_read_b64 v[103:104], v6
	v_add_nc_u32_e32 v5, 1, v5
	v_add_nc_u32_e32 v6, 8, v6
	;; [unrolled: 1-line block ×3, first 2 shown]
	v_cmp_lt_u32_e32 vcc_lo, 29, v5
	s_or_b32 s5, vcc_lo, s5
	s_waitcnt vmcnt(1) lgkmcnt(0)
	v_mul_f32_e32 v107, v104, v105
	v_mul_f32_e32 v105, v103, v105
	s_waitcnt vmcnt(0)
	v_fma_f32 v103, v103, v106, -v107
	v_fmac_f32_e32 v105, v104, v106
	v_add_f32_e32 v8, v8, v103
	v_add_f32_e32 v2, v2, v105
	s_andn2_b32 exec_lo, exec_lo, s5
	s_cbranch_execnz .LBB46_137
; %bb.138:
	s_or_b32 exec_lo, exec_lo, s5
	v_mov_b32_e32 v5, 0
	ds_read_b64 v[5:6], v5 offset:248
	s_waitcnt lgkmcnt(0)
	v_mul_f32_e32 v7, v2, v6
	v_mul_f32_e32 v6, v8, v6
	v_fma_f32 v7, v8, v5, -v7
	v_fmac_f32_e32 v6, v2, v5
	buffer_store_dword v7, off, s[0:3], 0 offset:248
	buffer_store_dword v6, off, s[0:3], 0 offset:252
.LBB46_139:
	s_or_b32 exec_lo, exec_lo, s4
	s_waitcnt_vscnt null, 0x0
	s_barrier
	buffer_gl0_inv
	s_clause 0x1
	buffer_load_dword v5, off, s[0:3], 0 offset:256
	buffer_load_dword v6, off, s[0:3], 0 offset:260
	s_mov_b32 s4, exec_lo
	s_waitcnt vmcnt(0)
	ds_write_b64 v4, v[5:6]
	s_waitcnt lgkmcnt(0)
	s_barrier
	buffer_gl0_inv
	v_cmpx_gt_u32_e32 32, v0
	s_cbranch_execz .LBB46_143
; %bb.140:
	v_add_nc_u32_e32 v5, -1, v0
	v_add_nc_u32_e32 v6, 0x180, v3
	v_mov_b32_e32 v7, v3
	v_mov_b32_e32 v2, 0
	;; [unrolled: 1-line block ×3, first 2 shown]
	s_mov_b32 s5, 0
	.p2align	6
.LBB46_141:                             ; =>This Inner Loop Header: Depth=1
	s_clause 0x1
	buffer_load_dword v105, v7, s[0:3], 0 offen offset:4
	buffer_load_dword v106, v7, s[0:3], 0 offen
	ds_read_b64 v[103:104], v6
	v_add_nc_u32_e32 v5, 1, v5
	v_add_nc_u32_e32 v6, 8, v6
	;; [unrolled: 1-line block ×3, first 2 shown]
	v_cmp_lt_u32_e32 vcc_lo, 30, v5
	s_or_b32 s5, vcc_lo, s5
	s_waitcnt vmcnt(1) lgkmcnt(0)
	v_mul_f32_e32 v107, v104, v105
	v_mul_f32_e32 v105, v103, v105
	s_waitcnt vmcnt(0)
	v_fma_f32 v103, v103, v106, -v107
	v_fmac_f32_e32 v105, v104, v106
	v_add_f32_e32 v8, v8, v103
	v_add_f32_e32 v2, v2, v105
	s_andn2_b32 exec_lo, exec_lo, s5
	s_cbranch_execnz .LBB46_141
; %bb.142:
	s_or_b32 exec_lo, exec_lo, s5
	v_mov_b32_e32 v5, 0
	ds_read_b64 v[5:6], v5 offset:256
	s_waitcnt lgkmcnt(0)
	v_mul_f32_e32 v7, v2, v6
	v_mul_f32_e32 v6, v8, v6
	v_fma_f32 v7, v8, v5, -v7
	v_fmac_f32_e32 v6, v2, v5
	buffer_store_dword v7, off, s[0:3], 0 offset:256
	buffer_store_dword v6, off, s[0:3], 0 offset:260
.LBB46_143:
	s_or_b32 exec_lo, exec_lo, s4
	s_waitcnt_vscnt null, 0x0
	s_barrier
	buffer_gl0_inv
	s_clause 0x1
	buffer_load_dword v5, off, s[0:3], 0 offset:264
	buffer_load_dword v6, off, s[0:3], 0 offset:268
	s_mov_b32 s4, exec_lo
	s_waitcnt vmcnt(0)
	ds_write_b64 v4, v[5:6]
	s_waitcnt lgkmcnt(0)
	s_barrier
	buffer_gl0_inv
	v_cmpx_gt_u32_e32 33, v0
	s_cbranch_execz .LBB46_147
; %bb.144:
	v_add_nc_u32_e32 v5, -1, v0
	v_add_nc_u32_e32 v6, 0x180, v3
	v_mov_b32_e32 v7, v3
	v_mov_b32_e32 v2, 0
	v_mov_b32_e32 v8, 0
	s_mov_b32 s5, 0
	.p2align	6
.LBB46_145:                             ; =>This Inner Loop Header: Depth=1
	s_clause 0x1
	buffer_load_dword v105, v7, s[0:3], 0 offen offset:4
	buffer_load_dword v106, v7, s[0:3], 0 offen
	ds_read_b64 v[103:104], v6
	v_add_nc_u32_e32 v5, 1, v5
	v_add_nc_u32_e32 v6, 8, v6
	;; [unrolled: 1-line block ×3, first 2 shown]
	v_cmp_lt_u32_e32 vcc_lo, 31, v5
	s_or_b32 s5, vcc_lo, s5
	s_waitcnt vmcnt(1) lgkmcnt(0)
	v_mul_f32_e32 v107, v104, v105
	v_mul_f32_e32 v105, v103, v105
	s_waitcnt vmcnt(0)
	v_fma_f32 v103, v103, v106, -v107
	v_fmac_f32_e32 v105, v104, v106
	v_add_f32_e32 v8, v8, v103
	v_add_f32_e32 v2, v2, v105
	s_andn2_b32 exec_lo, exec_lo, s5
	s_cbranch_execnz .LBB46_145
; %bb.146:
	s_or_b32 exec_lo, exec_lo, s5
	v_mov_b32_e32 v5, 0
	ds_read_b64 v[5:6], v5 offset:264
	s_waitcnt lgkmcnt(0)
	v_mul_f32_e32 v7, v2, v6
	v_mul_f32_e32 v6, v8, v6
	v_fma_f32 v7, v8, v5, -v7
	v_fmac_f32_e32 v6, v2, v5
	buffer_store_dword v7, off, s[0:3], 0 offset:264
	buffer_store_dword v6, off, s[0:3], 0 offset:268
.LBB46_147:
	s_or_b32 exec_lo, exec_lo, s4
	s_waitcnt_vscnt null, 0x0
	s_barrier
	buffer_gl0_inv
	s_clause 0x1
	buffer_load_dword v5, off, s[0:3], 0 offset:272
	buffer_load_dword v6, off, s[0:3], 0 offset:276
	s_mov_b32 s4, exec_lo
	s_waitcnt vmcnt(0)
	ds_write_b64 v4, v[5:6]
	s_waitcnt lgkmcnt(0)
	s_barrier
	buffer_gl0_inv
	v_cmpx_gt_u32_e32 34, v0
	s_cbranch_execz .LBB46_151
; %bb.148:
	v_add_nc_u32_e32 v5, -1, v0
	v_add_nc_u32_e32 v6, 0x180, v3
	v_mov_b32_e32 v7, v3
	v_mov_b32_e32 v2, 0
	;; [unrolled: 1-line block ×3, first 2 shown]
	s_mov_b32 s5, 0
	.p2align	6
.LBB46_149:                             ; =>This Inner Loop Header: Depth=1
	s_clause 0x1
	buffer_load_dword v105, v7, s[0:3], 0 offen offset:4
	buffer_load_dword v106, v7, s[0:3], 0 offen
	ds_read_b64 v[103:104], v6
	v_add_nc_u32_e32 v5, 1, v5
	v_add_nc_u32_e32 v6, 8, v6
	;; [unrolled: 1-line block ×3, first 2 shown]
	v_cmp_lt_u32_e32 vcc_lo, 32, v5
	s_or_b32 s5, vcc_lo, s5
	s_waitcnt vmcnt(1) lgkmcnt(0)
	v_mul_f32_e32 v107, v104, v105
	v_mul_f32_e32 v105, v103, v105
	s_waitcnt vmcnt(0)
	v_fma_f32 v103, v103, v106, -v107
	v_fmac_f32_e32 v105, v104, v106
	v_add_f32_e32 v8, v8, v103
	v_add_f32_e32 v2, v2, v105
	s_andn2_b32 exec_lo, exec_lo, s5
	s_cbranch_execnz .LBB46_149
; %bb.150:
	s_or_b32 exec_lo, exec_lo, s5
	v_mov_b32_e32 v5, 0
	ds_read_b64 v[5:6], v5 offset:272
	s_waitcnt lgkmcnt(0)
	v_mul_f32_e32 v7, v2, v6
	v_mul_f32_e32 v6, v8, v6
	v_fma_f32 v7, v8, v5, -v7
	v_fmac_f32_e32 v6, v2, v5
	buffer_store_dword v7, off, s[0:3], 0 offset:272
	buffer_store_dword v6, off, s[0:3], 0 offset:276
.LBB46_151:
	s_or_b32 exec_lo, exec_lo, s4
	s_waitcnt_vscnt null, 0x0
	s_barrier
	buffer_gl0_inv
	s_clause 0x1
	buffer_load_dword v5, off, s[0:3], 0 offset:280
	buffer_load_dword v6, off, s[0:3], 0 offset:284
	s_mov_b32 s4, exec_lo
	s_waitcnt vmcnt(0)
	ds_write_b64 v4, v[5:6]
	s_waitcnt lgkmcnt(0)
	s_barrier
	buffer_gl0_inv
	v_cmpx_gt_u32_e32 35, v0
	s_cbranch_execz .LBB46_155
; %bb.152:
	v_add_nc_u32_e32 v5, -1, v0
	v_add_nc_u32_e32 v6, 0x180, v3
	v_mov_b32_e32 v7, v3
	v_mov_b32_e32 v2, 0
	;; [unrolled: 1-line block ×3, first 2 shown]
	s_mov_b32 s5, 0
	.p2align	6
.LBB46_153:                             ; =>This Inner Loop Header: Depth=1
	s_clause 0x1
	buffer_load_dword v105, v7, s[0:3], 0 offen offset:4
	buffer_load_dword v106, v7, s[0:3], 0 offen
	ds_read_b64 v[103:104], v6
	v_add_nc_u32_e32 v5, 1, v5
	v_add_nc_u32_e32 v6, 8, v6
	;; [unrolled: 1-line block ×3, first 2 shown]
	v_cmp_lt_u32_e32 vcc_lo, 33, v5
	s_or_b32 s5, vcc_lo, s5
	s_waitcnt vmcnt(1) lgkmcnt(0)
	v_mul_f32_e32 v107, v104, v105
	v_mul_f32_e32 v105, v103, v105
	s_waitcnt vmcnt(0)
	v_fma_f32 v103, v103, v106, -v107
	v_fmac_f32_e32 v105, v104, v106
	v_add_f32_e32 v8, v8, v103
	v_add_f32_e32 v2, v2, v105
	s_andn2_b32 exec_lo, exec_lo, s5
	s_cbranch_execnz .LBB46_153
; %bb.154:
	s_or_b32 exec_lo, exec_lo, s5
	v_mov_b32_e32 v5, 0
	ds_read_b64 v[5:6], v5 offset:280
	s_waitcnt lgkmcnt(0)
	v_mul_f32_e32 v7, v2, v6
	v_mul_f32_e32 v6, v8, v6
	v_fma_f32 v7, v8, v5, -v7
	v_fmac_f32_e32 v6, v2, v5
	buffer_store_dword v7, off, s[0:3], 0 offset:280
	buffer_store_dword v6, off, s[0:3], 0 offset:284
.LBB46_155:
	s_or_b32 exec_lo, exec_lo, s4
	s_waitcnt_vscnt null, 0x0
	s_barrier
	buffer_gl0_inv
	s_clause 0x1
	buffer_load_dword v5, off, s[0:3], 0 offset:288
	buffer_load_dword v6, off, s[0:3], 0 offset:292
	s_mov_b32 s4, exec_lo
	s_waitcnt vmcnt(0)
	ds_write_b64 v4, v[5:6]
	s_waitcnt lgkmcnt(0)
	s_barrier
	buffer_gl0_inv
	v_cmpx_gt_u32_e32 36, v0
	s_cbranch_execz .LBB46_159
; %bb.156:
	v_add_nc_u32_e32 v5, -1, v0
	v_add_nc_u32_e32 v6, 0x180, v3
	v_mov_b32_e32 v7, v3
	v_mov_b32_e32 v2, 0
	;; [unrolled: 1-line block ×3, first 2 shown]
	s_mov_b32 s5, 0
	.p2align	6
.LBB46_157:                             ; =>This Inner Loop Header: Depth=1
	s_clause 0x1
	buffer_load_dword v105, v7, s[0:3], 0 offen offset:4
	buffer_load_dword v106, v7, s[0:3], 0 offen
	ds_read_b64 v[103:104], v6
	v_add_nc_u32_e32 v5, 1, v5
	v_add_nc_u32_e32 v6, 8, v6
	;; [unrolled: 1-line block ×3, first 2 shown]
	v_cmp_lt_u32_e32 vcc_lo, 34, v5
	s_or_b32 s5, vcc_lo, s5
	s_waitcnt vmcnt(1) lgkmcnt(0)
	v_mul_f32_e32 v107, v104, v105
	v_mul_f32_e32 v105, v103, v105
	s_waitcnt vmcnt(0)
	v_fma_f32 v103, v103, v106, -v107
	v_fmac_f32_e32 v105, v104, v106
	v_add_f32_e32 v8, v8, v103
	v_add_f32_e32 v2, v2, v105
	s_andn2_b32 exec_lo, exec_lo, s5
	s_cbranch_execnz .LBB46_157
; %bb.158:
	s_or_b32 exec_lo, exec_lo, s5
	v_mov_b32_e32 v5, 0
	ds_read_b64 v[5:6], v5 offset:288
	s_waitcnt lgkmcnt(0)
	v_mul_f32_e32 v7, v2, v6
	v_mul_f32_e32 v6, v8, v6
	v_fma_f32 v7, v8, v5, -v7
	v_fmac_f32_e32 v6, v2, v5
	buffer_store_dword v7, off, s[0:3], 0 offset:288
	buffer_store_dword v6, off, s[0:3], 0 offset:292
.LBB46_159:
	s_or_b32 exec_lo, exec_lo, s4
	s_waitcnt_vscnt null, 0x0
	s_barrier
	buffer_gl0_inv
	s_clause 0x1
	buffer_load_dword v5, off, s[0:3], 0 offset:296
	buffer_load_dword v6, off, s[0:3], 0 offset:300
	s_mov_b32 s4, exec_lo
	s_waitcnt vmcnt(0)
	ds_write_b64 v4, v[5:6]
	s_waitcnt lgkmcnt(0)
	s_barrier
	buffer_gl0_inv
	v_cmpx_gt_u32_e32 37, v0
	s_cbranch_execz .LBB46_163
; %bb.160:
	v_add_nc_u32_e32 v5, -1, v0
	v_add_nc_u32_e32 v6, 0x180, v3
	v_mov_b32_e32 v7, v3
	v_mov_b32_e32 v2, 0
	;; [unrolled: 1-line block ×3, first 2 shown]
	s_mov_b32 s5, 0
	.p2align	6
.LBB46_161:                             ; =>This Inner Loop Header: Depth=1
	s_clause 0x1
	buffer_load_dword v105, v7, s[0:3], 0 offen offset:4
	buffer_load_dword v106, v7, s[0:3], 0 offen
	ds_read_b64 v[103:104], v6
	v_add_nc_u32_e32 v5, 1, v5
	v_add_nc_u32_e32 v6, 8, v6
	;; [unrolled: 1-line block ×3, first 2 shown]
	v_cmp_lt_u32_e32 vcc_lo, 35, v5
	s_or_b32 s5, vcc_lo, s5
	s_waitcnt vmcnt(1) lgkmcnt(0)
	v_mul_f32_e32 v107, v104, v105
	v_mul_f32_e32 v105, v103, v105
	s_waitcnt vmcnt(0)
	v_fma_f32 v103, v103, v106, -v107
	v_fmac_f32_e32 v105, v104, v106
	v_add_f32_e32 v8, v8, v103
	v_add_f32_e32 v2, v2, v105
	s_andn2_b32 exec_lo, exec_lo, s5
	s_cbranch_execnz .LBB46_161
; %bb.162:
	s_or_b32 exec_lo, exec_lo, s5
	v_mov_b32_e32 v5, 0
	ds_read_b64 v[5:6], v5 offset:296
	s_waitcnt lgkmcnt(0)
	v_mul_f32_e32 v7, v2, v6
	v_mul_f32_e32 v6, v8, v6
	v_fma_f32 v7, v8, v5, -v7
	v_fmac_f32_e32 v6, v2, v5
	buffer_store_dword v7, off, s[0:3], 0 offset:296
	buffer_store_dword v6, off, s[0:3], 0 offset:300
.LBB46_163:
	s_or_b32 exec_lo, exec_lo, s4
	s_waitcnt_vscnt null, 0x0
	s_barrier
	buffer_gl0_inv
	s_clause 0x1
	buffer_load_dword v5, off, s[0:3], 0 offset:304
	buffer_load_dword v6, off, s[0:3], 0 offset:308
	s_mov_b32 s4, exec_lo
	s_waitcnt vmcnt(0)
	ds_write_b64 v4, v[5:6]
	s_waitcnt lgkmcnt(0)
	s_barrier
	buffer_gl0_inv
	v_cmpx_gt_u32_e32 38, v0
	s_cbranch_execz .LBB46_167
; %bb.164:
	v_add_nc_u32_e32 v5, -1, v0
	v_add_nc_u32_e32 v6, 0x180, v3
	v_mov_b32_e32 v7, v3
	v_mov_b32_e32 v2, 0
	v_mov_b32_e32 v8, 0
	s_mov_b32 s5, 0
	.p2align	6
.LBB46_165:                             ; =>This Inner Loop Header: Depth=1
	s_clause 0x1
	buffer_load_dword v105, v7, s[0:3], 0 offen offset:4
	buffer_load_dword v106, v7, s[0:3], 0 offen
	ds_read_b64 v[103:104], v6
	v_add_nc_u32_e32 v5, 1, v5
	v_add_nc_u32_e32 v6, 8, v6
	;; [unrolled: 1-line block ×3, first 2 shown]
	v_cmp_lt_u32_e32 vcc_lo, 36, v5
	s_or_b32 s5, vcc_lo, s5
	s_waitcnt vmcnt(1) lgkmcnt(0)
	v_mul_f32_e32 v107, v104, v105
	v_mul_f32_e32 v105, v103, v105
	s_waitcnt vmcnt(0)
	v_fma_f32 v103, v103, v106, -v107
	v_fmac_f32_e32 v105, v104, v106
	v_add_f32_e32 v8, v8, v103
	v_add_f32_e32 v2, v2, v105
	s_andn2_b32 exec_lo, exec_lo, s5
	s_cbranch_execnz .LBB46_165
; %bb.166:
	s_or_b32 exec_lo, exec_lo, s5
	v_mov_b32_e32 v5, 0
	ds_read_b64 v[5:6], v5 offset:304
	s_waitcnt lgkmcnt(0)
	v_mul_f32_e32 v7, v2, v6
	v_mul_f32_e32 v6, v8, v6
	v_fma_f32 v7, v8, v5, -v7
	v_fmac_f32_e32 v6, v2, v5
	buffer_store_dword v7, off, s[0:3], 0 offset:304
	buffer_store_dword v6, off, s[0:3], 0 offset:308
.LBB46_167:
	s_or_b32 exec_lo, exec_lo, s4
	s_waitcnt_vscnt null, 0x0
	s_barrier
	buffer_gl0_inv
	s_clause 0x1
	buffer_load_dword v5, off, s[0:3], 0 offset:312
	buffer_load_dword v6, off, s[0:3], 0 offset:316
	s_mov_b32 s4, exec_lo
	s_waitcnt vmcnt(0)
	ds_write_b64 v4, v[5:6]
	s_waitcnt lgkmcnt(0)
	s_barrier
	buffer_gl0_inv
	v_cmpx_gt_u32_e32 39, v0
	s_cbranch_execz .LBB46_171
; %bb.168:
	v_add_nc_u32_e32 v5, -1, v0
	v_add_nc_u32_e32 v6, 0x180, v3
	v_mov_b32_e32 v7, v3
	v_mov_b32_e32 v2, 0
	;; [unrolled: 1-line block ×3, first 2 shown]
	s_mov_b32 s5, 0
	.p2align	6
.LBB46_169:                             ; =>This Inner Loop Header: Depth=1
	s_clause 0x1
	buffer_load_dword v105, v7, s[0:3], 0 offen offset:4
	buffer_load_dword v106, v7, s[0:3], 0 offen
	ds_read_b64 v[103:104], v6
	v_add_nc_u32_e32 v5, 1, v5
	v_add_nc_u32_e32 v6, 8, v6
	;; [unrolled: 1-line block ×3, first 2 shown]
	v_cmp_lt_u32_e32 vcc_lo, 37, v5
	s_or_b32 s5, vcc_lo, s5
	s_waitcnt vmcnt(1) lgkmcnt(0)
	v_mul_f32_e32 v107, v104, v105
	v_mul_f32_e32 v105, v103, v105
	s_waitcnt vmcnt(0)
	v_fma_f32 v103, v103, v106, -v107
	v_fmac_f32_e32 v105, v104, v106
	v_add_f32_e32 v8, v8, v103
	v_add_f32_e32 v2, v2, v105
	s_andn2_b32 exec_lo, exec_lo, s5
	s_cbranch_execnz .LBB46_169
; %bb.170:
	s_or_b32 exec_lo, exec_lo, s5
	v_mov_b32_e32 v5, 0
	ds_read_b64 v[5:6], v5 offset:312
	s_waitcnt lgkmcnt(0)
	v_mul_f32_e32 v7, v2, v6
	v_mul_f32_e32 v6, v8, v6
	v_fma_f32 v7, v8, v5, -v7
	v_fmac_f32_e32 v6, v2, v5
	buffer_store_dword v7, off, s[0:3], 0 offset:312
	buffer_store_dword v6, off, s[0:3], 0 offset:316
.LBB46_171:
	s_or_b32 exec_lo, exec_lo, s4
	s_waitcnt_vscnt null, 0x0
	s_barrier
	buffer_gl0_inv
	s_clause 0x1
	buffer_load_dword v5, off, s[0:3], 0 offset:320
	buffer_load_dword v6, off, s[0:3], 0 offset:324
	s_mov_b32 s4, exec_lo
	s_waitcnt vmcnt(0)
	ds_write_b64 v4, v[5:6]
	s_waitcnt lgkmcnt(0)
	s_barrier
	buffer_gl0_inv
	v_cmpx_gt_u32_e32 40, v0
	s_cbranch_execz .LBB46_175
; %bb.172:
	v_add_nc_u32_e32 v5, -1, v0
	v_add_nc_u32_e32 v6, 0x180, v3
	v_mov_b32_e32 v7, v3
	v_mov_b32_e32 v2, 0
	;; [unrolled: 1-line block ×3, first 2 shown]
	s_mov_b32 s5, 0
	.p2align	6
.LBB46_173:                             ; =>This Inner Loop Header: Depth=1
	s_clause 0x1
	buffer_load_dword v105, v7, s[0:3], 0 offen offset:4
	buffer_load_dword v106, v7, s[0:3], 0 offen
	ds_read_b64 v[103:104], v6
	v_add_nc_u32_e32 v5, 1, v5
	v_add_nc_u32_e32 v6, 8, v6
	;; [unrolled: 1-line block ×3, first 2 shown]
	v_cmp_lt_u32_e32 vcc_lo, 38, v5
	s_or_b32 s5, vcc_lo, s5
	s_waitcnt vmcnt(1) lgkmcnt(0)
	v_mul_f32_e32 v107, v104, v105
	v_mul_f32_e32 v105, v103, v105
	s_waitcnt vmcnt(0)
	v_fma_f32 v103, v103, v106, -v107
	v_fmac_f32_e32 v105, v104, v106
	v_add_f32_e32 v8, v8, v103
	v_add_f32_e32 v2, v2, v105
	s_andn2_b32 exec_lo, exec_lo, s5
	s_cbranch_execnz .LBB46_173
; %bb.174:
	s_or_b32 exec_lo, exec_lo, s5
	v_mov_b32_e32 v5, 0
	ds_read_b64 v[5:6], v5 offset:320
	s_waitcnt lgkmcnt(0)
	v_mul_f32_e32 v7, v2, v6
	v_mul_f32_e32 v6, v8, v6
	v_fma_f32 v7, v8, v5, -v7
	v_fmac_f32_e32 v6, v2, v5
	buffer_store_dword v7, off, s[0:3], 0 offset:320
	buffer_store_dword v6, off, s[0:3], 0 offset:324
.LBB46_175:
	s_or_b32 exec_lo, exec_lo, s4
	s_waitcnt_vscnt null, 0x0
	s_barrier
	buffer_gl0_inv
	s_clause 0x1
	buffer_load_dword v5, off, s[0:3], 0 offset:328
	buffer_load_dword v6, off, s[0:3], 0 offset:332
	s_mov_b32 s4, exec_lo
	s_waitcnt vmcnt(0)
	ds_write_b64 v4, v[5:6]
	s_waitcnt lgkmcnt(0)
	s_barrier
	buffer_gl0_inv
	v_cmpx_gt_u32_e32 41, v0
	s_cbranch_execz .LBB46_179
; %bb.176:
	v_add_nc_u32_e32 v5, -1, v0
	v_add_nc_u32_e32 v6, 0x180, v3
	v_mov_b32_e32 v7, v3
	v_mov_b32_e32 v2, 0
	;; [unrolled: 1-line block ×3, first 2 shown]
	s_mov_b32 s5, 0
	.p2align	6
.LBB46_177:                             ; =>This Inner Loop Header: Depth=1
	s_clause 0x1
	buffer_load_dword v105, v7, s[0:3], 0 offen offset:4
	buffer_load_dword v106, v7, s[0:3], 0 offen
	ds_read_b64 v[103:104], v6
	v_add_nc_u32_e32 v5, 1, v5
	v_add_nc_u32_e32 v6, 8, v6
	;; [unrolled: 1-line block ×3, first 2 shown]
	v_cmp_lt_u32_e32 vcc_lo, 39, v5
	s_or_b32 s5, vcc_lo, s5
	s_waitcnt vmcnt(1) lgkmcnt(0)
	v_mul_f32_e32 v107, v104, v105
	v_mul_f32_e32 v105, v103, v105
	s_waitcnt vmcnt(0)
	v_fma_f32 v103, v103, v106, -v107
	v_fmac_f32_e32 v105, v104, v106
	v_add_f32_e32 v8, v8, v103
	v_add_f32_e32 v2, v2, v105
	s_andn2_b32 exec_lo, exec_lo, s5
	s_cbranch_execnz .LBB46_177
; %bb.178:
	s_or_b32 exec_lo, exec_lo, s5
	v_mov_b32_e32 v5, 0
	ds_read_b64 v[5:6], v5 offset:328
	s_waitcnt lgkmcnt(0)
	v_mul_f32_e32 v7, v2, v6
	v_mul_f32_e32 v6, v8, v6
	v_fma_f32 v7, v8, v5, -v7
	v_fmac_f32_e32 v6, v2, v5
	buffer_store_dword v7, off, s[0:3], 0 offset:328
	buffer_store_dword v6, off, s[0:3], 0 offset:332
.LBB46_179:
	s_or_b32 exec_lo, exec_lo, s4
	s_waitcnt_vscnt null, 0x0
	s_barrier
	buffer_gl0_inv
	s_clause 0x1
	buffer_load_dword v5, off, s[0:3], 0 offset:336
	buffer_load_dword v6, off, s[0:3], 0 offset:340
	s_mov_b32 s4, exec_lo
	s_waitcnt vmcnt(0)
	ds_write_b64 v4, v[5:6]
	s_waitcnt lgkmcnt(0)
	s_barrier
	buffer_gl0_inv
	v_cmpx_gt_u32_e32 42, v0
	s_cbranch_execz .LBB46_183
; %bb.180:
	v_add_nc_u32_e32 v5, -1, v0
	v_add_nc_u32_e32 v6, 0x180, v3
	v_mov_b32_e32 v7, v3
	v_mov_b32_e32 v2, 0
	;; [unrolled: 1-line block ×3, first 2 shown]
	s_mov_b32 s5, 0
	.p2align	6
.LBB46_181:                             ; =>This Inner Loop Header: Depth=1
	s_clause 0x1
	buffer_load_dword v105, v7, s[0:3], 0 offen offset:4
	buffer_load_dword v106, v7, s[0:3], 0 offen
	ds_read_b64 v[103:104], v6
	v_add_nc_u32_e32 v5, 1, v5
	v_add_nc_u32_e32 v6, 8, v6
	;; [unrolled: 1-line block ×3, first 2 shown]
	v_cmp_lt_u32_e32 vcc_lo, 40, v5
	s_or_b32 s5, vcc_lo, s5
	s_waitcnt vmcnt(1) lgkmcnt(0)
	v_mul_f32_e32 v107, v104, v105
	v_mul_f32_e32 v105, v103, v105
	s_waitcnt vmcnt(0)
	v_fma_f32 v103, v103, v106, -v107
	v_fmac_f32_e32 v105, v104, v106
	v_add_f32_e32 v8, v8, v103
	v_add_f32_e32 v2, v2, v105
	s_andn2_b32 exec_lo, exec_lo, s5
	s_cbranch_execnz .LBB46_181
; %bb.182:
	s_or_b32 exec_lo, exec_lo, s5
	v_mov_b32_e32 v5, 0
	ds_read_b64 v[5:6], v5 offset:336
	s_waitcnt lgkmcnt(0)
	v_mul_f32_e32 v7, v2, v6
	v_mul_f32_e32 v6, v8, v6
	v_fma_f32 v7, v8, v5, -v7
	v_fmac_f32_e32 v6, v2, v5
	buffer_store_dword v7, off, s[0:3], 0 offset:336
	buffer_store_dword v6, off, s[0:3], 0 offset:340
.LBB46_183:
	s_or_b32 exec_lo, exec_lo, s4
	s_waitcnt_vscnt null, 0x0
	s_barrier
	buffer_gl0_inv
	s_clause 0x1
	buffer_load_dword v5, off, s[0:3], 0 offset:344
	buffer_load_dword v6, off, s[0:3], 0 offset:348
	s_mov_b32 s4, exec_lo
	s_waitcnt vmcnt(0)
	ds_write_b64 v4, v[5:6]
	s_waitcnt lgkmcnt(0)
	s_barrier
	buffer_gl0_inv
	v_cmpx_gt_u32_e32 43, v0
	s_cbranch_execz .LBB46_187
; %bb.184:
	v_add_nc_u32_e32 v5, -1, v0
	v_add_nc_u32_e32 v6, 0x180, v3
	v_mov_b32_e32 v7, v3
	v_mov_b32_e32 v2, 0
	;; [unrolled: 1-line block ×3, first 2 shown]
	s_mov_b32 s5, 0
	.p2align	6
.LBB46_185:                             ; =>This Inner Loop Header: Depth=1
	s_clause 0x1
	buffer_load_dword v105, v7, s[0:3], 0 offen offset:4
	buffer_load_dword v106, v7, s[0:3], 0 offen
	ds_read_b64 v[103:104], v6
	v_add_nc_u32_e32 v5, 1, v5
	v_add_nc_u32_e32 v6, 8, v6
	;; [unrolled: 1-line block ×3, first 2 shown]
	v_cmp_lt_u32_e32 vcc_lo, 41, v5
	s_or_b32 s5, vcc_lo, s5
	s_waitcnt vmcnt(1) lgkmcnt(0)
	v_mul_f32_e32 v107, v104, v105
	v_mul_f32_e32 v105, v103, v105
	s_waitcnt vmcnt(0)
	v_fma_f32 v103, v103, v106, -v107
	v_fmac_f32_e32 v105, v104, v106
	v_add_f32_e32 v8, v8, v103
	v_add_f32_e32 v2, v2, v105
	s_andn2_b32 exec_lo, exec_lo, s5
	s_cbranch_execnz .LBB46_185
; %bb.186:
	s_or_b32 exec_lo, exec_lo, s5
	v_mov_b32_e32 v5, 0
	ds_read_b64 v[5:6], v5 offset:344
	s_waitcnt lgkmcnt(0)
	v_mul_f32_e32 v7, v2, v6
	v_mul_f32_e32 v6, v8, v6
	v_fma_f32 v7, v8, v5, -v7
	v_fmac_f32_e32 v6, v2, v5
	buffer_store_dword v7, off, s[0:3], 0 offset:344
	buffer_store_dword v6, off, s[0:3], 0 offset:348
.LBB46_187:
	s_or_b32 exec_lo, exec_lo, s4
	s_waitcnt_vscnt null, 0x0
	s_barrier
	buffer_gl0_inv
	s_clause 0x1
	buffer_load_dword v5, off, s[0:3], 0 offset:352
	buffer_load_dword v6, off, s[0:3], 0 offset:356
	s_mov_b32 s4, exec_lo
	s_waitcnt vmcnt(0)
	ds_write_b64 v4, v[5:6]
	s_waitcnt lgkmcnt(0)
	s_barrier
	buffer_gl0_inv
	v_cmpx_gt_u32_e32 44, v0
	s_cbranch_execz .LBB46_191
; %bb.188:
	v_add_nc_u32_e32 v5, -1, v0
	v_add_nc_u32_e32 v6, 0x180, v3
	v_mov_b32_e32 v7, v3
	v_mov_b32_e32 v2, 0
	;; [unrolled: 1-line block ×3, first 2 shown]
	s_mov_b32 s5, 0
	.p2align	6
.LBB46_189:                             ; =>This Inner Loop Header: Depth=1
	s_clause 0x1
	buffer_load_dword v105, v7, s[0:3], 0 offen offset:4
	buffer_load_dword v106, v7, s[0:3], 0 offen
	ds_read_b64 v[103:104], v6
	v_add_nc_u32_e32 v5, 1, v5
	v_add_nc_u32_e32 v6, 8, v6
	;; [unrolled: 1-line block ×3, first 2 shown]
	v_cmp_lt_u32_e32 vcc_lo, 42, v5
	s_or_b32 s5, vcc_lo, s5
	s_waitcnt vmcnt(1) lgkmcnt(0)
	v_mul_f32_e32 v107, v104, v105
	v_mul_f32_e32 v105, v103, v105
	s_waitcnt vmcnt(0)
	v_fma_f32 v103, v103, v106, -v107
	v_fmac_f32_e32 v105, v104, v106
	v_add_f32_e32 v8, v8, v103
	v_add_f32_e32 v2, v2, v105
	s_andn2_b32 exec_lo, exec_lo, s5
	s_cbranch_execnz .LBB46_189
; %bb.190:
	s_or_b32 exec_lo, exec_lo, s5
	v_mov_b32_e32 v5, 0
	ds_read_b64 v[5:6], v5 offset:352
	s_waitcnt lgkmcnt(0)
	v_mul_f32_e32 v7, v2, v6
	v_mul_f32_e32 v6, v8, v6
	v_fma_f32 v7, v8, v5, -v7
	v_fmac_f32_e32 v6, v2, v5
	buffer_store_dword v7, off, s[0:3], 0 offset:352
	buffer_store_dword v6, off, s[0:3], 0 offset:356
.LBB46_191:
	s_or_b32 exec_lo, exec_lo, s4
	s_waitcnt_vscnt null, 0x0
	s_barrier
	buffer_gl0_inv
	s_clause 0x1
	buffer_load_dword v5, off, s[0:3], 0 offset:360
	buffer_load_dword v6, off, s[0:3], 0 offset:364
	s_mov_b32 s4, exec_lo
	s_waitcnt vmcnt(0)
	ds_write_b64 v4, v[5:6]
	s_waitcnt lgkmcnt(0)
	s_barrier
	buffer_gl0_inv
	v_cmpx_gt_u32_e32 45, v0
	s_cbranch_execz .LBB46_195
; %bb.192:
	v_add_nc_u32_e32 v5, -1, v0
	v_add_nc_u32_e32 v6, 0x180, v3
	v_mov_b32_e32 v7, v3
	v_mov_b32_e32 v2, 0
	;; [unrolled: 1-line block ×3, first 2 shown]
	s_mov_b32 s5, 0
	.p2align	6
.LBB46_193:                             ; =>This Inner Loop Header: Depth=1
	s_clause 0x1
	buffer_load_dword v105, v7, s[0:3], 0 offen offset:4
	buffer_load_dword v106, v7, s[0:3], 0 offen
	ds_read_b64 v[103:104], v6
	v_add_nc_u32_e32 v5, 1, v5
	v_add_nc_u32_e32 v6, 8, v6
	;; [unrolled: 1-line block ×3, first 2 shown]
	v_cmp_lt_u32_e32 vcc_lo, 43, v5
	s_or_b32 s5, vcc_lo, s5
	s_waitcnt vmcnt(1) lgkmcnt(0)
	v_mul_f32_e32 v107, v104, v105
	v_mul_f32_e32 v105, v103, v105
	s_waitcnt vmcnt(0)
	v_fma_f32 v103, v103, v106, -v107
	v_fmac_f32_e32 v105, v104, v106
	v_add_f32_e32 v8, v8, v103
	v_add_f32_e32 v2, v2, v105
	s_andn2_b32 exec_lo, exec_lo, s5
	s_cbranch_execnz .LBB46_193
; %bb.194:
	s_or_b32 exec_lo, exec_lo, s5
	v_mov_b32_e32 v5, 0
	ds_read_b64 v[5:6], v5 offset:360
	s_waitcnt lgkmcnt(0)
	v_mul_f32_e32 v7, v2, v6
	v_mul_f32_e32 v6, v8, v6
	v_fma_f32 v7, v8, v5, -v7
	v_fmac_f32_e32 v6, v2, v5
	buffer_store_dword v7, off, s[0:3], 0 offset:360
	buffer_store_dword v6, off, s[0:3], 0 offset:364
.LBB46_195:
	s_or_b32 exec_lo, exec_lo, s4
	s_waitcnt_vscnt null, 0x0
	s_barrier
	buffer_gl0_inv
	s_clause 0x1
	buffer_load_dword v5, off, s[0:3], 0 offset:368
	buffer_load_dword v6, off, s[0:3], 0 offset:372
	s_mov_b32 s4, exec_lo
	s_waitcnt vmcnt(0)
	ds_write_b64 v4, v[5:6]
	s_waitcnt lgkmcnt(0)
	s_barrier
	buffer_gl0_inv
	v_cmpx_ne_u32_e32 46, v0
	s_cbranch_execz .LBB46_199
; %bb.196:
	v_mov_b32_e32 v2, 0
	v_mov_b32_e32 v5, 0
	s_mov_b32 s5, 0
	.p2align	6
.LBB46_197:                             ; =>This Inner Loop Header: Depth=1
	s_clause 0x1
	buffer_load_dword v8, v3, s[0:3], 0 offen offset:4
	buffer_load_dword v103, v3, s[0:3], 0 offen
	ds_read_b64 v[6:7], v4
	v_add_nc_u32_e32 v1, 1, v1
	v_add_nc_u32_e32 v4, 8, v4
	;; [unrolled: 1-line block ×3, first 2 shown]
	v_cmp_lt_u32_e32 vcc_lo, 44, v1
	s_or_b32 s5, vcc_lo, s5
	s_waitcnt vmcnt(1) lgkmcnt(0)
	v_mul_f32_e32 v104, v7, v8
	v_mul_f32_e32 v8, v6, v8
	s_waitcnt vmcnt(0)
	v_fma_f32 v6, v6, v103, -v104
	v_fmac_f32_e32 v8, v7, v103
	v_add_f32_e32 v5, v5, v6
	v_add_f32_e32 v2, v2, v8
	s_andn2_b32 exec_lo, exec_lo, s5
	s_cbranch_execnz .LBB46_197
; %bb.198:
	s_or_b32 exec_lo, exec_lo, s5
	v_mov_b32_e32 v1, 0
	ds_read_b64 v[3:4], v1 offset:368
	s_waitcnt lgkmcnt(0)
	v_mul_f32_e32 v1, v2, v4
	v_mul_f32_e32 v4, v5, v4
	v_fma_f32 v1, v5, v3, -v1
	v_fmac_f32_e32 v4, v2, v3
	buffer_store_dword v1, off, s[0:3], 0 offset:368
	buffer_store_dword v4, off, s[0:3], 0 offset:372
.LBB46_199:
	s_or_b32 exec_lo, exec_lo, s4
	s_mov_b32 s5, -1
	s_waitcnt_vscnt null, 0x0
	s_barrier
	buffer_gl0_inv
.LBB46_200:
	s_and_b32 vcc_lo, exec_lo, s5
	s_cbranch_vccz .LBB46_202
; %bb.201:
	s_lshl_b64 s[4:5], s[6:7], 2
	v_mov_b32_e32 v1, 0
	s_add_u32 s4, s10, s4
	s_addc_u32 s5, s11, s5
	global_load_dword v1, v1, s[4:5]
	s_waitcnt vmcnt(0)
	v_cmp_ne_u32_e32 vcc_lo, 0, v1
	s_cbranch_vccz .LBB46_203
.LBB46_202:
	s_endpgm
.LBB46_203:
	v_lshl_add_u32 v103, v0, 3, 0x180
	s_mov_b32 s4, exec_lo
	v_cmpx_eq_u32_e32 46, v0
	s_cbranch_execz .LBB46_205
; %bb.204:
	s_clause 0x1
	buffer_load_dword v1, off, s[0:3], 0 offset:360
	buffer_load_dword v2, off, s[0:3], 0 offset:364
	v_mov_b32_e32 v3, 0
	buffer_store_dword v3, off, s[0:3], 0 offset:360
	buffer_store_dword v3, off, s[0:3], 0 offset:364
	s_waitcnt vmcnt(0)
	ds_write_b64 v103, v[1:2]
.LBB46_205:
	s_or_b32 exec_lo, exec_lo, s4
	s_waitcnt lgkmcnt(0)
	s_waitcnt_vscnt null, 0x0
	s_barrier
	buffer_gl0_inv
	s_clause 0x3
	buffer_load_dword v4, off, s[0:3], 0 offset:372
	buffer_load_dword v5, off, s[0:3], 0 offset:368
	;; [unrolled: 1-line block ×4, first 2 shown]
	v_mov_b32_e32 v1, 0
	s_mov_b32 s4, exec_lo
	ds_read_b64 v[2:3], v1 offset:752
	s_waitcnt vmcnt(3) lgkmcnt(0)
	v_mul_f32_e32 v8, v3, v4
	v_mul_f32_e32 v4, v2, v4
	s_waitcnt vmcnt(2)
	v_fma_f32 v2, v2, v5, -v8
	v_fmac_f32_e32 v4, v3, v5
	v_add_f32_e32 v2, 0, v2
	v_add_f32_e32 v3, 0, v4
	s_waitcnt vmcnt(1)
	v_sub_f32_e32 v2, v6, v2
	s_waitcnt vmcnt(0)
	v_sub_f32_e32 v3, v7, v3
	buffer_store_dword v2, off, s[0:3], 0 offset:360
	buffer_store_dword v3, off, s[0:3], 0 offset:364
	v_cmpx_lt_u32_e32 44, v0
	s_cbranch_execz .LBB46_207
; %bb.206:
	s_clause 0x1
	buffer_load_dword v2, off, s[0:3], 0 offset:352
	buffer_load_dword v3, off, s[0:3], 0 offset:356
	buffer_store_dword v1, off, s[0:3], 0 offset:352
	buffer_store_dword v1, off, s[0:3], 0 offset:356
	s_waitcnt vmcnt(0)
	ds_write_b64 v103, v[2:3]
.LBB46_207:
	s_or_b32 exec_lo, exec_lo, s4
	s_waitcnt lgkmcnt(0)
	s_waitcnt_vscnt null, 0x0
	s_barrier
	buffer_gl0_inv
	s_clause 0x5
	buffer_load_dword v5, off, s[0:3], 0 offset:364
	buffer_load_dword v6, off, s[0:3], 0 offset:372
	;; [unrolled: 1-line block ×6, first 2 shown]
	ds_read2_b64 v[1:4], v1 offset0:93 offset1:94
	s_mov_b32 s4, exec_lo
	s_waitcnt vmcnt(5) lgkmcnt(0)
	v_mul_f32_e32 v106, v2, v5
	v_mul_f32_e32 v5, v1, v5
	s_waitcnt vmcnt(4)
	v_mul_f32_e32 v107, v3, v6
	v_mul_f32_e32 v6, v4, v6
	s_waitcnt vmcnt(3)
	v_fma_f32 v1, v1, v7, -v106
	v_fmac_f32_e32 v5, v2, v7
	s_waitcnt vmcnt(2)
	v_fmac_f32_e32 v107, v4, v8
	v_fma_f32 v2, v3, v8, -v6
	v_add_f32_e32 v1, 0, v1
	v_add_f32_e32 v3, 0, v5
	;; [unrolled: 1-line block ×4, first 2 shown]
	s_waitcnt vmcnt(1)
	v_sub_f32_e32 v1, v104, v1
	s_waitcnt vmcnt(0)
	v_sub_f32_e32 v2, v105, v2
	buffer_store_dword v1, off, s[0:3], 0 offset:352
	buffer_store_dword v2, off, s[0:3], 0 offset:356
	v_cmpx_lt_u32_e32 43, v0
	s_cbranch_execz .LBB46_209
; %bb.208:
	s_clause 0x1
	buffer_load_dword v1, off, s[0:3], 0 offset:344
	buffer_load_dword v2, off, s[0:3], 0 offset:348
	v_mov_b32_e32 v3, 0
	buffer_store_dword v3, off, s[0:3], 0 offset:344
	buffer_store_dword v3, off, s[0:3], 0 offset:348
	s_waitcnt vmcnt(0)
	ds_write_b64 v103, v[1:2]
.LBB46_209:
	s_or_b32 exec_lo, exec_lo, s4
	s_waitcnt lgkmcnt(0)
	s_waitcnt_vscnt null, 0x0
	s_barrier
	buffer_gl0_inv
	s_clause 0x7
	buffer_load_dword v8, off, s[0:3], 0 offset:356
	buffer_load_dword v104, off, s[0:3], 0 offset:364
	;; [unrolled: 1-line block ×8, first 2 shown]
	v_mov_b32_e32 v1, 0
	ds_read_b128 v[2:5], v1 offset:736
	ds_read_b64 v[6:7], v1 offset:752
	s_mov_b32 s4, exec_lo
	s_waitcnt vmcnt(7) lgkmcnt(1)
	v_mul_f32_e32 v111, v3, v8
	v_mul_f32_e32 v8, v2, v8
	s_waitcnt vmcnt(6)
	v_mul_f32_e32 v112, v4, v104
	v_mul_f32_e32 v104, v5, v104
	s_waitcnt vmcnt(5) lgkmcnt(0)
	v_mul_f32_e32 v113, v6, v105
	s_waitcnt vmcnt(4)
	v_fma_f32 v2, v2, v106, -v111
	v_fmac_f32_e32 v8, v3, v106
	v_mul_f32_e32 v3, v7, v105
	s_waitcnt vmcnt(3)
	v_fma_f32 v4, v4, v107, -v104
	v_fmac_f32_e32 v112, v5, v107
	v_add_f32_e32 v2, 0, v2
	v_add_f32_e32 v5, 0, v8
	s_waitcnt vmcnt(2)
	v_fma_f32 v3, v6, v108, -v3
	v_fmac_f32_e32 v113, v7, v108
	v_add_f32_e32 v2, v2, v4
	v_add_f32_e32 v4, v5, v112
	v_add_f32_e32 v2, v2, v3
	v_add_f32_e32 v3, v4, v113
	s_waitcnt vmcnt(1)
	v_sub_f32_e32 v2, v109, v2
	s_waitcnt vmcnt(0)
	v_sub_f32_e32 v3, v110, v3
	buffer_store_dword v2, off, s[0:3], 0 offset:344
	buffer_store_dword v3, off, s[0:3], 0 offset:348
	v_cmpx_lt_u32_e32 42, v0
	s_cbranch_execz .LBB46_211
; %bb.210:
	s_clause 0x1
	buffer_load_dword v2, off, s[0:3], 0 offset:336
	buffer_load_dword v3, off, s[0:3], 0 offset:340
	buffer_store_dword v1, off, s[0:3], 0 offset:336
	buffer_store_dword v1, off, s[0:3], 0 offset:340
	s_waitcnt vmcnt(0)
	ds_write_b64 v103, v[2:3]
.LBB46_211:
	s_or_b32 exec_lo, exec_lo, s4
	s_waitcnt lgkmcnt(0)
	s_waitcnt_vscnt null, 0x0
	s_barrier
	buffer_gl0_inv
	s_clause 0x9
	buffer_load_dword v6, off, s[0:3], 0 offset:348
	buffer_load_dword v7, off, s[0:3], 0 offset:356
	;; [unrolled: 1-line block ×10, first 2 shown]
	ds_read2_b64 v[2:5], v1 offset0:91 offset1:92
	ds_read2_b64 v[104:107], v1 offset0:93 offset1:94
	s_mov_b32 s4, exec_lo
	s_waitcnt vmcnt(9) lgkmcnt(1)
	v_mul_f32_e32 v1, v2, v6
	v_mul_f32_e32 v6, v3, v6
	s_waitcnt vmcnt(8)
	v_mul_f32_e32 v115, v4, v7
	v_mul_f32_e32 v7, v5, v7
	s_waitcnt vmcnt(7) lgkmcnt(0)
	v_mul_f32_e32 v116, v104, v8
	s_waitcnt vmcnt(5)
	v_fmac_f32_e32 v1, v3, v109
	v_fma_f32 v2, v2, v109, -v6
	v_mul_f32_e32 v3, v105, v8
	s_waitcnt vmcnt(4)
	v_fma_f32 v4, v4, v110, -v7
	v_fmac_f32_e32 v115, v5, v110
	v_add_f32_e32 v1, 0, v1
	v_add_f32_e32 v2, 0, v2
	v_mul_f32_e32 v5, v107, v108
	s_waitcnt vmcnt(3)
	v_fma_f32 v3, v104, v111, -v3
	v_mul_f32_e32 v117, v106, v108
	v_fmac_f32_e32 v116, v105, v111
	v_add_f32_e32 v2, v2, v4
	v_add_f32_e32 v1, v1, v115
	s_waitcnt vmcnt(2)
	v_fma_f32 v4, v106, v112, -v5
	v_fmac_f32_e32 v117, v107, v112
	v_add_f32_e32 v2, v2, v3
	v_add_f32_e32 v1, v1, v116
	;; [unrolled: 1-line block ×4, first 2 shown]
	s_waitcnt vmcnt(1)
	v_sub_f32_e32 v2, v113, v2
	s_waitcnt vmcnt(0)
	v_sub_f32_e32 v1, v114, v1
	buffer_store_dword v2, off, s[0:3], 0 offset:336
	buffer_store_dword v1, off, s[0:3], 0 offset:340
	v_cmpx_lt_u32_e32 41, v0
	s_cbranch_execz .LBB46_213
; %bb.212:
	s_clause 0x1
	buffer_load_dword v1, off, s[0:3], 0 offset:328
	buffer_load_dword v2, off, s[0:3], 0 offset:332
	v_mov_b32_e32 v3, 0
	buffer_store_dword v3, off, s[0:3], 0 offset:328
	buffer_store_dword v3, off, s[0:3], 0 offset:332
	s_waitcnt vmcnt(0)
	ds_write_b64 v103, v[1:2]
.LBB46_213:
	s_or_b32 exec_lo, exec_lo, s4
	s_waitcnt lgkmcnt(0)
	s_waitcnt_vscnt null, 0x0
	s_barrier
	buffer_gl0_inv
	s_clause 0xb
	buffer_load_dword v8, off, s[0:3], 0 offset:340
	buffer_load_dword v108, off, s[0:3], 0 offset:348
	;; [unrolled: 1-line block ×12, first 2 shown]
	v_mov_b32_e32 v1, 0
	ds_read_b128 v[2:5], v1 offset:720
	ds_read_b128 v[104:107], v1 offset:736
	ds_read_b64 v[6:7], v1 offset:752
	s_mov_b32 s4, exec_lo
	s_waitcnt vmcnt(11) lgkmcnt(2)
	v_mul_f32_e32 v119, v2, v8
	v_mul_f32_e32 v8, v3, v8
	s_waitcnt vmcnt(10)
	v_mul_f32_e32 v120, v4, v108
	v_mul_f32_e32 v108, v5, v108
	s_waitcnt vmcnt(9) lgkmcnt(1)
	v_mul_f32_e32 v121, v104, v109
	s_waitcnt vmcnt(6)
	v_fmac_f32_e32 v119, v3, v112
	v_fma_f32 v2, v2, v112, -v8
	v_mul_f32_e32 v3, v105, v109
	s_waitcnt vmcnt(5)
	v_fma_f32 v4, v4, v113, -v108
	v_fmac_f32_e32 v120, v5, v113
	v_add_f32_e32 v5, 0, v119
	v_add_f32_e32 v2, 0, v2
	v_mul_f32_e32 v8, v107, v110
	s_waitcnt vmcnt(4)
	v_fma_f32 v3, v104, v114, -v3
	v_mul_f32_e32 v122, v106, v110
	v_fmac_f32_e32 v121, v105, v114
	v_add_f32_e32 v2, v2, v4
	v_add_f32_e32 v4, v5, v120
	s_waitcnt lgkmcnt(0)
	v_mul_f32_e32 v5, v7, v111
	s_waitcnt vmcnt(3)
	v_fma_f32 v8, v106, v115, -v8
	v_mul_f32_e32 v123, v6, v111
	v_add_f32_e32 v2, v2, v3
	v_fmac_f32_e32 v122, v107, v115
	v_add_f32_e32 v3, v4, v121
	s_waitcnt vmcnt(2)
	v_fma_f32 v4, v6, v116, -v5
	v_fmac_f32_e32 v123, v7, v116
	v_add_f32_e32 v2, v2, v8
	v_add_f32_e32 v3, v3, v122
	;; [unrolled: 1-line block ×4, first 2 shown]
	s_waitcnt vmcnt(1)
	v_sub_f32_e32 v2, v117, v2
	s_waitcnt vmcnt(0)
	v_sub_f32_e32 v3, v118, v3
	buffer_store_dword v2, off, s[0:3], 0 offset:328
	buffer_store_dword v3, off, s[0:3], 0 offset:332
	v_cmpx_lt_u32_e32 40, v0
	s_cbranch_execz .LBB46_215
; %bb.214:
	s_clause 0x1
	buffer_load_dword v2, off, s[0:3], 0 offset:320
	buffer_load_dword v3, off, s[0:3], 0 offset:324
	buffer_store_dword v1, off, s[0:3], 0 offset:320
	buffer_store_dword v1, off, s[0:3], 0 offset:324
	s_waitcnt vmcnt(0)
	ds_write_b64 v103, v[2:3]
.LBB46_215:
	s_or_b32 exec_lo, exec_lo, s4
	s_waitcnt lgkmcnt(0)
	s_waitcnt_vscnt null, 0x0
	s_barrier
	buffer_gl0_inv
	s_clause 0xd
	buffer_load_dword v6, off, s[0:3], 0 offset:332
	buffer_load_dword v7, off, s[0:3], 0 offset:340
	;; [unrolled: 1-line block ×14, first 2 shown]
	ds_read2_b64 v[2:5], v1 offset0:89 offset1:90
	ds_read2_b64 v[104:107], v1 offset0:91 offset1:92
	;; [unrolled: 1-line block ×3, first 2 shown]
	s_mov_b32 s4, exec_lo
	s_waitcnt vmcnt(13) lgkmcnt(2)
	v_mul_f32_e32 v1, v2, v6
	v_mul_f32_e32 v6, v3, v6
	s_waitcnt vmcnt(12)
	v_mul_f32_e32 v123, v4, v7
	v_mul_f32_e32 v7, v5, v7
	s_waitcnt vmcnt(11) lgkmcnt(1)
	v_mul_f32_e32 v124, v104, v8
	s_waitcnt vmcnt(10)
	v_mul_f32_e32 v125, v106, v112
	s_waitcnt vmcnt(7)
	v_fma_f32 v2, v2, v115, -v6
	v_fmac_f32_e32 v1, v3, v115
	v_mul_f32_e32 v3, v105, v8
	s_waitcnt vmcnt(6)
	v_fma_f32 v4, v4, v116, -v7
	v_fmac_f32_e32 v123, v5, v116
	v_add_f32_e32 v2, 0, v2
	v_add_f32_e32 v1, 0, v1
	v_mul_f32_e32 v5, v107, v112
	s_waitcnt vmcnt(5)
	v_fma_f32 v3, v104, v117, -v3
	v_fmac_f32_e32 v124, v105, v117
	v_add_f32_e32 v2, v2, v4
	v_add_f32_e32 v1, v1, v123
	s_waitcnt lgkmcnt(0)
	v_mul_f32_e32 v4, v109, v113
	s_waitcnt vmcnt(4)
	v_fma_f32 v5, v106, v118, -v5
	v_mul_f32_e32 v126, v108, v113
	v_add_f32_e32 v2, v2, v3
	v_fmac_f32_e32 v125, v107, v118
	v_add_f32_e32 v1, v1, v124
	v_mul_f32_e32 v3, v111, v114
	s_waitcnt vmcnt(3)
	v_fma_f32 v4, v108, v119, -v4
	v_add_f32_e32 v2, v2, v5
	v_mul_f32_e32 v127, v110, v114
	v_fmac_f32_e32 v126, v109, v119
	v_add_f32_e32 v1, v1, v125
	s_waitcnt vmcnt(2)
	v_fma_f32 v3, v110, v120, -v3
	v_add_f32_e32 v2, v2, v4
	v_fmac_f32_e32 v127, v111, v120
	v_add_f32_e32 v1, v1, v126
	v_add_f32_e32 v2, v2, v3
	;; [unrolled: 1-line block ×3, first 2 shown]
	s_waitcnt vmcnt(1)
	v_sub_f32_e32 v2, v121, v2
	s_waitcnt vmcnt(0)
	v_sub_f32_e32 v1, v122, v1
	buffer_store_dword v2, off, s[0:3], 0 offset:320
	buffer_store_dword v1, off, s[0:3], 0 offset:324
	v_cmpx_lt_u32_e32 39, v0
	s_cbranch_execz .LBB46_217
; %bb.216:
	s_clause 0x1
	buffer_load_dword v1, off, s[0:3], 0 offset:312
	buffer_load_dword v2, off, s[0:3], 0 offset:316
	v_mov_b32_e32 v3, 0
	buffer_store_dword v3, off, s[0:3], 0 offset:312
	buffer_store_dword v3, off, s[0:3], 0 offset:316
	s_waitcnt vmcnt(0)
	ds_write_b64 v103, v[1:2]
.LBB46_217:
	s_or_b32 exec_lo, exec_lo, s4
	s_waitcnt lgkmcnt(0)
	s_waitcnt_vscnt null, 0x0
	s_barrier
	buffer_gl0_inv
	s_clause 0xf
	buffer_load_dword v8, off, s[0:3], 0 offset:324
	buffer_load_dword v112, off, s[0:3], 0 offset:332
	buffer_load_dword v113, off, s[0:3], 0 offset:340
	buffer_load_dword v114, off, s[0:3], 0 offset:348
	buffer_load_dword v115, off, s[0:3], 0 offset:356
	buffer_load_dword v116, off, s[0:3], 0 offset:364
	buffer_load_dword v117, off, s[0:3], 0 offset:372
	buffer_load_dword v118, off, s[0:3], 0 offset:320
	buffer_load_dword v119, off, s[0:3], 0 offset:328
	buffer_load_dword v120, off, s[0:3], 0 offset:336
	buffer_load_dword v121, off, s[0:3], 0 offset:344
	buffer_load_dword v122, off, s[0:3], 0 offset:352
	buffer_load_dword v123, off, s[0:3], 0 offset:360
	buffer_load_dword v124, off, s[0:3], 0 offset:368
	buffer_load_dword v125, off, s[0:3], 0 offset:312
	buffer_load_dword v126, off, s[0:3], 0 offset:316
	v_mov_b32_e32 v1, 0
	ds_read_b128 v[2:5], v1 offset:704
	ds_read_b128 v[104:107], v1 offset:720
	;; [unrolled: 1-line block ×3, first 2 shown]
	ds_read_b64 v[6:7], v1 offset:752
	s_mov_b32 s4, exec_lo
	s_waitcnt vmcnt(15) lgkmcnt(3)
	v_mul_f32_e32 v127, v2, v8
	v_mul_f32_e32 v8, v3, v8
	s_waitcnt vmcnt(14)
	v_mul_f32_e32 v128, v4, v112
	v_mul_f32_e32 v112, v5, v112
	s_waitcnt vmcnt(13) lgkmcnt(2)
	v_mul_f32_e32 v129, v104, v113
	s_waitcnt vmcnt(12)
	v_mul_f32_e32 v130, v106, v114
	s_waitcnt vmcnt(11) lgkmcnt(1)
	v_mul_f32_e32 v131, v108, v115
	s_waitcnt vmcnt(8)
	v_fma_f32 v2, v2, v118, -v8
	v_fmac_f32_e32 v127, v3, v118
	v_mul_f32_e32 v3, v105, v113
	s_waitcnt vmcnt(7)
	v_fma_f32 v4, v4, v119, -v112
	v_fmac_f32_e32 v128, v5, v119
	v_add_f32_e32 v2, 0, v2
	v_add_f32_e32 v5, 0, v127
	v_mul_f32_e32 v8, v107, v114
	s_waitcnt vmcnt(6)
	v_fma_f32 v3, v104, v120, -v3
	v_fmac_f32_e32 v129, v105, v120
	v_add_f32_e32 v2, v2, v4
	v_add_f32_e32 v4, v5, v128
	;; [unrolled: 6-line block ×3, first 2 shown]
	v_mul_f32_e32 v4, v111, v116
	s_waitcnt vmcnt(4)
	v_fma_f32 v5, v108, v122, -v5
	v_mul_f32_e32 v132, v110, v116
	v_add_f32_e32 v2, v2, v8
	v_fmac_f32_e32 v131, v109, v122
	v_add_f32_e32 v3, v3, v130
	s_waitcnt lgkmcnt(0)
	v_mul_f32_e32 v8, v7, v117
	s_waitcnt vmcnt(3)
	v_fma_f32 v4, v110, v123, -v4
	v_add_f32_e32 v2, v2, v5
	v_mul_f32_e32 v133, v6, v117
	v_fmac_f32_e32 v132, v111, v123
	v_add_f32_e32 v3, v3, v131
	s_waitcnt vmcnt(2)
	v_fma_f32 v5, v6, v124, -v8
	v_add_f32_e32 v2, v2, v4
	v_fmac_f32_e32 v133, v7, v124
	v_add_f32_e32 v3, v3, v132
	v_add_f32_e32 v2, v2, v5
	;; [unrolled: 1-line block ×3, first 2 shown]
	s_waitcnt vmcnt(1)
	v_sub_f32_e32 v2, v125, v2
	s_waitcnt vmcnt(0)
	v_sub_f32_e32 v3, v126, v3
	buffer_store_dword v2, off, s[0:3], 0 offset:312
	buffer_store_dword v3, off, s[0:3], 0 offset:316
	v_cmpx_lt_u32_e32 38, v0
	s_cbranch_execz .LBB46_219
; %bb.218:
	s_clause 0x1
	buffer_load_dword v2, off, s[0:3], 0 offset:304
	buffer_load_dword v3, off, s[0:3], 0 offset:308
	buffer_store_dword v1, off, s[0:3], 0 offset:304
	buffer_store_dword v1, off, s[0:3], 0 offset:308
	s_waitcnt vmcnt(0)
	ds_write_b64 v103, v[2:3]
.LBB46_219:
	s_or_b32 exec_lo, exec_lo, s4
	s_waitcnt lgkmcnt(0)
	s_waitcnt_vscnt null, 0x0
	s_barrier
	buffer_gl0_inv
	s_clause 0x11
	buffer_load_dword v6, off, s[0:3], 0 offset:316
	buffer_load_dword v7, off, s[0:3], 0 offset:324
	;; [unrolled: 1-line block ×18, first 2 shown]
	ds_read2_b64 v[2:5], v1 offset0:87 offset1:88
	ds_read2_b64 v[104:107], v1 offset0:89 offset1:90
	;; [unrolled: 1-line block ×4, first 2 shown]
	s_mov_b32 s4, exec_lo
	s_waitcnt vmcnt(17) lgkmcnt(3)
	v_mul_f32_e32 v1, v2, v6
	v_mul_f32_e32 v6, v3, v6
	s_waitcnt vmcnt(16)
	v_mul_f32_e32 v131, v4, v7
	v_mul_f32_e32 v7, v5, v7
	s_waitcnt vmcnt(15) lgkmcnt(2)
	v_mul_f32_e32 v132, v104, v8
	s_waitcnt vmcnt(14)
	v_mul_f32_e32 v133, v106, v116
	s_waitcnt vmcnt(13) lgkmcnt(1)
	v_mul_f32_e32 v134, v108, v117
	s_waitcnt vmcnt(12)
	v_mul_f32_e32 v135, v110, v118
	s_waitcnt vmcnt(9)
	v_fma_f32 v2, v2, v121, -v6
	v_fmac_f32_e32 v1, v3, v121
	v_mul_f32_e32 v3, v105, v8
	s_waitcnt vmcnt(8)
	v_fma_f32 v4, v4, v122, -v7
	v_fmac_f32_e32 v131, v5, v122
	v_add_f32_e32 v2, 0, v2
	v_add_f32_e32 v1, 0, v1
	v_mul_f32_e32 v5, v107, v116
	s_waitcnt vmcnt(7)
	v_fma_f32 v3, v104, v123, -v3
	v_fmac_f32_e32 v132, v105, v123
	v_add_f32_e32 v2, v2, v4
	v_add_f32_e32 v1, v1, v131
	;; [unrolled: 6-line block ×4, first 2 shown]
	s_waitcnt lgkmcnt(0)
	v_mul_f32_e32 v5, v113, v119
	s_waitcnt vmcnt(4)
	v_fma_f32 v3, v110, v126, -v3
	v_mul_f32_e32 v136, v112, v119
	v_add_f32_e32 v2, v2, v4
	v_fmac_f32_e32 v135, v111, v126
	v_add_f32_e32 v1, v1, v134
	v_mul_f32_e32 v4, v115, v120
	s_waitcnt vmcnt(3)
	v_fma_f32 v5, v112, v127, -v5
	v_add_f32_e32 v2, v2, v3
	v_mul_f32_e32 v137, v114, v120
	v_fmac_f32_e32 v136, v113, v127
	v_add_f32_e32 v1, v1, v135
	s_waitcnt vmcnt(2)
	v_fma_f32 v3, v114, v128, -v4
	v_add_f32_e32 v2, v2, v5
	v_fmac_f32_e32 v137, v115, v128
	v_add_f32_e32 v1, v1, v136
	v_add_f32_e32 v2, v2, v3
	;; [unrolled: 1-line block ×3, first 2 shown]
	s_waitcnt vmcnt(1)
	v_sub_f32_e32 v2, v129, v2
	s_waitcnt vmcnt(0)
	v_sub_f32_e32 v1, v130, v1
	buffer_store_dword v2, off, s[0:3], 0 offset:304
	buffer_store_dword v1, off, s[0:3], 0 offset:308
	v_cmpx_lt_u32_e32 37, v0
	s_cbranch_execz .LBB46_221
; %bb.220:
	s_clause 0x1
	buffer_load_dword v1, off, s[0:3], 0 offset:296
	buffer_load_dword v2, off, s[0:3], 0 offset:300
	v_mov_b32_e32 v3, 0
	buffer_store_dword v3, off, s[0:3], 0 offset:296
	buffer_store_dword v3, off, s[0:3], 0 offset:300
	s_waitcnt vmcnt(0)
	ds_write_b64 v103, v[1:2]
.LBB46_221:
	s_or_b32 exec_lo, exec_lo, s4
	s_waitcnt lgkmcnt(0)
	s_waitcnt_vscnt null, 0x0
	s_barrier
	buffer_gl0_inv
	s_clause 0x13
	buffer_load_dword v8, off, s[0:3], 0 offset:308
	buffer_load_dword v116, off, s[0:3], 0 offset:316
	;; [unrolled: 1-line block ×20, first 2 shown]
	v_mov_b32_e32 v1, 0
	ds_read_b128 v[2:5], v1 offset:688
	ds_read_b128 v[104:107], v1 offset:704
	;; [unrolled: 1-line block ×4, first 2 shown]
	ds_read_b64 v[6:7], v1 offset:752
	s_mov_b32 s4, exec_lo
	s_waitcnt vmcnt(19) lgkmcnt(4)
	v_mul_f32_e32 v135, v2, v8
	v_mul_f32_e32 v8, v3, v8
	s_waitcnt vmcnt(18)
	v_mul_f32_e32 v136, v4, v116
	v_mul_f32_e32 v116, v5, v116
	s_waitcnt vmcnt(17) lgkmcnt(3)
	v_mul_f32_e32 v137, v104, v117
	s_waitcnt vmcnt(16)
	v_mul_f32_e32 v138, v106, v118
	s_waitcnt vmcnt(15) lgkmcnt(2)
	v_mul_f32_e32 v139, v108, v119
	s_waitcnt vmcnt(14)
	;; [unrolled: 4-line block ×3, first 2 shown]
	v_fma_f32 v2, v2, v124, -v8
	v_fmac_f32_e32 v135, v3, v124
	v_mul_f32_e32 v3, v105, v117
	s_waitcnt vmcnt(9)
	v_fma_f32 v4, v4, v125, -v116
	v_fmac_f32_e32 v136, v5, v125
	v_add_f32_e32 v2, 0, v2
	v_add_f32_e32 v5, 0, v135
	v_mul_f32_e32 v8, v107, v118
	s_waitcnt vmcnt(8)
	v_fma_f32 v3, v104, v126, -v3
	v_fmac_f32_e32 v137, v105, v126
	v_add_f32_e32 v2, v2, v4
	v_add_f32_e32 v4, v5, v136
	;; [unrolled: 6-line block ×5, first 2 shown]
	v_mul_f32_e32 v5, v115, v122
	s_waitcnt vmcnt(4)
	v_fma_f32 v8, v112, v130, -v8
	v_mul_f32_e32 v142, v114, v122
	v_add_f32_e32 v2, v2, v4
	v_fmac_f32_e32 v141, v113, v130
	v_add_f32_e32 v3, v3, v140
	s_waitcnt lgkmcnt(0)
	v_mul_f32_e32 v4, v7, v123
	s_waitcnt vmcnt(3)
	v_fma_f32 v5, v114, v131, -v5
	v_add_f32_e32 v2, v2, v8
	v_mul_f32_e32 v143, v6, v123
	v_fmac_f32_e32 v142, v115, v131
	v_add_f32_e32 v3, v3, v141
	s_waitcnt vmcnt(2)
	v_fma_f32 v4, v6, v132, -v4
	v_add_f32_e32 v2, v2, v5
	v_fmac_f32_e32 v143, v7, v132
	v_add_f32_e32 v3, v3, v142
	v_add_f32_e32 v2, v2, v4
	;; [unrolled: 1-line block ×3, first 2 shown]
	s_waitcnt vmcnt(1)
	v_sub_f32_e32 v2, v133, v2
	s_waitcnt vmcnt(0)
	v_sub_f32_e32 v3, v134, v3
	buffer_store_dword v2, off, s[0:3], 0 offset:296
	buffer_store_dword v3, off, s[0:3], 0 offset:300
	v_cmpx_lt_u32_e32 36, v0
	s_cbranch_execz .LBB46_223
; %bb.222:
	s_clause 0x1
	buffer_load_dword v2, off, s[0:3], 0 offset:288
	buffer_load_dword v3, off, s[0:3], 0 offset:292
	buffer_store_dword v1, off, s[0:3], 0 offset:288
	buffer_store_dword v1, off, s[0:3], 0 offset:292
	s_waitcnt vmcnt(0)
	ds_write_b64 v103, v[2:3]
.LBB46_223:
	s_or_b32 exec_lo, exec_lo, s4
	s_waitcnt lgkmcnt(0)
	s_waitcnt_vscnt null, 0x0
	s_barrier
	buffer_gl0_inv
	s_clause 0x15
	buffer_load_dword v6, off, s[0:3], 0 offset:300
	buffer_load_dword v7, off, s[0:3], 0 offset:308
	;; [unrolled: 1-line block ×22, first 2 shown]
	ds_read2_b64 v[2:5], v1 offset0:85 offset1:86
	ds_read2_b64 v[104:107], v1 offset0:87 offset1:88
	;; [unrolled: 1-line block ×5, first 2 shown]
	s_mov_b32 s4, exec_lo
	s_waitcnt vmcnt(21) lgkmcnt(4)
	v_mul_f32_e32 v1, v2, v6
	v_mul_f32_e32 v6, v3, v6
	s_waitcnt vmcnt(20)
	v_mul_f32_e32 v139, v4, v7
	v_mul_f32_e32 v7, v5, v7
	s_waitcnt vmcnt(19) lgkmcnt(3)
	v_mul_f32_e32 v140, v104, v8
	s_waitcnt vmcnt(18)
	v_mul_f32_e32 v141, v106, v120
	s_waitcnt vmcnt(17) lgkmcnt(2)
	v_mul_f32_e32 v142, v108, v121
	s_waitcnt vmcnt(16)
	;; [unrolled: 4-line block ×3, first 2 shown]
	v_mul_f32_e32 v145, v114, v124
	s_waitcnt vmcnt(11)
	v_fma_f32 v2, v2, v127, -v6
	v_fmac_f32_e32 v1, v3, v127
	v_mul_f32_e32 v3, v105, v8
	s_waitcnt vmcnt(10)
	v_fma_f32 v4, v4, v128, -v7
	v_fmac_f32_e32 v139, v5, v128
	v_add_f32_e32 v2, 0, v2
	v_add_f32_e32 v1, 0, v1
	v_mul_f32_e32 v5, v107, v120
	s_waitcnt vmcnt(9)
	v_fma_f32 v3, v104, v129, -v3
	v_fmac_f32_e32 v140, v105, v129
	v_add_f32_e32 v2, v2, v4
	v_add_f32_e32 v1, v1, v139
	;; [unrolled: 6-line block ×6, first 2 shown]
	s_waitcnt lgkmcnt(0)
	v_mul_f32_e32 v3, v117, v125
	s_waitcnt vmcnt(4)
	v_fma_f32 v4, v114, v134, -v4
	v_mul_f32_e32 v146, v116, v125
	v_add_f32_e32 v2, v2, v5
	v_fmac_f32_e32 v145, v115, v134
	v_add_f32_e32 v1, v1, v144
	v_mul_f32_e32 v5, v119, v126
	s_waitcnt vmcnt(3)
	v_fma_f32 v3, v116, v135, -v3
	v_add_f32_e32 v2, v2, v4
	v_mul_f32_e32 v147, v118, v126
	v_fmac_f32_e32 v146, v117, v135
	v_add_f32_e32 v1, v1, v145
	s_waitcnt vmcnt(2)
	v_fma_f32 v4, v118, v136, -v5
	v_add_f32_e32 v2, v2, v3
	v_fmac_f32_e32 v147, v119, v136
	v_add_f32_e32 v1, v1, v146
	v_add_f32_e32 v2, v2, v4
	;; [unrolled: 1-line block ×3, first 2 shown]
	s_waitcnt vmcnt(1)
	v_sub_f32_e32 v2, v137, v2
	s_waitcnt vmcnt(0)
	v_sub_f32_e32 v1, v138, v1
	buffer_store_dword v2, off, s[0:3], 0 offset:288
	buffer_store_dword v1, off, s[0:3], 0 offset:292
	v_cmpx_lt_u32_e32 35, v0
	s_cbranch_execz .LBB46_225
; %bb.224:
	s_clause 0x1
	buffer_load_dword v1, off, s[0:3], 0 offset:280
	buffer_load_dword v2, off, s[0:3], 0 offset:284
	v_mov_b32_e32 v3, 0
	buffer_store_dword v3, off, s[0:3], 0 offset:280
	buffer_store_dword v3, off, s[0:3], 0 offset:284
	s_waitcnt vmcnt(0)
	ds_write_b64 v103, v[1:2]
.LBB46_225:
	s_or_b32 exec_lo, exec_lo, s4
	s_waitcnt lgkmcnt(0)
	s_waitcnt_vscnt null, 0x0
	s_barrier
	buffer_gl0_inv
	s_clause 0x17
	buffer_load_dword v8, off, s[0:3], 0 offset:292
	buffer_load_dword v120, off, s[0:3], 0 offset:300
	;; [unrolled: 1-line block ×24, first 2 shown]
	v_mov_b32_e32 v1, 0
	ds_read_b128 v[2:5], v1 offset:672
	ds_read_b128 v[104:107], v1 offset:688
	;; [unrolled: 1-line block ×5, first 2 shown]
	ds_read_b64 v[6:7], v1 offset:752
	s_mov_b32 s4, exec_lo
	s_waitcnt vmcnt(23) lgkmcnt(5)
	v_mul_f32_e32 v143, v2, v8
	v_mul_f32_e32 v8, v3, v8
	s_waitcnt vmcnt(22)
	v_mul_f32_e32 v144, v4, v120
	v_mul_f32_e32 v120, v5, v120
	s_waitcnt vmcnt(21) lgkmcnt(4)
	v_mul_f32_e32 v145, v104, v121
	s_waitcnt vmcnt(20)
	v_mul_f32_e32 v146, v106, v122
	s_waitcnt vmcnt(19) lgkmcnt(3)
	v_mul_f32_e32 v147, v108, v123
	s_waitcnt vmcnt(18)
	;; [unrolled: 4-line block ×4, first 2 shown]
	v_fma_f32 v2, v2, v130, -v8
	v_fmac_f32_e32 v143, v3, v130
	v_mul_f32_e32 v3, v105, v121
	s_waitcnt vmcnt(11)
	v_fma_f32 v4, v4, v131, -v120
	v_fmac_f32_e32 v144, v5, v131
	v_add_f32_e32 v2, 0, v2
	v_add_f32_e32 v5, 0, v143
	v_mul_f32_e32 v8, v107, v122
	s_waitcnt vmcnt(10)
	v_fma_f32 v3, v104, v132, -v3
	v_fmac_f32_e32 v145, v105, v132
	v_add_f32_e32 v2, v2, v4
	v_add_f32_e32 v4, v5, v144
	v_mul_f32_e32 v5, v109, v123
	s_waitcnt vmcnt(9)
	v_fma_f32 v8, v106, v133, -v8
	v_fmac_f32_e32 v146, v107, v133
	v_add_f32_e32 v2, v2, v3
	v_add_f32_e32 v3, v4, v145
	v_mul_f32_e32 v4, v111, v124
	s_waitcnt vmcnt(8)
	v_fma_f32 v5, v108, v134, -v5
	v_fmac_f32_e32 v147, v109, v134
	v_add_f32_e32 v2, v2, v8
	v_add_f32_e32 v3, v3, v146
	v_mul_f32_e32 v8, v113, v125
	s_waitcnt vmcnt(7)
	v_fma_f32 v4, v110, v135, -v4
	v_fmac_f32_e32 v148, v111, v135
	v_add_f32_e32 v2, v2, v5
	v_add_f32_e32 v3, v3, v147
	v_mul_f32_e32 v5, v115, v126
	s_waitcnt vmcnt(6)
	v_fma_f32 v8, v112, v136, -v8
	v_fmac_f32_e32 v149, v113, v136
	v_add_f32_e32 v2, v2, v4
	v_add_f32_e32 v3, v3, v148
	v_mul_f32_e32 v4, v117, v127
	s_waitcnt vmcnt(5)
	v_fma_f32 v5, v114, v137, -v5
	v_fmac_f32_e32 v150, v115, v137
	v_add_f32_e32 v2, v2, v8
	v_add_f32_e32 v3, v3, v149
	v_mul_f32_e32 v8, v119, v128
	s_waitcnt vmcnt(4)
	v_fma_f32 v4, v116, v138, -v4
	v_mul_f32_e32 v152, v118, v128
	v_add_f32_e32 v2, v2, v5
	v_fmac_f32_e32 v151, v117, v138
	v_add_f32_e32 v3, v3, v150
	s_waitcnt lgkmcnt(0)
	v_mul_f32_e32 v5, v7, v129
	s_waitcnt vmcnt(3)
	v_fma_f32 v8, v118, v139, -v8
	v_add_f32_e32 v2, v2, v4
	v_mul_f32_e32 v153, v6, v129
	v_fmac_f32_e32 v152, v119, v139
	v_add_f32_e32 v3, v3, v151
	s_waitcnt vmcnt(2)
	v_fma_f32 v4, v6, v140, -v5
	v_add_f32_e32 v2, v2, v8
	v_fmac_f32_e32 v153, v7, v140
	v_add_f32_e32 v3, v3, v152
	v_add_f32_e32 v2, v2, v4
	;; [unrolled: 1-line block ×3, first 2 shown]
	s_waitcnt vmcnt(1)
	v_sub_f32_e32 v2, v141, v2
	s_waitcnt vmcnt(0)
	v_sub_f32_e32 v3, v142, v3
	buffer_store_dword v2, off, s[0:3], 0 offset:280
	buffer_store_dword v3, off, s[0:3], 0 offset:284
	v_cmpx_lt_u32_e32 34, v0
	s_cbranch_execz .LBB46_227
; %bb.226:
	s_clause 0x1
	buffer_load_dword v2, off, s[0:3], 0 offset:272
	buffer_load_dword v3, off, s[0:3], 0 offset:276
	buffer_store_dword v1, off, s[0:3], 0 offset:272
	buffer_store_dword v1, off, s[0:3], 0 offset:276
	s_waitcnt vmcnt(0)
	ds_write_b64 v103, v[2:3]
.LBB46_227:
	s_or_b32 exec_lo, exec_lo, s4
	s_waitcnt lgkmcnt(0)
	s_waitcnt_vscnt null, 0x0
	s_barrier
	buffer_gl0_inv
	s_clause 0x19
	buffer_load_dword v6, off, s[0:3], 0 offset:284
	buffer_load_dword v7, off, s[0:3], 0 offset:292
	buffer_load_dword v8, off, s[0:3], 0 offset:300
	buffer_load_dword v124, off, s[0:3], 0 offset:308
	buffer_load_dword v125, off, s[0:3], 0 offset:316
	buffer_load_dword v126, off, s[0:3], 0 offset:324
	buffer_load_dword v127, off, s[0:3], 0 offset:332
	buffer_load_dword v128, off, s[0:3], 0 offset:340
	buffer_load_dword v129, off, s[0:3], 0 offset:348
	buffer_load_dword v130, off, s[0:3], 0 offset:356
	buffer_load_dword v131, off, s[0:3], 0 offset:364
	buffer_load_dword v132, off, s[0:3], 0 offset:372
	buffer_load_dword v133, off, s[0:3], 0 offset:280
	buffer_load_dword v134, off, s[0:3], 0 offset:288
	buffer_load_dword v135, off, s[0:3], 0 offset:296
	buffer_load_dword v136, off, s[0:3], 0 offset:304
	buffer_load_dword v137, off, s[0:3], 0 offset:312
	buffer_load_dword v138, off, s[0:3], 0 offset:320
	buffer_load_dword v139, off, s[0:3], 0 offset:328
	buffer_load_dword v140, off, s[0:3], 0 offset:336
	buffer_load_dword v141, off, s[0:3], 0 offset:344
	buffer_load_dword v142, off, s[0:3], 0 offset:352
	buffer_load_dword v143, off, s[0:3], 0 offset:360
	buffer_load_dword v144, off, s[0:3], 0 offset:368
	buffer_load_dword v145, off, s[0:3], 0 offset:272
	buffer_load_dword v146, off, s[0:3], 0 offset:276
	ds_read2_b64 v[2:5], v1 offset0:83 offset1:84
	ds_read2_b64 v[104:107], v1 offset0:85 offset1:86
	;; [unrolled: 1-line block ×6, first 2 shown]
	s_mov_b32 s4, exec_lo
	s_waitcnt vmcnt(25) lgkmcnt(5)
	v_mul_f32_e32 v1, v2, v6
	v_mul_f32_e32 v6, v3, v6
	s_waitcnt vmcnt(24)
	v_mul_f32_e32 v147, v4, v7
	v_mul_f32_e32 v7, v5, v7
	s_waitcnt vmcnt(23) lgkmcnt(4)
	v_mul_f32_e32 v148, v104, v8
	s_waitcnt vmcnt(22)
	v_mul_f32_e32 v149, v106, v124
	s_waitcnt vmcnt(21) lgkmcnt(3)
	v_mul_f32_e32 v150, v108, v125
	s_waitcnt vmcnt(20)
	;; [unrolled: 4-line block ×4, first 2 shown]
	v_mul_f32_e32 v155, v118, v130
	s_waitcnt vmcnt(13)
	v_fma_f32 v2, v2, v133, -v6
	v_fmac_f32_e32 v1, v3, v133
	v_mul_f32_e32 v3, v105, v8
	s_waitcnt vmcnt(12)
	v_fma_f32 v4, v4, v134, -v7
	v_fmac_f32_e32 v147, v5, v134
	v_add_f32_e32 v2, 0, v2
	v_add_f32_e32 v1, 0, v1
	v_mul_f32_e32 v5, v107, v124
	s_waitcnt vmcnt(11)
	v_fma_f32 v3, v104, v135, -v3
	v_fmac_f32_e32 v148, v105, v135
	v_add_f32_e32 v2, v2, v4
	v_add_f32_e32 v1, v1, v147
	;; [unrolled: 6-line block ×8, first 2 shown]
	s_waitcnt lgkmcnt(0)
	v_mul_f32_e32 v4, v121, v131
	s_waitcnt vmcnt(4)
	v_fma_f32 v5, v118, v142, -v5
	v_mul_f32_e32 v156, v120, v131
	v_add_f32_e32 v2, v2, v3
	v_fmac_f32_e32 v155, v119, v142
	v_add_f32_e32 v1, v1, v154
	v_mul_f32_e32 v3, v123, v132
	s_waitcnt vmcnt(3)
	v_fma_f32 v4, v120, v143, -v4
	v_add_f32_e32 v2, v2, v5
	v_mul_f32_e32 v157, v122, v132
	v_fmac_f32_e32 v156, v121, v143
	v_add_f32_e32 v1, v1, v155
	s_waitcnt vmcnt(2)
	v_fma_f32 v3, v122, v144, -v3
	v_add_f32_e32 v2, v2, v4
	v_fmac_f32_e32 v157, v123, v144
	v_add_f32_e32 v1, v1, v156
	v_add_f32_e32 v2, v2, v3
	;; [unrolled: 1-line block ×3, first 2 shown]
	s_waitcnt vmcnt(1)
	v_sub_f32_e32 v2, v145, v2
	s_waitcnt vmcnt(0)
	v_sub_f32_e32 v1, v146, v1
	buffer_store_dword v2, off, s[0:3], 0 offset:272
	buffer_store_dword v1, off, s[0:3], 0 offset:276
	v_cmpx_lt_u32_e32 33, v0
	s_cbranch_execz .LBB46_229
; %bb.228:
	s_clause 0x1
	buffer_load_dword v1, off, s[0:3], 0 offset:264
	buffer_load_dword v2, off, s[0:3], 0 offset:268
	v_mov_b32_e32 v3, 0
	buffer_store_dword v3, off, s[0:3], 0 offset:264
	buffer_store_dword v3, off, s[0:3], 0 offset:268
	s_waitcnt vmcnt(0)
	ds_write_b64 v103, v[1:2]
.LBB46_229:
	s_or_b32 exec_lo, exec_lo, s4
	s_waitcnt lgkmcnt(0)
	s_waitcnt_vscnt null, 0x0
	s_barrier
	buffer_gl0_inv
	s_clause 0x1b
	buffer_load_dword v8, off, s[0:3], 0 offset:276
	buffer_load_dword v124, off, s[0:3], 0 offset:284
	;; [unrolled: 1-line block ×28, first 2 shown]
	v_mov_b32_e32 v1, 0
	ds_read_b128 v[2:5], v1 offset:656
	ds_read_b128 v[104:107], v1 offset:672
	;; [unrolled: 1-line block ×6, first 2 shown]
	ds_read_b64 v[6:7], v1 offset:752
	s_mov_b32 s4, exec_lo
	s_waitcnt vmcnt(27) lgkmcnt(6)
	v_mul_f32_e32 v151, v2, v8
	v_mul_f32_e32 v8, v3, v8
	s_waitcnt vmcnt(26)
	v_mul_f32_e32 v152, v4, v124
	v_mul_f32_e32 v124, v5, v124
	s_waitcnt vmcnt(25) lgkmcnt(5)
	v_mul_f32_e32 v153, v104, v125
	s_waitcnt vmcnt(24)
	v_mul_f32_e32 v154, v106, v126
	s_waitcnt vmcnt(23) lgkmcnt(4)
	v_mul_f32_e32 v155, v108, v127
	s_waitcnt vmcnt(22)
	;; [unrolled: 4-line block ×5, first 2 shown]
	v_fma_f32 v2, v2, v136, -v8
	v_fmac_f32_e32 v151, v3, v136
	v_mul_f32_e32 v3, v105, v125
	s_waitcnt vmcnt(13)
	v_fma_f32 v4, v4, v137, -v124
	v_fmac_f32_e32 v152, v5, v137
	v_add_f32_e32 v2, 0, v2
	v_add_f32_e32 v5, 0, v151
	v_mul_f32_e32 v8, v107, v126
	s_waitcnt vmcnt(12)
	v_fma_f32 v3, v104, v138, -v3
	v_fmac_f32_e32 v153, v105, v138
	v_add_f32_e32 v2, v2, v4
	v_add_f32_e32 v4, v5, v152
	;; [unrolled: 6-line block ×9, first 2 shown]
	v_mul_f32_e32 v4, v123, v134
	s_waitcnt vmcnt(4)
	v_fma_f32 v5, v120, v146, -v5
	v_mul_f32_e32 v162, v122, v134
	v_add_f32_e32 v2, v2, v8
	v_fmac_f32_e32 v161, v121, v146
	v_add_f32_e32 v3, v3, v160
	s_waitcnt lgkmcnt(0)
	v_mul_f32_e32 v8, v7, v135
	s_waitcnt vmcnt(3)
	v_fma_f32 v4, v122, v147, -v4
	v_add_f32_e32 v2, v2, v5
	v_mul_f32_e32 v163, v6, v135
	v_fmac_f32_e32 v162, v123, v147
	v_add_f32_e32 v3, v3, v161
	s_waitcnt vmcnt(2)
	v_fma_f32 v5, v6, v148, -v8
	v_add_f32_e32 v2, v2, v4
	v_fmac_f32_e32 v163, v7, v148
	v_add_f32_e32 v3, v3, v162
	v_add_f32_e32 v2, v2, v5
	;; [unrolled: 1-line block ×3, first 2 shown]
	s_waitcnt vmcnt(1)
	v_sub_f32_e32 v2, v149, v2
	s_waitcnt vmcnt(0)
	v_sub_f32_e32 v3, v150, v3
	buffer_store_dword v2, off, s[0:3], 0 offset:264
	buffer_store_dword v3, off, s[0:3], 0 offset:268
	v_cmpx_lt_u32_e32 32, v0
	s_cbranch_execz .LBB46_231
; %bb.230:
	s_clause 0x1
	buffer_load_dword v2, off, s[0:3], 0 offset:256
	buffer_load_dword v3, off, s[0:3], 0 offset:260
	buffer_store_dword v1, off, s[0:3], 0 offset:256
	buffer_store_dword v1, off, s[0:3], 0 offset:260
	s_waitcnt vmcnt(0)
	ds_write_b64 v103, v[2:3]
.LBB46_231:
	s_or_b32 exec_lo, exec_lo, s4
	s_waitcnt lgkmcnt(0)
	s_waitcnt_vscnt null, 0x0
	s_barrier
	buffer_gl0_inv
	s_clause 0x1d
	buffer_load_dword v6, off, s[0:3], 0 offset:268
	buffer_load_dword v7, off, s[0:3], 0 offset:276
	;; [unrolled: 1-line block ×30, first 2 shown]
	ds_read2_b64 v[2:5], v1 offset0:81 offset1:82
	ds_read2_b64 v[104:107], v1 offset0:83 offset1:84
	;; [unrolled: 1-line block ×7, first 2 shown]
	s_mov_b32 s4, exec_lo
	s_waitcnt vmcnt(29) lgkmcnt(6)
	v_mul_f32_e32 v1, v2, v6
	v_mul_f32_e32 v6, v3, v6
	s_waitcnt vmcnt(28)
	v_mul_f32_e32 v155, v4, v7
	v_mul_f32_e32 v7, v5, v7
	s_waitcnt vmcnt(27) lgkmcnt(5)
	v_mul_f32_e32 v156, v104, v8
	s_waitcnt vmcnt(26)
	v_mul_f32_e32 v157, v106, v128
	s_waitcnt vmcnt(25) lgkmcnt(4)
	v_mul_f32_e32 v158, v108, v129
	s_waitcnt vmcnt(24)
	;; [unrolled: 4-line block ×5, first 2 shown]
	v_mul_f32_e32 v165, v122, v136
	s_waitcnt vmcnt(15)
	v_fma_f32 v2, v2, v139, -v6
	v_fmac_f32_e32 v1, v3, v139
	v_mul_f32_e32 v3, v105, v8
	s_waitcnt vmcnt(14)
	v_fma_f32 v4, v4, v140, -v7
	v_fmac_f32_e32 v155, v5, v140
	v_add_f32_e32 v2, 0, v2
	v_add_f32_e32 v1, 0, v1
	v_mul_f32_e32 v5, v107, v128
	s_waitcnt vmcnt(13)
	v_fma_f32 v3, v104, v141, -v3
	v_fmac_f32_e32 v156, v105, v141
	v_add_f32_e32 v2, v2, v4
	v_add_f32_e32 v1, v1, v155
	;; [unrolled: 6-line block ×10, first 2 shown]
	s_waitcnt lgkmcnt(0)
	v_mul_f32_e32 v5, v125, v137
	s_waitcnt vmcnt(4)
	v_fma_f32 v3, v122, v150, -v3
	v_mul_f32_e32 v166, v124, v137
	v_add_f32_e32 v2, v2, v4
	v_fmac_f32_e32 v165, v123, v150
	v_add_f32_e32 v1, v1, v164
	v_mul_f32_e32 v4, v127, v138
	s_waitcnt vmcnt(3)
	v_fma_f32 v5, v124, v151, -v5
	v_add_f32_e32 v2, v2, v3
	v_mul_f32_e32 v167, v126, v138
	v_fmac_f32_e32 v166, v125, v151
	v_add_f32_e32 v1, v1, v165
	s_waitcnt vmcnt(2)
	v_fma_f32 v3, v126, v152, -v4
	v_add_f32_e32 v2, v2, v5
	v_fmac_f32_e32 v167, v127, v152
	v_add_f32_e32 v1, v1, v166
	v_add_f32_e32 v2, v2, v3
	v_add_f32_e32 v1, v1, v167
	s_waitcnt vmcnt(1)
	v_sub_f32_e32 v2, v153, v2
	s_waitcnt vmcnt(0)
	v_sub_f32_e32 v1, v154, v1
	buffer_store_dword v2, off, s[0:3], 0 offset:256
	buffer_store_dword v1, off, s[0:3], 0 offset:260
	v_cmpx_lt_u32_e32 31, v0
	s_cbranch_execz .LBB46_233
; %bb.232:
	s_clause 0x1
	buffer_load_dword v1, off, s[0:3], 0 offset:248
	buffer_load_dword v2, off, s[0:3], 0 offset:252
	v_mov_b32_e32 v3, 0
	buffer_store_dword v3, off, s[0:3], 0 offset:248
	buffer_store_dword v3, off, s[0:3], 0 offset:252
	s_waitcnt vmcnt(0)
	ds_write_b64 v103, v[1:2]
.LBB46_233:
	s_or_b32 exec_lo, exec_lo, s4
	s_waitcnt lgkmcnt(0)
	s_waitcnt_vscnt null, 0x0
	s_barrier
	buffer_gl0_inv
	s_clause 0x1f
	buffer_load_dword v8, off, s[0:3], 0 offset:260
	buffer_load_dword v128, off, s[0:3], 0 offset:268
	buffer_load_dword v129, off, s[0:3], 0 offset:276
	buffer_load_dword v130, off, s[0:3], 0 offset:284
	buffer_load_dword v131, off, s[0:3], 0 offset:292
	buffer_load_dword v132, off, s[0:3], 0 offset:300
	buffer_load_dword v133, off, s[0:3], 0 offset:308
	buffer_load_dword v134, off, s[0:3], 0 offset:316
	buffer_load_dword v135, off, s[0:3], 0 offset:324
	buffer_load_dword v136, off, s[0:3], 0 offset:332
	buffer_load_dword v137, off, s[0:3], 0 offset:340
	buffer_load_dword v138, off, s[0:3], 0 offset:348
	buffer_load_dword v139, off, s[0:3], 0 offset:356
	buffer_load_dword v140, off, s[0:3], 0 offset:364
	buffer_load_dword v141, off, s[0:3], 0 offset:372
	buffer_load_dword v142, off, s[0:3], 0 offset:256
	buffer_load_dword v143, off, s[0:3], 0 offset:264
	buffer_load_dword v144, off, s[0:3], 0 offset:272
	buffer_load_dword v145, off, s[0:3], 0 offset:280
	buffer_load_dword v146, off, s[0:3], 0 offset:288
	buffer_load_dword v147, off, s[0:3], 0 offset:296
	buffer_load_dword v148, off, s[0:3], 0 offset:304
	buffer_load_dword v149, off, s[0:3], 0 offset:312
	buffer_load_dword v150, off, s[0:3], 0 offset:320
	buffer_load_dword v151, off, s[0:3], 0 offset:328
	buffer_load_dword v152, off, s[0:3], 0 offset:336
	buffer_load_dword v153, off, s[0:3], 0 offset:344
	buffer_load_dword v154, off, s[0:3], 0 offset:352
	buffer_load_dword v155, off, s[0:3], 0 offset:360
	buffer_load_dword v156, off, s[0:3], 0 offset:368
	buffer_load_dword v157, off, s[0:3], 0 offset:248
	buffer_load_dword v158, off, s[0:3], 0 offset:252
	v_mov_b32_e32 v1, 0
	ds_read_b128 v[2:5], v1 offset:640
	ds_read_b128 v[104:107], v1 offset:656
	;; [unrolled: 1-line block ×7, first 2 shown]
	ds_read_b64 v[6:7], v1 offset:752
	s_mov_b32 s4, exec_lo
	s_waitcnt vmcnt(31) lgkmcnt(7)
	v_mul_f32_e32 v159, v2, v8
	v_mul_f32_e32 v8, v3, v8
	s_waitcnt vmcnt(30)
	v_mul_f32_e32 v160, v4, v128
	v_mul_f32_e32 v128, v5, v128
	s_waitcnt vmcnt(29) lgkmcnt(6)
	v_mul_f32_e32 v161, v104, v129
	s_waitcnt vmcnt(28)
	v_mul_f32_e32 v162, v106, v130
	s_waitcnt vmcnt(27) lgkmcnt(5)
	v_mul_f32_e32 v163, v108, v131
	s_waitcnt vmcnt(26)
	;; [unrolled: 4-line block ×6, first 2 shown]
	v_fma_f32 v2, v2, v142, -v8
	v_fmac_f32_e32 v159, v3, v142
	v_mul_f32_e32 v3, v105, v129
	s_waitcnt vmcnt(15)
	v_fma_f32 v4, v4, v143, -v128
	v_fmac_f32_e32 v160, v5, v143
	v_add_f32_e32 v2, 0, v2
	v_add_f32_e32 v5, 0, v159
	v_mul_f32_e32 v8, v107, v130
	s_waitcnt vmcnt(14)
	v_fma_f32 v3, v104, v144, -v3
	v_fmac_f32_e32 v161, v105, v144
	v_add_f32_e32 v2, v2, v4
	v_add_f32_e32 v4, v5, v160
	;; [unrolled: 6-line block ×11, first 2 shown]
	v_mul_f32_e32 v5, v127, v140
	s_waitcnt vmcnt(4)
	v_fma_f32 v8, v124, v154, -v8
	v_mul_f32_e32 v172, v126, v140
	v_add_f32_e32 v2, v2, v4
	v_fmac_f32_e32 v171, v125, v154
	v_add_f32_e32 v3, v3, v170
	s_waitcnt lgkmcnt(0)
	v_mul_f32_e32 v4, v7, v141
	s_waitcnt vmcnt(3)
	v_fma_f32 v5, v126, v155, -v5
	v_add_f32_e32 v2, v2, v8
	v_mul_f32_e32 v173, v6, v141
	v_fmac_f32_e32 v172, v127, v155
	v_add_f32_e32 v3, v3, v171
	s_waitcnt vmcnt(2)
	v_fma_f32 v4, v6, v156, -v4
	v_add_f32_e32 v2, v2, v5
	v_fmac_f32_e32 v173, v7, v156
	v_add_f32_e32 v3, v3, v172
	v_add_f32_e32 v2, v2, v4
	;; [unrolled: 1-line block ×3, first 2 shown]
	s_waitcnt vmcnt(1)
	v_sub_f32_e32 v2, v157, v2
	s_waitcnt vmcnt(0)
	v_sub_f32_e32 v3, v158, v3
	buffer_store_dword v2, off, s[0:3], 0 offset:248
	buffer_store_dword v3, off, s[0:3], 0 offset:252
	v_cmpx_lt_u32_e32 30, v0
	s_cbranch_execz .LBB46_235
; %bb.234:
	s_clause 0x1
	buffer_load_dword v2, off, s[0:3], 0 offset:240
	buffer_load_dword v3, off, s[0:3], 0 offset:244
	buffer_store_dword v1, off, s[0:3], 0 offset:240
	buffer_store_dword v1, off, s[0:3], 0 offset:244
	s_waitcnt vmcnt(0)
	ds_write_b64 v103, v[2:3]
.LBB46_235:
	s_or_b32 exec_lo, exec_lo, s4
	s_waitcnt lgkmcnt(0)
	s_waitcnt_vscnt null, 0x0
	s_barrier
	buffer_gl0_inv
	s_clause 0x21
	buffer_load_dword v6, off, s[0:3], 0 offset:252
	buffer_load_dword v7, off, s[0:3], 0 offset:260
	;; [unrolled: 1-line block ×34, first 2 shown]
	ds_read2_b64 v[2:5], v1 offset0:79 offset1:80
	ds_read2_b64 v[104:107], v1 offset0:81 offset1:82
	;; [unrolled: 1-line block ×8, first 2 shown]
	s_mov_b32 s4, exec_lo
	s_waitcnt vmcnt(33) lgkmcnt(7)
	v_mul_f32_e32 v1, v2, v6
	v_mul_f32_e32 v6, v3, v6
	s_waitcnt vmcnt(32)
	v_mul_f32_e32 v163, v4, v7
	v_mul_f32_e32 v7, v5, v7
	s_waitcnt vmcnt(31) lgkmcnt(6)
	v_mul_f32_e32 v164, v104, v8
	s_waitcnt vmcnt(30)
	v_mul_f32_e32 v165, v106, v132
	s_waitcnt vmcnt(29) lgkmcnt(5)
	v_mul_f32_e32 v166, v108, v133
	s_waitcnt vmcnt(28)
	;; [unrolled: 4-line block ×6, first 2 shown]
	v_mul_f32_e32 v175, v126, v142
	s_waitcnt vmcnt(17)
	v_fma_f32 v2, v2, v145, -v6
	v_fmac_f32_e32 v1, v3, v145
	v_mul_f32_e32 v3, v105, v8
	s_waitcnt vmcnt(16)
	v_fma_f32 v4, v4, v146, -v7
	v_fmac_f32_e32 v163, v5, v146
	v_add_f32_e32 v2, 0, v2
	v_add_f32_e32 v1, 0, v1
	v_mul_f32_e32 v5, v107, v132
	s_waitcnt vmcnt(15)
	v_fma_f32 v3, v104, v147, -v3
	v_fmac_f32_e32 v164, v105, v147
	v_add_f32_e32 v2, v2, v4
	v_add_f32_e32 v1, v1, v163
	;; [unrolled: 6-line block ×12, first 2 shown]
	s_waitcnt lgkmcnt(0)
	v_mul_f32_e32 v3, v129, v143
	s_waitcnt vmcnt(4)
	v_fma_f32 v4, v126, v158, -v4
	v_mul_f32_e32 v176, v128, v143
	v_add_f32_e32 v2, v2, v5
	v_fmac_f32_e32 v175, v127, v158
	v_add_f32_e32 v1, v1, v174
	v_mul_f32_e32 v5, v131, v144
	s_waitcnt vmcnt(3)
	v_fma_f32 v3, v128, v159, -v3
	v_add_f32_e32 v2, v2, v4
	v_mul_f32_e32 v177, v130, v144
	v_fmac_f32_e32 v176, v129, v159
	v_add_f32_e32 v1, v1, v175
	s_waitcnt vmcnt(2)
	v_fma_f32 v4, v130, v160, -v5
	v_add_f32_e32 v2, v2, v3
	v_fmac_f32_e32 v177, v131, v160
	v_add_f32_e32 v1, v1, v176
	v_add_f32_e32 v2, v2, v4
	;; [unrolled: 1-line block ×3, first 2 shown]
	s_waitcnt vmcnt(1)
	v_sub_f32_e32 v2, v161, v2
	s_waitcnt vmcnt(0)
	v_sub_f32_e32 v1, v162, v1
	buffer_store_dword v2, off, s[0:3], 0 offset:240
	buffer_store_dword v1, off, s[0:3], 0 offset:244
	v_cmpx_lt_u32_e32 29, v0
	s_cbranch_execz .LBB46_237
; %bb.236:
	s_clause 0x1
	buffer_load_dword v1, off, s[0:3], 0 offset:232
	buffer_load_dword v2, off, s[0:3], 0 offset:236
	v_mov_b32_e32 v3, 0
	buffer_store_dword v3, off, s[0:3], 0 offset:232
	buffer_store_dword v3, off, s[0:3], 0 offset:236
	s_waitcnt vmcnt(0)
	ds_write_b64 v103, v[1:2]
.LBB46_237:
	s_or_b32 exec_lo, exec_lo, s4
	s_waitcnt lgkmcnt(0)
	s_waitcnt_vscnt null, 0x0
	s_barrier
	buffer_gl0_inv
	s_clause 0x23
	buffer_load_dword v8, off, s[0:3], 0 offset:244
	buffer_load_dword v132, off, s[0:3], 0 offset:252
	;; [unrolled: 1-line block ×36, first 2 shown]
	v_mov_b32_e32 v1, 0
	ds_read_b128 v[2:5], v1 offset:624
	ds_read_b128 v[104:107], v1 offset:640
	;; [unrolled: 1-line block ×8, first 2 shown]
	ds_read_b64 v[6:7], v1 offset:752
	s_mov_b32 s4, exec_lo
	s_waitcnt vmcnt(35) lgkmcnt(8)
	v_mul_f32_e32 v167, v2, v8
	v_mul_f32_e32 v8, v3, v8
	s_waitcnt vmcnt(34)
	v_mul_f32_e32 v168, v4, v132
	v_mul_f32_e32 v132, v5, v132
	s_waitcnt vmcnt(33) lgkmcnt(7)
	v_mul_f32_e32 v169, v104, v133
	s_waitcnt vmcnt(32)
	v_mul_f32_e32 v170, v106, v134
	s_waitcnt vmcnt(31) lgkmcnt(6)
	v_mul_f32_e32 v171, v108, v135
	s_waitcnt vmcnt(30)
	;; [unrolled: 4-line block ×7, first 2 shown]
	v_fma_f32 v2, v2, v148, -v8
	v_fmac_f32_e32 v167, v3, v148
	v_mul_f32_e32 v3, v105, v133
	s_waitcnt vmcnt(17)
	v_fma_f32 v4, v4, v149, -v132
	v_fmac_f32_e32 v168, v5, v149
	v_add_f32_e32 v2, 0, v2
	v_add_f32_e32 v5, 0, v167
	v_mul_f32_e32 v8, v107, v134
	s_waitcnt vmcnt(16)
	v_fma_f32 v3, v104, v150, -v3
	v_fmac_f32_e32 v169, v105, v150
	v_add_f32_e32 v2, v2, v4
	v_add_f32_e32 v4, v5, v168
	;; [unrolled: 6-line block ×13, first 2 shown]
	v_mul_f32_e32 v8, v131, v146
	s_waitcnt vmcnt(4)
	v_fma_f32 v4, v128, v162, -v4
	v_mul_f32_e32 v182, v130, v146
	v_add_f32_e32 v2, v2, v5
	v_fmac_f32_e32 v181, v129, v162
	v_add_f32_e32 v3, v3, v180
	s_waitcnt lgkmcnt(0)
	v_mul_f32_e32 v5, v7, v147
	s_waitcnt vmcnt(3)
	v_fma_f32 v8, v130, v163, -v8
	v_add_f32_e32 v2, v2, v4
	v_mul_f32_e32 v183, v6, v147
	v_fmac_f32_e32 v182, v131, v163
	v_add_f32_e32 v3, v3, v181
	s_waitcnt vmcnt(2)
	v_fma_f32 v4, v6, v164, -v5
	v_add_f32_e32 v2, v2, v8
	v_fmac_f32_e32 v183, v7, v164
	v_add_f32_e32 v3, v3, v182
	v_add_f32_e32 v2, v2, v4
	;; [unrolled: 1-line block ×3, first 2 shown]
	s_waitcnt vmcnt(1)
	v_sub_f32_e32 v2, v165, v2
	s_waitcnt vmcnt(0)
	v_sub_f32_e32 v3, v166, v3
	buffer_store_dword v2, off, s[0:3], 0 offset:232
	buffer_store_dword v3, off, s[0:3], 0 offset:236
	v_cmpx_lt_u32_e32 28, v0
	s_cbranch_execz .LBB46_239
; %bb.238:
	s_clause 0x1
	buffer_load_dword v2, off, s[0:3], 0 offset:224
	buffer_load_dword v3, off, s[0:3], 0 offset:228
	buffer_store_dword v1, off, s[0:3], 0 offset:224
	buffer_store_dword v1, off, s[0:3], 0 offset:228
	s_waitcnt vmcnt(0)
	ds_write_b64 v103, v[2:3]
.LBB46_239:
	s_or_b32 exec_lo, exec_lo, s4
	s_waitcnt lgkmcnt(0)
	s_waitcnt_vscnt null, 0x0
	s_barrier
	buffer_gl0_inv
	s_clause 0x25
	buffer_load_dword v6, off, s[0:3], 0 offset:236
	buffer_load_dword v7, off, s[0:3], 0 offset:244
	;; [unrolled: 1-line block ×38, first 2 shown]
	ds_read2_b64 v[2:5], v1 offset0:77 offset1:78
	ds_read2_b64 v[104:107], v1 offset0:79 offset1:80
	;; [unrolled: 1-line block ×9, first 2 shown]
	s_mov_b32 s4, exec_lo
	s_waitcnt vmcnt(37) lgkmcnt(8)
	v_mul_f32_e32 v1, v2, v6
	v_mul_f32_e32 v6, v3, v6
	s_waitcnt vmcnt(36)
	v_mul_f32_e32 v171, v4, v7
	v_mul_f32_e32 v7, v5, v7
	s_waitcnt vmcnt(35) lgkmcnt(7)
	v_mul_f32_e32 v172, v104, v8
	s_waitcnt vmcnt(34)
	v_mul_f32_e32 v173, v106, v136
	s_waitcnt vmcnt(33) lgkmcnt(6)
	v_mul_f32_e32 v174, v108, v137
	s_waitcnt vmcnt(32)
	;; [unrolled: 4-line block ×7, first 2 shown]
	v_mul_f32_e32 v185, v130, v148
	s_waitcnt vmcnt(19)
	v_fma_f32 v2, v2, v151, -v6
	v_fmac_f32_e32 v1, v3, v151
	v_mul_f32_e32 v3, v105, v8
	s_waitcnt vmcnt(18)
	v_fma_f32 v4, v4, v152, -v7
	v_fmac_f32_e32 v171, v5, v152
	v_add_f32_e32 v2, 0, v2
	v_add_f32_e32 v1, 0, v1
	v_mul_f32_e32 v5, v107, v136
	s_waitcnt vmcnt(17)
	v_fma_f32 v3, v104, v153, -v3
	v_fmac_f32_e32 v172, v105, v153
	v_add_f32_e32 v2, v2, v4
	v_add_f32_e32 v1, v1, v171
	v_mul_f32_e32 v4, v109, v137
	s_waitcnt vmcnt(16)
	v_fma_f32 v5, v106, v154, -v5
	v_fmac_f32_e32 v173, v107, v154
	v_add_f32_e32 v2, v2, v3
	v_add_f32_e32 v1, v1, v172
	v_mul_f32_e32 v3, v111, v138
	s_waitcnt vmcnt(15)
	v_fma_f32 v4, v108, v155, -v4
	v_fmac_f32_e32 v174, v109, v155
	v_add_f32_e32 v2, v2, v5
	v_add_f32_e32 v1, v1, v173
	v_mul_f32_e32 v5, v113, v139
	s_waitcnt vmcnt(14)
	v_fma_f32 v3, v110, v156, -v3
	v_fmac_f32_e32 v175, v111, v156
	v_add_f32_e32 v2, v2, v4
	v_add_f32_e32 v1, v1, v174
	v_mul_f32_e32 v4, v115, v140
	s_waitcnt vmcnt(13)
	v_fma_f32 v5, v112, v157, -v5
	v_fmac_f32_e32 v176, v113, v157
	v_add_f32_e32 v2, v2, v3
	v_add_f32_e32 v1, v1, v175
	v_mul_f32_e32 v3, v117, v141
	s_waitcnt vmcnt(12)
	v_fma_f32 v4, v114, v158, -v4
	v_fmac_f32_e32 v177, v115, v158
	v_add_f32_e32 v2, v2, v5
	v_add_f32_e32 v1, v1, v176
	v_mul_f32_e32 v5, v119, v142
	s_waitcnt vmcnt(11)
	v_fma_f32 v3, v116, v159, -v3
	v_fmac_f32_e32 v178, v117, v159
	v_add_f32_e32 v2, v2, v4
	v_add_f32_e32 v1, v1, v177
	v_mul_f32_e32 v4, v121, v143
	s_waitcnt vmcnt(10)
	v_fma_f32 v5, v118, v160, -v5
	v_fmac_f32_e32 v179, v119, v160
	v_add_f32_e32 v2, v2, v3
	v_add_f32_e32 v1, v1, v178
	v_mul_f32_e32 v3, v123, v144
	s_waitcnt vmcnt(9)
	v_fma_f32 v4, v120, v161, -v4
	v_fmac_f32_e32 v180, v121, v161
	v_add_f32_e32 v2, v2, v5
	v_add_f32_e32 v1, v1, v179
	v_mul_f32_e32 v5, v125, v145
	s_waitcnt vmcnt(8)
	v_fma_f32 v3, v122, v162, -v3
	v_fmac_f32_e32 v181, v123, v162
	v_add_f32_e32 v2, v2, v4
	v_add_f32_e32 v1, v1, v180
	v_mul_f32_e32 v4, v127, v146
	s_waitcnt vmcnt(7)
	v_fma_f32 v5, v124, v163, -v5
	v_fmac_f32_e32 v182, v125, v163
	v_add_f32_e32 v2, v2, v3
	v_add_f32_e32 v1, v1, v181
	v_mul_f32_e32 v3, v129, v147
	s_waitcnt vmcnt(6)
	v_fma_f32 v4, v126, v164, -v4
	v_fmac_f32_e32 v183, v127, v164
	v_add_f32_e32 v2, v2, v5
	v_add_f32_e32 v1, v1, v182
	v_mul_f32_e32 v5, v131, v148
	s_waitcnt vmcnt(5)
	v_fma_f32 v3, v128, v165, -v3
	v_fmac_f32_e32 v184, v129, v165
	v_add_f32_e32 v2, v2, v4
	v_add_f32_e32 v1, v1, v183
	s_waitcnt lgkmcnt(0)
	v_mul_f32_e32 v4, v133, v149
	s_waitcnt vmcnt(4)
	v_fma_f32 v5, v130, v166, -v5
	v_mul_f32_e32 v186, v132, v149
	v_add_f32_e32 v2, v2, v3
	v_fmac_f32_e32 v185, v131, v166
	v_add_f32_e32 v1, v1, v184
	v_mul_f32_e32 v3, v135, v150
	s_waitcnt vmcnt(3)
	v_fma_f32 v4, v132, v167, -v4
	v_add_f32_e32 v2, v2, v5
	v_mul_f32_e32 v187, v134, v150
	v_fmac_f32_e32 v186, v133, v167
	v_add_f32_e32 v1, v1, v185
	s_waitcnt vmcnt(2)
	v_fma_f32 v3, v134, v168, -v3
	v_add_f32_e32 v2, v2, v4
	v_fmac_f32_e32 v187, v135, v168
	v_add_f32_e32 v1, v1, v186
	v_add_f32_e32 v2, v2, v3
	;; [unrolled: 1-line block ×3, first 2 shown]
	s_waitcnt vmcnt(1)
	v_sub_f32_e32 v2, v169, v2
	s_waitcnt vmcnt(0)
	v_sub_f32_e32 v1, v170, v1
	buffer_store_dword v2, off, s[0:3], 0 offset:224
	buffer_store_dword v1, off, s[0:3], 0 offset:228
	v_cmpx_lt_u32_e32 27, v0
	s_cbranch_execz .LBB46_241
; %bb.240:
	s_clause 0x1
	buffer_load_dword v1, off, s[0:3], 0 offset:216
	buffer_load_dword v2, off, s[0:3], 0 offset:220
	v_mov_b32_e32 v3, 0
	buffer_store_dword v3, off, s[0:3], 0 offset:216
	buffer_store_dword v3, off, s[0:3], 0 offset:220
	s_waitcnt vmcnt(0)
	ds_write_b64 v103, v[1:2]
.LBB46_241:
	s_or_b32 exec_lo, exec_lo, s4
	s_waitcnt lgkmcnt(0)
	s_waitcnt_vscnt null, 0x0
	s_barrier
	buffer_gl0_inv
	s_clause 0x27
	buffer_load_dword v8, off, s[0:3], 0 offset:228
	buffer_load_dword v136, off, s[0:3], 0 offset:236
	;; [unrolled: 1-line block ×40, first 2 shown]
	v_mov_b32_e32 v1, 0
	ds_read_b128 v[2:5], v1 offset:608
	ds_read_b128 v[104:107], v1 offset:624
	;; [unrolled: 1-line block ×9, first 2 shown]
	ds_read_b64 v[6:7], v1 offset:752
	s_mov_b32 s4, exec_lo
	s_waitcnt vmcnt(39) lgkmcnt(9)
	v_mul_f32_e32 v175, v2, v8
	v_mul_f32_e32 v8, v3, v8
	s_waitcnt vmcnt(38)
	v_mul_f32_e32 v176, v4, v136
	v_mul_f32_e32 v136, v5, v136
	s_waitcnt vmcnt(37) lgkmcnt(8)
	v_mul_f32_e32 v177, v104, v137
	s_waitcnt vmcnt(36)
	v_mul_f32_e32 v178, v106, v138
	s_waitcnt vmcnt(35) lgkmcnt(7)
	v_mul_f32_e32 v179, v108, v139
	s_waitcnt vmcnt(34)
	;; [unrolled: 4-line block ×8, first 2 shown]
	v_fma_f32 v2, v2, v154, -v8
	v_fmac_f32_e32 v175, v3, v154
	v_mul_f32_e32 v3, v105, v137
	s_waitcnt vmcnt(19)
	v_fma_f32 v4, v4, v155, -v136
	v_fmac_f32_e32 v176, v5, v155
	v_add_f32_e32 v2, 0, v2
	v_add_f32_e32 v5, 0, v175
	v_mul_f32_e32 v8, v107, v138
	s_waitcnt vmcnt(18)
	v_fma_f32 v3, v104, v156, -v3
	v_fmac_f32_e32 v177, v105, v156
	v_add_f32_e32 v2, v2, v4
	v_add_f32_e32 v4, v5, v176
	;; [unrolled: 6-line block ×15, first 2 shown]
	v_mul_f32_e32 v4, v135, v152
	s_waitcnt vmcnt(4)
	v_fma_f32 v5, v132, v170, -v5
	v_mul_f32_e32 v192, v134, v152
	v_add_f32_e32 v2, v2, v8
	v_fmac_f32_e32 v191, v133, v170
	v_add_f32_e32 v3, v3, v190
	s_waitcnt lgkmcnt(0)
	v_mul_f32_e32 v8, v7, v153
	s_waitcnt vmcnt(3)
	v_fma_f32 v4, v134, v171, -v4
	v_add_f32_e32 v2, v2, v5
	v_mul_f32_e32 v193, v6, v153
	v_fmac_f32_e32 v192, v135, v171
	v_add_f32_e32 v3, v3, v191
	s_waitcnt vmcnt(2)
	v_fma_f32 v5, v6, v172, -v8
	v_add_f32_e32 v2, v2, v4
	v_fmac_f32_e32 v193, v7, v172
	v_add_f32_e32 v3, v3, v192
	v_add_f32_e32 v2, v2, v5
	;; [unrolled: 1-line block ×3, first 2 shown]
	s_waitcnt vmcnt(1)
	v_sub_f32_e32 v2, v173, v2
	s_waitcnt vmcnt(0)
	v_sub_f32_e32 v3, v174, v3
	buffer_store_dword v2, off, s[0:3], 0 offset:216
	buffer_store_dword v3, off, s[0:3], 0 offset:220
	v_cmpx_lt_u32_e32 26, v0
	s_cbranch_execz .LBB46_243
; %bb.242:
	s_clause 0x1
	buffer_load_dword v2, off, s[0:3], 0 offset:208
	buffer_load_dword v3, off, s[0:3], 0 offset:212
	buffer_store_dword v1, off, s[0:3], 0 offset:208
	buffer_store_dword v1, off, s[0:3], 0 offset:212
	s_waitcnt vmcnt(0)
	ds_write_b64 v103, v[2:3]
.LBB46_243:
	s_or_b32 exec_lo, exec_lo, s4
	s_waitcnt lgkmcnt(0)
	s_waitcnt_vscnt null, 0x0
	s_barrier
	buffer_gl0_inv
	s_clause 0x29
	buffer_load_dword v6, off, s[0:3], 0 offset:220
	buffer_load_dword v7, off, s[0:3], 0 offset:228
	;; [unrolled: 1-line block ×42, first 2 shown]
	ds_read2_b64 v[2:5], v1 offset0:75 offset1:76
	ds_read2_b64 v[104:107], v1 offset0:77 offset1:78
	;; [unrolled: 1-line block ×10, first 2 shown]
	s_mov_b32 s4, exec_lo
	s_waitcnt vmcnt(41) lgkmcnt(9)
	v_mul_f32_e32 v1, v2, v6
	v_mul_f32_e32 v6, v3, v6
	s_waitcnt vmcnt(40)
	v_mul_f32_e32 v179, v4, v7
	v_mul_f32_e32 v7, v5, v7
	s_waitcnt vmcnt(39) lgkmcnt(8)
	v_mul_f32_e32 v180, v104, v8
	s_waitcnt vmcnt(38)
	v_mul_f32_e32 v181, v106, v140
	s_waitcnt vmcnt(37) lgkmcnt(7)
	v_mul_f32_e32 v182, v108, v141
	s_waitcnt vmcnt(36)
	v_mul_f32_e32 v183, v110, v142
	s_waitcnt vmcnt(35) lgkmcnt(6)
	v_mul_f32_e32 v184, v112, v143
	s_waitcnt vmcnt(34)
	v_mul_f32_e32 v185, v114, v144
	s_waitcnt vmcnt(33) lgkmcnt(5)
	v_mul_f32_e32 v186, v116, v145
	s_waitcnt vmcnt(32)
	v_mul_f32_e32 v187, v118, v146
	s_waitcnt vmcnt(31) lgkmcnt(4)
	v_mul_f32_e32 v188, v120, v147
	s_waitcnt vmcnt(30)
	v_mul_f32_e32 v189, v122, v148
	s_waitcnt vmcnt(29) lgkmcnt(3)
	v_mul_f32_e32 v190, v124, v149
	s_waitcnt vmcnt(28)
	v_mul_f32_e32 v191, v126, v150
	s_waitcnt vmcnt(27) lgkmcnt(2)
	v_mul_f32_e32 v192, v128, v151
	s_waitcnt vmcnt(26)
	v_mul_f32_e32 v193, v130, v152
	s_waitcnt vmcnt(25) lgkmcnt(1)
	v_mul_f32_e32 v194, v132, v153
	s_waitcnt vmcnt(24)
	v_mul_f32_e32 v195, v134, v154
	s_waitcnt vmcnt(21)
	v_fma_f32 v2, v2, v157, -v6
	v_fmac_f32_e32 v1, v3, v157
	v_mul_f32_e32 v3, v105, v8
	s_waitcnt vmcnt(20)
	v_fma_f32 v4, v4, v158, -v7
	v_fmac_f32_e32 v179, v5, v158
	v_add_f32_e32 v2, 0, v2
	v_add_f32_e32 v1, 0, v1
	v_mul_f32_e32 v5, v107, v140
	s_waitcnt vmcnt(19)
	v_fma_f32 v3, v104, v159, -v3
	v_fmac_f32_e32 v180, v105, v159
	v_add_f32_e32 v2, v2, v4
	v_add_f32_e32 v1, v1, v179
	;; [unrolled: 6-line block ×16, first 2 shown]
	s_waitcnt lgkmcnt(0)
	v_mul_f32_e32 v5, v137, v155
	s_waitcnt vmcnt(4)
	v_fma_f32 v3, v134, v174, -v3
	v_mul_f32_e32 v196, v136, v155
	v_add_f32_e32 v2, v2, v4
	v_fmac_f32_e32 v195, v135, v174
	v_add_f32_e32 v1, v1, v194
	v_mul_f32_e32 v4, v139, v156
	s_waitcnt vmcnt(3)
	v_fma_f32 v5, v136, v175, -v5
	v_add_f32_e32 v2, v2, v3
	v_mul_f32_e32 v197, v138, v156
	v_fmac_f32_e32 v196, v137, v175
	v_add_f32_e32 v1, v1, v195
	s_waitcnt vmcnt(2)
	v_fma_f32 v3, v138, v176, -v4
	v_add_f32_e32 v2, v2, v5
	v_fmac_f32_e32 v197, v139, v176
	v_add_f32_e32 v1, v1, v196
	v_add_f32_e32 v2, v2, v3
	;; [unrolled: 1-line block ×3, first 2 shown]
	s_waitcnt vmcnt(1)
	v_sub_f32_e32 v2, v177, v2
	s_waitcnt vmcnt(0)
	v_sub_f32_e32 v1, v178, v1
	buffer_store_dword v2, off, s[0:3], 0 offset:208
	buffer_store_dword v1, off, s[0:3], 0 offset:212
	v_cmpx_lt_u32_e32 25, v0
	s_cbranch_execz .LBB46_245
; %bb.244:
	s_clause 0x1
	buffer_load_dword v1, off, s[0:3], 0 offset:200
	buffer_load_dword v2, off, s[0:3], 0 offset:204
	v_mov_b32_e32 v3, 0
	buffer_store_dword v3, off, s[0:3], 0 offset:200
	buffer_store_dword v3, off, s[0:3], 0 offset:204
	s_waitcnt vmcnt(0)
	ds_write_b64 v103, v[1:2]
.LBB46_245:
	s_or_b32 exec_lo, exec_lo, s4
	s_waitcnt lgkmcnt(0)
	s_waitcnt_vscnt null, 0x0
	s_barrier
	buffer_gl0_inv
	s_clause 0x2b
	buffer_load_dword v8, off, s[0:3], 0 offset:212
	buffer_load_dword v140, off, s[0:3], 0 offset:220
	buffer_load_dword v141, off, s[0:3], 0 offset:228
	buffer_load_dword v142, off, s[0:3], 0 offset:236
	buffer_load_dword v143, off, s[0:3], 0 offset:244
	buffer_load_dword v144, off, s[0:3], 0 offset:252
	buffer_load_dword v145, off, s[0:3], 0 offset:260
	buffer_load_dword v146, off, s[0:3], 0 offset:268
	buffer_load_dword v147, off, s[0:3], 0 offset:276
	buffer_load_dword v148, off, s[0:3], 0 offset:284
	buffer_load_dword v149, off, s[0:3], 0 offset:292
	buffer_load_dword v150, off, s[0:3], 0 offset:300
	buffer_load_dword v151, off, s[0:3], 0 offset:308
	buffer_load_dword v152, off, s[0:3], 0 offset:316
	buffer_load_dword v153, off, s[0:3], 0 offset:324
	buffer_load_dword v154, off, s[0:3], 0 offset:332
	buffer_load_dword v155, off, s[0:3], 0 offset:340
	buffer_load_dword v156, off, s[0:3], 0 offset:348
	buffer_load_dword v157, off, s[0:3], 0 offset:356
	buffer_load_dword v158, off, s[0:3], 0 offset:364
	buffer_load_dword v159, off, s[0:3], 0 offset:372
	buffer_load_dword v160, off, s[0:3], 0 offset:208
	buffer_load_dword v161, off, s[0:3], 0 offset:216
	buffer_load_dword v162, off, s[0:3], 0 offset:224
	buffer_load_dword v163, off, s[0:3], 0 offset:232
	buffer_load_dword v164, off, s[0:3], 0 offset:240
	buffer_load_dword v165, off, s[0:3], 0 offset:248
	buffer_load_dword v166, off, s[0:3], 0 offset:256
	buffer_load_dword v167, off, s[0:3], 0 offset:264
	buffer_load_dword v168, off, s[0:3], 0 offset:272
	buffer_load_dword v169, off, s[0:3], 0 offset:280
	buffer_load_dword v170, off, s[0:3], 0 offset:288
	buffer_load_dword v171, off, s[0:3], 0 offset:296
	buffer_load_dword v172, off, s[0:3], 0 offset:304
	buffer_load_dword v173, off, s[0:3], 0 offset:312
	buffer_load_dword v174, off, s[0:3], 0 offset:320
	buffer_load_dword v175, off, s[0:3], 0 offset:328
	buffer_load_dword v176, off, s[0:3], 0 offset:336
	buffer_load_dword v177, off, s[0:3], 0 offset:344
	buffer_load_dword v178, off, s[0:3], 0 offset:352
	buffer_load_dword v179, off, s[0:3], 0 offset:360
	buffer_load_dword v180, off, s[0:3], 0 offset:368
	buffer_load_dword v181, off, s[0:3], 0 offset:200
	buffer_load_dword v182, off, s[0:3], 0 offset:204
	v_mov_b32_e32 v1, 0
	ds_read_b128 v[2:5], v1 offset:592
	ds_read_b128 v[104:107], v1 offset:608
	;; [unrolled: 1-line block ×10, first 2 shown]
	ds_read_b64 v[6:7], v1 offset:752
	s_mov_b32 s4, exec_lo
	s_waitcnt vmcnt(43) lgkmcnt(10)
	v_mul_f32_e32 v183, v2, v8
	v_mul_f32_e32 v8, v3, v8
	s_waitcnt vmcnt(42)
	v_mul_f32_e32 v184, v4, v140
	v_mul_f32_e32 v140, v5, v140
	s_waitcnt vmcnt(41) lgkmcnt(9)
	v_mul_f32_e32 v185, v104, v141
	s_waitcnt vmcnt(40)
	v_mul_f32_e32 v186, v106, v142
	s_waitcnt vmcnt(39) lgkmcnt(8)
	v_mul_f32_e32 v187, v108, v143
	s_waitcnt vmcnt(38)
	;; [unrolled: 4-line block ×9, first 2 shown]
	v_fma_f32 v2, v2, v160, -v8
	v_fmac_f32_e32 v183, v3, v160
	v_mul_f32_e32 v3, v105, v141
	s_waitcnt vmcnt(21)
	v_fma_f32 v4, v4, v161, -v140
	v_fmac_f32_e32 v184, v5, v161
	v_add_f32_e32 v2, 0, v2
	v_add_f32_e32 v5, 0, v183
	v_mul_f32_e32 v8, v107, v142
	s_waitcnt vmcnt(20)
	v_fma_f32 v3, v104, v162, -v3
	v_fmac_f32_e32 v185, v105, v162
	v_add_f32_e32 v2, v2, v4
	v_add_f32_e32 v4, v5, v184
	;; [unrolled: 6-line block ×17, first 2 shown]
	v_mul_f32_e32 v5, v139, v158
	s_waitcnt vmcnt(4)
	v_fma_f32 v8, v136, v178, -v8
	v_mul_f32_e32 v202, v138, v158
	v_add_f32_e32 v2, v2, v4
	v_fmac_f32_e32 v201, v137, v178
	v_add_f32_e32 v3, v3, v200
	s_waitcnt lgkmcnt(0)
	v_mul_f32_e32 v4, v7, v159
	s_waitcnt vmcnt(3)
	v_fma_f32 v5, v138, v179, -v5
	v_add_f32_e32 v2, v2, v8
	v_mul_f32_e32 v203, v6, v159
	v_fmac_f32_e32 v202, v139, v179
	v_add_f32_e32 v3, v3, v201
	s_waitcnt vmcnt(2)
	v_fma_f32 v4, v6, v180, -v4
	v_add_f32_e32 v2, v2, v5
	v_fmac_f32_e32 v203, v7, v180
	v_add_f32_e32 v3, v3, v202
	v_add_f32_e32 v2, v2, v4
	;; [unrolled: 1-line block ×3, first 2 shown]
	s_waitcnt vmcnt(1)
	v_sub_f32_e32 v2, v181, v2
	s_waitcnt vmcnt(0)
	v_sub_f32_e32 v3, v182, v3
	buffer_store_dword v2, off, s[0:3], 0 offset:200
	buffer_store_dword v3, off, s[0:3], 0 offset:204
	v_cmpx_lt_u32_e32 24, v0
	s_cbranch_execz .LBB46_247
; %bb.246:
	s_clause 0x1
	buffer_load_dword v2, off, s[0:3], 0 offset:192
	buffer_load_dword v3, off, s[0:3], 0 offset:196
	buffer_store_dword v1, off, s[0:3], 0 offset:192
	buffer_store_dword v1, off, s[0:3], 0 offset:196
	s_waitcnt vmcnt(0)
	ds_write_b64 v103, v[2:3]
.LBB46_247:
	s_or_b32 exec_lo, exec_lo, s4
	s_waitcnt lgkmcnt(0)
	s_waitcnt_vscnt null, 0x0
	s_barrier
	buffer_gl0_inv
	s_clause 0x2d
	buffer_load_dword v6, off, s[0:3], 0 offset:204
	buffer_load_dword v7, off, s[0:3], 0 offset:212
	;; [unrolled: 1-line block ×46, first 2 shown]
	ds_read2_b64 v[2:5], v1 offset0:73 offset1:74
	ds_read2_b64 v[104:107], v1 offset0:75 offset1:76
	;; [unrolled: 1-line block ×11, first 2 shown]
	s_mov_b32 s4, exec_lo
	s_waitcnt vmcnt(45) lgkmcnt(10)
	v_mul_f32_e32 v1, v2, v6
	v_mul_f32_e32 v6, v3, v6
	s_waitcnt vmcnt(44)
	v_mul_f32_e32 v187, v4, v7
	v_mul_f32_e32 v7, v5, v7
	s_waitcnt vmcnt(43) lgkmcnt(9)
	v_mul_f32_e32 v188, v104, v8
	s_waitcnt vmcnt(42)
	v_mul_f32_e32 v189, v106, v144
	s_waitcnt vmcnt(41) lgkmcnt(8)
	v_mul_f32_e32 v190, v108, v145
	s_waitcnt vmcnt(40)
	;; [unrolled: 4-line block ×9, first 2 shown]
	v_mul_f32_e32 v205, v138, v160
	s_waitcnt vmcnt(23)
	v_fma_f32 v2, v2, v163, -v6
	v_fmac_f32_e32 v1, v3, v163
	v_mul_f32_e32 v3, v105, v8
	s_waitcnt vmcnt(22)
	v_fma_f32 v4, v4, v164, -v7
	v_fmac_f32_e32 v187, v5, v164
	v_add_f32_e32 v2, 0, v2
	v_add_f32_e32 v1, 0, v1
	v_mul_f32_e32 v5, v107, v144
	s_waitcnt vmcnt(21)
	v_fma_f32 v3, v104, v165, -v3
	v_fmac_f32_e32 v188, v105, v165
	v_add_f32_e32 v2, v2, v4
	v_add_f32_e32 v1, v1, v187
	;; [unrolled: 6-line block ×18, first 2 shown]
	s_waitcnt lgkmcnt(0)
	v_mul_f32_e32 v3, v141, v161
	s_waitcnt vmcnt(4)
	v_fma_f32 v4, v138, v182, -v4
	v_mul_f32_e32 v206, v140, v161
	v_add_f32_e32 v2, v2, v5
	v_fmac_f32_e32 v205, v139, v182
	v_add_f32_e32 v1, v1, v204
	v_mul_f32_e32 v5, v143, v162
	s_waitcnt vmcnt(3)
	v_fma_f32 v3, v140, v183, -v3
	v_add_f32_e32 v2, v2, v4
	v_mul_f32_e32 v207, v142, v162
	v_fmac_f32_e32 v206, v141, v183
	v_add_f32_e32 v1, v1, v205
	s_waitcnt vmcnt(2)
	v_fma_f32 v4, v142, v184, -v5
	v_add_f32_e32 v2, v2, v3
	v_fmac_f32_e32 v207, v143, v184
	v_add_f32_e32 v1, v1, v206
	v_add_f32_e32 v2, v2, v4
	;; [unrolled: 1-line block ×3, first 2 shown]
	s_waitcnt vmcnt(1)
	v_sub_f32_e32 v2, v185, v2
	s_waitcnt vmcnt(0)
	v_sub_f32_e32 v1, v186, v1
	buffer_store_dword v2, off, s[0:3], 0 offset:192
	buffer_store_dword v1, off, s[0:3], 0 offset:196
	v_cmpx_lt_u32_e32 23, v0
	s_cbranch_execz .LBB46_249
; %bb.248:
	s_clause 0x1
	buffer_load_dword v1, off, s[0:3], 0 offset:184
	buffer_load_dword v2, off, s[0:3], 0 offset:188
	v_mov_b32_e32 v3, 0
	buffer_store_dword v3, off, s[0:3], 0 offset:184
	buffer_store_dword v3, off, s[0:3], 0 offset:188
	s_waitcnt vmcnt(0)
	ds_write_b64 v103, v[1:2]
.LBB46_249:
	s_or_b32 exec_lo, exec_lo, s4
	s_waitcnt lgkmcnt(0)
	s_waitcnt_vscnt null, 0x0
	s_barrier
	buffer_gl0_inv
	s_clause 0x2f
	buffer_load_dword v8, off, s[0:3], 0 offset:196
	buffer_load_dword v144, off, s[0:3], 0 offset:204
	;; [unrolled: 1-line block ×48, first 2 shown]
	v_mov_b32_e32 v1, 0
	ds_read_b128 v[2:5], v1 offset:576
	ds_read_b128 v[104:107], v1 offset:592
	;; [unrolled: 1-line block ×11, first 2 shown]
	ds_read_b64 v[6:7], v1 offset:752
	s_mov_b32 s4, exec_lo
	s_waitcnt vmcnt(47) lgkmcnt(11)
	v_mul_f32_e32 v191, v2, v8
	v_mul_f32_e32 v8, v3, v8
	s_waitcnt vmcnt(46)
	v_mul_f32_e32 v192, v4, v144
	v_mul_f32_e32 v144, v5, v144
	s_waitcnt vmcnt(45) lgkmcnt(10)
	v_mul_f32_e32 v193, v104, v145
	s_waitcnt vmcnt(44)
	v_mul_f32_e32 v194, v106, v146
	s_waitcnt vmcnt(43) lgkmcnt(9)
	v_mul_f32_e32 v195, v108, v147
	s_waitcnt vmcnt(42)
	;; [unrolled: 4-line block ×10, first 2 shown]
	v_fma_f32 v2, v2, v166, -v8
	v_fmac_f32_e32 v191, v3, v166
	v_mul_f32_e32 v3, v105, v145
	s_waitcnt vmcnt(23)
	v_fma_f32 v4, v4, v167, -v144
	v_fmac_f32_e32 v192, v5, v167
	v_add_f32_e32 v2, 0, v2
	v_add_f32_e32 v5, 0, v191
	v_mul_f32_e32 v8, v107, v146
	s_waitcnt vmcnt(22)
	v_fma_f32 v3, v104, v168, -v3
	v_fmac_f32_e32 v193, v105, v168
	v_add_f32_e32 v2, v2, v4
	v_add_f32_e32 v4, v5, v192
	;; [unrolled: 6-line block ×19, first 2 shown]
	v_mul_f32_e32 v8, v143, v164
	s_waitcnt vmcnt(4)
	v_fma_f32 v4, v140, v186, -v4
	v_mul_f32_e32 v212, v142, v164
	v_add_f32_e32 v2, v2, v5
	v_fmac_f32_e32 v211, v141, v186
	v_add_f32_e32 v3, v3, v210
	s_waitcnt lgkmcnt(0)
	v_mul_f32_e32 v5, v7, v165
	s_waitcnt vmcnt(3)
	v_fma_f32 v8, v142, v187, -v8
	v_add_f32_e32 v2, v2, v4
	v_mul_f32_e32 v213, v6, v165
	v_fmac_f32_e32 v212, v143, v187
	v_add_f32_e32 v3, v3, v211
	s_waitcnt vmcnt(2)
	v_fma_f32 v4, v6, v188, -v5
	v_add_f32_e32 v2, v2, v8
	v_fmac_f32_e32 v213, v7, v188
	v_add_f32_e32 v3, v3, v212
	v_add_f32_e32 v2, v2, v4
	;; [unrolled: 1-line block ×3, first 2 shown]
	s_waitcnt vmcnt(1)
	v_sub_f32_e32 v2, v189, v2
	s_waitcnt vmcnt(0)
	v_sub_f32_e32 v3, v190, v3
	buffer_store_dword v2, off, s[0:3], 0 offset:184
	buffer_store_dword v3, off, s[0:3], 0 offset:188
	v_cmpx_lt_u32_e32 22, v0
	s_cbranch_execz .LBB46_251
; %bb.250:
	s_clause 0x1
	buffer_load_dword v2, off, s[0:3], 0 offset:176
	buffer_load_dword v3, off, s[0:3], 0 offset:180
	buffer_store_dword v1, off, s[0:3], 0 offset:176
	buffer_store_dword v1, off, s[0:3], 0 offset:180
	s_waitcnt vmcnt(0)
	ds_write_b64 v103, v[2:3]
.LBB46_251:
	s_or_b32 exec_lo, exec_lo, s4
	s_waitcnt lgkmcnt(0)
	s_waitcnt_vscnt null, 0x0
	s_barrier
	buffer_gl0_inv
	s_clause 0x31
	buffer_load_dword v6, off, s[0:3], 0 offset:188
	buffer_load_dword v7, off, s[0:3], 0 offset:196
	buffer_load_dword v8, off, s[0:3], 0 offset:204
	buffer_load_dword v148, off, s[0:3], 0 offset:212
	buffer_load_dword v149, off, s[0:3], 0 offset:220
	buffer_load_dword v150, off, s[0:3], 0 offset:228
	buffer_load_dword v151, off, s[0:3], 0 offset:236
	buffer_load_dword v152, off, s[0:3], 0 offset:244
	buffer_load_dword v153, off, s[0:3], 0 offset:252
	buffer_load_dword v154, off, s[0:3], 0 offset:260
	buffer_load_dword v155, off, s[0:3], 0 offset:268
	buffer_load_dword v156, off, s[0:3], 0 offset:276
	buffer_load_dword v157, off, s[0:3], 0 offset:284
	buffer_load_dword v158, off, s[0:3], 0 offset:292
	buffer_load_dword v159, off, s[0:3], 0 offset:300
	buffer_load_dword v160, off, s[0:3], 0 offset:308
	buffer_load_dword v161, off, s[0:3], 0 offset:316
	buffer_load_dword v162, off, s[0:3], 0 offset:324
	buffer_load_dword v163, off, s[0:3], 0 offset:332
	buffer_load_dword v164, off, s[0:3], 0 offset:340
	buffer_load_dword v165, off, s[0:3], 0 offset:348
	buffer_load_dword v166, off, s[0:3], 0 offset:356
	buffer_load_dword v167, off, s[0:3], 0 offset:364
	buffer_load_dword v168, off, s[0:3], 0 offset:372
	buffer_load_dword v169, off, s[0:3], 0 offset:184
	buffer_load_dword v170, off, s[0:3], 0 offset:192
	buffer_load_dword v171, off, s[0:3], 0 offset:200
	buffer_load_dword v172, off, s[0:3], 0 offset:208
	buffer_load_dword v173, off, s[0:3], 0 offset:216
	buffer_load_dword v174, off, s[0:3], 0 offset:224
	buffer_load_dword v175, off, s[0:3], 0 offset:232
	buffer_load_dword v176, off, s[0:3], 0 offset:240
	buffer_load_dword v177, off, s[0:3], 0 offset:248
	buffer_load_dword v178, off, s[0:3], 0 offset:256
	buffer_load_dword v179, off, s[0:3], 0 offset:264
	buffer_load_dword v180, off, s[0:3], 0 offset:272
	buffer_load_dword v181, off, s[0:3], 0 offset:280
	buffer_load_dword v182, off, s[0:3], 0 offset:288
	buffer_load_dword v183, off, s[0:3], 0 offset:296
	buffer_load_dword v184, off, s[0:3], 0 offset:304
	buffer_load_dword v185, off, s[0:3], 0 offset:312
	buffer_load_dword v186, off, s[0:3], 0 offset:320
	buffer_load_dword v187, off, s[0:3], 0 offset:328
	buffer_load_dword v188, off, s[0:3], 0 offset:336
	buffer_load_dword v189, off, s[0:3], 0 offset:344
	buffer_load_dword v190, off, s[0:3], 0 offset:352
	buffer_load_dword v191, off, s[0:3], 0 offset:360
	buffer_load_dword v192, off, s[0:3], 0 offset:368
	buffer_load_dword v193, off, s[0:3], 0 offset:176
	buffer_load_dword v194, off, s[0:3], 0 offset:180
	ds_read2_b64 v[2:5], v1 offset0:71 offset1:72
	ds_read2_b64 v[104:107], v1 offset0:73 offset1:74
	;; [unrolled: 1-line block ×12, first 2 shown]
	s_mov_b32 s4, exec_lo
	s_waitcnt vmcnt(49) lgkmcnt(11)
	v_mul_f32_e32 v1, v2, v6
	v_mul_f32_e32 v6, v3, v6
	s_waitcnt vmcnt(48)
	v_mul_f32_e32 v195, v4, v7
	v_mul_f32_e32 v7, v5, v7
	s_waitcnt vmcnt(47) lgkmcnt(10)
	v_mul_f32_e32 v196, v104, v8
	s_waitcnt vmcnt(46)
	v_mul_f32_e32 v197, v106, v148
	s_waitcnt vmcnt(45) lgkmcnt(9)
	v_mul_f32_e32 v198, v108, v149
	s_waitcnt vmcnt(44)
	;; [unrolled: 4-line block ×10, first 2 shown]
	v_mul_f32_e32 v215, v142, v166
	s_waitcnt vmcnt(25)
	v_fma_f32 v2, v2, v169, -v6
	v_fmac_f32_e32 v1, v3, v169
	v_mul_f32_e32 v3, v105, v8
	s_waitcnt vmcnt(24)
	v_fma_f32 v4, v4, v170, -v7
	v_fmac_f32_e32 v195, v5, v170
	v_add_f32_e32 v2, 0, v2
	v_add_f32_e32 v1, 0, v1
	v_mul_f32_e32 v5, v107, v148
	s_waitcnt vmcnt(23)
	v_fma_f32 v3, v104, v171, -v3
	v_fmac_f32_e32 v196, v105, v171
	v_add_f32_e32 v2, v2, v4
	v_add_f32_e32 v1, v1, v195
	v_mul_f32_e32 v4, v109, v149
	s_waitcnt vmcnt(22)
	v_fma_f32 v5, v106, v172, -v5
	v_fmac_f32_e32 v197, v107, v172
	v_add_f32_e32 v2, v2, v3
	v_add_f32_e32 v1, v1, v196
	v_mul_f32_e32 v3, v111, v150
	s_waitcnt vmcnt(21)
	v_fma_f32 v4, v108, v173, -v4
	v_fmac_f32_e32 v198, v109, v173
	v_add_f32_e32 v2, v2, v5
	v_add_f32_e32 v1, v1, v197
	v_mul_f32_e32 v5, v113, v151
	s_waitcnt vmcnt(20)
	v_fma_f32 v3, v110, v174, -v3
	v_fmac_f32_e32 v199, v111, v174
	v_add_f32_e32 v2, v2, v4
	v_add_f32_e32 v1, v1, v198
	v_mul_f32_e32 v4, v115, v152
	s_waitcnt vmcnt(19)
	v_fma_f32 v5, v112, v175, -v5
	v_fmac_f32_e32 v200, v113, v175
	v_add_f32_e32 v2, v2, v3
	v_add_f32_e32 v1, v1, v199
	v_mul_f32_e32 v3, v117, v153
	s_waitcnt vmcnt(18)
	v_fma_f32 v4, v114, v176, -v4
	v_fmac_f32_e32 v201, v115, v176
	v_add_f32_e32 v2, v2, v5
	v_add_f32_e32 v1, v1, v200
	v_mul_f32_e32 v5, v119, v154
	s_waitcnt vmcnt(17)
	v_fma_f32 v3, v116, v177, -v3
	v_fmac_f32_e32 v202, v117, v177
	v_add_f32_e32 v2, v2, v4
	v_add_f32_e32 v1, v1, v201
	v_mul_f32_e32 v4, v121, v155
	s_waitcnt vmcnt(16)
	v_fma_f32 v5, v118, v178, -v5
	v_fmac_f32_e32 v203, v119, v178
	v_add_f32_e32 v2, v2, v3
	v_add_f32_e32 v1, v1, v202
	v_mul_f32_e32 v3, v123, v156
	s_waitcnt vmcnt(15)
	v_fma_f32 v4, v120, v179, -v4
	v_fmac_f32_e32 v204, v121, v179
	v_add_f32_e32 v2, v2, v5
	v_add_f32_e32 v1, v1, v203
	v_mul_f32_e32 v5, v125, v157
	s_waitcnt vmcnt(14)
	v_fma_f32 v3, v122, v180, -v3
	v_fmac_f32_e32 v205, v123, v180
	v_add_f32_e32 v2, v2, v4
	v_add_f32_e32 v1, v1, v204
	v_mul_f32_e32 v4, v127, v158
	s_waitcnt vmcnt(13)
	v_fma_f32 v5, v124, v181, -v5
	v_fmac_f32_e32 v206, v125, v181
	v_add_f32_e32 v2, v2, v3
	v_add_f32_e32 v1, v1, v205
	v_mul_f32_e32 v3, v129, v159
	s_waitcnt vmcnt(12)
	v_fma_f32 v4, v126, v182, -v4
	v_fmac_f32_e32 v207, v127, v182
	v_add_f32_e32 v2, v2, v5
	v_add_f32_e32 v1, v1, v206
	v_mul_f32_e32 v5, v131, v160
	s_waitcnt vmcnt(11)
	v_fma_f32 v3, v128, v183, -v3
	v_fmac_f32_e32 v208, v129, v183
	v_add_f32_e32 v2, v2, v4
	v_add_f32_e32 v1, v1, v207
	v_mul_f32_e32 v4, v133, v161
	s_waitcnt vmcnt(10)
	v_fma_f32 v5, v130, v184, -v5
	v_fmac_f32_e32 v209, v131, v184
	v_add_f32_e32 v2, v2, v3
	v_add_f32_e32 v1, v1, v208
	v_mul_f32_e32 v3, v135, v162
	s_waitcnt vmcnt(9)
	v_fma_f32 v4, v132, v185, -v4
	v_fmac_f32_e32 v210, v133, v185
	v_add_f32_e32 v2, v2, v5
	v_add_f32_e32 v1, v1, v209
	v_mul_f32_e32 v5, v137, v163
	s_waitcnt vmcnt(8)
	v_fma_f32 v3, v134, v186, -v3
	v_fmac_f32_e32 v211, v135, v186
	v_add_f32_e32 v2, v2, v4
	v_add_f32_e32 v1, v1, v210
	v_mul_f32_e32 v4, v139, v164
	s_waitcnt vmcnt(7)
	v_fma_f32 v5, v136, v187, -v5
	v_fmac_f32_e32 v212, v137, v187
	v_add_f32_e32 v2, v2, v3
	v_add_f32_e32 v1, v1, v211
	v_mul_f32_e32 v3, v141, v165
	s_waitcnt vmcnt(6)
	v_fma_f32 v4, v138, v188, -v4
	v_fmac_f32_e32 v213, v139, v188
	v_add_f32_e32 v2, v2, v5
	v_add_f32_e32 v1, v1, v212
	v_mul_f32_e32 v5, v143, v166
	s_waitcnt vmcnt(5)
	v_fma_f32 v3, v140, v189, -v3
	v_fmac_f32_e32 v214, v141, v189
	v_add_f32_e32 v2, v2, v4
	v_add_f32_e32 v1, v1, v213
	s_waitcnt lgkmcnt(0)
	v_mul_f32_e32 v4, v145, v167
	s_waitcnt vmcnt(4)
	v_fma_f32 v5, v142, v190, -v5
	v_mul_f32_e32 v216, v144, v167
	v_add_f32_e32 v2, v2, v3
	v_fmac_f32_e32 v215, v143, v190
	v_add_f32_e32 v1, v1, v214
	v_mul_f32_e32 v3, v147, v168
	s_waitcnt vmcnt(3)
	v_fma_f32 v4, v144, v191, -v4
	v_add_f32_e32 v2, v2, v5
	v_mul_f32_e32 v217, v146, v168
	v_fmac_f32_e32 v216, v145, v191
	v_add_f32_e32 v1, v1, v215
	s_waitcnt vmcnt(2)
	v_fma_f32 v3, v146, v192, -v3
	v_add_f32_e32 v2, v2, v4
	v_fmac_f32_e32 v217, v147, v192
	v_add_f32_e32 v1, v1, v216
	v_add_f32_e32 v2, v2, v3
	;; [unrolled: 1-line block ×3, first 2 shown]
	s_waitcnt vmcnt(1)
	v_sub_f32_e32 v2, v193, v2
	s_waitcnt vmcnt(0)
	v_sub_f32_e32 v1, v194, v1
	buffer_store_dword v2, off, s[0:3], 0 offset:176
	buffer_store_dword v1, off, s[0:3], 0 offset:180
	v_cmpx_lt_u32_e32 21, v0
	s_cbranch_execz .LBB46_253
; %bb.252:
	s_clause 0x1
	buffer_load_dword v1, off, s[0:3], 0 offset:168
	buffer_load_dword v2, off, s[0:3], 0 offset:172
	v_mov_b32_e32 v3, 0
	buffer_store_dword v3, off, s[0:3], 0 offset:168
	buffer_store_dword v3, off, s[0:3], 0 offset:172
	s_waitcnt vmcnt(0)
	ds_write_b64 v103, v[1:2]
.LBB46_253:
	s_or_b32 exec_lo, exec_lo, s4
	s_waitcnt lgkmcnt(0)
	s_waitcnt_vscnt null, 0x0
	s_barrier
	buffer_gl0_inv
	s_clause 0x33
	buffer_load_dword v8, off, s[0:3], 0 offset:180
	buffer_load_dword v148, off, s[0:3], 0 offset:188
	buffer_load_dword v149, off, s[0:3], 0 offset:196
	buffer_load_dword v150, off, s[0:3], 0 offset:204
	buffer_load_dword v151, off, s[0:3], 0 offset:212
	buffer_load_dword v152, off, s[0:3], 0 offset:220
	buffer_load_dword v153, off, s[0:3], 0 offset:228
	buffer_load_dword v154, off, s[0:3], 0 offset:236
	buffer_load_dword v155, off, s[0:3], 0 offset:244
	buffer_load_dword v156, off, s[0:3], 0 offset:252
	buffer_load_dword v157, off, s[0:3], 0 offset:260
	buffer_load_dword v158, off, s[0:3], 0 offset:268
	buffer_load_dword v159, off, s[0:3], 0 offset:276
	buffer_load_dword v160, off, s[0:3], 0 offset:284
	buffer_load_dword v161, off, s[0:3], 0 offset:292
	buffer_load_dword v162, off, s[0:3], 0 offset:300
	buffer_load_dword v163, off, s[0:3], 0 offset:308
	buffer_load_dword v164, off, s[0:3], 0 offset:316
	buffer_load_dword v165, off, s[0:3], 0 offset:324
	buffer_load_dword v166, off, s[0:3], 0 offset:332
	buffer_load_dword v167, off, s[0:3], 0 offset:340
	buffer_load_dword v168, off, s[0:3], 0 offset:348
	buffer_load_dword v169, off, s[0:3], 0 offset:356
	buffer_load_dword v170, off, s[0:3], 0 offset:364
	buffer_load_dword v171, off, s[0:3], 0 offset:372
	buffer_load_dword v172, off, s[0:3], 0 offset:176
	buffer_load_dword v173, off, s[0:3], 0 offset:184
	buffer_load_dword v174, off, s[0:3], 0 offset:192
	buffer_load_dword v175, off, s[0:3], 0 offset:200
	buffer_load_dword v176, off, s[0:3], 0 offset:208
	buffer_load_dword v177, off, s[0:3], 0 offset:216
	buffer_load_dword v178, off, s[0:3], 0 offset:224
	buffer_load_dword v179, off, s[0:3], 0 offset:232
	buffer_load_dword v180, off, s[0:3], 0 offset:240
	buffer_load_dword v181, off, s[0:3], 0 offset:248
	buffer_load_dword v182, off, s[0:3], 0 offset:256
	buffer_load_dword v183, off, s[0:3], 0 offset:264
	buffer_load_dword v184, off, s[0:3], 0 offset:272
	buffer_load_dword v185, off, s[0:3], 0 offset:280
	buffer_load_dword v186, off, s[0:3], 0 offset:288
	buffer_load_dword v187, off, s[0:3], 0 offset:296
	buffer_load_dword v188, off, s[0:3], 0 offset:304
	buffer_load_dword v189, off, s[0:3], 0 offset:312
	buffer_load_dword v190, off, s[0:3], 0 offset:320
	buffer_load_dword v191, off, s[0:3], 0 offset:328
	buffer_load_dword v192, off, s[0:3], 0 offset:336
	buffer_load_dword v193, off, s[0:3], 0 offset:344
	buffer_load_dword v194, off, s[0:3], 0 offset:352
	buffer_load_dword v195, off, s[0:3], 0 offset:360
	buffer_load_dword v196, off, s[0:3], 0 offset:368
	buffer_load_dword v197, off, s[0:3], 0 offset:168
	buffer_load_dword v198, off, s[0:3], 0 offset:172
	v_mov_b32_e32 v1, 0
	ds_read_b128 v[2:5], v1 offset:560
	ds_read_b128 v[104:107], v1 offset:576
	;; [unrolled: 1-line block ×12, first 2 shown]
	ds_read_b64 v[6:7], v1 offset:752
	s_mov_b32 s4, exec_lo
	s_waitcnt vmcnt(51) lgkmcnt(12)
	v_mul_f32_e32 v199, v2, v8
	v_mul_f32_e32 v8, v3, v8
	s_waitcnt vmcnt(50)
	v_mul_f32_e32 v200, v4, v148
	v_mul_f32_e32 v148, v5, v148
	s_waitcnt vmcnt(49) lgkmcnt(11)
	v_mul_f32_e32 v201, v104, v149
	s_waitcnt vmcnt(48)
	v_mul_f32_e32 v202, v106, v150
	s_waitcnt vmcnt(47) lgkmcnt(10)
	v_mul_f32_e32 v203, v108, v151
	s_waitcnt vmcnt(46)
	;; [unrolled: 4-line block ×11, first 2 shown]
	v_fma_f32 v2, v2, v172, -v8
	v_fmac_f32_e32 v199, v3, v172
	v_mul_f32_e32 v3, v105, v149
	s_waitcnt vmcnt(25)
	v_fma_f32 v4, v4, v173, -v148
	v_fmac_f32_e32 v200, v5, v173
	v_add_f32_e32 v2, 0, v2
	v_add_f32_e32 v5, 0, v199
	v_mul_f32_e32 v8, v107, v150
	s_waitcnt vmcnt(24)
	v_fma_f32 v3, v104, v174, -v3
	v_fmac_f32_e32 v201, v105, v174
	v_add_f32_e32 v2, v2, v4
	v_add_f32_e32 v4, v5, v200
	;; [unrolled: 6-line block ×21, first 2 shown]
	v_mul_f32_e32 v4, v147, v170
	s_waitcnt vmcnt(4)
	v_fma_f32 v5, v144, v194, -v5
	v_mul_f32_e32 v222, v146, v170
	v_add_f32_e32 v2, v2, v8
	v_fmac_f32_e32 v221, v145, v194
	v_add_f32_e32 v3, v3, v220
	s_waitcnt lgkmcnt(0)
	v_mul_f32_e32 v8, v7, v171
	s_waitcnt vmcnt(3)
	v_fma_f32 v4, v146, v195, -v4
	v_add_f32_e32 v2, v2, v5
	v_mul_f32_e32 v223, v6, v171
	v_fmac_f32_e32 v222, v147, v195
	v_add_f32_e32 v3, v3, v221
	s_waitcnt vmcnt(2)
	v_fma_f32 v5, v6, v196, -v8
	v_add_f32_e32 v2, v2, v4
	v_fmac_f32_e32 v223, v7, v196
	v_add_f32_e32 v3, v3, v222
	v_add_f32_e32 v2, v2, v5
	v_add_f32_e32 v3, v3, v223
	s_waitcnt vmcnt(1)
	v_sub_f32_e32 v2, v197, v2
	s_waitcnt vmcnt(0)
	v_sub_f32_e32 v3, v198, v3
	buffer_store_dword v2, off, s[0:3], 0 offset:168
	buffer_store_dword v3, off, s[0:3], 0 offset:172
	v_cmpx_lt_u32_e32 20, v0
	s_cbranch_execz .LBB46_255
; %bb.254:
	s_clause 0x1
	buffer_load_dword v2, off, s[0:3], 0 offset:160
	buffer_load_dword v3, off, s[0:3], 0 offset:164
	buffer_store_dword v1, off, s[0:3], 0 offset:160
	buffer_store_dword v1, off, s[0:3], 0 offset:164
	s_waitcnt vmcnt(0)
	ds_write_b64 v103, v[2:3]
.LBB46_255:
	s_or_b32 exec_lo, exec_lo, s4
	s_waitcnt lgkmcnt(0)
	s_waitcnt_vscnt null, 0x0
	s_barrier
	buffer_gl0_inv
	s_clause 0x35
	buffer_load_dword v6, off, s[0:3], 0 offset:172
	buffer_load_dword v7, off, s[0:3], 0 offset:180
	;; [unrolled: 1-line block ×54, first 2 shown]
	ds_read2_b64 v[2:5], v1 offset0:69 offset1:70
	ds_read2_b64 v[104:107], v1 offset0:71 offset1:72
	;; [unrolled: 1-line block ×13, first 2 shown]
	s_mov_b32 s4, exec_lo
	s_waitcnt vmcnt(53) lgkmcnt(12)
	v_mul_f32_e32 v1, v2, v6
	v_mul_f32_e32 v6, v3, v6
	s_waitcnt vmcnt(52)
	v_mul_f32_e32 v203, v4, v7
	v_mul_f32_e32 v7, v5, v7
	s_waitcnt vmcnt(51) lgkmcnt(11)
	v_mul_f32_e32 v204, v104, v8
	s_waitcnt vmcnt(50)
	v_mul_f32_e32 v205, v106, v152
	s_waitcnt vmcnt(49) lgkmcnt(10)
	v_mul_f32_e32 v206, v108, v153
	s_waitcnt vmcnt(48)
	;; [unrolled: 4-line block ×11, first 2 shown]
	v_mul_f32_e32 v225, v146, v172
	s_waitcnt vmcnt(27)
	v_fma_f32 v2, v2, v175, -v6
	v_fmac_f32_e32 v1, v3, v175
	v_mul_f32_e32 v3, v105, v8
	s_waitcnt vmcnt(26)
	v_fma_f32 v4, v4, v176, -v7
	v_fmac_f32_e32 v203, v5, v176
	v_add_f32_e32 v2, 0, v2
	v_add_f32_e32 v1, 0, v1
	v_mul_f32_e32 v5, v107, v152
	s_waitcnt vmcnt(25)
	v_fma_f32 v3, v104, v177, -v3
	v_fmac_f32_e32 v204, v105, v177
	v_add_f32_e32 v2, v2, v4
	v_add_f32_e32 v1, v1, v203
	;; [unrolled: 6-line block ×22, first 2 shown]
	s_waitcnt lgkmcnt(0)
	v_mul_f32_e32 v5, v149, v173
	s_waitcnt vmcnt(4)
	v_fma_f32 v3, v146, v198, -v3
	v_mul_f32_e32 v226, v148, v173
	v_add_f32_e32 v2, v2, v4
	v_fmac_f32_e32 v225, v147, v198
	v_add_f32_e32 v1, v1, v224
	v_mul_f32_e32 v4, v151, v174
	s_waitcnt vmcnt(3)
	v_fma_f32 v5, v148, v199, -v5
	v_add_f32_e32 v2, v2, v3
	v_mul_f32_e32 v227, v150, v174
	v_fmac_f32_e32 v226, v149, v199
	v_add_f32_e32 v1, v1, v225
	s_waitcnt vmcnt(2)
	v_fma_f32 v3, v150, v200, -v4
	v_add_f32_e32 v2, v2, v5
	v_fmac_f32_e32 v227, v151, v200
	v_add_f32_e32 v1, v1, v226
	v_add_f32_e32 v2, v2, v3
	;; [unrolled: 1-line block ×3, first 2 shown]
	s_waitcnt vmcnt(1)
	v_sub_f32_e32 v2, v201, v2
	s_waitcnt vmcnt(0)
	v_sub_f32_e32 v1, v202, v1
	buffer_store_dword v2, off, s[0:3], 0 offset:160
	buffer_store_dword v1, off, s[0:3], 0 offset:164
	v_cmpx_lt_u32_e32 19, v0
	s_cbranch_execz .LBB46_257
; %bb.256:
	s_clause 0x1
	buffer_load_dword v1, off, s[0:3], 0 offset:152
	buffer_load_dword v2, off, s[0:3], 0 offset:156
	v_mov_b32_e32 v3, 0
	buffer_store_dword v3, off, s[0:3], 0 offset:152
	buffer_store_dword v3, off, s[0:3], 0 offset:156
	s_waitcnt vmcnt(0)
	ds_write_b64 v103, v[1:2]
.LBB46_257:
	s_or_b32 exec_lo, exec_lo, s4
	s_waitcnt lgkmcnt(0)
	s_waitcnt_vscnt null, 0x0
	s_barrier
	buffer_gl0_inv
	s_clause 0x37
	buffer_load_dword v8, off, s[0:3], 0 offset:164
	buffer_load_dword v152, off, s[0:3], 0 offset:172
	buffer_load_dword v153, off, s[0:3], 0 offset:180
	buffer_load_dword v154, off, s[0:3], 0 offset:188
	buffer_load_dword v155, off, s[0:3], 0 offset:196
	buffer_load_dword v156, off, s[0:3], 0 offset:204
	buffer_load_dword v157, off, s[0:3], 0 offset:212
	buffer_load_dword v158, off, s[0:3], 0 offset:220
	buffer_load_dword v159, off, s[0:3], 0 offset:228
	buffer_load_dword v160, off, s[0:3], 0 offset:236
	buffer_load_dword v161, off, s[0:3], 0 offset:244
	buffer_load_dword v162, off, s[0:3], 0 offset:252
	buffer_load_dword v163, off, s[0:3], 0 offset:260
	buffer_load_dword v164, off, s[0:3], 0 offset:268
	buffer_load_dword v165, off, s[0:3], 0 offset:276
	buffer_load_dword v166, off, s[0:3], 0 offset:284
	buffer_load_dword v167, off, s[0:3], 0 offset:292
	buffer_load_dword v168, off, s[0:3], 0 offset:300
	buffer_load_dword v169, off, s[0:3], 0 offset:308
	buffer_load_dword v170, off, s[0:3], 0 offset:316
	buffer_load_dword v171, off, s[0:3], 0 offset:324
	buffer_load_dword v172, off, s[0:3], 0 offset:332
	buffer_load_dword v173, off, s[0:3], 0 offset:340
	buffer_load_dword v174, off, s[0:3], 0 offset:348
	buffer_load_dword v175, off, s[0:3], 0 offset:356
	buffer_load_dword v176, off, s[0:3], 0 offset:364
	buffer_load_dword v177, off, s[0:3], 0 offset:372
	buffer_load_dword v178, off, s[0:3], 0 offset:160
	buffer_load_dword v179, off, s[0:3], 0 offset:168
	buffer_load_dword v180, off, s[0:3], 0 offset:176
	buffer_load_dword v181, off, s[0:3], 0 offset:184
	buffer_load_dword v182, off, s[0:3], 0 offset:192
	buffer_load_dword v183, off, s[0:3], 0 offset:200
	buffer_load_dword v184, off, s[0:3], 0 offset:208
	buffer_load_dword v185, off, s[0:3], 0 offset:216
	buffer_load_dword v186, off, s[0:3], 0 offset:224
	buffer_load_dword v187, off, s[0:3], 0 offset:232
	buffer_load_dword v188, off, s[0:3], 0 offset:240
	buffer_load_dword v189, off, s[0:3], 0 offset:248
	buffer_load_dword v190, off, s[0:3], 0 offset:256
	buffer_load_dword v191, off, s[0:3], 0 offset:264
	buffer_load_dword v192, off, s[0:3], 0 offset:272
	buffer_load_dword v193, off, s[0:3], 0 offset:280
	buffer_load_dword v194, off, s[0:3], 0 offset:288
	buffer_load_dword v195, off, s[0:3], 0 offset:296
	buffer_load_dword v196, off, s[0:3], 0 offset:304
	buffer_load_dword v197, off, s[0:3], 0 offset:312
	buffer_load_dword v198, off, s[0:3], 0 offset:320
	buffer_load_dword v199, off, s[0:3], 0 offset:328
	buffer_load_dword v200, off, s[0:3], 0 offset:336
	buffer_load_dword v201, off, s[0:3], 0 offset:344
	buffer_load_dword v202, off, s[0:3], 0 offset:352
	buffer_load_dword v203, off, s[0:3], 0 offset:360
	buffer_load_dword v204, off, s[0:3], 0 offset:368
	buffer_load_dword v205, off, s[0:3], 0 offset:152
	buffer_load_dword v206, off, s[0:3], 0 offset:156
	v_mov_b32_e32 v1, 0
	ds_read_b128 v[2:5], v1 offset:544
	ds_read_b128 v[104:107], v1 offset:560
	;; [unrolled: 1-line block ×13, first 2 shown]
	ds_read_b64 v[6:7], v1 offset:752
	s_mov_b32 s4, exec_lo
	s_waitcnt vmcnt(55) lgkmcnt(13)
	v_mul_f32_e32 v207, v2, v8
	v_mul_f32_e32 v8, v3, v8
	s_waitcnt vmcnt(54)
	v_mul_f32_e32 v208, v4, v152
	v_mul_f32_e32 v152, v5, v152
	s_waitcnt vmcnt(53) lgkmcnt(12)
	v_mul_f32_e32 v209, v104, v153
	s_waitcnt vmcnt(52)
	v_mul_f32_e32 v210, v106, v154
	s_waitcnt vmcnt(51) lgkmcnt(11)
	v_mul_f32_e32 v211, v108, v155
	s_waitcnt vmcnt(50)
	;; [unrolled: 4-line block ×12, first 2 shown]
	v_fma_f32 v2, v2, v178, -v8
	v_fmac_f32_e32 v207, v3, v178
	v_mul_f32_e32 v3, v105, v153
	s_waitcnt vmcnt(27)
	v_fma_f32 v4, v4, v179, -v152
	v_fmac_f32_e32 v208, v5, v179
	v_add_f32_e32 v2, 0, v2
	v_add_f32_e32 v5, 0, v207
	v_mul_f32_e32 v8, v107, v154
	s_waitcnt vmcnt(26)
	v_fma_f32 v3, v104, v180, -v3
	v_fmac_f32_e32 v209, v105, v180
	v_add_f32_e32 v2, v2, v4
	v_add_f32_e32 v4, v5, v208
	v_mul_f32_e32 v5, v109, v155
	s_waitcnt vmcnt(25)
	v_fma_f32 v8, v106, v181, -v8
	v_fmac_f32_e32 v210, v107, v181
	v_add_f32_e32 v2, v2, v3
	v_add_f32_e32 v3, v4, v209
	v_mul_f32_e32 v4, v111, v156
	s_waitcnt vmcnt(24)
	v_fma_f32 v5, v108, v182, -v5
	v_fmac_f32_e32 v211, v109, v182
	v_add_f32_e32 v2, v2, v8
	v_add_f32_e32 v3, v3, v210
	v_mul_f32_e32 v8, v113, v157
	s_waitcnt vmcnt(23)
	v_fma_f32 v4, v110, v183, -v4
	v_fmac_f32_e32 v212, v111, v183
	v_add_f32_e32 v2, v2, v5
	v_add_f32_e32 v3, v3, v211
	v_mul_f32_e32 v5, v115, v158
	s_waitcnt vmcnt(22)
	v_fma_f32 v8, v112, v184, -v8
	v_fmac_f32_e32 v213, v113, v184
	v_add_f32_e32 v2, v2, v4
	v_add_f32_e32 v3, v3, v212
	v_mul_f32_e32 v4, v117, v159
	s_waitcnt vmcnt(21)
	v_fma_f32 v5, v114, v185, -v5
	v_fmac_f32_e32 v214, v115, v185
	v_add_f32_e32 v2, v2, v8
	v_add_f32_e32 v3, v3, v213
	v_mul_f32_e32 v8, v119, v160
	s_waitcnt vmcnt(20)
	v_fma_f32 v4, v116, v186, -v4
	v_fmac_f32_e32 v215, v117, v186
	v_add_f32_e32 v2, v2, v5
	v_add_f32_e32 v3, v3, v214
	v_mul_f32_e32 v5, v121, v161
	s_waitcnt vmcnt(19)
	v_fma_f32 v8, v118, v187, -v8
	v_fmac_f32_e32 v216, v119, v187
	v_add_f32_e32 v2, v2, v4
	v_add_f32_e32 v3, v3, v215
	v_mul_f32_e32 v4, v123, v162
	s_waitcnt vmcnt(18)
	v_fma_f32 v5, v120, v188, -v5
	v_fmac_f32_e32 v217, v121, v188
	v_add_f32_e32 v2, v2, v8
	v_add_f32_e32 v3, v3, v216
	v_mul_f32_e32 v8, v125, v163
	s_waitcnt vmcnt(17)
	v_fma_f32 v4, v122, v189, -v4
	v_fmac_f32_e32 v218, v123, v189
	v_add_f32_e32 v2, v2, v5
	v_add_f32_e32 v3, v3, v217
	v_mul_f32_e32 v5, v127, v164
	s_waitcnt vmcnt(16)
	v_fma_f32 v8, v124, v190, -v8
	v_fmac_f32_e32 v219, v125, v190
	v_add_f32_e32 v2, v2, v4
	v_add_f32_e32 v3, v3, v218
	v_mul_f32_e32 v4, v129, v165
	s_waitcnt vmcnt(15)
	v_fma_f32 v5, v126, v191, -v5
	v_fmac_f32_e32 v220, v127, v191
	v_add_f32_e32 v2, v2, v8
	v_add_f32_e32 v3, v3, v219
	v_mul_f32_e32 v8, v131, v166
	s_waitcnt vmcnt(14)
	v_fma_f32 v4, v128, v192, -v4
	v_fmac_f32_e32 v221, v129, v192
	v_add_f32_e32 v2, v2, v5
	v_add_f32_e32 v3, v3, v220
	v_mul_f32_e32 v5, v133, v167
	s_waitcnt vmcnt(13)
	v_fma_f32 v8, v130, v193, -v8
	v_fmac_f32_e32 v222, v131, v193
	v_add_f32_e32 v2, v2, v4
	v_add_f32_e32 v3, v3, v221
	v_mul_f32_e32 v4, v135, v168
	s_waitcnt vmcnt(12)
	v_fma_f32 v5, v132, v194, -v5
	v_fmac_f32_e32 v223, v133, v194
	v_add_f32_e32 v2, v2, v8
	v_add_f32_e32 v3, v3, v222
	v_mul_f32_e32 v8, v137, v169
	s_waitcnt vmcnt(11)
	v_fma_f32 v4, v134, v195, -v4
	v_fmac_f32_e32 v224, v135, v195
	v_add_f32_e32 v2, v2, v5
	v_add_f32_e32 v3, v3, v223
	v_mul_f32_e32 v5, v139, v170
	s_waitcnt vmcnt(10)
	v_fma_f32 v8, v136, v196, -v8
	v_fmac_f32_e32 v225, v137, v196
	v_add_f32_e32 v2, v2, v4
	v_add_f32_e32 v3, v3, v224
	v_mul_f32_e32 v4, v141, v171
	s_waitcnt vmcnt(9)
	v_fma_f32 v5, v138, v197, -v5
	v_fmac_f32_e32 v226, v139, v197
	v_add_f32_e32 v2, v2, v8
	v_add_f32_e32 v3, v3, v225
	v_mul_f32_e32 v8, v143, v172
	s_waitcnt vmcnt(8)
	v_fma_f32 v4, v140, v198, -v4
	v_fmac_f32_e32 v227, v141, v198
	v_add_f32_e32 v2, v2, v5
	v_add_f32_e32 v3, v3, v226
	v_mul_f32_e32 v5, v145, v173
	s_waitcnt vmcnt(7)
	v_fma_f32 v8, v142, v199, -v8
	v_fmac_f32_e32 v228, v143, v199
	v_add_f32_e32 v2, v2, v4
	v_add_f32_e32 v3, v3, v227
	v_mul_f32_e32 v4, v147, v174
	s_waitcnt vmcnt(6)
	v_fma_f32 v5, v144, v200, -v5
	v_fmac_f32_e32 v229, v145, v200
	v_add_f32_e32 v2, v2, v8
	v_add_f32_e32 v3, v3, v228
	v_mul_f32_e32 v8, v149, v175
	s_waitcnt vmcnt(5)
	v_fma_f32 v4, v146, v201, -v4
	v_fmac_f32_e32 v230, v147, v201
	v_add_f32_e32 v2, v2, v5
	v_add_f32_e32 v3, v3, v229
	v_mul_f32_e32 v5, v151, v176
	s_waitcnt vmcnt(4)
	v_fma_f32 v8, v148, v202, -v8
	v_mul_f32_e32 v232, v150, v176
	v_add_f32_e32 v2, v2, v4
	v_fmac_f32_e32 v231, v149, v202
	v_add_f32_e32 v3, v3, v230
	s_waitcnt lgkmcnt(0)
	v_mul_f32_e32 v4, v7, v177
	s_waitcnt vmcnt(3)
	v_fma_f32 v5, v150, v203, -v5
	v_add_f32_e32 v2, v2, v8
	v_mul_f32_e32 v233, v6, v177
	v_fmac_f32_e32 v232, v151, v203
	v_add_f32_e32 v3, v3, v231
	s_waitcnt vmcnt(2)
	v_fma_f32 v4, v6, v204, -v4
	v_add_f32_e32 v2, v2, v5
	v_fmac_f32_e32 v233, v7, v204
	v_add_f32_e32 v3, v3, v232
	v_add_f32_e32 v2, v2, v4
	;; [unrolled: 1-line block ×3, first 2 shown]
	s_waitcnt vmcnt(1)
	v_sub_f32_e32 v2, v205, v2
	s_waitcnt vmcnt(0)
	v_sub_f32_e32 v3, v206, v3
	buffer_store_dword v2, off, s[0:3], 0 offset:152
	buffer_store_dword v3, off, s[0:3], 0 offset:156
	v_cmpx_lt_u32_e32 18, v0
	s_cbranch_execz .LBB46_259
; %bb.258:
	s_clause 0x1
	buffer_load_dword v2, off, s[0:3], 0 offset:144
	buffer_load_dword v3, off, s[0:3], 0 offset:148
	buffer_store_dword v1, off, s[0:3], 0 offset:144
	buffer_store_dword v1, off, s[0:3], 0 offset:148
	s_waitcnt vmcnt(0)
	ds_write_b64 v103, v[2:3]
.LBB46_259:
	s_or_b32 exec_lo, exec_lo, s4
	s_waitcnt lgkmcnt(0)
	s_waitcnt_vscnt null, 0x0
	s_barrier
	buffer_gl0_inv
	s_clause 0x39
	buffer_load_dword v6, off, s[0:3], 0 offset:156
	buffer_load_dword v7, off, s[0:3], 0 offset:164
	;; [unrolled: 1-line block ×58, first 2 shown]
	ds_read2_b64 v[2:5], v1 offset0:67 offset1:68
	ds_read2_b64 v[104:107], v1 offset0:69 offset1:70
	;; [unrolled: 1-line block ×14, first 2 shown]
	s_mov_b32 s4, exec_lo
	s_waitcnt vmcnt(57) lgkmcnt(13)
	v_mul_f32_e32 v1, v2, v6
	v_mul_f32_e32 v6, v3, v6
	s_waitcnt vmcnt(56)
	v_mul_f32_e32 v211, v4, v7
	v_mul_f32_e32 v7, v5, v7
	s_waitcnt vmcnt(55) lgkmcnt(12)
	v_mul_f32_e32 v212, v104, v8
	s_waitcnt vmcnt(54)
	v_mul_f32_e32 v213, v106, v156
	s_waitcnt vmcnt(53) lgkmcnt(11)
	v_mul_f32_e32 v214, v108, v157
	s_waitcnt vmcnt(52)
	;; [unrolled: 4-line block ×12, first 2 shown]
	v_mul_f32_e32 v235, v150, v178
	s_waitcnt vmcnt(29)
	v_fma_f32 v2, v2, v181, -v6
	v_fmac_f32_e32 v1, v3, v181
	v_mul_f32_e32 v3, v105, v8
	s_waitcnt vmcnt(28)
	v_fma_f32 v4, v4, v182, -v7
	v_fmac_f32_e32 v211, v5, v182
	v_add_f32_e32 v2, 0, v2
	v_add_f32_e32 v1, 0, v1
	v_mul_f32_e32 v5, v107, v156
	s_waitcnt vmcnt(27)
	v_fma_f32 v3, v104, v183, -v3
	v_fmac_f32_e32 v212, v105, v183
	v_add_f32_e32 v2, v2, v4
	v_add_f32_e32 v1, v1, v211
	;; [unrolled: 6-line block ×24, first 2 shown]
	s_waitcnt lgkmcnt(0)
	v_mul_f32_e32 v3, v153, v179
	s_waitcnt vmcnt(4)
	v_fma_f32 v4, v150, v206, -v4
	v_mul_f32_e32 v236, v152, v179
	v_add_f32_e32 v2, v2, v5
	v_fmac_f32_e32 v235, v151, v206
	v_add_f32_e32 v1, v1, v234
	v_mul_f32_e32 v5, v155, v180
	s_waitcnt vmcnt(3)
	v_fma_f32 v3, v152, v207, -v3
	v_add_f32_e32 v2, v2, v4
	v_mul_f32_e32 v237, v154, v180
	v_fmac_f32_e32 v236, v153, v207
	v_add_f32_e32 v1, v1, v235
	s_waitcnt vmcnt(2)
	v_fma_f32 v4, v154, v208, -v5
	v_add_f32_e32 v2, v2, v3
	v_fmac_f32_e32 v237, v155, v208
	v_add_f32_e32 v1, v1, v236
	v_add_f32_e32 v2, v2, v4
	;; [unrolled: 1-line block ×3, first 2 shown]
	s_waitcnt vmcnt(1)
	v_sub_f32_e32 v2, v209, v2
	s_waitcnt vmcnt(0)
	v_sub_f32_e32 v1, v210, v1
	buffer_store_dword v2, off, s[0:3], 0 offset:144
	buffer_store_dword v1, off, s[0:3], 0 offset:148
	v_cmpx_lt_u32_e32 17, v0
	s_cbranch_execz .LBB46_261
; %bb.260:
	s_clause 0x1
	buffer_load_dword v1, off, s[0:3], 0 offset:136
	buffer_load_dword v2, off, s[0:3], 0 offset:140
	v_mov_b32_e32 v3, 0
	buffer_store_dword v3, off, s[0:3], 0 offset:136
	buffer_store_dword v3, off, s[0:3], 0 offset:140
	s_waitcnt vmcnt(0)
	ds_write_b64 v103, v[1:2]
.LBB46_261:
	s_or_b32 exec_lo, exec_lo, s4
	s_waitcnt lgkmcnt(0)
	s_waitcnt_vscnt null, 0x0
	s_barrier
	buffer_gl0_inv
	s_clause 0x3b
	buffer_load_dword v8, off, s[0:3], 0 offset:148
	buffer_load_dword v156, off, s[0:3], 0 offset:156
	;; [unrolled: 1-line block ×60, first 2 shown]
	v_mov_b32_e32 v1, 0
	ds_read_b128 v[2:5], v1 offset:528
	ds_read_b128 v[104:107], v1 offset:544
	;; [unrolled: 1-line block ×14, first 2 shown]
	ds_read_b64 v[6:7], v1 offset:752
	s_mov_b32 s4, exec_lo
	s_waitcnt vmcnt(59) lgkmcnt(14)
	v_mul_f32_e32 v215, v2, v8
	v_mul_f32_e32 v8, v3, v8
	s_waitcnt vmcnt(58)
	v_mul_f32_e32 v216, v4, v156
	v_mul_f32_e32 v156, v5, v156
	s_waitcnt vmcnt(57) lgkmcnt(13)
	v_mul_f32_e32 v217, v104, v157
	s_waitcnt vmcnt(56)
	v_mul_f32_e32 v218, v106, v158
	s_waitcnt vmcnt(55) lgkmcnt(12)
	v_mul_f32_e32 v219, v108, v159
	s_waitcnt vmcnt(54)
	;; [unrolled: 4-line block ×13, first 2 shown]
	v_fma_f32 v2, v2, v184, -v8
	v_fmac_f32_e32 v215, v3, v184
	v_mul_f32_e32 v3, v105, v157
	s_waitcnt vmcnt(29)
	v_fma_f32 v4, v4, v185, -v156
	v_fmac_f32_e32 v216, v5, v185
	v_add_f32_e32 v2, 0, v2
	v_add_f32_e32 v5, 0, v215
	v_mul_f32_e32 v8, v107, v158
	s_waitcnt vmcnt(28)
	v_fma_f32 v3, v104, v186, -v3
	v_fmac_f32_e32 v217, v105, v186
	v_add_f32_e32 v2, v2, v4
	v_add_f32_e32 v4, v5, v216
	;; [unrolled: 6-line block ×25, first 2 shown]
	v_mul_f32_e32 v8, v155, v182
	s_waitcnt vmcnt(4)
	v_fma_f32 v4, v152, v210, -v4
	v_mul_f32_e32 v242, v154, v182
	v_add_f32_e32 v2, v2, v5
	v_fmac_f32_e32 v241, v153, v210
	v_add_f32_e32 v3, v3, v240
	s_waitcnt lgkmcnt(0)
	v_mul_f32_e32 v5, v7, v183
	s_waitcnt vmcnt(3)
	v_fma_f32 v8, v154, v211, -v8
	v_add_f32_e32 v2, v2, v4
	v_mul_f32_e32 v243, v6, v183
	v_fmac_f32_e32 v242, v155, v211
	v_add_f32_e32 v3, v3, v241
	s_waitcnt vmcnt(2)
	v_fma_f32 v4, v6, v212, -v5
	v_add_f32_e32 v2, v2, v8
	v_fmac_f32_e32 v243, v7, v212
	v_add_f32_e32 v3, v3, v242
	v_add_f32_e32 v2, v2, v4
	;; [unrolled: 1-line block ×3, first 2 shown]
	s_waitcnt vmcnt(1)
	v_sub_f32_e32 v2, v213, v2
	s_waitcnt vmcnt(0)
	v_sub_f32_e32 v3, v214, v3
	buffer_store_dword v2, off, s[0:3], 0 offset:136
	buffer_store_dword v3, off, s[0:3], 0 offset:140
	v_cmpx_lt_u32_e32 16, v0
	s_cbranch_execz .LBB46_263
; %bb.262:
	s_clause 0x1
	buffer_load_dword v2, off, s[0:3], 0 offset:128
	buffer_load_dword v3, off, s[0:3], 0 offset:132
	buffer_store_dword v1, off, s[0:3], 0 offset:128
	buffer_store_dword v1, off, s[0:3], 0 offset:132
	s_waitcnt vmcnt(0)
	ds_write_b64 v103, v[2:3]
.LBB46_263:
	s_or_b32 exec_lo, exec_lo, s4
	s_waitcnt lgkmcnt(0)
	s_waitcnt_vscnt null, 0x0
	s_barrier
	buffer_gl0_inv
	s_clause 0x3d
	buffer_load_dword v6, off, s[0:3], 0 offset:140
	buffer_load_dword v7, off, s[0:3], 0 offset:148
	;; [unrolled: 1-line block ×62, first 2 shown]
	ds_read2_b64 v[2:5], v1 offset0:65 offset1:66
	ds_read2_b64 v[104:107], v1 offset0:67 offset1:68
	;; [unrolled: 1-line block ×15, first 2 shown]
	s_mov_b32 s4, exec_lo
	s_waitcnt vmcnt(61) lgkmcnt(14)
	v_mul_f32_e32 v1, v2, v6
	v_mul_f32_e32 v6, v3, v6
	s_waitcnt vmcnt(60)
	v_mul_f32_e32 v219, v4, v7
	v_mul_f32_e32 v7, v5, v7
	s_waitcnt vmcnt(59) lgkmcnt(13)
	v_mul_f32_e32 v220, v104, v8
	s_waitcnt vmcnt(58)
	v_mul_f32_e32 v221, v106, v160
	s_waitcnt vmcnt(57) lgkmcnt(12)
	v_mul_f32_e32 v222, v108, v161
	s_waitcnt vmcnt(56)
	;; [unrolled: 4-line block ×13, first 2 shown]
	v_mul_f32_e32 v245, v154, v184
	s_waitcnt vmcnt(31)
	v_fma_f32 v2, v2, v187, -v6
	v_fmac_f32_e32 v1, v3, v187
	v_mul_f32_e32 v3, v105, v8
	s_waitcnt vmcnt(30)
	v_fma_f32 v4, v4, v188, -v7
	v_fmac_f32_e32 v219, v5, v188
	v_add_f32_e32 v2, 0, v2
	v_add_f32_e32 v1, 0, v1
	v_mul_f32_e32 v5, v107, v160
	s_waitcnt vmcnt(29)
	v_fma_f32 v3, v104, v189, -v3
	v_fmac_f32_e32 v220, v105, v189
	v_add_f32_e32 v2, v2, v4
	v_add_f32_e32 v1, v1, v219
	;; [unrolled: 6-line block ×26, first 2 shown]
	s_waitcnt lgkmcnt(0)
	v_mul_f32_e32 v4, v157, v185
	s_waitcnt vmcnt(4)
	v_fma_f32 v5, v154, v214, -v5
	v_mul_f32_e32 v246, v156, v185
	v_add_f32_e32 v2, v2, v3
	v_fmac_f32_e32 v245, v155, v214
	v_add_f32_e32 v1, v1, v244
	v_mul_f32_e32 v3, v159, v186
	s_waitcnt vmcnt(3)
	v_fma_f32 v4, v156, v215, -v4
	v_add_f32_e32 v2, v2, v5
	v_mul_f32_e32 v247, v158, v186
	v_fmac_f32_e32 v246, v157, v215
	v_add_f32_e32 v1, v1, v245
	s_waitcnt vmcnt(2)
	v_fma_f32 v3, v158, v216, -v3
	v_add_f32_e32 v2, v2, v4
	v_fmac_f32_e32 v247, v159, v216
	v_add_f32_e32 v1, v1, v246
	v_add_f32_e32 v2, v2, v3
	;; [unrolled: 1-line block ×3, first 2 shown]
	s_waitcnt vmcnt(1)
	v_sub_f32_e32 v2, v217, v2
	s_waitcnt vmcnt(0)
	v_sub_f32_e32 v1, v218, v1
	buffer_store_dword v2, off, s[0:3], 0 offset:128
	buffer_store_dword v1, off, s[0:3], 0 offset:132
	v_cmpx_lt_u32_e32 15, v0
	s_cbranch_execz .LBB46_265
; %bb.264:
	s_clause 0x1
	buffer_load_dword v1, off, s[0:3], 0 offset:120
	buffer_load_dword v2, off, s[0:3], 0 offset:124
	v_mov_b32_e32 v3, 0
	buffer_store_dword v3, off, s[0:3], 0 offset:120
	buffer_store_dword v3, off, s[0:3], 0 offset:124
	s_waitcnt vmcnt(0)
	ds_write_b64 v103, v[1:2]
.LBB46_265:
	s_or_b32 exec_lo, exec_lo, s4
	s_waitcnt lgkmcnt(0)
	s_waitcnt_vscnt null, 0x0
	s_barrier
	buffer_gl0_inv
	s_clause 0x3e
	buffer_load_dword v8, off, s[0:3], 0 offset:132
	buffer_load_dword v160, off, s[0:3], 0 offset:140
	;; [unrolled: 1-line block ×64, first 2 shown]
	v_mov_b32_e32 v1, 0
	ds_read_b128 v[2:5], v1 offset:512
	ds_read_b128 v[104:107], v1 offset:528
	;; [unrolled: 1-line block ×15, first 2 shown]
	ds_read_b64 v[6:7], v1 offset:752
	s_mov_b32 s4, exec_lo
	s_waitcnt vmcnt(62) lgkmcnt(15)
	v_mul_f32_e32 v223, v2, v8
	v_mul_f32_e32 v8, v3, v8
	;; [unrolled: 1-line block ×4, first 2 shown]
	s_waitcnt vmcnt(61) lgkmcnt(14)
	v_mul_f32_e32 v225, v104, v161
	s_waitcnt vmcnt(60)
	v_mul_f32_e32 v226, v106, v162
	s_waitcnt vmcnt(59) lgkmcnt(13)
	v_mul_f32_e32 v227, v108, v163
	s_waitcnt vmcnt(58)
	v_mul_f32_e32 v228, v110, v164
	;; [unrolled: 4-line block ×13, first 2 shown]
	s_waitcnt vmcnt(35) lgkmcnt(1)
	v_mul_f32_e32 v251, v156, v187
	s_waitcnt vmcnt(32)
	v_fma_f32 v2, v2, v190, -v8
	v_fmac_f32_e32 v223, v3, v190
	v_mul_f32_e32 v3, v105, v161
	s_waitcnt vmcnt(31)
	v_fma_f32 v4, v4, v191, -v160
	v_fmac_f32_e32 v224, v5, v191
	v_add_f32_e32 v2, 0, v2
	v_add_f32_e32 v5, 0, v223
	v_mul_f32_e32 v8, v107, v162
	s_waitcnt vmcnt(30)
	v_fma_f32 v3, v104, v192, -v3
	v_fmac_f32_e32 v225, v105, v192
	v_add_f32_e32 v2, v2, v4
	v_add_f32_e32 v4, v5, v224
	;; [unrolled: 6-line block ×27, first 2 shown]
	v_mul_f32_e32 v4, v159, v188
	s_waitcnt vmcnt(4)
	v_fma_f32 v5, v156, v218, -v5
	v_mul_f32_e32 v252, v158, v188
	v_add_f32_e32 v2, v2, v8
	v_fmac_f32_e32 v251, v157, v218
	v_add_f32_e32 v3, v3, v250
	s_waitcnt lgkmcnt(0)
	v_mul_f32_e32 v8, v7, v189
	s_waitcnt vmcnt(3)
	v_fma_f32 v4, v158, v219, -v4
	v_add_f32_e32 v2, v2, v5
	v_mul_f32_e32 v253, v6, v189
	v_fmac_f32_e32 v252, v159, v219
	v_add_f32_e32 v3, v3, v251
	s_waitcnt vmcnt(2)
	v_fma_f32 v5, v6, v220, -v8
	v_add_f32_e32 v2, v2, v4
	v_fmac_f32_e32 v253, v7, v220
	v_add_f32_e32 v3, v3, v252
	v_add_f32_e32 v2, v2, v5
	;; [unrolled: 1-line block ×3, first 2 shown]
	s_waitcnt vmcnt(1)
	v_sub_f32_e32 v2, v221, v2
	s_waitcnt vmcnt(0)
	v_sub_f32_e32 v3, v222, v3
	buffer_store_dword v2, off, s[0:3], 0 offset:120
	buffer_store_dword v3, off, s[0:3], 0 offset:124
	v_cmpx_lt_u32_e32 14, v0
	s_cbranch_execz .LBB46_267
; %bb.266:
	s_clause 0x1
	buffer_load_dword v2, off, s[0:3], 0 offset:112
	buffer_load_dword v3, off, s[0:3], 0 offset:116
	buffer_store_dword v1, off, s[0:3], 0 offset:112
	buffer_store_dword v1, off, s[0:3], 0 offset:116
	s_waitcnt vmcnt(0)
	ds_write_b64 v103, v[2:3]
.LBB46_267:
	s_or_b32 exec_lo, exec_lo, s4
	s_waitcnt lgkmcnt(0)
	s_waitcnt_vscnt null, 0x0
	s_barrier
	buffer_gl0_inv
	s_clause 0x23
	buffer_load_dword v3, off, s[0:3], 0 offset:124
	buffer_load_dword v4, off, s[0:3], 0 offset:132
	;; [unrolled: 1-line block ×36, first 2 shown]
	ds_read2_b64 v[128:131], v1 offset0:63 offset1:64
	ds_read2_b64 v[132:135], v1 offset0:65 offset1:66
	s_clause 0x1
	buffer_load_dword v149, off, s[0:3], 0 offset:252
	buffer_load_dword v150, off, s[0:3], 0 offset:260
	ds_read2_b64 v[136:139], v1 offset0:67 offset1:68
	ds_read2_b64 v[140:143], v1 offset0:69 offset1:70
	buffer_load_dword v151, off, s[0:3], 0 offset:116
	s_mov_b32 s4, exec_lo
	s_waitcnt vmcnt(38) lgkmcnt(3)
	v_mul_f32_e32 v152, v128, v3
	v_mul_f32_e32 v3, v129, v3
	s_waitcnt vmcnt(37)
	v_mul_f32_e32 v153, v130, v4
	v_mul_f32_e32 v4, v131, v4
	s_waitcnt vmcnt(36) lgkmcnt(2)
	v_mul_f32_e32 v154, v132, v5
	s_waitcnt vmcnt(33)
	v_fmac_f32_e32 v152, v129, v8
	v_fma_f32 v8, v128, v8, -v3
	v_mul_f32_e32 v3, v133, v5
	s_waitcnt vmcnt(32)
	v_mul_f32_e32 v5, v135, v7
	v_mul_f32_e32 v155, v134, v7
	v_fmac_f32_e32 v153, v131, v6
	v_fma_f32 v6, v130, v6, -v4
	v_fmac_f32_e32 v154, v133, v2
	v_fma_f32 v7, v132, v2, -v3
	s_waitcnt vmcnt(28)
	v_fma_f32 v132, v134, v111, -v5
	ds_read2_b64 v[2:5], v1 offset0:71 offset1:72
	ds_read2_b64 v[128:131], v1 offset0:73 offset1:74
	s_waitcnt vmcnt(27) lgkmcnt(3)
	v_mul_f32_e32 v133, v136, v110
	v_mul_f32_e32 v110, v137, v110
	v_fmac_f32_e32 v155, v135, v111
	s_waitcnt vmcnt(26)
	v_mul_f32_e32 v134, v138, v109
	v_mul_f32_e32 v109, v139, v109
	s_waitcnt vmcnt(25) lgkmcnt(2)
	v_mul_f32_e32 v135, v140, v107
	v_fmac_f32_e32 v133, v137, v106
	v_fma_f32 v136, v136, v106, -v110
	s_waitcnt vmcnt(24)
	v_mul_f32_e32 v137, v142, v108
	v_mul_f32_e32 v106, v141, v107
	;; [unrolled: 1-line block ×3, first 2 shown]
	v_fmac_f32_e32 v134, v139, v105
	v_fma_f32 v138, v138, v105, -v109
	v_fmac_f32_e32 v135, v141, v104
	s_waitcnt vmcnt(20)
	v_fmac_f32_e32 v137, v143, v119
	v_fma_f32 v139, v140, v104, -v106
	v_fma_f32 v119, v142, v119, -v107
	ds_read2_b64 v[104:107], v1 offset0:75 offset1:76
	ds_read2_b64 v[108:111], v1 offset0:77 offset1:78
	s_waitcnt vmcnt(19) lgkmcnt(3)
	v_mul_f32_e32 v140, v2, v117
	s_waitcnt vmcnt(18)
	v_mul_f32_e32 v141, v4, v118
	v_mul_f32_e32 v117, v3, v117
	;; [unrolled: 1-line block ×3, first 2 shown]
	buffer_load_dword v142, off, s[0:3], 0 offset:276
	v_fmac_f32_e32 v140, v3, v116
	v_fmac_f32_e32 v141, v5, v115
	v_fma_f32 v116, v2, v116, -v117
	v_fma_f32 v115, v4, v115, -v118
	s_clause 0x3
	buffer_load_dword v143, off, s[0:3], 0 offset:296
	buffer_load_dword v156, off, s[0:3], 0 offset:288
	;; [unrolled: 1-line block ×4, first 2 shown]
	s_waitcnt vmcnt(22) lgkmcnt(2)
	v_mul_f32_e32 v118, v128, v114
	v_mul_f32_e32 v2, v129, v114
	s_waitcnt vmcnt(21)
	v_mul_f32_e32 v3, v131, v113
	v_mul_f32_e32 v114, v130, v113
	v_fmac_f32_e32 v118, v129, v112
	v_fma_f32 v112, v128, v112, -v2
	buffer_load_dword v128, off, s[0:3], 0 offset:284
	s_waitcnt vmcnt(18)
	v_fma_f32 v113, v130, v127, -v3
	s_waitcnt vmcnt(17) lgkmcnt(1)
	v_mul_f32_e32 v130, v104, v125
	v_mul_f32_e32 v2, v105, v125
	v_fmac_f32_e32 v114, v131, v127
	s_clause 0x1
	buffer_load_dword v127, off, s[0:3], 0 offset:292
	buffer_load_dword v129, off, s[0:3], 0 offset:300
	s_waitcnt vmcnt(18)
	v_mul_f32_e32 v131, v106, v126
	v_mul_f32_e32 v3, v107, v126
	v_fmac_f32_e32 v130, v105, v123
	v_fma_f32 v123, v104, v123, -v2
	s_waitcnt vmcnt(16) lgkmcnt(0)
	v_mul_f32_e32 v2, v111, v122
	v_fmac_f32_e32 v131, v107, v121
	v_fma_f32 v121, v106, v121, -v3
	v_mul_f32_e32 v160, v110, v122
	v_add_f32_e32 v3, 0, v8
	s_waitcnt vmcnt(11)
	v_fma_f32 v122, v110, v148, -v2
	v_add_f32_e32 v2, 0, v152
	v_mul_f32_e32 v125, v108, v124
	v_mul_f32_e32 v4, v109, v124
	s_clause 0x5
	buffer_load_dword v124, off, s[0:3], 0 offset:308
	buffer_load_dword v126, off, s[0:3], 0 offset:316
	;; [unrolled: 1-line block ×6, first 2 shown]
	v_fmac_f32_e32 v160, v111, v148
	s_clause 0x2
	buffer_load_dword v148, off, s[0:3], 0 offset:356
	buffer_load_dword v163, off, s[0:3], 0 offset:364
	;; [unrolled: 1-line block ×3, first 2 shown]
	v_add_f32_e32 v2, v2, v153
	v_add_f32_e32 v3, v3, v6
	s_clause 0x3
	buffer_load_dword v6, off, s[0:3], 0 offset:328
	buffer_load_dword v152, off, s[0:3], 0 offset:320
	;; [unrolled: 1-line block ×4, first 2 shown]
	v_fmac_f32_e32 v125, v109, v120
	v_fma_f32 v120, v108, v120, -v4
	v_add_f32_e32 v2, v2, v154
	v_add_f32_e32 v3, v3, v7
	;; [unrolled: 1-line block ×4, first 2 shown]
	s_clause 0x3
	buffer_load_dword v7, off, s[0:3], 0 offset:360
	buffer_load_dword v132, off, s[0:3], 0 offset:352
	;; [unrolled: 1-line block ×4, first 2 shown]
	v_add_f32_e32 v2, v2, v133
	buffer_load_dword v133, off, s[0:3], 0 offset:368
	v_add_f32_e32 v3, v3, v136
	buffer_load_dword v136, off, s[0:3], 0 offset:112
	v_add_f32_e32 v2, v2, v134
	v_add_f32_e32 v3, v3, v138
	;; [unrolled: 1-line block ×4, first 2 shown]
	ds_read2_b64 v[2:5], v1 offset0:79 offset1:80
	v_add_f32_e32 v104, v104, v137
	v_add_f32_e32 v105, v105, v119
	;; [unrolled: 1-line block ×4, first 2 shown]
	ds_read2_b64 v[104:107], v1 offset0:81 offset1:82
	v_add_f32_e32 v108, v108, v141
	v_add_f32_e32 v109, v109, v115
	;; [unrolled: 1-line block ×4, first 2 shown]
	s_waitcnt vmcnt(29) lgkmcnt(1)
	v_mul_f32_e32 v134, v2, v149
	v_mul_f32_e32 v110, v3, v149
	s_waitcnt vmcnt(28)
	v_mul_f32_e32 v135, v4, v150
	v_mul_f32_e32 v111, v5, v150
	v_add_f32_e32 v114, v108, v114
	v_fmac_f32_e32 v134, v3, v147
	v_fma_f32 v137, v2, v147, -v110
	v_fmac_f32_e32 v135, v5, v146
	v_fma_f32 v138, v4, v146, -v111
	ds_read2_b64 v[2:5], v1 offset0:83 offset1:84
	ds_read2_b64 v[108:111], v1 offset0:85 offset1:86
	v_add_f32_e32 v112, v112, v113
	s_waitcnt lgkmcnt(2)
	v_mul_f32_e32 v139, v104, v145
	v_add_f32_e32 v113, v114, v130
	v_mul_f32_e32 v114, v105, v145
	v_add_f32_e32 v112, v112, v123
	v_fmac_f32_e32 v139, v105, v144
	v_add_f32_e32 v105, v113, v131
	v_fma_f32 v130, v104, v144, -v114
	v_add_f32_e32 v116, v112, v121
	v_add_f32_e32 v120, v116, v120
	s_waitcnt vmcnt(26)
	v_mul_f32_e32 v140, v106, v142
	v_mul_f32_e32 v115, v107, v142
	s_waitcnt vmcnt(22)
	v_fmac_f32_e32 v140, v107, v117
	v_fma_f32 v131, v106, v117, -v115
	v_add_f32_e32 v117, v105, v125
	ds_read2_b64 v[104:107], v1 offset0:87 offset1:88
	ds_read2_b64 v[112:115], v1 offset0:89 offset1:90
	v_add_f32_e32 v123, v117, v160
	s_waitcnt vmcnt(21) lgkmcnt(3)
	v_mul_f32_e32 v125, v2, v128
	v_mul_f32_e32 v121, v3, v128
	v_add_f32_e32 v128, v120, v122
	ds_read2_b64 v[116:119], v1 offset0:91 offset1:92
	v_fmac_f32_e32 v125, v3, v157
	v_fma_f32 v2, v2, v157, -v121
	v_add_f32_e32 v3, v123, v134
	ds_read2_b64 v[120:123], v1 offset0:93 offset1:94
	v_add_f32_e32 v1, v128, v137
	s_waitcnt vmcnt(20)
	v_mul_f32_e32 v128, v4, v127
	v_mul_f32_e32 v127, v5, v127
	v_add_f32_e32 v3, v3, v135
	s_waitcnt vmcnt(19) lgkmcnt(4)
	v_mul_f32_e32 v134, v108, v129
	v_add_f32_e32 v1, v1, v138
	v_mul_f32_e32 v129, v109, v129
	v_fma_f32 v4, v4, v156, -v127
	v_add_f32_e32 v3, v3, v139
	v_fmac_f32_e32 v128, v5, v156
	v_add_f32_e32 v1, v1, v130
	s_waitcnt vmcnt(18)
	v_mul_f32_e32 v135, v110, v124
	v_mul_f32_e32 v124, v111, v124
	v_add_f32_e32 v3, v3, v140
	v_fma_f32 v108, v108, v143, -v129
	v_add_f32_e32 v1, v1, v131
	v_fmac_f32_e32 v134, v109, v143
	s_waitcnt vmcnt(6)
	v_fma_f32 v109, v110, v164, -v124
	s_waitcnt lgkmcnt(3)
	v_mul_f32_e32 v5, v104, v126
	v_fmac_f32_e32 v135, v111, v164
	v_add_f32_e32 v1, v1, v2
	v_add_f32_e32 v2, v3, v125
	v_mul_f32_e32 v127, v106, v158
	v_fmac_f32_e32 v5, v105, v153
	s_waitcnt lgkmcnt(2)
	v_mul_f32_e32 v130, v112, v159
	v_add_f32_e32 v1, v1, v4
	v_add_f32_e32 v2, v2, v128
	v_mul_f32_e32 v4, v105, v126
	v_fmac_f32_e32 v127, v107, v152
	v_mul_f32_e32 v137, v114, v161
	v_add_f32_e32 v1, v1, v108
	v_add_f32_e32 v2, v2, v134
	v_mul_f32_e32 v108, v107, v158
	v_fma_f32 v4, v104, v153, -v4
	v_mul_f32_e32 v104, v113, v159
	v_add_f32_e32 v1, v1, v109
	v_add_f32_e32 v2, v2, v135
	v_fma_f32 v105, v106, v152, -v108
	v_fmac_f32_e32 v130, v113, v6
	s_waitcnt lgkmcnt(1)
	v_mul_f32_e32 v138, v116, v162
	v_add_f32_e32 v1, v1, v4
	v_add_f32_e32 v2, v2, v5
	v_mul_f32_e32 v4, v115, v161
	v_fma_f32 v5, v112, v6, -v104
	v_mul_f32_e32 v6, v117, v162
	v_add_f32_e32 v1, v1, v105
	v_add_f32_e32 v2, v2, v127
	s_waitcnt vmcnt(2)
	v_fma_f32 v4, v114, v155, -v4
	v_fmac_f32_e32 v137, v115, v155
	v_fma_f32 v6, v116, v154, -v6
	v_add_f32_e32 v1, v1, v5
	v_add_f32_e32 v2, v2, v130
	v_mul_f32_e32 v5, v119, v148
	v_mul_f32_e32 v131, v118, v148
	v_fmac_f32_e32 v138, v117, v154
	v_add_f32_e32 v1, v1, v4
	v_add_f32_e32 v2, v2, v137
	s_waitcnt lgkmcnt(0)
	v_mul_f32_e32 v4, v121, v163
	v_fma_f32 v5, v118, v132, -v5
	v_mul_f32_e32 v139, v120, v163
	v_add_f32_e32 v1, v1, v6
	v_fmac_f32_e32 v131, v119, v132
	v_add_f32_e32 v2, v2, v138
	v_mul_f32_e32 v6, v123, v8
	v_fma_f32 v4, v120, v7, -v4
	v_add_f32_e32 v1, v1, v5
	v_mul_f32_e32 v3, v122, v8
	v_fmac_f32_e32 v139, v121, v7
	v_add_f32_e32 v2, v2, v131
	s_waitcnt vmcnt(1)
	v_fma_f32 v5, v122, v133, -v6
	v_add_f32_e32 v1, v1, v4
	v_fmac_f32_e32 v3, v123, v133
	v_add_f32_e32 v2, v2, v139
	v_add_f32_e32 v1, v1, v5
	;; [unrolled: 1-line block ×3, first 2 shown]
	s_waitcnt vmcnt(0)
	v_sub_f32_e32 v1, v136, v1
	v_sub_f32_e32 v2, v151, v2
	buffer_store_dword v1, off, s[0:3], 0 offset:112
	buffer_store_dword v2, off, s[0:3], 0 offset:116
	v_cmpx_lt_u32_e32 13, v0
	s_cbranch_execz .LBB46_269
; %bb.268:
	s_clause 0x1
	buffer_load_dword v1, off, s[0:3], 0 offset:104
	buffer_load_dword v2, off, s[0:3], 0 offset:108
	v_mov_b32_e32 v3, 0
	buffer_store_dword v3, off, s[0:3], 0 offset:104
	buffer_store_dword v3, off, s[0:3], 0 offset:108
	s_waitcnt vmcnt(0)
	ds_write_b64 v103, v[1:2]
.LBB46_269:
	s_or_b32 exec_lo, exec_lo, s4
	s_waitcnt lgkmcnt(0)
	s_waitcnt_vscnt null, 0x0
	s_barrier
	buffer_gl0_inv
	s_clause 0x23
	buffer_load_dword v105, off, s[0:3], 0 offset:116
	buffer_load_dword v107, off, s[0:3], 0 offset:124
	;; [unrolled: 1-line block ×36, first 2 shown]
	v_mov_b32_e32 v104, 0
	ds_read_b128 v[5:8], v104 offset:496
	ds_read_b128 v[1:4], v104 offset:512
	buffer_load_dword v149, off, s[0:3], 0 offset:108
	ds_read_b128 v[141:144], v104 offset:528
	ds_read_b128 v[145:148], v104 offset:544
	s_mov_b32 s4, exec_lo
	s_waitcnt vmcnt(36) lgkmcnt(3)
	v_mul_f32_e32 v150, v5, v105
	s_waitcnt vmcnt(35)
	v_mul_f32_e32 v151, v7, v107
	v_mul_f32_e32 v105, v6, v105
	;; [unrolled: 1-line block ×3, first 2 shown]
	s_waitcnt vmcnt(34) lgkmcnt(2)
	v_mul_f32_e32 v152, v1, v108
	v_mul_f32_e32 v108, v2, v108
	s_waitcnt vmcnt(30)
	v_mul_f32_e32 v153, v3, v109
	v_mul_f32_e32 v109, v4, v109
	v_fmac_f32_e32 v150, v6, v111
	v_fmac_f32_e32 v151, v8, v110
	v_fma_f32 v111, v5, v111, -v105
	v_fma_f32 v110, v7, v110, -v107
	ds_read_b128 v[5:8], v104 offset:560
	v_fmac_f32_e32 v152, v2, v106
	v_fma_f32 v154, v1, v106, -v108
	ds_read_b128 v[105:108], v104 offset:576
	s_waitcnt vmcnt(26)
	v_fmac_f32_e32 v153, v4, v120
	v_fma_f32 v109, v3, v120, -v109
	s_waitcnt vmcnt(25) lgkmcnt(3)
	v_mul_f32_e32 v120, v141, v118
	s_waitcnt vmcnt(24)
	v_mul_f32_e32 v155, v143, v119
	v_mul_f32_e32 v1, v142, v118
	;; [unrolled: 1-line block ×3, first 2 shown]
	s_clause 0x1
	buffer_load_dword v118, off, s[0:3], 0 offset:252
	buffer_load_dword v119, off, s[0:3], 0 offset:260
	v_fmac_f32_e32 v120, v142, v115
	v_fmac_f32_e32 v155, v144, v113
	v_fma_f32 v115, v141, v115, -v1
	v_fma_f32 v113, v143, v113, -v2
	ds_read_b128 v[1:4], v104 offset:592
	s_waitcnt vmcnt(25) lgkmcnt(3)
	v_mul_f32_e32 v141, v145, v116
	v_mul_f32_e32 v116, v146, v116
	s_waitcnt vmcnt(24)
	v_mul_f32_e32 v142, v147, v114
	v_mul_f32_e32 v114, v148, v114
	s_waitcnt vmcnt(23) lgkmcnt(2)
	v_mul_f32_e32 v143, v5, v117
	v_fmac_f32_e32 v141, v146, v112
	v_fma_f32 v112, v145, v112, -v116
	s_waitcnt vmcnt(22)
	v_mul_f32_e32 v116, v7, v121
	v_mul_f32_e32 v117, v6, v117
	;; [unrolled: 1-line block ×3, first 2 shown]
	s_waitcnt vmcnt(18)
	v_fma_f32 v114, v147, v128, -v114
	v_fmac_f32_e32 v143, v6, v126
	v_fmac_f32_e32 v116, v8, v125
	v_fma_f32 v117, v5, v126, -v117
	v_fma_f32 v121, v7, v125, -v121
	s_clause 0x5
	buffer_load_dword v125, off, s[0:3], 0 offset:268
	buffer_load_dword v126, off, s[0:3], 0 offset:276
	;; [unrolled: 1-line block ×6, first 2 shown]
	v_fmac_f32_e32 v142, v148, v128
	s_waitcnt vmcnt(23) lgkmcnt(1)
	v_mul_f32_e32 v128, v105, v127
	v_mul_f32_e32 v127, v106, v127
	s_waitcnt vmcnt(22)
	v_mul_f32_e32 v148, v107, v123
	v_mul_f32_e32 v123, v108, v123
	ds_read_b128 v[5:8], v104 offset:608
	v_fmac_f32_e32 v128, v106, v122
	v_fma_f32 v105, v105, v122, -v127
	s_waitcnt vmcnt(18)
	v_fmac_f32_e32 v148, v108, v139
	v_fma_f32 v106, v107, v139, -v123
	s_waitcnt vmcnt(17) lgkmcnt(1)
	v_mul_f32_e32 v107, v1, v137
	v_mul_f32_e32 v108, v2, v137
	s_clause 0x1
	buffer_load_dword v127, off, s[0:3], 0 offset:284
	buffer_load_dword v137, off, s[0:3], 0 offset:292
	v_add_f32_e32 v111, 0, v111
	s_waitcnt vmcnt(18)
	v_mul_f32_e32 v122, v3, v138
	v_mul_f32_e32 v123, v4, v138
	v_fma_f32 v108, v1, v134, -v108
	v_add_f32_e32 v1, 0, v150
	v_add_f32_e32 v110, v111, v110
	v_fmac_f32_e32 v107, v2, v134
	v_fmac_f32_e32 v122, v4, v133
	v_fma_f32 v123, v3, v133, -v123
	v_add_f32_e32 v150, v1, v151
	s_clause 0x3
	buffer_load_dword v133, off, s[0:3], 0 offset:300
	buffer_load_dword v134, off, s[0:3], 0 offset:308
	;; [unrolled: 1-line block ×4, first 2 shown]
	ds_read_b128 v[1:4], v104 offset:624
	s_waitcnt vmcnt(21) lgkmcnt(1)
	v_mul_f32_e32 v151, v5, v132
	v_mul_f32_e32 v111, v6, v132
	v_add_f32_e32 v132, v150, v152
	s_waitcnt vmcnt(20)
	v_mul_f32_e32 v150, v7, v131
	v_mul_f32_e32 v131, v8, v131
	v_fmac_f32_e32 v151, v6, v129
	v_fma_f32 v129, v5, v129, -v111
	v_add_f32_e32 v5, v132, v153
	v_add_f32_e32 v110, v110, v154
	s_clause 0x3
	buffer_load_dword v132, off, s[0:3], 0 offset:332
	buffer_load_dword v152, off, s[0:3], 0 offset:340
	;; [unrolled: 1-line block ×4, first 2 shown]
	s_waitcnt vmcnt(20)
	v_fmac_f32_e32 v150, v8, v140
	v_fma_f32 v131, v7, v140, -v131
	v_add_f32_e32 v5, v5, v120
	s_clause 0x5
	buffer_load_dword v140, off, s[0:3], 0 offset:364
	buffer_load_dword v120, off, s[0:3], 0 offset:320
	;; [unrolled: 1-line block ×6, first 2 shown]
	v_add_f32_e32 v6, v110, v109
	v_add_f32_e32 v5, v5, v155
	s_waitcnt vmcnt(25) lgkmcnt(0)
	v_mul_f32_e32 v111, v2, v136
	v_add_f32_e32 v6, v6, v115
	v_add_f32_e32 v110, v5, v141
	v_mul_f32_e32 v141, v1, v136
	v_add_f32_e32 v109, v6, v113
	ds_read_b128 v[5:8], v104 offset:640
	v_add_f32_e32 v110, v110, v142
	v_fmac_f32_e32 v141, v2, v135
	v_fma_f32 v113, v1, v135, -v111
	v_add_f32_e32 v109, v109, v112
	v_add_f32_e32 v2, v110, v143
	s_clause 0x5
	buffer_load_dword v135, off, s[0:3], 0 offset:352
	buffer_load_dword v136, off, s[0:3], 0 offset:344
	;; [unrolled: 1-line block ×6, first 2 shown]
	v_add_f32_e32 v1, v109, v114
	v_add_f32_e32 v2, v2, v116
	;; [unrolled: 1-line block ×5, first 2 shown]
	buffer_load_dword v121, off, s[0:3], 0 offset:104
	v_add_f32_e32 v109, v109, v148
	v_add_f32_e32 v105, v1, v105
	;; [unrolled: 1-line block ×6, first 2 shown]
	ds_read_b128 v[105:108], v104 offset:672
	v_add_f32_e32 v115, v115, v151
	v_add_f32_e32 v114, v111, v123
	;; [unrolled: 1-line block ×4, first 2 shown]
	s_waitcnt vmcnt(30)
	v_mul_f32_e32 v128, v3, v118
	v_mul_f32_e32 v2, v4, v118
	s_waitcnt vmcnt(29) lgkmcnt(1)
	v_mul_f32_e32 v110, v6, v119
	v_fmac_f32_e32 v128, v4, v130
	v_fma_f32 v117, v3, v130, -v2
	ds_read_b128 v[1:4], v104 offset:656
	v_mul_f32_e32 v130, v5, v119
	v_fmac_f32_e32 v130, v6, v124
	v_fma_f32 v124, v5, v124, -v110
	s_waitcnt vmcnt(28)
	v_mul_f32_e32 v119, v7, v125
	v_mul_f32_e32 v112, v8, v125
	s_waitcnt vmcnt(23)
	v_fmac_f32_e32 v119, v8, v147
	v_fma_f32 v123, v7, v147, -v112
	ds_read_b128 v[5:8], v104 offset:688
	ds_read_b128 v[109:112], v104 offset:704
	s_waitcnt lgkmcnt(2)
	v_mul_f32_e32 v116, v2, v126
	v_mul_f32_e32 v122, v1, v126
	v_fma_f32 v126, v1, v146, -v116
	v_add_f32_e32 v1, v115, v150
	s_waitcnt vmcnt(22)
	v_mul_f32_e32 v125, v3, v127
	v_mul_f32_e32 v118, v4, v127
	v_add_f32_e32 v127, v114, v113
	v_fmac_f32_e32 v122, v2, v146
	v_add_f32_e32 v131, v1, v141
	v_fmac_f32_e32 v125, v4, v145
	v_fma_f32 v129, v3, v145, -v118
	v_add_f32_e32 v127, v127, v117
	s_waitcnt vmcnt(21)
	v_mul_f32_e32 v141, v105, v137
	v_add_f32_e32 v128, v131, v128
	s_waitcnt vmcnt(20)
	v_mul_f32_e32 v131, v107, v133
	v_mul_f32_e32 v133, v108, v133
	v_add_f32_e32 v124, v127, v124
	v_mul_f32_e32 v127, v106, v137
	v_add_f32_e32 v128, v128, v130
	v_fmac_f32_e32 v141, v106, v144
	ds_read_b128 v[113:116], v104 offset:720
	ds_read_b128 v[1:4], v104 offset:736
	v_add_f32_e32 v123, v124, v123
	v_add_f32_e32 v119, v128, v119
	v_fma_f32 v105, v105, v144, -v127
	s_waitcnt vmcnt(19) lgkmcnt(3)
	v_mul_f32_e32 v130, v5, v134
	s_waitcnt vmcnt(18)
	v_mul_f32_e32 v124, v7, v138
	v_add_f32_e32 v123, v123, v126
	v_add_f32_e32 v119, v119, v122
	s_waitcnt vmcnt(17) lgkmcnt(2)
	v_mul_f32_e32 v137, v109, v139
	s_waitcnt vmcnt(9)
	v_fmac_f32_e32 v130, v6, v157
	s_waitcnt vmcnt(8)
	v_fma_f32 v107, v107, v158, -v133
	v_add_f32_e32 v123, v123, v129
	v_add_f32_e32 v119, v119, v125
	v_mul_f32_e32 v129, v6, v134
	v_fmac_f32_e32 v131, v108, v158
	v_fmac_f32_e32 v124, v8, v156
	v_add_f32_e32 v105, v123, v105
	v_add_f32_e32 v108, v119, v141
	v_mul_f32_e32 v119, v8, v138
	v_fma_f32 v5, v5, v157, -v129
	v_mul_f32_e32 v8, v112, v132
	v_add_f32_e32 v6, v105, v107
	v_add_f32_e32 v105, v108, v131
	v_mul_f32_e32 v107, v110, v139
	v_fma_f32 v7, v7, v156, -v119
	v_mul_f32_e32 v128, v111, v132
	v_add_f32_e32 v5, v6, v5
	v_add_f32_e32 v6, v105, v130
	v_fma_f32 v105, v109, v120, -v107
	v_fmac_f32_e32 v137, v110, v120
	ds_read_b64 v[117:118], v104 offset:752
	v_add_f32_e32 v5, v5, v7
	v_add_f32_e32 v6, v6, v124
	s_waitcnt lgkmcnt(2)
	v_mul_f32_e32 v7, v114, v152
	s_waitcnt vmcnt(3)
	v_fma_f32 v8, v111, v143, -v8
	v_mul_f32_e32 v126, v113, v152
	v_add_f32_e32 v5, v5, v105
	v_fmac_f32_e32 v128, v112, v143
	v_add_f32_e32 v6, v6, v137
	v_mul_f32_e32 v105, v116, v153
	v_fma_f32 v7, v113, v142, -v7
	v_add_f32_e32 v5, v5, v8
	v_mul_f32_e32 v106, v115, v153
	v_fmac_f32_e32 v126, v114, v142
	v_add_f32_e32 v6, v6, v128
	s_waitcnt lgkmcnt(1)
	v_mul_f32_e32 v122, v1, v154
	v_mul_f32_e32 v8, v2, v154
	v_fma_f32 v105, v115, v136, -v105
	v_add_f32_e32 v5, v5, v7
	v_fmac_f32_e32 v106, v116, v136
	v_add_f32_e32 v6, v6, v126
	v_mul_f32_e32 v7, v4, v140
	v_fmac_f32_e32 v122, v2, v135
	v_fma_f32 v1, v1, v135, -v8
	v_add_f32_e32 v2, v5, v105
	v_mul_f32_e32 v127, v3, v140
	v_add_f32_e32 v5, v6, v106
	s_waitcnt lgkmcnt(0)
	v_mul_f32_e32 v6, v118, v159
	s_waitcnt vmcnt(1)
	v_fma_f32 v3, v3, v160, -v7
	v_add_f32_e32 v1, v2, v1
	v_mul_f32_e32 v125, v117, v159
	v_fmac_f32_e32 v127, v4, v160
	v_add_f32_e32 v2, v5, v122
	v_fma_f32 v4, v117, v155, -v6
	v_add_f32_e32 v1, v1, v3
	v_fmac_f32_e32 v125, v118, v155
	v_add_f32_e32 v2, v2, v127
	v_add_f32_e32 v1, v1, v4
	;; [unrolled: 1-line block ×3, first 2 shown]
	s_waitcnt vmcnt(0)
	v_sub_f32_e32 v1, v121, v1
	v_sub_f32_e32 v2, v149, v2
	buffer_store_dword v1, off, s[0:3], 0 offset:104
	buffer_store_dword v2, off, s[0:3], 0 offset:108
	v_cmpx_lt_u32_e32 12, v0
	s_cbranch_execz .LBB46_271
; %bb.270:
	s_clause 0x1
	buffer_load_dword v1, off, s[0:3], 0 offset:96
	buffer_load_dword v2, off, s[0:3], 0 offset:100
	buffer_store_dword v104, off, s[0:3], 0 offset:96
	buffer_store_dword v104, off, s[0:3], 0 offset:100
	s_waitcnt vmcnt(0)
	ds_write_b64 v103, v[1:2]
.LBB46_271:
	s_or_b32 exec_lo, exec_lo, s4
	s_waitcnt lgkmcnt(0)
	s_waitcnt_vscnt null, 0x0
	s_barrier
	buffer_gl0_inv
	s_clause 0x23
	buffer_load_dword v139, off, s[0:3], 0 offset:108
	buffer_load_dword v140, off, s[0:3], 0 offset:116
	;; [unrolled: 1-line block ×36, first 2 shown]
	ds_read2_b64 v[5:8], v104 offset0:61 offset1:62
	ds_read2_b64 v[1:4], v104 offset0:63 offset1:64
	;; [unrolled: 1-line block ×3, first 2 shown]
	s_clause 0x1
	buffer_load_dword v149, off, s[0:3], 0 offset:244
	buffer_load_dword v150, off, s[0:3], 0 offset:252
	ds_read2_b64 v[145:148], v104 offset0:67 offset1:68
	buffer_load_dword v153, off, s[0:3], 0 offset:100
	s_mov_b32 s4, exec_lo
	s_waitcnt vmcnt(38) lgkmcnt(3)
	v_mul_f32_e32 v151, v5, v139
	s_waitcnt vmcnt(37)
	v_mul_f32_e32 v152, v7, v140
	v_mul_f32_e32 v139, v6, v139
	;; [unrolled: 1-line block ×3, first 2 shown]
	s_waitcnt vmcnt(34)
	v_fmac_f32_e32 v151, v6, v111
	v_fmac_f32_e32 v152, v8, v110
	v_fma_f32 v111, v5, v111, -v139
	v_fma_f32 v110, v7, v110, -v140
	ds_read2_b64 v[5:8], v104 offset0:69 offset1:70
	s_waitcnt vmcnt(33) lgkmcnt(3)
	v_mul_f32_e32 v139, v1, v108
	v_mul_f32_e32 v108, v2, v108
	s_waitcnt vmcnt(32)
	v_mul_f32_e32 v140, v3, v107
	v_mul_f32_e32 v107, v4, v107
	s_waitcnt vmcnt(31) lgkmcnt(2)
	v_mul_f32_e32 v154, v141, v106
	v_fmac_f32_e32 v139, v2, v105
	v_fma_f32 v155, v1, v105, -v108
	s_waitcnt vmcnt(30)
	v_mul_f32_e32 v156, v143, v109
	v_mul_f32_e32 v105, v142, v106
	;; [unrolled: 1-line block ×3, first 2 shown]
	s_waitcnt vmcnt(26)
	v_fmac_f32_e32 v140, v4, v117
	v_fma_f32 v109, v3, v117, -v107
	ds_read2_b64 v[1:4], v104 offset0:71 offset1:72
	v_fmac_f32_e32 v154, v142, v116
	v_fma_f32 v116, v141, v116, -v105
	s_waitcnt vmcnt(25) lgkmcnt(2)
	v_mul_f32_e32 v117, v145, v113
	s_waitcnt vmcnt(24)
	v_mul_f32_e32 v141, v147, v114
	v_mul_f32_e32 v113, v146, v113
	;; [unrolled: 1-line block ×3, first 2 shown]
	v_fmac_f32_e32 v156, v144, v115
	v_fma_f32 v115, v143, v115, -v106
	ds_read2_b64 v[105:108], v104 offset0:73 offset1:74
	v_fmac_f32_e32 v117, v146, v112
	s_waitcnt vmcnt(19)
	v_fmac_f32_e32 v141, v148, v128
	v_fma_f32 v112, v145, v112, -v113
	v_fma_f32 v113, v147, v128, -v114
	s_clause 0x4
	buffer_load_dword v114, off, s[0:3], 0 offset:260
	buffer_load_dword v128, off, s[0:3], 0 offset:280
	buffer_load_dword v143, off, s[0:3], 0 offset:272
	buffer_load_dword v144, off, s[0:3], 0 offset:264
	buffer_load_dword v145, off, s[0:3], 0 offset:256
	s_waitcnt lgkmcnt(2)
	v_mul_f32_e32 v142, v5, v118
	v_mul_f32_e32 v118, v6, v118
	s_waitcnt vmcnt(23)
	v_mul_f32_e32 v146, v7, v124
	v_mul_f32_e32 v124, v8, v124
	v_fmac_f32_e32 v142, v6, v123
	v_fma_f32 v5, v5, v123, -v118
	s_waitcnt vmcnt(22) lgkmcnt(1)
	v_mul_f32_e32 v118, v1, v121
	v_fmac_f32_e32 v146, v8, v120
	v_fma_f32 v120, v7, v120, -v124
	s_waitcnt vmcnt(21)
	v_mul_f32_e32 v123, v3, v122
	v_mul_f32_e32 v6, v2, v121
	;; [unrolled: 1-line block ×3, first 2 shown]
	s_clause 0x2
	buffer_load_dword v121, off, s[0:3], 0 offset:268
	buffer_load_dword v122, off, s[0:3], 0 offset:276
	;; [unrolled: 1-line block ×3, first 2 shown]
	v_fmac_f32_e32 v118, v2, v119
	s_waitcnt vmcnt(20)
	v_fmac_f32_e32 v123, v4, v137
	v_fma_f32 v119, v1, v119, -v6
	v_fma_f32 v137, v3, v137, -v7
	ds_read2_b64 v[1:4], v104 offset0:75 offset1:76
	v_add_f32_e32 v6, 0, v151
	v_add_f32_e32 v7, 0, v111
	s_waitcnt vmcnt(19) lgkmcnt(1)
	v_mul_f32_e32 v147, v105, v134
	s_waitcnt vmcnt(18)
	v_mul_f32_e32 v148, v107, v135
	v_mul_f32_e32 v8, v106, v134
	v_add_f32_e32 v6, v6, v152
	v_mul_f32_e32 v111, v108, v135
	v_add_f32_e32 v7, v7, v110
	v_fmac_f32_e32 v147, v106, v132
	v_fmac_f32_e32 v148, v108, v131
	v_add_f32_e32 v6, v6, v139
	v_fma_f32 v105, v105, v132, -v8
	v_fma_f32 v110, v107, v131, -v111
	v_add_f32_e32 v7, v7, v155
	s_clause 0x7
	buffer_load_dword v131, off, s[0:3], 0 offset:292
	buffer_load_dword v132, off, s[0:3], 0 offset:300
	;; [unrolled: 1-line block ×8, first 2 shown]
	v_add_f32_e32 v6, v6, v140
	v_add_f32_e32 v7, v7, v109
	s_waitcnt vmcnt(25) lgkmcnt(0)
	v_mul_f32_e32 v8, v2, v129
	v_mul_f32_e32 v111, v1, v129
	s_clause 0x3
	buffer_load_dword v129, off, s[0:3], 0 offset:324
	buffer_load_dword v140, off, s[0:3], 0 offset:332
	;; [unrolled: 1-line block ×4, first 2 shown]
	v_fma_f32 v109, v1, v126, -v8
	v_add_f32_e32 v1, v6, v154
	v_fmac_f32_e32 v111, v2, v126
	v_add_f32_e32 v6, v7, v116
	s_waitcnt vmcnt(28)
	v_mul_f32_e32 v116, v3, v127
	v_mul_f32_e32 v2, v4, v127
	v_add_f32_e32 v7, v1, v156
	s_clause 0x2
	buffer_load_dword v126, off, s[0:3], 0 offset:356
	buffer_load_dword v154, off, s[0:3], 0 offset:364
	;; [unrolled: 1-line block ×3, first 2 shown]
	s_waitcnt vmcnt(27)
	v_fmac_f32_e32 v116, v4, v138
	v_fma_f32 v138, v3, v138, -v2
	ds_read2_b64 v[1:4], v104 offset0:77 offset1:78
	v_add_f32_e32 v7, v7, v117
	v_add_f32_e32 v6, v6, v115
	;; [unrolled: 1-line block ×3, first 2 shown]
	s_clause 0x3
	buffer_load_dword v141, off, s[0:3], 0 offset:344
	buffer_load_dword v156, off, s[0:3], 0 offset:336
	;; [unrolled: 1-line block ×4, first 2 shown]
	v_add_f32_e32 v6, v6, v112
	v_add_f32_e32 v106, v7, v142
	;; [unrolled: 1-line block ×5, first 2 shown]
	ds_read2_b64 v[5:8], v104 offset0:79 offset1:80
	s_waitcnt vmcnt(30) lgkmcnt(1)
	v_mul_f32_e32 v113, v1, v136
	v_mul_f32_e32 v108, v2, v136
	s_waitcnt vmcnt(29)
	v_mul_f32_e32 v117, v3, v149
	v_fmac_f32_e32 v113, v2, v133
	v_fma_f32 v115, v1, v133, -v108
	s_clause 0x3
	buffer_load_dword v133, off, s[0:3], 0 offset:368
	buffer_load_dword v136, off, s[0:3], 0 offset:360
	;; [unrolled: 1-line block ×4, first 2 shown]
	v_add_f32_e32 v1, v107, v120
	v_add_f32_e32 v2, v106, v118
	v_mul_f32_e32 v106, v4, v149
	v_fmac_f32_e32 v117, v4, v130
	v_add_f32_e32 v1, v1, v119
	v_add_f32_e32 v2, v2, v123
	v_fma_f32 v118, v3, v130, -v106
	v_add_f32_e32 v107, v1, v137
	v_add_f32_e32 v112, v2, v147
	ds_read2_b64 v[1:4], v104 offset0:81 offset1:82
	s_waitcnt vmcnt(32) lgkmcnt(1)
	v_mul_f32_e32 v120, v5, v150
	v_mul_f32_e32 v123, v6, v150
	v_add_f32_e32 v119, v107, v105
	ds_read2_b64 v[105:108], v104 offset0:83 offset1:84
	v_add_f32_e32 v112, v112, v148
	v_fmac_f32_e32 v120, v6, v125
	v_fma_f32 v123, v5, v125, -v123
	v_add_f32_e32 v110, v119, v110
	v_add_f32_e32 v119, v112, v111
	;; [unrolled: 1-line block ×5, first 2 shown]
	s_waitcnt vmcnt(30)
	v_mul_f32_e32 v130, v7, v114
	v_mul_f32_e32 v114, v8, v114
	s_waitcnt vmcnt(26)
	v_fmac_f32_e32 v130, v8, v145
	v_fma_f32 v125, v7, v145, -v114
	v_add_f32_e32 v114, v110, v109
	ds_read2_b64 v[5:8], v104 offset0:85 offset1:86
	ds_read2_b64 v[109:112], v104 offset0:87 offset1:88
	v_add_f32_e32 v114, v114, v138
	s_waitcnt vmcnt(25) lgkmcnt(3)
	v_mul_f32_e32 v137, v1, v121
	v_mul_f32_e32 v119, v2, v121
	s_waitcnt vmcnt(24)
	v_mul_f32_e32 v138, v3, v122
	v_mul_f32_e32 v121, v4, v122
	s_waitcnt vmcnt(23) lgkmcnt(2)
	v_mul_f32_e32 v122, v105, v124
	v_fmac_f32_e32 v137, v2, v144
	v_fma_f32 v144, v1, v144, -v119
	v_add_f32_e32 v119, v114, v115
	v_fmac_f32_e32 v138, v4, v143
	v_fma_f32 v121, v3, v143, -v121
	v_mul_f32_e32 v124, v106, v124
	ds_read2_b64 v[1:4], v104 offset0:89 offset1:90
	ds_read2_b64 v[113:116], v104 offset0:91 offset1:92
	v_add_f32_e32 v143, v119, v118
	v_fmac_f32_e32 v122, v106, v128
	v_add_f32_e32 v106, v117, v120
	ds_read2_b64 v[117:120], v104 offset0:93 offset1:94
	v_fma_f32 v105, v105, v128, -v124
	v_add_f32_e32 v104, v143, v123
	s_waitcnt vmcnt(22)
	v_mul_f32_e32 v124, v108, v131
	v_add_f32_e32 v106, v106, v130
	v_mul_f32_e32 v123, v107, v131
	s_waitcnt vmcnt(21) lgkmcnt(4)
	v_mul_f32_e32 v128, v5, v132
	v_add_f32_e32 v104, v104, v125
	v_mul_f32_e32 v130, v6, v132
	v_add_f32_e32 v106, v106, v137
	s_waitcnt vmcnt(15)
	v_fma_f32 v107, v107, v155, -v124
	v_fmac_f32_e32 v123, v108, v155
	v_add_f32_e32 v104, v104, v144
	v_fmac_f32_e32 v128, v6, v152
	v_add_f32_e32 v106, v106, v138
	v_fma_f32 v5, v5, v152, -v130
	v_mul_f32_e32 v125, v7, v134
	v_add_f32_e32 v104, v104, v121
	v_mul_f32_e32 v121, v8, v134
	s_waitcnt lgkmcnt(3)
	v_mul_f32_e32 v108, v109, v135
	s_waitcnt vmcnt(14)
	v_mul_f32_e32 v124, v111, v129
	v_fmac_f32_e32 v125, v8, v151
	v_add_f32_e32 v104, v104, v105
	v_add_f32_e32 v105, v106, v122
	v_fma_f32 v7, v7, v151, -v121
	v_mul_f32_e32 v8, v112, v129
	v_fmac_f32_e32 v108, v110, v139
	v_add_f32_e32 v6, v104, v107
	v_add_f32_e32 v104, v105, v123
	v_mul_f32_e32 v105, v110, v135
	s_waitcnt vmcnt(13) lgkmcnt(2)
	v_mul_f32_e32 v131, v1, v140
	s_waitcnt vmcnt(12)
	v_mul_f32_e32 v132, v3, v157
	v_add_f32_e32 v5, v6, v5
	v_add_f32_e32 v6, v104, v128
	v_fma_f32 v104, v109, v139, -v105
	s_waitcnt vmcnt(4)
	v_fma_f32 v8, v111, v160, -v8
	v_fmac_f32_e32 v124, v112, v160
	v_add_f32_e32 v5, v5, v7
	v_add_f32_e32 v6, v6, v125
	v_mul_f32_e32 v7, v2, v140
	v_fmac_f32_e32 v131, v2, v159
	s_waitcnt lgkmcnt(1)
	v_mul_f32_e32 v137, v113, v158
	v_add_f32_e32 v5, v5, v104
	v_add_f32_e32 v6, v6, v108
	v_mul_f32_e32 v104, v4, v157
	v_fma_f32 v1, v1, v159, -v7
	v_fmac_f32_e32 v132, v4, v156
	v_add_f32_e32 v2, v5, v8
	v_add_f32_e32 v5, v6, v124
	v_mul_f32_e32 v6, v114, v158
	v_fma_f32 v3, v3, v156, -v104
	v_mul_f32_e32 v4, v116, v126
	v_add_f32_e32 v1, v2, v1
	v_add_f32_e32 v2, v5, v131
	v_fma_f32 v5, v113, v141, -v6
	v_mul_f32_e32 v134, v115, v126
	v_fmac_f32_e32 v137, v114, v141
	v_add_f32_e32 v1, v1, v3
	v_add_f32_e32 v2, v2, v132
	s_waitcnt lgkmcnt(0)
	v_mul_f32_e32 v3, v118, v154
	s_waitcnt vmcnt(1)
	v_fma_f32 v4, v115, v142, -v4
	v_mul_f32_e32 v138, v117, v154
	v_add_f32_e32 v1, v1, v5
	v_fmac_f32_e32 v134, v116, v142
	v_add_f32_e32 v2, v2, v137
	v_mul_f32_e32 v5, v120, v127
	v_fma_f32 v3, v117, v136, -v3
	v_add_f32_e32 v1, v1, v4
	v_mul_f32_e32 v106, v119, v127
	v_fmac_f32_e32 v138, v118, v136
	v_add_f32_e32 v2, v2, v134
	v_fma_f32 v4, v119, v133, -v5
	v_add_f32_e32 v1, v1, v3
	v_fmac_f32_e32 v106, v120, v133
	v_add_f32_e32 v2, v2, v138
	v_add_f32_e32 v1, v1, v4
	;; [unrolled: 1-line block ×3, first 2 shown]
	s_waitcnt vmcnt(0)
	v_sub_f32_e32 v1, v146, v1
	v_sub_f32_e32 v2, v153, v2
	buffer_store_dword v1, off, s[0:3], 0 offset:96
	buffer_store_dword v2, off, s[0:3], 0 offset:100
	v_cmpx_lt_u32_e32 11, v0
	s_cbranch_execz .LBB46_273
; %bb.272:
	s_clause 0x1
	buffer_load_dword v1, off, s[0:3], 0 offset:88
	buffer_load_dword v2, off, s[0:3], 0 offset:92
	v_mov_b32_e32 v3, 0
	buffer_store_dword v3, off, s[0:3], 0 offset:88
	buffer_store_dword v3, off, s[0:3], 0 offset:92
	s_waitcnt vmcnt(0)
	ds_write_b64 v103, v[1:2]
.LBB46_273:
	s_or_b32 exec_lo, exec_lo, s4
	s_waitcnt lgkmcnt(0)
	s_waitcnt_vscnt null, 0x0
	s_barrier
	buffer_gl0_inv
	s_clause 0x2a
	buffer_load_dword v7, off, s[0:3], 0 offset:100
	buffer_load_dword v8, off, s[0:3], 0 offset:108
	;; [unrolled: 1-line block ×43, first 2 shown]
	v_mov_b32_e32 v1, 0
	ds_read_b128 v[136:139], v1 offset:480
	ds_read_b128 v[140:143], v1 offset:496
	ds_read_b128 v[144:147], v1 offset:512
	buffer_load_dword v154, off, s[0:3], 0 offset:92
	s_mov_b32 s4, exec_lo
	s_waitcnt vmcnt(43) lgkmcnt(2)
	v_mul_f32_e32 v152, v136, v7
	s_waitcnt vmcnt(42)
	v_mul_f32_e32 v153, v138, v8
	v_mul_f32_e32 v7, v137, v7
	;; [unrolled: 1-line block ×3, first 2 shown]
	s_waitcnt vmcnt(39)
	v_fmac_f32_e32 v152, v137, v6
	v_fmac_f32_e32 v153, v139, v5
	v_fma_f32 v155, v136, v6, -v7
	v_fma_f32 v156, v138, v5, -v8
	ds_read_b128 v[5:8], v1 offset:528
	ds_read_b128 v[136:139], v1 offset:544
	s_waitcnt vmcnt(38) lgkmcnt(3)
	v_mul_f32_e32 v157, v140, v3
	v_mul_f32_e32 v3, v141, v3
	s_waitcnt vmcnt(37)
	v_mul_f32_e32 v158, v142, v4
	v_mul_f32_e32 v4, v143, v4
	s_waitcnt vmcnt(32) lgkmcnt(2)
	v_mul_f32_e32 v160, v144, v111
	v_fmac_f32_e32 v157, v141, v2
	v_fma_f32 v159, v140, v2, -v3
	v_mul_f32_e32 v2, v145, v111
	s_waitcnt vmcnt(31)
	v_mul_f32_e32 v161, v146, v110
	v_mul_f32_e32 v3, v147, v110
	v_fmac_f32_e32 v158, v143, v112
	v_fma_f32 v112, v142, v112, -v4
	v_fmac_f32_e32 v160, v145, v107
	v_fma_f32 v144, v144, v107, -v2
	;; [unrolled: 2-line block ×3, first 2 shown]
	ds_read_b128 v[140:143], v1 offset:560
	s_waitcnt vmcnt(30) lgkmcnt(2)
	v_mul_f32_e32 v145, v5, v108
	v_mul_f32_e32 v2, v6, v108
	s_waitcnt vmcnt(29)
	v_mul_f32_e32 v147, v7, v106
	v_mul_f32_e32 v3, v8, v106
	s_waitcnt vmcnt(28) lgkmcnt(1)
	v_mul_f32_e32 v162, v136, v109
	v_fmac_f32_e32 v145, v6, v104
	v_fma_f32 v6, v5, v104, -v2
	s_waitcnt vmcnt(24)
	v_fmac_f32_e32 v147, v8, v119
	v_fma_f32 v7, v7, v119, -v3
	s_waitcnt vmcnt(23)
	v_mul_f32_e32 v8, v138, v118
	v_mul_f32_e32 v104, v137, v109
	v_mul_f32_e32 v105, v139, v118
	ds_read_b128 v[2:5], v1 offset:576
	v_fmac_f32_e32 v162, v137, v117
	v_fmac_f32_e32 v8, v139, v114
	v_fma_f32 v117, v136, v117, -v104
	v_fma_f32 v114, v138, v114, -v105
	ds_read_b128 v[104:107], v1 offset:592
	s_waitcnt vmcnt(22) lgkmcnt(2)
	v_mul_f32_e32 v118, v140, v116
	v_mul_f32_e32 v108, v141, v116
	s_waitcnt vmcnt(21)
	v_mul_f32_e32 v116, v142, v115
	v_mul_f32_e32 v109, v143, v115
	buffer_load_dword v115, off, s[0:3], 0 offset:260
	v_fmac_f32_e32 v118, v141, v113
	v_fma_f32 v113, v140, v113, -v108
	s_waitcnt vmcnt(18)
	v_fmac_f32_e32 v116, v143, v127
	v_fma_f32 v119, v142, v127, -v109
	s_waitcnt vmcnt(17) lgkmcnt(1)
	v_mul_f32_e32 v127, v2, v125
	s_waitcnt vmcnt(16)
	v_mul_f32_e32 v136, v4, v126
	v_mul_f32_e32 v108, v3, v125
	v_mul_f32_e32 v109, v5, v126
	v_fmac_f32_e32 v127, v3, v122
	v_fmac_f32_e32 v136, v5, v121
	v_fma_f32 v122, v2, v122, -v108
	v_fma_f32 v121, v4, v121, -v109
	ds_read_b128 v[2:5], v1 offset:608
	s_waitcnt vmcnt(15) lgkmcnt(1)
	v_mul_f32_e32 v125, v104, v124
	v_mul_f32_e32 v110, v105, v124
	s_waitcnt vmcnt(14)
	v_mul_f32_e32 v124, v106, v123
	v_mul_f32_e32 v123, v107, v123
	v_fmac_f32_e32 v125, v105, v120
	v_fma_f32 v120, v104, v120, -v110
	ds_read_b128 v[108:111], v1 offset:624
	s_waitcnt vmcnt(10)
	v_fmac_f32_e32 v124, v107, v135
	v_fma_f32 v123, v106, v135, -v123
	s_clause 0x1
	buffer_load_dword v126, off, s[0:3], 0 offset:268
	buffer_load_dword v135, off, s[0:3], 0 offset:276
	s_waitcnt vmcnt(11) lgkmcnt(1)
	v_mul_f32_e32 v137, v2, v134
	v_mul_f32_e32 v104, v3, v134
	s_waitcnt vmcnt(10)
	v_mul_f32_e32 v138, v4, v133
	v_mul_f32_e32 v105, v5, v133
	buffer_load_dword v134, off, s[0:3], 0 offset:284
	v_fmac_f32_e32 v137, v3, v131
	v_fma_f32 v131, v2, v131, -v104
	v_fmac_f32_e32 v138, v5, v129
	s_waitcnt vmcnt(10) lgkmcnt(0)
	v_mul_f32_e32 v133, v108, v132
	v_mul_f32_e32 v2, v109, v132
	s_waitcnt vmcnt(9)
	v_mul_f32_e32 v3, v111, v130
	s_clause 0x3
	buffer_load_dword v132, off, s[0:3], 0 offset:304
	buffer_load_dword v139, off, s[0:3], 0 offset:296
	;; [unrolled: 1-line block ×4, first 2 shown]
	v_mul_f32_e32 v142, v110, v130
	v_fmac_f32_e32 v133, v109, v128
	v_fma_f32 v128, v108, v128, -v2
	v_add_f32_e32 v2, 0, v152
	s_clause 0x1
	buffer_load_dword v130, off, s[0:3], 0 offset:292
	buffer_load_dword v152, off, s[0:3], 0 offset:308
	s_waitcnt vmcnt(11)
	v_fma_f32 v143, v110, v151, -v3
	v_add_f32_e32 v3, 0, v155
	v_add_f32_e32 v2, v2, v153
	v_fmac_f32_e32 v142, v111, v151
	s_clause 0x4
	buffer_load_dword v151, off, s[0:3], 0 offset:300
	buffer_load_dword v153, off, s[0:3], 0 offset:316
	;; [unrolled: 1-line block ×5, first 2 shown]
	v_add_f32_e32 v3, v3, v156
	v_add_f32_e32 v2, v2, v157
	s_clause 0x1
	buffer_load_dword v156, off, s[0:3], 0 offset:348
	buffer_load_dword v157, off, s[0:3], 0 offset:356
	v_fma_f32 v129, v4, v129, -v105
	v_add_f32_e32 v3, v3, v159
	v_add_f32_e32 v2, v2, v158
	s_clause 0x1
	buffer_load_dword v158, off, s[0:3], 0 offset:364
	buffer_load_dword v159, off, s[0:3], 0 offset:372
	v_add_f32_e32 v3, v3, v112
	v_add_f32_e32 v2, v2, v160
	v_add_f32_e32 v3, v3, v144
	v_add_f32_e32 v2, v2, v161
	s_clause 0x3
	buffer_load_dword v144, off, s[0:3], 0 offset:336
	buffer_load_dword v160, off, s[0:3], 0 offset:328
	;; [unrolled: 1-line block ×4, first 2 shown]
	v_add_f32_e32 v3, v3, v146
	v_add_f32_e32 v2, v2, v145
	;; [unrolled: 1-line block ×4, first 2 shown]
	s_clause 0x4
	buffer_load_dword v145, off, s[0:3], 0 offset:368
	buffer_load_dword v146, off, s[0:3], 0 offset:360
	buffer_load_dword v147, off, s[0:3], 0 offset:352
	buffer_load_dword v166, off, s[0:3], 0 offset:344
	buffer_load_dword v167, off, s[0:3], 0 offset:88
	ds_read_b128 v[104:107], v1 offset:656
	v_add_f32_e32 v3, v3, v7
	v_add_f32_e32 v2, v2, v162
	;; [unrolled: 1-line block ×5, first 2 shown]
	ds_read_b128 v[2:5], v1 offset:640
	v_add_f32_e32 v6, v6, v118
	v_add_f32_e32 v7, v7, v113
	;; [unrolled: 1-line block ×14, first 2 shown]
	s_waitcnt vmcnt(27) lgkmcnt(0)
	v_mul_f32_e32 v8, v2, v115
	v_mul_f32_e32 v108, v3, v115
	v_fmac_f32_e32 v8, v3, v150
	v_add_f32_e32 v3, v7, v120
	v_fma_f32 v120, v2, v150, -v108
	v_add_f32_e32 v8, v127, v8
	v_add_f32_e32 v7, v3, v123
	v_add_f32_e32 v7, v7, v131
	v_add_f32_e32 v7, v7, v129
	v_add_f32_e32 v7, v7, v128
	s_waitcnt vmcnt(26)
	v_mul_f32_e32 v121, v4, v126
	v_mul_f32_e32 v109, v5, v126
	v_add_f32_e32 v128, v7, v143
	s_waitcnt vmcnt(25)
	v_mul_f32_e32 v116, v105, v135
	v_mul_f32_e32 v123, v104, v135
	v_fmac_f32_e32 v121, v5, v149
	v_fma_f32 v122, v4, v149, -v109
	ds_read_b128 v[2:5], v1 offset:672
	ds_read_b128 v[108:111], v1 offset:688
	v_add_f32_e32 v120, v128, v120
	v_fma_f32 v126, v104, v148, -v116
	v_fmac_f32_e32 v123, v105, v148
	v_add_f32_e32 v8, v8, v121
	ds_read_b128 v[112:115], v1 offset:704
	ds_read_b128 v[116:119], v1 offset:720
	s_waitcnt vmcnt(24)
	v_mul_f32_e32 v125, v107, v134
	v_add_f32_e32 v120, v120, v122
	v_mul_f32_e32 v124, v106, v134
	v_add_f32_e32 v8, v8, v123
	v_add_f32_e32 v120, v120, v126
	s_waitcnt vmcnt(20)
	v_fma_f32 v125, v106, v141, -v125
	v_fmac_f32_e32 v124, v107, v141
	ds_read_b128 v[104:107], v1 offset:736
	ds_read_b64 v[6:7], v1 offset:752
	s_waitcnt vmcnt(19) lgkmcnt(5)
	v_mul_f32_e32 v128, v3, v130
	v_mul_f32_e32 v129, v2, v130
	v_add_f32_e32 v120, v120, v125
	v_add_f32_e32 v8, v8, v124
	s_waitcnt vmcnt(18) lgkmcnt(4)
	v_mul_f32_e32 v127, v108, v152
	v_fma_f32 v2, v2, v140, -v128
	s_waitcnt vmcnt(17)
	v_mul_f32_e32 v130, v5, v151
	v_mul_f32_e32 v131, v4, v151
	v_fmac_f32_e32 v129, v3, v140
	v_mul_f32_e32 v128, v109, v152
	v_add_f32_e32 v2, v120, v2
	v_fma_f32 v4, v4, v139, -v130
	v_fmac_f32_e32 v131, v5, v139
	v_add_f32_e32 v5, v8, v129
	s_waitcnt vmcnt(16)
	v_mul_f32_e32 v8, v111, v153
	v_fma_f32 v108, v108, v132, -v128
	v_add_f32_e32 v2, v2, v4
	v_mul_f32_e32 v122, v110, v153
	v_fmac_f32_e32 v127, v109, v132
	v_add_f32_e32 v4, v5, v131
	s_waitcnt vmcnt(15) lgkmcnt(3)
	v_mul_f32_e32 v5, v113, v155
	v_add_f32_e32 v2, v2, v108
	v_mul_f32_e32 v133, v112, v155
	s_waitcnt vmcnt(14)
	v_mul_f32_e32 v108, v115, v163
	v_add_f32_e32 v4, v4, v127
	s_waitcnt vmcnt(5)
	v_fma_f32 v8, v110, v165, -v8
	v_fmac_f32_e32 v122, v111, v165
	v_fma_f32 v5, v112, v161, -v5
	v_mul_f32_e32 v121, v114, v163
	v_fmac_f32_e32 v133, v113, v161
	v_add_f32_e32 v2, v2, v8
	v_add_f32_e32 v4, v4, v122
	s_waitcnt lgkmcnt(2)
	v_mul_f32_e32 v8, v117, v164
	v_fma_f32 v108, v114, v160, -v108
	v_mul_f32_e32 v126, v116, v164
	v_add_f32_e32 v2, v2, v5
	v_fmac_f32_e32 v121, v115, v160
	v_add_f32_e32 v4, v4, v133
	v_mul_f32_e32 v5, v119, v156
	v_fma_f32 v8, v116, v144, -v8
	v_add_f32_e32 v2, v2, v108
	v_mul_f32_e32 v3, v118, v156
	v_fmac_f32_e32 v126, v117, v144
	v_add_f32_e32 v4, v4, v121
	s_waitcnt lgkmcnt(1)
	v_mul_f32_e32 v108, v105, v157
	s_waitcnt vmcnt(1)
	v_fma_f32 v5, v118, v166, -v5
	v_add_f32_e32 v2, v2, v8
	v_mul_f32_e32 v123, v104, v157
	v_fmac_f32_e32 v3, v119, v166
	v_add_f32_e32 v4, v4, v126
	v_mul_f32_e32 v8, v107, v158
	v_fma_f32 v104, v104, v147, -v108
	v_add_f32_e32 v2, v2, v5
	v_mul_f32_e32 v125, v106, v158
	v_fmac_f32_e32 v123, v105, v147
	v_add_f32_e32 v3, v4, v3
	s_waitcnt lgkmcnt(0)
	v_mul_f32_e32 v4, v7, v159
	v_fma_f32 v5, v106, v146, -v8
	v_add_f32_e32 v2, v2, v104
	v_mul_f32_e32 v124, v6, v159
	v_fmac_f32_e32 v125, v107, v146
	v_add_f32_e32 v3, v3, v123
	v_fma_f32 v4, v6, v145, -v4
	v_add_f32_e32 v2, v2, v5
	v_fmac_f32_e32 v124, v7, v145
	v_add_f32_e32 v3, v3, v125
	v_add_f32_e32 v2, v2, v4
	v_add_f32_e32 v3, v3, v124
	s_waitcnt vmcnt(0)
	v_sub_f32_e32 v2, v167, v2
	v_sub_f32_e32 v3, v154, v3
	buffer_store_dword v2, off, s[0:3], 0 offset:88
	buffer_store_dword v3, off, s[0:3], 0 offset:92
	v_cmpx_lt_u32_e32 10, v0
	s_cbranch_execz .LBB46_275
; %bb.274:
	s_clause 0x1
	buffer_load_dword v2, off, s[0:3], 0 offset:80
	buffer_load_dword v3, off, s[0:3], 0 offset:84
	buffer_store_dword v1, off, s[0:3], 0 offset:80
	buffer_store_dword v1, off, s[0:3], 0 offset:84
	s_waitcnt vmcnt(0)
	ds_write_b64 v103, v[2:3]
.LBB46_275:
	s_or_b32 exec_lo, exec_lo, s4
	s_waitcnt lgkmcnt(0)
	s_waitcnt_vscnt null, 0x0
	s_barrier
	buffer_gl0_inv
	s_clause 0x2a
	buffer_load_dword v7, off, s[0:3], 0 offset:92
	buffer_load_dword v8, off, s[0:3], 0 offset:100
	;; [unrolled: 1-line block ×43, first 2 shown]
	ds_read2_b64 v[136:139], v1 offset0:59 offset1:60
	ds_read2_b64 v[140:143], v1 offset0:61 offset1:62
	;; [unrolled: 1-line block ×3, first 2 shown]
	buffer_load_dword v154, off, s[0:3], 0 offset:84
	s_mov_b32 s4, exec_lo
	s_waitcnt vmcnt(43) lgkmcnt(2)
	v_mul_f32_e32 v152, v136, v7
	s_waitcnt vmcnt(42)
	v_mul_f32_e32 v153, v138, v8
	v_mul_f32_e32 v7, v137, v7
	;; [unrolled: 1-line block ×3, first 2 shown]
	s_waitcnt vmcnt(39)
	v_fmac_f32_e32 v152, v137, v6
	v_fmac_f32_e32 v153, v139, v5
	v_fma_f32 v155, v136, v6, -v7
	v_fma_f32 v156, v138, v5, -v8
	ds_read2_b64 v[5:8], v1 offset0:65 offset1:66
	ds_read2_b64 v[136:139], v1 offset0:67 offset1:68
	s_waitcnt vmcnt(38) lgkmcnt(3)
	v_mul_f32_e32 v157, v140, v3
	s_waitcnt vmcnt(37)
	v_mul_f32_e32 v158, v142, v4
	v_mul_f32_e32 v3, v141, v3
	;; [unrolled: 1-line block ×3, first 2 shown]
	v_fmac_f32_e32 v157, v141, v2
	s_waitcnt vmcnt(33)
	v_fmac_f32_e32 v158, v143, v111
	v_fma_f32 v140, v140, v2, -v3
	v_fma_f32 v141, v142, v111, -v4
	s_waitcnt vmcnt(32) lgkmcnt(2)
	v_mul_f32_e32 v142, v144, v109
	v_mul_f32_e32 v2, v145, v109
	s_waitcnt vmcnt(31)
	v_mul_f32_e32 v3, v147, v110
	v_mul_f32_e32 v143, v146, v110
	v_fmac_f32_e32 v142, v145, v108
	v_fma_f32 v144, v144, v108, -v2
	v_fma_f32 v145, v146, v105, -v3
	ds_read2_b64 v[108:111], v1 offset0:69 offset1:70
	s_waitcnt vmcnt(30) lgkmcnt(2)
	v_mul_f32_e32 v146, v5, v106
	v_mul_f32_e32 v2, v6, v106
	s_waitcnt vmcnt(29)
	v_mul_f32_e32 v3, v8, v107
	v_fmac_f32_e32 v143, v147, v105
	v_mul_f32_e32 v147, v7, v107
	v_fmac_f32_e32 v146, v6, v104
	v_fma_f32 v6, v5, v104, -v2
	s_waitcnt vmcnt(25)
	v_fma_f32 v7, v7, v119, -v3
	ds_read2_b64 v[2:5], v1 offset0:71 offset1:72
	v_fmac_f32_e32 v147, v8, v119
	s_waitcnt vmcnt(24) lgkmcnt(2)
	v_mul_f32_e32 v8, v136, v117
	s_waitcnt vmcnt(23)
	v_mul_f32_e32 v119, v138, v118
	v_mul_f32_e32 v104, v137, v117
	;; [unrolled: 1-line block ×3, first 2 shown]
	v_fmac_f32_e32 v8, v137, v116
	v_fmac_f32_e32 v119, v139, v113
	v_fma_f32 v116, v136, v116, -v104
	v_fma_f32 v113, v138, v113, -v105
	ds_read2_b64 v[104:107], v1 offset0:73 offset1:74
	s_waitcnt vmcnt(22) lgkmcnt(2)
	v_mul_f32_e32 v117, v108, v114
	s_waitcnt vmcnt(21)
	v_mul_f32_e32 v118, v110, v115
	v_mul_f32_e32 v114, v109, v114
	;; [unrolled: 1-line block ×3, first 2 shown]
	v_fmac_f32_e32 v117, v109, v112
	s_waitcnt vmcnt(17)
	v_fmac_f32_e32 v118, v111, v127
	v_fma_f32 v112, v108, v112, -v114
	v_fma_f32 v114, v110, v127, -v115
	s_waitcnt vmcnt(16) lgkmcnt(1)
	v_mul_f32_e32 v115, v2, v125
	s_waitcnt vmcnt(15)
	v_mul_f32_e32 v127, v4, v126
	v_mul_f32_e32 v125, v3, v125
	v_mul_f32_e32 v126, v5, v126
	ds_read2_b64 v[108:111], v1 offset0:75 offset1:76
	v_fmac_f32_e32 v115, v3, v124
	v_fmac_f32_e32 v127, v5, v121
	v_fma_f32 v124, v2, v124, -v125
	v_fma_f32 v121, v4, v121, -v126
	s_clause 0x1
	buffer_load_dword v125, off, s[0:3], 0 offset:252
	buffer_load_dword v126, off, s[0:3], 0 offset:260
	s_waitcnt vmcnt(16) lgkmcnt(1)
	v_mul_f32_e32 v136, v104, v122
	v_mul_f32_e32 v2, v105, v122
	s_waitcnt vmcnt(15)
	v_mul_f32_e32 v3, v107, v123
	v_mul_f32_e32 v137, v106, v123
	buffer_load_dword v123, off, s[0:3], 0 offset:268
	v_fmac_f32_e32 v136, v105, v120
	v_fma_f32 v120, v104, v120, -v2
	s_waitcnt vmcnt(12)
	v_fma_f32 v122, v106, v135, -v3
	ds_read2_b64 v[2:5], v1 offset0:77 offset1:78
	v_fmac_f32_e32 v137, v107, v135
	s_waitcnt vmcnt(11) lgkmcnt(1)
	v_mul_f32_e32 v135, v108, v133
	s_waitcnt vmcnt(10)
	v_mul_f32_e32 v138, v110, v134
	v_mul_f32_e32 v104, v109, v133
	;; [unrolled: 1-line block ×3, first 2 shown]
	s_clause 0x5
	buffer_load_dword v133, off, s[0:3], 0 offset:276
	buffer_load_dword v134, off, s[0:3], 0 offset:296
	;; [unrolled: 1-line block ×6, first 2 shown]
	v_fmac_f32_e32 v135, v109, v132
	v_fma_f32 v132, v108, v132, -v104
	v_fmac_f32_e32 v138, v111, v131
	v_fma_f32 v131, v110, v131, -v105
	s_waitcnt vmcnt(15) lgkmcnt(0)
	v_mul_f32_e32 v161, v2, v130
	v_mul_f32_e32 v104, v3, v130
	s_waitcnt vmcnt(14)
	v_mul_f32_e32 v130, v4, v129
	v_fmac_f32_e32 v161, v3, v128
	v_add_f32_e32 v3, 0, v152
	v_fma_f32 v128, v2, v128, -v104
	v_add_f32_e32 v2, 0, v155
	v_mul_f32_e32 v104, v5, v129
	s_clause 0x1
	buffer_load_dword v129, off, s[0:3], 0 offset:292
	buffer_load_dword v152, off, s[0:3], 0 offset:300
	v_add_f32_e32 v3, v3, v153
	v_add_f32_e32 v2, v2, v156
	buffer_load_dword v153, off, s[0:3], 0 offset:308
	s_waitcnt vmcnt(13)
	v_fmac_f32_e32 v130, v5, v151
	v_fma_f32 v151, v4, v151, -v104
	v_add_f32_e32 v3, v3, v157
	v_add_f32_e32 v2, v2, v140
	s_clause 0x2
	buffer_load_dword v140, off, s[0:3], 0 offset:316
	buffer_load_dword v155, off, s[0:3], 0 offset:324
	;; [unrolled: 1-line block ×3, first 2 shown]
	v_add_f32_e32 v3, v3, v158
	v_add_f32_e32 v2, v2, v141
	s_clause 0x3
	buffer_load_dword v141, off, s[0:3], 0 offset:340
	buffer_load_dword v157, off, s[0:3], 0 offset:348
	;; [unrolled: 1-line block ×4, first 2 shown]
	v_add_f32_e32 v3, v3, v142
	v_add_f32_e32 v2, v2, v144
	buffer_load_dword v142, off, s[0:3], 0 offset:372
	v_add_f32_e32 v3, v3, v143
	v_add_f32_e32 v2, v2, v145
	s_clause 0x3
	buffer_load_dword v143, off, s[0:3], 0 offset:328
	buffer_load_dword v144, off, s[0:3], 0 offset:320
	;; [unrolled: 1-line block ×4, first 2 shown]
	v_add_f32_e32 v3, v3, v146
	v_add_f32_e32 v2, v2, v6
	;; [unrolled: 1-line block ×4, first 2 shown]
	s_clause 0x4
	buffer_load_dword v6, off, s[0:3], 0 offset:360
	buffer_load_dword v7, off, s[0:3], 0 offset:352
	;; [unrolled: 1-line block ×5, first 2 shown]
	v_add_f32_e32 v3, v3, v8
	buffer_load_dword v8, off, s[0:3], 0 offset:368
	v_add_f32_e32 v2, v2, v116
	v_add_f32_e32 v3, v3, v119
	;; [unrolled: 1-line block ×5, first 2 shown]
	ds_read2_b64 v[2:5], v1 offset0:79 offset1:80
	v_add_f32_e32 v104, v104, v118
	v_add_f32_e32 v105, v105, v114
	;; [unrolled: 1-line block ×4, first 2 shown]
	ds_read2_b64 v[104:107], v1 offset0:81 offset1:82
	v_add_f32_e32 v108, v108, v127
	v_add_f32_e32 v109, v109, v121
	;; [unrolled: 1-line block ×10, first 2 shown]
	s_waitcnt vmcnt(29) lgkmcnt(1)
	v_mul_f32_e32 v124, v2, v125
	v_mul_f32_e32 v110, v3, v125
	s_waitcnt vmcnt(28)
	v_mul_f32_e32 v125, v4, v126
	v_mul_f32_e32 v111, v5, v126
	v_fmac_f32_e32 v124, v3, v150
	v_fma_f32 v126, v2, v150, -v110
	v_fmac_f32_e32 v125, v5, v149
	v_fma_f32 v127, v4, v149, -v111
	ds_read2_b64 v[2:5], v1 offset0:83 offset1:84
	ds_read2_b64 v[108:111], v1 offset0:85 offset1:86
	s_waitcnt vmcnt(27) lgkmcnt(2)
	v_mul_f32_e32 v136, v104, v123
	v_mul_f32_e32 v114, v105, v123
	v_fmac_f32_e32 v136, v105, v148
	v_add_f32_e32 v105, v113, v138
	v_fma_f32 v132, v104, v148, -v114
	s_waitcnt vmcnt(26)
	v_mul_f32_e32 v137, v106, v133
	v_mul_f32_e32 v115, v107, v133
	v_add_f32_e32 v117, v105, v161
	s_waitcnt vmcnt(22)
	v_fmac_f32_e32 v137, v107, v160
	v_fma_f32 v131, v106, v160, -v115
	v_add_f32_e32 v122, v117, v130
	v_add_f32_e32 v130, v120, v151
	s_waitcnt vmcnt(21) lgkmcnt(1)
	v_mul_f32_e32 v128, v2, v162
	v_mul_f32_e32 v121, v3, v162
	ds_read2_b64 v[104:107], v1 offset0:87 offset1:88
	ds_read2_b64 v[112:115], v1 offset0:89 offset1:90
	;; [unrolled: 1-line block ×3, first 2 shown]
	v_fmac_f32_e32 v128, v3, v159
	v_fma_f32 v2, v2, v159, -v121
	v_add_f32_e32 v3, v122, v124
	ds_read2_b64 v[120:123], v1 offset0:93 offset1:94
	v_add_f32_e32 v1, v130, v126
	s_waitcnt vmcnt(20)
	v_mul_f32_e32 v126, v5, v129
	v_add_f32_e32 v3, v3, v125
	v_mul_f32_e32 v124, v4, v129
	v_add_f32_e32 v1, v1, v127
	s_waitcnt vmcnt(19) lgkmcnt(4)
	v_mul_f32_e32 v129, v109, v152
	v_fma_f32 v4, v4, v139, -v126
	v_add_f32_e32 v3, v3, v136
	v_mul_f32_e32 v125, v108, v152
	v_add_f32_e32 v1, v1, v132
	v_fmac_f32_e32 v124, v5, v139
	v_fma_f32 v108, v108, v134, -v129
	v_add_f32_e32 v3, v3, v137
	s_waitcnt vmcnt(18)
	v_mul_f32_e32 v127, v110, v153
	v_add_f32_e32 v1, v1, v131
	v_mul_f32_e32 v131, v111, v153
	v_fmac_f32_e32 v125, v109, v134
	s_waitcnt vmcnt(17) lgkmcnt(3)
	v_mul_f32_e32 v5, v104, v140
	s_waitcnt vmcnt(16)
	v_mul_f32_e32 v126, v106, v155
	v_add_f32_e32 v1, v1, v2
	v_add_f32_e32 v2, v3, v128
	s_waitcnt vmcnt(15) lgkmcnt(2)
	v_mul_f32_e32 v130, v112, v156
	s_waitcnt vmcnt(14)
	v_mul_f32_e32 v132, v114, v141
	s_waitcnt vmcnt(8)
	v_fmac_f32_e32 v126, v107, v144
	v_add_f32_e32 v1, v1, v4
	v_add_f32_e32 v2, v2, v124
	v_mul_f32_e32 v4, v105, v140
	s_waitcnt vmcnt(6)
	v_fma_f32 v109, v110, v164, -v131
	v_fmac_f32_e32 v127, v111, v164
	v_add_f32_e32 v1, v1, v108
	v_add_f32_e32 v2, v2, v125
	v_mul_f32_e32 v108, v107, v155
	v_fma_f32 v4, v104, v145, -v4
	v_fmac_f32_e32 v5, v105, v145
	v_add_f32_e32 v1, v1, v109
	v_add_f32_e32 v2, v2, v127
	v_mul_f32_e32 v104, v113, v156
	;; [unrolled: 5-line block ×3, first 2 shown]
	v_fma_f32 v5, v112, v143, -v104
	s_waitcnt lgkmcnt(1)
	v_mul_f32_e32 v104, v117, v157
	v_add_f32_e32 v1, v1, v105
	v_add_f32_e32 v2, v2, v126
	s_waitcnt vmcnt(2)
	v_fma_f32 v4, v114, v147, -v4
	v_mul_f32_e32 v133, v116, v157
	v_fmac_f32_e32 v132, v115, v147
	v_add_f32_e32 v1, v1, v5
	v_add_f32_e32 v2, v2, v130
	v_mul_f32_e32 v5, v119, v158
	v_fma_f32 v104, v116, v146, -v104
	v_mul_f32_e32 v135, v118, v158
	v_add_f32_e32 v1, v1, v4
	v_fmac_f32_e32 v133, v117, v146
	v_add_f32_e32 v2, v2, v132
	s_waitcnt lgkmcnt(0)
	v_mul_f32_e32 v4, v121, v163
	v_fma_f32 v5, v118, v7, -v5
	v_add_f32_e32 v1, v1, v104
	v_mul_f32_e32 v136, v120, v163
	v_fmac_f32_e32 v135, v119, v7
	v_add_f32_e32 v2, v2, v133
	v_mul_f32_e32 v7, v123, v142
	v_fma_f32 v4, v120, v6, -v4
	v_add_f32_e32 v1, v1, v5
	v_mul_f32_e32 v3, v122, v142
	v_fmac_f32_e32 v136, v121, v6
	v_add_f32_e32 v2, v2, v135
	s_waitcnt vmcnt(0)
	v_fma_f32 v5, v122, v8, -v7
	v_add_f32_e32 v1, v1, v4
	v_fmac_f32_e32 v3, v123, v8
	v_add_f32_e32 v2, v2, v136
	v_add_f32_e32 v1, v1, v5
	;; [unrolled: 1-line block ×3, first 2 shown]
	v_sub_f32_e32 v1, v165, v1
	v_sub_f32_e32 v2, v154, v2
	buffer_store_dword v1, off, s[0:3], 0 offset:80
	buffer_store_dword v2, off, s[0:3], 0 offset:84
	v_cmpx_lt_u32_e32 9, v0
	s_cbranch_execz .LBB46_277
; %bb.276:
	s_clause 0x1
	buffer_load_dword v1, off, s[0:3], 0 offset:72
	buffer_load_dword v2, off, s[0:3], 0 offset:76
	v_mov_b32_e32 v3, 0
	buffer_store_dword v3, off, s[0:3], 0 offset:72
	buffer_store_dword v3, off, s[0:3], 0 offset:76
	s_waitcnt vmcnt(0)
	ds_write_b64 v103, v[1:2]
.LBB46_277:
	s_or_b32 exec_lo, exec_lo, s4
	s_waitcnt lgkmcnt(0)
	s_waitcnt_vscnt null, 0x0
	s_barrier
	buffer_gl0_inv
	s_clause 0x2b
	buffer_load_dword v135, off, s[0:3], 0 offset:84
	buffer_load_dword v2, off, s[0:3], 0 offset:96
	;; [unrolled: 1-line block ×44, first 2 shown]
	v_mov_b32_e32 v1, 0
	ds_read_b128 v[136:139], v1 offset:464
	ds_read_b128 v[140:143], v1 offset:480
	;; [unrolled: 1-line block ×3, first 2 shown]
	buffer_load_dword v154, off, s[0:3], 0 offset:76
	s_mov_b32 s4, exec_lo
	s_waitcnt vmcnt(44) lgkmcnt(2)
	v_mul_f32_e32 v153, v136, v135
	v_mul_f32_e32 v135, v137, v135
	s_waitcnt vmcnt(40)
	v_mul_f32_e32 v156, v138, v104
	v_mul_f32_e32 v104, v139, v104
	v_fmac_f32_e32 v153, v137, v105
	v_fma_f32 v155, v136, v105, -v135
	s_waitcnt vmcnt(39) lgkmcnt(1)
	v_mul_f32_e32 v158, v140, v7
	v_fmac_f32_e32 v156, v139, v5
	v_fma_f32 v157, v138, v5, -v104
	v_mul_f32_e32 v5, v141, v7
	ds_read_b128 v[135:138], v1 offset:512
	v_fmac_f32_e32 v158, v141, v2
	s_waitcnt vmcnt(38)
	v_mul_f32_e32 v160, v142, v4
	v_fma_f32 v159, v140, v2, -v5
	v_mul_f32_e32 v2, v143, v4
	s_waitcnt vmcnt(34)
	v_fmac_f32_e32 v160, v143, v109
	s_waitcnt vmcnt(33) lgkmcnt(1)
	v_mul_f32_e32 v143, v144, v108
	v_fma_f32 v109, v142, v109, -v2
	v_mul_f32_e32 v2, v145, v108
	ds_read_b128 v[139:142], v1 offset:528
	v_fmac_f32_e32 v143, v145, v106
	v_fma_f32 v108, v144, v106, -v2
	s_waitcnt vmcnt(32)
	v_mul_f32_e32 v144, v146, v107
	v_mul_f32_e32 v2, v147, v107
	ds_read_b128 v[104:107], v1 offset:560
	v_fmac_f32_e32 v144, v147, v6
	v_fma_f32 v145, v146, v6, -v2
	s_waitcnt vmcnt(31) lgkmcnt(2)
	v_mul_f32_e32 v2, v136, v8
	ds_read_b128 v[4:7], v1 offset:544
	v_mul_f32_e32 v146, v135, v8
	v_fma_f32 v8, v135, v3, -v2
	s_waitcnt vmcnt(30)
	v_mul_f32_e32 v2, v138, v110
	v_mul_f32_e32 v135, v137, v110
	v_fmac_f32_e32 v146, v136, v3
	s_waitcnt vmcnt(24) lgkmcnt(2)
	v_mul_f32_e32 v136, v141, v115
	v_fma_f32 v110, v137, v118, -v2
	v_mul_f32_e32 v2, v140, v117
	v_fmac_f32_e32 v135, v138, v118
	v_mul_f32_e32 v118, v139, v117
	v_fmac_f32_e32 v136, v142, v112
	v_fma_f32 v117, v139, v114, -v2
	v_mul_f32_e32 v2, v142, v115
	v_fmac_f32_e32 v118, v140, v114
	s_waitcnt vmcnt(23) lgkmcnt(0)
	v_mul_f32_e32 v138, v4, v113
	s_waitcnt vmcnt(22)
	v_mul_f32_e32 v139, v6, v116
	v_fma_f32 v137, v141, v112, -v2
	v_mul_f32_e32 v2, v5, v113
	ds_read_b128 v[112:115], v1 offset:576
	v_fmac_f32_e32 v138, v5, v111
	s_waitcnt vmcnt(18)
	v_fmac_f32_e32 v139, v7, v127
	v_fma_f32 v111, v4, v111, -v2
	v_mul_f32_e32 v2, v7, v116
	s_waitcnt vmcnt(17)
	v_mul_f32_e32 v7, v104, v126
	s_waitcnt vmcnt(16)
	v_mul_f32_e32 v116, v106, v125
	v_mul_f32_e32 v125, v107, v125
	v_fma_f32 v6, v6, v127, -v2
	v_mul_f32_e32 v2, v105, v126
	v_fmac_f32_e32 v7, v105, v123
	v_fmac_f32_e32 v116, v107, v120
	v_fma_f32 v120, v106, v120, -v125
	v_add_f32_e32 v106, 0, v153
	v_fma_f32 v123, v104, v123, -v2
	ds_read_b128 v[2:5], v1 offset:592
	s_clause 0x2
	buffer_load_dword v125, off, s[0:3], 0 offset:252
	buffer_load_dword v126, off, s[0:3], 0 offset:260
	;; [unrolled: 1-line block ×3, first 2 shown]
	s_waitcnt vmcnt(18) lgkmcnt(1)
	v_mul_f32_e32 v127, v112, v121
	v_mul_f32_e32 v104, v113, v121
	s_waitcnt vmcnt(17)
	v_mul_f32_e32 v121, v114, v124
	v_mul_f32_e32 v105, v115, v124
	v_fmac_f32_e32 v127, v113, v119
	v_fma_f32 v112, v112, v119, -v104
	s_waitcnt vmcnt(13)
	v_fmac_f32_e32 v121, v115, v134
	v_fma_f32 v113, v114, v134, -v105
	v_add_f32_e32 v115, v106, v156
	ds_read_b128 v[104:107], v1 offset:608
	v_add_f32_e32 v114, 0, v155
	v_add_f32_e32 v115, v115, v158
	;; [unrolled: 1-line block ×3, first 2 shown]
	s_waitcnt vmcnt(12) lgkmcnt(1)
	v_mul_f32_e32 v119, v2, v133
	v_mul_f32_e32 v124, v3, v133
	s_clause 0x3
	buffer_load_dword v133, off, s[0:3], 0 offset:288
	buffer_load_dword v134, off, s[0:3], 0 offset:280
	;; [unrolled: 1-line block ×4, first 2 shown]
	v_fmac_f32_e32 v119, v3, v132
	v_fma_f32 v124, v2, v132, -v124
	s_clause 0x1
	buffer_load_dword v132, off, s[0:3], 0 offset:276
	buffer_load_dword v147, off, s[0:3], 0 offset:284
	v_add_f32_e32 v2, v114, v159
	v_add_f32_e32 v3, v115, v160
	s_waitcnt vmcnt(17)
	v_mul_f32_e32 v114, v4, v131
	v_mul_f32_e32 v115, v5, v131
	buffer_load_dword v131, off, s[0:3], 0 offset:292
	v_add_f32_e32 v2, v2, v109
	v_add_f32_e32 v3, v3, v143
	v_fmac_f32_e32 v114, v5, v129
	v_fma_f32 v115, v4, v129, -v115
	s_clause 0x3
	buffer_load_dword v129, off, s[0:3], 0 offset:300
	buffer_load_dword v143, off, s[0:3], 0 offset:308
	;; [unrolled: 1-line block ×4, first 2 shown]
	v_add_f32_e32 v108, v2, v108
	v_add_f32_e32 v109, v3, v144
	ds_read_b128 v[2:5], v1 offset:624
	s_waitcnt vmcnt(21) lgkmcnt(1)
	v_mul_f32_e32 v144, v104, v128
	v_mul_f32_e32 v128, v105, v128
	v_add_f32_e32 v108, v108, v145
	v_add_f32_e32 v109, v109, v146
	s_waitcnt vmcnt(20)
	v_mul_f32_e32 v145, v106, v130
	v_fmac_f32_e32 v144, v105, v122
	v_fma_f32 v122, v104, v122, -v128
	v_add_f32_e32 v8, v108, v8
	v_add_f32_e32 v104, v109, v135
	v_mul_f32_e32 v108, v107, v130
	s_clause 0x4
	buffer_load_dword v128, off, s[0:3], 0 offset:332
	buffer_load_dword v130, off, s[0:3], 0 offset:340
	;; [unrolled: 1-line block ×5, first 2 shown]
	v_add_f32_e32 v8, v8, v110
	s_clause 0x4
	buffer_load_dword v157, off, s[0:3], 0 offset:320
	buffer_load_dword v158, off, s[0:3], 0 offset:312
	;; [unrolled: 1-line block ×5, first 2 shown]
	v_add_f32_e32 v104, v104, v118
	s_waitcnt vmcnt(26)
	v_fmac_f32_e32 v145, v107, v151
	v_fma_f32 v151, v106, v151, -v108
	v_add_f32_e32 v8, v8, v117
	v_add_f32_e32 v104, v104, v136
	s_waitcnt vmcnt(25) lgkmcnt(0)
	v_mul_f32_e32 v109, v3, v152
	v_mul_f32_e32 v136, v2, v152
	v_add_f32_e32 v8, v8, v137
	v_add_f32_e32 v108, v104, v138
	ds_read_b128 v[104:107], v1 offset:640
	v_fma_f32 v117, v2, v150, -v109
	v_add_f32_e32 v8, v8, v111
	v_fmac_f32_e32 v136, v3, v150
	v_add_f32_e32 v108, v108, v139
	v_add_f32_e32 v2, v8, v6
	s_clause 0x3
	buffer_load_dword v8, off, s[0:3], 0 offset:352
	buffer_load_dword v137, off, s[0:3], 0 offset:344
	;; [unrolled: 1-line block ×4, first 2 shown]
	v_add_f32_e32 v3, v108, v7
	v_add_f32_e32 v2, v2, v123
	s_clause 0x1
	buffer_load_dword v123, off, s[0:3], 0 offset:368
	buffer_load_dword v150, off, s[0:3], 0 offset:360
	v_add_f32_e32 v3, v3, v116
	ds_read_b128 v[108:111], v1 offset:672
	v_add_f32_e32 v2, v2, v120
	buffer_load_dword v120, off, s[0:3], 0 offset:72
	v_add_f32_e32 v6, v3, v127
	v_add_f32_e32 v7, v2, v112
	;; [unrolled: 1-line block ×11, first 2 shown]
	s_waitcnt vmcnt(30)
	v_mul_f32_e32 v127, v4, v125
	v_mul_f32_e32 v3, v5, v125
	s_waitcnt vmcnt(29) lgkmcnt(1)
	v_mul_f32_e32 v112, v105, v126
	v_mul_f32_e32 v121, v104, v126
	s_waitcnt vmcnt(28)
	v_mul_f32_e32 v113, v107, v140
	v_fmac_f32_e32 v127, v5, v149
	v_fma_f32 v125, v4, v149, -v3
	ds_read_b128 v[2:5], v1 offset:656
	v_fma_f32 v124, v104, v148, -v112
	v_mul_f32_e32 v126, v106, v140
	v_fmac_f32_e32 v121, v105, v148
	s_waitcnt vmcnt(24)
	v_fma_f32 v140, v106, v142, -v113
	v_fmac_f32_e32 v126, v107, v142
	ds_read_b128 v[104:107], v1 offset:688
	ds_read_b128 v[112:115], v1 offset:704
	s_waitcnt vmcnt(23) lgkmcnt(2)
	v_mul_f32_e32 v122, v2, v132
	v_mul_f32_e32 v116, v3, v132
	s_waitcnt vmcnt(22)
	v_mul_f32_e32 v132, v4, v147
	v_mul_f32_e32 v142, v5, v147
	v_fmac_f32_e32 v122, v3, v141
	v_fma_f32 v141, v2, v141, -v116
	v_add_f32_e32 v2, v6, v145
	v_add_f32_e32 v6, v7, v117
	v_fmac_f32_e32 v132, v5, v134
	v_fma_f32 v134, v4, v134, -v142
	s_waitcnt vmcnt(21)
	v_mul_f32_e32 v142, v108, v131
	v_add_f32_e32 v136, v2, v136
	v_add_f32_e32 v125, v6, v125
	ds_read_b128 v[116:119], v1 offset:720
	ds_read_b128 v[2:5], v1 offset:736
	v_fmac_f32_e32 v142, v109, v133
	v_add_f32_e32 v127, v136, v127
	v_add_f32_e32 v124, v125, v124
	v_mul_f32_e32 v125, v109, v131
	s_waitcnt vmcnt(20)
	v_mul_f32_e32 v136, v110, v129
	v_mul_f32_e32 v129, v111, v129
	v_add_f32_e32 v121, v127, v121
	v_add_f32_e32 v124, v124, v140
	v_fma_f32 v108, v108, v133, -v125
	s_waitcnt vmcnt(19) lgkmcnt(3)
	v_mul_f32_e32 v127, v104, v143
	v_mul_f32_e32 v133, v105, v143
	v_add_f32_e32 v121, v121, v126
	v_add_f32_e32 v124, v124, v141
	s_waitcnt vmcnt(8)
	v_fma_f32 v110, v110, v160, -v129
	v_fmac_f32_e32 v136, v111, v160
	v_fmac_f32_e32 v127, v105, v159
	v_add_f32_e32 v121, v121, v122
	v_add_f32_e32 v124, v124, v134
	v_fma_f32 v104, v104, v159, -v133
	v_mul_f32_e32 v131, v106, v153
	s_waitcnt lgkmcnt(2)
	v_mul_f32_e32 v140, v112, v155
	v_add_f32_e32 v121, v121, v132
	v_add_f32_e32 v108, v124, v108
	v_mul_f32_e32 v126, v114, v128
	v_fmac_f32_e32 v131, v107, v158
	v_fmac_f32_e32 v140, v113, v157
	v_add_f32_e32 v111, v121, v142
	v_mul_f32_e32 v121, v107, v153
	v_add_f32_e32 v105, v108, v110
	v_mul_f32_e32 v110, v113, v155
	v_mul_f32_e32 v107, v115, v128
	v_add_f32_e32 v108, v111, v136
	v_fma_f32 v106, v106, v158, -v121
	v_add_f32_e32 v104, v105, v104
	ds_read_b64 v[6:7], v1 offset:752
	s_waitcnt vmcnt(3)
	v_fma_f32 v107, v114, v139, -v107
	v_add_f32_e32 v105, v108, v127
	v_fma_f32 v108, v112, v157, -v110
	v_add_f32_e32 v104, v104, v106
	s_waitcnt lgkmcnt(2)
	v_mul_f32_e32 v106, v117, v130
	v_mul_f32_e32 v141, v116, v130
	v_add_f32_e32 v105, v105, v131
	v_fmac_f32_e32 v126, v115, v139
	v_add_f32_e32 v104, v104, v108
	v_mul_f32_e32 v108, v119, v135
	v_fma_f32 v106, v116, v138, -v106
	v_add_f32_e32 v105, v105, v140
	v_mul_f32_e32 v109, v118, v135
	v_add_f32_e32 v104, v104, v107
	v_fmac_f32_e32 v141, v117, v138
	s_waitcnt lgkmcnt(1)
	v_mul_f32_e32 v122, v2, v146
	v_add_f32_e32 v105, v105, v126
	v_mul_f32_e32 v107, v3, v146
	v_fma_f32 v108, v118, v137, -v108
	v_add_f32_e32 v104, v104, v106
	v_fmac_f32_e32 v109, v119, v137
	v_add_f32_e32 v105, v105, v141
	v_mul_f32_e32 v106, v5, v156
	v_fmac_f32_e32 v122, v3, v8
	v_fma_f32 v2, v2, v8, -v107
	v_add_f32_e32 v3, v104, v108
	v_mul_f32_e32 v125, v4, v156
	v_add_f32_e32 v8, v105, v109
	s_waitcnt lgkmcnt(0)
	v_mul_f32_e32 v104, v7, v161
	s_waitcnt vmcnt(1)
	v_fma_f32 v4, v4, v150, -v106
	v_add_f32_e32 v2, v3, v2
	v_mul_f32_e32 v132, v6, v161
	v_fmac_f32_e32 v125, v5, v150
	v_add_f32_e32 v3, v8, v122
	v_fma_f32 v5, v6, v123, -v104
	v_add_f32_e32 v2, v2, v4
	v_fmac_f32_e32 v132, v7, v123
	v_add_f32_e32 v3, v3, v125
	v_add_f32_e32 v2, v2, v5
	;; [unrolled: 1-line block ×3, first 2 shown]
	s_waitcnt vmcnt(0)
	v_sub_f32_e32 v2, v120, v2
	v_sub_f32_e32 v3, v154, v3
	buffer_store_dword v2, off, s[0:3], 0 offset:72
	buffer_store_dword v3, off, s[0:3], 0 offset:76
	v_cmpx_lt_u32_e32 8, v0
	s_cbranch_execz .LBB46_279
; %bb.278:
	s_clause 0x1
	buffer_load_dword v2, off, s[0:3], 0 offset:64
	buffer_load_dword v3, off, s[0:3], 0 offset:68
	buffer_store_dword v1, off, s[0:3], 0 offset:64
	buffer_store_dword v1, off, s[0:3], 0 offset:68
	s_waitcnt vmcnt(0)
	ds_write_b64 v103, v[2:3]
.LBB46_279:
	s_or_b32 exec_lo, exec_lo, s4
	s_waitcnt lgkmcnt(0)
	s_waitcnt_vscnt null, 0x0
	s_barrier
	buffer_gl0_inv
	s_clause 0x2b
	buffer_load_dword v135, off, s[0:3], 0 offset:76
	buffer_load_dword v2, off, s[0:3], 0 offset:88
	;; [unrolled: 1-line block ×44, first 2 shown]
	ds_read2_b64 v[136:139], v1 offset0:57 offset1:58
	ds_read2_b64 v[140:143], v1 offset0:59 offset1:60
	;; [unrolled: 1-line block ×3, first 2 shown]
	buffer_load_dword v154, off, s[0:3], 0 offset:68
	s_mov_b32 s4, exec_lo
	s_waitcnt vmcnt(44) lgkmcnt(2)
	v_mul_f32_e32 v153, v136, v135
	v_mul_f32_e32 v135, v137, v135
	s_waitcnt vmcnt(40)
	v_mul_f32_e32 v156, v138, v104
	v_mul_f32_e32 v104, v139, v104
	s_waitcnt vmcnt(39) lgkmcnt(1)
	v_mul_f32_e32 v158, v140, v7
	v_fmac_f32_e32 v153, v137, v105
	v_fma_f32 v155, v136, v105, -v135
	v_fmac_f32_e32 v156, v139, v5
	v_fma_f32 v157, v138, v5, -v104
	v_mul_f32_e32 v5, v141, v7
	ds_read2_b64 v[135:138], v1 offset0:63 offset1:64
	v_fmac_f32_e32 v158, v141, v2
	s_waitcnt vmcnt(38)
	v_mul_f32_e32 v160, v142, v4
	v_fma_f32 v159, v140, v2, -v5
	v_mul_f32_e32 v2, v143, v4
	s_waitcnt vmcnt(34)
	v_fmac_f32_e32 v160, v143, v109
	s_waitcnt vmcnt(33) lgkmcnt(1)
	v_mul_f32_e32 v143, v144, v108
	v_fma_f32 v109, v142, v109, -v2
	v_mul_f32_e32 v2, v145, v108
	ds_read2_b64 v[139:142], v1 offset0:65 offset1:66
	v_fmac_f32_e32 v143, v145, v106
	v_fma_f32 v108, v144, v106, -v2
	s_waitcnt vmcnt(32)
	v_mul_f32_e32 v144, v146, v107
	v_mul_f32_e32 v2, v147, v107
	ds_read2_b64 v[104:107], v1 offset0:69 offset1:70
	v_fmac_f32_e32 v144, v147, v6
	v_fma_f32 v145, v146, v6, -v2
	ds_read2_b64 v[4:7], v1 offset0:67 offset1:68
	s_waitcnt vmcnt(31) lgkmcnt(3)
	v_mul_f32_e32 v2, v136, v8
	v_mul_f32_e32 v146, v135, v8
	s_waitcnt vmcnt(30)
	v_mul_f32_e32 v147, v137, v110
	v_fma_f32 v8, v135, v3, -v2
	v_mul_f32_e32 v2, v138, v110
	s_waitcnt vmcnt(26)
	v_fmac_f32_e32 v147, v138, v118
	v_fmac_f32_e32 v146, v136, v3
	s_waitcnt vmcnt(24) lgkmcnt(2)
	v_mul_f32_e32 v3, v142, v116
	v_fma_f32 v110, v137, v118, -v2
	v_mul_f32_e32 v118, v139, v117
	v_mul_f32_e32 v2, v140, v117
	;; [unrolled: 1-line block ×3, first 2 shown]
	ds_read2_b64 v[135:138], v1 offset0:71 offset1:72
	v_fmac_f32_e32 v118, v140, v114
	v_fma_f32 v114, v139, v114, -v2
	s_waitcnt vmcnt(23) lgkmcnt(1)
	v_mul_f32_e32 v116, v4, v113
	v_mul_f32_e32 v2, v5, v113
	s_waitcnt vmcnt(22)
	v_mul_f32_e32 v113, v6, v115
	v_fmac_f32_e32 v117, v142, v112
	v_fma_f32 v112, v141, v112, -v3
	v_fmac_f32_e32 v116, v5, v111
	v_fma_f32 v111, v4, v111, -v2
	v_mul_f32_e32 v2, v7, v115
	s_waitcnt vmcnt(18)
	v_fmac_f32_e32 v113, v7, v128
	s_clause 0x1
	buffer_load_dword v7, off, s[0:3], 0 offset:244
	buffer_load_dword v115, off, s[0:3], 0 offset:252
	s_waitcnt vmcnt(18)
	v_mul_f32_e32 v3, v107, v125
	v_fma_f32 v6, v6, v128, -v2
	v_mul_f32_e32 v128, v104, v126
	v_mul_f32_e32 v2, v105, v126
	;; [unrolled: 1-line block ×3, first 2 shown]
	s_waitcnt vmcnt(17) lgkmcnt(0)
	v_mul_f32_e32 v125, v135, v124
	v_mul_f32_e32 v124, v136, v124
	v_fmac_f32_e32 v128, v105, v122
	v_fma_f32 v122, v104, v122, -v2
	s_waitcnt vmcnt(16)
	v_mul_f32_e32 v139, v137, v129
	v_mul_f32_e32 v104, v138, v129
	v_fmac_f32_e32 v126, v107, v121
	v_fma_f32 v121, v106, v121, -v3
	ds_read2_b64 v[2:5], v1 offset0:73 offset1:74
	v_fmac_f32_e32 v125, v136, v119
	v_fma_f32 v119, v135, v119, -v124
	s_waitcnt vmcnt(12)
	v_fmac_f32_e32 v139, v138, v134
	v_fma_f32 v124, v137, v134, -v104
	s_clause 0x7
	buffer_load_dword v129, off, s[0:3], 0 offset:260
	buffer_load_dword v134, off, s[0:3], 0 offset:280
	;; [unrolled: 1-line block ×8, first 2 shown]
	v_add_f32_e32 v104, 0, v153
	v_add_f32_e32 v105, 0, v155
	;; [unrolled: 1-line block ×6, first 2 shown]
	s_waitcnt vmcnt(19) lgkmcnt(0)
	v_mul_f32_e32 v153, v2, v133
	v_mul_f32_e32 v133, v3, v133
	v_add_f32_e32 v142, v104, v160
	v_add_f32_e32 v109, v105, v109
	ds_read2_b64 v[104:107], v1 offset0:75 offset1:76
	v_fmac_f32_e32 v153, v3, v131
	v_fma_f32 v131, v2, v131, -v133
	v_add_f32_e32 v142, v142, v143
	v_add_f32_e32 v108, v109, v108
	s_waitcnt vmcnt(18)
	v_mul_f32_e32 v143, v4, v132
	v_mul_f32_e32 v109, v5, v132
	v_add_f32_e32 v3, v142, v144
	v_add_f32_e32 v108, v108, v145
	v_fmac_f32_e32 v143, v5, v130
	v_fma_f32 v130, v4, v130, -v109
	v_add_f32_e32 v2, v3, v146
	v_add_f32_e32 v3, v108, v8
	s_clause 0x7
	buffer_load_dword v8, off, s[0:3], 0 offset:292
	buffer_load_dword v132, off, s[0:3], 0 offset:300
	;; [unrolled: 1-line block ×8, first 2 shown]
	v_add_f32_e32 v2, v2, v147
	v_add_f32_e32 v3, v3, v110
	s_waitcnt vmcnt(25) lgkmcnt(0)
	v_mul_f32_e32 v156, v104, v127
	v_mul_f32_e32 v4, v105, v127
	s_clause 0x3
	buffer_load_dword v127, off, s[0:3], 0 offset:324
	buffer_load_dword v147, off, s[0:3], 0 offset:332
	;; [unrolled: 1-line block ×4, first 2 shown]
	v_add_f32_e32 v2, v2, v118
	s_clause 0x1
	buffer_load_dword v159, off, s[0:3], 0 offset:356
	buffer_load_dword v160, off, s[0:3], 0 offset:364
	v_fmac_f32_e32 v156, v105, v120
	v_fma_f32 v120, v104, v120, -v4
	v_add_f32_e32 v104, v3, v114
	s_waitcnt vmcnt(30)
	v_mul_f32_e32 v3, v107, v123
	v_mul_f32_e32 v118, v106, v123
	v_add_f32_e32 v105, v2, v117
	buffer_load_dword v161, off, s[0:3], 0 offset:372
	v_add_f32_e32 v104, v104, v112
	s_waitcnt vmcnt(27)
	v_fma_f32 v117, v106, v151, -v3
	ds_read2_b64 v[2:5], v1 offset0:77 offset1:78
	v_fmac_f32_e32 v118, v107, v151
	v_add_f32_e32 v105, v105, v116
	s_clause 0x3
	buffer_load_dword v151, off, s[0:3], 0 offset:344
	buffer_load_dword v162, off, s[0:3], 0 offset:336
	;; [unrolled: 1-line block ×4, first 2 shown]
	v_add_f32_e32 v104, v104, v111
	v_add_f32_e32 v105, v105, v113
	v_add_f32_e32 v6, v104, v6
	v_add_f32_e32 v108, v105, v128
	ds_read2_b64 v[104:107], v1 offset0:79 offset1:80
	v_add_f32_e32 v6, v6, v122
	v_add_f32_e32 v108, v108, v126
	s_waitcnt vmcnt(30) lgkmcnt(1)
	v_mul_f32_e32 v116, v2, v152
	v_mul_f32_e32 v109, v3, v152
	v_fmac_f32_e32 v116, v3, v150
	v_fma_f32 v122, v2, v150, -v109
	v_add_f32_e32 v2, v6, v121
	v_add_f32_e32 v3, v108, v125
	s_clause 0x3
	buffer_load_dword v6, off, s[0:3], 0 offset:368
	buffer_load_dword v125, off, s[0:3], 0 offset:360
	;; [unrolled: 1-line block ×4, first 2 shown]
	v_add_f32_e32 v2, v2, v119
	v_add_f32_e32 v3, v3, v139
	;; [unrolled: 1-line block ×6, first 2 shown]
	ds_read2_b64 v[108:111], v1 offset0:83 offset1:84
	v_add_f32_e32 v113, v113, v130
	v_add_f32_e32 v123, v112, v156
	;; [unrolled: 1-line block ×6, first 2 shown]
	s_waitcnt vmcnt(32)
	v_mul_f32_e32 v119, v4, v7
	v_mul_f32_e32 v7, v5, v7
	s_waitcnt vmcnt(31) lgkmcnt(1)
	v_mul_f32_e32 v121, v104, v115
	v_mul_f32_e32 v114, v105, v115
	v_fmac_f32_e32 v119, v5, v149
	v_fma_f32 v7, v4, v149, -v7
	ds_read2_b64 v[2:5], v1 offset0:81 offset1:82
	v_fmac_f32_e32 v121, v105, v148
	s_waitcnt vmcnt(30)
	v_mul_f32_e32 v124, v106, v129
	v_mul_f32_e32 v115, v107, v129
	v_fma_f32 v129, v104, v148, -v114
	s_waitcnt vmcnt(26)
	v_fmac_f32_e32 v124, v107, v137
	v_fma_f32 v130, v106, v137, -v115
	ds_read2_b64 v[104:107], v1 offset0:85 offset1:86
	ds_read2_b64 v[112:115], v1 offset0:87 offset1:88
	s_waitcnt vmcnt(23) lgkmcnt(3)
	v_mul_f32_e32 v139, v109, v141
	s_waitcnt lgkmcnt(2)
	v_mul_f32_e32 v131, v2, v138
	v_mul_f32_e32 v120, v3, v138
	;; [unrolled: 1-line block ×5, first 2 shown]
	v_fmac_f32_e32 v131, v3, v136
	v_fma_f32 v136, v2, v136, -v120
	v_add_f32_e32 v120, v117, v122
	v_add_f32_e32 v122, v116, v119
	v_fmac_f32_e32 v137, v5, v135
	v_fma_f32 v135, v4, v135, -v123
	ds_read2_b64 v[2:5], v1 offset0:89 offset1:90
	ds_read2_b64 v[116:119], v1 offset0:91 offset1:92
	v_add_f32_e32 v7, v120, v7
	v_fmac_f32_e32 v138, v109, v134
	v_add_f32_e32 v109, v122, v121
	ds_read2_b64 v[120:123], v1 offset0:93 offset1:94
	v_fma_f32 v108, v108, v134, -v139
	v_add_f32_e32 v1, v7, v129
	v_add_f32_e32 v109, v109, v124
	s_waitcnt vmcnt(22)
	v_mul_f32_e32 v7, v110, v8
	v_add_f32_e32 v1, v1, v130
	v_mul_f32_e32 v8, v111, v8
	v_add_f32_e32 v109, v109, v131
	s_waitcnt vmcnt(21) lgkmcnt(4)
	v_mul_f32_e32 v130, v105, v132
	v_mul_f32_e32 v124, v104, v132
	v_add_f32_e32 v1, v1, v136
	s_waitcnt vmcnt(15)
	v_fma_f32 v8, v110, v155, -v8
	v_add_f32_e32 v109, v109, v137
	v_fmac_f32_e32 v7, v111, v155
	v_mul_f32_e32 v129, v106, v133
	v_add_f32_e32 v1, v1, v135
	v_mul_f32_e32 v133, v107, v133
	v_fma_f32 v104, v104, v146, -v130
	v_fmac_f32_e32 v124, v105, v146
	s_waitcnt lgkmcnt(3)
	v_mul_f32_e32 v110, v112, v142
	v_add_f32_e32 v1, v1, v108
	v_add_f32_e32 v108, v109, v138
	v_fma_f32 v105, v106, v145, -v133
	v_fmac_f32_e32 v129, v107, v145
	s_waitcnt vmcnt(14)
	v_mul_f32_e32 v111, v114, v127
	v_add_f32_e32 v1, v1, v8
	v_add_f32_e32 v7, v108, v7
	v_mul_f32_e32 v8, v113, v142
	v_fmac_f32_e32 v110, v113, v144
	s_waitcnt vmcnt(13) lgkmcnt(2)
	v_mul_f32_e32 v131, v2, v147
	v_add_f32_e32 v1, v1, v104
	v_add_f32_e32 v7, v7, v124
	v_mul_f32_e32 v104, v115, v127
	v_fma_f32 v8, v112, v144, -v8
	s_waitcnt vmcnt(4)
	v_fmac_f32_e32 v111, v115, v164
	v_add_f32_e32 v1, v1, v105
	v_add_f32_e32 v7, v7, v129
	v_mul_f32_e32 v105, v3, v147
	v_fma_f32 v104, v114, v164, -v104
	v_mul_f32_e32 v132, v4, v157
	v_add_f32_e32 v1, v1, v8
	v_add_f32_e32 v7, v7, v110
	v_mul_f32_e32 v8, v5, v157
	v_fma_f32 v2, v2, v163, -v105
	v_fmac_f32_e32 v131, v3, v163
	v_add_f32_e32 v1, v1, v104
	v_add_f32_e32 v3, v7, v111
	s_waitcnt lgkmcnt(1)
	v_mul_f32_e32 v7, v117, v158
	v_fma_f32 v4, v4, v162, -v8
	v_mul_f32_e32 v134, v116, v158
	v_add_f32_e32 v1, v1, v2
	v_fmac_f32_e32 v132, v5, v162
	v_add_f32_e32 v2, v3, v131
	v_mul_f32_e32 v3, v119, v159
	v_fma_f32 v5, v116, v151, -v7
	v_add_f32_e32 v1, v1, v4
	v_mul_f32_e32 v135, v118, v159
	v_fmac_f32_e32 v134, v117, v151
	v_add_f32_e32 v2, v2, v132
	s_waitcnt lgkmcnt(0)
	v_mul_f32_e32 v4, v121, v160
	s_waitcnt vmcnt(1)
	v_fma_f32 v3, v118, v126, -v3
	v_add_f32_e32 v1, v1, v5
	v_mul_f32_e32 v136, v120, v160
	v_fmac_f32_e32 v135, v119, v126
	v_add_f32_e32 v2, v2, v134
	v_mul_f32_e32 v5, v123, v161
	v_fma_f32 v4, v120, v125, -v4
	v_add_f32_e32 v1, v1, v3
	v_mul_f32_e32 v109, v122, v161
	v_fmac_f32_e32 v136, v121, v125
	v_add_f32_e32 v2, v2, v135
	v_fma_f32 v3, v122, v6, -v5
	v_add_f32_e32 v1, v1, v4
	v_fmac_f32_e32 v109, v123, v6
	v_add_f32_e32 v2, v2, v136
	v_add_f32_e32 v1, v1, v3
	v_add_f32_e32 v2, v2, v109
	s_waitcnt vmcnt(0)
	v_sub_f32_e32 v1, v128, v1
	v_sub_f32_e32 v2, v154, v2
	buffer_store_dword v1, off, s[0:3], 0 offset:64
	buffer_store_dword v2, off, s[0:3], 0 offset:68
	v_cmpx_lt_u32_e32 7, v0
	s_cbranch_execz .LBB46_281
; %bb.280:
	s_clause 0x1
	buffer_load_dword v1, off, s[0:3], 0 offset:56
	buffer_load_dword v2, off, s[0:3], 0 offset:60
	v_mov_b32_e32 v3, 0
	buffer_store_dword v3, off, s[0:3], 0 offset:56
	buffer_store_dword v3, off, s[0:3], 0 offset:60
	s_waitcnt vmcnt(0)
	ds_write_b64 v103, v[1:2]
.LBB46_281:
	s_or_b32 exec_lo, exec_lo, s4
	s_waitcnt lgkmcnt(0)
	s_waitcnt_vscnt null, 0x0
	s_barrier
	buffer_gl0_inv
	s_clause 0x2c
	buffer_load_dword v6, off, s[0:3], 0 offset:68
	buffer_load_dword v7, off, s[0:3], 0 offset:76
	;; [unrolled: 1-line block ×45, first 2 shown]
	v_mov_b32_e32 v1, 0
	ds_read_b128 v[2:5], v1 offset:448
	ds_read_b128 v[104:107], v1 offset:464
	s_clause 0x2
	buffer_load_dword v152, off, s[0:3], 0 offset:60
	buffer_load_dword v153, off, s[0:3], 0 offset:244
	;; [unrolled: 1-line block ×3, first 2 shown]
	s_mov_b32 s4, exec_lo
	s_waitcnt vmcnt(47) lgkmcnt(1)
	v_mul_f32_e32 v150, v3, v6
	v_mul_f32_e32 v6, v2, v6
	s_waitcnt vmcnt(46)
	v_mul_f32_e32 v151, v4, v7
	v_mul_f32_e32 v7, v5, v7
	s_waitcnt vmcnt(43)
	v_fma_f32 v150, v2, v109, -v150
	v_fmac_f32_e32 v6, v3, v109
	v_fmac_f32_e32 v151, v5, v108
	v_fma_f32 v7, v4, v108, -v7
	ds_read_b128 v[2:5], v1 offset:480
	s_waitcnt vmcnt(42) lgkmcnt(1)
	v_mul_f32_e32 v108, v104, v110
	v_mul_f32_e32 v109, v105, v110
	s_waitcnt vmcnt(41)
	v_mul_f32_e32 v110, v106, v111
	v_mul_f32_e32 v111, v107, v111
	v_fmac_f32_e32 v108, v105, v8
	v_fma_f32 v8, v104, v8, -v109
	s_waitcnt vmcnt(37)
	v_fmac_f32_e32 v110, v107, v115
	v_fma_f32 v109, v106, v115, -v111
	ds_read_b128 v[104:107], v1 offset:496
	s_waitcnt vmcnt(36) lgkmcnt(1)
	v_mul_f32_e32 v111, v2, v116
	v_mul_f32_e32 v115, v3, v116
	s_waitcnt vmcnt(35)
	v_mul_f32_e32 v116, v4, v117
	v_mul_f32_e32 v117, v5, v117
	v_fmac_f32_e32 v111, v3, v114
	v_fma_f32 v114, v2, v114, -v115
	v_fmac_f32_e32 v116, v5, v113
	v_fma_f32 v113, v4, v113, -v117
	ds_read_b128 v[2:5], v1 offset:512
	s_waitcnt vmcnt(34) lgkmcnt(1)
	v_mul_f32_e32 v115, v104, v118
	v_mul_f32_e32 v117, v105, v118
	s_waitcnt vmcnt(33)
	v_mul_f32_e32 v118, v106, v119
	v_mul_f32_e32 v119, v107, v119
	v_fmac_f32_e32 v115, v105, v112
	v_fma_f32 v112, v104, v112, -v117
	s_waitcnt vmcnt(29)
	v_fmac_f32_e32 v118, v107, v123
	v_fma_f32 v117, v106, v123, -v119
	ds_read_b128 v[104:107], v1 offset:528
	s_waitcnt vmcnt(28) lgkmcnt(1)
	v_mul_f32_e32 v119, v2, v124
	v_mul_f32_e32 v123, v3, v124
	s_waitcnt vmcnt(27)
	v_mul_f32_e32 v124, v4, v125
	v_mul_f32_e32 v125, v5, v125
	v_fmac_f32_e32 v119, v3, v122
	v_fma_f32 v122, v2, v122, -v123
	v_fmac_f32_e32 v124, v5, v121
	v_fma_f32 v121, v4, v121, -v125
	ds_read_b128 v[2:5], v1 offset:544
	s_waitcnt vmcnt(26) lgkmcnt(1)
	v_mul_f32_e32 v123, v104, v126
	v_mul_f32_e32 v125, v105, v126
	s_waitcnt vmcnt(25)
	v_mul_f32_e32 v126, v106, v127
	v_mul_f32_e32 v127, v107, v127
	v_fmac_f32_e32 v123, v105, v120
	v_fma_f32 v120, v104, v120, -v125
	s_waitcnt vmcnt(21)
	v_fmac_f32_e32 v126, v107, v131
	v_fma_f32 v125, v106, v131, -v127
	ds_read_b128 v[104:107], v1 offset:560
	s_waitcnt vmcnt(20) lgkmcnt(1)
	v_mul_f32_e32 v127, v2, v132
	v_mul_f32_e32 v131, v3, v132
	s_waitcnt vmcnt(19)
	v_mul_f32_e32 v132, v4, v133
	v_mul_f32_e32 v133, v5, v133
	v_fmac_f32_e32 v127, v3, v130
	v_fma_f32 v130, v2, v130, -v131
	v_fmac_f32_e32 v132, v5, v129
	v_fma_f32 v129, v4, v129, -v133
	ds_read_b128 v[2:5], v1 offset:576
	s_waitcnt vmcnt(18) lgkmcnt(1)
	v_mul_f32_e32 v131, v104, v134
	v_mul_f32_e32 v133, v105, v134
	s_waitcnt vmcnt(17)
	v_mul_f32_e32 v134, v106, v135
	v_mul_f32_e32 v135, v107, v135
	v_fmac_f32_e32 v131, v105, v128
	v_fma_f32 v128, v104, v128, -v133
	s_waitcnt vmcnt(13)
	v_fmac_f32_e32 v134, v107, v139
	v_fma_f32 v133, v106, v139, -v135
	ds_read_b128 v[104:107], v1 offset:592
	s_waitcnt vmcnt(12) lgkmcnt(1)
	v_mul_f32_e32 v135, v2, v140
	v_mul_f32_e32 v139, v3, v140
	s_waitcnt vmcnt(11)
	v_mul_f32_e32 v140, v4, v141
	v_mul_f32_e32 v141, v5, v141
	v_fmac_f32_e32 v135, v3, v138
	v_fma_f32 v138, v2, v138, -v139
	v_fmac_f32_e32 v140, v5, v137
	v_fma_f32 v137, v4, v137, -v141
	ds_read_b128 v[2:5], v1 offset:608
	s_waitcnt vmcnt(10) lgkmcnt(1)
	v_mul_f32_e32 v139, v104, v142
	v_mul_f32_e32 v141, v105, v142
	s_waitcnt vmcnt(9)
	v_mul_f32_e32 v142, v106, v143
	v_mul_f32_e32 v143, v107, v143
	v_fmac_f32_e32 v139, v105, v136
	v_fma_f32 v136, v104, v136, -v141
	s_waitcnt vmcnt(5)
	v_fmac_f32_e32 v142, v107, v147
	v_fma_f32 v141, v106, v147, -v143
	ds_read_b128 v[104:107], v1 offset:624
	s_waitcnt vmcnt(4) lgkmcnt(1)
	v_mul_f32_e32 v143, v2, v148
	v_mul_f32_e32 v147, v3, v148
	s_waitcnt vmcnt(3)
	v_mul_f32_e32 v148, v4, v149
	v_mul_f32_e32 v149, v5, v149
	v_fmac_f32_e32 v143, v3, v146
	v_fma_f32 v146, v2, v146, -v147
	v_fmac_f32_e32 v148, v5, v145
	v_fma_f32 v145, v4, v145, -v149
	s_clause 0x3
	buffer_load_dword v147, off, s[0:3], 0 offset:272
	buffer_load_dword v149, off, s[0:3], 0 offset:264
	;; [unrolled: 1-line block ×4, first 2 shown]
	s_waitcnt vmcnt(5) lgkmcnt(0)
	v_mul_f32_e32 v156, v104, v153
	v_mul_f32_e32 v3, v105, v153
	s_waitcnt vmcnt(4)
	v_mul_f32_e32 v153, v106, v154
	v_mul_f32_e32 v4, v107, v154
	s_clause 0x1
	buffer_load_dword v154, off, s[0:3], 0 offset:260
	buffer_load_dword v158, off, s[0:3], 0 offset:268
	v_fmac_f32_e32 v156, v105, v144
	v_fma_f32 v144, v104, v144, -v3
	v_add_f32_e32 v3, 0, v6
	buffer_load_dword v6, off, s[0:3], 0 offset:284
	v_add_f32_e32 v3, v3, v151
	v_add_f32_e32 v3, v3, v108
	;; [unrolled: 1-line block ×17, first 2 shown]
	s_waitcnt vmcnt(3)
	v_fmac_f32_e32 v153, v107, v2
	v_fma_f32 v157, v106, v2, -v4
	v_add_f32_e32 v2, 0, v150
	buffer_load_dword v150, off, s[0:3], 0 offset:276
	v_add_f32_e32 v2, v2, v7
	v_add_f32_e32 v2, v2, v8
	s_clause 0xa
	buffer_load_dword v8, off, s[0:3], 0 offset:304
	buffer_load_dword v151, off, s[0:3], 0 offset:296
	;; [unrolled: 1-line block ×11, first 2 shown]
	v_add_f32_e32 v2, v2, v109
	s_clause 0x3
	buffer_load_dword v167, off, s[0:3], 0 offset:348
	buffer_load_dword v168, off, s[0:3], 0 offset:356
	;; [unrolled: 1-line block ×4, first 2 shown]
	v_add_f32_e32 v2, v2, v114
	v_add_f32_e32 v2, v2, v113
	;; [unrolled: 1-line block ×9, first 2 shown]
	s_clause 0x3
	buffer_load_dword v121, off, s[0:3], 0 offset:336
	buffer_load_dword v122, off, s[0:3], 0 offset:328
	;; [unrolled: 1-line block ×4, first 2 shown]
	v_add_f32_e32 v2, v2, v120
	v_add_f32_e32 v2, v2, v125
	s_clause 0x4
	buffer_load_dword v120, off, s[0:3], 0 offset:368
	buffer_load_dword v123, off, s[0:3], 0 offset:360
	;; [unrolled: 1-line block ×5, first 2 shown]
	v_add_f32_e32 v2, v2, v130
	v_add_f32_e32 v104, v2, v129
	ds_read_b128 v[2:5], v1 offset:640
	v_add_f32_e32 v104, v104, v128
	v_add_f32_e32 v104, v104, v133
	;; [unrolled: 1-line block ×3, first 2 shown]
	ds_read_b128 v[104:107], v1 offset:656
	v_add_f32_e32 v109, v109, v137
	s_waitcnt vmcnt(27) lgkmcnt(1)
	v_mul_f32_e32 v127, v2, v154
	v_mul_f32_e32 v110, v3, v154
	s_waitcnt vmcnt(26)
	v_mul_f32_e32 v128, v4, v158
	v_mul_f32_e32 v111, v5, v158
	v_fmac_f32_e32 v127, v3, v155
	v_add_f32_e32 v3, v109, v136
	v_fma_f32 v129, v2, v155, -v110
	v_fmac_f32_e32 v128, v5, v149
	v_fma_f32 v130, v4, v149, -v111
	v_add_f32_e32 v116, v3, v141
	ds_read_b128 v[2:5], v1 offset:672
	ds_read_b128 v[108:111], v1 offset:688
	;; [unrolled: 1-line block ×3, first 2 shown]
	s_waitcnt vmcnt(25) lgkmcnt(3)
	v_mul_f32_e32 v132, v106, v6
	v_add_f32_e32 v116, v116, v146
	v_mul_f32_e32 v6, v107, v6
	v_add_f32_e32 v116, v116, v145
	s_waitcnt vmcnt(24)
	v_mul_f32_e32 v118, v105, v150
	v_mul_f32_e32 v131, v104, v150
	v_fma_f32 v133, v104, v147, -v118
	v_add_f32_e32 v104, v117, v148
	v_fmac_f32_e32 v131, v105, v147
	v_add_f32_e32 v105, v116, v144
	ds_read_b128 v[116:119], v1 offset:720
	s_waitcnt vmcnt(20)
	v_fma_f32 v134, v106, v7, -v6
	v_add_f32_e32 v135, v104, v156
	v_fmac_f32_e32 v132, v107, v7
	v_add_f32_e32 v136, v105, v157
	s_waitcnt vmcnt(19) lgkmcnt(3)
	v_mul_f32_e32 v137, v2, v160
	s_waitcnt vmcnt(18)
	v_mul_f32_e32 v139, v5, v161
	v_add_f32_e32 v135, v135, v153
	v_mul_f32_e32 v138, v4, v161
	v_add_f32_e32 v129, v136, v129
	v_mul_f32_e32 v136, v3, v160
	v_fmac_f32_e32 v137, v3, v159
	v_add_f32_e32 v127, v135, v127
	s_waitcnt vmcnt(17) lgkmcnt(2)
	v_mul_f32_e32 v135, v108, v162
	v_add_f32_e32 v129, v129, v130
	v_fma_f32 v2, v2, v159, -v136
	v_mul_f32_e32 v136, v109, v162
	v_add_f32_e32 v127, v127, v128
	v_fma_f32 v4, v4, v151, -v139
	v_add_f32_e32 v129, v129, v133
	v_fmac_f32_e32 v138, v5, v151
	v_fmac_f32_e32 v135, v109, v8
	v_add_f32_e32 v127, v127, v131
	v_fma_f32 v8, v108, v8, -v136
	v_add_f32_e32 v129, v129, v134
	s_waitcnt vmcnt(16)
	v_mul_f32_e32 v130, v110, v163
	ds_read_b128 v[104:107], v1 offset:736
	ds_read_b64 v[6:7], v1 offset:752
	v_add_f32_e32 v127, v127, v132
	s_waitcnt vmcnt(15) lgkmcnt(3)
	v_mul_f32_e32 v140, v112, v164
	v_add_f32_e32 v2, v129, v2
	s_waitcnt vmcnt(14)
	v_mul_f32_e32 v128, v114, v165
	s_waitcnt vmcnt(13) lgkmcnt(2)
	v_mul_f32_e32 v133, v116, v166
	v_add_f32_e32 v5, v127, v137
	v_mul_f32_e32 v127, v111, v163
	v_add_f32_e32 v2, v2, v4
	s_waitcnt vmcnt(6)
	v_fmac_f32_e32 v140, v113, v171
	s_waitcnt vmcnt(5)
	v_fmac_f32_e32 v130, v111, v172
	v_add_f32_e32 v4, v5, v138
	v_mul_f32_e32 v5, v113, v164
	v_fma_f32 v108, v110, v172, -v127
	v_add_f32_e32 v2, v2, v8
	v_mul_f32_e32 v8, v115, v165
	v_add_f32_e32 v4, v4, v135
	v_fma_f32 v5, v112, v171, -v5
	v_fmac_f32_e32 v128, v115, v122
	v_add_f32_e32 v2, v2, v108
	v_mul_f32_e32 v108, v117, v166
	v_add_f32_e32 v4, v4, v130
	v_fma_f32 v8, v114, v122, -v8
	v_mul_f32_e32 v3, v118, v167
	v_add_f32_e32 v2, v2, v5
	v_mul_f32_e32 v5, v119, v167
	v_add_f32_e32 v4, v4, v140
	v_fma_f32 v108, v116, v121, -v108
	v_fmac_f32_e32 v133, v117, v121
	v_add_f32_e32 v2, v2, v8
	s_waitcnt lgkmcnt(1)
	v_mul_f32_e32 v8, v105, v168
	v_add_f32_e32 v4, v4, v128
	s_waitcnt vmcnt(1)
	v_fma_f32 v5, v118, v125, -v5
	v_mul_f32_e32 v131, v104, v168
	v_add_f32_e32 v2, v2, v108
	v_fmac_f32_e32 v3, v119, v125
	v_add_f32_e32 v4, v4, v133
	v_mul_f32_e32 v108, v107, v169
	v_fma_f32 v8, v104, v124, -v8
	v_add_f32_e32 v2, v2, v5
	v_mul_f32_e32 v134, v106, v169
	v_fmac_f32_e32 v131, v105, v124
	v_add_f32_e32 v3, v4, v3
	s_waitcnt lgkmcnt(0)
	v_mul_f32_e32 v4, v7, v170
	v_fma_f32 v5, v106, v123, -v108
	v_add_f32_e32 v2, v2, v8
	v_mul_f32_e32 v132, v6, v170
	v_fmac_f32_e32 v134, v107, v123
	v_add_f32_e32 v3, v3, v131
	v_fma_f32 v4, v6, v120, -v4
	v_add_f32_e32 v2, v2, v5
	v_fmac_f32_e32 v132, v7, v120
	v_add_f32_e32 v3, v3, v134
	v_add_f32_e32 v2, v2, v4
	;; [unrolled: 1-line block ×3, first 2 shown]
	s_waitcnt vmcnt(0)
	v_sub_f32_e32 v2, v126, v2
	v_sub_f32_e32 v3, v152, v3
	buffer_store_dword v2, off, s[0:3], 0 offset:56
	buffer_store_dword v3, off, s[0:3], 0 offset:60
	v_cmpx_lt_u32_e32 6, v0
	s_cbranch_execz .LBB46_283
; %bb.282:
	s_clause 0x1
	buffer_load_dword v2, off, s[0:3], 0 offset:48
	buffer_load_dword v3, off, s[0:3], 0 offset:52
	buffer_store_dword v1, off, s[0:3], 0 offset:48
	buffer_store_dword v1, off, s[0:3], 0 offset:52
	s_waitcnt vmcnt(0)
	ds_write_b64 v103, v[2:3]
.LBB46_283:
	s_or_b32 exec_lo, exec_lo, s4
	s_waitcnt lgkmcnt(0)
	s_waitcnt_vscnt null, 0x0
	s_barrier
	buffer_gl0_inv
	s_clause 0x2c
	buffer_load_dword v6, off, s[0:3], 0 offset:60
	buffer_load_dword v7, off, s[0:3], 0 offset:68
	buffer_load_dword v8, off, s[0:3], 0 offset:72
	buffer_load_dword v108, off, s[0:3], 0 offset:64
	buffer_load_dword v109, off, s[0:3], 0 offset:56
	buffer_load_dword v110, off, s[0:3], 0 offset:76
	buffer_load_dword v111, off, s[0:3], 0 offset:84
	buffer_load_dword v112, off, s[0:3], 0 offset:104
	buffer_load_dword v113, off, s[0:3], 0 offset:96
	buffer_load_dword v114, off, s[0:3], 0 offset:88
	buffer_load_dword v115, off, s[0:3], 0 offset:80
	buffer_load_dword v116, off, s[0:3], 0 offset:92
	buffer_load_dword v117, off, s[0:3], 0 offset:100
	buffer_load_dword v118, off, s[0:3], 0 offset:108
	buffer_load_dword v119, off, s[0:3], 0 offset:116
	buffer_load_dword v120, off, s[0:3], 0 offset:136
	buffer_load_dword v121, off, s[0:3], 0 offset:128
	buffer_load_dword v122, off, s[0:3], 0 offset:120
	buffer_load_dword v123, off, s[0:3], 0 offset:112
	buffer_load_dword v124, off, s[0:3], 0 offset:124
	buffer_load_dword v125, off, s[0:3], 0 offset:132
	buffer_load_dword v126, off, s[0:3], 0 offset:140
	buffer_load_dword v127, off, s[0:3], 0 offset:148
	buffer_load_dword v128, off, s[0:3], 0 offset:168
	buffer_load_dword v129, off, s[0:3], 0 offset:160
	buffer_load_dword v130, off, s[0:3], 0 offset:152
	buffer_load_dword v131, off, s[0:3], 0 offset:144
	buffer_load_dword v132, off, s[0:3], 0 offset:156
	buffer_load_dword v133, off, s[0:3], 0 offset:164
	buffer_load_dword v134, off, s[0:3], 0 offset:172
	buffer_load_dword v135, off, s[0:3], 0 offset:180
	buffer_load_dword v136, off, s[0:3], 0 offset:200
	buffer_load_dword v137, off, s[0:3], 0 offset:192
	buffer_load_dword v138, off, s[0:3], 0 offset:184
	buffer_load_dword v139, off, s[0:3], 0 offset:176
	buffer_load_dword v140, off, s[0:3], 0 offset:188
	buffer_load_dword v141, off, s[0:3], 0 offset:196
	buffer_load_dword v142, off, s[0:3], 0 offset:204
	buffer_load_dword v143, off, s[0:3], 0 offset:212
	buffer_load_dword v144, off, s[0:3], 0 offset:232
	buffer_load_dword v145, off, s[0:3], 0 offset:224
	buffer_load_dword v146, off, s[0:3], 0 offset:216
	buffer_load_dword v147, off, s[0:3], 0 offset:208
	buffer_load_dword v148, off, s[0:3], 0 offset:220
	buffer_load_dword v149, off, s[0:3], 0 offset:228
	ds_read2_b64 v[2:5], v1 offset0:55 offset1:56
	ds_read2_b64 v[104:107], v1 offset0:57 offset1:58
	s_clause 0x2
	buffer_load_dword v152, off, s[0:3], 0 offset:52
	buffer_load_dword v153, off, s[0:3], 0 offset:236
	;; [unrolled: 1-line block ×3, first 2 shown]
	s_mov_b32 s4, exec_lo
	s_waitcnt vmcnt(47) lgkmcnt(1)
	v_mul_f32_e32 v150, v3, v6
	v_mul_f32_e32 v6, v2, v6
	s_waitcnt vmcnt(46)
	v_mul_f32_e32 v151, v4, v7
	v_mul_f32_e32 v7, v5, v7
	s_waitcnt vmcnt(43)
	v_fma_f32 v150, v2, v109, -v150
	v_fmac_f32_e32 v6, v3, v109
	v_fmac_f32_e32 v151, v5, v108
	v_fma_f32 v7, v4, v108, -v7
	ds_read2_b64 v[2:5], v1 offset0:59 offset1:60
	s_waitcnt vmcnt(42) lgkmcnt(1)
	v_mul_f32_e32 v108, v104, v110
	v_mul_f32_e32 v109, v105, v110
	s_waitcnt vmcnt(41)
	v_mul_f32_e32 v110, v106, v111
	v_mul_f32_e32 v111, v107, v111
	v_fmac_f32_e32 v108, v105, v8
	v_fma_f32 v8, v104, v8, -v109
	s_waitcnt vmcnt(37)
	v_fmac_f32_e32 v110, v107, v115
	v_fma_f32 v109, v106, v115, -v111
	ds_read2_b64 v[104:107], v1 offset0:61 offset1:62
	s_waitcnt vmcnt(36) lgkmcnt(1)
	v_mul_f32_e32 v111, v2, v116
	v_mul_f32_e32 v115, v3, v116
	s_waitcnt vmcnt(35)
	v_mul_f32_e32 v116, v4, v117
	v_mul_f32_e32 v117, v5, v117
	v_fmac_f32_e32 v111, v3, v114
	v_fma_f32 v114, v2, v114, -v115
	v_fmac_f32_e32 v116, v5, v113
	v_fma_f32 v113, v4, v113, -v117
	ds_read2_b64 v[2:5], v1 offset0:63 offset1:64
	s_waitcnt vmcnt(34) lgkmcnt(1)
	v_mul_f32_e32 v115, v104, v118
	v_mul_f32_e32 v117, v105, v118
	s_waitcnt vmcnt(33)
	v_mul_f32_e32 v118, v106, v119
	v_mul_f32_e32 v119, v107, v119
	v_fmac_f32_e32 v115, v105, v112
	v_fma_f32 v112, v104, v112, -v117
	s_waitcnt vmcnt(29)
	v_fmac_f32_e32 v118, v107, v123
	v_fma_f32 v117, v106, v123, -v119
	ds_read2_b64 v[104:107], v1 offset0:65 offset1:66
	s_waitcnt vmcnt(28) lgkmcnt(1)
	v_mul_f32_e32 v119, v2, v124
	v_mul_f32_e32 v123, v3, v124
	s_waitcnt vmcnt(27)
	v_mul_f32_e32 v124, v4, v125
	v_mul_f32_e32 v125, v5, v125
	v_fmac_f32_e32 v119, v3, v122
	v_fma_f32 v122, v2, v122, -v123
	;; [unrolled: 23-line block ×5, first 2 shown]
	v_fmac_f32_e32 v148, v5, v145
	v_fma_f32 v145, v4, v145, -v149
	s_clause 0x5
	buffer_load_dword v147, off, s[0:3], 0 offset:264
	buffer_load_dword v149, off, s[0:3], 0 offset:256
	;; [unrolled: 1-line block ×6, first 2 shown]
	v_add_f32_e32 v4, 0, v6
	buffer_load_dword v6, off, s[0:3], 0 offset:268
	v_add_f32_e32 v3, 0, v150
	s_waitcnt vmcnt(8) lgkmcnt(0)
	v_mul_f32_e32 v5, v105, v153
	s_waitcnt vmcnt(7)
	v_mul_f32_e32 v160, v106, v154
	v_add_f32_e32 v4, v4, v151
	v_add_f32_e32 v3, v3, v7
	v_mul_f32_e32 v7, v104, v153
	v_add_f32_e32 v4, v4, v108
	v_add_f32_e32 v3, v3, v8
	s_clause 0x7
	buffer_load_dword v8, off, s[0:3], 0 offset:276
	buffer_load_dword v150, off, s[0:3], 0 offset:296
	;; [unrolled: 1-line block ×8, first 2 shown]
	v_add_f32_e32 v3, v3, v109
	v_add_f32_e32 v4, v4, v110
	v_fmac_f32_e32 v7, v105, v144
	v_fma_f32 v144, v104, v144, -v5
	v_mul_f32_e32 v5, v107, v154
	v_add_f32_e32 v3, v3, v114
	v_add_f32_e32 v4, v4, v111
	s_clause 0x7
	buffer_load_dword v154, off, s[0:3], 0 offset:292
	buffer_load_dword v163, off, s[0:3], 0 offset:316
	buffer_load_dword v164, off, s[0:3], 0 offset:324
	buffer_load_dword v165, off, s[0:3], 0 offset:332
	buffer_load_dword v166, off, s[0:3], 0 offset:340
	buffer_load_dword v167, off, s[0:3], 0 offset:348
	buffer_load_dword v168, off, s[0:3], 0 offset:356
	buffer_load_dword v169, off, s[0:3], 0 offset:364
	v_add_f32_e32 v3, v3, v113
	v_add_f32_e32 v4, v4, v116
	buffer_load_dword v170, off, s[0:3], 0 offset:372
	s_waitcnt vmcnt(20)
	v_fmac_f32_e32 v160, v107, v2
	v_fma_f32 v116, v106, v2, -v5
	v_add_f32_e32 v2, v3, v112
	v_add_f32_e32 v3, v4, v115
	;; [unrolled: 1-line block ×8, first 2 shown]
	s_clause 0x3
	buffer_load_dword v124, off, s[0:3], 0 offset:328
	buffer_load_dword v171, off, s[0:3], 0 offset:320
	;; [unrolled: 1-line block ×4, first 2 shown]
	v_add_f32_e32 v2, v2, v120
	v_add_f32_e32 v3, v3, v123
	v_add_f32_e32 v2, v2, v125
	v_add_f32_e32 v3, v3, v126
	s_clause 0x3
	buffer_load_dword v125, off, s[0:3], 0 offset:360
	buffer_load_dword v126, off, s[0:3], 0 offset:352
	;; [unrolled: 1-line block ×4, first 2 shown]
	v_add_f32_e32 v2, v2, v130
	buffer_load_dword v130, off, s[0:3], 0 offset:368
	v_add_f32_e32 v3, v3, v127
	buffer_load_dword v127, off, s[0:3], 0 offset:48
	v_add_f32_e32 v2, v2, v129
	v_add_f32_e32 v3, v3, v132
	v_add_f32_e32 v104, v2, v128
	v_add_f32_e32 v105, v3, v131
	ds_read2_b64 v[2:5], v1 offset0:79 offset1:80
	v_add_f32_e32 v104, v104, v133
	v_add_f32_e32 v105, v105, v134
	;; [unrolled: 1-line block ×4, first 2 shown]
	ds_read2_b64 v[104:107], v1 offset0:81 offset1:82
	v_add_f32_e32 v108, v108, v137
	v_add_f32_e32 v109, v109, v140
	;; [unrolled: 1-line block ×4, first 2 shown]
	s_waitcnt vmcnt(29) lgkmcnt(1)
	v_mul_f32_e32 v128, v2, v156
	v_mul_f32_e32 v110, v3, v156
	s_waitcnt vmcnt(28)
	v_mul_f32_e32 v129, v4, v157
	v_mul_f32_e32 v111, v5, v157
	v_add_f32_e32 v113, v108, v141
	v_fmac_f32_e32 v128, v3, v155
	v_fma_f32 v120, v2, v155, -v110
	v_fmac_f32_e32 v129, v5, v149
	v_fma_f32 v131, v4, v149, -v111
	ds_read2_b64 v[2:5], v1 offset0:83 offset1:84
	ds_read2_b64 v[108:111], v1 offset0:85 offset1:86
	v_add_f32_e32 v112, v112, v142
	s_waitcnt vmcnt(27) lgkmcnt(2)
	v_mul_f32_e32 v132, v104, v6
	v_add_f32_e32 v113, v113, v146
	v_mul_f32_e32 v6, v105, v6
	s_waitcnt vmcnt(26)
	v_mul_f32_e32 v133, v106, v8
	v_add_f32_e32 v112, v112, v143
	v_fmac_f32_e32 v132, v105, v147
	v_add_f32_e32 v105, v113, v145
	v_mul_f32_e32 v8, v107, v8
	v_fma_f32 v6, v104, v147, -v6
	v_add_f32_e32 v117, v112, v148
	s_waitcnt vmcnt(22)
	v_fmac_f32_e32 v133, v107, v158
	v_add_f32_e32 v118, v105, v144
	v_fma_f32 v8, v106, v158, -v8
	ds_read2_b64 v[104:107], v1 offset0:87 offset1:88
	ds_read2_b64 v[112:115], v1 offset0:89 offset1:90
	v_add_f32_e32 v7, v117, v7
	v_add_f32_e32 v122, v118, v116
	s_waitcnt vmcnt(21) lgkmcnt(3)
	v_mul_f32_e32 v134, v2, v159
	v_mul_f32_e32 v121, v3, v159
	v_add_f32_e32 v7, v7, v160
	ds_read2_b64 v[116:119], v1 offset0:91 offset1:92
	s_waitcnt vmcnt(20) lgkmcnt(3)
	v_mul_f32_e32 v135, v109, v161
	v_fmac_f32_e32 v134, v3, v153
	v_add_f32_e32 v3, v122, v120
	v_fma_f32 v2, v2, v153, -v121
	ds_read2_b64 v[120:123], v1 offset0:93 offset1:94
	v_add_f32_e32 v1, v7, v128
	s_waitcnt vmcnt(18)
	v_mul_f32_e32 v128, v5, v154
	v_add_f32_e32 v3, v3, v131
	v_mul_f32_e32 v7, v4, v154
	v_mul_f32_e32 v131, v108, v161
	v_add_f32_e32 v1, v1, v129
	v_fma_f32 v4, v4, v151, -v128
	v_add_f32_e32 v3, v3, v6
	v_fmac_f32_e32 v7, v5, v151
	v_fma_f32 v108, v108, v150, -v135
	v_add_f32_e32 v1, v1, v132
	v_mul_f32_e32 v129, v110, v162
	v_add_f32_e32 v3, v3, v8
	v_mul_f32_e32 v8, v111, v162
	v_fmac_f32_e32 v131, v109, v150
	v_add_f32_e32 v1, v1, v133
	s_waitcnt vmcnt(17) lgkmcnt(3)
	v_mul_f32_e32 v5, v104, v163
	v_add_f32_e32 v2, v3, v2
	s_waitcnt vmcnt(16)
	v_mul_f32_e32 v128, v106, v164
	s_waitcnt vmcnt(15) lgkmcnt(2)
	v_mul_f32_e32 v6, v112, v165
	v_add_f32_e32 v1, v1, v134
	s_waitcnt vmcnt(14)
	v_mul_f32_e32 v132, v114, v166
	v_add_f32_e32 v2, v2, v4
	v_mul_f32_e32 v4, v105, v163
	s_waitcnt vmcnt(13) lgkmcnt(1)
	v_mul_f32_e32 v136, v116, v167
	v_add_f32_e32 v1, v1, v7
	s_waitcnt vmcnt(12)
	v_mul_f32_e32 v133, v118, v168
	v_add_f32_e32 v2, v2, v108
	s_waitcnt vmcnt(11) lgkmcnt(0)
	v_mul_f32_e32 v137, v120, v169
	s_waitcnt vmcnt(10)
	v_mul_f32_e32 v3, v122, v170
	v_add_f32_e32 v1, v1, v131
	s_waitcnt vmcnt(9)
	v_fmac_f32_e32 v6, v113, v124
	s_waitcnt vmcnt(8)
	v_fmac_f32_e32 v128, v107, v171
	s_waitcnt vmcnt(7)
	v_fma_f32 v4, v104, v172, -v4
	s_waitcnt vmcnt(6)
	v_fma_f32 v7, v110, v173, -v8
	v_fmac_f32_e32 v129, v111, v173
	v_mul_f32_e32 v8, v107, v164
	v_fmac_f32_e32 v5, v105, v172
	v_add_f32_e32 v2, v2, v7
	v_add_f32_e32 v1, v1, v129
	v_mul_f32_e32 v7, v113, v165
	v_fma_f32 v8, v106, v171, -v8
	s_waitcnt vmcnt(3)
	v_fmac_f32_e32 v136, v117, v174
	v_add_f32_e32 v2, v2, v4
	v_add_f32_e32 v1, v1, v5
	v_mul_f32_e32 v4, v115, v166
	v_fma_f32 v5, v112, v124, -v7
	v_mul_f32_e32 v7, v117, v167
	v_add_f32_e32 v2, v2, v8
	v_add_f32_e32 v1, v1, v128
	s_waitcnt vmcnt(2)
	v_fma_f32 v4, v114, v175, -v4
	v_fmac_f32_e32 v132, v115, v175
	v_fmac_f32_e32 v133, v119, v126
	v_add_f32_e32 v2, v2, v5
	v_add_f32_e32 v1, v1, v6
	v_mul_f32_e32 v5, v119, v168
	v_fma_f32 v6, v116, v174, -v7
	v_fmac_f32_e32 v137, v121, v125
	v_add_f32_e32 v2, v2, v4
	v_add_f32_e32 v1, v1, v132
	v_mul_f32_e32 v4, v121, v169
	v_fma_f32 v5, v118, v126, -v5
	s_waitcnt vmcnt(1)
	v_fmac_f32_e32 v3, v123, v130
	v_add_f32_e32 v2, v2, v6
	v_add_f32_e32 v1, v1, v136
	v_mul_f32_e32 v6, v123, v170
	v_fma_f32 v4, v120, v125, -v4
	v_add_f32_e32 v2, v2, v5
	v_add_f32_e32 v1, v1, v133
	v_fma_f32 v5, v122, v130, -v6
	v_add_f32_e32 v2, v2, v4
	v_add_f32_e32 v1, v1, v137
	;; [unrolled: 1-line block ×4, first 2 shown]
	s_waitcnt vmcnt(0)
	v_sub_f32_e32 v2, v127, v2
	v_sub_f32_e32 v1, v152, v1
	buffer_store_dword v2, off, s[0:3], 0 offset:48
	buffer_store_dword v1, off, s[0:3], 0 offset:52
	v_cmpx_lt_u32_e32 5, v0
	s_cbranch_execz .LBB46_285
; %bb.284:
	s_clause 0x1
	buffer_load_dword v1, off, s[0:3], 0 offset:40
	buffer_load_dword v2, off, s[0:3], 0 offset:44
	v_mov_b32_e32 v3, 0
	buffer_store_dword v3, off, s[0:3], 0 offset:40
	buffer_store_dword v3, off, s[0:3], 0 offset:44
	s_waitcnt vmcnt(0)
	ds_write_b64 v103, v[1:2]
.LBB46_285:
	s_or_b32 exec_lo, exec_lo, s4
	s_waitcnt lgkmcnt(0)
	s_waitcnt_vscnt null, 0x0
	s_barrier
	buffer_gl0_inv
	s_clause 0x24
	buffer_load_dword v2, off, s[0:3], 0 offset:52
	buffer_load_dword v3, off, s[0:3], 0 offset:60
	;; [unrolled: 1-line block ×37, first 2 shown]
	v_mov_b32_e32 v1, 0
	ds_read_b128 v[112:115], v1 offset:432
	ds_read_b128 v[116:119], v1 offset:448
	ds_read_b128 v[120:123], v1 offset:464
	s_clause 0x1
	buffer_load_dword v150, off, s[0:3], 0 offset:196
	buffer_load_dword v151, off, s[0:3], 0 offset:44
	ds_read_b128 v[124:127], v1 offset:480
	s_mov_b32 s4, exec_lo
	s_waitcnt vmcnt(38) lgkmcnt(3)
	v_mul_f32_e32 v152, v113, v2
	v_mul_f32_e32 v2, v112, v2
	s_waitcnt vmcnt(37)
	v_mul_f32_e32 v153, v114, v3
	v_mul_f32_e32 v3, v115, v3
	s_waitcnt vmcnt(34)
	v_fma_f32 v152, v112, v130, -v152
	v_fmac_f32_e32 v2, v113, v130
	v_fmac_f32_e32 v153, v115, v129
	v_fma_f32 v3, v114, v129, -v3
	ds_read_b128 v[112:115], v1 offset:496
	s_waitcnt vmcnt(33) lgkmcnt(3)
	v_mul_f32_e32 v129, v116, v131
	v_mul_f32_e32 v130, v117, v131
	s_waitcnt vmcnt(32)
	v_mul_f32_e32 v131, v118, v132
	v_mul_f32_e32 v132, v119, v132
	s_waitcnt vmcnt(31) lgkmcnt(2)
	v_mul_f32_e32 v154, v120, v133
	v_fmac_f32_e32 v129, v117, v128
	v_fma_f32 v128, v116, v128, -v130
	s_waitcnt vmcnt(26)
	v_fmac_f32_e32 v131, v119, v138
	v_fma_f32 v132, v118, v138, -v132
	ds_read_b128 v[116:119], v1 offset:512
	v_mul_f32_e32 v133, v121, v133
	v_mul_f32_e32 v130, v122, v134
	;; [unrolled: 1-line block ×3, first 2 shown]
	v_fmac_f32_e32 v154, v121, v137
	s_waitcnt vmcnt(24) lgkmcnt(2)
	v_mul_f32_e32 v138, v126, v140
	v_fma_f32 v133, v120, v137, -v133
	v_fmac_f32_e32 v130, v123, v136
	v_fma_f32 v134, v122, v136, -v134
	v_mul_f32_e32 v136, v124, v139
	v_mul_f32_e32 v137, v125, v139
	;; [unrolled: 1-line block ×3, first 2 shown]
	ds_read_b128 v[120:123], v1 offset:528
	s_waitcnt vmcnt(19)
	v_fmac_f32_e32 v138, v127, v143
	v_fmac_f32_e32 v136, v125, v135
	v_fma_f32 v124, v124, v135, -v137
	v_fma_f32 v125, v126, v143, -v139
	s_clause 0x4
	buffer_load_dword v126, off, s[0:3], 0 offset:204
	buffer_load_dword v127, off, s[0:3], 0 offset:224
	;; [unrolled: 1-line block ×5, first 2 shown]
	s_waitcnt lgkmcnt(2)
	v_mul_f32_e32 v140, v112, v141
	v_mul_f32_e32 v141, v113, v141
	s_waitcnt vmcnt(23)
	v_mul_f32_e32 v143, v114, v144
	v_mul_f32_e32 v144, v115, v144
	s_waitcnt vmcnt(21) lgkmcnt(1)
	v_mul_f32_e32 v155, v118, v146
	v_fmac_f32_e32 v140, v113, v142
	v_fma_f32 v141, v112, v142, -v141
	v_mul_f32_e32 v142, v116, v145
	v_mul_f32_e32 v112, v117, v145
	buffer_load_dword v145, off, s[0:3], 0 offset:212
	v_fmac_f32_e32 v143, v115, v109
	v_fma_f32 v144, v114, v109, -v144
	v_mul_f32_e32 v109, v119, v146
	v_fmac_f32_e32 v142, v117, v8
	v_fma_f32 v8, v116, v8, -v112
	ds_read_b128 v[112:115], v1 offset:544
	s_waitcnt vmcnt(18)
	v_fmac_f32_e32 v155, v119, v147
	v_fma_f32 v146, v118, v147, -v109
	ds_read_b128 v[116:119], v1 offset:560
	s_waitcnt vmcnt(17) lgkmcnt(2)
	v_mul_f32_e32 v147, v120, v148
	v_mul_f32_e32 v109, v121, v148
	s_waitcnt vmcnt(16)
	v_mul_f32_e32 v148, v122, v149
	v_mul_f32_e32 v149, v123, v149
	v_add_f32_e32 v2, 0, v2
	v_fmac_f32_e32 v147, v121, v110
	v_fma_f32 v120, v120, v110, -v109
	v_fmac_f32_e32 v148, v123, v104
	v_fma_f32 v121, v122, v104, -v149
	s_clause 0x2
	buffer_load_dword v122, off, s[0:3], 0 offset:220
	buffer_load_dword v123, off, s[0:3], 0 offset:228
	buffer_load_dword v157, off, s[0:3], 0 offset:236
	s_waitcnt vmcnt(18) lgkmcnt(1)
	v_mul_f32_e32 v149, v112, v106
	v_mul_f32_e32 v104, v113, v106
	s_waitcnt vmcnt(17)
	v_mul_f32_e32 v156, v114, v105
	v_mul_f32_e32 v105, v115, v105
	v_fmac_f32_e32 v149, v113, v5
	v_fma_f32 v113, v112, v5, -v104
	s_waitcnt vmcnt(13)
	v_fmac_f32_e32 v156, v115, v111
	s_waitcnt vmcnt(12) lgkmcnt(0)
	v_mul_f32_e32 v115, v116, v108
	v_mul_f32_e32 v5, v117, v108
	s_waitcnt vmcnt(11)
	v_mul_f32_e32 v108, v118, v107
	v_mul_f32_e32 v104, v119, v107
	v_fma_f32 v114, v114, v111, -v105
	ds_read_b128 v[109:112], v1 offset:576
	v_fmac_f32_e32 v115, v117, v7
	v_fma_f32 v7, v116, v7, -v5
	v_fmac_f32_e32 v108, v119, v6
	v_fma_f32 v6, v118, v6, -v104
	s_clause 0x4
	buffer_load_dword v116, off, s[0:3], 0 offset:256
	buffer_load_dword v117, off, s[0:3], 0 offset:248
	;; [unrolled: 1-line block ×5, first 2 shown]
	v_add_f32_e32 v5, 0, v152
	v_add_f32_e32 v3, v5, v3
	;; [unrolled: 1-line block ×3, first 2 shown]
	s_waitcnt vmcnt(15) lgkmcnt(0)
	v_mul_f32_e32 v152, v109, v150
	v_mul_f32_e32 v104, v110, v150
	v_add_f32_e32 v105, v105, v132
	v_fmac_f32_e32 v152, v110, v4
	buffer_load_dword v110, off, s[0:3], 0 offset:252
	v_fma_f32 v109, v109, v4, -v104
	v_add_f32_e32 v104, v2, v153
	ds_read_b128 v[2:5], v1 offset:592
	v_add_f32_e32 v105, v105, v133
	v_add_f32_e32 v104, v104, v129
	buffer_load_dword v129, off, s[0:3], 0 offset:268
	v_add_f32_e32 v104, v104, v131
	v_add_f32_e32 v131, v105, v134
	;; [unrolled: 1-line block ×3, first 2 shown]
	s_waitcnt vmcnt(15)
	v_mul_f32_e32 v128, v111, v126
	v_mul_f32_e32 v106, v112, v126
	buffer_load_dword v126, off, s[0:3], 0 offset:260
	s_waitcnt vmcnt(12)
	v_fmac_f32_e32 v128, v112, v139
	v_add_f32_e32 v112, v104, v154
	v_fma_f32 v111, v111, v139, -v106
	ds_read_b128 v[104:107], v1 offset:608
	v_add_f32_e32 v112, v112, v130
	s_clause 0x3
	buffer_load_dword v130, off, s[0:3], 0 offset:288
	buffer_load_dword v131, off, s[0:3], 0 offset:280
	;; [unrolled: 1-line block ×4, first 2 shown]
	s_waitcnt vmcnt(15) lgkmcnt(1)
	v_mul_f32_e32 v132, v2, v145
	v_mul_f32_e32 v133, v3, v145
	v_fmac_f32_e32 v132, v3, v137
	v_fma_f32 v133, v2, v137, -v133
	v_add_f32_e32 v2, v112, v136
	s_clause 0x1
	buffer_load_dword v136, off, s[0:3], 0 offset:276
	buffer_load_dword v137, off, s[0:3], 0 offset:284
	v_add_f32_e32 v3, v124, v125
	buffer_load_dword v124, off, s[0:3], 0 offset:292
	v_add_f32_e32 v2, v2, v138
	v_add_f32_e32 v3, v3, v141
	;; [unrolled: 1-line block ×3, first 2 shown]
	s_waitcnt vmcnt(17)
	v_mul_f32_e32 v112, v4, v122
	v_add_f32_e32 v144, v3, v144
	v_mul_f32_e32 v122, v5, v122
	v_add_f32_e32 v125, v125, v143
	s_waitcnt vmcnt(16) lgkmcnt(0)
	v_mul_f32_e32 v143, v104, v123
	v_add_f32_e32 v8, v144, v8
	v_mul_f32_e32 v123, v105, v123
	v_fmac_f32_e32 v112, v5, v135
	v_add_f32_e32 v125, v125, v142
	v_fma_f32 v122, v4, v135, -v122
	s_clause 0x3
	buffer_load_dword v135, off, s[0:3], 0 offset:300
	buffer_load_dword v138, off, s[0:3], 0 offset:308
	;; [unrolled: 1-line block ×4, first 2 shown]
	ds_read_b128 v[2:5], v1 offset:624
	v_add_f32_e32 v8, v8, v146
	s_waitcnt vmcnt(19)
	v_mul_f32_e32 v144, v106, v157
	v_mul_f32_e32 v142, v107, v157
	v_fma_f32 v123, v104, v127, -v123
	v_add_f32_e32 v104, v125, v155
	v_add_f32_e32 v8, v8, v120
	v_fmac_f32_e32 v143, v105, v127
	s_clause 0x3
	buffer_load_dword v125, off, s[0:3], 0 offset:332
	buffer_load_dword v127, off, s[0:3], 0 offset:340
	;; [unrolled: 1-line block ×4, first 2 shown]
	v_add_f32_e32 v104, v104, v147
	v_add_f32_e32 v8, v8, v121
	s_waitcnt vmcnt(19)
	v_fmac_f32_e32 v144, v107, v119
	v_fma_f32 v119, v106, v119, -v142
	s_clause 0x5
	buffer_load_dword v142, off, s[0:3], 0 offset:364
	buffer_load_dword v120, off, s[0:3], 0 offset:320
	;; [unrolled: 1-line block ×6, first 2 shown]
	v_add_f32_e32 v121, v104, v148
	v_add_f32_e32 v8, v8, v113
	ds_read_b128 v[104:107], v1 offset:640
	s_waitcnt vmcnt(24) lgkmcnt(1)
	v_mul_f32_e32 v148, v3, v158
	v_add_f32_e32 v113, v121, v149
	v_mul_f32_e32 v121, v2, v158
	v_add_f32_e32 v8, v8, v114
	v_fmac_f32_e32 v121, v3, v118
	v_fma_f32 v118, v2, v118, -v148
	v_add_f32_e32 v3, v8, v7
	s_clause 0x3
	buffer_load_dword v8, off, s[0:3], 0 offset:352
	buffer_load_dword v148, off, s[0:3], 0 offset:344
	;; [unrolled: 1-line block ×4, first 2 shown]
	v_add_f32_e32 v2, v113, v156
	s_clause 0x2
	buffer_load_dword v156, off, s[0:3], 0 offset:368
	buffer_load_dword v157, off, s[0:3], 0 offset:360
	;; [unrolled: 1-line block ×3, first 2 shown]
	v_add_f32_e32 v3, v3, v6
	s_waitcnt vmcnt(30)
	v_mul_f32_e32 v159, v4, v110
	v_add_f32_e32 v2, v2, v115
	v_add_f32_e32 v6, v3, v109
	v_mul_f32_e32 v3, v5, v110
	v_add_f32_e32 v2, v2, v108
	v_fmac_f32_e32 v159, v5, v117
	s_waitcnt vmcnt(29) lgkmcnt(0)
	v_mul_f32_e32 v114, v107, v129
	v_add_f32_e32 v6, v6, v111
	ds_read_b128 v[108:111], v1 offset:672
	v_add_f32_e32 v7, v2, v152
	v_fma_f32 v152, v4, v117, -v3
	ds_read_b128 v[2:5], v1 offset:656
	v_add_f32_e32 v6, v6, v133
	v_add_f32_e32 v7, v7, v128
	;; [unrolled: 1-line block ×9, first 2 shown]
	s_waitcnt vmcnt(28)
	v_mul_f32_e32 v128, v104, v126
	v_mul_f32_e32 v113, v105, v126
	;; [unrolled: 1-line block ×3, first 2 shown]
	v_fmac_f32_e32 v128, v105, v116
	v_fma_f32 v129, v104, v116, -v113
	s_waitcnt vmcnt(24)
	v_fma_f32 v122, v106, v139, -v114
	v_fmac_f32_e32 v126, v107, v139
	ds_read_b128 v[104:107], v1 offset:688
	ds_read_b128 v[112:115], v1 offset:704
	s_waitcnt vmcnt(23) lgkmcnt(2)
	v_mul_f32_e32 v123, v2, v136
	v_mul_f32_e32 v116, v3, v136
	s_waitcnt vmcnt(22)
	v_mul_f32_e32 v132, v4, v137
	v_mul_f32_e32 v133, v5, v137
	s_waitcnt vmcnt(21)
	v_mul_f32_e32 v136, v108, v124
	v_fmac_f32_e32 v123, v3, v134
	v_fma_f32 v134, v2, v134, -v116
	v_add_f32_e32 v2, v7, v144
	v_fmac_f32_e32 v132, v5, v131
	v_fma_f32 v131, v4, v131, -v133
	v_add_f32_e32 v133, v6, v152
	v_mul_f32_e32 v124, v109, v124
	v_add_f32_e32 v121, v2, v121
	v_fmac_f32_e32 v136, v109, v130
	ds_read_b128 v[116:119], v1 offset:720
	ds_read_b128 v[2:5], v1 offset:736
	v_add_f32_e32 v129, v133, v129
	v_add_f32_e32 v121, v121, v159
	v_fma_f32 v108, v108, v130, -v124
	s_waitcnt vmcnt(20)
	v_mul_f32_e32 v133, v111, v135
	v_mul_f32_e32 v137, v110, v135
	v_add_f32_e32 v122, v129, v122
	v_add_f32_e32 v121, v121, v128
	s_waitcnt vmcnt(19) lgkmcnt(3)
	v_mul_f32_e32 v128, v104, v138
	v_mul_f32_e32 v130, v105, v138
	s_waitcnt vmcnt(18)
	v_mul_f32_e32 v129, v106, v140
	v_add_f32_e32 v122, v122, v134
	v_add_f32_e32 v121, v121, v126
	s_waitcnt vmcnt(17) lgkmcnt(2)
	v_mul_f32_e32 v135, v112, v141
	s_waitcnt vmcnt(16)
	v_mul_f32_e32 v126, v114, v125
	ds_read_b64 v[6:7], v1 offset:752
	v_add_f32_e32 v122, v122, v131
	v_add_f32_e32 v121, v121, v123
	s_waitcnt vmcnt(15) lgkmcnt(2)
	v_mul_f32_e32 v134, v116, v127
	s_waitcnt vmcnt(11)
	v_fmac_f32_e32 v135, v113, v120
	v_add_f32_e32 v108, v122, v108
	v_add_f32_e32 v121, v121, v132
	s_waitcnt vmcnt(8)
	v_fma_f32 v110, v110, v153, -v133
	v_fmac_f32_e32 v137, v111, v153
	v_fmac_f32_e32 v128, v105, v150
	v_fma_f32 v104, v104, v150, -v130
	v_add_f32_e32 v111, v121, v136
	v_mul_f32_e32 v121, v107, v140
	v_add_f32_e32 v105, v108, v110
	v_mul_f32_e32 v110, v113, v141
	v_fmac_f32_e32 v129, v107, v147
	v_add_f32_e32 v108, v111, v137
	v_fma_f32 v106, v106, v147, -v121
	v_add_f32_e32 v104, v105, v104
	v_mul_f32_e32 v107, v115, v125
	v_mul_f32_e32 v109, v118, v145
	v_add_f32_e32 v105, v108, v128
	v_fma_f32 v108, v112, v120, -v110
	v_add_f32_e32 v104, v104, v106
	v_mul_f32_e32 v106, v117, v127
	s_waitcnt vmcnt(3)
	v_fma_f32 v107, v114, v155, -v107
	v_add_f32_e32 v105, v105, v129
	v_fmac_f32_e32 v126, v115, v155
	v_add_f32_e32 v104, v104, v108
	v_mul_f32_e32 v108, v119, v145
	v_fma_f32 v106, v116, v149, -v106
	v_add_f32_e32 v105, v105, v135
	v_fmac_f32_e32 v134, v117, v149
	v_add_f32_e32 v104, v104, v107
	s_waitcnt lgkmcnt(1)
	v_mul_f32_e32 v123, v2, v146
	v_mul_f32_e32 v107, v3, v146
	v_add_f32_e32 v105, v105, v126
	v_fma_f32 v108, v118, v148, -v108
	v_add_f32_e32 v104, v104, v106
	v_fmac_f32_e32 v109, v119, v148
	v_mul_f32_e32 v106, v5, v142
	v_add_f32_e32 v105, v105, v134
	v_fmac_f32_e32 v123, v3, v8
	v_fma_f32 v2, v2, v8, -v107
	v_add_f32_e32 v3, v104, v108
	v_mul_f32_e32 v124, v4, v142
	v_add_f32_e32 v8, v105, v109
	s_waitcnt lgkmcnt(0)
	v_mul_f32_e32 v104, v7, v154
	s_waitcnt vmcnt(1)
	v_fma_f32 v4, v4, v157, -v106
	v_add_f32_e32 v2, v3, v2
	v_mul_f32_e32 v131, v6, v154
	v_fmac_f32_e32 v124, v5, v157
	v_add_f32_e32 v3, v8, v123
	v_fma_f32 v5, v6, v156, -v104
	v_add_f32_e32 v2, v2, v4
	v_fmac_f32_e32 v131, v7, v156
	v_add_f32_e32 v3, v3, v124
	v_add_f32_e32 v2, v2, v5
	;; [unrolled: 1-line block ×3, first 2 shown]
	s_waitcnt vmcnt(0)
	v_sub_f32_e32 v2, v158, v2
	v_sub_f32_e32 v3, v151, v3
	buffer_store_dword v2, off, s[0:3], 0 offset:40
	buffer_store_dword v3, off, s[0:3], 0 offset:44
	v_cmpx_lt_u32_e32 4, v0
	s_cbranch_execz .LBB46_287
; %bb.286:
	s_clause 0x1
	buffer_load_dword v2, off, s[0:3], 0 offset:32
	buffer_load_dword v3, off, s[0:3], 0 offset:36
	buffer_store_dword v1, off, s[0:3], 0 offset:32
	buffer_store_dword v1, off, s[0:3], 0 offset:36
	s_waitcnt vmcnt(0)
	ds_write_b64 v103, v[2:3]
.LBB46_287:
	s_or_b32 exec_lo, exec_lo, s4
	s_waitcnt lgkmcnt(0)
	s_waitcnt_vscnt null, 0x0
	s_barrier
	buffer_gl0_inv
	s_clause 0x24
	buffer_load_dword v132, off, s[0:3], 0 offset:44
	buffer_load_dword v2, off, s[0:3], 0 offset:52
	;; [unrolled: 1-line block ×37, first 2 shown]
	ds_read2_b64 v[116:119], v1 offset0:53 offset1:54
	ds_read2_b64 v[120:123], v1 offset0:55 offset1:56
	;; [unrolled: 1-line block ×3, first 2 shown]
	s_clause 0x1
	buffer_load_dword v150, off, s[0:3], 0 offset:188
	buffer_load_dword v151, off, s[0:3], 0 offset:196
	ds_read2_b64 v[128:131], v1 offset0:59 offset1:60
	buffer_load_dword v153, off, s[0:3], 0 offset:36
	s_mov_b32 s4, exec_lo
	s_waitcnt vmcnt(39) lgkmcnt(3)
	v_mul_f32_e32 v152, v117, v132
	v_mul_f32_e32 v132, v116, v132
	s_waitcnt vmcnt(38)
	v_mul_f32_e32 v154, v118, v2
	v_mul_f32_e32 v2, v119, v2
	s_waitcnt vmcnt(35)
	v_fma_f32 v152, v116, v135, -v152
	v_fmac_f32_e32 v132, v117, v135
	v_fmac_f32_e32 v154, v119, v134
	v_fma_f32 v2, v118, v134, -v2
	s_waitcnt vmcnt(33) lgkmcnt(2)
	v_mul_f32_e32 v134, v122, v137
	v_mul_f32_e32 v117, v123, v137
	;; [unrolled: 1-line block ×4, first 2 shown]
	s_waitcnt vmcnt(32) lgkmcnt(1)
	v_mul_f32_e32 v136, v124, v138
	v_mul_f32_e32 v137, v125, v138
	s_waitcnt vmcnt(28)
	v_fmac_f32_e32 v134, v123, v141
	v_fma_f32 v138, v122, v141, -v117
	s_waitcnt vmcnt(27)
	v_mul_f32_e32 v141, v126, v142
	v_mul_f32_e32 v142, v127, v142
	v_fmac_f32_e32 v135, v121, v133
	v_fma_f32 v133, v120, v133, -v116
	ds_read2_b64 v[116:119], v1 offset0:61 offset1:62
	ds_read2_b64 v[120:123], v1 offset0:63 offset1:64
	v_fmac_f32_e32 v136, v125, v140
	v_fma_f32 v137, v124, v140, -v137
	s_waitcnt vmcnt(26) lgkmcnt(2)
	v_mul_f32_e32 v140, v128, v143
	v_mul_f32_e32 v124, v129, v143
	v_fmac_f32_e32 v141, v127, v139
	v_fma_f32 v139, v126, v139, -v142
	s_waitcnt vmcnt(25)
	v_mul_f32_e32 v142, v130, v144
	v_mul_f32_e32 v125, v131, v144
	s_clause 0x3
	buffer_load_dword v143, off, s[0:3], 0 offset:216
	buffer_load_dword v144, off, s[0:3], 0 offset:208
	;; [unrolled: 1-line block ×4, first 2 shown]
	v_fmac_f32_e32 v140, v129, v106
	v_fma_f32 v128, v128, v106, -v124
	s_waitcnt vmcnt(25)
	v_fmac_f32_e32 v142, v131, v145
	v_fma_f32 v129, v130, v145, -v125
	ds_read2_b64 v[124:127], v1 offset0:65 offset1:66
	s_clause 0x1
	buffer_load_dword v157, off, s[0:3], 0 offset:204
	buffer_load_dword v158, off, s[0:3], 0 offset:212
	s_waitcnt vmcnt(26) lgkmcnt(2)
	v_mul_f32_e32 v130, v116, v146
	v_mul_f32_e32 v106, v117, v146
	s_waitcnt vmcnt(25)
	v_mul_f32_e32 v131, v118, v147
	v_mul_f32_e32 v145, v119, v147
	s_waitcnt vmcnt(24) lgkmcnt(1)
	v_mul_f32_e32 v147, v120, v148
	v_fmac_f32_e32 v130, v117, v113
	v_fma_f32 v146, v116, v113, -v106
	v_fmac_f32_e32 v131, v119, v107
	v_fma_f32 v145, v118, v107, -v145
	ds_read2_b64 v[116:119], v1 offset0:67 offset1:68
	v_mul_f32_e32 v106, v121, v148
	s_waitcnt vmcnt(23)
	v_mul_f32_e32 v107, v123, v112
	v_mul_f32_e32 v148, v122, v112
	v_fmac_f32_e32 v147, v121, v6
	v_fma_f32 v6, v120, v6, -v106
	s_waitcnt vmcnt(19)
	v_fma_f32 v120, v122, v149, -v107
	s_waitcnt vmcnt(18) lgkmcnt(1)
	v_mul_f32_e32 v121, v124, v115
	v_mul_f32_e32 v106, v125, v115
	s_waitcnt vmcnt(17)
	v_mul_f32_e32 v122, v126, v114
	v_mul_f32_e32 v107, v127, v114
	ds_read2_b64 v[112:115], v1 offset0:69 offset1:70
	v_fmac_f32_e32 v148, v123, v149
	v_fmac_f32_e32 v121, v125, v108
	buffer_load_dword v123, off, s[0:3], 0 offset:220
	v_fma_f32 v108, v124, v108, -v106
	v_fmac_f32_e32 v122, v127, v8
	v_fma_f32 v8, v126, v8, -v107
	s_waitcnt vmcnt(16) lgkmcnt(1)
	v_mul_f32_e32 v125, v118, v104
	v_mul_f32_e32 v104, v119, v104
	;; [unrolled: 1-line block ×4, first 2 shown]
	s_waitcnt vmcnt(12)
	v_fmac_f32_e32 v125, v119, v111
	v_fma_f32 v111, v118, v111, -v104
	buffer_load_dword v118, off, s[0:3], 0 offset:228
	v_fmac_f32_e32 v124, v117, v4
	v_fma_f32 v116, v116, v4, -v105
	ds_read2_b64 v[104:107], v1 offset0:71 offset1:72
	s_waitcnt vmcnt(12) lgkmcnt(1)
	v_mul_f32_e32 v117, v112, v110
	v_mul_f32_e32 v4, v113, v110
	s_waitcnt vmcnt(11)
	v_mul_f32_e32 v110, v114, v109
	v_mul_f32_e32 v109, v115, v109
	v_fmac_f32_e32 v117, v113, v7
	v_fma_f32 v7, v112, v7, -v4
	v_fmac_f32_e32 v110, v115, v5
	v_fma_f32 v109, v114, v5, -v109
	s_clause 0x4
	buffer_load_dword v112, off, s[0:3], 0 offset:248
	buffer_load_dword v113, off, s[0:3], 0 offset:240
	buffer_load_dword v114, off, s[0:3], 0 offset:232
	buffer_load_dword v115, off, s[0:3], 0 offset:224
	buffer_load_dword v119, off, s[0:3], 0 offset:236
	v_add_f32_e32 v4, 0, v152
	v_add_f32_e32 v5, 0, v132
	s_clause 0x1
	buffer_load_dword v126, off, s[0:3], 0 offset:244
	buffer_load_dword v127, off, s[0:3], 0 offset:252
	v_add_f32_e32 v2, v4, v2
	v_add_f32_e32 v4, v5, v154
	s_waitcnt vmcnt(17) lgkmcnt(0)
	v_mul_f32_e32 v132, v104, v150
	v_mul_f32_e32 v5, v105, v150
	v_add_f32_e32 v2, v2, v133
	v_add_f32_e32 v4, v4, v135
	s_waitcnt vmcnt(16)
	v_mul_f32_e32 v135, v107, v151
	v_fmac_f32_e32 v132, v105, v3
	v_fma_f32 v149, v104, v3, -v5
	v_add_f32_e32 v104, v2, v138
	v_add_f32_e32 v105, v4, v134
	ds_read2_b64 v[2:5], v1 offset0:73 offset1:74
	v_mul_f32_e32 v133, v106, v151
	v_add_f32_e32 v104, v104, v137
	v_add_f32_e32 v105, v105, v136
	;; [unrolled: 1-line block ×10, first 2 shown]
	s_waitcnt vmcnt(11)
	v_fma_f32 v134, v106, v156, -v135
	s_clause 0x7
	buffer_load_dword v135, off, s[0:3], 0 offset:260
	buffer_load_dword v136, off, s[0:3], 0 offset:280
	;; [unrolled: 1-line block ×8, first 2 shown]
	v_fmac_f32_e32 v133, v107, v156
	ds_read2_b64 v[104:107], v1 offset0:75 offset1:76
	s_waitcnt vmcnt(18) lgkmcnt(1)
	v_mul_f32_e32 v142, v2, v157
	v_mul_f32_e32 v151, v3, v157
	s_waitcnt vmcnt(17)
	v_mul_f32_e32 v141, v4, v158
	v_mul_f32_e32 v146, v5, v158
	v_fmac_f32_e32 v142, v3, v155
	v_add_f32_e32 v3, v129, v145
	v_add_f32_e32 v129, v130, v131
	v_fma_f32 v130, v2, v155, -v151
	v_fmac_f32_e32 v141, v5, v144
	v_fma_f32 v131, v4, v144, -v146
	v_add_f32_e32 v2, v3, v6
	v_add_f32_e32 v3, v129, v147
	s_clause 0x7
	buffer_load_dword v6, off, s[0:3], 0 offset:292
	buffer_load_dword v129, off, s[0:3], 0 offset:300
	buffer_load_dword v144, off, s[0:3], 0 offset:308
	buffer_load_dword v145, off, s[0:3], 0 offset:316
	buffer_load_dword v146, off, s[0:3], 0 offset:312
	buffer_load_dword v147, off, s[0:3], 0 offset:304
	buffer_load_dword v151, off, s[0:3], 0 offset:296
	buffer_load_dword v152, off, s[0:3], 0 offset:288
	v_add_f32_e32 v2, v2, v120
	v_add_f32_e32 v3, v3, v148
	s_clause 0x3
	buffer_load_dword v148, off, s[0:3], 0 offset:324
	buffer_load_dword v155, off, s[0:3], 0 offset:332
	buffer_load_dword v156, off, s[0:3], 0 offset:340
	buffer_load_dword v157, off, s[0:3], 0 offset:348
	v_add_f32_e32 v2, v2, v108
	v_add_f32_e32 v8, v2, v8
	s_waitcnt vmcnt(28) lgkmcnt(0)
	v_mul_f32_e32 v4, v105, v123
	v_mul_f32_e32 v154, v104, v123
	v_add_f32_e32 v8, v8, v116
	v_fma_f32 v120, v104, v143, -v4
	v_add_f32_e32 v104, v3, v121
	v_fmac_f32_e32 v154, v105, v143
	s_clause 0x2
	buffer_load_dword v143, off, s[0:3], 0 offset:356
	buffer_load_dword v158, off, s[0:3], 0 offset:364
	;; [unrolled: 1-line block ×3, first 2 shown]
	v_add_f32_e32 v8, v8, v111
	v_add_f32_e32 v104, v104, v122
	s_waitcnt vmcnt(30)
	v_mul_f32_e32 v3, v107, v118
	v_mul_f32_e32 v121, v106, v118
	v_add_f32_e32 v7, v8, v7
	v_add_f32_e32 v104, v104, v124
	;; [unrolled: 1-line block ×4, first 2 shown]
	s_waitcnt vmcnt(26)
	v_fma_f32 v118, v106, v115, -v3
	ds_read2_b64 v[2:5], v1 offset0:77 offset1:78
	s_clause 0x3
	buffer_load_dword v124, off, s[0:3], 0 offset:344
	buffer_load_dword v160, off, s[0:3], 0 offset:336
	;; [unrolled: 1-line block ×4, first 2 shown]
	v_add_f32_e32 v8, v104, v117
	v_fmac_f32_e32 v121, v107, v115
	ds_read2_b64 v[104:107], v1 offset0:79 offset1:80
	s_waitcnt vmcnt(29) lgkmcnt(1)
	v_mul_f32_e32 v116, v2, v119
	v_mul_f32_e32 v108, v3, v119
	s_waitcnt vmcnt(28)
	v_mul_f32_e32 v122, v4, v126
	s_waitcnt vmcnt(27) lgkmcnt(0)
	v_mul_f32_e32 v115, v105, v127
	v_fmac_f32_e32 v116, v3, v114
	v_fma_f32 v117, v2, v114, -v108
	v_add_f32_e32 v2, v8, v110
	v_add_f32_e32 v3, v7, v149
	s_clause 0x2
	buffer_load_dword v7, off, s[0:3], 0 offset:368
	buffer_load_dword v8, off, s[0:3], 0 offset:360
	;; [unrolled: 1-line block ×3, first 2 shown]
	v_mul_f32_e32 v108, v5, v126
	v_fmac_f32_e32 v122, v5, v113
	v_add_f32_e32 v2, v2, v132
	buffer_load_dword v132, off, s[0:3], 0 offset:32
	v_add_f32_e32 v3, v3, v134
	v_fma_f32 v119, v4, v113, -v108
	v_mul_f32_e32 v126, v104, v127
	v_add_f32_e32 v109, v2, v133
	v_add_f32_e32 v113, v3, v130
	ds_read2_b64 v[2:5], v1 offset0:81 offset1:82
	v_fma_f32 v130, v104, v112, -v115
	v_add_f32_e32 v114, v109, v142
	ds_read2_b64 v[108:111], v1 offset0:83 offset1:84
	v_add_f32_e32 v113, v113, v131
	v_fmac_f32_e32 v126, v105, v112
	v_add_f32_e32 v114, v114, v141
	v_add_f32_e32 v120, v113, v120
	;; [unrolled: 1-line block ×4, first 2 shown]
	s_waitcnt vmcnt(30)
	v_mul_f32_e32 v123, v107, v135
	v_mul_f32_e32 v127, v106, v135
	s_waitcnt vmcnt(25) lgkmcnt(1)
	v_mul_f32_e32 v133, v2, v128
	v_mul_f32_e32 v120, v3, v128
	v_fma_f32 v131, v106, v150, -v123
	v_add_f32_e32 v123, v114, v154
	s_waitcnt vmcnt(23) lgkmcnt(0)
	v_mul_f32_e32 v134, v108, v140
	v_fmac_f32_e32 v133, v3, v138
	v_fma_f32 v138, v2, v138, -v120
	v_mul_f32_e32 v128, v4, v139
	v_add_f32_e32 v121, v123, v121
	v_mul_f32_e32 v123, v5, v139
	v_mul_f32_e32 v135, v109, v140
	v_fmac_f32_e32 v134, v109, v136
	v_fmac_f32_e32 v127, v107, v150
	v_add_f32_e32 v120, v121, v116
	v_add_f32_e32 v121, v117, v119
	ds_read2_b64 v[104:107], v1 offset0:85 offset1:86
	ds_read2_b64 v[112:115], v1 offset0:87 offset1:88
	v_fmac_f32_e32 v128, v5, v137
	v_fma_f32 v137, v4, v137, -v123
	v_add_f32_e32 v139, v120, v122
	v_add_f32_e32 v109, v121, v130
	ds_read2_b64 v[2:5], v1 offset0:89 offset1:90
	ds_read2_b64 v[116:119], v1 offset0:91 offset1:92
	;; [unrolled: 1-line block ×3, first 2 shown]
	v_fma_f32 v108, v108, v136, -v135
	v_add_f32_e32 v1, v139, v126
	v_add_f32_e32 v109, v109, v131
	s_waitcnt vmcnt(22)
	v_mul_f32_e32 v126, v110, v6
	v_mul_f32_e32 v6, v111, v6
	v_add_f32_e32 v1, v1, v127
	v_add_f32_e32 v109, v109, v138
	s_waitcnt vmcnt(15)
	v_fmac_f32_e32 v126, v111, v152
	v_fma_f32 v6, v110, v152, -v6
	v_add_f32_e32 v1, v1, v133
	v_add_f32_e32 v109, v109, v137
	s_waitcnt lgkmcnt(4)
	v_mul_f32_e32 v130, v104, v129
	v_mul_f32_e32 v129, v105, v129
	;; [unrolled: 1-line block ×3, first 2 shown]
	v_add_f32_e32 v1, v1, v128
	v_add_f32_e32 v108, v109, v108
	v_mul_f32_e32 v128, v107, v144
	v_fma_f32 v104, v104, v151, -v129
	v_fmac_f32_e32 v130, v105, v151
	v_add_f32_e32 v1, v1, v134
	v_add_f32_e32 v6, v108, v6
	s_waitcnt lgkmcnt(3)
	v_mul_f32_e32 v105, v113, v145
	v_fma_f32 v106, v106, v147, -v128
	v_mul_f32_e32 v110, v112, v145
	v_add_f32_e32 v1, v1, v126
	v_add_f32_e32 v6, v6, v104
	v_fmac_f32_e32 v127, v107, v147
	s_waitcnt vmcnt(14)
	v_mul_f32_e32 v104, v115, v148
	v_fma_f32 v105, v112, v146, -v105
	v_add_f32_e32 v1, v1, v130
	v_add_f32_e32 v6, v6, v106
	v_mul_f32_e32 v111, v114, v148
	v_fmac_f32_e32 v110, v113, v146
	s_waitcnt vmcnt(13) lgkmcnt(2)
	v_mul_f32_e32 v131, v2, v155
	v_add_f32_e32 v1, v1, v127
	v_mul_f32_e32 v106, v3, v155
	v_add_f32_e32 v6, v6, v105
	s_waitcnt vmcnt(4)
	v_fma_f32 v104, v114, v162, -v104
	v_fmac_f32_e32 v111, v115, v162
	v_add_f32_e32 v1, v1, v110
	v_mul_f32_e32 v105, v5, v156
	v_fmac_f32_e32 v131, v3, v161
	v_fma_f32 v2, v2, v161, -v106
	v_add_f32_e32 v3, v6, v104
	v_mul_f32_e32 v133, v4, v156
	v_add_f32_e32 v1, v1, v111
	s_waitcnt lgkmcnt(1)
	v_mul_f32_e32 v6, v117, v157
	v_fma_f32 v4, v4, v160, -v105
	v_add_f32_e32 v2, v3, v2
	v_mul_f32_e32 v135, v116, v157
	v_fmac_f32_e32 v133, v5, v160
	v_add_f32_e32 v1, v1, v131
	v_mul_f32_e32 v3, v119, v143
	v_fma_f32 v5, v116, v124, -v6
	v_add_f32_e32 v2, v2, v4
	v_mul_f32_e32 v136, v118, v143
	v_fmac_f32_e32 v135, v117, v124
	v_add_f32_e32 v1, v1, v133
	s_waitcnt lgkmcnt(0)
	v_mul_f32_e32 v4, v121, v158
	v_add_f32_e32 v2, v2, v5
	v_mul_f32_e32 v137, v120, v158
	v_mul_f32_e32 v5, v123, v159
	v_add_f32_e32 v1, v1, v135
	v_mul_f32_e32 v109, v122, v159
	s_waitcnt vmcnt(2)
	v_fma_f32 v4, v120, v8, -v4
	s_waitcnt vmcnt(1)
	v_fma_f32 v3, v118, v125, -v3
	v_fmac_f32_e32 v136, v119, v125
	v_fmac_f32_e32 v137, v121, v8
	;; [unrolled: 1-line block ×3, first 2 shown]
	v_add_f32_e32 v2, v2, v3
	v_add_f32_e32 v1, v1, v136
	v_fma_f32 v3, v122, v7, -v5
	v_add_f32_e32 v2, v2, v4
	v_add_f32_e32 v1, v1, v137
	;; [unrolled: 1-line block ×4, first 2 shown]
	s_waitcnt vmcnt(0)
	v_sub_f32_e32 v2, v132, v2
	v_sub_f32_e32 v1, v153, v1
	buffer_store_dword v2, off, s[0:3], 0 offset:32
	buffer_store_dword v1, off, s[0:3], 0 offset:36
	v_cmpx_lt_u32_e32 3, v0
	s_cbranch_execz .LBB46_289
; %bb.288:
	s_clause 0x1
	buffer_load_dword v1, off, s[0:3], 0 offset:24
	buffer_load_dword v2, off, s[0:3], 0 offset:28
	v_mov_b32_e32 v3, 0
	buffer_store_dword v3, off, s[0:3], 0 offset:24
	buffer_store_dword v3, off, s[0:3], 0 offset:28
	s_waitcnt vmcnt(0)
	ds_write_b64 v103, v[1:2]
.LBB46_289:
	s_or_b32 exec_lo, exec_lo, s4
	s_waitcnt lgkmcnt(0)
	s_waitcnt_vscnt null, 0x0
	s_barrier
	buffer_gl0_inv
	s_clause 0x2c
	buffer_load_dword v142, off, s[0:3], 0 offset:36
	buffer_load_dword v143, off, s[0:3], 0 offset:44
	;; [unrolled: 1-line block ×45, first 2 shown]
	v_mov_b32_e32 v1, 0
	ds_read_b128 v[134:137], v1 offset:416
	ds_read_b128 v[138:141], v1 offset:432
	buffer_load_dword v152, off, s[0:3], 0 offset:28
	s_mov_b32 s4, exec_lo
	s_waitcnt vmcnt(45) lgkmcnt(1)
	v_mul_f32_e32 v150, v135, v142
	v_mul_f32_e32 v142, v134, v142
	s_waitcnt vmcnt(44)
	v_mul_f32_e32 v151, v136, v143
	v_mul_f32_e32 v143, v137, v143
	s_waitcnt vmcnt(41)
	v_fma_f32 v150, v134, v131, -v150
	v_fmac_f32_e32 v142, v135, v131
	v_fmac_f32_e32 v151, v137, v127
	v_fma_f32 v143, v136, v127, -v143
	ds_read_b128 v[134:137], v1 offset:448
	s_waitcnt vmcnt(40) lgkmcnt(1)
	v_mul_f32_e32 v153, v138, v126
	v_mul_f32_e32 v126, v139, v126
	s_waitcnt vmcnt(39)
	v_mul_f32_e32 v154, v140, v124
	v_mul_f32_e32 v124, v141, v124
	v_fmac_f32_e32 v153, v139, v113
	v_fma_f32 v113, v138, v113, -v126
	s_waitcnt vmcnt(35)
	v_fmac_f32_e32 v154, v141, v132
	v_fma_f32 v155, v140, v132, -v124
	ds_read_b128 v[138:141], v1 offset:464
	s_waitcnt vmcnt(34) lgkmcnt(1)
	v_mul_f32_e32 v156, v134, v130
	v_mul_f32_e32 v124, v135, v130
	s_waitcnt vmcnt(33)
	v_mul_f32_e32 v157, v136, v129
	v_mul_f32_e32 v126, v137, v129
	ds_read_b128 v[129:132], v1 offset:480
	v_fmac_f32_e32 v156, v135, v121
	v_fma_f32 v121, v134, v121, -v124
	v_fmac_f32_e32 v157, v137, v116
	v_fma_f32 v158, v136, v116, -v126
	ds_read_b128 v[134:137], v1 offset:496
	s_waitcnt vmcnt(32) lgkmcnt(2)
	v_mul_f32_e32 v159, v138, v120
	v_mul_f32_e32 v116, v139, v120
	s_waitcnt vmcnt(31)
	v_mul_f32_e32 v120, v140, v118
	v_mul_f32_e32 v118, v141, v118
	v_fmac_f32_e32 v159, v139, v8
	v_fma_f32 v8, v138, v8, -v116
	s_waitcnt vmcnt(27)
	v_fmac_f32_e32 v120, v141, v128
	v_fma_f32 v138, v140, v128, -v118
	s_waitcnt vmcnt(26) lgkmcnt(1)
	v_mul_f32_e32 v139, v129, v125
	v_mul_f32_e32 v116, v130, v125
	s_waitcnt vmcnt(25)
	v_mul_f32_e32 v140, v131, v123
	v_mul_f32_e32 v118, v132, v123
	ds_read_b128 v[123:126], v1 offset:512
	v_fmac_f32_e32 v139, v130, v114
	v_fma_f32 v114, v129, v114, -v116
	ds_read_b128 v[127:130], v1 offset:528
	v_fmac_f32_e32 v140, v132, v108
	v_fma_f32 v131, v131, v108, -v118
	s_waitcnt vmcnt(24) lgkmcnt(2)
	v_mul_f32_e32 v132, v134, v112
	v_mul_f32_e32 v108, v135, v112
	s_waitcnt vmcnt(23)
	v_mul_f32_e32 v112, v136, v110
	v_mul_f32_e32 v110, v137, v110
	v_fmac_f32_e32 v132, v135, v4
	v_fma_f32 v134, v134, v4, -v108
	s_waitcnt vmcnt(19)
	v_fmac_f32_e32 v112, v137, v122
	v_fma_f32 v122, v136, v122, -v110
	s_waitcnt vmcnt(18) lgkmcnt(1)
	v_mul_f32_e32 v135, v123, v119
	v_mul_f32_e32 v4, v124, v119
	s_waitcnt vmcnt(17)
	v_mul_f32_e32 v136, v125, v117
	v_mul_f32_e32 v108, v126, v117
	ds_read_b128 v[116:119], v1 offset:544
	v_fmac_f32_e32 v135, v124, v107
	v_fma_f32 v123, v123, v107, -v4
	v_fmac_f32_e32 v136, v126, v104
	v_fma_f32 v124, v125, v104, -v108
	s_waitcnt vmcnt(15) lgkmcnt(1)
	v_mul_f32_e32 v126, v129, v105
	v_mul_f32_e32 v104, v130, v105
	;; [unrolled: 1-line block ×4, first 2 shown]
	s_waitcnt vmcnt(11)
	v_fmac_f32_e32 v126, v130, v115
	v_fma_f32 v115, v129, v115, -v104
	ds_read_b128 v[104:107], v1 offset:560
	v_fmac_f32_e32 v125, v128, v3
	v_fma_f32 v127, v127, v3, -v4
	s_waitcnt vmcnt(10) lgkmcnt(1)
	v_mul_f32_e32 v128, v116, v111
	v_mul_f32_e32 v3, v117, v111
	s_waitcnt vmcnt(9)
	v_mul_f32_e32 v129, v118, v109
	v_mul_f32_e32 v4, v119, v109
	ds_read_b128 v[108:111], v1 offset:576
	v_fmac_f32_e32 v128, v117, v7
	v_fma_f32 v7, v116, v7, -v3
	v_fmac_f32_e32 v129, v119, v5
	v_fma_f32 v116, v118, v5, -v4
	buffer_load_dword v118, off, s[0:3], 0 offset:212
	s_waitcnt vmcnt(8) lgkmcnt(1)
	v_mul_f32_e32 v4, v107, v133
	v_mul_f32_e32 v117, v104, v6
	v_mul_f32_e32 v3, v105, v6
	v_mul_f32_e32 v6, v106, v133
	s_waitcnt vmcnt(4)
	v_fma_f32 v130, v106, v147, -v4
	buffer_load_dword v106, off, s[0:3], 0 offset:220
	v_fmac_f32_e32 v117, v105, v2
	v_fma_f32 v119, v104, v2, -v3
	ds_read_b128 v[2:5], v1 offset:592
	v_fmac_f32_e32 v6, v107, v147
	s_waitcnt vmcnt(4) lgkmcnt(1)
	v_mul_f32_e32 v133, v108, v148
	v_mul_f32_e32 v104, v109, v148
	s_waitcnt vmcnt(3)
	v_mul_f32_e32 v137, v110, v149
	v_mul_f32_e32 v105, v111, v149
	v_fmac_f32_e32 v133, v109, v146
	v_fma_f32 v108, v108, v146, -v104
	v_fmac_f32_e32 v137, v111, v145
	v_fma_f32 v109, v110, v145, -v105
	s_clause 0x4
	buffer_load_dword v110, off, s[0:3], 0 offset:240
	buffer_load_dword v111, off, s[0:3], 0 offset:232
	buffer_load_dword v141, off, s[0:3], 0 offset:224
	buffer_load_dword v104, off, s[0:3], 0 offset:216
	buffer_load_dword v145, off, s[0:3], 0 offset:228
	s_waitcnt vmcnt(6) lgkmcnt(0)
	v_mul_f32_e32 v146, v2, v118
	v_mul_f32_e32 v105, v3, v118
	v_fmac_f32_e32 v146, v3, v144
	v_fma_f32 v118, v2, v144, -v105
	s_waitcnt vmcnt(5)
	v_mul_f32_e32 v144, v4, v106
	v_mul_f32_e32 v2, v5, v106
	s_waitcnt vmcnt(1)
	v_fmac_f32_e32 v144, v5, v104
	v_fma_f32 v147, v4, v104, -v2
	ds_read_b128 v[2:5], v1 offset:608
	ds_read_b128 v[104:107], v1 offset:624
	s_waitcnt vmcnt(0) lgkmcnt(1)
	v_mul_f32_e32 v148, v2, v145
	v_mul_f32_e32 v145, v3, v145
	v_fmac_f32_e32 v148, v3, v141
	v_fma_f32 v141, v2, v141, -v145
	buffer_load_dword v2, off, s[0:3], 0 offset:236
	s_waitcnt vmcnt(0)
	v_mul_f32_e32 v145, v4, v2
	v_mul_f32_e32 v2, v5, v2
	v_fmac_f32_e32 v145, v5, v111
	v_fma_f32 v149, v4, v111, -v2
	buffer_load_dword v2, off, s[0:3], 0 offset:244
	s_waitcnt vmcnt(0) lgkmcnt(0)
	v_mul_f32_e32 v160, v104, v2
	v_mul_f32_e32 v2, v105, v2
	v_fmac_f32_e32 v160, v105, v110
	v_fma_f32 v161, v104, v110, -v2
	s_clause 0x4
	buffer_load_dword v2, off, s[0:3], 0 offset:252
	buffer_load_dword v162, off, s[0:3], 0 offset:272
	;; [unrolled: 1-line block ×5, first 2 shown]
	s_waitcnt vmcnt(4)
	v_mul_f32_e32 v163, v106, v2
	v_mul_f32_e32 v2, v107, v2
	s_waitcnt vmcnt(0)
	v_fmac_f32_e32 v163, v107, v3
	v_fma_f32 v164, v106, v3, -v2
	v_add_f32_e32 v2, 0, v150
	v_add_f32_e32 v3, 0, v142
	buffer_load_dword v142, off, s[0:3], 0 offset:268
	v_add_f32_e32 v2, v2, v143
	v_add_f32_e32 v3, v3, v151
	buffer_load_dword v143, off, s[0:3], 0 offset:284
	v_add_f32_e32 v2, v2, v113
	buffer_load_dword v113, off, s[0:3], 0 offset:260
	v_add_f32_e32 v3, v3, v153
	v_add_f32_e32 v2, v2, v155
	;; [unrolled: 1-line block ×4, first 2 shown]
	buffer_load_dword v121, off, s[0:3], 0 offset:276
	v_add_f32_e32 v3, v3, v156
	v_add_f32_e32 v2, v2, v158
	;; [unrolled: 1-line block ×4, first 2 shown]
	s_clause 0x3
	buffer_load_dword v8, off, s[0:3], 0 offset:304
	buffer_load_dword v150, off, s[0:3], 0 offset:296
	;; [unrolled: 1-line block ×4, first 2 shown]
	v_add_f32_e32 v3, v3, v159
	v_add_f32_e32 v2, v2, v138
	s_clause 0x1
	buffer_load_dword v138, off, s[0:3], 0 offset:292
	buffer_load_dword v154, off, s[0:3], 0 offset:300
	v_add_f32_e32 v3, v3, v120
	buffer_load_dword v120, off, s[0:3], 0 offset:308
	v_add_f32_e32 v2, v2, v114
	v_add_f32_e32 v3, v3, v139
	;; [unrolled: 1-line block ×3, first 2 shown]
	s_clause 0x3
	buffer_load_dword v131, off, s[0:3], 0 offset:316
	buffer_load_dword v139, off, s[0:3], 0 offset:324
	buffer_load_dword v155, off, s[0:3], 0 offset:332
	buffer_load_dword v156, off, s[0:3], 0 offset:340
	v_add_f32_e32 v3, v3, v140
	v_add_f32_e32 v2, v2, v134
	s_clause 0x1
	buffer_load_dword v134, off, s[0:3], 0 offset:348
	buffer_load_dword v140, off, s[0:3], 0 offset:356
	v_add_f32_e32 v3, v3, v132
	v_add_f32_e32 v2, v2, v122
	s_clause 0x1
	buffer_load_dword v122, off, s[0:3], 0 offset:364
	buffer_load_dword v132, off, s[0:3], 0 offset:372
	v_add_f32_e32 v3, v3, v112
	v_add_f32_e32 v2, v2, v123
	;; [unrolled: 1-line block ×4, first 2 shown]
	s_clause 0x3
	buffer_load_dword v123, off, s[0:3], 0 offset:336
	buffer_load_dword v124, off, s[0:3], 0 offset:328
	;; [unrolled: 1-line block ×4, first 2 shown]
	v_add_f32_e32 v3, v3, v136
	v_add_f32_e32 v2, v2, v127
	v_add_f32_e32 v3, v3, v125
	s_clause 0x3
	buffer_load_dword v125, off, s[0:3], 0 offset:368
	buffer_load_dword v127, off, s[0:3], 0 offset:360
	;; [unrolled: 1-line block ×4, first 2 shown]
	v_add_f32_e32 v2, v2, v115
	v_add_f32_e32 v3, v3, v126
	buffer_load_dword v126, off, s[0:3], 0 offset:24
	v_add_f32_e32 v2, v2, v7
	v_add_f32_e32 v3, v3, v128
	;; [unrolled: 1-line block ×4, first 2 shown]
	ds_read_b128 v[2:5], v1 offset:640
	v_add_f32_e32 v7, v7, v119
	v_add_f32_e32 v104, v104, v117
	;; [unrolled: 1-line block ×4, first 2 shown]
	ds_read_b128 v[104:107], v1 offset:656
	v_add_f32_e32 v7, v7, v108
	v_add_f32_e32 v6, v6, v133
	;; [unrolled: 1-line block ×8, first 2 shown]
	s_waitcnt vmcnt(27) lgkmcnt(1)
	v_mul_f32_e32 v129, v4, v142
	v_mul_f32_e32 v109, v5, v142
	v_fmac_f32_e32 v129, v5, v110
	v_fma_f32 v133, v4, v110, -v109
	s_waitcnt vmcnt(25)
	v_mul_f32_e32 v128, v2, v113
	v_mul_f32_e32 v108, v3, v113
	v_fmac_f32_e32 v128, v3, v111
	v_add_f32_e32 v3, v7, v118
	v_fma_f32 v130, v2, v111, -v108
	s_waitcnt vmcnt(24) lgkmcnt(0)
	v_mul_f32_e32 v137, v104, v121
	v_add_f32_e32 v7, v3, v147
	ds_read_b128 v[2:5], v1 offset:672
	ds_read_b128 v[108:111], v1 offset:688
	v_mul_f32_e32 v116, v105, v121
	v_mul_f32_e32 v121, v106, v143
	v_fmac_f32_e32 v137, v105, v162
	v_add_f32_e32 v7, v7, v141
	v_mul_f32_e32 v141, v107, v143
	v_add_f32_e32 v143, v6, v160
	v_fma_f32 v142, v104, v162, -v116
	ds_read_b128 v[112:115], v1 offset:704
	ds_read_b128 v[116:119], v1 offset:720
	v_add_f32_e32 v7, v7, v149
	v_add_f32_e32 v143, v143, v163
	s_waitcnt vmcnt(20)
	v_fma_f32 v141, v106, v153, -v141
	v_fmac_f32_e32 v121, v107, v153
	v_add_f32_e32 v7, v7, v161
	v_add_f32_e32 v128, v143, v128
	s_waitcnt vmcnt(19) lgkmcnt(3)
	v_mul_f32_e32 v145, v2, v138
	v_add_f32_e32 v144, v7, v164
	v_add_f32_e32 v128, v128, v129
	v_mul_f32_e32 v138, v3, v138
	s_waitcnt vmcnt(18)
	v_mul_f32_e32 v146, v4, v154
	v_fmac_f32_e32 v145, v3, v151
	v_add_f32_e32 v130, v144, v130
	v_add_f32_e32 v128, v128, v137
	v_mul_f32_e32 v144, v5, v154
	v_fma_f32 v2, v2, v151, -v138
	s_waitcnt vmcnt(17) lgkmcnt(2)
	v_mul_f32_e32 v143, v108, v120
	v_add_f32_e32 v130, v130, v133
	v_add_f32_e32 v121, v128, v121
	v_mul_f32_e32 v120, v109, v120
	v_fma_f32 v4, v4, v150, -v144
	v_fmac_f32_e32 v146, v5, v150
	v_add_f32_e32 v130, v130, v142
	v_add_f32_e32 v5, v121, v145
	s_waitcnt vmcnt(16)
	v_mul_f32_e32 v121, v111, v131
	v_fmac_f32_e32 v143, v109, v8
	v_fma_f32 v8, v108, v8, -v120
	v_add_f32_e32 v130, v130, v141
	v_mul_f32_e32 v133, v110, v131
	ds_read_b128 v[104:107], v1 offset:736
	ds_read_b64 v[6:7], v1 offset:752
	s_waitcnt vmcnt(5)
	v_fma_f32 v108, v110, v157, -v121
	s_waitcnt lgkmcnt(3)
	v_mul_f32_e32 v147, v112, v139
	v_add_f32_e32 v2, v130, v2
	v_fmac_f32_e32 v133, v111, v157
	v_mul_f32_e32 v129, v114, v155
	s_waitcnt lgkmcnt(2)
	v_mul_f32_e32 v142, v116, v156
	v_fmac_f32_e32 v147, v113, v135
	v_add_f32_e32 v2, v2, v4
	v_add_f32_e32 v4, v5, v146
	v_mul_f32_e32 v5, v113, v139
	v_fmac_f32_e32 v129, v115, v124
	v_mul_f32_e32 v3, v118, v134
	v_add_f32_e32 v2, v2, v8
	v_add_f32_e32 v4, v4, v143
	v_mul_f32_e32 v8, v115, v155
	v_fma_f32 v5, v112, v135, -v5
	v_fmac_f32_e32 v142, v117, v123
	v_add_f32_e32 v2, v2, v108
	v_add_f32_e32 v4, v4, v133
	v_mul_f32_e32 v108, v117, v156
	v_fma_f32 v8, v114, v124, -v8
	s_waitcnt lgkmcnt(1)
	v_mul_f32_e32 v137, v104, v140
	v_add_f32_e32 v2, v2, v5
	v_add_f32_e32 v4, v4, v147
	v_mul_f32_e32 v5, v119, v134
	v_fma_f32 v108, v116, v123, -v108
	s_waitcnt vmcnt(1)
	v_fmac_f32_e32 v3, v119, v158
	v_add_f32_e32 v2, v2, v8
	v_add_f32_e32 v4, v4, v129
	v_mul_f32_e32 v8, v105, v140
	v_fma_f32 v5, v118, v158, -v5
	v_mul_f32_e32 v138, v106, v122
	v_add_f32_e32 v2, v2, v108
	v_add_f32_e32 v4, v4, v142
	v_mul_f32_e32 v108, v107, v122
	v_fma_f32 v8, v104, v136, -v8
	v_fmac_f32_e32 v137, v105, v136
	v_add_f32_e32 v2, v2, v5
	v_add_f32_e32 v3, v4, v3
	s_waitcnt lgkmcnt(0)
	v_mul_f32_e32 v4, v7, v132
	v_fma_f32 v5, v106, v127, -v108
	v_mul_f32_e32 v128, v6, v132
	v_add_f32_e32 v2, v2, v8
	v_fmac_f32_e32 v138, v107, v127
	v_add_f32_e32 v3, v3, v137
	v_fma_f32 v4, v6, v125, -v4
	v_fmac_f32_e32 v128, v7, v125
	v_add_f32_e32 v2, v2, v5
	v_add_f32_e32 v3, v3, v138
	;; [unrolled: 1-line block ×4, first 2 shown]
	s_waitcnt vmcnt(0)
	v_sub_f32_e32 v2, v126, v2
	v_sub_f32_e32 v3, v152, v3
	buffer_store_dword v2, off, s[0:3], 0 offset:24
	buffer_store_dword v3, off, s[0:3], 0 offset:28
	v_cmpx_lt_u32_e32 2, v0
	s_cbranch_execz .LBB46_291
; %bb.290:
	s_clause 0x1
	buffer_load_dword v2, off, s[0:3], 0 offset:16
	buffer_load_dword v3, off, s[0:3], 0 offset:20
	buffer_store_dword v1, off, s[0:3], 0 offset:16
	buffer_store_dword v1, off, s[0:3], 0 offset:20
	s_waitcnt vmcnt(0)
	ds_write_b64 v103, v[2:3]
.LBB46_291:
	s_or_b32 exec_lo, exec_lo, s4
	s_waitcnt lgkmcnt(0)
	s_waitcnt_vscnt null, 0x0
	s_barrier
	buffer_gl0_inv
	s_clause 0x2c
	buffer_load_dword v142, off, s[0:3], 0 offset:28
	buffer_load_dword v143, off, s[0:3], 0 offset:36
	;; [unrolled: 1-line block ×45, first 2 shown]
	ds_read2_b64 v[134:137], v1 offset0:51 offset1:52
	ds_read2_b64 v[138:141], v1 offset0:53 offset1:54
	buffer_load_dword v152, off, s[0:3], 0 offset:20
	s_mov_b32 s4, exec_lo
	s_waitcnt vmcnt(45) lgkmcnt(1)
	v_mul_f32_e32 v150, v135, v142
	v_mul_f32_e32 v142, v134, v142
	s_waitcnt vmcnt(44)
	v_mul_f32_e32 v151, v136, v143
	v_mul_f32_e32 v143, v137, v143
	s_waitcnt vmcnt(41)
	v_fma_f32 v150, v134, v132, -v150
	v_fmac_f32_e32 v142, v135, v132
	v_fmac_f32_e32 v151, v137, v128
	v_fma_f32 v143, v136, v128, -v143
	ds_read2_b64 v[134:137], v1 offset0:55 offset1:56
	s_waitcnt vmcnt(40) lgkmcnt(1)
	v_mul_f32_e32 v153, v138, v127
	v_mul_f32_e32 v127, v139, v127
	s_waitcnt vmcnt(39)
	v_mul_f32_e32 v154, v140, v125
	v_mul_f32_e32 v125, v141, v125
	v_fmac_f32_e32 v153, v139, v114
	v_fma_f32 v114, v138, v114, -v127
	s_waitcnt vmcnt(35)
	v_fmac_f32_e32 v154, v141, v133
	v_fma_f32 v155, v140, v133, -v125
	ds_read2_b64 v[138:141], v1 offset0:57 offset1:58
	s_waitcnt vmcnt(34) lgkmcnt(1)
	v_mul_f32_e32 v156, v134, v131
	v_mul_f32_e32 v125, v135, v131
	s_waitcnt vmcnt(33)
	v_mul_f32_e32 v157, v136, v130
	v_mul_f32_e32 v127, v137, v130
	ds_read2_b64 v[130:133], v1 offset0:59 offset1:60
	v_fmac_f32_e32 v156, v135, v122
	v_fma_f32 v122, v134, v122, -v125
	v_fmac_f32_e32 v157, v137, v117
	v_fma_f32 v158, v136, v117, -v127
	ds_read2_b64 v[134:137], v1 offset0:61 offset1:62
	s_waitcnt vmcnt(32) lgkmcnt(2)
	v_mul_f32_e32 v159, v138, v121
	v_mul_f32_e32 v117, v139, v121
	s_waitcnt vmcnt(31)
	v_mul_f32_e32 v121, v140, v119
	v_mul_f32_e32 v119, v141, v119
	v_fmac_f32_e32 v159, v139, v104
	v_fma_f32 v138, v138, v104, -v117
	s_waitcnt vmcnt(27)
	v_fmac_f32_e32 v121, v141, v129
	v_fma_f32 v139, v140, v129, -v119
	s_waitcnt vmcnt(26) lgkmcnt(1)
	v_mul_f32_e32 v140, v130, v126
	v_mul_f32_e32 v104, v131, v126
	s_waitcnt vmcnt(25)
	v_mul_f32_e32 v141, v132, v124
	v_mul_f32_e32 v117, v133, v124
	ds_read2_b64 v[124:127], v1 offset0:63 offset1:64
	v_fmac_f32_e32 v140, v131, v115
	v_fma_f32 v115, v130, v115, -v104
	ds_read2_b64 v[128:131], v1 offset0:65 offset1:66
	v_fmac_f32_e32 v141, v133, v109
	v_fma_f32 v132, v132, v109, -v117
	s_waitcnt vmcnt(24) lgkmcnt(2)
	v_mul_f32_e32 v133, v134, v113
	v_mul_f32_e32 v104, v135, v113
	s_waitcnt vmcnt(23)
	v_mul_f32_e32 v113, v136, v111
	v_mul_f32_e32 v109, v137, v111
	v_fmac_f32_e32 v133, v135, v4
	v_fma_f32 v134, v134, v4, -v104
	s_waitcnt vmcnt(19)
	v_fmac_f32_e32 v113, v137, v123
	v_fma_f32 v123, v136, v123, -v109
	s_waitcnt vmcnt(18) lgkmcnt(1)
	v_mul_f32_e32 v135, v124, v120
	v_mul_f32_e32 v4, v125, v120
	s_waitcnt vmcnt(17)
	v_mul_f32_e32 v136, v126, v118
	v_mul_f32_e32 v104, v127, v118
	ds_read2_b64 v[117:120], v1 offset0:67 offset1:68
	v_fmac_f32_e32 v135, v125, v108
	v_fma_f32 v124, v124, v108, -v4
	v_fmac_f32_e32 v136, v127, v105
	v_fma_f32 v125, v126, v105, -v104
	s_waitcnt vmcnt(15) lgkmcnt(1)
	v_mul_f32_e32 v127, v130, v106
	v_mul_f32_e32 v104, v131, v106
	;; [unrolled: 1-line block ×4, first 2 shown]
	s_waitcnt vmcnt(11)
	v_fmac_f32_e32 v127, v131, v116
	v_fma_f32 v116, v130, v116, -v104
	ds_read2_b64 v[104:107], v1 offset0:69 offset1:70
	v_fmac_f32_e32 v126, v129, v3
	v_fma_f32 v128, v128, v3, -v4
	s_waitcnt vmcnt(10) lgkmcnt(1)
	v_mul_f32_e32 v129, v117, v112
	v_mul_f32_e32 v3, v118, v112
	s_waitcnt vmcnt(9)
	v_mul_f32_e32 v112, v119, v110
	v_mul_f32_e32 v4, v120, v110
	ds_read2_b64 v[108:111], v1 offset0:71 offset1:72
	v_fmac_f32_e32 v129, v118, v8
	v_fma_f32 v8, v117, v8, -v3
	v_fmac_f32_e32 v112, v120, v5
	v_fma_f32 v117, v119, v5, -v4
	s_waitcnt vmcnt(8) lgkmcnt(1)
	v_mul_f32_e32 v118, v104, v7
	v_mul_f32_e32 v3, v105, v7
	s_waitcnt vmcnt(7)
	v_mul_f32_e32 v7, v106, v6
	v_mul_f32_e32 v4, v107, v6
	buffer_load_dword v6, off, s[0:3], 0 offset:204
	v_fmac_f32_e32 v118, v105, v2
	v_fma_f32 v119, v104, v2, -v3
	s_waitcnt vmcnt(4)
	v_fmac_f32_e32 v7, v107, v147
	v_fma_f32 v120, v106, v147, -v4
	buffer_load_dword v106, off, s[0:3], 0 offset:212
	ds_read2_b64 v[2:5], v1 offset0:73 offset1:74
	s_waitcnt vmcnt(4) lgkmcnt(1)
	v_mul_f32_e32 v130, v108, v148
	v_mul_f32_e32 v104, v109, v148
	s_waitcnt vmcnt(3)
	v_mul_f32_e32 v131, v110, v149
	v_mul_f32_e32 v105, v111, v149
	v_fmac_f32_e32 v130, v109, v146
	v_fma_f32 v108, v108, v146, -v104
	v_fmac_f32_e32 v131, v111, v145
	v_fma_f32 v109, v110, v145, -v105
	s_clause 0x4
	buffer_load_dword v110, off, s[0:3], 0 offset:232
	buffer_load_dword v111, off, s[0:3], 0 offset:224
	;; [unrolled: 1-line block ×5, first 2 shown]
	s_waitcnt vmcnt(6) lgkmcnt(0)
	v_mul_f32_e32 v146, v2, v6
	v_mul_f32_e32 v6, v3, v6
	v_fmac_f32_e32 v146, v3, v144
	v_fma_f32 v6, v2, v144, -v6
	s_waitcnt vmcnt(5)
	v_mul_f32_e32 v144, v4, v106
	v_mul_f32_e32 v2, v5, v106
	s_waitcnt vmcnt(1)
	v_fmac_f32_e32 v144, v5, v104
	v_fma_f32 v147, v4, v104, -v2
	ds_read2_b64 v[2:5], v1 offset0:75 offset1:76
	ds_read2_b64 v[104:107], v1 offset0:77 offset1:78
	s_waitcnt vmcnt(0) lgkmcnt(1)
	v_mul_f32_e32 v148, v2, v145
	v_mul_f32_e32 v145, v3, v145
	v_fmac_f32_e32 v148, v3, v137
	v_fma_f32 v137, v2, v137, -v145
	s_clause 0x1
	buffer_load_dword v2, off, s[0:3], 0 offset:228
	buffer_load_dword v3, off, s[0:3], 0 offset:236
	s_waitcnt vmcnt(1)
	v_mul_f32_e32 v145, v4, v2
	v_mul_f32_e32 v2, v5, v2
	v_fmac_f32_e32 v145, v5, v111
	v_fma_f32 v149, v4, v111, -v2
	v_add_f32_e32 v2, 0, v150
	buffer_load_dword v5, off, s[0:3], 0 offset:244
	v_add_f32_e32 v4, 0, v142
	v_add_f32_e32 v2, v2, v143
	;; [unrolled: 1-line block ×4, first 2 shown]
	s_clause 0x3
	buffer_load_dword v114, off, s[0:3], 0 offset:264
	buffer_load_dword v111, off, s[0:3], 0 offset:256
	;; [unrolled: 1-line block ×4, first 2 shown]
	v_add_f32_e32 v4, v4, v153
	s_clause 0x1
	buffer_load_dword v150, off, s[0:3], 0 offset:260
	buffer_load_dword v151, off, s[0:3], 0 offset:268
	v_add_f32_e32 v2, v2, v155
	s_waitcnt vmcnt(7) lgkmcnt(0)
	v_mul_f32_e32 v153, v104, v3
	v_add_f32_e32 v4, v4, v154
	v_mul_f32_e32 v3, v105, v3
	v_add_f32_e32 v2, v2, v122
	buffer_load_dword v122, off, s[0:3], 0 offset:252
	v_add_f32_e32 v4, v4, v156
	v_fma_f32 v154, v104, v110, -v3
	v_fmac_f32_e32 v153, v105, v110
	v_add_f32_e32 v2, v2, v158
	v_add_f32_e32 v4, v4, v157
	;; [unrolled: 1-line block ×3, first 2 shown]
	buffer_load_dword v138, off, s[0:3], 0 offset:276
	v_add_f32_e32 v4, v4, v159
	v_add_f32_e32 v2, v2, v139
	;; [unrolled: 1-line block ×3, first 2 shown]
	s_clause 0x5
	buffer_load_dword v139, off, s[0:3], 0 offset:296
	buffer_load_dword v155, off, s[0:3], 0 offset:288
	;; [unrolled: 1-line block ×6, first 2 shown]
	v_add_f32_e32 v2, v2, v115
	v_add_f32_e32 v3, v3, v140
	;; [unrolled: 1-line block ×4, first 2 shown]
	s_clause 0x1
	buffer_load_dword v132, off, s[0:3], 0 offset:292
	buffer_load_dword v141, off, s[0:3], 0 offset:300
	v_add_f32_e32 v2, v2, v134
	v_add_f32_e32 v3, v3, v133
	s_clause 0x6
	buffer_load_dword v133, off, s[0:3], 0 offset:316
	buffer_load_dword v134, off, s[0:3], 0 offset:324
	;; [unrolled: 1-line block ×7, first 2 shown]
	v_add_f32_e32 v2, v2, v123
	v_add_f32_e32 v3, v3, v113
	;; [unrolled: 1-line block ×4, first 2 shown]
	buffer_load_dword v124, off, s[0:3], 0 offset:372
	v_add_f32_e32 v2, v2, v125
	v_add_f32_e32 v3, v3, v136
	s_clause 0x3
	buffer_load_dword v125, off, s[0:3], 0 offset:328
	buffer_load_dword v135, off, s[0:3], 0 offset:320
	;; [unrolled: 1-line block ×4, first 2 shown]
	v_add_f32_e32 v2, v2, v128
	v_add_f32_e32 v3, v3, v126
	;; [unrolled: 1-line block ×4, first 2 shown]
	s_clause 0x3
	buffer_load_dword v126, off, s[0:3], 0 offset:360
	buffer_load_dword v127, off, s[0:3], 0 offset:352
	;; [unrolled: 1-line block ×4, first 2 shown]
	v_add_f32_e32 v2, v2, v8
	buffer_load_dword v8, off, s[0:3], 0 offset:368
	v_add_f32_e32 v3, v3, v129
	buffer_load_dword v129, off, s[0:3], 0 offset:16
	v_add_f32_e32 v2, v2, v117
	v_add_f32_e32 v3, v3, v112
	;; [unrolled: 1-line block ×20, first 2 shown]
	s_waitcnt vmcnt(34)
	v_mul_f32_e32 v140, v106, v5
	v_mul_f32_e32 v4, v107, v5
	s_waitcnt vmcnt(30)
	v_fmac_f32_e32 v140, v107, v143
	v_fma_f32 v143, v106, v143, -v4
	ds_read2_b64 v[2:5], v1 offset0:79 offset1:80
	ds_read2_b64 v[104:107], v1 offset0:81 offset1:82
	v_add_f32_e32 v7, v7, v140
	v_add_f32_e32 v6, v6, v143
	s_waitcnt vmcnt(27) lgkmcnt(1)
	v_mul_f32_e32 v130, v2, v122
	v_mul_f32_e32 v109, v3, v122
	;; [unrolled: 1-line block ×4, first 2 shown]
	s_waitcnt lgkmcnt(0)
	v_mul_f32_e32 v146, v104, v151
	v_fmac_f32_e32 v130, v3, v142
	v_fma_f32 v120, v2, v142, -v109
	v_fmac_f32_e32 v131, v5, v111
	v_fma_f32 v142, v4, v111, -v110
	ds_read2_b64 v[2:5], v1 offset0:83 offset1:84
	ds_read2_b64 v[108:111], v1 offset0:85 offset1:86
	v_mul_f32_e32 v112, v105, v151
	s_waitcnt vmcnt(26)
	v_mul_f32_e32 v137, v106, v138
	v_mul_f32_e32 v113, v107, v138
	v_fmac_f32_e32 v146, v105, v114
	v_fma_f32 v138, v104, v114, -v112
	s_waitcnt vmcnt(22)
	v_fmac_f32_e32 v137, v107, v156
	v_fma_f32 v144, v106, v156, -v113
	ds_read2_b64 v[104:107], v1 offset0:87 offset1:88
	ds_read2_b64 v[112:115], v1 offset0:89 offset1:90
	;; [unrolled: 1-line block ×3, first 2 shown]
	s_waitcnt vmcnt(21) lgkmcnt(4)
	v_mul_f32_e32 v145, v2, v157
	v_mul_f32_e32 v122, v3, v157
	v_fmac_f32_e32 v145, v3, v121
	v_add_f32_e32 v3, v6, v120
	v_fma_f32 v2, v2, v121, -v122
	ds_read2_b64 v[120:123], v1 offset0:93 offset1:94
	v_add_f32_e32 v1, v7, v130
	s_waitcnt vmcnt(19)
	v_mul_f32_e32 v7, v5, v132
	v_add_f32_e32 v3, v3, v142
	v_mul_f32_e32 v6, v4, v132
	s_waitcnt vmcnt(18) lgkmcnt(4)
	v_mul_f32_e32 v132, v109, v141
	v_add_f32_e32 v1, v1, v131
	v_fma_f32 v4, v4, v155, -v7
	v_add_f32_e32 v3, v3, v138
	v_mul_f32_e32 v130, v108, v141
	v_fmac_f32_e32 v6, v5, v155
	v_add_f32_e32 v1, v1, v146
	v_fma_f32 v108, v108, v139, -v132
	v_add_f32_e32 v3, v3, v144
	v_mul_f32_e32 v131, v110, v158
	v_fmac_f32_e32 v130, v109, v139
	v_add_f32_e32 v1, v1, v137
	v_mul_f32_e32 v137, v111, v158
	v_add_f32_e32 v2, v3, v2
	s_waitcnt vmcnt(17) lgkmcnt(3)
	v_mul_f32_e32 v5, v104, v133
	s_waitcnt vmcnt(6)
	v_fmac_f32_e32 v131, v111, v164
	v_add_f32_e32 v1, v1, v145
	v_mul_f32_e32 v7, v106, v134
	v_add_f32_e32 v2, v2, v4
	v_mul_f32_e32 v4, v105, v133
	v_fmac_f32_e32 v5, v105, v136
	v_add_f32_e32 v1, v1, v6
	v_fma_f32 v6, v110, v164, -v137
	v_add_f32_e32 v2, v2, v108
	v_mul_f32_e32 v108, v107, v134
	v_fma_f32 v4, v104, v136, -v4
	v_add_f32_e32 v1, v1, v130
	s_waitcnt lgkmcnt(2)
	v_mul_f32_e32 v138, v112, v159
	v_add_f32_e32 v2, v2, v6
	v_mul_f32_e32 v6, v113, v159
	v_fma_f32 v104, v106, v135, -v108
	v_add_f32_e32 v1, v1, v131
	v_fmac_f32_e32 v7, v107, v135
	v_add_f32_e32 v2, v2, v4
	v_mul_f32_e32 v4, v115, v160
	v_mul_f32_e32 v140, v114, v160
	v_add_f32_e32 v1, v1, v5
	v_fma_f32 v5, v112, v125, -v6
	v_add_f32_e32 v2, v2, v104
	v_fmac_f32_e32 v138, v113, v125
	s_waitcnt lgkmcnt(1)
	v_mul_f32_e32 v6, v117, v161
	v_add_f32_e32 v1, v1, v7
	s_waitcnt vmcnt(2)
	v_fma_f32 v4, v114, v165, -v4
	v_add_f32_e32 v2, v2, v5
	v_mul_f32_e32 v141, v116, v161
	v_fmac_f32_e32 v140, v115, v165
	v_add_f32_e32 v1, v1, v138
	v_mul_f32_e32 v5, v119, v162
	v_fma_f32 v6, v116, v128, -v6
	v_add_f32_e32 v2, v2, v4
	v_mul_f32_e32 v142, v118, v162
	v_fmac_f32_e32 v141, v117, v128
	v_add_f32_e32 v1, v1, v140
	s_waitcnt lgkmcnt(0)
	v_mul_f32_e32 v4, v121, v163
	v_fma_f32 v5, v118, v127, -v5
	v_add_f32_e32 v2, v2, v6
	v_mul_f32_e32 v143, v120, v163
	v_fmac_f32_e32 v142, v119, v127
	v_add_f32_e32 v1, v1, v141
	v_mul_f32_e32 v6, v123, v124
	v_fma_f32 v4, v120, v126, -v4
	v_add_f32_e32 v2, v2, v5
	v_mul_f32_e32 v3, v122, v124
	v_fmac_f32_e32 v143, v121, v126
	v_add_f32_e32 v1, v1, v142
	s_waitcnt vmcnt(1)
	v_fma_f32 v5, v122, v8, -v6
	v_add_f32_e32 v2, v2, v4
	v_fmac_f32_e32 v3, v123, v8
	v_add_f32_e32 v1, v1, v143
	v_add_f32_e32 v2, v2, v5
	;; [unrolled: 1-line block ×3, first 2 shown]
	s_waitcnt vmcnt(0)
	v_sub_f32_e32 v2, v129, v2
	v_sub_f32_e32 v1, v152, v1
	buffer_store_dword v2, off, s[0:3], 0 offset:16
	buffer_store_dword v1, off, s[0:3], 0 offset:20
	v_cmpx_lt_u32_e32 1, v0
	s_cbranch_execz .LBB46_293
; %bb.292:
	s_clause 0x1
	buffer_load_dword v1, off, s[0:3], 0 offset:8
	buffer_load_dword v2, off, s[0:3], 0 offset:12
	v_mov_b32_e32 v3, 0
	buffer_store_dword v3, off, s[0:3], 0 offset:8
	buffer_store_dword v3, off, s[0:3], 0 offset:12
	s_waitcnt vmcnt(0)
	ds_write_b64 v103, v[1:2]
.LBB46_293:
	s_or_b32 exec_lo, exec_lo, s4
	s_waitcnt lgkmcnt(0)
	s_waitcnt_vscnt null, 0x0
	s_barrier
	buffer_gl0_inv
	s_clause 0x2c
	buffer_load_dword v142, off, s[0:3], 0 offset:20
	buffer_load_dword v143, off, s[0:3], 0 offset:28
	;; [unrolled: 1-line block ×45, first 2 shown]
	v_mov_b32_e32 v1, 0
	ds_read_b128 v[134:137], v1 offset:400
	ds_read_b128 v[138:141], v1 offset:416
	buffer_load_dword v152, off, s[0:3], 0 offset:12
	s_mov_b32 s4, exec_lo
	s_waitcnt vmcnt(45) lgkmcnt(1)
	v_mul_f32_e32 v150, v135, v142
	v_mul_f32_e32 v142, v134, v142
	s_waitcnt vmcnt(44)
	v_mul_f32_e32 v151, v136, v143
	v_mul_f32_e32 v143, v137, v143
	s_waitcnt vmcnt(41)
	v_fma_f32 v150, v134, v131, -v150
	v_fmac_f32_e32 v142, v135, v131
	v_fmac_f32_e32 v151, v137, v127
	v_fma_f32 v143, v136, v127, -v143
	ds_read_b128 v[134:137], v1 offset:432
	s_waitcnt vmcnt(40) lgkmcnt(1)
	v_mul_f32_e32 v153, v138, v126
	v_mul_f32_e32 v126, v139, v126
	s_waitcnt vmcnt(39)
	v_mul_f32_e32 v154, v140, v124
	v_mul_f32_e32 v124, v141, v124
	v_fmac_f32_e32 v153, v139, v113
	v_fma_f32 v113, v138, v113, -v126
	s_waitcnt vmcnt(35)
	v_fmac_f32_e32 v154, v141, v132
	v_fma_f32 v155, v140, v132, -v124
	ds_read_b128 v[138:141], v1 offset:448
	s_waitcnt vmcnt(34) lgkmcnt(1)
	v_mul_f32_e32 v156, v134, v130
	v_mul_f32_e32 v124, v135, v130
	s_waitcnt vmcnt(33)
	v_mul_f32_e32 v157, v136, v129
	v_mul_f32_e32 v126, v137, v129
	ds_read_b128 v[129:132], v1 offset:464
	v_fmac_f32_e32 v156, v135, v121
	v_fma_f32 v121, v134, v121, -v124
	v_fmac_f32_e32 v157, v137, v116
	v_fma_f32 v158, v136, v116, -v126
	ds_read_b128 v[134:137], v1 offset:480
	s_waitcnt vmcnt(32) lgkmcnt(2)
	v_mul_f32_e32 v159, v138, v120
	v_mul_f32_e32 v116, v139, v120
	s_waitcnt vmcnt(31)
	v_mul_f32_e32 v120, v140, v118
	v_mul_f32_e32 v118, v141, v118
	v_fmac_f32_e32 v159, v139, v8
	v_fma_f32 v8, v138, v8, -v116
	s_waitcnt vmcnt(27)
	v_fmac_f32_e32 v120, v141, v128
	v_fma_f32 v138, v140, v128, -v118
	buffer_load_dword v141, off, s[0:3], 0 offset:204
	s_waitcnt vmcnt(27) lgkmcnt(1)
	v_mul_f32_e32 v139, v129, v125
	v_mul_f32_e32 v116, v130, v125
	s_waitcnt vmcnt(26)
	v_mul_f32_e32 v140, v131, v123
	v_mul_f32_e32 v118, v132, v123
	ds_read_b128 v[123:126], v1 offset:496
	v_fmac_f32_e32 v139, v130, v114
	v_fma_f32 v114, v129, v114, -v116
	v_fmac_f32_e32 v140, v132, v108
	v_fma_f32 v131, v131, v108, -v118
	s_waitcnt vmcnt(25) lgkmcnt(1)
	v_mul_f32_e32 v132, v134, v112
	v_mul_f32_e32 v108, v135, v112
	s_waitcnt vmcnt(24)
	v_mul_f32_e32 v112, v136, v110
	v_mul_f32_e32 v110, v137, v110
	ds_read_b128 v[127:130], v1 offset:512
	v_fmac_f32_e32 v132, v135, v4
	v_fma_f32 v134, v134, v4, -v108
	s_waitcnt vmcnt(20)
	v_fmac_f32_e32 v112, v137, v122
	v_fma_f32 v122, v136, v122, -v110
	s_waitcnt vmcnt(19) lgkmcnt(1)
	v_mul_f32_e32 v135, v123, v119
	v_mul_f32_e32 v4, v124, v119
	s_waitcnt vmcnt(18)
	v_mul_f32_e32 v136, v125, v117
	v_mul_f32_e32 v108, v126, v117
	ds_read_b128 v[116:119], v1 offset:528
	v_fmac_f32_e32 v135, v124, v107
	v_fma_f32 v123, v123, v107, -v4
	v_fmac_f32_e32 v136, v126, v104
	v_fma_f32 v124, v125, v104, -v108
	s_waitcnt vmcnt(17) lgkmcnt(1)
	v_mul_f32_e32 v125, v127, v106
	s_waitcnt vmcnt(16)
	v_mul_f32_e32 v126, v129, v105
	v_mul_f32_e32 v104, v130, v105
	;; [unrolled: 1-line block ×3, first 2 shown]
	v_fmac_f32_e32 v125, v128, v3
	s_waitcnt vmcnt(12)
	v_fmac_f32_e32 v126, v130, v115
	v_fma_f32 v115, v129, v115, -v104
	ds_read_b128 v[104:107], v1 offset:544
	v_fma_f32 v127, v127, v3, -v4
	s_waitcnt vmcnt(11) lgkmcnt(1)
	v_mul_f32_e32 v128, v116, v111
	v_mul_f32_e32 v3, v117, v111
	s_waitcnt vmcnt(10)
	v_mul_f32_e32 v129, v118, v109
	v_mul_f32_e32 v4, v119, v109
	ds_read_b128 v[108:111], v1 offset:560
	v_fmac_f32_e32 v128, v117, v7
	buffer_load_dword v117, off, s[0:3], 0 offset:196
	v_fma_f32 v7, v116, v7, -v3
	v_fma_f32 v116, v118, v5, -v4
	v_fmac_f32_e32 v129, v119, v5
	s_waitcnt vmcnt(10) lgkmcnt(1)
	v_mul_f32_e32 v118, v104, v6
	v_mul_f32_e32 v3, v105, v6
	s_waitcnt vmcnt(9)
	v_mul_f32_e32 v4, v107, v133
	v_mul_f32_e32 v6, v106, v133
	v_fmac_f32_e32 v118, v105, v2
	v_fma_f32 v119, v104, v2, -v3
	s_waitcnt vmcnt(5)
	v_fma_f32 v130, v106, v147, -v4
	ds_read_b128 v[2:5], v1 offset:576
	v_fmac_f32_e32 v6, v107, v147
	s_waitcnt vmcnt(4) lgkmcnt(1)
	v_mul_f32_e32 v133, v108, v148
	v_mul_f32_e32 v104, v109, v148
	s_waitcnt vmcnt(3)
	v_mul_f32_e32 v137, v110, v149
	v_mul_f32_e32 v105, v111, v149
	v_fmac_f32_e32 v133, v109, v146
	v_fma_f32 v108, v108, v146, -v104
	v_fmac_f32_e32 v137, v111, v145
	v_fma_f32 v109, v110, v145, -v105
	s_clause 0x5
	buffer_load_dword v110, off, s[0:3], 0 offset:224
	buffer_load_dword v111, off, s[0:3], 0 offset:216
	;; [unrolled: 1-line block ×6, first 2 shown]
	v_add_f32_e32 v104, 0, v150
	v_add_f32_e32 v105, 0, v142
	buffer_load_dword v142, off, s[0:3], 0 offset:228
	v_add_f32_e32 v104, v104, v143
	buffer_load_dword v143, off, s[0:3], 0 offset:236
	v_add_f32_e32 v105, v105, v151
	v_add_f32_e32 v104, v104, v113
	s_clause 0x3
	buffer_load_dword v113, off, s[0:3], 0 offset:256
	buffer_load_dword v149, off, s[0:3], 0 offset:248
	;; [unrolled: 1-line block ×4, first 2 shown]
	v_add_f32_e32 v105, v105, v153
	v_add_f32_e32 v104, v104, v155
	;; [unrolled: 1-line block ×4, first 2 shown]
	buffer_load_dword v121, off, s[0:3], 0 offset:244
	v_add_f32_e32 v105, v105, v156
	v_add_f32_e32 v104, v104, v158
	s_waitcnt vmcnt(13) lgkmcnt(0)
	v_mul_f32_e32 v153, v2, v117
	v_mul_f32_e32 v106, v3, v117
	v_fmac_f32_e32 v153, v3, v144
	v_fma_f32 v117, v2, v144, -v106
	v_add_f32_e32 v2, v105, v157
	v_add_f32_e32 v3, v104, v8
	ds_read_b128 v[104:107], v1 offset:592
	buffer_load_dword v8, off, s[0:3], 0 offset:252
	v_add_f32_e32 v2, v2, v159
	v_add_f32_e32 v3, v3, v138
	v_mul_f32_e32 v138, v4, v141
	v_mul_f32_e32 v141, v5, v141
	v_add_f32_e32 v2, v2, v120
	v_add_f32_e32 v3, v3, v114
	s_clause 0x1
	buffer_load_dword v120, off, s[0:3], 0 offset:260
	buffer_load_dword v114, off, s[0:3], 0 offset:268
	v_add_f32_e32 v139, v2, v139
	v_add_f32_e32 v131, v3, v131
	s_waitcnt vmcnt(12)
	v_fmac_f32_e32 v138, v5, v146
	v_fma_f32 v141, v4, v146, -v141
	ds_read_b128 v[2:5], v1 offset:608
	v_add_f32_e32 v139, v139, v140
	s_waitcnt vmcnt(11) lgkmcnt(1)
	v_mul_f32_e32 v144, v104, v147
	v_mul_f32_e32 v146, v105, v147
	v_add_f32_e32 v131, v131, v134
	s_clause 0x3
	buffer_load_dword v134, off, s[0:3], 0 offset:288
	buffer_load_dword v140, off, s[0:3], 0 offset:280
	buffer_load_dword v147, off, s[0:3], 0 offset:272
	buffer_load_dword v154, off, s[0:3], 0 offset:264
	v_fmac_f32_e32 v144, v105, v145
	v_fma_f32 v145, v104, v145, -v146
	v_add_f32_e32 v104, v139, v132
	v_add_f32_e32 v105, v131, v122
	s_waitcnt vmcnt(14)
	v_mul_f32_e32 v122, v106, v148
	v_mul_f32_e32 v131, v107, v148
	s_clause 0x1
	buffer_load_dword v132, off, s[0:3], 0 offset:276
	buffer_load_dword v139, off, s[0:3], 0 offset:284
	v_add_f32_e32 v104, v104, v112
	v_add_f32_e32 v105, v105, v123
	v_fmac_f32_e32 v122, v107, v111
	v_fma_f32 v112, v106, v111, -v131
	buffer_load_dword v146, off, s[0:3], 0 offset:292
	v_add_f32_e32 v111, v104, v135
	v_add_f32_e32 v124, v105, v124
	s_clause 0x3
	buffer_load_dword v123, off, s[0:3], 0 offset:300
	buffer_load_dword v131, off, s[0:3], 0 offset:308
	;; [unrolled: 1-line block ×4, first 2 shown]
	ds_read_b128 v[104:107], v1 offset:624
	v_add_f32_e32 v111, v111, v136
	s_waitcnt vmcnt(20) lgkmcnt(1)
	v_mul_f32_e32 v136, v2, v142
	v_mul_f32_e32 v142, v3, v142
	v_add_f32_e32 v124, v124, v127
	s_waitcnt vmcnt(19)
	v_mul_f32_e32 v127, v4, v143
	v_add_f32_e32 v111, v111, v125
	v_mul_f32_e32 v125, v5, v143
	v_fmac_f32_e32 v136, v3, v110
	v_fma_f32 v142, v2, v110, -v142
	v_add_f32_e32 v2, v124, v115
	v_add_f32_e32 v3, v111, v126
	s_clause 0x3
	buffer_load_dword v124, off, s[0:3], 0 offset:332
	buffer_load_dword v126, off, s[0:3], 0 offset:340
	buffer_load_dword v143, off, s[0:3], 0 offset:348
	buffer_load_dword v155, off, s[0:3], 0 offset:356
	s_waitcnt vmcnt(19)
	v_fmac_f32_e32 v127, v5, v151
	v_fma_f32 v125, v4, v151, -v125
	buffer_load_dword v151, off, s[0:3], 0 offset:364
	v_add_f32_e32 v3, v3, v128
	s_clause 0x4
	buffer_load_dword v128, off, s[0:3], 0 offset:320
	buffer_load_dword v156, off, s[0:3], 0 offset:312
	;; [unrolled: 1-line block ×5, first 2 shown]
	v_add_f32_e32 v2, v2, v7
	s_waitcnt vmcnt(24) lgkmcnt(0)
	v_mul_f32_e32 v111, v105, v121
	v_add_f32_e32 v7, v3, v129
	v_mul_f32_e32 v129, v104, v121
	v_add_f32_e32 v2, v2, v116
	v_fma_f32 v116, v104, v150, -v111
	v_add_f32_e32 v7, v7, v118
	v_fmac_f32_e32 v129, v105, v150
	v_add_f32_e32 v110, v2, v119
	ds_read_b128 v[2:5], v1 offset:640
	v_add_f32_e32 v6, v7, v6
	v_add_f32_e32 v110, v110, v130
	s_clause 0x3
	buffer_load_dword v121, off, s[0:3], 0 offset:352
	buffer_load_dword v130, off, s[0:3], 0 offset:344
	;; [unrolled: 1-line block ×4, first 2 shown]
	v_add_f32_e32 v6, v6, v133
	s_clause 0x1
	buffer_load_dword v133, off, s[0:3], 0 offset:368
	buffer_load_dword v161, off, s[0:3], 0 offset:360
	v_add_f32_e32 v7, v110, v108
	v_add_f32_e32 v6, v6, v137
	buffer_load_dword v137, off, s[0:3], 0 offset:8
	v_add_f32_e32 v7, v7, v109
	ds_read_b128 v[108:111], v1 offset:672
	v_add_f32_e32 v6, v6, v153
	v_add_f32_e32 v7, v7, v117
	;; [unrolled: 1-line block ×14, first 2 shown]
	s_waitcnt vmcnt(30)
	v_mul_f32_e32 v162, v106, v8
	v_mul_f32_e32 v8, v107, v8
	v_fmac_f32_e32 v162, v107, v149
	v_fma_f32 v8, v106, v149, -v8
	ds_read_b128 v[104:107], v1 offset:656
	s_waitcnt vmcnt(29) lgkmcnt(2)
	v_mul_f32_e32 v115, v3, v120
	v_mul_f32_e32 v138, v2, v120
	s_waitcnt vmcnt(28)
	v_mul_f32_e32 v120, v4, v114
	v_mul_f32_e32 v114, v5, v114
	v_add_f32_e32 v8, v7, v8
	v_fma_f32 v141, v2, v113, -v115
	v_fmac_f32_e32 v138, v3, v113
	v_add_f32_e32 v127, v127, v162
	v_add_f32_e32 v8, v8, v141
	v_add_f32_e32 v127, v127, v138
	s_waitcnt vmcnt(24)
	v_fma_f32 v144, v4, v154, -v114
	v_fmac_f32_e32 v120, v5, v154
	ds_read_b128 v[2:5], v1 offset:688
	ds_read_b128 v[112:115], v1 offset:704
	ds_read_b64 v[6:7], v1 offset:752
	v_add_f32_e32 v8, v8, v144
	v_add_f32_e32 v120, v127, v120
	s_waitcnt vmcnt(23) lgkmcnt(3)
	v_mul_f32_e32 v117, v105, v132
	v_mul_f32_e32 v122, v104, v132
	s_waitcnt vmcnt(22)
	v_mul_f32_e32 v132, v106, v139
	v_mul_f32_e32 v125, v107, v139
	v_fma_f32 v136, v104, v147, -v117
	v_fmac_f32_e32 v122, v105, v147
	v_fmac_f32_e32 v132, v107, v140
	v_fma_f32 v125, v106, v140, -v125
	s_waitcnt vmcnt(21)
	v_mul_f32_e32 v140, v109, v146
	v_add_f32_e32 v8, v8, v136
	v_mul_f32_e32 v129, v108, v146
	v_add_f32_e32 v120, v120, v122
	s_waitcnt vmcnt(20)
	v_mul_f32_e32 v139, v110, v123
	v_mul_f32_e32 v123, v111, v123
	v_fma_f32 v108, v108, v134, -v140
	v_add_f32_e32 v8, v8, v125
	v_fmac_f32_e32 v129, v109, v134
	v_add_f32_e32 v120, v120, v132
	ds_read_b128 v[116:119], v1 offset:720
	ds_read_b128 v[104:107], v1 offset:736
	s_waitcnt vmcnt(19) lgkmcnt(4)
	v_mul_f32_e32 v138, v2, v131
	v_mul_f32_e32 v131, v3, v131
	v_add_f32_e32 v8, v8, v108
	v_add_f32_e32 v108, v120, v129
	s_waitcnt vmcnt(18)
	v_mul_f32_e32 v141, v4, v135
	s_waitcnt vmcnt(9)
	v_fmac_f32_e32 v138, v3, v157
	s_waitcnt vmcnt(8)
	v_fma_f32 v110, v110, v158, -v123
	v_fmac_f32_e32 v139, v111, v158
	v_mul_f32_e32 v111, v5, v135
	v_fma_f32 v2, v2, v157, -v131
	s_waitcnt lgkmcnt(3)
	v_mul_f32_e32 v142, v112, v148
	v_add_f32_e32 v3, v8, v110
	v_add_f32_e32 v8, v108, v139
	v_mul_f32_e32 v108, v113, v148
	v_fma_f32 v4, v4, v156, -v111
	v_fmac_f32_e32 v141, v5, v156
	v_add_f32_e32 v2, v3, v2
	v_add_f32_e32 v3, v8, v138
	v_mul_f32_e32 v5, v115, v124
	v_fma_f32 v8, v112, v128, -v108
	v_mul_f32_e32 v127, v114, v124
	v_add_f32_e32 v2, v2, v4
	v_fmac_f32_e32 v142, v113, v128
	v_add_f32_e32 v3, v3, v141
	s_waitcnt lgkmcnt(1)
	v_mul_f32_e32 v4, v117, v126
	s_waitcnt vmcnt(3)
	v_fma_f32 v5, v114, v160, -v5
	v_add_f32_e32 v2, v2, v8
	v_mul_f32_e32 v136, v116, v126
	v_fmac_f32_e32 v127, v115, v160
	v_add_f32_e32 v3, v3, v142
	v_mul_f32_e32 v8, v119, v143
	v_fma_f32 v4, v116, v150, -v4
	v_add_f32_e32 v2, v2, v5
	v_mul_f32_e32 v109, v118, v143
	v_fmac_f32_e32 v136, v117, v150
	v_add_f32_e32 v3, v3, v127
	s_waitcnt lgkmcnt(0)
	v_mul_f32_e32 v5, v105, v155
	v_fma_f32 v8, v118, v130, -v8
	v_add_f32_e32 v2, v2, v4
	v_mul_f32_e32 v122, v104, v155
	v_fmac_f32_e32 v109, v119, v130
	v_add_f32_e32 v3, v3, v136
	v_mul_f32_e32 v4, v107, v151
	v_fma_f32 v5, v104, v121, -v5
	v_add_f32_e32 v2, v2, v8
	v_mul_f32_e32 v125, v106, v151
	v_fmac_f32_e32 v122, v105, v121
	v_add_f32_e32 v3, v3, v109
	v_mul_f32_e32 v8, v7, v159
	s_waitcnt vmcnt(1)
	v_fma_f32 v4, v106, v161, -v4
	v_add_f32_e32 v2, v2, v5
	v_mul_f32_e32 v132, v6, v159
	v_fmac_f32_e32 v125, v107, v161
	v_add_f32_e32 v3, v3, v122
	v_fma_f32 v5, v6, v133, -v8
	v_add_f32_e32 v2, v2, v4
	v_fmac_f32_e32 v132, v7, v133
	v_add_f32_e32 v3, v3, v125
	v_add_f32_e32 v2, v2, v5
	;; [unrolled: 1-line block ×3, first 2 shown]
	s_waitcnt vmcnt(0)
	v_sub_f32_e32 v2, v137, v2
	v_sub_f32_e32 v3, v152, v3
	buffer_store_dword v2, off, s[0:3], 0 offset:8
	buffer_store_dword v3, off, s[0:3], 0 offset:12
	v_cmpx_ne_u32_e32 0, v0
	s_cbranch_execz .LBB46_295
; %bb.294:
	s_clause 0x1
	buffer_load_dword v2, off, s[0:3], 0
	buffer_load_dword v3, off, s[0:3], 0 offset:4
	buffer_store_dword v1, off, s[0:3], 0
	buffer_store_dword v1, off, s[0:3], 0 offset:4
	s_waitcnt vmcnt(0)
	ds_write_b64 v103, v[2:3]
.LBB46_295:
	s_or_b32 exec_lo, exec_lo, s4
	s_waitcnt lgkmcnt(0)
	s_waitcnt_vscnt null, 0x0
	s_barrier
	buffer_gl0_inv
	s_clause 0x2c
	buffer_load_dword v141, off, s[0:3], 0 offset:12
	buffer_load_dword v115, off, s[0:3], 0 offset:24
	;; [unrolled: 1-line block ×45, first 2 shown]
	ds_read2_b64 v[133:136], v1 offset0:49 offset1:50
	ds_read2_b64 v[137:140], v1 offset0:51 offset1:52
	buffer_load_dword v153, off, s[0:3], 0 offset:4
	s_and_b32 vcc_lo, exec_lo, s22
	s_waitcnt vmcnt(45) lgkmcnt(1)
	v_mul_f32_e32 v151, v134, v141
	v_mul_f32_e32 v152, v133, v141
	ds_read2_b64 v[141:144], v1 offset0:53 offset1:54
	s_waitcnt vmcnt(41)
	v_mul_f32_e32 v154, v135, v129
	v_mul_f32_e32 v129, v136, v129
	v_fma_f32 v151, v133, v131, -v151
	v_fmac_f32_e32 v152, v134, v131
	s_waitcnt vmcnt(40) lgkmcnt(1)
	v_mul_f32_e32 v156, v137, v127
	v_fmac_f32_e32 v154, v136, v124
	v_fma_f32 v155, v135, v124, -v129
	v_mul_f32_e32 v124, v138, v127
	ds_read2_b64 v[133:136], v1 offset0:55 offset1:56
	v_fmac_f32_e32 v156, v138, v115
	s_waitcnt vmcnt(39)
	v_mul_f32_e32 v157, v139, v120
	v_fma_f32 v127, v137, v115, -v124
	v_mul_f32_e32 v115, v140, v120
	s_waitcnt vmcnt(35)
	v_fmac_f32_e32 v157, v140, v132
	v_fma_f32 v158, v139, v132, -v115
	s_waitcnt vmcnt(34) lgkmcnt(1)
	v_mul_f32_e32 v159, v141, v130
	v_mul_f32_e32 v115, v142, v130
	ds_read2_b64 v[129:132], v1 offset0:57 offset1:58
	ds_read2_b64 v[137:140], v1 offset0:59 offset1:60
	v_fmac_f32_e32 v159, v142, v123
	v_fma_f32 v141, v141, v123, -v115
	s_waitcnt vmcnt(33)
	v_mul_f32_e32 v142, v143, v125
	v_mul_f32_e32 v115, v144, v125
	v_fmac_f32_e32 v142, v144, v116
	v_fma_f32 v143, v143, v116, -v115
	s_waitcnt vmcnt(32) lgkmcnt(2)
	v_mul_f32_e32 v144, v133, v121
	v_mul_f32_e32 v115, v134, v121
	v_fmac_f32_e32 v144, v134, v104
	v_fma_f32 v104, v133, v104, -v115
	s_waitcnt vmcnt(31)
	v_mul_f32_e32 v133, v135, v112
	v_mul_f32_e32 v112, v136, v112
	s_waitcnt vmcnt(26) lgkmcnt(1)
	v_mul_f32_e32 v134, v129, v126
	v_fmac_f32_e32 v133, v136, v128
	v_fma_f32 v128, v135, v128, -v112
	v_mul_f32_e32 v112, v130, v126
	ds_read2_b64 v[123:126], v1 offset0:61 offset1:62
	v_fmac_f32_e32 v134, v130, v117
	s_waitcnt vmcnt(25)
	v_mul_f32_e32 v130, v131, v118
	s_waitcnt vmcnt(23) lgkmcnt(1)
	v_mul_f32_e32 v136, v139, v106
	v_fma_f32 v129, v129, v117, -v112
	v_mul_f32_e32 v112, v132, v118
	ds_read2_b64 v[115:118], v1 offset0:63 offset1:64
	v_fmac_f32_e32 v130, v132, v108
	v_mul_f32_e32 v132, v137, v113
	s_waitcnt vmcnt(19)
	v_fmac_f32_e32 v136, v140, v122
	v_fma_f32 v131, v131, v108, -v112
	v_mul_f32_e32 v108, v138, v113
	v_fmac_f32_e32 v132, v138, v4
	v_fma_f32 v135, v137, v4, -v108
	v_mul_f32_e32 v4, v140, v106
	s_waitcnt vmcnt(18) lgkmcnt(1)
	v_mul_f32_e32 v138, v123, v119
	v_fma_f32 v137, v139, v122, -v4
	v_mul_f32_e32 v4, v124, v119
	ds_read2_b64 v[119:122], v1 offset0:65 offset1:66
	v_fmac_f32_e32 v138, v124, v109
	s_waitcnt vmcnt(17)
	v_mul_f32_e32 v124, v125, v110
	v_fma_f32 v123, v123, v109, -v4
	v_mul_f32_e32 v4, v126, v110
	v_fmac_f32_e32 v124, v126, v8
	v_fma_f32 v8, v125, v8, -v4
	s_waitcnt vmcnt(16) lgkmcnt(1)
	v_mul_f32_e32 v125, v115, v107
	v_mul_f32_e32 v4, v116, v107
	ds_read2_b64 v[106:109], v1 offset0:67 offset1:68
	v_fmac_f32_e32 v125, v116, v2
	v_fma_f32 v115, v115, v2, -v4
	s_waitcnt vmcnt(15)
	v_mul_f32_e32 v116, v117, v6
	v_mul_f32_e32 v2, v118, v6
	s_waitcnt vmcnt(11)
	v_fmac_f32_e32 v116, v118, v114
	v_fma_f32 v6, v117, v114, -v2
	s_waitcnt vmcnt(10) lgkmcnt(1)
	v_mul_f32_e32 v114, v119, v111
	v_mul_f32_e32 v2, v120, v111
	ds_read2_b64 v[110:113], v1 offset0:69 offset1:70
	s_waitcnt vmcnt(9)
	v_mul_f32_e32 v118, v121, v105
	v_fmac_f32_e32 v114, v120, v103
	v_fma_f32 v117, v119, v103, -v2
	v_mul_f32_e32 v2, v122, v105
	buffer_load_dword v103, off, s[0:3], 0 offset:188
	v_fmac_f32_e32 v118, v122, v3
	s_waitcnt vmcnt(9) lgkmcnt(1)
	v_mul_f32_e32 v120, v106, v7
	v_fma_f32 v119, v121, v3, -v2
	buffer_load_dword v121, off, s[0:3], 0 offset:196
	v_mul_f32_e32 v2, v107, v7
	s_waitcnt vmcnt(9)
	v_mul_f32_e32 v7, v108, v5
	v_mul_f32_e32 v3, v109, v5
	v_fmac_f32_e32 v120, v107, v0
	v_fma_f32 v0, v106, v0, -v2
	s_waitcnt vmcnt(5)
	v_fmac_f32_e32 v7, v109, v148
	v_fma_f32 v107, v108, v148, -v3
	ds_read2_b64 v[2:5], v1 offset0:71 offset1:72
	s_waitcnt vmcnt(4) lgkmcnt(1)
	v_mul_f32_e32 v108, v110, v149
	v_mul_f32_e32 v105, v111, v149
	s_waitcnt vmcnt(3)
	v_mul_f32_e32 v109, v112, v150
	v_mul_f32_e32 v106, v113, v150
	v_fmac_f32_e32 v108, v111, v147
	v_fma_f32 v110, v110, v147, -v105
	v_fmac_f32_e32 v109, v113, v146
	v_fma_f32 v111, v112, v146, -v106
	s_clause 0x6
	buffer_load_dword v112, off, s[0:3], 0 offset:216
	buffer_load_dword v113, off, s[0:3], 0 offset:208
	buffer_load_dword v122, off, s[0:3], 0 offset:200
	buffer_load_dword v105, off, s[0:3], 0 offset:192
	buffer_load_dword v126, off, s[0:3], 0 offset:204
	buffer_load_dword v139, off, s[0:3], 0 offset:212
	buffer_load_dword v140, off, s[0:3], 0 offset:220
	v_add_f32_e32 v106, 0, v151
	v_add_f32_e32 v146, 0, v152
	;; [unrolled: 1-line block ×5, first 2 shown]
	s_clause 0x5
	buffer_load_dword v127, off, s[0:3], 0 offset:228
	buffer_load_dword v147, off, s[0:3], 0 offset:248
	;; [unrolled: 1-line block ×6, first 2 shown]
	v_add_f32_e32 v146, v146, v156
	v_add_f32_e32 v106, v106, v158
	;; [unrolled: 1-line block ×5, first 2 shown]
	s_clause 0x1
	buffer_load_dword v146, off, s[0:3], 0 offset:244
	buffer_load_dword v152, off, s[0:3], 0 offset:252
	v_add_f32_e32 v106, v106, v143
	buffer_load_dword v143, off, s[0:3], 0 offset:260
	v_add_f32_e32 v141, v141, v142
	v_add_f32_e32 v104, v106, v104
	;; [unrolled: 1-line block ×7, first 2 shown]
	s_waitcnt vmcnt(17) lgkmcnt(0)
	v_mul_f32_e32 v142, v2, v103
	v_mul_f32_e32 v103, v3, v103
	s_waitcnt vmcnt(16)
	v_mul_f32_e32 v154, v4, v121
	v_mul_f32_e32 v106, v5, v121
	v_fma_f32 v121, v2, v145, -v103
	v_add_f32_e32 v103, v141, v144
	v_fmac_f32_e32 v142, v3, v145
	v_add_f32_e32 v103, v103, v133
	v_add_f32_e32 v103, v103, v134
	s_waitcnt vmcnt(12)
	v_fmac_f32_e32 v154, v5, v105
	v_fma_f32 v128, v4, v105, -v106
	ds_read2_b64 v[2:5], v1 offset0:73 offset1:74
	s_clause 0x3
	buffer_load_dword v129, off, s[0:3], 0 offset:280
	buffer_load_dword v133, off, s[0:3], 0 offset:272
	;; [unrolled: 1-line block ×4, first 2 shown]
	v_add_f32_e32 v103, v103, v130
	s_clause 0x2
	buffer_load_dword v130, off, s[0:3], 0 offset:268
	buffer_load_dword v134, off, s[0:3], 0 offset:276
	buffer_load_dword v135, off, s[0:3], 0 offset:284
	v_add_f32_e32 v132, v103, v132
	ds_read2_b64 v[103:106], v1 offset0:75 offset1:76
	v_add_f32_e32 v132, v132, v136
	s_waitcnt vmcnt(18) lgkmcnt(1)
	v_mul_f32_e32 v137, v2, v126
	v_mul_f32_e32 v126, v3, v126
	s_waitcnt vmcnt(17)
	v_mul_f32_e32 v136, v4, v139
	v_mul_f32_e32 v139, v5, v139
	v_fmac_f32_e32 v137, v3, v122
	v_add_f32_e32 v3, v131, v123
	v_fma_f32 v122, v2, v122, -v126
	v_add_f32_e32 v2, v132, v138
	v_fmac_f32_e32 v136, v5, v113
	v_fma_f32 v113, v4, v113, -v139
	v_add_f32_e32 v3, v3, v8
	s_clause 0x7
	buffer_load_dword v8, off, s[0:3], 0 offset:292
	buffer_load_dword v123, off, s[0:3], 0 offset:300
	;; [unrolled: 1-line block ×8, first 2 shown]
	v_add_f32_e32 v2, v2, v124
	s_waitcnt vmcnt(24) lgkmcnt(0)
	v_mul_f32_e32 v4, v104, v140
	buffer_load_dword v124, off, s[0:3], 0 offset:324
	v_add_f32_e32 v3, v3, v115
	v_mul_f32_e32 v115, v103, v140
	v_add_f32_e32 v2, v2, v125
	v_add_f32_e32 v3, v3, v6
	v_fmac_f32_e32 v115, v104, v112
	v_fma_f32 v112, v103, v112, -v4
	v_add_f32_e32 v2, v2, v116
	s_clause 0x2
	buffer_load_dword v6, off, s[0:3], 0 offset:332
	buffer_load_dword v125, off, s[0:3], 0 offset:340
	;; [unrolled: 1-line block ×3, first 2 shown]
	v_add_f32_e32 v103, v3, v117
	s_waitcnt vmcnt(27)
	v_mul_f32_e32 v3, v106, v127
	s_clause 0x1
	buffer_load_dword v155, off, s[0:3], 0 offset:356
	buffer_load_dword v156, off, s[0:3], 0 offset:364
	v_mul_f32_e32 v116, v105, v127
	v_add_f32_e32 v104, v2, v114
	buffer_load_dword v127, off, s[0:3], 0 offset:372
	s_waitcnt vmcnt(26)
	v_fma_f32 v117, v105, v150, -v3
	ds_read2_b64 v[2:5], v1 offset0:77 offset1:78
	v_fmac_f32_e32 v116, v106, v150
	v_add_f32_e32 v103, v103, v119
	v_add_f32_e32 v104, v104, v118
	s_clause 0x3
	buffer_load_dword v150, off, s[0:3], 0 offset:344
	buffer_load_dword v157, off, s[0:3], 0 offset:336
	;; [unrolled: 1-line block ×4, first 2 shown]
	v_add_f32_e32 v0, v103, v0
	v_add_f32_e32 v103, v104, v120
	;; [unrolled: 1-line block ×4, first 2 shown]
	ds_read2_b64 v[103:106], v1 offset0:79 offset1:80
	v_add_f32_e32 v0, v0, v110
	v_add_f32_e32 v7, v7, v108
	s_waitcnt vmcnt(29) lgkmcnt(1)
	v_mul_f32_e32 v118, v2, v151
	v_mul_f32_e32 v107, v3, v151
	v_add_f32_e32 v0, v0, v111
	s_waitcnt vmcnt(28)
	v_mul_f32_e32 v120, v4, v146
	v_fmac_f32_e32 v118, v3, v149
	v_fma_f32 v119, v2, v149, -v107
	v_add_f32_e32 v2, v7, v109
	s_clause 0x3
	buffer_load_dword v7, off, s[0:3], 0 offset:368
	buffer_load_dword v149, off, s[0:3], 0 offset:360
	;; [unrolled: 1-line block ×3, first 2 shown]
	buffer_load_dword v160, off, s[0:3], 0
	v_add_f32_e32 v0, v0, v121
	v_fmac_f32_e32 v120, v5, v148
	v_add_f32_e32 v107, v2, v142
	v_mul_f32_e32 v2, v5, v146
	s_waitcnt vmcnt(31) lgkmcnt(0)
	v_mul_f32_e32 v111, v104, v152
	v_add_f32_e32 v0, v0, v128
	v_mul_f32_e32 v128, v103, v152
	v_add_f32_e32 v107, v107, v154
	v_fma_f32 v121, v4, v148, -v2
	ds_read2_b64 v[2:5], v1 offset0:81 offset1:82
	v_add_f32_e32 v0, v0, v122
	s_waitcnt vmcnt(30)
	v_mul_f32_e32 v142, v105, v143
	v_add_f32_e32 v114, v107, v137
	ds_read2_b64 v[107:110], v1 offset0:83 offset1:84
	v_fma_f32 v137, v103, v147, -v111
	v_add_f32_e32 v0, v0, v113
	v_mul_f32_e32 v113, v106, v143
	v_add_f32_e32 v122, v114, v136
	v_fmac_f32_e32 v128, v104, v147
	v_add_f32_e32 v0, v0, v112
	v_add_f32_e32 v115, v122, v115
	;; [unrolled: 1-line block ×8, first 2 shown]
	s_waitcnt vmcnt(26)
	v_fma_f32 v136, v105, v144, -v113
	v_fmac_f32_e32 v142, v106, v144
	s_waitcnt vmcnt(25) lgkmcnt(1)
	v_mul_f32_e32 v143, v2, v130
	v_mul_f32_e32 v122, v3, v130
	s_waitcnt vmcnt(24)
	v_mul_f32_e32 v130, v4, v134
	v_mul_f32_e32 v117, v5, v134
	ds_read2_b64 v[103:106], v1 offset0:85 offset1:86
	ds_read2_b64 v[111:114], v1 offset0:87 offset1:88
	v_fmac_f32_e32 v143, v3, v141
	v_fma_f32 v134, v2, v141, -v122
	v_add_f32_e32 v141, v119, v120
	v_add_f32_e32 v0, v0, v136
	v_fmac_f32_e32 v130, v5, v133
	v_fma_f32 v133, v4, v133, -v117
	ds_read2_b64 v[2:5], v1 offset0:89 offset1:90
	ds_read2_b64 v[115:118], v1 offset0:91 offset1:92
	v_add_f32_e32 v128, v141, v128
	ds_read2_b64 v[119:122], v1 offset0:93 offset1:94
	s_waitcnt vmcnt(23) lgkmcnt(5)
	v_mul_f32_e32 v1, v107, v135
	v_mul_f32_e32 v135, v108, v135
	v_add_f32_e32 v0, v0, v134
	v_add_f32_e32 v128, v128, v142
	v_fmac_f32_e32 v1, v108, v129
	v_fma_f32 v107, v107, v129, -v135
	v_add_f32_e32 v0, v0, v133
	v_add_f32_e32 v128, v128, v143
	s_waitcnt vmcnt(22)
	v_mul_f32_e32 v137, v109, v8
	v_mul_f32_e32 v8, v110, v8
	s_waitcnt vmcnt(21) lgkmcnt(4)
	v_mul_f32_e32 v136, v103, v123
	v_mul_f32_e32 v123, v104, v123
	v_add_f32_e32 v128, v128, v130
	v_add_f32_e32 v0, v0, v107
	s_waitcnt vmcnt(15)
	v_fma_f32 v8, v109, v145, -v8
	v_fmac_f32_e32 v137, v110, v145
	v_mul_f32_e32 v108, v105, v126
	v_add_f32_e32 v1, v128, v1
	v_mul_f32_e32 v126, v106, v126
	v_fma_f32 v103, v103, v139, -v123
	v_add_f32_e32 v0, v0, v8
	v_fmac_f32_e32 v136, v104, v139
	v_add_f32_e32 v1, v1, v137
	s_waitcnt lgkmcnt(3)
	v_mul_f32_e32 v8, v112, v131
	v_fma_f32 v104, v105, v138, -v126
	v_add_f32_e32 v0, v0, v103
	v_mul_f32_e32 v129, v111, v131
	v_fmac_f32_e32 v108, v106, v138
	v_add_f32_e32 v1, v1, v136
	s_waitcnt vmcnt(14)
	v_mul_f32_e32 v103, v114, v124
	v_fma_f32 v8, v111, v132, -v8
	v_add_f32_e32 v0, v0, v104
	v_mul_f32_e32 v134, v113, v124
	v_fmac_f32_e32 v129, v112, v132
	v_add_f32_e32 v1, v1, v108
	s_waitcnt vmcnt(13) lgkmcnt(2)
	v_mul_f32_e32 v135, v2, v6
	v_mul_f32_e32 v6, v3, v6
	v_add_f32_e32 v0, v0, v8
	s_waitcnt vmcnt(12)
	v_mul_f32_e32 v8, v5, v125
	s_waitcnt vmcnt(4)
	v_fma_f32 v103, v113, v159, -v103
	v_fmac_f32_e32 v134, v114, v159
	v_add_f32_e32 v1, v1, v129
	v_fma_f32 v2, v2, v158, -v6
	v_mul_f32_e32 v109, v4, v125
	v_add_f32_e32 v0, v0, v103
	v_fmac_f32_e32 v135, v3, v158
	v_add_f32_e32 v1, v1, v134
	s_waitcnt lgkmcnt(1)
	v_mul_f32_e32 v3, v116, v140
	v_fma_f32 v4, v4, v157, -v8
	v_add_f32_e32 v0, v0, v2
	v_mul_f32_e32 v110, v115, v140
	v_fmac_f32_e32 v109, v5, v157
	v_add_f32_e32 v1, v1, v135
	v_mul_f32_e32 v2, v118, v155
	v_fma_f32 v3, v115, v150, -v3
	v_add_f32_e32 v0, v0, v4
	v_mul_f32_e32 v130, v117, v155
	v_fmac_f32_e32 v110, v116, v150
	v_add_f32_e32 v1, v1, v109
	s_waitcnt lgkmcnt(0)
	v_mul_f32_e32 v4, v120, v156
	v_add_f32_e32 v0, v0, v3
	v_mul_f32_e32 v133, v119, v156
	v_mul_f32_e32 v3, v122, v127
	s_waitcnt vmcnt(1)
	v_fma_f32 v2, v117, v151, -v2
	v_fmac_f32_e32 v130, v118, v151
	v_add_f32_e32 v1, v1, v110
	v_fma_f32 v4, v119, v149, -v4
	v_mul_f32_e32 v107, v121, v127
	v_add_f32_e32 v0, v0, v2
	v_fmac_f32_e32 v133, v120, v149
	v_add_f32_e32 v1, v1, v130
	v_fma_f32 v2, v121, v7, -v3
	v_fmac_f32_e32 v107, v122, v7
	v_add_f32_e32 v0, v0, v4
	v_add_f32_e32 v1, v1, v133
	;; [unrolled: 1-line block ×4, first 2 shown]
	s_waitcnt vmcnt(0)
	v_sub_f32_e32 v0, v160, v0
	v_sub_f32_e32 v1, v153, v1
	buffer_store_dword v0, off, s[0:3], 0
	buffer_store_dword v1, off, s[0:3], 0 offset:4
	s_cbranch_vccz .LBB46_388
; %bb.296:
	v_mov_b32_e32 v0, 0
	global_load_dword v1, v0, s[20:21] offset:180
	s_waitcnt vmcnt(0)
	v_add_nc_u32_e32 v1, -1, v1
	v_cmp_ne_u32_e32 vcc_lo, 45, v1
	s_cbranch_vccz .LBB46_298
; %bb.297:
	v_lshlrev_b32_e32 v1, 3, v1
	s_clause 0x3
	buffer_load_dword v2, v1, s[0:3], 0 offen
	buffer_load_dword v3, v1, s[0:3], 0 offen offset:4
	buffer_load_dword v4, off, s[0:3], 0 offset:360
	buffer_load_dword v5, off, s[0:3], 0 offset:364
	s_waitcnt vmcnt(3)
	buffer_store_dword v2, off, s[0:3], 0 offset:360
	s_waitcnt vmcnt(2)
	buffer_store_dword v3, off, s[0:3], 0 offset:364
	s_waitcnt vmcnt(1)
	buffer_store_dword v4, v1, s[0:3], 0 offen
	s_waitcnt vmcnt(0)
	buffer_store_dword v5, v1, s[0:3], 0 offen offset:4
.LBB46_298:
	global_load_dword v0, v0, s[20:21] offset:176
	s_waitcnt vmcnt(0)
	v_add_nc_u32_e32 v0, -1, v0
	v_cmp_eq_u32_e32 vcc_lo, 44, v0
	s_cbranch_vccnz .LBB46_300
; %bb.299:
	v_lshlrev_b32_e32 v0, 3, v0
	s_clause 0x3
	buffer_load_dword v1, v0, s[0:3], 0 offen
	buffer_load_dword v2, v0, s[0:3], 0 offen offset:4
	buffer_load_dword v3, off, s[0:3], 0 offset:356
	buffer_load_dword v4, off, s[0:3], 0 offset:352
	s_waitcnt vmcnt(3)
	buffer_store_dword v1, off, s[0:3], 0 offset:352
	s_waitcnt vmcnt(2)
	buffer_store_dword v2, off, s[0:3], 0 offset:356
	s_waitcnt vmcnt(1)
	buffer_store_dword v3, v0, s[0:3], 0 offen offset:4
	s_waitcnt vmcnt(0)
	buffer_store_dword v4, v0, s[0:3], 0 offen
.LBB46_300:
	v_mov_b32_e32 v0, 0
	global_load_dword v1, v0, s[20:21] offset:172
	s_waitcnt vmcnt(0)
	v_add_nc_u32_e32 v1, -1, v1
	v_cmp_eq_u32_e32 vcc_lo, 43, v1
	s_cbranch_vccnz .LBB46_302
; %bb.301:
	v_lshlrev_b32_e32 v1, 3, v1
	s_clause 0x3
	buffer_load_dword v2, v1, s[0:3], 0 offen
	buffer_load_dword v3, v1, s[0:3], 0 offen offset:4
	buffer_load_dword v4, off, s[0:3], 0 offset:344
	buffer_load_dword v5, off, s[0:3], 0 offset:348
	s_waitcnt vmcnt(3)
	buffer_store_dword v2, off, s[0:3], 0 offset:344
	s_waitcnt vmcnt(2)
	buffer_store_dword v3, off, s[0:3], 0 offset:348
	s_waitcnt vmcnt(1)
	buffer_store_dword v4, v1, s[0:3], 0 offen
	s_waitcnt vmcnt(0)
	buffer_store_dword v5, v1, s[0:3], 0 offen offset:4
.LBB46_302:
	global_load_dword v0, v0, s[20:21] offset:168
	s_waitcnt vmcnt(0)
	v_add_nc_u32_e32 v0, -1, v0
	v_cmp_eq_u32_e32 vcc_lo, 42, v0
	s_cbranch_vccnz .LBB46_304
; %bb.303:
	v_lshlrev_b32_e32 v0, 3, v0
	s_clause 0x3
	buffer_load_dword v1, v0, s[0:3], 0 offen
	buffer_load_dword v2, v0, s[0:3], 0 offen offset:4
	buffer_load_dword v3, off, s[0:3], 0 offset:340
	buffer_load_dword v4, off, s[0:3], 0 offset:336
	s_waitcnt vmcnt(3)
	buffer_store_dword v1, off, s[0:3], 0 offset:336
	s_waitcnt vmcnt(2)
	buffer_store_dword v2, off, s[0:3], 0 offset:340
	s_waitcnt vmcnt(1)
	buffer_store_dword v3, v0, s[0:3], 0 offen offset:4
	s_waitcnt vmcnt(0)
	buffer_store_dword v4, v0, s[0:3], 0 offen
.LBB46_304:
	v_mov_b32_e32 v0, 0
	global_load_dword v1, v0, s[20:21] offset:164
	s_waitcnt vmcnt(0)
	v_add_nc_u32_e32 v1, -1, v1
	v_cmp_eq_u32_e32 vcc_lo, 41, v1
	s_cbranch_vccnz .LBB46_306
; %bb.305:
	v_lshlrev_b32_e32 v1, 3, v1
	s_clause 0x3
	buffer_load_dword v2, v1, s[0:3], 0 offen
	buffer_load_dword v3, v1, s[0:3], 0 offen offset:4
	buffer_load_dword v4, off, s[0:3], 0 offset:328
	buffer_load_dword v5, off, s[0:3], 0 offset:332
	s_waitcnt vmcnt(3)
	buffer_store_dword v2, off, s[0:3], 0 offset:328
	s_waitcnt vmcnt(2)
	buffer_store_dword v3, off, s[0:3], 0 offset:332
	s_waitcnt vmcnt(1)
	buffer_store_dword v4, v1, s[0:3], 0 offen
	s_waitcnt vmcnt(0)
	buffer_store_dword v5, v1, s[0:3], 0 offen offset:4
.LBB46_306:
	;; [unrolled: 43-line block ×22, first 2 shown]
	global_load_dword v0, v0, s[20:21]
	s_waitcnt vmcnt(0)
	v_add_nc_u32_e32 v0, -1, v0
	v_cmp_eq_u32_e32 vcc_lo, 0, v0
	s_cbranch_vccnz .LBB46_388
; %bb.387:
	v_lshlrev_b32_e32 v0, 3, v0
	s_clause 0x3
	buffer_load_dword v1, v0, s[0:3], 0 offen
	buffer_load_dword v2, v0, s[0:3], 0 offen offset:4
	buffer_load_dword v3, off, s[0:3], 0 offset:4
	buffer_load_dword v4, off, s[0:3], 0
	s_waitcnt vmcnt(3)
	buffer_store_dword v1, off, s[0:3], 0
	s_waitcnt vmcnt(2)
	buffer_store_dword v2, off, s[0:3], 0 offset:4
	s_waitcnt vmcnt(1)
	buffer_store_dword v3, v0, s[0:3], 0 offen offset:4
	s_waitcnt vmcnt(0)
	buffer_store_dword v4, v0, s[0:3], 0 offen
.LBB46_388:
	s_clause 0x3e
	buffer_load_dword v0, off, s[0:3], 0
	buffer_load_dword v1, off, s[0:3], 0 offset:4
	buffer_load_dword v2, off, s[0:3], 0 offset:8
	;; [unrolled: 1-line block ×62, first 2 shown]
	s_clause 0x1e
	buffer_load_dword v158, off, s[0:3], 0 offset:252
	buffer_load_dword v159, off, s[0:3], 0 offset:256
	;; [unrolled: 1-line block ×31, first 2 shown]
	s_waitcnt vmcnt(62)
	global_store_dwordx2 v[87:88], v[0:1], off
	global_store_dwordx2 v[91:92], v[2:3], off
	;; [unrolled: 1-line block ×16, first 2 shown]
	s_waitcnt vmcnt(60)
	global_store_dwordx2 v[37:38], v[127:128], off
	s_waitcnt vmcnt(58)
	global_store_dwordx2 v[39:40], v[129:130], off
	;; [unrolled: 2-line block ×31, first 2 shown]
	s_endpgm
	.section	.rodata,"a",@progbits
	.p2align	6, 0x0
	.amdhsa_kernel _ZN9rocsolver6v33100L18getri_kernel_smallILi47E19rocblas_complex_numIfEPS3_EEvT1_iilPiilS6_bb
		.amdhsa_group_segment_fixed_size 760
		.amdhsa_private_segment_fixed_size 384
		.amdhsa_kernarg_size 60
		.amdhsa_user_sgpr_count 6
		.amdhsa_user_sgpr_private_segment_buffer 1
		.amdhsa_user_sgpr_dispatch_ptr 0
		.amdhsa_user_sgpr_queue_ptr 0
		.amdhsa_user_sgpr_kernarg_segment_ptr 1
		.amdhsa_user_sgpr_dispatch_id 0
		.amdhsa_user_sgpr_flat_scratch_init 0
		.amdhsa_user_sgpr_private_segment_size 0
		.amdhsa_wavefront_size32 1
		.amdhsa_uses_dynamic_stack 0
		.amdhsa_system_sgpr_private_segment_wavefront_offset 1
		.amdhsa_system_sgpr_workgroup_id_x 1
		.amdhsa_system_sgpr_workgroup_id_y 0
		.amdhsa_system_sgpr_workgroup_id_z 0
		.amdhsa_system_sgpr_workgroup_info 0
		.amdhsa_system_vgpr_workitem_id 0
		.amdhsa_next_free_vgpr 254
		.amdhsa_next_free_sgpr 23
		.amdhsa_reserve_vcc 1
		.amdhsa_reserve_flat_scratch 0
		.amdhsa_float_round_mode_32 0
		.amdhsa_float_round_mode_16_64 0
		.amdhsa_float_denorm_mode_32 3
		.amdhsa_float_denorm_mode_16_64 3
		.amdhsa_dx10_clamp 1
		.amdhsa_ieee_mode 1
		.amdhsa_fp16_overflow 0
		.amdhsa_workgroup_processor_mode 1
		.amdhsa_memory_ordered 1
		.amdhsa_forward_progress 1
		.amdhsa_shared_vgpr_count 0
		.amdhsa_exception_fp_ieee_invalid_op 0
		.amdhsa_exception_fp_denorm_src 0
		.amdhsa_exception_fp_ieee_div_zero 0
		.amdhsa_exception_fp_ieee_overflow 0
		.amdhsa_exception_fp_ieee_underflow 0
		.amdhsa_exception_fp_ieee_inexact 0
		.amdhsa_exception_int_div_zero 0
	.end_amdhsa_kernel
	.section	.text._ZN9rocsolver6v33100L18getri_kernel_smallILi47E19rocblas_complex_numIfEPS3_EEvT1_iilPiilS6_bb,"axG",@progbits,_ZN9rocsolver6v33100L18getri_kernel_smallILi47E19rocblas_complex_numIfEPS3_EEvT1_iilPiilS6_bb,comdat
.Lfunc_end46:
	.size	_ZN9rocsolver6v33100L18getri_kernel_smallILi47E19rocblas_complex_numIfEPS3_EEvT1_iilPiilS6_bb, .Lfunc_end46-_ZN9rocsolver6v33100L18getri_kernel_smallILi47E19rocblas_complex_numIfEPS3_EEvT1_iilPiilS6_bb
                                        ; -- End function
	.set _ZN9rocsolver6v33100L18getri_kernel_smallILi47E19rocblas_complex_numIfEPS3_EEvT1_iilPiilS6_bb.num_vgpr, 254
	.set _ZN9rocsolver6v33100L18getri_kernel_smallILi47E19rocblas_complex_numIfEPS3_EEvT1_iilPiilS6_bb.num_agpr, 0
	.set _ZN9rocsolver6v33100L18getri_kernel_smallILi47E19rocblas_complex_numIfEPS3_EEvT1_iilPiilS6_bb.numbered_sgpr, 23
	.set _ZN9rocsolver6v33100L18getri_kernel_smallILi47E19rocblas_complex_numIfEPS3_EEvT1_iilPiilS6_bb.num_named_barrier, 0
	.set _ZN9rocsolver6v33100L18getri_kernel_smallILi47E19rocblas_complex_numIfEPS3_EEvT1_iilPiilS6_bb.private_seg_size, 384
	.set _ZN9rocsolver6v33100L18getri_kernel_smallILi47E19rocblas_complex_numIfEPS3_EEvT1_iilPiilS6_bb.uses_vcc, 1
	.set _ZN9rocsolver6v33100L18getri_kernel_smallILi47E19rocblas_complex_numIfEPS3_EEvT1_iilPiilS6_bb.uses_flat_scratch, 0
	.set _ZN9rocsolver6v33100L18getri_kernel_smallILi47E19rocblas_complex_numIfEPS3_EEvT1_iilPiilS6_bb.has_dyn_sized_stack, 0
	.set _ZN9rocsolver6v33100L18getri_kernel_smallILi47E19rocblas_complex_numIfEPS3_EEvT1_iilPiilS6_bb.has_recursion, 0
	.set _ZN9rocsolver6v33100L18getri_kernel_smallILi47E19rocblas_complex_numIfEPS3_EEvT1_iilPiilS6_bb.has_indirect_call, 0
	.section	.AMDGPU.csdata,"",@progbits
; Kernel info:
; codeLenInByte = 87536
; TotalNumSgprs: 25
; NumVgprs: 254
; ScratchSize: 384
; MemoryBound: 0
; FloatMode: 240
; IeeeMode: 1
; LDSByteSize: 760 bytes/workgroup (compile time only)
; SGPRBlocks: 0
; VGPRBlocks: 31
; NumSGPRsForWavesPerEU: 25
; NumVGPRsForWavesPerEU: 254
; Occupancy: 4
; WaveLimiterHint : 1
; COMPUTE_PGM_RSRC2:SCRATCH_EN: 1
; COMPUTE_PGM_RSRC2:USER_SGPR: 6
; COMPUTE_PGM_RSRC2:TRAP_HANDLER: 0
; COMPUTE_PGM_RSRC2:TGID_X_EN: 1
; COMPUTE_PGM_RSRC2:TGID_Y_EN: 0
; COMPUTE_PGM_RSRC2:TGID_Z_EN: 0
; COMPUTE_PGM_RSRC2:TIDIG_COMP_CNT: 0
	.section	.text._ZN9rocsolver6v33100L18getri_kernel_smallILi48E19rocblas_complex_numIfEPS3_EEvT1_iilPiilS6_bb,"axG",@progbits,_ZN9rocsolver6v33100L18getri_kernel_smallILi48E19rocblas_complex_numIfEPS3_EEvT1_iilPiilS6_bb,comdat
	.globl	_ZN9rocsolver6v33100L18getri_kernel_smallILi48E19rocblas_complex_numIfEPS3_EEvT1_iilPiilS6_bb ; -- Begin function _ZN9rocsolver6v33100L18getri_kernel_smallILi48E19rocblas_complex_numIfEPS3_EEvT1_iilPiilS6_bb
	.p2align	8
	.type	_ZN9rocsolver6v33100L18getri_kernel_smallILi48E19rocblas_complex_numIfEPS3_EEvT1_iilPiilS6_bb,@function
_ZN9rocsolver6v33100L18getri_kernel_smallILi48E19rocblas_complex_numIfEPS3_EEvT1_iilPiilS6_bb: ; @_ZN9rocsolver6v33100L18getri_kernel_smallILi48E19rocblas_complex_numIfEPS3_EEvT1_iilPiilS6_bb
; %bb.0:
	s_add_u32 s0, s0, s7
	s_addc_u32 s1, s1, 0
	s_mov_b32 s7, exec_lo
	v_cmpx_gt_u32_e32 48, v0
	s_cbranch_execz .LBB47_206
; %bb.1:
	s_clause 0x2
	s_load_dword s7, s[4:5], 0x38
	s_load_dwordx4 s[16:19], s[4:5], 0x10
	s_load_dwordx4 s[8:11], s[4:5], 0x28
                                        ; implicit-def: $sgpr20_sgpr21
	s_waitcnt lgkmcnt(0)
	s_bitcmp1_b32 s7, 8
	s_cselect_b32 s22, -1, 0
	s_bfe_u32 s12, s7, 0x10008
	s_ashr_i32 s7, s6, 31
	s_cmp_eq_u32 s12, 0
	s_cbranch_scc1 .LBB47_3
; %bb.2:
	s_load_dword s12, s[4:5], 0x20
	s_mul_i32 s13, s8, s7
	s_mul_hi_u32 s14, s8, s6
	s_mul_i32 s9, s9, s6
	s_add_i32 s13, s14, s13
	s_mul_i32 s8, s8, s6
	s_add_i32 s9, s13, s9
	s_lshl_b64 s[8:9], s[8:9], 2
	s_waitcnt lgkmcnt(0)
	s_ashr_i32 s13, s12, 31
	s_add_u32 s14, s18, s8
	s_addc_u32 s15, s19, s9
	s_lshl_b64 s[8:9], s[12:13], 2
	s_add_u32 s20, s14, s8
	s_addc_u32 s21, s15, s9
.LBB47_3:
	s_clause 0x1
	s_load_dwordx4 s[12:15], s[4:5], 0x0
	s_load_dword s8, s[4:5], 0x38
	s_mul_i32 s4, s16, s7
	s_mul_hi_u32 s5, s16, s6
	s_mul_i32 s9, s17, s6
	s_add_i32 s5, s5, s4
	s_mul_i32 s4, s16, s6
	s_add_i32 s5, s5, s9
	s_lshl_b64 s[4:5], s[4:5], 3
	s_waitcnt lgkmcnt(0)
	v_add3_u32 v1, s15, s15, v0
	s_ashr_i32 s17, s14, 31
	s_mov_b32 s16, s14
	s_add_u32 s9, s12, s4
	s_addc_u32 s12, s13, s5
	v_add_nc_u32_e32 v3, s15, v1
	v_ashrrev_i32_e32 v2, 31, v1
	s_lshl_b64 s[4:5], s[16:17], 3
	s_add_u32 s4, s9, s4
	v_add_nc_u32_e32 v5, s15, v3
	v_ashrrev_i32_e32 v4, 31, v3
	v_lshlrev_b64 v[1:2], 3, v[1:2]
	s_addc_u32 s5, s12, s5
	s_mov_b32 s12, s15
	v_ashrrev_i32_e32 v6, 31, v5
	v_add_nc_u32_e32 v7, s15, v5
	v_lshlrev_b64 v[3:4], 3, v[3:4]
	v_add_co_u32 v9, vcc_lo, s4, v1
	v_add_co_ci_u32_e64 v10, null, s5, v2, vcc_lo
	v_lshlrev_b64 v[1:2], 3, v[5:6]
	v_ashrrev_i32_e32 v8, 31, v7
	v_add_nc_u32_e32 v5, s15, v7
	v_add_co_u32 v11, vcc_lo, s4, v3
	v_add_co_ci_u32_e64 v12, null, s5, v4, vcc_lo
	v_lshlrev_b64 v[3:4], 3, v[7:8]
	v_ashrrev_i32_e32 v6, 31, v5
	v_add_nc_u32_e32 v7, s15, v5
	;; [unrolled: 5-line block ×33, first 2 shown]
	v_add_co_u32 v75, vcc_lo, s4, v3
	v_add_co_ci_u32_e64 v76, null, s5, v4, vcc_lo
	v_lshlrev_b64 v[3:4], 3, v[7:8]
	v_add_nc_u32_e32 v7, s15, v5
	v_ashrrev_i32_e32 v6, 31, v5
	v_add_co_u32 v77, vcc_lo, s4, v1
	v_add_co_ci_u32_e64 v78, null, s5, v2, vcc_lo
	v_ashrrev_i32_e32 v8, 31, v7
	v_lshlrev_b64 v[1:2], 3, v[5:6]
	v_add_co_u32 v79, vcc_lo, s4, v3
	v_add_nc_u32_e32 v5, s15, v7
	v_add_co_ci_u32_e64 v80, null, s5, v4, vcc_lo
	v_lshlrev_b64 v[3:4], 3, v[7:8]
	v_add_co_u32 v81, vcc_lo, s4, v1
	v_ashrrev_i32_e32 v6, 31, v5
	v_add_nc_u32_e32 v1, s15, v5
	v_add_co_ci_u32_e64 v82, null, s5, v2, vcc_lo
	v_add_co_u32 v83, vcc_lo, s4, v3
	v_add_co_ci_u32_e64 v84, null, s5, v4, vcc_lo
	v_lshlrev_b64 v[4:5], 3, v[5:6]
	v_add_nc_u32_e32 v6, s15, v1
	v_lshlrev_b32_e32 v3, 3, v0
	v_ashrrev_i32_e32 v2, 31, v1
	s_ashr_i32 s13, s15, 31
	v_add_nc_u32_e32 v95, s15, v6
	v_add_co_u32 v89, s9, s4, v3
	v_ashrrev_i32_e32 v7, 31, v6
	v_add_co_ci_u32_e64 v90, null, s5, 0, s9
	v_add_nc_u32_e32 v97, s15, v95
	v_ashrrev_i32_e32 v96, 31, v95
	s_lshl_b64 s[12:13], s[12:13], 3
	v_lshlrev_b64 v[1:2], 3, v[1:2]
	v_add_co_u32 v91, vcc_lo, v89, s12
	v_add_nc_u32_e32 v99, s15, v97
	v_ashrrev_i32_e32 v98, 31, v97
	v_lshlrev_b64 v[6:7], 3, v[6:7]
	v_add_co_ci_u32_e64 v92, null, s13, v90, vcc_lo
	v_add_nc_u32_e32 v101, s15, v99
	v_ashrrev_i32_e32 v100, 31, v99
	v_add_co_u32 v85, vcc_lo, s4, v4
	v_lshlrev_b64 v[95:96], 3, v[95:96]
	v_add_nc_u32_e32 v103, s15, v101
	v_ashrrev_i32_e32 v102, 31, v101
	v_add_co_ci_u32_e64 v86, null, s5, v5, vcc_lo
	v_add_co_u32 v87, vcc_lo, s4, v1
	v_lshlrev_b64 v[97:98], 3, v[97:98]
	v_ashrrev_i32_e32 v104, 31, v103
	v_add_co_ci_u32_e64 v88, null, s5, v2, vcc_lo
	v_add_co_u32 v93, vcc_lo, s4, v6
	v_lshlrev_b64 v[99:100], 3, v[99:100]
	v_add_co_ci_u32_e64 v94, null, s5, v7, vcc_lo
	v_add_co_u32 v95, vcc_lo, s4, v95
	v_lshlrev_b64 v[101:102], 3, v[101:102]
	;; [unrolled: 3-line block ×3, first 2 shown]
	v_add_co_ci_u32_e64 v98, null, s5, v98, vcc_lo
	v_add_co_u32 v99, vcc_lo, s4, v99
	v_add_co_ci_u32_e64 v100, null, s5, v100, vcc_lo
	v_add_co_u32 v101, vcc_lo, s4, v101
	;; [unrolled: 2-line block ×3, first 2 shown]
	v_add_co_ci_u32_e64 v104, null, s5, v104, vcc_lo
	s_clause 0x2f
	global_load_dwordx2 v[4:5], v3, s[4:5]
	global_load_dwordx2 v[105:106], v[91:92], off
	global_load_dwordx2 v[107:108], v[9:10], off
	;; [unrolled: 1-line block ×47, first 2 shown]
	s_mov_b32 s5, -1
	s_bitcmp0_b32 s8, 0
	s_waitcnt vmcnt(47)
	buffer_store_dword v5, off, s[0:3], 0 offset:4
	buffer_store_dword v4, off, s[0:3], 0
	s_waitcnt vmcnt(46)
	buffer_store_dword v106, off, s[0:3], 0 offset:12
	buffer_store_dword v105, off, s[0:3], 0 offset:8
	s_waitcnt vmcnt(45)
	buffer_store_dword v108, off, s[0:3], 0 offset:20
	buffer_store_dword v107, off, s[0:3], 0 offset:16
	s_waitcnt vmcnt(44)
	buffer_store_dword v110, off, s[0:3], 0 offset:28
	buffer_store_dword v109, off, s[0:3], 0 offset:24
	s_waitcnt vmcnt(43)
	buffer_store_dword v112, off, s[0:3], 0 offset:36
	buffer_store_dword v111, off, s[0:3], 0 offset:32
	s_waitcnt vmcnt(42)
	buffer_store_dword v114, off, s[0:3], 0 offset:44
	buffer_store_dword v113, off, s[0:3], 0 offset:40
	s_waitcnt vmcnt(41)
	buffer_store_dword v2, off, s[0:3], 0 offset:52
	buffer_store_dword v1, off, s[0:3], 0 offset:48
	s_waitcnt vmcnt(40)
	buffer_store_dword v116, off, s[0:3], 0 offset:60
	buffer_store_dword v115, off, s[0:3], 0 offset:56
	s_waitcnt vmcnt(39)
	buffer_store_dword v118, off, s[0:3], 0 offset:68
	buffer_store_dword v117, off, s[0:3], 0 offset:64
	s_waitcnt vmcnt(38)
	buffer_store_dword v119, off, s[0:3], 0 offset:72
	buffer_store_dword v120, off, s[0:3], 0 offset:76
	s_waitcnt vmcnt(37)
	buffer_store_dword v121, off, s[0:3], 0 offset:80
	buffer_store_dword v122, off, s[0:3], 0 offset:84
	s_waitcnt vmcnt(36)
	buffer_store_dword v123, off, s[0:3], 0 offset:88
	buffer_store_dword v124, off, s[0:3], 0 offset:92
	s_waitcnt vmcnt(35)
	buffer_store_dword v125, off, s[0:3], 0 offset:96
	buffer_store_dword v126, off, s[0:3], 0 offset:100
	s_waitcnt vmcnt(34)
	buffer_store_dword v6, off, s[0:3], 0 offset:104
	buffer_store_dword v7, off, s[0:3], 0 offset:108
	s_waitcnt vmcnt(33)
	buffer_store_dword v128, off, s[0:3], 0 offset:116
	buffer_store_dword v127, off, s[0:3], 0 offset:112
	s_waitcnt vmcnt(32)
	buffer_store_dword v129, off, s[0:3], 0 offset:120
	buffer_store_dword v130, off, s[0:3], 0 offset:124
	s_waitcnt vmcnt(31)
	buffer_store_dword v131, off, s[0:3], 0 offset:128
	buffer_store_dword v132, off, s[0:3], 0 offset:132
	s_waitcnt vmcnt(30)
	buffer_store_dword v133, off, s[0:3], 0 offset:136
	buffer_store_dword v134, off, s[0:3], 0 offset:140
	s_waitcnt vmcnt(29)
	buffer_store_dword v135, off, s[0:3], 0 offset:144
	buffer_store_dword v136, off, s[0:3], 0 offset:148
	s_waitcnt vmcnt(28)
	buffer_store_dword v138, off, s[0:3], 0 offset:156
	buffer_store_dword v137, off, s[0:3], 0 offset:152
	s_waitcnt vmcnt(27)
	buffer_store_dword v140, off, s[0:3], 0 offset:164
	buffer_store_dword v139, off, s[0:3], 0 offset:160
	s_waitcnt vmcnt(26)
	buffer_store_dword v141, off, s[0:3], 0 offset:168
	buffer_store_dword v142, off, s[0:3], 0 offset:172
	s_waitcnt vmcnt(25)
	buffer_store_dword v143, off, s[0:3], 0 offset:176
	buffer_store_dword v144, off, s[0:3], 0 offset:180
	s_waitcnt vmcnt(24)
	buffer_store_dword v145, off, s[0:3], 0 offset:184
	buffer_store_dword v146, off, s[0:3], 0 offset:188
	s_waitcnt vmcnt(23)
	buffer_store_dword v147, off, s[0:3], 0 offset:192
	buffer_store_dword v148, off, s[0:3], 0 offset:196
	s_waitcnt vmcnt(22)
	buffer_store_dword v150, off, s[0:3], 0 offset:204
	buffer_store_dword v149, off, s[0:3], 0 offset:200
	s_waitcnt vmcnt(21)
	buffer_store_dword v152, off, s[0:3], 0 offset:212
	buffer_store_dword v151, off, s[0:3], 0 offset:208
	s_waitcnt vmcnt(20)
	buffer_store_dword v153, off, s[0:3], 0 offset:216
	buffer_store_dword v154, off, s[0:3], 0 offset:220
	s_waitcnt vmcnt(19)
	buffer_store_dword v155, off, s[0:3], 0 offset:224
	buffer_store_dword v156, off, s[0:3], 0 offset:228
	s_waitcnt vmcnt(18)
	buffer_store_dword v157, off, s[0:3], 0 offset:232
	buffer_store_dword v158, off, s[0:3], 0 offset:236
	s_waitcnt vmcnt(17)
	buffer_store_dword v159, off, s[0:3], 0 offset:240
	buffer_store_dword v160, off, s[0:3], 0 offset:244
	s_waitcnt vmcnt(16)
	buffer_store_dword v162, off, s[0:3], 0 offset:252
	buffer_store_dword v161, off, s[0:3], 0 offset:248
	s_waitcnt vmcnt(15)
	buffer_store_dword v164, off, s[0:3], 0 offset:260
	buffer_store_dword v163, off, s[0:3], 0 offset:256
	s_waitcnt vmcnt(14)
	buffer_store_dword v165, off, s[0:3], 0 offset:264
	buffer_store_dword v166, off, s[0:3], 0 offset:268
	s_waitcnt vmcnt(13)
	buffer_store_dword v167, off, s[0:3], 0 offset:272
	buffer_store_dword v168, off, s[0:3], 0 offset:276
	s_waitcnt vmcnt(12)
	buffer_store_dword v169, off, s[0:3], 0 offset:280
	buffer_store_dword v170, off, s[0:3], 0 offset:284
	s_waitcnt vmcnt(11)
	buffer_store_dword v171, off, s[0:3], 0 offset:288
	buffer_store_dword v172, off, s[0:3], 0 offset:292
	s_waitcnt vmcnt(10)
	buffer_store_dword v174, off, s[0:3], 0 offset:300
	buffer_store_dword v173, off, s[0:3], 0 offset:296
	s_waitcnt vmcnt(9)
	buffer_store_dword v176, off, s[0:3], 0 offset:308
	buffer_store_dword v175, off, s[0:3], 0 offset:304
	s_waitcnt vmcnt(8)
	buffer_store_dword v177, off, s[0:3], 0 offset:312
	buffer_store_dword v178, off, s[0:3], 0 offset:316
	s_waitcnt vmcnt(7)
	buffer_store_dword v179, off, s[0:3], 0 offset:320
	buffer_store_dword v180, off, s[0:3], 0 offset:324
	s_waitcnt vmcnt(6)
	buffer_store_dword v181, off, s[0:3], 0 offset:328
	buffer_store_dword v182, off, s[0:3], 0 offset:332
	s_waitcnt vmcnt(5)
	buffer_store_dword v183, off, s[0:3], 0 offset:336
	buffer_store_dword v184, off, s[0:3], 0 offset:340
	s_waitcnt vmcnt(4)
	buffer_store_dword v186, off, s[0:3], 0 offset:348
	buffer_store_dword v185, off, s[0:3], 0 offset:344
	s_waitcnt vmcnt(3)
	buffer_store_dword v188, off, s[0:3], 0 offset:356
	buffer_store_dword v187, off, s[0:3], 0 offset:352
	s_waitcnt vmcnt(2)
	buffer_store_dword v189, off, s[0:3], 0 offset:360
	buffer_store_dword v190, off, s[0:3], 0 offset:364
	s_waitcnt vmcnt(1)
	buffer_store_dword v191, off, s[0:3], 0 offset:368
	buffer_store_dword v192, off, s[0:3], 0 offset:372
	s_waitcnt vmcnt(0)
	buffer_store_dword v193, off, s[0:3], 0 offset:376
	buffer_store_dword v194, off, s[0:3], 0 offset:380
	s_cbranch_scc1 .LBB47_204
; %bb.4:
	v_cmp_eq_u32_e64 s4, 0, v0
	s_and_saveexec_b32 s5, s4
; %bb.5:
	v_mov_b32_e32 v1, 0
	ds_write_b32 v1, v1 offset:768
; %bb.6:
	s_or_b32 exec_lo, exec_lo, s5
	v_lshl_add_u32 v5, v0, 3, 0
	s_waitcnt lgkmcnt(0)
	s_waitcnt_vscnt null, 0x0
	s_barrier
	buffer_gl0_inv
	s_clause 0x1
	buffer_load_dword v1, v5, s[0:3], 0 offen
	buffer_load_dword v2, v5, s[0:3], 0 offen offset:4
	s_waitcnt vmcnt(1)
	v_cmp_eq_f32_e32 vcc_lo, 0, v1
	s_waitcnt vmcnt(0)
	v_cmp_eq_f32_e64 s5, 0, v2
	s_and_b32 s5, vcc_lo, s5
	s_and_saveexec_b32 s8, s5
	s_cbranch_execz .LBB47_10
; %bb.7:
	v_mov_b32_e32 v1, 0
	s_mov_b32 s9, 0
	ds_read_b32 v2, v1 offset:768
	s_waitcnt lgkmcnt(0)
	v_readfirstlane_b32 s5, v2
	v_add_nc_u32_e32 v2, 1, v0
	s_cmp_eq_u32 s5, 0
	v_cmp_gt_i32_e32 vcc_lo, s5, v2
	s_cselect_b32 s12, -1, 0
	s_or_b32 s12, s12, vcc_lo
	s_and_b32 exec_lo, exec_lo, s12
	s_cbranch_execz .LBB47_10
; %bb.8:
	v_mov_b32_e32 v4, s5
.LBB47_9:                               ; =>This Inner Loop Header: Depth=1
	ds_cmpst_rtn_b32 v4, v1, v4, v2 offset:768
	s_waitcnt lgkmcnt(0)
	v_cmp_ne_u32_e32 vcc_lo, 0, v4
	v_cmp_le_i32_e64 s5, v4, v2
	s_and_b32 s5, vcc_lo, s5
	s_and_b32 s5, exec_lo, s5
	s_or_b32 s9, s5, s9
	s_andn2_b32 exec_lo, exec_lo, s9
	s_cbranch_execnz .LBB47_9
.LBB47_10:
	s_or_b32 exec_lo, exec_lo, s8
	v_mov_b32_e32 v1, 0
	s_barrier
	buffer_gl0_inv
	ds_read_b32 v2, v1 offset:768
	s_and_saveexec_b32 s5, s4
	s_cbranch_execz .LBB47_12
; %bb.11:
	s_lshl_b64 s[8:9], s[6:7], 2
	s_add_u32 s8, s10, s8
	s_addc_u32 s9, s11, s9
	s_waitcnt lgkmcnt(0)
	global_store_dword v1, v2, s[8:9]
.LBB47_12:
	s_or_b32 exec_lo, exec_lo, s5
	s_waitcnt lgkmcnt(0)
	v_cmp_ne_u32_e32 vcc_lo, 0, v2
	s_mov_b32 s5, 0
	s_cbranch_vccnz .LBB47_204
; %bb.13:
	s_clause 0x1
	buffer_load_dword v2, v5, s[0:3], 0 offen
	buffer_load_dword v4, v5, s[0:3], 0 offen offset:4
                                        ; implicit-def: $vgpr7
                                        ; implicit-def: $vgpr6
                                        ; implicit-def: $vgpr1
	s_waitcnt vmcnt(0)
	v_cmp_ngt_f32_e64 s5, |v2|, |v4|
	s_and_saveexec_b32 s8, s5
	s_xor_b32 s5, exec_lo, s8
	s_cbranch_execz .LBB47_15
; %bb.14:
	v_div_scale_f32 v1, null, v4, v4, v2
	v_div_scale_f32 v8, vcc_lo, v2, v4, v2
	v_rcp_f32_e32 v6, v1
	v_fma_f32 v7, -v1, v6, 1.0
	v_fmac_f32_e32 v6, v7, v6
	v_mul_f32_e32 v7, v8, v6
	v_fma_f32 v105, -v1, v7, v8
	v_fmac_f32_e32 v7, v105, v6
	v_fma_f32 v1, -v1, v7, v8
	v_div_fmas_f32 v1, v1, v6, v7
	v_div_fixup_f32 v1, v1, v4, v2
	v_fmac_f32_e32 v4, v2, v1
	v_div_scale_f32 v2, null, v4, v4, 1.0
	v_rcp_f32_e32 v6, v2
	v_fma_f32 v7, -v2, v6, 1.0
	v_fmac_f32_e32 v6, v7, v6
	v_div_scale_f32 v7, vcc_lo, 1.0, v4, 1.0
	v_mul_f32_e32 v8, v7, v6
	v_fma_f32 v105, -v2, v8, v7
	v_fmac_f32_e32 v8, v105, v6
	v_fma_f32 v2, -v2, v8, v7
	v_div_fmas_f32 v2, v2, v6, v8
	v_div_fixup_f32 v2, v2, v4, 1.0
                                        ; implicit-def: $vgpr4
	v_mul_f32_e32 v7, v1, v2
	v_xor_b32_e32 v6, 0x80000000, v2
                                        ; implicit-def: $vgpr2
	v_xor_b32_e32 v1, 0x80000000, v7
.LBB47_15:
	s_andn2_saveexec_b32 s5, s5
	s_cbranch_execz .LBB47_17
; %bb.16:
	v_div_scale_f32 v1, null, v2, v2, v4
	v_div_scale_f32 v8, vcc_lo, v4, v2, v4
	v_rcp_f32_e32 v6, v1
	v_fma_f32 v7, -v1, v6, 1.0
	v_fmac_f32_e32 v6, v7, v6
	v_mul_f32_e32 v7, v8, v6
	v_fma_f32 v105, -v1, v7, v8
	v_fmac_f32_e32 v7, v105, v6
	v_fma_f32 v1, -v1, v7, v8
	v_div_fmas_f32 v1, v1, v6, v7
	v_div_fixup_f32 v6, v1, v2, v4
	v_fmac_f32_e32 v2, v4, v6
	v_div_scale_f32 v1, null, v2, v2, 1.0
	v_div_scale_f32 v8, vcc_lo, 1.0, v2, 1.0
	v_rcp_f32_e32 v4, v1
	v_fma_f32 v7, -v1, v4, 1.0
	v_fmac_f32_e32 v4, v7, v4
	v_mul_f32_e32 v7, v8, v4
	v_fma_f32 v105, -v1, v7, v8
	v_fmac_f32_e32 v7, v105, v4
	v_fma_f32 v1, -v1, v7, v8
	v_div_fmas_f32 v1, v1, v4, v7
	v_div_fixup_f32 v7, v1, v2, 1.0
	v_xor_b32_e32 v1, 0x80000000, v7
	v_mul_f32_e64 v6, v6, -v7
.LBB47_17:
	s_or_b32 exec_lo, exec_lo, s5
	buffer_store_dword v7, v5, s[0:3], 0 offen
	buffer_store_dword v6, v5, s[0:3], 0 offen offset:4
	s_clause 0x1
	buffer_load_dword v8, off, s[0:3], 0 offset:12
	buffer_load_dword v7, off, s[0:3], 0 offset:8
	v_xor_b32_e32 v2, 0x80000000, v6
	v_add_nc_u32_e32 v4, 0x180, v3
	s_waitcnt vmcnt(0)
	ds_write2_b64 v3, v[1:2], v[7:8] offset1:48
	s_waitcnt lgkmcnt(0)
	s_waitcnt_vscnt null, 0x0
	s_barrier
	buffer_gl0_inv
	s_and_saveexec_b32 s5, s4
	s_cbranch_execz .LBB47_19
; %bb.18:
	s_clause 0x1
	buffer_load_dword v8, v5, s[0:3], 0 offen offset:4
	buffer_load_dword v105, v5, s[0:3], 0 offen
	ds_read_b64 v[1:2], v4
	v_mov_b32_e32 v6, 0
	ds_read_b64 v[6:7], v6 offset:8
	s_waitcnt vmcnt(1) lgkmcnt(1)
	v_mul_f32_e32 v106, v1, v8
	v_mul_f32_e32 v8, v2, v8
	s_waitcnt vmcnt(0)
	v_fmac_f32_e32 v106, v2, v105
	v_fma_f32 v1, v1, v105, -v8
	v_add_f32_e32 v2, 0, v106
	v_add_f32_e32 v1, 0, v1
	s_waitcnt lgkmcnt(0)
	v_mul_f32_e32 v8, v2, v7
	v_mul_f32_e32 v7, v1, v7
	v_fma_f32 v1, v1, v6, -v8
	v_fmac_f32_e32 v7, v2, v6
	buffer_store_dword v1, off, s[0:3], 0 offset:8
	buffer_store_dword v7, off, s[0:3], 0 offset:12
.LBB47_19:
	s_or_b32 exec_lo, exec_lo, s5
	s_waitcnt_vscnt null, 0x0
	s_barrier
	buffer_gl0_inv
	s_clause 0x1
	buffer_load_dword v1, off, s[0:3], 0 offset:16
	buffer_load_dword v2, off, s[0:3], 0 offset:20
	s_mov_b32 s5, exec_lo
	s_waitcnt vmcnt(0)
	ds_write_b64 v4, v[1:2]
	s_waitcnt lgkmcnt(0)
	s_barrier
	buffer_gl0_inv
	v_cmpx_gt_u32_e32 2, v0
	s_cbranch_execz .LBB47_23
; %bb.20:
	s_clause 0x1
	buffer_load_dword v6, v5, s[0:3], 0 offen offset:4
	buffer_load_dword v5, v5, s[0:3], 0 offen
	ds_read_b64 v[1:2], v4
	s_waitcnt vmcnt(1) lgkmcnt(0)
	v_mul_f32_e32 v7, v2, v6
	v_mul_f32_e32 v6, v1, v6
	s_waitcnt vmcnt(0)
	v_fma_f32 v1, v1, v5, -v7
	v_fmac_f32_e32 v6, v2, v5
	v_add_f32_e32 v2, 0, v1
	v_add_f32_e32 v1, 0, v6
	s_and_saveexec_b32 s8, s4
	s_cbranch_execz .LBB47_22
; %bb.21:
	s_clause 0x1
	buffer_load_dword v7, off, s[0:3], 0 offset:12
	buffer_load_dword v8, off, s[0:3], 0 offset:8
	v_mov_b32_e32 v5, 0
	ds_read_b64 v[5:6], v5 offset:392
	s_waitcnt vmcnt(1) lgkmcnt(0)
	v_mul_f32_e32 v105, v5, v7
	v_mul_f32_e32 v7, v6, v7
	s_waitcnt vmcnt(0)
	v_fmac_f32_e32 v105, v6, v8
	v_fma_f32 v5, v5, v8, -v7
	v_add_f32_e32 v1, v1, v105
	v_add_f32_e32 v2, v2, v5
.LBB47_22:
	s_or_b32 exec_lo, exec_lo, s8
	v_mov_b32_e32 v5, 0
	ds_read_b64 v[5:6], v5 offset:16
	s_waitcnt lgkmcnt(0)
	v_mul_f32_e32 v7, v1, v6
	v_mul_f32_e32 v6, v2, v6
	v_fma_f32 v2, v2, v5, -v7
	v_fmac_f32_e32 v6, v1, v5
	buffer_store_dword v2, off, s[0:3], 0 offset:16
	buffer_store_dword v6, off, s[0:3], 0 offset:20
.LBB47_23:
	s_or_b32 exec_lo, exec_lo, s5
	s_waitcnt_vscnt null, 0x0
	s_barrier
	buffer_gl0_inv
	s_clause 0x1
	buffer_load_dword v5, off, s[0:3], 0 offset:24
	buffer_load_dword v6, off, s[0:3], 0 offset:28
	v_add_nc_u32_e32 v1, -1, v0
	s_mov_b32 s4, exec_lo
	s_waitcnt vmcnt(0)
	ds_write_b64 v4, v[5:6]
	s_waitcnt lgkmcnt(0)
	s_barrier
	buffer_gl0_inv
	v_cmpx_gt_u32_e32 3, v0
	s_cbranch_execz .LBB47_27
; %bb.24:
	v_add_nc_u32_e32 v5, -1, v0
	v_add_nc_u32_e32 v6, 0x180, v3
	v_mov_b32_e32 v7, v3
	v_mov_b32_e32 v2, 0
	;; [unrolled: 1-line block ×3, first 2 shown]
	s_mov_b32 s5, 0
	.p2align	6
.LBB47_25:                              ; =>This Inner Loop Header: Depth=1
	s_clause 0x1
	buffer_load_dword v107, v7, s[0:3], 0 offen offset:4
	buffer_load_dword v108, v7, s[0:3], 0 offen
	ds_read_b64 v[105:106], v6
	v_add_nc_u32_e32 v5, 1, v5
	v_add_nc_u32_e32 v6, 8, v6
	;; [unrolled: 1-line block ×3, first 2 shown]
	v_cmp_lt_u32_e32 vcc_lo, 1, v5
	s_or_b32 s5, vcc_lo, s5
	s_waitcnt vmcnt(1) lgkmcnt(0)
	v_mul_f32_e32 v109, v106, v107
	v_mul_f32_e32 v107, v105, v107
	s_waitcnt vmcnt(0)
	v_fma_f32 v105, v105, v108, -v109
	v_fmac_f32_e32 v107, v106, v108
	v_add_f32_e32 v8, v8, v105
	v_add_f32_e32 v2, v2, v107
	s_andn2_b32 exec_lo, exec_lo, s5
	s_cbranch_execnz .LBB47_25
; %bb.26:
	s_or_b32 exec_lo, exec_lo, s5
	v_mov_b32_e32 v5, 0
	ds_read_b64 v[5:6], v5 offset:24
	s_waitcnt lgkmcnt(0)
	v_mul_f32_e32 v7, v2, v6
	v_mul_f32_e32 v6, v8, v6
	v_fma_f32 v7, v8, v5, -v7
	v_fmac_f32_e32 v6, v2, v5
	buffer_store_dword v7, off, s[0:3], 0 offset:24
	buffer_store_dword v6, off, s[0:3], 0 offset:28
.LBB47_27:
	s_or_b32 exec_lo, exec_lo, s4
	s_waitcnt_vscnt null, 0x0
	s_barrier
	buffer_gl0_inv
	s_clause 0x1
	buffer_load_dword v5, off, s[0:3], 0 offset:32
	buffer_load_dword v6, off, s[0:3], 0 offset:36
	s_mov_b32 s4, exec_lo
	s_waitcnt vmcnt(0)
	ds_write_b64 v4, v[5:6]
	s_waitcnt lgkmcnt(0)
	s_barrier
	buffer_gl0_inv
	v_cmpx_gt_u32_e32 4, v0
	s_cbranch_execz .LBB47_31
; %bb.28:
	v_add_nc_u32_e32 v5, -1, v0
	v_add_nc_u32_e32 v6, 0x180, v3
	v_mov_b32_e32 v7, v3
	v_mov_b32_e32 v2, 0
	;; [unrolled: 1-line block ×3, first 2 shown]
	s_mov_b32 s5, 0
	.p2align	6
.LBB47_29:                              ; =>This Inner Loop Header: Depth=1
	s_clause 0x1
	buffer_load_dword v107, v7, s[0:3], 0 offen offset:4
	buffer_load_dword v108, v7, s[0:3], 0 offen
	ds_read_b64 v[105:106], v6
	v_add_nc_u32_e32 v5, 1, v5
	v_add_nc_u32_e32 v6, 8, v6
	;; [unrolled: 1-line block ×3, first 2 shown]
	v_cmp_lt_u32_e32 vcc_lo, 2, v5
	s_or_b32 s5, vcc_lo, s5
	s_waitcnt vmcnt(1) lgkmcnt(0)
	v_mul_f32_e32 v109, v106, v107
	v_mul_f32_e32 v107, v105, v107
	s_waitcnt vmcnt(0)
	v_fma_f32 v105, v105, v108, -v109
	v_fmac_f32_e32 v107, v106, v108
	v_add_f32_e32 v8, v8, v105
	v_add_f32_e32 v2, v2, v107
	s_andn2_b32 exec_lo, exec_lo, s5
	s_cbranch_execnz .LBB47_29
; %bb.30:
	s_or_b32 exec_lo, exec_lo, s5
	v_mov_b32_e32 v5, 0
	ds_read_b64 v[5:6], v5 offset:32
	s_waitcnt lgkmcnt(0)
	v_mul_f32_e32 v7, v2, v6
	v_mul_f32_e32 v6, v8, v6
	v_fma_f32 v7, v8, v5, -v7
	v_fmac_f32_e32 v6, v2, v5
	buffer_store_dword v7, off, s[0:3], 0 offset:32
	buffer_store_dword v6, off, s[0:3], 0 offset:36
.LBB47_31:
	s_or_b32 exec_lo, exec_lo, s4
	s_waitcnt_vscnt null, 0x0
	s_barrier
	buffer_gl0_inv
	s_clause 0x1
	buffer_load_dword v5, off, s[0:3], 0 offset:40
	buffer_load_dword v6, off, s[0:3], 0 offset:44
	s_mov_b32 s4, exec_lo
	s_waitcnt vmcnt(0)
	ds_write_b64 v4, v[5:6]
	s_waitcnt lgkmcnt(0)
	s_barrier
	buffer_gl0_inv
	v_cmpx_gt_u32_e32 5, v0
	s_cbranch_execz .LBB47_35
; %bb.32:
	v_add_nc_u32_e32 v5, -1, v0
	v_add_nc_u32_e32 v6, 0x180, v3
	v_mov_b32_e32 v7, v3
	v_mov_b32_e32 v2, 0
	;; [unrolled: 1-line block ×3, first 2 shown]
	s_mov_b32 s5, 0
	.p2align	6
.LBB47_33:                              ; =>This Inner Loop Header: Depth=1
	s_clause 0x1
	buffer_load_dword v107, v7, s[0:3], 0 offen offset:4
	buffer_load_dword v108, v7, s[0:3], 0 offen
	ds_read_b64 v[105:106], v6
	v_add_nc_u32_e32 v5, 1, v5
	v_add_nc_u32_e32 v6, 8, v6
	v_add_nc_u32_e32 v7, 8, v7
	v_cmp_lt_u32_e32 vcc_lo, 3, v5
	s_or_b32 s5, vcc_lo, s5
	s_waitcnt vmcnt(1) lgkmcnt(0)
	v_mul_f32_e32 v109, v106, v107
	v_mul_f32_e32 v107, v105, v107
	s_waitcnt vmcnt(0)
	v_fma_f32 v105, v105, v108, -v109
	v_fmac_f32_e32 v107, v106, v108
	v_add_f32_e32 v8, v8, v105
	v_add_f32_e32 v2, v2, v107
	s_andn2_b32 exec_lo, exec_lo, s5
	s_cbranch_execnz .LBB47_33
; %bb.34:
	s_or_b32 exec_lo, exec_lo, s5
	v_mov_b32_e32 v5, 0
	ds_read_b64 v[5:6], v5 offset:40
	s_waitcnt lgkmcnt(0)
	v_mul_f32_e32 v7, v2, v6
	v_mul_f32_e32 v6, v8, v6
	v_fma_f32 v7, v8, v5, -v7
	v_fmac_f32_e32 v6, v2, v5
	buffer_store_dword v7, off, s[0:3], 0 offset:40
	buffer_store_dword v6, off, s[0:3], 0 offset:44
.LBB47_35:
	s_or_b32 exec_lo, exec_lo, s4
	s_waitcnt_vscnt null, 0x0
	s_barrier
	buffer_gl0_inv
	s_clause 0x1
	buffer_load_dword v5, off, s[0:3], 0 offset:48
	buffer_load_dword v6, off, s[0:3], 0 offset:52
	s_mov_b32 s4, exec_lo
	s_waitcnt vmcnt(0)
	ds_write_b64 v4, v[5:6]
	s_waitcnt lgkmcnt(0)
	s_barrier
	buffer_gl0_inv
	v_cmpx_gt_u32_e32 6, v0
	s_cbranch_execz .LBB47_39
; %bb.36:
	v_add_nc_u32_e32 v5, -1, v0
	v_add_nc_u32_e32 v6, 0x180, v3
	v_mov_b32_e32 v7, v3
	v_mov_b32_e32 v2, 0
	;; [unrolled: 1-line block ×3, first 2 shown]
	s_mov_b32 s5, 0
	.p2align	6
.LBB47_37:                              ; =>This Inner Loop Header: Depth=1
	s_clause 0x1
	buffer_load_dword v107, v7, s[0:3], 0 offen offset:4
	buffer_load_dword v108, v7, s[0:3], 0 offen
	ds_read_b64 v[105:106], v6
	v_add_nc_u32_e32 v5, 1, v5
	v_add_nc_u32_e32 v6, 8, v6
	;; [unrolled: 1-line block ×3, first 2 shown]
	v_cmp_lt_u32_e32 vcc_lo, 4, v5
	s_or_b32 s5, vcc_lo, s5
	s_waitcnt vmcnt(1) lgkmcnt(0)
	v_mul_f32_e32 v109, v106, v107
	v_mul_f32_e32 v107, v105, v107
	s_waitcnt vmcnt(0)
	v_fma_f32 v105, v105, v108, -v109
	v_fmac_f32_e32 v107, v106, v108
	v_add_f32_e32 v8, v8, v105
	v_add_f32_e32 v2, v2, v107
	s_andn2_b32 exec_lo, exec_lo, s5
	s_cbranch_execnz .LBB47_37
; %bb.38:
	s_or_b32 exec_lo, exec_lo, s5
	v_mov_b32_e32 v5, 0
	ds_read_b64 v[5:6], v5 offset:48
	s_waitcnt lgkmcnt(0)
	v_mul_f32_e32 v7, v2, v6
	v_mul_f32_e32 v6, v8, v6
	v_fma_f32 v7, v8, v5, -v7
	v_fmac_f32_e32 v6, v2, v5
	buffer_store_dword v7, off, s[0:3], 0 offset:48
	buffer_store_dword v6, off, s[0:3], 0 offset:52
.LBB47_39:
	s_or_b32 exec_lo, exec_lo, s4
	s_waitcnt_vscnt null, 0x0
	s_barrier
	buffer_gl0_inv
	s_clause 0x1
	buffer_load_dword v5, off, s[0:3], 0 offset:56
	buffer_load_dword v6, off, s[0:3], 0 offset:60
	s_mov_b32 s4, exec_lo
	s_waitcnt vmcnt(0)
	ds_write_b64 v4, v[5:6]
	s_waitcnt lgkmcnt(0)
	s_barrier
	buffer_gl0_inv
	v_cmpx_gt_u32_e32 7, v0
	s_cbranch_execz .LBB47_43
; %bb.40:
	v_add_nc_u32_e32 v5, -1, v0
	v_add_nc_u32_e32 v6, 0x180, v3
	v_mov_b32_e32 v7, v3
	v_mov_b32_e32 v2, 0
	;; [unrolled: 1-line block ×3, first 2 shown]
	s_mov_b32 s5, 0
	.p2align	6
.LBB47_41:                              ; =>This Inner Loop Header: Depth=1
	s_clause 0x1
	buffer_load_dword v107, v7, s[0:3], 0 offen offset:4
	buffer_load_dword v108, v7, s[0:3], 0 offen
	ds_read_b64 v[105:106], v6
	v_add_nc_u32_e32 v5, 1, v5
	v_add_nc_u32_e32 v6, 8, v6
	;; [unrolled: 1-line block ×3, first 2 shown]
	v_cmp_lt_u32_e32 vcc_lo, 5, v5
	s_or_b32 s5, vcc_lo, s5
	s_waitcnt vmcnt(1) lgkmcnt(0)
	v_mul_f32_e32 v109, v106, v107
	v_mul_f32_e32 v107, v105, v107
	s_waitcnt vmcnt(0)
	v_fma_f32 v105, v105, v108, -v109
	v_fmac_f32_e32 v107, v106, v108
	v_add_f32_e32 v8, v8, v105
	v_add_f32_e32 v2, v2, v107
	s_andn2_b32 exec_lo, exec_lo, s5
	s_cbranch_execnz .LBB47_41
; %bb.42:
	s_or_b32 exec_lo, exec_lo, s5
	v_mov_b32_e32 v5, 0
	ds_read_b64 v[5:6], v5 offset:56
	s_waitcnt lgkmcnt(0)
	v_mul_f32_e32 v7, v2, v6
	v_mul_f32_e32 v6, v8, v6
	v_fma_f32 v7, v8, v5, -v7
	v_fmac_f32_e32 v6, v2, v5
	buffer_store_dword v7, off, s[0:3], 0 offset:56
	buffer_store_dword v6, off, s[0:3], 0 offset:60
.LBB47_43:
	s_or_b32 exec_lo, exec_lo, s4
	s_waitcnt_vscnt null, 0x0
	s_barrier
	buffer_gl0_inv
	s_clause 0x1
	buffer_load_dword v5, off, s[0:3], 0 offset:64
	buffer_load_dword v6, off, s[0:3], 0 offset:68
	s_mov_b32 s4, exec_lo
	s_waitcnt vmcnt(0)
	ds_write_b64 v4, v[5:6]
	s_waitcnt lgkmcnt(0)
	s_barrier
	buffer_gl0_inv
	v_cmpx_gt_u32_e32 8, v0
	s_cbranch_execz .LBB47_47
; %bb.44:
	v_add_nc_u32_e32 v5, -1, v0
	v_add_nc_u32_e32 v6, 0x180, v3
	v_mov_b32_e32 v7, v3
	v_mov_b32_e32 v2, 0
	;; [unrolled: 1-line block ×3, first 2 shown]
	s_mov_b32 s5, 0
	.p2align	6
.LBB47_45:                              ; =>This Inner Loop Header: Depth=1
	s_clause 0x1
	buffer_load_dword v107, v7, s[0:3], 0 offen offset:4
	buffer_load_dword v108, v7, s[0:3], 0 offen
	ds_read_b64 v[105:106], v6
	v_add_nc_u32_e32 v5, 1, v5
	v_add_nc_u32_e32 v6, 8, v6
	;; [unrolled: 1-line block ×3, first 2 shown]
	v_cmp_lt_u32_e32 vcc_lo, 6, v5
	s_or_b32 s5, vcc_lo, s5
	s_waitcnt vmcnt(1) lgkmcnt(0)
	v_mul_f32_e32 v109, v106, v107
	v_mul_f32_e32 v107, v105, v107
	s_waitcnt vmcnt(0)
	v_fma_f32 v105, v105, v108, -v109
	v_fmac_f32_e32 v107, v106, v108
	v_add_f32_e32 v8, v8, v105
	v_add_f32_e32 v2, v2, v107
	s_andn2_b32 exec_lo, exec_lo, s5
	s_cbranch_execnz .LBB47_45
; %bb.46:
	s_or_b32 exec_lo, exec_lo, s5
	v_mov_b32_e32 v5, 0
	ds_read_b64 v[5:6], v5 offset:64
	s_waitcnt lgkmcnt(0)
	v_mul_f32_e32 v7, v2, v6
	v_mul_f32_e32 v6, v8, v6
	v_fma_f32 v7, v8, v5, -v7
	v_fmac_f32_e32 v6, v2, v5
	buffer_store_dword v7, off, s[0:3], 0 offset:64
	buffer_store_dword v6, off, s[0:3], 0 offset:68
.LBB47_47:
	s_or_b32 exec_lo, exec_lo, s4
	s_waitcnt_vscnt null, 0x0
	s_barrier
	buffer_gl0_inv
	s_clause 0x1
	buffer_load_dword v5, off, s[0:3], 0 offset:72
	buffer_load_dword v6, off, s[0:3], 0 offset:76
	s_mov_b32 s4, exec_lo
	s_waitcnt vmcnt(0)
	ds_write_b64 v4, v[5:6]
	s_waitcnt lgkmcnt(0)
	s_barrier
	buffer_gl0_inv
	v_cmpx_gt_u32_e32 9, v0
	s_cbranch_execz .LBB47_51
; %bb.48:
	v_add_nc_u32_e32 v5, -1, v0
	v_add_nc_u32_e32 v6, 0x180, v3
	v_mov_b32_e32 v7, v3
	v_mov_b32_e32 v2, 0
	;; [unrolled: 1-line block ×3, first 2 shown]
	s_mov_b32 s5, 0
	.p2align	6
.LBB47_49:                              ; =>This Inner Loop Header: Depth=1
	s_clause 0x1
	buffer_load_dword v107, v7, s[0:3], 0 offen offset:4
	buffer_load_dword v108, v7, s[0:3], 0 offen
	ds_read_b64 v[105:106], v6
	v_add_nc_u32_e32 v5, 1, v5
	v_add_nc_u32_e32 v6, 8, v6
	v_add_nc_u32_e32 v7, 8, v7
	v_cmp_lt_u32_e32 vcc_lo, 7, v5
	s_or_b32 s5, vcc_lo, s5
	s_waitcnt vmcnt(1) lgkmcnt(0)
	v_mul_f32_e32 v109, v106, v107
	v_mul_f32_e32 v107, v105, v107
	s_waitcnt vmcnt(0)
	v_fma_f32 v105, v105, v108, -v109
	v_fmac_f32_e32 v107, v106, v108
	v_add_f32_e32 v8, v8, v105
	v_add_f32_e32 v2, v2, v107
	s_andn2_b32 exec_lo, exec_lo, s5
	s_cbranch_execnz .LBB47_49
; %bb.50:
	s_or_b32 exec_lo, exec_lo, s5
	v_mov_b32_e32 v5, 0
	ds_read_b64 v[5:6], v5 offset:72
	s_waitcnt lgkmcnt(0)
	v_mul_f32_e32 v7, v2, v6
	v_mul_f32_e32 v6, v8, v6
	v_fma_f32 v7, v8, v5, -v7
	v_fmac_f32_e32 v6, v2, v5
	buffer_store_dword v7, off, s[0:3], 0 offset:72
	buffer_store_dword v6, off, s[0:3], 0 offset:76
.LBB47_51:
	s_or_b32 exec_lo, exec_lo, s4
	s_waitcnt_vscnt null, 0x0
	s_barrier
	buffer_gl0_inv
	s_clause 0x1
	buffer_load_dword v5, off, s[0:3], 0 offset:80
	buffer_load_dword v6, off, s[0:3], 0 offset:84
	s_mov_b32 s4, exec_lo
	s_waitcnt vmcnt(0)
	ds_write_b64 v4, v[5:6]
	s_waitcnt lgkmcnt(0)
	s_barrier
	buffer_gl0_inv
	v_cmpx_gt_u32_e32 10, v0
	s_cbranch_execz .LBB47_55
; %bb.52:
	v_add_nc_u32_e32 v5, -1, v0
	v_add_nc_u32_e32 v6, 0x180, v3
	v_mov_b32_e32 v7, v3
	v_mov_b32_e32 v2, 0
	;; [unrolled: 1-line block ×3, first 2 shown]
	s_mov_b32 s5, 0
	.p2align	6
.LBB47_53:                              ; =>This Inner Loop Header: Depth=1
	s_clause 0x1
	buffer_load_dword v107, v7, s[0:3], 0 offen offset:4
	buffer_load_dword v108, v7, s[0:3], 0 offen
	ds_read_b64 v[105:106], v6
	v_add_nc_u32_e32 v5, 1, v5
	v_add_nc_u32_e32 v6, 8, v6
	;; [unrolled: 1-line block ×3, first 2 shown]
	v_cmp_lt_u32_e32 vcc_lo, 8, v5
	s_or_b32 s5, vcc_lo, s5
	s_waitcnt vmcnt(1) lgkmcnt(0)
	v_mul_f32_e32 v109, v106, v107
	v_mul_f32_e32 v107, v105, v107
	s_waitcnt vmcnt(0)
	v_fma_f32 v105, v105, v108, -v109
	v_fmac_f32_e32 v107, v106, v108
	v_add_f32_e32 v8, v8, v105
	v_add_f32_e32 v2, v2, v107
	s_andn2_b32 exec_lo, exec_lo, s5
	s_cbranch_execnz .LBB47_53
; %bb.54:
	s_or_b32 exec_lo, exec_lo, s5
	v_mov_b32_e32 v5, 0
	ds_read_b64 v[5:6], v5 offset:80
	s_waitcnt lgkmcnt(0)
	v_mul_f32_e32 v7, v2, v6
	v_mul_f32_e32 v6, v8, v6
	v_fma_f32 v7, v8, v5, -v7
	v_fmac_f32_e32 v6, v2, v5
	buffer_store_dword v7, off, s[0:3], 0 offset:80
	buffer_store_dword v6, off, s[0:3], 0 offset:84
.LBB47_55:
	s_or_b32 exec_lo, exec_lo, s4
	s_waitcnt_vscnt null, 0x0
	s_barrier
	buffer_gl0_inv
	s_clause 0x1
	buffer_load_dword v5, off, s[0:3], 0 offset:88
	buffer_load_dword v6, off, s[0:3], 0 offset:92
	s_mov_b32 s4, exec_lo
	s_waitcnt vmcnt(0)
	ds_write_b64 v4, v[5:6]
	s_waitcnt lgkmcnt(0)
	s_barrier
	buffer_gl0_inv
	v_cmpx_gt_u32_e32 11, v0
	s_cbranch_execz .LBB47_59
; %bb.56:
	v_add_nc_u32_e32 v5, -1, v0
	v_add_nc_u32_e32 v6, 0x180, v3
	v_mov_b32_e32 v7, v3
	v_mov_b32_e32 v2, 0
	;; [unrolled: 1-line block ×3, first 2 shown]
	s_mov_b32 s5, 0
	.p2align	6
.LBB47_57:                              ; =>This Inner Loop Header: Depth=1
	s_clause 0x1
	buffer_load_dword v107, v7, s[0:3], 0 offen offset:4
	buffer_load_dword v108, v7, s[0:3], 0 offen
	ds_read_b64 v[105:106], v6
	v_add_nc_u32_e32 v5, 1, v5
	v_add_nc_u32_e32 v6, 8, v6
	;; [unrolled: 1-line block ×3, first 2 shown]
	v_cmp_lt_u32_e32 vcc_lo, 9, v5
	s_or_b32 s5, vcc_lo, s5
	s_waitcnt vmcnt(1) lgkmcnt(0)
	v_mul_f32_e32 v109, v106, v107
	v_mul_f32_e32 v107, v105, v107
	s_waitcnt vmcnt(0)
	v_fma_f32 v105, v105, v108, -v109
	v_fmac_f32_e32 v107, v106, v108
	v_add_f32_e32 v8, v8, v105
	v_add_f32_e32 v2, v2, v107
	s_andn2_b32 exec_lo, exec_lo, s5
	s_cbranch_execnz .LBB47_57
; %bb.58:
	s_or_b32 exec_lo, exec_lo, s5
	v_mov_b32_e32 v5, 0
	ds_read_b64 v[5:6], v5 offset:88
	s_waitcnt lgkmcnt(0)
	v_mul_f32_e32 v7, v2, v6
	v_mul_f32_e32 v6, v8, v6
	v_fma_f32 v7, v8, v5, -v7
	v_fmac_f32_e32 v6, v2, v5
	buffer_store_dword v7, off, s[0:3], 0 offset:88
	buffer_store_dword v6, off, s[0:3], 0 offset:92
.LBB47_59:
	s_or_b32 exec_lo, exec_lo, s4
	s_waitcnt_vscnt null, 0x0
	s_barrier
	buffer_gl0_inv
	s_clause 0x1
	buffer_load_dword v5, off, s[0:3], 0 offset:96
	buffer_load_dword v6, off, s[0:3], 0 offset:100
	s_mov_b32 s4, exec_lo
	s_waitcnt vmcnt(0)
	ds_write_b64 v4, v[5:6]
	s_waitcnt lgkmcnt(0)
	s_barrier
	buffer_gl0_inv
	v_cmpx_gt_u32_e32 12, v0
	s_cbranch_execz .LBB47_63
; %bb.60:
	v_add_nc_u32_e32 v5, -1, v0
	v_add_nc_u32_e32 v6, 0x180, v3
	v_mov_b32_e32 v7, v3
	v_mov_b32_e32 v2, 0
	;; [unrolled: 1-line block ×3, first 2 shown]
	s_mov_b32 s5, 0
	.p2align	6
.LBB47_61:                              ; =>This Inner Loop Header: Depth=1
	s_clause 0x1
	buffer_load_dword v107, v7, s[0:3], 0 offen offset:4
	buffer_load_dword v108, v7, s[0:3], 0 offen
	ds_read_b64 v[105:106], v6
	v_add_nc_u32_e32 v5, 1, v5
	v_add_nc_u32_e32 v6, 8, v6
	;; [unrolled: 1-line block ×3, first 2 shown]
	v_cmp_lt_u32_e32 vcc_lo, 10, v5
	s_or_b32 s5, vcc_lo, s5
	s_waitcnt vmcnt(1) lgkmcnt(0)
	v_mul_f32_e32 v109, v106, v107
	v_mul_f32_e32 v107, v105, v107
	s_waitcnt vmcnt(0)
	v_fma_f32 v105, v105, v108, -v109
	v_fmac_f32_e32 v107, v106, v108
	v_add_f32_e32 v8, v8, v105
	v_add_f32_e32 v2, v2, v107
	s_andn2_b32 exec_lo, exec_lo, s5
	s_cbranch_execnz .LBB47_61
; %bb.62:
	s_or_b32 exec_lo, exec_lo, s5
	v_mov_b32_e32 v5, 0
	ds_read_b64 v[5:6], v5 offset:96
	s_waitcnt lgkmcnt(0)
	v_mul_f32_e32 v7, v2, v6
	v_mul_f32_e32 v6, v8, v6
	v_fma_f32 v7, v8, v5, -v7
	v_fmac_f32_e32 v6, v2, v5
	buffer_store_dword v7, off, s[0:3], 0 offset:96
	buffer_store_dword v6, off, s[0:3], 0 offset:100
.LBB47_63:
	s_or_b32 exec_lo, exec_lo, s4
	s_waitcnt_vscnt null, 0x0
	s_barrier
	buffer_gl0_inv
	s_clause 0x1
	buffer_load_dword v5, off, s[0:3], 0 offset:104
	buffer_load_dword v6, off, s[0:3], 0 offset:108
	s_mov_b32 s4, exec_lo
	s_waitcnt vmcnt(0)
	ds_write_b64 v4, v[5:6]
	s_waitcnt lgkmcnt(0)
	s_barrier
	buffer_gl0_inv
	v_cmpx_gt_u32_e32 13, v0
	s_cbranch_execz .LBB47_67
; %bb.64:
	v_add_nc_u32_e32 v5, -1, v0
	v_add_nc_u32_e32 v6, 0x180, v3
	v_mov_b32_e32 v7, v3
	v_mov_b32_e32 v2, 0
	;; [unrolled: 1-line block ×3, first 2 shown]
	s_mov_b32 s5, 0
	.p2align	6
.LBB47_65:                              ; =>This Inner Loop Header: Depth=1
	s_clause 0x1
	buffer_load_dword v107, v7, s[0:3], 0 offen offset:4
	buffer_load_dword v108, v7, s[0:3], 0 offen
	ds_read_b64 v[105:106], v6
	v_add_nc_u32_e32 v5, 1, v5
	v_add_nc_u32_e32 v6, 8, v6
	;; [unrolled: 1-line block ×3, first 2 shown]
	v_cmp_lt_u32_e32 vcc_lo, 11, v5
	s_or_b32 s5, vcc_lo, s5
	s_waitcnt vmcnt(1) lgkmcnt(0)
	v_mul_f32_e32 v109, v106, v107
	v_mul_f32_e32 v107, v105, v107
	s_waitcnt vmcnt(0)
	v_fma_f32 v105, v105, v108, -v109
	v_fmac_f32_e32 v107, v106, v108
	v_add_f32_e32 v8, v8, v105
	v_add_f32_e32 v2, v2, v107
	s_andn2_b32 exec_lo, exec_lo, s5
	s_cbranch_execnz .LBB47_65
; %bb.66:
	s_or_b32 exec_lo, exec_lo, s5
	v_mov_b32_e32 v5, 0
	ds_read_b64 v[5:6], v5 offset:104
	s_waitcnt lgkmcnt(0)
	v_mul_f32_e32 v7, v2, v6
	v_mul_f32_e32 v6, v8, v6
	v_fma_f32 v7, v8, v5, -v7
	v_fmac_f32_e32 v6, v2, v5
	buffer_store_dword v7, off, s[0:3], 0 offset:104
	buffer_store_dword v6, off, s[0:3], 0 offset:108
.LBB47_67:
	s_or_b32 exec_lo, exec_lo, s4
	s_waitcnt_vscnt null, 0x0
	s_barrier
	buffer_gl0_inv
	s_clause 0x1
	buffer_load_dword v5, off, s[0:3], 0 offset:112
	buffer_load_dword v6, off, s[0:3], 0 offset:116
	s_mov_b32 s4, exec_lo
	s_waitcnt vmcnt(0)
	ds_write_b64 v4, v[5:6]
	s_waitcnt lgkmcnt(0)
	s_barrier
	buffer_gl0_inv
	v_cmpx_gt_u32_e32 14, v0
	s_cbranch_execz .LBB47_71
; %bb.68:
	v_add_nc_u32_e32 v5, -1, v0
	v_add_nc_u32_e32 v6, 0x180, v3
	v_mov_b32_e32 v7, v3
	v_mov_b32_e32 v2, 0
	;; [unrolled: 1-line block ×3, first 2 shown]
	s_mov_b32 s5, 0
	.p2align	6
.LBB47_69:                              ; =>This Inner Loop Header: Depth=1
	s_clause 0x1
	buffer_load_dword v107, v7, s[0:3], 0 offen offset:4
	buffer_load_dword v108, v7, s[0:3], 0 offen
	ds_read_b64 v[105:106], v6
	v_add_nc_u32_e32 v5, 1, v5
	v_add_nc_u32_e32 v6, 8, v6
	v_add_nc_u32_e32 v7, 8, v7
	v_cmp_lt_u32_e32 vcc_lo, 12, v5
	s_or_b32 s5, vcc_lo, s5
	s_waitcnt vmcnt(1) lgkmcnt(0)
	v_mul_f32_e32 v109, v106, v107
	v_mul_f32_e32 v107, v105, v107
	s_waitcnt vmcnt(0)
	v_fma_f32 v105, v105, v108, -v109
	v_fmac_f32_e32 v107, v106, v108
	v_add_f32_e32 v8, v8, v105
	v_add_f32_e32 v2, v2, v107
	s_andn2_b32 exec_lo, exec_lo, s5
	s_cbranch_execnz .LBB47_69
; %bb.70:
	s_or_b32 exec_lo, exec_lo, s5
	v_mov_b32_e32 v5, 0
	ds_read_b64 v[5:6], v5 offset:112
	s_waitcnt lgkmcnt(0)
	v_mul_f32_e32 v7, v2, v6
	v_mul_f32_e32 v6, v8, v6
	v_fma_f32 v7, v8, v5, -v7
	v_fmac_f32_e32 v6, v2, v5
	buffer_store_dword v7, off, s[0:3], 0 offset:112
	buffer_store_dword v6, off, s[0:3], 0 offset:116
.LBB47_71:
	s_or_b32 exec_lo, exec_lo, s4
	s_waitcnt_vscnt null, 0x0
	s_barrier
	buffer_gl0_inv
	s_clause 0x1
	buffer_load_dword v5, off, s[0:3], 0 offset:120
	buffer_load_dword v6, off, s[0:3], 0 offset:124
	s_mov_b32 s4, exec_lo
	s_waitcnt vmcnt(0)
	ds_write_b64 v4, v[5:6]
	s_waitcnt lgkmcnt(0)
	s_barrier
	buffer_gl0_inv
	v_cmpx_gt_u32_e32 15, v0
	s_cbranch_execz .LBB47_75
; %bb.72:
	v_add_nc_u32_e32 v5, -1, v0
	v_add_nc_u32_e32 v6, 0x180, v3
	v_mov_b32_e32 v7, v3
	v_mov_b32_e32 v2, 0
	;; [unrolled: 1-line block ×3, first 2 shown]
	s_mov_b32 s5, 0
	.p2align	6
.LBB47_73:                              ; =>This Inner Loop Header: Depth=1
	s_clause 0x1
	buffer_load_dword v107, v7, s[0:3], 0 offen offset:4
	buffer_load_dword v108, v7, s[0:3], 0 offen
	ds_read_b64 v[105:106], v6
	v_add_nc_u32_e32 v5, 1, v5
	v_add_nc_u32_e32 v6, 8, v6
	;; [unrolled: 1-line block ×3, first 2 shown]
	v_cmp_lt_u32_e32 vcc_lo, 13, v5
	s_or_b32 s5, vcc_lo, s5
	s_waitcnt vmcnt(1) lgkmcnt(0)
	v_mul_f32_e32 v109, v106, v107
	v_mul_f32_e32 v107, v105, v107
	s_waitcnt vmcnt(0)
	v_fma_f32 v105, v105, v108, -v109
	v_fmac_f32_e32 v107, v106, v108
	v_add_f32_e32 v8, v8, v105
	v_add_f32_e32 v2, v2, v107
	s_andn2_b32 exec_lo, exec_lo, s5
	s_cbranch_execnz .LBB47_73
; %bb.74:
	s_or_b32 exec_lo, exec_lo, s5
	v_mov_b32_e32 v5, 0
	ds_read_b64 v[5:6], v5 offset:120
	s_waitcnt lgkmcnt(0)
	v_mul_f32_e32 v7, v2, v6
	v_mul_f32_e32 v6, v8, v6
	v_fma_f32 v7, v8, v5, -v7
	v_fmac_f32_e32 v6, v2, v5
	buffer_store_dword v7, off, s[0:3], 0 offset:120
	buffer_store_dword v6, off, s[0:3], 0 offset:124
.LBB47_75:
	s_or_b32 exec_lo, exec_lo, s4
	s_waitcnt_vscnt null, 0x0
	s_barrier
	buffer_gl0_inv
	s_clause 0x1
	buffer_load_dword v5, off, s[0:3], 0 offset:128
	buffer_load_dword v6, off, s[0:3], 0 offset:132
	s_mov_b32 s4, exec_lo
	s_waitcnt vmcnt(0)
	ds_write_b64 v4, v[5:6]
	s_waitcnt lgkmcnt(0)
	s_barrier
	buffer_gl0_inv
	v_cmpx_gt_u32_e32 16, v0
	s_cbranch_execz .LBB47_79
; %bb.76:
	v_add_nc_u32_e32 v5, -1, v0
	v_add_nc_u32_e32 v6, 0x180, v3
	v_mov_b32_e32 v7, v3
	v_mov_b32_e32 v2, 0
	;; [unrolled: 1-line block ×3, first 2 shown]
	s_mov_b32 s5, 0
	.p2align	6
.LBB47_77:                              ; =>This Inner Loop Header: Depth=1
	s_clause 0x1
	buffer_load_dword v107, v7, s[0:3], 0 offen offset:4
	buffer_load_dword v108, v7, s[0:3], 0 offen
	ds_read_b64 v[105:106], v6
	v_add_nc_u32_e32 v5, 1, v5
	v_add_nc_u32_e32 v6, 8, v6
	;; [unrolled: 1-line block ×3, first 2 shown]
	v_cmp_lt_u32_e32 vcc_lo, 14, v5
	s_or_b32 s5, vcc_lo, s5
	s_waitcnt vmcnt(1) lgkmcnt(0)
	v_mul_f32_e32 v109, v106, v107
	v_mul_f32_e32 v107, v105, v107
	s_waitcnt vmcnt(0)
	v_fma_f32 v105, v105, v108, -v109
	v_fmac_f32_e32 v107, v106, v108
	v_add_f32_e32 v8, v8, v105
	v_add_f32_e32 v2, v2, v107
	s_andn2_b32 exec_lo, exec_lo, s5
	s_cbranch_execnz .LBB47_77
; %bb.78:
	s_or_b32 exec_lo, exec_lo, s5
	v_mov_b32_e32 v5, 0
	ds_read_b64 v[5:6], v5 offset:128
	s_waitcnt lgkmcnt(0)
	v_mul_f32_e32 v7, v2, v6
	v_mul_f32_e32 v6, v8, v6
	v_fma_f32 v7, v8, v5, -v7
	v_fmac_f32_e32 v6, v2, v5
	buffer_store_dword v7, off, s[0:3], 0 offset:128
	buffer_store_dword v6, off, s[0:3], 0 offset:132
.LBB47_79:
	s_or_b32 exec_lo, exec_lo, s4
	s_waitcnt_vscnt null, 0x0
	s_barrier
	buffer_gl0_inv
	s_clause 0x1
	buffer_load_dword v5, off, s[0:3], 0 offset:136
	buffer_load_dword v6, off, s[0:3], 0 offset:140
	s_mov_b32 s4, exec_lo
	s_waitcnt vmcnt(0)
	ds_write_b64 v4, v[5:6]
	s_waitcnt lgkmcnt(0)
	s_barrier
	buffer_gl0_inv
	v_cmpx_gt_u32_e32 17, v0
	s_cbranch_execz .LBB47_83
; %bb.80:
	v_add_nc_u32_e32 v5, -1, v0
	v_add_nc_u32_e32 v6, 0x180, v3
	v_mov_b32_e32 v7, v3
	v_mov_b32_e32 v2, 0
	;; [unrolled: 1-line block ×3, first 2 shown]
	s_mov_b32 s5, 0
	.p2align	6
.LBB47_81:                              ; =>This Inner Loop Header: Depth=1
	s_clause 0x1
	buffer_load_dword v107, v7, s[0:3], 0 offen offset:4
	buffer_load_dword v108, v7, s[0:3], 0 offen
	ds_read_b64 v[105:106], v6
	v_add_nc_u32_e32 v5, 1, v5
	v_add_nc_u32_e32 v6, 8, v6
	;; [unrolled: 1-line block ×3, first 2 shown]
	v_cmp_lt_u32_e32 vcc_lo, 15, v5
	s_or_b32 s5, vcc_lo, s5
	s_waitcnt vmcnt(1) lgkmcnt(0)
	v_mul_f32_e32 v109, v106, v107
	v_mul_f32_e32 v107, v105, v107
	s_waitcnt vmcnt(0)
	v_fma_f32 v105, v105, v108, -v109
	v_fmac_f32_e32 v107, v106, v108
	v_add_f32_e32 v8, v8, v105
	v_add_f32_e32 v2, v2, v107
	s_andn2_b32 exec_lo, exec_lo, s5
	s_cbranch_execnz .LBB47_81
; %bb.82:
	s_or_b32 exec_lo, exec_lo, s5
	v_mov_b32_e32 v5, 0
	ds_read_b64 v[5:6], v5 offset:136
	s_waitcnt lgkmcnt(0)
	v_mul_f32_e32 v7, v2, v6
	v_mul_f32_e32 v6, v8, v6
	v_fma_f32 v7, v8, v5, -v7
	v_fmac_f32_e32 v6, v2, v5
	buffer_store_dword v7, off, s[0:3], 0 offset:136
	buffer_store_dword v6, off, s[0:3], 0 offset:140
.LBB47_83:
	s_or_b32 exec_lo, exec_lo, s4
	s_waitcnt_vscnt null, 0x0
	s_barrier
	buffer_gl0_inv
	s_clause 0x1
	buffer_load_dword v5, off, s[0:3], 0 offset:144
	buffer_load_dword v6, off, s[0:3], 0 offset:148
	s_mov_b32 s4, exec_lo
	s_waitcnt vmcnt(0)
	ds_write_b64 v4, v[5:6]
	s_waitcnt lgkmcnt(0)
	s_barrier
	buffer_gl0_inv
	v_cmpx_gt_u32_e32 18, v0
	s_cbranch_execz .LBB47_87
; %bb.84:
	v_add_nc_u32_e32 v5, -1, v0
	v_add_nc_u32_e32 v6, 0x180, v3
	v_mov_b32_e32 v7, v3
	v_mov_b32_e32 v2, 0
	;; [unrolled: 1-line block ×3, first 2 shown]
	s_mov_b32 s5, 0
	.p2align	6
.LBB47_85:                              ; =>This Inner Loop Header: Depth=1
	s_clause 0x1
	buffer_load_dword v107, v7, s[0:3], 0 offen offset:4
	buffer_load_dword v108, v7, s[0:3], 0 offen
	ds_read_b64 v[105:106], v6
	v_add_nc_u32_e32 v5, 1, v5
	v_add_nc_u32_e32 v6, 8, v6
	v_add_nc_u32_e32 v7, 8, v7
	v_cmp_lt_u32_e32 vcc_lo, 16, v5
	s_or_b32 s5, vcc_lo, s5
	s_waitcnt vmcnt(1) lgkmcnt(0)
	v_mul_f32_e32 v109, v106, v107
	v_mul_f32_e32 v107, v105, v107
	s_waitcnt vmcnt(0)
	v_fma_f32 v105, v105, v108, -v109
	v_fmac_f32_e32 v107, v106, v108
	v_add_f32_e32 v8, v8, v105
	v_add_f32_e32 v2, v2, v107
	s_andn2_b32 exec_lo, exec_lo, s5
	s_cbranch_execnz .LBB47_85
; %bb.86:
	s_or_b32 exec_lo, exec_lo, s5
	v_mov_b32_e32 v5, 0
	ds_read_b64 v[5:6], v5 offset:144
	s_waitcnt lgkmcnt(0)
	v_mul_f32_e32 v7, v2, v6
	v_mul_f32_e32 v6, v8, v6
	v_fma_f32 v7, v8, v5, -v7
	v_fmac_f32_e32 v6, v2, v5
	buffer_store_dword v7, off, s[0:3], 0 offset:144
	buffer_store_dword v6, off, s[0:3], 0 offset:148
.LBB47_87:
	s_or_b32 exec_lo, exec_lo, s4
	s_waitcnt_vscnt null, 0x0
	s_barrier
	buffer_gl0_inv
	s_clause 0x1
	buffer_load_dword v5, off, s[0:3], 0 offset:152
	buffer_load_dword v6, off, s[0:3], 0 offset:156
	s_mov_b32 s4, exec_lo
	s_waitcnt vmcnt(0)
	ds_write_b64 v4, v[5:6]
	s_waitcnt lgkmcnt(0)
	s_barrier
	buffer_gl0_inv
	v_cmpx_gt_u32_e32 19, v0
	s_cbranch_execz .LBB47_91
; %bb.88:
	v_add_nc_u32_e32 v5, -1, v0
	v_add_nc_u32_e32 v6, 0x180, v3
	v_mov_b32_e32 v7, v3
	v_mov_b32_e32 v2, 0
	;; [unrolled: 1-line block ×3, first 2 shown]
	s_mov_b32 s5, 0
	.p2align	6
.LBB47_89:                              ; =>This Inner Loop Header: Depth=1
	s_clause 0x1
	buffer_load_dword v107, v7, s[0:3], 0 offen offset:4
	buffer_load_dword v108, v7, s[0:3], 0 offen
	ds_read_b64 v[105:106], v6
	v_add_nc_u32_e32 v5, 1, v5
	v_add_nc_u32_e32 v6, 8, v6
	;; [unrolled: 1-line block ×3, first 2 shown]
	v_cmp_lt_u32_e32 vcc_lo, 17, v5
	s_or_b32 s5, vcc_lo, s5
	s_waitcnt vmcnt(1) lgkmcnt(0)
	v_mul_f32_e32 v109, v106, v107
	v_mul_f32_e32 v107, v105, v107
	s_waitcnt vmcnt(0)
	v_fma_f32 v105, v105, v108, -v109
	v_fmac_f32_e32 v107, v106, v108
	v_add_f32_e32 v8, v8, v105
	v_add_f32_e32 v2, v2, v107
	s_andn2_b32 exec_lo, exec_lo, s5
	s_cbranch_execnz .LBB47_89
; %bb.90:
	s_or_b32 exec_lo, exec_lo, s5
	v_mov_b32_e32 v5, 0
	ds_read_b64 v[5:6], v5 offset:152
	s_waitcnt lgkmcnt(0)
	v_mul_f32_e32 v7, v2, v6
	v_mul_f32_e32 v6, v8, v6
	v_fma_f32 v7, v8, v5, -v7
	v_fmac_f32_e32 v6, v2, v5
	buffer_store_dword v7, off, s[0:3], 0 offset:152
	buffer_store_dword v6, off, s[0:3], 0 offset:156
.LBB47_91:
	s_or_b32 exec_lo, exec_lo, s4
	s_waitcnt_vscnt null, 0x0
	s_barrier
	buffer_gl0_inv
	s_clause 0x1
	buffer_load_dword v5, off, s[0:3], 0 offset:160
	buffer_load_dword v6, off, s[0:3], 0 offset:164
	s_mov_b32 s4, exec_lo
	s_waitcnt vmcnt(0)
	ds_write_b64 v4, v[5:6]
	s_waitcnt lgkmcnt(0)
	s_barrier
	buffer_gl0_inv
	v_cmpx_gt_u32_e32 20, v0
	s_cbranch_execz .LBB47_95
; %bb.92:
	v_add_nc_u32_e32 v5, -1, v0
	v_add_nc_u32_e32 v6, 0x180, v3
	v_mov_b32_e32 v7, v3
	v_mov_b32_e32 v2, 0
	v_mov_b32_e32 v8, 0
	s_mov_b32 s5, 0
	.p2align	6
.LBB47_93:                              ; =>This Inner Loop Header: Depth=1
	s_clause 0x1
	buffer_load_dword v107, v7, s[0:3], 0 offen offset:4
	buffer_load_dword v108, v7, s[0:3], 0 offen
	ds_read_b64 v[105:106], v6
	v_add_nc_u32_e32 v5, 1, v5
	v_add_nc_u32_e32 v6, 8, v6
	;; [unrolled: 1-line block ×3, first 2 shown]
	v_cmp_lt_u32_e32 vcc_lo, 18, v5
	s_or_b32 s5, vcc_lo, s5
	s_waitcnt vmcnt(1) lgkmcnt(0)
	v_mul_f32_e32 v109, v106, v107
	v_mul_f32_e32 v107, v105, v107
	s_waitcnt vmcnt(0)
	v_fma_f32 v105, v105, v108, -v109
	v_fmac_f32_e32 v107, v106, v108
	v_add_f32_e32 v8, v8, v105
	v_add_f32_e32 v2, v2, v107
	s_andn2_b32 exec_lo, exec_lo, s5
	s_cbranch_execnz .LBB47_93
; %bb.94:
	s_or_b32 exec_lo, exec_lo, s5
	v_mov_b32_e32 v5, 0
	ds_read_b64 v[5:6], v5 offset:160
	s_waitcnt lgkmcnt(0)
	v_mul_f32_e32 v7, v2, v6
	v_mul_f32_e32 v6, v8, v6
	v_fma_f32 v7, v8, v5, -v7
	v_fmac_f32_e32 v6, v2, v5
	buffer_store_dword v7, off, s[0:3], 0 offset:160
	buffer_store_dword v6, off, s[0:3], 0 offset:164
.LBB47_95:
	s_or_b32 exec_lo, exec_lo, s4
	s_waitcnt_vscnt null, 0x0
	s_barrier
	buffer_gl0_inv
	s_clause 0x1
	buffer_load_dword v5, off, s[0:3], 0 offset:168
	buffer_load_dword v6, off, s[0:3], 0 offset:172
	s_mov_b32 s4, exec_lo
	s_waitcnt vmcnt(0)
	ds_write_b64 v4, v[5:6]
	s_waitcnt lgkmcnt(0)
	s_barrier
	buffer_gl0_inv
	v_cmpx_gt_u32_e32 21, v0
	s_cbranch_execz .LBB47_99
; %bb.96:
	v_add_nc_u32_e32 v5, -1, v0
	v_add_nc_u32_e32 v6, 0x180, v3
	v_mov_b32_e32 v7, v3
	v_mov_b32_e32 v2, 0
	;; [unrolled: 1-line block ×3, first 2 shown]
	s_mov_b32 s5, 0
	.p2align	6
.LBB47_97:                              ; =>This Inner Loop Header: Depth=1
	s_clause 0x1
	buffer_load_dword v107, v7, s[0:3], 0 offen offset:4
	buffer_load_dword v108, v7, s[0:3], 0 offen
	ds_read_b64 v[105:106], v6
	v_add_nc_u32_e32 v5, 1, v5
	v_add_nc_u32_e32 v6, 8, v6
	;; [unrolled: 1-line block ×3, first 2 shown]
	v_cmp_lt_u32_e32 vcc_lo, 19, v5
	s_or_b32 s5, vcc_lo, s5
	s_waitcnt vmcnt(1) lgkmcnt(0)
	v_mul_f32_e32 v109, v106, v107
	v_mul_f32_e32 v107, v105, v107
	s_waitcnt vmcnt(0)
	v_fma_f32 v105, v105, v108, -v109
	v_fmac_f32_e32 v107, v106, v108
	v_add_f32_e32 v8, v8, v105
	v_add_f32_e32 v2, v2, v107
	s_andn2_b32 exec_lo, exec_lo, s5
	s_cbranch_execnz .LBB47_97
; %bb.98:
	s_or_b32 exec_lo, exec_lo, s5
	v_mov_b32_e32 v5, 0
	ds_read_b64 v[5:6], v5 offset:168
	s_waitcnt lgkmcnt(0)
	v_mul_f32_e32 v7, v2, v6
	v_mul_f32_e32 v6, v8, v6
	v_fma_f32 v7, v8, v5, -v7
	v_fmac_f32_e32 v6, v2, v5
	buffer_store_dword v7, off, s[0:3], 0 offset:168
	buffer_store_dword v6, off, s[0:3], 0 offset:172
.LBB47_99:
	s_or_b32 exec_lo, exec_lo, s4
	s_waitcnt_vscnt null, 0x0
	s_barrier
	buffer_gl0_inv
	s_clause 0x1
	buffer_load_dword v5, off, s[0:3], 0 offset:176
	buffer_load_dword v6, off, s[0:3], 0 offset:180
	s_mov_b32 s4, exec_lo
	s_waitcnt vmcnt(0)
	ds_write_b64 v4, v[5:6]
	s_waitcnt lgkmcnt(0)
	s_barrier
	buffer_gl0_inv
	v_cmpx_gt_u32_e32 22, v0
	s_cbranch_execz .LBB47_103
; %bb.100:
	v_add_nc_u32_e32 v5, -1, v0
	v_add_nc_u32_e32 v6, 0x180, v3
	v_mov_b32_e32 v7, v3
	v_mov_b32_e32 v2, 0
	;; [unrolled: 1-line block ×3, first 2 shown]
	s_mov_b32 s5, 0
	.p2align	6
.LBB47_101:                             ; =>This Inner Loop Header: Depth=1
	s_clause 0x1
	buffer_load_dword v107, v7, s[0:3], 0 offen offset:4
	buffer_load_dword v108, v7, s[0:3], 0 offen
	ds_read_b64 v[105:106], v6
	v_add_nc_u32_e32 v5, 1, v5
	v_add_nc_u32_e32 v6, 8, v6
	;; [unrolled: 1-line block ×3, first 2 shown]
	v_cmp_lt_u32_e32 vcc_lo, 20, v5
	s_or_b32 s5, vcc_lo, s5
	s_waitcnt vmcnt(1) lgkmcnt(0)
	v_mul_f32_e32 v109, v106, v107
	v_mul_f32_e32 v107, v105, v107
	s_waitcnt vmcnt(0)
	v_fma_f32 v105, v105, v108, -v109
	v_fmac_f32_e32 v107, v106, v108
	v_add_f32_e32 v8, v8, v105
	v_add_f32_e32 v2, v2, v107
	s_andn2_b32 exec_lo, exec_lo, s5
	s_cbranch_execnz .LBB47_101
; %bb.102:
	s_or_b32 exec_lo, exec_lo, s5
	v_mov_b32_e32 v5, 0
	ds_read_b64 v[5:6], v5 offset:176
	s_waitcnt lgkmcnt(0)
	v_mul_f32_e32 v7, v2, v6
	v_mul_f32_e32 v6, v8, v6
	v_fma_f32 v7, v8, v5, -v7
	v_fmac_f32_e32 v6, v2, v5
	buffer_store_dword v7, off, s[0:3], 0 offset:176
	buffer_store_dword v6, off, s[0:3], 0 offset:180
.LBB47_103:
	s_or_b32 exec_lo, exec_lo, s4
	s_waitcnt_vscnt null, 0x0
	s_barrier
	buffer_gl0_inv
	s_clause 0x1
	buffer_load_dword v5, off, s[0:3], 0 offset:184
	buffer_load_dword v6, off, s[0:3], 0 offset:188
	s_mov_b32 s4, exec_lo
	s_waitcnt vmcnt(0)
	ds_write_b64 v4, v[5:6]
	s_waitcnt lgkmcnt(0)
	s_barrier
	buffer_gl0_inv
	v_cmpx_gt_u32_e32 23, v0
	s_cbranch_execz .LBB47_107
; %bb.104:
	v_add_nc_u32_e32 v5, -1, v0
	v_add_nc_u32_e32 v6, 0x180, v3
	v_mov_b32_e32 v7, v3
	v_mov_b32_e32 v2, 0
	;; [unrolled: 1-line block ×3, first 2 shown]
	s_mov_b32 s5, 0
	.p2align	6
.LBB47_105:                             ; =>This Inner Loop Header: Depth=1
	s_clause 0x1
	buffer_load_dword v107, v7, s[0:3], 0 offen offset:4
	buffer_load_dword v108, v7, s[0:3], 0 offen
	ds_read_b64 v[105:106], v6
	v_add_nc_u32_e32 v5, 1, v5
	v_add_nc_u32_e32 v6, 8, v6
	;; [unrolled: 1-line block ×3, first 2 shown]
	v_cmp_lt_u32_e32 vcc_lo, 21, v5
	s_or_b32 s5, vcc_lo, s5
	s_waitcnt vmcnt(1) lgkmcnt(0)
	v_mul_f32_e32 v109, v106, v107
	v_mul_f32_e32 v107, v105, v107
	s_waitcnt vmcnt(0)
	v_fma_f32 v105, v105, v108, -v109
	v_fmac_f32_e32 v107, v106, v108
	v_add_f32_e32 v8, v8, v105
	v_add_f32_e32 v2, v2, v107
	s_andn2_b32 exec_lo, exec_lo, s5
	s_cbranch_execnz .LBB47_105
; %bb.106:
	s_or_b32 exec_lo, exec_lo, s5
	v_mov_b32_e32 v5, 0
	ds_read_b64 v[5:6], v5 offset:184
	s_waitcnt lgkmcnt(0)
	v_mul_f32_e32 v7, v2, v6
	v_mul_f32_e32 v6, v8, v6
	v_fma_f32 v7, v8, v5, -v7
	v_fmac_f32_e32 v6, v2, v5
	buffer_store_dword v7, off, s[0:3], 0 offset:184
	buffer_store_dword v6, off, s[0:3], 0 offset:188
.LBB47_107:
	s_or_b32 exec_lo, exec_lo, s4
	s_waitcnt_vscnt null, 0x0
	s_barrier
	buffer_gl0_inv
	s_clause 0x1
	buffer_load_dword v5, off, s[0:3], 0 offset:192
	buffer_load_dword v6, off, s[0:3], 0 offset:196
	s_mov_b32 s4, exec_lo
	s_waitcnt vmcnt(0)
	ds_write_b64 v4, v[5:6]
	s_waitcnt lgkmcnt(0)
	s_barrier
	buffer_gl0_inv
	v_cmpx_gt_u32_e32 24, v0
	s_cbranch_execz .LBB47_111
; %bb.108:
	v_add_nc_u32_e32 v5, -1, v0
	v_add_nc_u32_e32 v6, 0x180, v3
	v_mov_b32_e32 v7, v3
	v_mov_b32_e32 v2, 0
	;; [unrolled: 1-line block ×3, first 2 shown]
	s_mov_b32 s5, 0
	.p2align	6
.LBB47_109:                             ; =>This Inner Loop Header: Depth=1
	s_clause 0x1
	buffer_load_dword v107, v7, s[0:3], 0 offen offset:4
	buffer_load_dword v108, v7, s[0:3], 0 offen
	ds_read_b64 v[105:106], v6
	v_add_nc_u32_e32 v5, 1, v5
	v_add_nc_u32_e32 v6, 8, v6
	;; [unrolled: 1-line block ×3, first 2 shown]
	v_cmp_lt_u32_e32 vcc_lo, 22, v5
	s_or_b32 s5, vcc_lo, s5
	s_waitcnt vmcnt(1) lgkmcnt(0)
	v_mul_f32_e32 v109, v106, v107
	v_mul_f32_e32 v107, v105, v107
	s_waitcnt vmcnt(0)
	v_fma_f32 v105, v105, v108, -v109
	v_fmac_f32_e32 v107, v106, v108
	v_add_f32_e32 v8, v8, v105
	v_add_f32_e32 v2, v2, v107
	s_andn2_b32 exec_lo, exec_lo, s5
	s_cbranch_execnz .LBB47_109
; %bb.110:
	s_or_b32 exec_lo, exec_lo, s5
	v_mov_b32_e32 v5, 0
	ds_read_b64 v[5:6], v5 offset:192
	s_waitcnt lgkmcnt(0)
	v_mul_f32_e32 v7, v2, v6
	v_mul_f32_e32 v6, v8, v6
	v_fma_f32 v7, v8, v5, -v7
	v_fmac_f32_e32 v6, v2, v5
	buffer_store_dword v7, off, s[0:3], 0 offset:192
	buffer_store_dword v6, off, s[0:3], 0 offset:196
.LBB47_111:
	s_or_b32 exec_lo, exec_lo, s4
	s_waitcnt_vscnt null, 0x0
	s_barrier
	buffer_gl0_inv
	s_clause 0x1
	buffer_load_dword v5, off, s[0:3], 0 offset:200
	buffer_load_dword v6, off, s[0:3], 0 offset:204
	s_mov_b32 s4, exec_lo
	s_waitcnt vmcnt(0)
	ds_write_b64 v4, v[5:6]
	s_waitcnt lgkmcnt(0)
	s_barrier
	buffer_gl0_inv
	v_cmpx_gt_u32_e32 25, v0
	s_cbranch_execz .LBB47_115
; %bb.112:
	v_add_nc_u32_e32 v5, -1, v0
	v_add_nc_u32_e32 v6, 0x180, v3
	v_mov_b32_e32 v7, v3
	v_mov_b32_e32 v2, 0
	;; [unrolled: 1-line block ×3, first 2 shown]
	s_mov_b32 s5, 0
	.p2align	6
.LBB47_113:                             ; =>This Inner Loop Header: Depth=1
	s_clause 0x1
	buffer_load_dword v107, v7, s[0:3], 0 offen offset:4
	buffer_load_dword v108, v7, s[0:3], 0 offen
	ds_read_b64 v[105:106], v6
	v_add_nc_u32_e32 v5, 1, v5
	v_add_nc_u32_e32 v6, 8, v6
	;; [unrolled: 1-line block ×3, first 2 shown]
	v_cmp_lt_u32_e32 vcc_lo, 23, v5
	s_or_b32 s5, vcc_lo, s5
	s_waitcnt vmcnt(1) lgkmcnt(0)
	v_mul_f32_e32 v109, v106, v107
	v_mul_f32_e32 v107, v105, v107
	s_waitcnt vmcnt(0)
	v_fma_f32 v105, v105, v108, -v109
	v_fmac_f32_e32 v107, v106, v108
	v_add_f32_e32 v8, v8, v105
	v_add_f32_e32 v2, v2, v107
	s_andn2_b32 exec_lo, exec_lo, s5
	s_cbranch_execnz .LBB47_113
; %bb.114:
	s_or_b32 exec_lo, exec_lo, s5
	v_mov_b32_e32 v5, 0
	ds_read_b64 v[5:6], v5 offset:200
	s_waitcnt lgkmcnt(0)
	v_mul_f32_e32 v7, v2, v6
	v_mul_f32_e32 v6, v8, v6
	v_fma_f32 v7, v8, v5, -v7
	v_fmac_f32_e32 v6, v2, v5
	buffer_store_dword v7, off, s[0:3], 0 offset:200
	buffer_store_dword v6, off, s[0:3], 0 offset:204
.LBB47_115:
	s_or_b32 exec_lo, exec_lo, s4
	s_waitcnt_vscnt null, 0x0
	s_barrier
	buffer_gl0_inv
	s_clause 0x1
	buffer_load_dword v5, off, s[0:3], 0 offset:208
	buffer_load_dword v6, off, s[0:3], 0 offset:212
	s_mov_b32 s4, exec_lo
	s_waitcnt vmcnt(0)
	ds_write_b64 v4, v[5:6]
	s_waitcnt lgkmcnt(0)
	s_barrier
	buffer_gl0_inv
	v_cmpx_gt_u32_e32 26, v0
	s_cbranch_execz .LBB47_119
; %bb.116:
	v_add_nc_u32_e32 v5, -1, v0
	v_add_nc_u32_e32 v6, 0x180, v3
	v_mov_b32_e32 v7, v3
	v_mov_b32_e32 v2, 0
	;; [unrolled: 1-line block ×3, first 2 shown]
	s_mov_b32 s5, 0
	.p2align	6
.LBB47_117:                             ; =>This Inner Loop Header: Depth=1
	s_clause 0x1
	buffer_load_dword v107, v7, s[0:3], 0 offen offset:4
	buffer_load_dword v108, v7, s[0:3], 0 offen
	ds_read_b64 v[105:106], v6
	v_add_nc_u32_e32 v5, 1, v5
	v_add_nc_u32_e32 v6, 8, v6
	;; [unrolled: 1-line block ×3, first 2 shown]
	v_cmp_lt_u32_e32 vcc_lo, 24, v5
	s_or_b32 s5, vcc_lo, s5
	s_waitcnt vmcnt(1) lgkmcnt(0)
	v_mul_f32_e32 v109, v106, v107
	v_mul_f32_e32 v107, v105, v107
	s_waitcnt vmcnt(0)
	v_fma_f32 v105, v105, v108, -v109
	v_fmac_f32_e32 v107, v106, v108
	v_add_f32_e32 v8, v8, v105
	v_add_f32_e32 v2, v2, v107
	s_andn2_b32 exec_lo, exec_lo, s5
	s_cbranch_execnz .LBB47_117
; %bb.118:
	s_or_b32 exec_lo, exec_lo, s5
	v_mov_b32_e32 v5, 0
	ds_read_b64 v[5:6], v5 offset:208
	s_waitcnt lgkmcnt(0)
	v_mul_f32_e32 v7, v2, v6
	v_mul_f32_e32 v6, v8, v6
	v_fma_f32 v7, v8, v5, -v7
	v_fmac_f32_e32 v6, v2, v5
	buffer_store_dword v7, off, s[0:3], 0 offset:208
	buffer_store_dword v6, off, s[0:3], 0 offset:212
.LBB47_119:
	s_or_b32 exec_lo, exec_lo, s4
	s_waitcnt_vscnt null, 0x0
	s_barrier
	buffer_gl0_inv
	s_clause 0x1
	buffer_load_dword v5, off, s[0:3], 0 offset:216
	buffer_load_dword v6, off, s[0:3], 0 offset:220
	s_mov_b32 s4, exec_lo
	s_waitcnt vmcnt(0)
	ds_write_b64 v4, v[5:6]
	s_waitcnt lgkmcnt(0)
	s_barrier
	buffer_gl0_inv
	v_cmpx_gt_u32_e32 27, v0
	s_cbranch_execz .LBB47_123
; %bb.120:
	v_add_nc_u32_e32 v5, -1, v0
	v_add_nc_u32_e32 v6, 0x180, v3
	v_mov_b32_e32 v7, v3
	v_mov_b32_e32 v2, 0
	;; [unrolled: 1-line block ×3, first 2 shown]
	s_mov_b32 s5, 0
	.p2align	6
.LBB47_121:                             ; =>This Inner Loop Header: Depth=1
	s_clause 0x1
	buffer_load_dword v107, v7, s[0:3], 0 offen offset:4
	buffer_load_dword v108, v7, s[0:3], 0 offen
	ds_read_b64 v[105:106], v6
	v_add_nc_u32_e32 v5, 1, v5
	v_add_nc_u32_e32 v6, 8, v6
	;; [unrolled: 1-line block ×3, first 2 shown]
	v_cmp_lt_u32_e32 vcc_lo, 25, v5
	s_or_b32 s5, vcc_lo, s5
	s_waitcnt vmcnt(1) lgkmcnt(0)
	v_mul_f32_e32 v109, v106, v107
	v_mul_f32_e32 v107, v105, v107
	s_waitcnt vmcnt(0)
	v_fma_f32 v105, v105, v108, -v109
	v_fmac_f32_e32 v107, v106, v108
	v_add_f32_e32 v8, v8, v105
	v_add_f32_e32 v2, v2, v107
	s_andn2_b32 exec_lo, exec_lo, s5
	s_cbranch_execnz .LBB47_121
; %bb.122:
	s_or_b32 exec_lo, exec_lo, s5
	v_mov_b32_e32 v5, 0
	ds_read_b64 v[5:6], v5 offset:216
	s_waitcnt lgkmcnt(0)
	v_mul_f32_e32 v7, v2, v6
	v_mul_f32_e32 v6, v8, v6
	v_fma_f32 v7, v8, v5, -v7
	v_fmac_f32_e32 v6, v2, v5
	buffer_store_dword v7, off, s[0:3], 0 offset:216
	buffer_store_dword v6, off, s[0:3], 0 offset:220
.LBB47_123:
	s_or_b32 exec_lo, exec_lo, s4
	s_waitcnt_vscnt null, 0x0
	s_barrier
	buffer_gl0_inv
	s_clause 0x1
	buffer_load_dword v5, off, s[0:3], 0 offset:224
	buffer_load_dword v6, off, s[0:3], 0 offset:228
	s_mov_b32 s4, exec_lo
	s_waitcnt vmcnt(0)
	ds_write_b64 v4, v[5:6]
	s_waitcnt lgkmcnt(0)
	s_barrier
	buffer_gl0_inv
	v_cmpx_gt_u32_e32 28, v0
	s_cbranch_execz .LBB47_127
; %bb.124:
	v_add_nc_u32_e32 v5, -1, v0
	v_add_nc_u32_e32 v6, 0x180, v3
	v_mov_b32_e32 v7, v3
	v_mov_b32_e32 v2, 0
	;; [unrolled: 1-line block ×3, first 2 shown]
	s_mov_b32 s5, 0
	.p2align	6
.LBB47_125:                             ; =>This Inner Loop Header: Depth=1
	s_clause 0x1
	buffer_load_dword v107, v7, s[0:3], 0 offen offset:4
	buffer_load_dword v108, v7, s[0:3], 0 offen
	ds_read_b64 v[105:106], v6
	v_add_nc_u32_e32 v5, 1, v5
	v_add_nc_u32_e32 v6, 8, v6
	;; [unrolled: 1-line block ×3, first 2 shown]
	v_cmp_lt_u32_e32 vcc_lo, 26, v5
	s_or_b32 s5, vcc_lo, s5
	s_waitcnt vmcnt(1) lgkmcnt(0)
	v_mul_f32_e32 v109, v106, v107
	v_mul_f32_e32 v107, v105, v107
	s_waitcnt vmcnt(0)
	v_fma_f32 v105, v105, v108, -v109
	v_fmac_f32_e32 v107, v106, v108
	v_add_f32_e32 v8, v8, v105
	v_add_f32_e32 v2, v2, v107
	s_andn2_b32 exec_lo, exec_lo, s5
	s_cbranch_execnz .LBB47_125
; %bb.126:
	s_or_b32 exec_lo, exec_lo, s5
	v_mov_b32_e32 v5, 0
	ds_read_b64 v[5:6], v5 offset:224
	s_waitcnt lgkmcnt(0)
	v_mul_f32_e32 v7, v2, v6
	v_mul_f32_e32 v6, v8, v6
	v_fma_f32 v7, v8, v5, -v7
	v_fmac_f32_e32 v6, v2, v5
	buffer_store_dword v7, off, s[0:3], 0 offset:224
	buffer_store_dword v6, off, s[0:3], 0 offset:228
.LBB47_127:
	s_or_b32 exec_lo, exec_lo, s4
	s_waitcnt_vscnt null, 0x0
	s_barrier
	buffer_gl0_inv
	s_clause 0x1
	buffer_load_dword v5, off, s[0:3], 0 offset:232
	buffer_load_dword v6, off, s[0:3], 0 offset:236
	s_mov_b32 s4, exec_lo
	s_waitcnt vmcnt(0)
	ds_write_b64 v4, v[5:6]
	s_waitcnt lgkmcnt(0)
	s_barrier
	buffer_gl0_inv
	v_cmpx_gt_u32_e32 29, v0
	s_cbranch_execz .LBB47_131
; %bb.128:
	v_add_nc_u32_e32 v5, -1, v0
	v_add_nc_u32_e32 v6, 0x180, v3
	v_mov_b32_e32 v7, v3
	v_mov_b32_e32 v2, 0
	;; [unrolled: 1-line block ×3, first 2 shown]
	s_mov_b32 s5, 0
	.p2align	6
.LBB47_129:                             ; =>This Inner Loop Header: Depth=1
	s_clause 0x1
	buffer_load_dword v107, v7, s[0:3], 0 offen offset:4
	buffer_load_dword v108, v7, s[0:3], 0 offen
	ds_read_b64 v[105:106], v6
	v_add_nc_u32_e32 v5, 1, v5
	v_add_nc_u32_e32 v6, 8, v6
	;; [unrolled: 1-line block ×3, first 2 shown]
	v_cmp_lt_u32_e32 vcc_lo, 27, v5
	s_or_b32 s5, vcc_lo, s5
	s_waitcnt vmcnt(1) lgkmcnt(0)
	v_mul_f32_e32 v109, v106, v107
	v_mul_f32_e32 v107, v105, v107
	s_waitcnt vmcnt(0)
	v_fma_f32 v105, v105, v108, -v109
	v_fmac_f32_e32 v107, v106, v108
	v_add_f32_e32 v8, v8, v105
	v_add_f32_e32 v2, v2, v107
	s_andn2_b32 exec_lo, exec_lo, s5
	s_cbranch_execnz .LBB47_129
; %bb.130:
	s_or_b32 exec_lo, exec_lo, s5
	v_mov_b32_e32 v5, 0
	ds_read_b64 v[5:6], v5 offset:232
	s_waitcnt lgkmcnt(0)
	v_mul_f32_e32 v7, v2, v6
	v_mul_f32_e32 v6, v8, v6
	v_fma_f32 v7, v8, v5, -v7
	v_fmac_f32_e32 v6, v2, v5
	buffer_store_dword v7, off, s[0:3], 0 offset:232
	buffer_store_dword v6, off, s[0:3], 0 offset:236
.LBB47_131:
	s_or_b32 exec_lo, exec_lo, s4
	s_waitcnt_vscnt null, 0x0
	s_barrier
	buffer_gl0_inv
	s_clause 0x1
	buffer_load_dword v5, off, s[0:3], 0 offset:240
	buffer_load_dword v6, off, s[0:3], 0 offset:244
	s_mov_b32 s4, exec_lo
	s_waitcnt vmcnt(0)
	ds_write_b64 v4, v[5:6]
	s_waitcnt lgkmcnt(0)
	s_barrier
	buffer_gl0_inv
	v_cmpx_gt_u32_e32 30, v0
	s_cbranch_execz .LBB47_135
; %bb.132:
	v_add_nc_u32_e32 v5, -1, v0
	v_add_nc_u32_e32 v6, 0x180, v3
	v_mov_b32_e32 v7, v3
	v_mov_b32_e32 v2, 0
	;; [unrolled: 1-line block ×3, first 2 shown]
	s_mov_b32 s5, 0
	.p2align	6
.LBB47_133:                             ; =>This Inner Loop Header: Depth=1
	s_clause 0x1
	buffer_load_dword v107, v7, s[0:3], 0 offen offset:4
	buffer_load_dword v108, v7, s[0:3], 0 offen
	ds_read_b64 v[105:106], v6
	v_add_nc_u32_e32 v5, 1, v5
	v_add_nc_u32_e32 v6, 8, v6
	;; [unrolled: 1-line block ×3, first 2 shown]
	v_cmp_lt_u32_e32 vcc_lo, 28, v5
	s_or_b32 s5, vcc_lo, s5
	s_waitcnt vmcnt(1) lgkmcnt(0)
	v_mul_f32_e32 v109, v106, v107
	v_mul_f32_e32 v107, v105, v107
	s_waitcnt vmcnt(0)
	v_fma_f32 v105, v105, v108, -v109
	v_fmac_f32_e32 v107, v106, v108
	v_add_f32_e32 v8, v8, v105
	v_add_f32_e32 v2, v2, v107
	s_andn2_b32 exec_lo, exec_lo, s5
	s_cbranch_execnz .LBB47_133
; %bb.134:
	s_or_b32 exec_lo, exec_lo, s5
	v_mov_b32_e32 v5, 0
	ds_read_b64 v[5:6], v5 offset:240
	s_waitcnt lgkmcnt(0)
	v_mul_f32_e32 v7, v2, v6
	v_mul_f32_e32 v6, v8, v6
	v_fma_f32 v7, v8, v5, -v7
	v_fmac_f32_e32 v6, v2, v5
	buffer_store_dword v7, off, s[0:3], 0 offset:240
	buffer_store_dword v6, off, s[0:3], 0 offset:244
.LBB47_135:
	s_or_b32 exec_lo, exec_lo, s4
	s_waitcnt_vscnt null, 0x0
	s_barrier
	buffer_gl0_inv
	s_clause 0x1
	buffer_load_dword v5, off, s[0:3], 0 offset:248
	buffer_load_dword v6, off, s[0:3], 0 offset:252
	s_mov_b32 s4, exec_lo
	s_waitcnt vmcnt(0)
	ds_write_b64 v4, v[5:6]
	s_waitcnt lgkmcnt(0)
	s_barrier
	buffer_gl0_inv
	v_cmpx_gt_u32_e32 31, v0
	s_cbranch_execz .LBB47_139
; %bb.136:
	v_add_nc_u32_e32 v5, -1, v0
	v_add_nc_u32_e32 v6, 0x180, v3
	v_mov_b32_e32 v7, v3
	v_mov_b32_e32 v2, 0
	;; [unrolled: 1-line block ×3, first 2 shown]
	s_mov_b32 s5, 0
	.p2align	6
.LBB47_137:                             ; =>This Inner Loop Header: Depth=1
	s_clause 0x1
	buffer_load_dword v107, v7, s[0:3], 0 offen offset:4
	buffer_load_dword v108, v7, s[0:3], 0 offen
	ds_read_b64 v[105:106], v6
	v_add_nc_u32_e32 v5, 1, v5
	v_add_nc_u32_e32 v6, 8, v6
	;; [unrolled: 1-line block ×3, first 2 shown]
	v_cmp_lt_u32_e32 vcc_lo, 29, v5
	s_or_b32 s5, vcc_lo, s5
	s_waitcnt vmcnt(1) lgkmcnt(0)
	v_mul_f32_e32 v109, v106, v107
	v_mul_f32_e32 v107, v105, v107
	s_waitcnt vmcnt(0)
	v_fma_f32 v105, v105, v108, -v109
	v_fmac_f32_e32 v107, v106, v108
	v_add_f32_e32 v8, v8, v105
	v_add_f32_e32 v2, v2, v107
	s_andn2_b32 exec_lo, exec_lo, s5
	s_cbranch_execnz .LBB47_137
; %bb.138:
	s_or_b32 exec_lo, exec_lo, s5
	v_mov_b32_e32 v5, 0
	ds_read_b64 v[5:6], v5 offset:248
	s_waitcnt lgkmcnt(0)
	v_mul_f32_e32 v7, v2, v6
	v_mul_f32_e32 v6, v8, v6
	v_fma_f32 v7, v8, v5, -v7
	v_fmac_f32_e32 v6, v2, v5
	buffer_store_dword v7, off, s[0:3], 0 offset:248
	buffer_store_dword v6, off, s[0:3], 0 offset:252
.LBB47_139:
	s_or_b32 exec_lo, exec_lo, s4
	s_waitcnt_vscnt null, 0x0
	s_barrier
	buffer_gl0_inv
	s_clause 0x1
	buffer_load_dword v5, off, s[0:3], 0 offset:256
	buffer_load_dword v6, off, s[0:3], 0 offset:260
	s_mov_b32 s4, exec_lo
	s_waitcnt vmcnt(0)
	ds_write_b64 v4, v[5:6]
	s_waitcnt lgkmcnt(0)
	s_barrier
	buffer_gl0_inv
	v_cmpx_gt_u32_e32 32, v0
	s_cbranch_execz .LBB47_143
; %bb.140:
	v_add_nc_u32_e32 v5, -1, v0
	v_add_nc_u32_e32 v6, 0x180, v3
	v_mov_b32_e32 v7, v3
	v_mov_b32_e32 v2, 0
	;; [unrolled: 1-line block ×3, first 2 shown]
	s_mov_b32 s5, 0
	.p2align	6
.LBB47_141:                             ; =>This Inner Loop Header: Depth=1
	s_clause 0x1
	buffer_load_dword v107, v7, s[0:3], 0 offen offset:4
	buffer_load_dword v108, v7, s[0:3], 0 offen
	ds_read_b64 v[105:106], v6
	v_add_nc_u32_e32 v5, 1, v5
	v_add_nc_u32_e32 v6, 8, v6
	;; [unrolled: 1-line block ×3, first 2 shown]
	v_cmp_lt_u32_e32 vcc_lo, 30, v5
	s_or_b32 s5, vcc_lo, s5
	s_waitcnt vmcnt(1) lgkmcnt(0)
	v_mul_f32_e32 v109, v106, v107
	v_mul_f32_e32 v107, v105, v107
	s_waitcnt vmcnt(0)
	v_fma_f32 v105, v105, v108, -v109
	v_fmac_f32_e32 v107, v106, v108
	v_add_f32_e32 v8, v8, v105
	v_add_f32_e32 v2, v2, v107
	s_andn2_b32 exec_lo, exec_lo, s5
	s_cbranch_execnz .LBB47_141
; %bb.142:
	s_or_b32 exec_lo, exec_lo, s5
	v_mov_b32_e32 v5, 0
	ds_read_b64 v[5:6], v5 offset:256
	s_waitcnt lgkmcnt(0)
	v_mul_f32_e32 v7, v2, v6
	v_mul_f32_e32 v6, v8, v6
	v_fma_f32 v7, v8, v5, -v7
	v_fmac_f32_e32 v6, v2, v5
	buffer_store_dword v7, off, s[0:3], 0 offset:256
	buffer_store_dword v6, off, s[0:3], 0 offset:260
.LBB47_143:
	s_or_b32 exec_lo, exec_lo, s4
	s_waitcnt_vscnt null, 0x0
	s_barrier
	buffer_gl0_inv
	s_clause 0x1
	buffer_load_dword v5, off, s[0:3], 0 offset:264
	buffer_load_dword v6, off, s[0:3], 0 offset:268
	s_mov_b32 s4, exec_lo
	s_waitcnt vmcnt(0)
	ds_write_b64 v4, v[5:6]
	s_waitcnt lgkmcnt(0)
	s_barrier
	buffer_gl0_inv
	v_cmpx_gt_u32_e32 33, v0
	s_cbranch_execz .LBB47_147
; %bb.144:
	v_add_nc_u32_e32 v5, -1, v0
	v_add_nc_u32_e32 v6, 0x180, v3
	v_mov_b32_e32 v7, v3
	v_mov_b32_e32 v2, 0
	;; [unrolled: 1-line block ×3, first 2 shown]
	s_mov_b32 s5, 0
	.p2align	6
.LBB47_145:                             ; =>This Inner Loop Header: Depth=1
	s_clause 0x1
	buffer_load_dword v107, v7, s[0:3], 0 offen offset:4
	buffer_load_dword v108, v7, s[0:3], 0 offen
	ds_read_b64 v[105:106], v6
	v_add_nc_u32_e32 v5, 1, v5
	v_add_nc_u32_e32 v6, 8, v6
	;; [unrolled: 1-line block ×3, first 2 shown]
	v_cmp_lt_u32_e32 vcc_lo, 31, v5
	s_or_b32 s5, vcc_lo, s5
	s_waitcnt vmcnt(1) lgkmcnt(0)
	v_mul_f32_e32 v109, v106, v107
	v_mul_f32_e32 v107, v105, v107
	s_waitcnt vmcnt(0)
	v_fma_f32 v105, v105, v108, -v109
	v_fmac_f32_e32 v107, v106, v108
	v_add_f32_e32 v8, v8, v105
	v_add_f32_e32 v2, v2, v107
	s_andn2_b32 exec_lo, exec_lo, s5
	s_cbranch_execnz .LBB47_145
; %bb.146:
	s_or_b32 exec_lo, exec_lo, s5
	v_mov_b32_e32 v5, 0
	ds_read_b64 v[5:6], v5 offset:264
	s_waitcnt lgkmcnt(0)
	v_mul_f32_e32 v7, v2, v6
	v_mul_f32_e32 v6, v8, v6
	v_fma_f32 v7, v8, v5, -v7
	v_fmac_f32_e32 v6, v2, v5
	buffer_store_dword v7, off, s[0:3], 0 offset:264
	buffer_store_dword v6, off, s[0:3], 0 offset:268
.LBB47_147:
	s_or_b32 exec_lo, exec_lo, s4
	s_waitcnt_vscnt null, 0x0
	s_barrier
	buffer_gl0_inv
	s_clause 0x1
	buffer_load_dword v5, off, s[0:3], 0 offset:272
	buffer_load_dword v6, off, s[0:3], 0 offset:276
	s_mov_b32 s4, exec_lo
	s_waitcnt vmcnt(0)
	ds_write_b64 v4, v[5:6]
	s_waitcnt lgkmcnt(0)
	s_barrier
	buffer_gl0_inv
	v_cmpx_gt_u32_e32 34, v0
	s_cbranch_execz .LBB47_151
; %bb.148:
	v_add_nc_u32_e32 v5, -1, v0
	v_add_nc_u32_e32 v6, 0x180, v3
	v_mov_b32_e32 v7, v3
	v_mov_b32_e32 v2, 0
	;; [unrolled: 1-line block ×3, first 2 shown]
	s_mov_b32 s5, 0
	.p2align	6
.LBB47_149:                             ; =>This Inner Loop Header: Depth=1
	s_clause 0x1
	buffer_load_dword v107, v7, s[0:3], 0 offen offset:4
	buffer_load_dword v108, v7, s[0:3], 0 offen
	ds_read_b64 v[105:106], v6
	v_add_nc_u32_e32 v5, 1, v5
	v_add_nc_u32_e32 v6, 8, v6
	;; [unrolled: 1-line block ×3, first 2 shown]
	v_cmp_lt_u32_e32 vcc_lo, 32, v5
	s_or_b32 s5, vcc_lo, s5
	s_waitcnt vmcnt(1) lgkmcnt(0)
	v_mul_f32_e32 v109, v106, v107
	v_mul_f32_e32 v107, v105, v107
	s_waitcnt vmcnt(0)
	v_fma_f32 v105, v105, v108, -v109
	v_fmac_f32_e32 v107, v106, v108
	v_add_f32_e32 v8, v8, v105
	v_add_f32_e32 v2, v2, v107
	s_andn2_b32 exec_lo, exec_lo, s5
	s_cbranch_execnz .LBB47_149
; %bb.150:
	s_or_b32 exec_lo, exec_lo, s5
	v_mov_b32_e32 v5, 0
	ds_read_b64 v[5:6], v5 offset:272
	s_waitcnt lgkmcnt(0)
	v_mul_f32_e32 v7, v2, v6
	v_mul_f32_e32 v6, v8, v6
	v_fma_f32 v7, v8, v5, -v7
	v_fmac_f32_e32 v6, v2, v5
	buffer_store_dword v7, off, s[0:3], 0 offset:272
	buffer_store_dword v6, off, s[0:3], 0 offset:276
.LBB47_151:
	s_or_b32 exec_lo, exec_lo, s4
	s_waitcnt_vscnt null, 0x0
	s_barrier
	buffer_gl0_inv
	s_clause 0x1
	buffer_load_dword v5, off, s[0:3], 0 offset:280
	buffer_load_dword v6, off, s[0:3], 0 offset:284
	s_mov_b32 s4, exec_lo
	s_waitcnt vmcnt(0)
	ds_write_b64 v4, v[5:6]
	s_waitcnt lgkmcnt(0)
	s_barrier
	buffer_gl0_inv
	v_cmpx_gt_u32_e32 35, v0
	s_cbranch_execz .LBB47_155
; %bb.152:
	v_add_nc_u32_e32 v5, -1, v0
	v_add_nc_u32_e32 v6, 0x180, v3
	v_mov_b32_e32 v7, v3
	v_mov_b32_e32 v2, 0
	;; [unrolled: 1-line block ×3, first 2 shown]
	s_mov_b32 s5, 0
	.p2align	6
.LBB47_153:                             ; =>This Inner Loop Header: Depth=1
	s_clause 0x1
	buffer_load_dword v107, v7, s[0:3], 0 offen offset:4
	buffer_load_dword v108, v7, s[0:3], 0 offen
	ds_read_b64 v[105:106], v6
	v_add_nc_u32_e32 v5, 1, v5
	v_add_nc_u32_e32 v6, 8, v6
	;; [unrolled: 1-line block ×3, first 2 shown]
	v_cmp_lt_u32_e32 vcc_lo, 33, v5
	s_or_b32 s5, vcc_lo, s5
	s_waitcnt vmcnt(1) lgkmcnt(0)
	v_mul_f32_e32 v109, v106, v107
	v_mul_f32_e32 v107, v105, v107
	s_waitcnt vmcnt(0)
	v_fma_f32 v105, v105, v108, -v109
	v_fmac_f32_e32 v107, v106, v108
	v_add_f32_e32 v8, v8, v105
	v_add_f32_e32 v2, v2, v107
	s_andn2_b32 exec_lo, exec_lo, s5
	s_cbranch_execnz .LBB47_153
; %bb.154:
	s_or_b32 exec_lo, exec_lo, s5
	v_mov_b32_e32 v5, 0
	ds_read_b64 v[5:6], v5 offset:280
	s_waitcnt lgkmcnt(0)
	v_mul_f32_e32 v7, v2, v6
	v_mul_f32_e32 v6, v8, v6
	v_fma_f32 v7, v8, v5, -v7
	v_fmac_f32_e32 v6, v2, v5
	buffer_store_dword v7, off, s[0:3], 0 offset:280
	buffer_store_dword v6, off, s[0:3], 0 offset:284
.LBB47_155:
	s_or_b32 exec_lo, exec_lo, s4
	s_waitcnt_vscnt null, 0x0
	s_barrier
	buffer_gl0_inv
	s_clause 0x1
	buffer_load_dword v5, off, s[0:3], 0 offset:288
	buffer_load_dword v6, off, s[0:3], 0 offset:292
	s_mov_b32 s4, exec_lo
	s_waitcnt vmcnt(0)
	ds_write_b64 v4, v[5:6]
	s_waitcnt lgkmcnt(0)
	s_barrier
	buffer_gl0_inv
	v_cmpx_gt_u32_e32 36, v0
	s_cbranch_execz .LBB47_159
; %bb.156:
	v_add_nc_u32_e32 v5, -1, v0
	v_add_nc_u32_e32 v6, 0x180, v3
	v_mov_b32_e32 v7, v3
	v_mov_b32_e32 v2, 0
	;; [unrolled: 1-line block ×3, first 2 shown]
	s_mov_b32 s5, 0
	.p2align	6
.LBB47_157:                             ; =>This Inner Loop Header: Depth=1
	s_clause 0x1
	buffer_load_dword v107, v7, s[0:3], 0 offen offset:4
	buffer_load_dword v108, v7, s[0:3], 0 offen
	ds_read_b64 v[105:106], v6
	v_add_nc_u32_e32 v5, 1, v5
	v_add_nc_u32_e32 v6, 8, v6
	;; [unrolled: 1-line block ×3, first 2 shown]
	v_cmp_lt_u32_e32 vcc_lo, 34, v5
	s_or_b32 s5, vcc_lo, s5
	s_waitcnt vmcnt(1) lgkmcnt(0)
	v_mul_f32_e32 v109, v106, v107
	v_mul_f32_e32 v107, v105, v107
	s_waitcnt vmcnt(0)
	v_fma_f32 v105, v105, v108, -v109
	v_fmac_f32_e32 v107, v106, v108
	v_add_f32_e32 v8, v8, v105
	v_add_f32_e32 v2, v2, v107
	s_andn2_b32 exec_lo, exec_lo, s5
	s_cbranch_execnz .LBB47_157
; %bb.158:
	s_or_b32 exec_lo, exec_lo, s5
	v_mov_b32_e32 v5, 0
	ds_read_b64 v[5:6], v5 offset:288
	s_waitcnt lgkmcnt(0)
	v_mul_f32_e32 v7, v2, v6
	v_mul_f32_e32 v6, v8, v6
	v_fma_f32 v7, v8, v5, -v7
	v_fmac_f32_e32 v6, v2, v5
	buffer_store_dword v7, off, s[0:3], 0 offset:288
	buffer_store_dword v6, off, s[0:3], 0 offset:292
.LBB47_159:
	s_or_b32 exec_lo, exec_lo, s4
	s_waitcnt_vscnt null, 0x0
	s_barrier
	buffer_gl0_inv
	s_clause 0x1
	buffer_load_dword v5, off, s[0:3], 0 offset:296
	buffer_load_dword v6, off, s[0:3], 0 offset:300
	s_mov_b32 s4, exec_lo
	s_waitcnt vmcnt(0)
	ds_write_b64 v4, v[5:6]
	s_waitcnt lgkmcnt(0)
	s_barrier
	buffer_gl0_inv
	v_cmpx_gt_u32_e32 37, v0
	s_cbranch_execz .LBB47_163
; %bb.160:
	v_add_nc_u32_e32 v5, -1, v0
	v_add_nc_u32_e32 v6, 0x180, v3
	v_mov_b32_e32 v7, v3
	v_mov_b32_e32 v2, 0
	;; [unrolled: 1-line block ×3, first 2 shown]
	s_mov_b32 s5, 0
	.p2align	6
.LBB47_161:                             ; =>This Inner Loop Header: Depth=1
	s_clause 0x1
	buffer_load_dword v107, v7, s[0:3], 0 offen offset:4
	buffer_load_dword v108, v7, s[0:3], 0 offen
	ds_read_b64 v[105:106], v6
	v_add_nc_u32_e32 v5, 1, v5
	v_add_nc_u32_e32 v6, 8, v6
	;; [unrolled: 1-line block ×3, first 2 shown]
	v_cmp_lt_u32_e32 vcc_lo, 35, v5
	s_or_b32 s5, vcc_lo, s5
	s_waitcnt vmcnt(1) lgkmcnt(0)
	v_mul_f32_e32 v109, v106, v107
	v_mul_f32_e32 v107, v105, v107
	s_waitcnt vmcnt(0)
	v_fma_f32 v105, v105, v108, -v109
	v_fmac_f32_e32 v107, v106, v108
	v_add_f32_e32 v8, v8, v105
	v_add_f32_e32 v2, v2, v107
	s_andn2_b32 exec_lo, exec_lo, s5
	s_cbranch_execnz .LBB47_161
; %bb.162:
	s_or_b32 exec_lo, exec_lo, s5
	v_mov_b32_e32 v5, 0
	ds_read_b64 v[5:6], v5 offset:296
	s_waitcnt lgkmcnt(0)
	v_mul_f32_e32 v7, v2, v6
	v_mul_f32_e32 v6, v8, v6
	v_fma_f32 v7, v8, v5, -v7
	v_fmac_f32_e32 v6, v2, v5
	buffer_store_dword v7, off, s[0:3], 0 offset:296
	buffer_store_dword v6, off, s[0:3], 0 offset:300
.LBB47_163:
	s_or_b32 exec_lo, exec_lo, s4
	s_waitcnt_vscnt null, 0x0
	s_barrier
	buffer_gl0_inv
	s_clause 0x1
	buffer_load_dword v5, off, s[0:3], 0 offset:304
	buffer_load_dword v6, off, s[0:3], 0 offset:308
	s_mov_b32 s4, exec_lo
	s_waitcnt vmcnt(0)
	ds_write_b64 v4, v[5:6]
	s_waitcnt lgkmcnt(0)
	s_barrier
	buffer_gl0_inv
	v_cmpx_gt_u32_e32 38, v0
	s_cbranch_execz .LBB47_167
; %bb.164:
	v_add_nc_u32_e32 v5, -1, v0
	v_add_nc_u32_e32 v6, 0x180, v3
	v_mov_b32_e32 v7, v3
	v_mov_b32_e32 v2, 0
	;; [unrolled: 1-line block ×3, first 2 shown]
	s_mov_b32 s5, 0
	.p2align	6
.LBB47_165:                             ; =>This Inner Loop Header: Depth=1
	s_clause 0x1
	buffer_load_dword v107, v7, s[0:3], 0 offen offset:4
	buffer_load_dword v108, v7, s[0:3], 0 offen
	ds_read_b64 v[105:106], v6
	v_add_nc_u32_e32 v5, 1, v5
	v_add_nc_u32_e32 v6, 8, v6
	;; [unrolled: 1-line block ×3, first 2 shown]
	v_cmp_lt_u32_e32 vcc_lo, 36, v5
	s_or_b32 s5, vcc_lo, s5
	s_waitcnt vmcnt(1) lgkmcnt(0)
	v_mul_f32_e32 v109, v106, v107
	v_mul_f32_e32 v107, v105, v107
	s_waitcnt vmcnt(0)
	v_fma_f32 v105, v105, v108, -v109
	v_fmac_f32_e32 v107, v106, v108
	v_add_f32_e32 v8, v8, v105
	v_add_f32_e32 v2, v2, v107
	s_andn2_b32 exec_lo, exec_lo, s5
	s_cbranch_execnz .LBB47_165
; %bb.166:
	s_or_b32 exec_lo, exec_lo, s5
	v_mov_b32_e32 v5, 0
	ds_read_b64 v[5:6], v5 offset:304
	s_waitcnt lgkmcnt(0)
	v_mul_f32_e32 v7, v2, v6
	v_mul_f32_e32 v6, v8, v6
	v_fma_f32 v7, v8, v5, -v7
	v_fmac_f32_e32 v6, v2, v5
	buffer_store_dword v7, off, s[0:3], 0 offset:304
	buffer_store_dword v6, off, s[0:3], 0 offset:308
.LBB47_167:
	s_or_b32 exec_lo, exec_lo, s4
	s_waitcnt_vscnt null, 0x0
	s_barrier
	buffer_gl0_inv
	s_clause 0x1
	buffer_load_dword v5, off, s[0:3], 0 offset:312
	buffer_load_dword v6, off, s[0:3], 0 offset:316
	s_mov_b32 s4, exec_lo
	s_waitcnt vmcnt(0)
	ds_write_b64 v4, v[5:6]
	s_waitcnt lgkmcnt(0)
	s_barrier
	buffer_gl0_inv
	v_cmpx_gt_u32_e32 39, v0
	s_cbranch_execz .LBB47_171
; %bb.168:
	v_add_nc_u32_e32 v5, -1, v0
	v_add_nc_u32_e32 v6, 0x180, v3
	v_mov_b32_e32 v7, v3
	v_mov_b32_e32 v2, 0
	;; [unrolled: 1-line block ×3, first 2 shown]
	s_mov_b32 s5, 0
	.p2align	6
.LBB47_169:                             ; =>This Inner Loop Header: Depth=1
	s_clause 0x1
	buffer_load_dword v107, v7, s[0:3], 0 offen offset:4
	buffer_load_dword v108, v7, s[0:3], 0 offen
	ds_read_b64 v[105:106], v6
	v_add_nc_u32_e32 v5, 1, v5
	v_add_nc_u32_e32 v6, 8, v6
	;; [unrolled: 1-line block ×3, first 2 shown]
	v_cmp_lt_u32_e32 vcc_lo, 37, v5
	s_or_b32 s5, vcc_lo, s5
	s_waitcnt vmcnt(1) lgkmcnt(0)
	v_mul_f32_e32 v109, v106, v107
	v_mul_f32_e32 v107, v105, v107
	s_waitcnt vmcnt(0)
	v_fma_f32 v105, v105, v108, -v109
	v_fmac_f32_e32 v107, v106, v108
	v_add_f32_e32 v8, v8, v105
	v_add_f32_e32 v2, v2, v107
	s_andn2_b32 exec_lo, exec_lo, s5
	s_cbranch_execnz .LBB47_169
; %bb.170:
	s_or_b32 exec_lo, exec_lo, s5
	v_mov_b32_e32 v5, 0
	ds_read_b64 v[5:6], v5 offset:312
	s_waitcnt lgkmcnt(0)
	v_mul_f32_e32 v7, v2, v6
	v_mul_f32_e32 v6, v8, v6
	v_fma_f32 v7, v8, v5, -v7
	v_fmac_f32_e32 v6, v2, v5
	buffer_store_dword v7, off, s[0:3], 0 offset:312
	buffer_store_dword v6, off, s[0:3], 0 offset:316
.LBB47_171:
	s_or_b32 exec_lo, exec_lo, s4
	s_waitcnt_vscnt null, 0x0
	s_barrier
	buffer_gl0_inv
	s_clause 0x1
	buffer_load_dword v5, off, s[0:3], 0 offset:320
	buffer_load_dword v6, off, s[0:3], 0 offset:324
	s_mov_b32 s4, exec_lo
	s_waitcnt vmcnt(0)
	ds_write_b64 v4, v[5:6]
	s_waitcnt lgkmcnt(0)
	s_barrier
	buffer_gl0_inv
	v_cmpx_gt_u32_e32 40, v0
	s_cbranch_execz .LBB47_175
; %bb.172:
	v_add_nc_u32_e32 v5, -1, v0
	v_add_nc_u32_e32 v6, 0x180, v3
	v_mov_b32_e32 v7, v3
	v_mov_b32_e32 v2, 0
	;; [unrolled: 1-line block ×3, first 2 shown]
	s_mov_b32 s5, 0
	.p2align	6
.LBB47_173:                             ; =>This Inner Loop Header: Depth=1
	s_clause 0x1
	buffer_load_dword v107, v7, s[0:3], 0 offen offset:4
	buffer_load_dword v108, v7, s[0:3], 0 offen
	ds_read_b64 v[105:106], v6
	v_add_nc_u32_e32 v5, 1, v5
	v_add_nc_u32_e32 v6, 8, v6
	;; [unrolled: 1-line block ×3, first 2 shown]
	v_cmp_lt_u32_e32 vcc_lo, 38, v5
	s_or_b32 s5, vcc_lo, s5
	s_waitcnt vmcnt(1) lgkmcnt(0)
	v_mul_f32_e32 v109, v106, v107
	v_mul_f32_e32 v107, v105, v107
	s_waitcnt vmcnt(0)
	v_fma_f32 v105, v105, v108, -v109
	v_fmac_f32_e32 v107, v106, v108
	v_add_f32_e32 v8, v8, v105
	v_add_f32_e32 v2, v2, v107
	s_andn2_b32 exec_lo, exec_lo, s5
	s_cbranch_execnz .LBB47_173
; %bb.174:
	s_or_b32 exec_lo, exec_lo, s5
	v_mov_b32_e32 v5, 0
	ds_read_b64 v[5:6], v5 offset:320
	s_waitcnt lgkmcnt(0)
	v_mul_f32_e32 v7, v2, v6
	v_mul_f32_e32 v6, v8, v6
	v_fma_f32 v7, v8, v5, -v7
	v_fmac_f32_e32 v6, v2, v5
	buffer_store_dword v7, off, s[0:3], 0 offset:320
	buffer_store_dword v6, off, s[0:3], 0 offset:324
.LBB47_175:
	s_or_b32 exec_lo, exec_lo, s4
	s_waitcnt_vscnt null, 0x0
	s_barrier
	buffer_gl0_inv
	s_clause 0x1
	buffer_load_dword v5, off, s[0:3], 0 offset:328
	buffer_load_dword v6, off, s[0:3], 0 offset:332
	s_mov_b32 s4, exec_lo
	s_waitcnt vmcnt(0)
	ds_write_b64 v4, v[5:6]
	s_waitcnt lgkmcnt(0)
	s_barrier
	buffer_gl0_inv
	v_cmpx_gt_u32_e32 41, v0
	s_cbranch_execz .LBB47_179
; %bb.176:
	v_add_nc_u32_e32 v5, -1, v0
	v_add_nc_u32_e32 v6, 0x180, v3
	v_mov_b32_e32 v7, v3
	v_mov_b32_e32 v2, 0
	;; [unrolled: 1-line block ×3, first 2 shown]
	s_mov_b32 s5, 0
	.p2align	6
.LBB47_177:                             ; =>This Inner Loop Header: Depth=1
	s_clause 0x1
	buffer_load_dword v107, v7, s[0:3], 0 offen offset:4
	buffer_load_dword v108, v7, s[0:3], 0 offen
	ds_read_b64 v[105:106], v6
	v_add_nc_u32_e32 v5, 1, v5
	v_add_nc_u32_e32 v6, 8, v6
	;; [unrolled: 1-line block ×3, first 2 shown]
	v_cmp_lt_u32_e32 vcc_lo, 39, v5
	s_or_b32 s5, vcc_lo, s5
	s_waitcnt vmcnt(1) lgkmcnt(0)
	v_mul_f32_e32 v109, v106, v107
	v_mul_f32_e32 v107, v105, v107
	s_waitcnt vmcnt(0)
	v_fma_f32 v105, v105, v108, -v109
	v_fmac_f32_e32 v107, v106, v108
	v_add_f32_e32 v8, v8, v105
	v_add_f32_e32 v2, v2, v107
	s_andn2_b32 exec_lo, exec_lo, s5
	s_cbranch_execnz .LBB47_177
; %bb.178:
	s_or_b32 exec_lo, exec_lo, s5
	v_mov_b32_e32 v5, 0
	ds_read_b64 v[5:6], v5 offset:328
	s_waitcnt lgkmcnt(0)
	v_mul_f32_e32 v7, v2, v6
	v_mul_f32_e32 v6, v8, v6
	v_fma_f32 v7, v8, v5, -v7
	v_fmac_f32_e32 v6, v2, v5
	buffer_store_dword v7, off, s[0:3], 0 offset:328
	buffer_store_dword v6, off, s[0:3], 0 offset:332
.LBB47_179:
	s_or_b32 exec_lo, exec_lo, s4
	s_waitcnt_vscnt null, 0x0
	s_barrier
	buffer_gl0_inv
	s_clause 0x1
	buffer_load_dword v5, off, s[0:3], 0 offset:336
	buffer_load_dword v6, off, s[0:3], 0 offset:340
	s_mov_b32 s4, exec_lo
	s_waitcnt vmcnt(0)
	ds_write_b64 v4, v[5:6]
	s_waitcnt lgkmcnt(0)
	s_barrier
	buffer_gl0_inv
	v_cmpx_gt_u32_e32 42, v0
	s_cbranch_execz .LBB47_183
; %bb.180:
	v_add_nc_u32_e32 v5, -1, v0
	v_add_nc_u32_e32 v6, 0x180, v3
	v_mov_b32_e32 v7, v3
	v_mov_b32_e32 v2, 0
	;; [unrolled: 1-line block ×3, first 2 shown]
	s_mov_b32 s5, 0
	.p2align	6
.LBB47_181:                             ; =>This Inner Loop Header: Depth=1
	s_clause 0x1
	buffer_load_dword v107, v7, s[0:3], 0 offen offset:4
	buffer_load_dword v108, v7, s[0:3], 0 offen
	ds_read_b64 v[105:106], v6
	v_add_nc_u32_e32 v5, 1, v5
	v_add_nc_u32_e32 v6, 8, v6
	;; [unrolled: 1-line block ×3, first 2 shown]
	v_cmp_lt_u32_e32 vcc_lo, 40, v5
	s_or_b32 s5, vcc_lo, s5
	s_waitcnt vmcnt(1) lgkmcnt(0)
	v_mul_f32_e32 v109, v106, v107
	v_mul_f32_e32 v107, v105, v107
	s_waitcnt vmcnt(0)
	v_fma_f32 v105, v105, v108, -v109
	v_fmac_f32_e32 v107, v106, v108
	v_add_f32_e32 v8, v8, v105
	v_add_f32_e32 v2, v2, v107
	s_andn2_b32 exec_lo, exec_lo, s5
	s_cbranch_execnz .LBB47_181
; %bb.182:
	s_or_b32 exec_lo, exec_lo, s5
	v_mov_b32_e32 v5, 0
	ds_read_b64 v[5:6], v5 offset:336
	s_waitcnt lgkmcnt(0)
	v_mul_f32_e32 v7, v2, v6
	v_mul_f32_e32 v6, v8, v6
	v_fma_f32 v7, v8, v5, -v7
	v_fmac_f32_e32 v6, v2, v5
	buffer_store_dword v7, off, s[0:3], 0 offset:336
	buffer_store_dword v6, off, s[0:3], 0 offset:340
.LBB47_183:
	s_or_b32 exec_lo, exec_lo, s4
	s_waitcnt_vscnt null, 0x0
	s_barrier
	buffer_gl0_inv
	s_clause 0x1
	buffer_load_dword v5, off, s[0:3], 0 offset:344
	buffer_load_dword v6, off, s[0:3], 0 offset:348
	s_mov_b32 s4, exec_lo
	s_waitcnt vmcnt(0)
	ds_write_b64 v4, v[5:6]
	s_waitcnt lgkmcnt(0)
	s_barrier
	buffer_gl0_inv
	v_cmpx_gt_u32_e32 43, v0
	s_cbranch_execz .LBB47_187
; %bb.184:
	v_add_nc_u32_e32 v5, -1, v0
	v_add_nc_u32_e32 v6, 0x180, v3
	v_mov_b32_e32 v7, v3
	v_mov_b32_e32 v2, 0
	;; [unrolled: 1-line block ×3, first 2 shown]
	s_mov_b32 s5, 0
	.p2align	6
.LBB47_185:                             ; =>This Inner Loop Header: Depth=1
	s_clause 0x1
	buffer_load_dword v107, v7, s[0:3], 0 offen offset:4
	buffer_load_dword v108, v7, s[0:3], 0 offen
	ds_read_b64 v[105:106], v6
	v_add_nc_u32_e32 v5, 1, v5
	v_add_nc_u32_e32 v6, 8, v6
	;; [unrolled: 1-line block ×3, first 2 shown]
	v_cmp_lt_u32_e32 vcc_lo, 41, v5
	s_or_b32 s5, vcc_lo, s5
	s_waitcnt vmcnt(1) lgkmcnt(0)
	v_mul_f32_e32 v109, v106, v107
	v_mul_f32_e32 v107, v105, v107
	s_waitcnt vmcnt(0)
	v_fma_f32 v105, v105, v108, -v109
	v_fmac_f32_e32 v107, v106, v108
	v_add_f32_e32 v8, v8, v105
	v_add_f32_e32 v2, v2, v107
	s_andn2_b32 exec_lo, exec_lo, s5
	s_cbranch_execnz .LBB47_185
; %bb.186:
	s_or_b32 exec_lo, exec_lo, s5
	v_mov_b32_e32 v5, 0
	ds_read_b64 v[5:6], v5 offset:344
	s_waitcnt lgkmcnt(0)
	v_mul_f32_e32 v7, v2, v6
	v_mul_f32_e32 v6, v8, v6
	v_fma_f32 v7, v8, v5, -v7
	v_fmac_f32_e32 v6, v2, v5
	buffer_store_dword v7, off, s[0:3], 0 offset:344
	buffer_store_dword v6, off, s[0:3], 0 offset:348
.LBB47_187:
	s_or_b32 exec_lo, exec_lo, s4
	s_waitcnt_vscnt null, 0x0
	s_barrier
	buffer_gl0_inv
	s_clause 0x1
	buffer_load_dword v5, off, s[0:3], 0 offset:352
	buffer_load_dword v6, off, s[0:3], 0 offset:356
	s_mov_b32 s4, exec_lo
	s_waitcnt vmcnt(0)
	ds_write_b64 v4, v[5:6]
	s_waitcnt lgkmcnt(0)
	s_barrier
	buffer_gl0_inv
	v_cmpx_gt_u32_e32 44, v0
	s_cbranch_execz .LBB47_191
; %bb.188:
	v_add_nc_u32_e32 v5, -1, v0
	v_add_nc_u32_e32 v6, 0x180, v3
	v_mov_b32_e32 v7, v3
	v_mov_b32_e32 v2, 0
	;; [unrolled: 1-line block ×3, first 2 shown]
	s_mov_b32 s5, 0
	.p2align	6
.LBB47_189:                             ; =>This Inner Loop Header: Depth=1
	s_clause 0x1
	buffer_load_dword v107, v7, s[0:3], 0 offen offset:4
	buffer_load_dword v108, v7, s[0:3], 0 offen
	ds_read_b64 v[105:106], v6
	v_add_nc_u32_e32 v5, 1, v5
	v_add_nc_u32_e32 v6, 8, v6
	;; [unrolled: 1-line block ×3, first 2 shown]
	v_cmp_lt_u32_e32 vcc_lo, 42, v5
	s_or_b32 s5, vcc_lo, s5
	s_waitcnt vmcnt(1) lgkmcnt(0)
	v_mul_f32_e32 v109, v106, v107
	v_mul_f32_e32 v107, v105, v107
	s_waitcnt vmcnt(0)
	v_fma_f32 v105, v105, v108, -v109
	v_fmac_f32_e32 v107, v106, v108
	v_add_f32_e32 v8, v8, v105
	v_add_f32_e32 v2, v2, v107
	s_andn2_b32 exec_lo, exec_lo, s5
	s_cbranch_execnz .LBB47_189
; %bb.190:
	s_or_b32 exec_lo, exec_lo, s5
	v_mov_b32_e32 v5, 0
	ds_read_b64 v[5:6], v5 offset:352
	s_waitcnt lgkmcnt(0)
	v_mul_f32_e32 v7, v2, v6
	v_mul_f32_e32 v6, v8, v6
	v_fma_f32 v7, v8, v5, -v7
	v_fmac_f32_e32 v6, v2, v5
	buffer_store_dword v7, off, s[0:3], 0 offset:352
	buffer_store_dword v6, off, s[0:3], 0 offset:356
.LBB47_191:
	s_or_b32 exec_lo, exec_lo, s4
	s_waitcnt_vscnt null, 0x0
	s_barrier
	buffer_gl0_inv
	s_clause 0x1
	buffer_load_dword v5, off, s[0:3], 0 offset:360
	buffer_load_dword v6, off, s[0:3], 0 offset:364
	s_mov_b32 s4, exec_lo
	s_waitcnt vmcnt(0)
	ds_write_b64 v4, v[5:6]
	s_waitcnt lgkmcnt(0)
	s_barrier
	buffer_gl0_inv
	v_cmpx_gt_u32_e32 45, v0
	s_cbranch_execz .LBB47_195
; %bb.192:
	v_add_nc_u32_e32 v5, -1, v0
	v_add_nc_u32_e32 v6, 0x180, v3
	v_mov_b32_e32 v7, v3
	v_mov_b32_e32 v2, 0
	;; [unrolled: 1-line block ×3, first 2 shown]
	s_mov_b32 s5, 0
	.p2align	6
.LBB47_193:                             ; =>This Inner Loop Header: Depth=1
	s_clause 0x1
	buffer_load_dword v107, v7, s[0:3], 0 offen offset:4
	buffer_load_dword v108, v7, s[0:3], 0 offen
	ds_read_b64 v[105:106], v6
	v_add_nc_u32_e32 v5, 1, v5
	v_add_nc_u32_e32 v6, 8, v6
	;; [unrolled: 1-line block ×3, first 2 shown]
	v_cmp_lt_u32_e32 vcc_lo, 43, v5
	s_or_b32 s5, vcc_lo, s5
	s_waitcnt vmcnt(1) lgkmcnt(0)
	v_mul_f32_e32 v109, v106, v107
	v_mul_f32_e32 v107, v105, v107
	s_waitcnt vmcnt(0)
	v_fma_f32 v105, v105, v108, -v109
	v_fmac_f32_e32 v107, v106, v108
	v_add_f32_e32 v8, v8, v105
	v_add_f32_e32 v2, v2, v107
	s_andn2_b32 exec_lo, exec_lo, s5
	s_cbranch_execnz .LBB47_193
; %bb.194:
	s_or_b32 exec_lo, exec_lo, s5
	v_mov_b32_e32 v5, 0
	ds_read_b64 v[5:6], v5 offset:360
	s_waitcnt lgkmcnt(0)
	v_mul_f32_e32 v7, v2, v6
	v_mul_f32_e32 v6, v8, v6
	v_fma_f32 v7, v8, v5, -v7
	v_fmac_f32_e32 v6, v2, v5
	buffer_store_dword v7, off, s[0:3], 0 offset:360
	buffer_store_dword v6, off, s[0:3], 0 offset:364
.LBB47_195:
	s_or_b32 exec_lo, exec_lo, s4
	s_waitcnt_vscnt null, 0x0
	s_barrier
	buffer_gl0_inv
	s_clause 0x1
	buffer_load_dword v5, off, s[0:3], 0 offset:368
	buffer_load_dword v6, off, s[0:3], 0 offset:372
	s_mov_b32 s4, exec_lo
	s_waitcnt vmcnt(0)
	ds_write_b64 v4, v[5:6]
	s_waitcnt lgkmcnt(0)
	s_barrier
	buffer_gl0_inv
	v_cmpx_gt_u32_e32 46, v0
	s_cbranch_execz .LBB47_199
; %bb.196:
	v_add_nc_u32_e32 v5, -1, v0
	v_add_nc_u32_e32 v6, 0x180, v3
	v_mov_b32_e32 v7, v3
	v_mov_b32_e32 v2, 0
	;; [unrolled: 1-line block ×3, first 2 shown]
	s_mov_b32 s5, 0
	.p2align	6
.LBB47_197:                             ; =>This Inner Loop Header: Depth=1
	s_clause 0x1
	buffer_load_dword v107, v7, s[0:3], 0 offen offset:4
	buffer_load_dword v108, v7, s[0:3], 0 offen
	ds_read_b64 v[105:106], v6
	v_add_nc_u32_e32 v5, 1, v5
	v_add_nc_u32_e32 v6, 8, v6
	;; [unrolled: 1-line block ×3, first 2 shown]
	v_cmp_lt_u32_e32 vcc_lo, 44, v5
	s_or_b32 s5, vcc_lo, s5
	s_waitcnt vmcnt(1) lgkmcnt(0)
	v_mul_f32_e32 v109, v106, v107
	v_mul_f32_e32 v107, v105, v107
	s_waitcnt vmcnt(0)
	v_fma_f32 v105, v105, v108, -v109
	v_fmac_f32_e32 v107, v106, v108
	v_add_f32_e32 v8, v8, v105
	v_add_f32_e32 v2, v2, v107
	s_andn2_b32 exec_lo, exec_lo, s5
	s_cbranch_execnz .LBB47_197
; %bb.198:
	s_or_b32 exec_lo, exec_lo, s5
	v_mov_b32_e32 v5, 0
	ds_read_b64 v[5:6], v5 offset:368
	s_waitcnt lgkmcnt(0)
	v_mul_f32_e32 v7, v2, v6
	v_mul_f32_e32 v6, v8, v6
	v_fma_f32 v7, v8, v5, -v7
	v_fmac_f32_e32 v6, v2, v5
	buffer_store_dword v7, off, s[0:3], 0 offset:368
	buffer_store_dword v6, off, s[0:3], 0 offset:372
.LBB47_199:
	s_or_b32 exec_lo, exec_lo, s4
	s_waitcnt_vscnt null, 0x0
	s_barrier
	buffer_gl0_inv
	s_clause 0x1
	buffer_load_dword v5, off, s[0:3], 0 offset:376
	buffer_load_dword v6, off, s[0:3], 0 offset:380
	s_mov_b32 s4, exec_lo
	s_waitcnt vmcnt(0)
	ds_write_b64 v4, v[5:6]
	s_waitcnt lgkmcnt(0)
	s_barrier
	buffer_gl0_inv
	v_cmpx_ne_u32_e32 47, v0
	s_cbranch_execz .LBB47_203
; %bb.200:
	v_mov_b32_e32 v2, 0
	v_mov_b32_e32 v5, 0
	s_mov_b32 s5, 0
	.p2align	6
.LBB47_201:                             ; =>This Inner Loop Header: Depth=1
	s_clause 0x1
	buffer_load_dword v8, v3, s[0:3], 0 offen offset:4
	buffer_load_dword v105, v3, s[0:3], 0 offen
	ds_read_b64 v[6:7], v4
	v_add_nc_u32_e32 v1, 1, v1
	v_add_nc_u32_e32 v4, 8, v4
	;; [unrolled: 1-line block ×3, first 2 shown]
	v_cmp_lt_u32_e32 vcc_lo, 45, v1
	s_or_b32 s5, vcc_lo, s5
	s_waitcnt vmcnt(1) lgkmcnt(0)
	v_mul_f32_e32 v106, v7, v8
	v_mul_f32_e32 v8, v6, v8
	s_waitcnt vmcnt(0)
	v_fma_f32 v6, v6, v105, -v106
	v_fmac_f32_e32 v8, v7, v105
	v_add_f32_e32 v5, v5, v6
	v_add_f32_e32 v2, v2, v8
	s_andn2_b32 exec_lo, exec_lo, s5
	s_cbranch_execnz .LBB47_201
; %bb.202:
	s_or_b32 exec_lo, exec_lo, s5
	v_mov_b32_e32 v1, 0
	ds_read_b64 v[3:4], v1 offset:376
	s_waitcnt lgkmcnt(0)
	v_mul_f32_e32 v1, v2, v4
	v_mul_f32_e32 v4, v5, v4
	v_fma_f32 v1, v5, v3, -v1
	v_fmac_f32_e32 v4, v2, v3
	buffer_store_dword v1, off, s[0:3], 0 offset:376
	buffer_store_dword v4, off, s[0:3], 0 offset:380
.LBB47_203:
	s_or_b32 exec_lo, exec_lo, s4
	s_mov_b32 s5, -1
	s_waitcnt_vscnt null, 0x0
	s_barrier
	buffer_gl0_inv
.LBB47_204:
	s_and_b32 vcc_lo, exec_lo, s5
	s_cbranch_vccz .LBB47_206
; %bb.205:
	s_lshl_b64 s[4:5], s[6:7], 2
	v_mov_b32_e32 v1, 0
	s_add_u32 s4, s10, s4
	s_addc_u32 s5, s11, s5
	global_load_dword v1, v1, s[4:5]
	s_waitcnt vmcnt(0)
	v_cmp_ne_u32_e32 vcc_lo, 0, v1
	s_cbranch_vccz .LBB47_207
.LBB47_206:
	s_endpgm
.LBB47_207:
	v_lshl_add_u32 v105, v0, 3, 0x180
	s_mov_b32 s4, exec_lo
	v_cmpx_eq_u32_e32 47, v0
	s_cbranch_execz .LBB47_209
; %bb.208:
	s_clause 0x1
	buffer_load_dword v1, off, s[0:3], 0 offset:368
	buffer_load_dword v2, off, s[0:3], 0 offset:372
	v_mov_b32_e32 v3, 0
	buffer_store_dword v3, off, s[0:3], 0 offset:368
	buffer_store_dword v3, off, s[0:3], 0 offset:372
	s_waitcnt vmcnt(0)
	ds_write_b64 v105, v[1:2]
.LBB47_209:
	s_or_b32 exec_lo, exec_lo, s4
	s_waitcnt lgkmcnt(0)
	s_waitcnt_vscnt null, 0x0
	s_barrier
	buffer_gl0_inv
	s_clause 0x3
	buffer_load_dword v4, off, s[0:3], 0 offset:380
	buffer_load_dword v5, off, s[0:3], 0 offset:376
	;; [unrolled: 1-line block ×4, first 2 shown]
	v_mov_b32_e32 v1, 0
	s_mov_b32 s4, exec_lo
	ds_read_b64 v[2:3], v1 offset:760
	s_waitcnt vmcnt(3) lgkmcnt(0)
	v_mul_f32_e32 v8, v3, v4
	v_mul_f32_e32 v4, v2, v4
	s_waitcnt vmcnt(2)
	v_fma_f32 v2, v2, v5, -v8
	v_fmac_f32_e32 v4, v3, v5
	v_add_f32_e32 v2, 0, v2
	v_add_f32_e32 v3, 0, v4
	s_waitcnt vmcnt(1)
	v_sub_f32_e32 v2, v6, v2
	s_waitcnt vmcnt(0)
	v_sub_f32_e32 v3, v7, v3
	buffer_store_dword v2, off, s[0:3], 0 offset:368
	buffer_store_dword v3, off, s[0:3], 0 offset:372
	v_cmpx_lt_u32_e32 45, v0
	s_cbranch_execz .LBB47_211
; %bb.210:
	s_clause 0x1
	buffer_load_dword v2, off, s[0:3], 0 offset:360
	buffer_load_dword v3, off, s[0:3], 0 offset:364
	buffer_store_dword v1, off, s[0:3], 0 offset:360
	buffer_store_dword v1, off, s[0:3], 0 offset:364
	s_waitcnt vmcnt(0)
	ds_write_b64 v105, v[2:3]
.LBB47_211:
	s_or_b32 exec_lo, exec_lo, s4
	s_waitcnt lgkmcnt(0)
	s_waitcnt_vscnt null, 0x0
	s_barrier
	buffer_gl0_inv
	s_clause 0x5
	buffer_load_dword v5, off, s[0:3], 0 offset:372
	buffer_load_dword v6, off, s[0:3], 0 offset:380
	;; [unrolled: 1-line block ×6, first 2 shown]
	ds_read_b128 v[1:4], v1 offset:752
	s_mov_b32 s4, exec_lo
	s_waitcnt vmcnt(5) lgkmcnt(0)
	v_mul_f32_e32 v108, v2, v5
	v_mul_f32_e32 v5, v1, v5
	s_waitcnt vmcnt(4)
	v_mul_f32_e32 v109, v3, v6
	v_mul_f32_e32 v6, v4, v6
	s_waitcnt vmcnt(3)
	v_fma_f32 v1, v1, v7, -v108
	v_fmac_f32_e32 v5, v2, v7
	s_waitcnt vmcnt(2)
	v_fmac_f32_e32 v109, v4, v8
	v_fma_f32 v2, v3, v8, -v6
	v_add_f32_e32 v1, 0, v1
	v_add_f32_e32 v3, 0, v5
	;; [unrolled: 1-line block ×4, first 2 shown]
	s_waitcnt vmcnt(1)
	v_sub_f32_e32 v1, v106, v1
	s_waitcnt vmcnt(0)
	v_sub_f32_e32 v2, v107, v2
	buffer_store_dword v1, off, s[0:3], 0 offset:360
	buffer_store_dword v2, off, s[0:3], 0 offset:364
	v_cmpx_lt_u32_e32 44, v0
	s_cbranch_execz .LBB47_213
; %bb.212:
	s_clause 0x1
	buffer_load_dword v1, off, s[0:3], 0 offset:352
	buffer_load_dword v2, off, s[0:3], 0 offset:356
	v_mov_b32_e32 v3, 0
	buffer_store_dword v3, off, s[0:3], 0 offset:352
	buffer_store_dword v3, off, s[0:3], 0 offset:356
	s_waitcnt vmcnt(0)
	ds_write_b64 v105, v[1:2]
.LBB47_213:
	s_or_b32 exec_lo, exec_lo, s4
	s_waitcnt lgkmcnt(0)
	s_waitcnt_vscnt null, 0x0
	s_barrier
	buffer_gl0_inv
	s_clause 0x7
	buffer_load_dword v8, off, s[0:3], 0 offset:364
	buffer_load_dword v106, off, s[0:3], 0 offset:372
	;; [unrolled: 1-line block ×8, first 2 shown]
	v_mov_b32_e32 v1, 0
	ds_read2_b64 v[2:5], v1 offset0:93 offset1:94
	ds_read_b64 v[6:7], v1 offset:760
	s_mov_b32 s4, exec_lo
	s_waitcnt vmcnt(7) lgkmcnt(1)
	v_mul_f32_e32 v113, v3, v8
	v_mul_f32_e32 v8, v2, v8
	s_waitcnt vmcnt(6)
	v_mul_f32_e32 v114, v4, v106
	v_mul_f32_e32 v106, v5, v106
	s_waitcnt vmcnt(5) lgkmcnt(0)
	v_mul_f32_e32 v115, v6, v107
	s_waitcnt vmcnt(4)
	v_fma_f32 v2, v2, v108, -v113
	v_fmac_f32_e32 v8, v3, v108
	v_mul_f32_e32 v3, v7, v107
	s_waitcnt vmcnt(3)
	v_fma_f32 v4, v4, v109, -v106
	v_fmac_f32_e32 v114, v5, v109
	v_add_f32_e32 v2, 0, v2
	v_add_f32_e32 v5, 0, v8
	s_waitcnt vmcnt(2)
	v_fma_f32 v3, v6, v110, -v3
	v_fmac_f32_e32 v115, v7, v110
	v_add_f32_e32 v2, v2, v4
	v_add_f32_e32 v4, v5, v114
	;; [unrolled: 1-line block ×4, first 2 shown]
	s_waitcnt vmcnt(1)
	v_sub_f32_e32 v2, v111, v2
	s_waitcnt vmcnt(0)
	v_sub_f32_e32 v3, v112, v3
	buffer_store_dword v2, off, s[0:3], 0 offset:352
	buffer_store_dword v3, off, s[0:3], 0 offset:356
	v_cmpx_lt_u32_e32 43, v0
	s_cbranch_execz .LBB47_215
; %bb.214:
	s_clause 0x1
	buffer_load_dword v2, off, s[0:3], 0 offset:344
	buffer_load_dword v3, off, s[0:3], 0 offset:348
	buffer_store_dword v1, off, s[0:3], 0 offset:344
	buffer_store_dword v1, off, s[0:3], 0 offset:348
	s_waitcnt vmcnt(0)
	ds_write_b64 v105, v[2:3]
.LBB47_215:
	s_or_b32 exec_lo, exec_lo, s4
	s_waitcnt lgkmcnt(0)
	s_waitcnt_vscnt null, 0x0
	s_barrier
	buffer_gl0_inv
	s_clause 0x9
	buffer_load_dword v6, off, s[0:3], 0 offset:356
	buffer_load_dword v7, off, s[0:3], 0 offset:364
	;; [unrolled: 1-line block ×10, first 2 shown]
	ds_read_b128 v[2:5], v1 offset:736
	ds_read_b128 v[106:109], v1 offset:752
	s_mov_b32 s4, exec_lo
	s_waitcnt vmcnt(9) lgkmcnt(1)
	v_mul_f32_e32 v1, v2, v6
	v_mul_f32_e32 v6, v3, v6
	s_waitcnt vmcnt(8)
	v_mul_f32_e32 v117, v4, v7
	v_mul_f32_e32 v7, v5, v7
	s_waitcnt vmcnt(7) lgkmcnt(0)
	v_mul_f32_e32 v118, v106, v8
	s_waitcnt vmcnt(5)
	v_fmac_f32_e32 v1, v3, v111
	v_fma_f32 v2, v2, v111, -v6
	v_mul_f32_e32 v3, v107, v8
	s_waitcnt vmcnt(4)
	v_fma_f32 v4, v4, v112, -v7
	v_fmac_f32_e32 v117, v5, v112
	v_add_f32_e32 v1, 0, v1
	v_add_f32_e32 v2, 0, v2
	v_mul_f32_e32 v5, v109, v110
	s_waitcnt vmcnt(3)
	v_fma_f32 v3, v106, v113, -v3
	v_mul_f32_e32 v119, v108, v110
	v_fmac_f32_e32 v118, v107, v113
	v_add_f32_e32 v2, v2, v4
	v_add_f32_e32 v1, v1, v117
	s_waitcnt vmcnt(2)
	v_fma_f32 v4, v108, v114, -v5
	v_fmac_f32_e32 v119, v109, v114
	v_add_f32_e32 v2, v2, v3
	v_add_f32_e32 v1, v1, v118
	;; [unrolled: 1-line block ×4, first 2 shown]
	s_waitcnt vmcnt(1)
	v_sub_f32_e32 v2, v115, v2
	s_waitcnt vmcnt(0)
	v_sub_f32_e32 v1, v116, v1
	buffer_store_dword v2, off, s[0:3], 0 offset:344
	buffer_store_dword v1, off, s[0:3], 0 offset:348
	v_cmpx_lt_u32_e32 42, v0
	s_cbranch_execz .LBB47_217
; %bb.216:
	s_clause 0x1
	buffer_load_dword v1, off, s[0:3], 0 offset:336
	buffer_load_dword v2, off, s[0:3], 0 offset:340
	v_mov_b32_e32 v3, 0
	buffer_store_dword v3, off, s[0:3], 0 offset:336
	buffer_store_dword v3, off, s[0:3], 0 offset:340
	s_waitcnt vmcnt(0)
	ds_write_b64 v105, v[1:2]
.LBB47_217:
	s_or_b32 exec_lo, exec_lo, s4
	s_waitcnt lgkmcnt(0)
	s_waitcnt_vscnt null, 0x0
	s_barrier
	buffer_gl0_inv
	s_clause 0xb
	buffer_load_dword v8, off, s[0:3], 0 offset:348
	buffer_load_dword v110, off, s[0:3], 0 offset:356
	buffer_load_dword v111, off, s[0:3], 0 offset:364
	buffer_load_dword v112, off, s[0:3], 0 offset:372
	buffer_load_dword v113, off, s[0:3], 0 offset:380
	buffer_load_dword v114, off, s[0:3], 0 offset:344
	buffer_load_dword v115, off, s[0:3], 0 offset:352
	buffer_load_dword v116, off, s[0:3], 0 offset:360
	buffer_load_dword v117, off, s[0:3], 0 offset:368
	buffer_load_dword v118, off, s[0:3], 0 offset:376
	buffer_load_dword v119, off, s[0:3], 0 offset:336
	buffer_load_dword v120, off, s[0:3], 0 offset:340
	v_mov_b32_e32 v1, 0
	ds_read2_b64 v[2:5], v1 offset0:91 offset1:92
	ds_read2_b64 v[106:109], v1 offset0:93 offset1:94
	ds_read_b64 v[6:7], v1 offset:760
	s_mov_b32 s4, exec_lo
	s_waitcnt vmcnt(11) lgkmcnt(2)
	v_mul_f32_e32 v121, v2, v8
	v_mul_f32_e32 v8, v3, v8
	s_waitcnt vmcnt(10)
	v_mul_f32_e32 v122, v4, v110
	v_mul_f32_e32 v110, v5, v110
	s_waitcnt vmcnt(9) lgkmcnt(1)
	v_mul_f32_e32 v123, v106, v111
	s_waitcnt vmcnt(6)
	v_fmac_f32_e32 v121, v3, v114
	v_fma_f32 v2, v2, v114, -v8
	v_mul_f32_e32 v3, v107, v111
	s_waitcnt vmcnt(5)
	v_fma_f32 v4, v4, v115, -v110
	v_fmac_f32_e32 v122, v5, v115
	v_add_f32_e32 v5, 0, v121
	v_add_f32_e32 v2, 0, v2
	v_mul_f32_e32 v8, v109, v112
	s_waitcnt vmcnt(4)
	v_fma_f32 v3, v106, v116, -v3
	v_mul_f32_e32 v124, v108, v112
	v_fmac_f32_e32 v123, v107, v116
	v_add_f32_e32 v2, v2, v4
	v_add_f32_e32 v4, v5, v122
	s_waitcnt lgkmcnt(0)
	v_mul_f32_e32 v5, v7, v113
	s_waitcnt vmcnt(3)
	v_fma_f32 v8, v108, v117, -v8
	v_mul_f32_e32 v125, v6, v113
	v_add_f32_e32 v2, v2, v3
	v_fmac_f32_e32 v124, v109, v117
	v_add_f32_e32 v3, v4, v123
	s_waitcnt vmcnt(2)
	v_fma_f32 v4, v6, v118, -v5
	v_fmac_f32_e32 v125, v7, v118
	v_add_f32_e32 v2, v2, v8
	v_add_f32_e32 v3, v3, v124
	;; [unrolled: 1-line block ×4, first 2 shown]
	s_waitcnt vmcnt(1)
	v_sub_f32_e32 v2, v119, v2
	s_waitcnt vmcnt(0)
	v_sub_f32_e32 v3, v120, v3
	buffer_store_dword v2, off, s[0:3], 0 offset:336
	buffer_store_dword v3, off, s[0:3], 0 offset:340
	v_cmpx_lt_u32_e32 41, v0
	s_cbranch_execz .LBB47_219
; %bb.218:
	s_clause 0x1
	buffer_load_dword v2, off, s[0:3], 0 offset:328
	buffer_load_dword v3, off, s[0:3], 0 offset:332
	buffer_store_dword v1, off, s[0:3], 0 offset:328
	buffer_store_dword v1, off, s[0:3], 0 offset:332
	s_waitcnt vmcnt(0)
	ds_write_b64 v105, v[2:3]
.LBB47_219:
	s_or_b32 exec_lo, exec_lo, s4
	s_waitcnt lgkmcnt(0)
	s_waitcnt_vscnt null, 0x0
	s_barrier
	buffer_gl0_inv
	s_clause 0xd
	buffer_load_dword v6, off, s[0:3], 0 offset:340
	buffer_load_dword v7, off, s[0:3], 0 offset:348
	;; [unrolled: 1-line block ×14, first 2 shown]
	ds_read_b128 v[2:5], v1 offset:720
	ds_read_b128 v[106:109], v1 offset:736
	;; [unrolled: 1-line block ×3, first 2 shown]
	s_mov_b32 s4, exec_lo
	s_waitcnt vmcnt(13) lgkmcnt(2)
	v_mul_f32_e32 v1, v2, v6
	v_mul_f32_e32 v6, v3, v6
	s_waitcnt vmcnt(12)
	v_mul_f32_e32 v125, v4, v7
	v_mul_f32_e32 v7, v5, v7
	s_waitcnt vmcnt(11) lgkmcnt(1)
	v_mul_f32_e32 v126, v106, v8
	s_waitcnt vmcnt(10)
	v_mul_f32_e32 v127, v108, v114
	s_waitcnt vmcnt(7)
	v_fma_f32 v2, v2, v117, -v6
	v_fmac_f32_e32 v1, v3, v117
	v_mul_f32_e32 v3, v107, v8
	s_waitcnt vmcnt(6)
	v_fma_f32 v4, v4, v118, -v7
	v_fmac_f32_e32 v125, v5, v118
	v_add_f32_e32 v2, 0, v2
	v_add_f32_e32 v1, 0, v1
	v_mul_f32_e32 v5, v109, v114
	s_waitcnt vmcnt(5)
	v_fma_f32 v3, v106, v119, -v3
	v_fmac_f32_e32 v126, v107, v119
	v_add_f32_e32 v2, v2, v4
	v_add_f32_e32 v1, v1, v125
	s_waitcnt lgkmcnt(0)
	v_mul_f32_e32 v4, v111, v115
	s_waitcnt vmcnt(4)
	v_fma_f32 v5, v108, v120, -v5
	v_mul_f32_e32 v128, v110, v115
	v_add_f32_e32 v2, v2, v3
	v_fmac_f32_e32 v127, v109, v120
	v_add_f32_e32 v1, v1, v126
	v_mul_f32_e32 v3, v113, v116
	s_waitcnt vmcnt(3)
	v_fma_f32 v4, v110, v121, -v4
	v_add_f32_e32 v2, v2, v5
	v_mul_f32_e32 v129, v112, v116
	v_fmac_f32_e32 v128, v111, v121
	v_add_f32_e32 v1, v1, v127
	s_waitcnt vmcnt(2)
	v_fma_f32 v3, v112, v122, -v3
	v_add_f32_e32 v2, v2, v4
	v_fmac_f32_e32 v129, v113, v122
	v_add_f32_e32 v1, v1, v128
	v_add_f32_e32 v2, v2, v3
	;; [unrolled: 1-line block ×3, first 2 shown]
	s_waitcnt vmcnt(1)
	v_sub_f32_e32 v2, v123, v2
	s_waitcnt vmcnt(0)
	v_sub_f32_e32 v1, v124, v1
	buffer_store_dword v2, off, s[0:3], 0 offset:328
	buffer_store_dword v1, off, s[0:3], 0 offset:332
	v_cmpx_lt_u32_e32 40, v0
	s_cbranch_execz .LBB47_221
; %bb.220:
	s_clause 0x1
	buffer_load_dword v1, off, s[0:3], 0 offset:320
	buffer_load_dword v2, off, s[0:3], 0 offset:324
	v_mov_b32_e32 v3, 0
	buffer_store_dword v3, off, s[0:3], 0 offset:320
	buffer_store_dword v3, off, s[0:3], 0 offset:324
	s_waitcnt vmcnt(0)
	ds_write_b64 v105, v[1:2]
.LBB47_221:
	s_or_b32 exec_lo, exec_lo, s4
	s_waitcnt lgkmcnt(0)
	s_waitcnt_vscnt null, 0x0
	s_barrier
	buffer_gl0_inv
	s_clause 0xf
	buffer_load_dword v8, off, s[0:3], 0 offset:332
	buffer_load_dword v114, off, s[0:3], 0 offset:340
	buffer_load_dword v115, off, s[0:3], 0 offset:348
	buffer_load_dword v116, off, s[0:3], 0 offset:356
	buffer_load_dword v117, off, s[0:3], 0 offset:364
	buffer_load_dword v118, off, s[0:3], 0 offset:372
	buffer_load_dword v119, off, s[0:3], 0 offset:380
	buffer_load_dword v120, off, s[0:3], 0 offset:328
	buffer_load_dword v121, off, s[0:3], 0 offset:336
	buffer_load_dword v122, off, s[0:3], 0 offset:344
	buffer_load_dword v123, off, s[0:3], 0 offset:352
	buffer_load_dword v124, off, s[0:3], 0 offset:360
	buffer_load_dword v125, off, s[0:3], 0 offset:368
	buffer_load_dword v126, off, s[0:3], 0 offset:376
	buffer_load_dword v127, off, s[0:3], 0 offset:320
	buffer_load_dword v128, off, s[0:3], 0 offset:324
	v_mov_b32_e32 v1, 0
	ds_read2_b64 v[2:5], v1 offset0:89 offset1:90
	ds_read2_b64 v[106:109], v1 offset0:91 offset1:92
	;; [unrolled: 1-line block ×3, first 2 shown]
	ds_read_b64 v[6:7], v1 offset:760
	s_mov_b32 s4, exec_lo
	s_waitcnt vmcnt(15) lgkmcnt(3)
	v_mul_f32_e32 v129, v2, v8
	v_mul_f32_e32 v8, v3, v8
	s_waitcnt vmcnt(14)
	v_mul_f32_e32 v130, v4, v114
	v_mul_f32_e32 v114, v5, v114
	s_waitcnt vmcnt(13) lgkmcnt(2)
	v_mul_f32_e32 v131, v106, v115
	s_waitcnt vmcnt(12)
	v_mul_f32_e32 v132, v108, v116
	s_waitcnt vmcnt(11) lgkmcnt(1)
	v_mul_f32_e32 v133, v110, v117
	s_waitcnt vmcnt(8)
	v_fma_f32 v2, v2, v120, -v8
	v_fmac_f32_e32 v129, v3, v120
	v_mul_f32_e32 v3, v107, v115
	s_waitcnt vmcnt(7)
	v_fma_f32 v4, v4, v121, -v114
	v_fmac_f32_e32 v130, v5, v121
	v_add_f32_e32 v2, 0, v2
	v_add_f32_e32 v5, 0, v129
	v_mul_f32_e32 v8, v109, v116
	s_waitcnt vmcnt(6)
	v_fma_f32 v3, v106, v122, -v3
	v_fmac_f32_e32 v131, v107, v122
	v_add_f32_e32 v2, v2, v4
	v_add_f32_e32 v4, v5, v130
	;; [unrolled: 6-line block ×3, first 2 shown]
	v_mul_f32_e32 v4, v113, v118
	s_waitcnt vmcnt(4)
	v_fma_f32 v5, v110, v124, -v5
	v_mul_f32_e32 v134, v112, v118
	v_add_f32_e32 v2, v2, v8
	v_fmac_f32_e32 v133, v111, v124
	v_add_f32_e32 v3, v3, v132
	s_waitcnt lgkmcnt(0)
	v_mul_f32_e32 v8, v7, v119
	s_waitcnt vmcnt(3)
	v_fma_f32 v4, v112, v125, -v4
	v_add_f32_e32 v2, v2, v5
	v_mul_f32_e32 v135, v6, v119
	v_fmac_f32_e32 v134, v113, v125
	v_add_f32_e32 v3, v3, v133
	s_waitcnt vmcnt(2)
	v_fma_f32 v5, v6, v126, -v8
	v_add_f32_e32 v2, v2, v4
	v_fmac_f32_e32 v135, v7, v126
	v_add_f32_e32 v3, v3, v134
	v_add_f32_e32 v2, v2, v5
	;; [unrolled: 1-line block ×3, first 2 shown]
	s_waitcnt vmcnt(1)
	v_sub_f32_e32 v2, v127, v2
	s_waitcnt vmcnt(0)
	v_sub_f32_e32 v3, v128, v3
	buffer_store_dword v2, off, s[0:3], 0 offset:320
	buffer_store_dword v3, off, s[0:3], 0 offset:324
	v_cmpx_lt_u32_e32 39, v0
	s_cbranch_execz .LBB47_223
; %bb.222:
	s_clause 0x1
	buffer_load_dword v2, off, s[0:3], 0 offset:312
	buffer_load_dword v3, off, s[0:3], 0 offset:316
	buffer_store_dword v1, off, s[0:3], 0 offset:312
	buffer_store_dword v1, off, s[0:3], 0 offset:316
	s_waitcnt vmcnt(0)
	ds_write_b64 v105, v[2:3]
.LBB47_223:
	s_or_b32 exec_lo, exec_lo, s4
	s_waitcnt lgkmcnt(0)
	s_waitcnt_vscnt null, 0x0
	s_barrier
	buffer_gl0_inv
	s_clause 0x11
	buffer_load_dword v6, off, s[0:3], 0 offset:324
	buffer_load_dword v7, off, s[0:3], 0 offset:332
	;; [unrolled: 1-line block ×18, first 2 shown]
	ds_read_b128 v[2:5], v1 offset:704
	ds_read_b128 v[106:109], v1 offset:720
	ds_read_b128 v[110:113], v1 offset:736
	ds_read_b128 v[114:117], v1 offset:752
	s_mov_b32 s4, exec_lo
	s_waitcnt vmcnt(17) lgkmcnt(3)
	v_mul_f32_e32 v1, v2, v6
	v_mul_f32_e32 v6, v3, v6
	s_waitcnt vmcnt(16)
	v_mul_f32_e32 v133, v4, v7
	v_mul_f32_e32 v7, v5, v7
	s_waitcnt vmcnt(15) lgkmcnt(2)
	v_mul_f32_e32 v134, v106, v8
	s_waitcnt vmcnt(14)
	v_mul_f32_e32 v135, v108, v118
	s_waitcnt vmcnt(13) lgkmcnt(1)
	v_mul_f32_e32 v136, v110, v119
	s_waitcnt vmcnt(12)
	v_mul_f32_e32 v137, v112, v120
	s_waitcnt vmcnt(9)
	v_fma_f32 v2, v2, v123, -v6
	v_fmac_f32_e32 v1, v3, v123
	v_mul_f32_e32 v3, v107, v8
	s_waitcnt vmcnt(8)
	v_fma_f32 v4, v4, v124, -v7
	v_fmac_f32_e32 v133, v5, v124
	v_add_f32_e32 v2, 0, v2
	v_add_f32_e32 v1, 0, v1
	v_mul_f32_e32 v5, v109, v118
	s_waitcnt vmcnt(7)
	v_fma_f32 v3, v106, v125, -v3
	v_fmac_f32_e32 v134, v107, v125
	v_add_f32_e32 v2, v2, v4
	v_add_f32_e32 v1, v1, v133
	v_mul_f32_e32 v4, v111, v119
	s_waitcnt vmcnt(6)
	v_fma_f32 v5, v108, v126, -v5
	v_fmac_f32_e32 v135, v109, v126
	v_add_f32_e32 v2, v2, v3
	v_add_f32_e32 v1, v1, v134
	v_mul_f32_e32 v3, v113, v120
	s_waitcnt vmcnt(5)
	v_fma_f32 v4, v110, v127, -v4
	v_fmac_f32_e32 v136, v111, v127
	v_add_f32_e32 v2, v2, v5
	v_add_f32_e32 v1, v1, v135
	s_waitcnt lgkmcnt(0)
	v_mul_f32_e32 v5, v115, v121
	s_waitcnt vmcnt(4)
	v_fma_f32 v3, v112, v128, -v3
	v_mul_f32_e32 v138, v114, v121
	v_add_f32_e32 v2, v2, v4
	v_fmac_f32_e32 v137, v113, v128
	v_add_f32_e32 v1, v1, v136
	v_mul_f32_e32 v4, v117, v122
	s_waitcnt vmcnt(3)
	v_fma_f32 v5, v114, v129, -v5
	v_add_f32_e32 v2, v2, v3
	v_mul_f32_e32 v139, v116, v122
	v_fmac_f32_e32 v138, v115, v129
	v_add_f32_e32 v1, v1, v137
	s_waitcnt vmcnt(2)
	v_fma_f32 v3, v116, v130, -v4
	v_add_f32_e32 v2, v2, v5
	v_fmac_f32_e32 v139, v117, v130
	v_add_f32_e32 v1, v1, v138
	v_add_f32_e32 v2, v2, v3
	;; [unrolled: 1-line block ×3, first 2 shown]
	s_waitcnt vmcnt(1)
	v_sub_f32_e32 v2, v131, v2
	s_waitcnt vmcnt(0)
	v_sub_f32_e32 v1, v132, v1
	buffer_store_dword v2, off, s[0:3], 0 offset:312
	buffer_store_dword v1, off, s[0:3], 0 offset:316
	v_cmpx_lt_u32_e32 38, v0
	s_cbranch_execz .LBB47_225
; %bb.224:
	s_clause 0x1
	buffer_load_dword v1, off, s[0:3], 0 offset:304
	buffer_load_dword v2, off, s[0:3], 0 offset:308
	v_mov_b32_e32 v3, 0
	buffer_store_dword v3, off, s[0:3], 0 offset:304
	buffer_store_dword v3, off, s[0:3], 0 offset:308
	s_waitcnt vmcnt(0)
	ds_write_b64 v105, v[1:2]
.LBB47_225:
	s_or_b32 exec_lo, exec_lo, s4
	s_waitcnt lgkmcnt(0)
	s_waitcnt_vscnt null, 0x0
	s_barrier
	buffer_gl0_inv
	s_clause 0x13
	buffer_load_dword v8, off, s[0:3], 0 offset:316
	buffer_load_dword v118, off, s[0:3], 0 offset:324
	;; [unrolled: 1-line block ×20, first 2 shown]
	v_mov_b32_e32 v1, 0
	ds_read2_b64 v[2:5], v1 offset0:87 offset1:88
	ds_read2_b64 v[106:109], v1 offset0:89 offset1:90
	;; [unrolled: 1-line block ×4, first 2 shown]
	ds_read_b64 v[6:7], v1 offset:760
	s_mov_b32 s4, exec_lo
	s_waitcnt vmcnt(19) lgkmcnt(4)
	v_mul_f32_e32 v137, v2, v8
	v_mul_f32_e32 v8, v3, v8
	s_waitcnt vmcnt(18)
	v_mul_f32_e32 v138, v4, v118
	v_mul_f32_e32 v118, v5, v118
	s_waitcnt vmcnt(17) lgkmcnt(3)
	v_mul_f32_e32 v139, v106, v119
	s_waitcnt vmcnt(16)
	v_mul_f32_e32 v140, v108, v120
	s_waitcnt vmcnt(15) lgkmcnt(2)
	v_mul_f32_e32 v141, v110, v121
	s_waitcnt vmcnt(14)
	;; [unrolled: 4-line block ×3, first 2 shown]
	v_fma_f32 v2, v2, v126, -v8
	v_fmac_f32_e32 v137, v3, v126
	v_mul_f32_e32 v3, v107, v119
	s_waitcnt vmcnt(9)
	v_fma_f32 v4, v4, v127, -v118
	v_fmac_f32_e32 v138, v5, v127
	v_add_f32_e32 v2, 0, v2
	v_add_f32_e32 v5, 0, v137
	v_mul_f32_e32 v8, v109, v120
	s_waitcnt vmcnt(8)
	v_fma_f32 v3, v106, v128, -v3
	v_fmac_f32_e32 v139, v107, v128
	v_add_f32_e32 v2, v2, v4
	v_add_f32_e32 v4, v5, v138
	;; [unrolled: 6-line block ×5, first 2 shown]
	v_mul_f32_e32 v5, v117, v124
	s_waitcnt vmcnt(4)
	v_fma_f32 v8, v114, v132, -v8
	v_mul_f32_e32 v144, v116, v124
	v_add_f32_e32 v2, v2, v4
	v_fmac_f32_e32 v143, v115, v132
	v_add_f32_e32 v3, v3, v142
	s_waitcnt lgkmcnt(0)
	v_mul_f32_e32 v4, v7, v125
	s_waitcnt vmcnt(3)
	v_fma_f32 v5, v116, v133, -v5
	v_add_f32_e32 v2, v2, v8
	v_mul_f32_e32 v145, v6, v125
	v_fmac_f32_e32 v144, v117, v133
	v_add_f32_e32 v3, v3, v143
	s_waitcnt vmcnt(2)
	v_fma_f32 v4, v6, v134, -v4
	v_add_f32_e32 v2, v2, v5
	v_fmac_f32_e32 v145, v7, v134
	v_add_f32_e32 v3, v3, v144
	v_add_f32_e32 v2, v2, v4
	;; [unrolled: 1-line block ×3, first 2 shown]
	s_waitcnt vmcnt(1)
	v_sub_f32_e32 v2, v135, v2
	s_waitcnt vmcnt(0)
	v_sub_f32_e32 v3, v136, v3
	buffer_store_dword v2, off, s[0:3], 0 offset:304
	buffer_store_dword v3, off, s[0:3], 0 offset:308
	v_cmpx_lt_u32_e32 37, v0
	s_cbranch_execz .LBB47_227
; %bb.226:
	s_clause 0x1
	buffer_load_dword v2, off, s[0:3], 0 offset:296
	buffer_load_dword v3, off, s[0:3], 0 offset:300
	buffer_store_dword v1, off, s[0:3], 0 offset:296
	buffer_store_dword v1, off, s[0:3], 0 offset:300
	s_waitcnt vmcnt(0)
	ds_write_b64 v105, v[2:3]
.LBB47_227:
	s_or_b32 exec_lo, exec_lo, s4
	s_waitcnt lgkmcnt(0)
	s_waitcnt_vscnt null, 0x0
	s_barrier
	buffer_gl0_inv
	s_clause 0x15
	buffer_load_dword v6, off, s[0:3], 0 offset:308
	buffer_load_dword v7, off, s[0:3], 0 offset:316
	;; [unrolled: 1-line block ×22, first 2 shown]
	ds_read_b128 v[2:5], v1 offset:688
	ds_read_b128 v[106:109], v1 offset:704
	;; [unrolled: 1-line block ×5, first 2 shown]
	s_mov_b32 s4, exec_lo
	s_waitcnt vmcnt(21) lgkmcnt(4)
	v_mul_f32_e32 v1, v2, v6
	v_mul_f32_e32 v6, v3, v6
	s_waitcnt vmcnt(20)
	v_mul_f32_e32 v141, v4, v7
	v_mul_f32_e32 v7, v5, v7
	s_waitcnt vmcnt(19) lgkmcnt(3)
	v_mul_f32_e32 v142, v106, v8
	s_waitcnt vmcnt(18)
	v_mul_f32_e32 v143, v108, v122
	s_waitcnt vmcnt(17) lgkmcnt(2)
	v_mul_f32_e32 v144, v110, v123
	s_waitcnt vmcnt(16)
	;; [unrolled: 4-line block ×3, first 2 shown]
	v_mul_f32_e32 v147, v116, v126
	s_waitcnt vmcnt(11)
	v_fma_f32 v2, v2, v129, -v6
	v_fmac_f32_e32 v1, v3, v129
	v_mul_f32_e32 v3, v107, v8
	s_waitcnt vmcnt(10)
	v_fma_f32 v4, v4, v130, -v7
	v_fmac_f32_e32 v141, v5, v130
	v_add_f32_e32 v2, 0, v2
	v_add_f32_e32 v1, 0, v1
	v_mul_f32_e32 v5, v109, v122
	s_waitcnt vmcnt(9)
	v_fma_f32 v3, v106, v131, -v3
	v_fmac_f32_e32 v142, v107, v131
	v_add_f32_e32 v2, v2, v4
	v_add_f32_e32 v1, v1, v141
	v_mul_f32_e32 v4, v111, v123
	s_waitcnt vmcnt(8)
	v_fma_f32 v5, v108, v132, -v5
	v_fmac_f32_e32 v143, v109, v132
	v_add_f32_e32 v2, v2, v3
	v_add_f32_e32 v1, v1, v142
	v_mul_f32_e32 v3, v113, v124
	s_waitcnt vmcnt(7)
	v_fma_f32 v4, v110, v133, -v4
	v_fmac_f32_e32 v144, v111, v133
	v_add_f32_e32 v2, v2, v5
	v_add_f32_e32 v1, v1, v143
	v_mul_f32_e32 v5, v115, v125
	s_waitcnt vmcnt(6)
	v_fma_f32 v3, v112, v134, -v3
	v_fmac_f32_e32 v145, v113, v134
	v_add_f32_e32 v2, v2, v4
	v_add_f32_e32 v1, v1, v144
	v_mul_f32_e32 v4, v117, v126
	s_waitcnt vmcnt(5)
	v_fma_f32 v5, v114, v135, -v5
	v_fmac_f32_e32 v146, v115, v135
	v_add_f32_e32 v2, v2, v3
	v_add_f32_e32 v1, v1, v145
	s_waitcnt lgkmcnt(0)
	v_mul_f32_e32 v3, v119, v127
	s_waitcnt vmcnt(4)
	v_fma_f32 v4, v116, v136, -v4
	v_mul_f32_e32 v148, v118, v127
	v_add_f32_e32 v2, v2, v5
	v_fmac_f32_e32 v147, v117, v136
	v_add_f32_e32 v1, v1, v146
	v_mul_f32_e32 v5, v121, v128
	s_waitcnt vmcnt(3)
	v_fma_f32 v3, v118, v137, -v3
	v_add_f32_e32 v2, v2, v4
	v_mul_f32_e32 v149, v120, v128
	v_fmac_f32_e32 v148, v119, v137
	v_add_f32_e32 v1, v1, v147
	s_waitcnt vmcnt(2)
	v_fma_f32 v4, v120, v138, -v5
	v_add_f32_e32 v2, v2, v3
	v_fmac_f32_e32 v149, v121, v138
	v_add_f32_e32 v1, v1, v148
	v_add_f32_e32 v2, v2, v4
	;; [unrolled: 1-line block ×3, first 2 shown]
	s_waitcnt vmcnt(1)
	v_sub_f32_e32 v2, v139, v2
	s_waitcnt vmcnt(0)
	v_sub_f32_e32 v1, v140, v1
	buffer_store_dword v2, off, s[0:3], 0 offset:296
	buffer_store_dword v1, off, s[0:3], 0 offset:300
	v_cmpx_lt_u32_e32 36, v0
	s_cbranch_execz .LBB47_229
; %bb.228:
	s_clause 0x1
	buffer_load_dword v1, off, s[0:3], 0 offset:288
	buffer_load_dword v2, off, s[0:3], 0 offset:292
	v_mov_b32_e32 v3, 0
	buffer_store_dword v3, off, s[0:3], 0 offset:288
	buffer_store_dword v3, off, s[0:3], 0 offset:292
	s_waitcnt vmcnt(0)
	ds_write_b64 v105, v[1:2]
.LBB47_229:
	s_or_b32 exec_lo, exec_lo, s4
	s_waitcnt lgkmcnt(0)
	s_waitcnt_vscnt null, 0x0
	s_barrier
	buffer_gl0_inv
	s_clause 0x17
	buffer_load_dword v8, off, s[0:3], 0 offset:300
	buffer_load_dword v122, off, s[0:3], 0 offset:308
	;; [unrolled: 1-line block ×24, first 2 shown]
	v_mov_b32_e32 v1, 0
	ds_read2_b64 v[2:5], v1 offset0:85 offset1:86
	ds_read2_b64 v[106:109], v1 offset0:87 offset1:88
	;; [unrolled: 1-line block ×5, first 2 shown]
	ds_read_b64 v[6:7], v1 offset:760
	s_mov_b32 s4, exec_lo
	s_waitcnt vmcnt(23) lgkmcnt(5)
	v_mul_f32_e32 v145, v2, v8
	v_mul_f32_e32 v8, v3, v8
	s_waitcnt vmcnt(22)
	v_mul_f32_e32 v146, v4, v122
	v_mul_f32_e32 v122, v5, v122
	s_waitcnt vmcnt(21) lgkmcnt(4)
	v_mul_f32_e32 v147, v106, v123
	s_waitcnt vmcnt(20)
	v_mul_f32_e32 v148, v108, v124
	s_waitcnt vmcnt(19) lgkmcnt(3)
	v_mul_f32_e32 v149, v110, v125
	s_waitcnt vmcnt(18)
	;; [unrolled: 4-line block ×4, first 2 shown]
	v_fma_f32 v2, v2, v132, -v8
	v_fmac_f32_e32 v145, v3, v132
	v_mul_f32_e32 v3, v107, v123
	s_waitcnt vmcnt(11)
	v_fma_f32 v4, v4, v133, -v122
	v_fmac_f32_e32 v146, v5, v133
	v_add_f32_e32 v2, 0, v2
	v_add_f32_e32 v5, 0, v145
	v_mul_f32_e32 v8, v109, v124
	s_waitcnt vmcnt(10)
	v_fma_f32 v3, v106, v134, -v3
	v_fmac_f32_e32 v147, v107, v134
	v_add_f32_e32 v2, v2, v4
	v_add_f32_e32 v4, v5, v146
	;; [unrolled: 6-line block ×7, first 2 shown]
	v_mul_f32_e32 v8, v121, v130
	s_waitcnt vmcnt(4)
	v_fma_f32 v4, v118, v140, -v4
	v_mul_f32_e32 v154, v120, v130
	v_add_f32_e32 v2, v2, v5
	v_fmac_f32_e32 v153, v119, v140
	v_add_f32_e32 v3, v3, v152
	s_waitcnt lgkmcnt(0)
	v_mul_f32_e32 v5, v7, v131
	s_waitcnt vmcnt(3)
	v_fma_f32 v8, v120, v141, -v8
	v_add_f32_e32 v2, v2, v4
	v_mul_f32_e32 v155, v6, v131
	v_fmac_f32_e32 v154, v121, v141
	v_add_f32_e32 v3, v3, v153
	s_waitcnt vmcnt(2)
	v_fma_f32 v4, v6, v142, -v5
	v_add_f32_e32 v2, v2, v8
	v_fmac_f32_e32 v155, v7, v142
	v_add_f32_e32 v3, v3, v154
	v_add_f32_e32 v2, v2, v4
	;; [unrolled: 1-line block ×3, first 2 shown]
	s_waitcnt vmcnt(1)
	v_sub_f32_e32 v2, v143, v2
	s_waitcnt vmcnt(0)
	v_sub_f32_e32 v3, v144, v3
	buffer_store_dword v2, off, s[0:3], 0 offset:288
	buffer_store_dword v3, off, s[0:3], 0 offset:292
	v_cmpx_lt_u32_e32 35, v0
	s_cbranch_execz .LBB47_231
; %bb.230:
	s_clause 0x1
	buffer_load_dword v2, off, s[0:3], 0 offset:280
	buffer_load_dword v3, off, s[0:3], 0 offset:284
	buffer_store_dword v1, off, s[0:3], 0 offset:280
	buffer_store_dword v1, off, s[0:3], 0 offset:284
	s_waitcnt vmcnt(0)
	ds_write_b64 v105, v[2:3]
.LBB47_231:
	s_or_b32 exec_lo, exec_lo, s4
	s_waitcnt lgkmcnt(0)
	s_waitcnt_vscnt null, 0x0
	s_barrier
	buffer_gl0_inv
	s_clause 0x19
	buffer_load_dword v6, off, s[0:3], 0 offset:292
	buffer_load_dword v7, off, s[0:3], 0 offset:300
	;; [unrolled: 1-line block ×26, first 2 shown]
	ds_read_b128 v[2:5], v1 offset:672
	ds_read_b128 v[106:109], v1 offset:688
	;; [unrolled: 1-line block ×6, first 2 shown]
	s_mov_b32 s4, exec_lo
	s_waitcnt vmcnt(25) lgkmcnt(5)
	v_mul_f32_e32 v1, v2, v6
	v_mul_f32_e32 v6, v3, v6
	s_waitcnt vmcnt(24)
	v_mul_f32_e32 v149, v4, v7
	v_mul_f32_e32 v7, v5, v7
	s_waitcnt vmcnt(23) lgkmcnt(4)
	v_mul_f32_e32 v150, v106, v8
	s_waitcnt vmcnt(22)
	v_mul_f32_e32 v151, v108, v126
	s_waitcnt vmcnt(21) lgkmcnt(3)
	v_mul_f32_e32 v152, v110, v127
	s_waitcnt vmcnt(20)
	;; [unrolled: 4-line block ×4, first 2 shown]
	v_mul_f32_e32 v157, v120, v132
	s_waitcnt vmcnt(13)
	v_fma_f32 v2, v2, v135, -v6
	v_fmac_f32_e32 v1, v3, v135
	v_mul_f32_e32 v3, v107, v8
	s_waitcnt vmcnt(12)
	v_fma_f32 v4, v4, v136, -v7
	v_fmac_f32_e32 v149, v5, v136
	v_add_f32_e32 v2, 0, v2
	v_add_f32_e32 v1, 0, v1
	v_mul_f32_e32 v5, v109, v126
	s_waitcnt vmcnt(11)
	v_fma_f32 v3, v106, v137, -v3
	v_fmac_f32_e32 v150, v107, v137
	v_add_f32_e32 v2, v2, v4
	v_add_f32_e32 v1, v1, v149
	;; [unrolled: 6-line block ×8, first 2 shown]
	s_waitcnt lgkmcnt(0)
	v_mul_f32_e32 v4, v123, v133
	s_waitcnt vmcnt(4)
	v_fma_f32 v5, v120, v144, -v5
	v_mul_f32_e32 v158, v122, v133
	v_add_f32_e32 v2, v2, v3
	v_fmac_f32_e32 v157, v121, v144
	v_add_f32_e32 v1, v1, v156
	v_mul_f32_e32 v3, v125, v134
	s_waitcnt vmcnt(3)
	v_fma_f32 v4, v122, v145, -v4
	v_add_f32_e32 v2, v2, v5
	v_mul_f32_e32 v159, v124, v134
	v_fmac_f32_e32 v158, v123, v145
	v_add_f32_e32 v1, v1, v157
	s_waitcnt vmcnt(2)
	v_fma_f32 v3, v124, v146, -v3
	v_add_f32_e32 v2, v2, v4
	v_fmac_f32_e32 v159, v125, v146
	v_add_f32_e32 v1, v1, v158
	v_add_f32_e32 v2, v2, v3
	;; [unrolled: 1-line block ×3, first 2 shown]
	s_waitcnt vmcnt(1)
	v_sub_f32_e32 v2, v147, v2
	s_waitcnt vmcnt(0)
	v_sub_f32_e32 v1, v148, v1
	buffer_store_dword v2, off, s[0:3], 0 offset:280
	buffer_store_dword v1, off, s[0:3], 0 offset:284
	v_cmpx_lt_u32_e32 34, v0
	s_cbranch_execz .LBB47_233
; %bb.232:
	s_clause 0x1
	buffer_load_dword v1, off, s[0:3], 0 offset:272
	buffer_load_dword v2, off, s[0:3], 0 offset:276
	v_mov_b32_e32 v3, 0
	buffer_store_dword v3, off, s[0:3], 0 offset:272
	buffer_store_dword v3, off, s[0:3], 0 offset:276
	s_waitcnt vmcnt(0)
	ds_write_b64 v105, v[1:2]
.LBB47_233:
	s_or_b32 exec_lo, exec_lo, s4
	s_waitcnt lgkmcnt(0)
	s_waitcnt_vscnt null, 0x0
	s_barrier
	buffer_gl0_inv
	s_clause 0x1b
	buffer_load_dword v8, off, s[0:3], 0 offset:284
	buffer_load_dword v126, off, s[0:3], 0 offset:292
	;; [unrolled: 1-line block ×28, first 2 shown]
	v_mov_b32_e32 v1, 0
	ds_read2_b64 v[2:5], v1 offset0:83 offset1:84
	ds_read2_b64 v[106:109], v1 offset0:85 offset1:86
	;; [unrolled: 1-line block ×6, first 2 shown]
	ds_read_b64 v[6:7], v1 offset:760
	s_mov_b32 s4, exec_lo
	s_waitcnt vmcnt(27) lgkmcnt(6)
	v_mul_f32_e32 v153, v2, v8
	v_mul_f32_e32 v8, v3, v8
	s_waitcnt vmcnt(26)
	v_mul_f32_e32 v154, v4, v126
	v_mul_f32_e32 v126, v5, v126
	s_waitcnt vmcnt(25) lgkmcnt(5)
	v_mul_f32_e32 v155, v106, v127
	s_waitcnt vmcnt(24)
	v_mul_f32_e32 v156, v108, v128
	s_waitcnt vmcnt(23) lgkmcnt(4)
	v_mul_f32_e32 v157, v110, v129
	s_waitcnt vmcnt(22)
	;; [unrolled: 4-line block ×5, first 2 shown]
	v_fma_f32 v2, v2, v138, -v8
	v_fmac_f32_e32 v153, v3, v138
	v_mul_f32_e32 v3, v107, v127
	s_waitcnt vmcnt(13)
	v_fma_f32 v4, v4, v139, -v126
	v_fmac_f32_e32 v154, v5, v139
	v_add_f32_e32 v2, 0, v2
	v_add_f32_e32 v5, 0, v153
	v_mul_f32_e32 v8, v109, v128
	s_waitcnt vmcnt(12)
	v_fma_f32 v3, v106, v140, -v3
	v_fmac_f32_e32 v155, v107, v140
	v_add_f32_e32 v2, v2, v4
	v_add_f32_e32 v4, v5, v154
	;; [unrolled: 6-line block ×9, first 2 shown]
	v_mul_f32_e32 v4, v125, v136
	s_waitcnt vmcnt(4)
	v_fma_f32 v5, v122, v148, -v5
	v_mul_f32_e32 v164, v124, v136
	v_add_f32_e32 v2, v2, v8
	v_fmac_f32_e32 v163, v123, v148
	v_add_f32_e32 v3, v3, v162
	s_waitcnt lgkmcnt(0)
	v_mul_f32_e32 v8, v7, v137
	s_waitcnt vmcnt(3)
	v_fma_f32 v4, v124, v149, -v4
	v_add_f32_e32 v2, v2, v5
	v_mul_f32_e32 v165, v6, v137
	v_fmac_f32_e32 v164, v125, v149
	v_add_f32_e32 v3, v3, v163
	s_waitcnt vmcnt(2)
	v_fma_f32 v5, v6, v150, -v8
	v_add_f32_e32 v2, v2, v4
	v_fmac_f32_e32 v165, v7, v150
	v_add_f32_e32 v3, v3, v164
	v_add_f32_e32 v2, v2, v5
	;; [unrolled: 1-line block ×3, first 2 shown]
	s_waitcnt vmcnt(1)
	v_sub_f32_e32 v2, v151, v2
	s_waitcnt vmcnt(0)
	v_sub_f32_e32 v3, v152, v3
	buffer_store_dword v2, off, s[0:3], 0 offset:272
	buffer_store_dword v3, off, s[0:3], 0 offset:276
	v_cmpx_lt_u32_e32 33, v0
	s_cbranch_execz .LBB47_235
; %bb.234:
	s_clause 0x1
	buffer_load_dword v2, off, s[0:3], 0 offset:264
	buffer_load_dword v3, off, s[0:3], 0 offset:268
	buffer_store_dword v1, off, s[0:3], 0 offset:264
	buffer_store_dword v1, off, s[0:3], 0 offset:268
	s_waitcnt vmcnt(0)
	ds_write_b64 v105, v[2:3]
.LBB47_235:
	s_or_b32 exec_lo, exec_lo, s4
	s_waitcnt lgkmcnt(0)
	s_waitcnt_vscnt null, 0x0
	s_barrier
	buffer_gl0_inv
	s_clause 0x1d
	buffer_load_dword v6, off, s[0:3], 0 offset:276
	buffer_load_dword v7, off, s[0:3], 0 offset:284
	;; [unrolled: 1-line block ×30, first 2 shown]
	ds_read_b128 v[2:5], v1 offset:656
	ds_read_b128 v[106:109], v1 offset:672
	;; [unrolled: 1-line block ×7, first 2 shown]
	s_mov_b32 s4, exec_lo
	s_waitcnt vmcnt(29) lgkmcnt(6)
	v_mul_f32_e32 v1, v2, v6
	v_mul_f32_e32 v6, v3, v6
	s_waitcnt vmcnt(28)
	v_mul_f32_e32 v157, v4, v7
	v_mul_f32_e32 v7, v5, v7
	s_waitcnt vmcnt(27) lgkmcnt(5)
	v_mul_f32_e32 v158, v106, v8
	s_waitcnt vmcnt(26)
	v_mul_f32_e32 v159, v108, v130
	s_waitcnt vmcnt(25) lgkmcnt(4)
	v_mul_f32_e32 v160, v110, v131
	s_waitcnt vmcnt(24)
	;; [unrolled: 4-line block ×5, first 2 shown]
	v_mul_f32_e32 v167, v124, v138
	s_waitcnt vmcnt(15)
	v_fma_f32 v2, v2, v141, -v6
	v_fmac_f32_e32 v1, v3, v141
	v_mul_f32_e32 v3, v107, v8
	s_waitcnt vmcnt(14)
	v_fma_f32 v4, v4, v142, -v7
	v_fmac_f32_e32 v157, v5, v142
	v_add_f32_e32 v2, 0, v2
	v_add_f32_e32 v1, 0, v1
	v_mul_f32_e32 v5, v109, v130
	s_waitcnt vmcnt(13)
	v_fma_f32 v3, v106, v143, -v3
	v_fmac_f32_e32 v158, v107, v143
	v_add_f32_e32 v2, v2, v4
	v_add_f32_e32 v1, v1, v157
	v_mul_f32_e32 v4, v111, v131
	s_waitcnt vmcnt(12)
	v_fma_f32 v5, v108, v144, -v5
	v_fmac_f32_e32 v159, v109, v144
	v_add_f32_e32 v2, v2, v3
	v_add_f32_e32 v1, v1, v158
	v_mul_f32_e32 v3, v113, v132
	s_waitcnt vmcnt(11)
	v_fma_f32 v4, v110, v145, -v4
	v_fmac_f32_e32 v160, v111, v145
	v_add_f32_e32 v2, v2, v5
	v_add_f32_e32 v1, v1, v159
	v_mul_f32_e32 v5, v115, v133
	s_waitcnt vmcnt(10)
	v_fma_f32 v3, v112, v146, -v3
	v_fmac_f32_e32 v161, v113, v146
	v_add_f32_e32 v2, v2, v4
	v_add_f32_e32 v1, v1, v160
	v_mul_f32_e32 v4, v117, v134
	s_waitcnt vmcnt(9)
	v_fma_f32 v5, v114, v147, -v5
	v_fmac_f32_e32 v162, v115, v147
	v_add_f32_e32 v2, v2, v3
	v_add_f32_e32 v1, v1, v161
	v_mul_f32_e32 v3, v119, v135
	s_waitcnt vmcnt(8)
	v_fma_f32 v4, v116, v148, -v4
	v_fmac_f32_e32 v163, v117, v148
	v_add_f32_e32 v2, v2, v5
	v_add_f32_e32 v1, v1, v162
	v_mul_f32_e32 v5, v121, v136
	s_waitcnt vmcnt(7)
	v_fma_f32 v3, v118, v149, -v3
	v_fmac_f32_e32 v164, v119, v149
	v_add_f32_e32 v2, v2, v4
	v_add_f32_e32 v1, v1, v163
	v_mul_f32_e32 v4, v123, v137
	s_waitcnt vmcnt(6)
	v_fma_f32 v5, v120, v150, -v5
	v_fmac_f32_e32 v165, v121, v150
	v_add_f32_e32 v2, v2, v3
	v_add_f32_e32 v1, v1, v164
	v_mul_f32_e32 v3, v125, v138
	s_waitcnt vmcnt(5)
	v_fma_f32 v4, v122, v151, -v4
	v_fmac_f32_e32 v166, v123, v151
	v_add_f32_e32 v2, v2, v5
	v_add_f32_e32 v1, v1, v165
	s_waitcnt lgkmcnt(0)
	v_mul_f32_e32 v5, v127, v139
	s_waitcnt vmcnt(4)
	v_fma_f32 v3, v124, v152, -v3
	v_mul_f32_e32 v168, v126, v139
	v_add_f32_e32 v2, v2, v4
	v_fmac_f32_e32 v167, v125, v152
	v_add_f32_e32 v1, v1, v166
	v_mul_f32_e32 v4, v129, v140
	s_waitcnt vmcnt(3)
	v_fma_f32 v5, v126, v153, -v5
	v_add_f32_e32 v2, v2, v3
	v_mul_f32_e32 v169, v128, v140
	v_fmac_f32_e32 v168, v127, v153
	v_add_f32_e32 v1, v1, v167
	s_waitcnt vmcnt(2)
	v_fma_f32 v3, v128, v154, -v4
	v_add_f32_e32 v2, v2, v5
	v_fmac_f32_e32 v169, v129, v154
	v_add_f32_e32 v1, v1, v168
	v_add_f32_e32 v2, v2, v3
	;; [unrolled: 1-line block ×3, first 2 shown]
	s_waitcnt vmcnt(1)
	v_sub_f32_e32 v2, v155, v2
	s_waitcnt vmcnt(0)
	v_sub_f32_e32 v1, v156, v1
	buffer_store_dword v2, off, s[0:3], 0 offset:264
	buffer_store_dword v1, off, s[0:3], 0 offset:268
	v_cmpx_lt_u32_e32 32, v0
	s_cbranch_execz .LBB47_237
; %bb.236:
	s_clause 0x1
	buffer_load_dword v1, off, s[0:3], 0 offset:256
	buffer_load_dword v2, off, s[0:3], 0 offset:260
	v_mov_b32_e32 v3, 0
	buffer_store_dword v3, off, s[0:3], 0 offset:256
	buffer_store_dword v3, off, s[0:3], 0 offset:260
	s_waitcnt vmcnt(0)
	ds_write_b64 v105, v[1:2]
.LBB47_237:
	s_or_b32 exec_lo, exec_lo, s4
	s_waitcnt lgkmcnt(0)
	s_waitcnt_vscnt null, 0x0
	s_barrier
	buffer_gl0_inv
	s_clause 0x1f
	buffer_load_dword v8, off, s[0:3], 0 offset:268
	buffer_load_dword v130, off, s[0:3], 0 offset:276
	;; [unrolled: 1-line block ×32, first 2 shown]
	v_mov_b32_e32 v1, 0
	ds_read2_b64 v[2:5], v1 offset0:81 offset1:82
	ds_read2_b64 v[106:109], v1 offset0:83 offset1:84
	;; [unrolled: 1-line block ×7, first 2 shown]
	ds_read_b64 v[6:7], v1 offset:760
	s_mov_b32 s4, exec_lo
	s_waitcnt vmcnt(31) lgkmcnt(7)
	v_mul_f32_e32 v161, v2, v8
	v_mul_f32_e32 v8, v3, v8
	s_waitcnt vmcnt(30)
	v_mul_f32_e32 v162, v4, v130
	v_mul_f32_e32 v130, v5, v130
	s_waitcnt vmcnt(29) lgkmcnt(6)
	v_mul_f32_e32 v163, v106, v131
	s_waitcnt vmcnt(28)
	v_mul_f32_e32 v164, v108, v132
	s_waitcnt vmcnt(27) lgkmcnt(5)
	v_mul_f32_e32 v165, v110, v133
	s_waitcnt vmcnt(26)
	;; [unrolled: 4-line block ×6, first 2 shown]
	v_fma_f32 v2, v2, v144, -v8
	v_fmac_f32_e32 v161, v3, v144
	v_mul_f32_e32 v3, v107, v131
	s_waitcnt vmcnt(15)
	v_fma_f32 v4, v4, v145, -v130
	v_fmac_f32_e32 v162, v5, v145
	v_add_f32_e32 v2, 0, v2
	v_add_f32_e32 v5, 0, v161
	v_mul_f32_e32 v8, v109, v132
	s_waitcnt vmcnt(14)
	v_fma_f32 v3, v106, v146, -v3
	v_fmac_f32_e32 v163, v107, v146
	v_add_f32_e32 v2, v2, v4
	v_add_f32_e32 v4, v5, v162
	;; [unrolled: 6-line block ×11, first 2 shown]
	v_mul_f32_e32 v5, v129, v142
	s_waitcnt vmcnt(4)
	v_fma_f32 v8, v126, v156, -v8
	v_mul_f32_e32 v174, v128, v142
	v_add_f32_e32 v2, v2, v4
	v_fmac_f32_e32 v173, v127, v156
	v_add_f32_e32 v3, v3, v172
	s_waitcnt lgkmcnt(0)
	v_mul_f32_e32 v4, v7, v143
	s_waitcnt vmcnt(3)
	v_fma_f32 v5, v128, v157, -v5
	v_add_f32_e32 v2, v2, v8
	v_mul_f32_e32 v175, v6, v143
	v_fmac_f32_e32 v174, v129, v157
	v_add_f32_e32 v3, v3, v173
	s_waitcnt vmcnt(2)
	v_fma_f32 v4, v6, v158, -v4
	v_add_f32_e32 v2, v2, v5
	v_fmac_f32_e32 v175, v7, v158
	v_add_f32_e32 v3, v3, v174
	v_add_f32_e32 v2, v2, v4
	;; [unrolled: 1-line block ×3, first 2 shown]
	s_waitcnt vmcnt(1)
	v_sub_f32_e32 v2, v159, v2
	s_waitcnt vmcnt(0)
	v_sub_f32_e32 v3, v160, v3
	buffer_store_dword v2, off, s[0:3], 0 offset:256
	buffer_store_dword v3, off, s[0:3], 0 offset:260
	v_cmpx_lt_u32_e32 31, v0
	s_cbranch_execz .LBB47_239
; %bb.238:
	s_clause 0x1
	buffer_load_dword v2, off, s[0:3], 0 offset:248
	buffer_load_dword v3, off, s[0:3], 0 offset:252
	buffer_store_dword v1, off, s[0:3], 0 offset:248
	buffer_store_dword v1, off, s[0:3], 0 offset:252
	s_waitcnt vmcnt(0)
	ds_write_b64 v105, v[2:3]
.LBB47_239:
	s_or_b32 exec_lo, exec_lo, s4
	s_waitcnt lgkmcnt(0)
	s_waitcnt_vscnt null, 0x0
	s_barrier
	buffer_gl0_inv
	s_clause 0x21
	buffer_load_dword v6, off, s[0:3], 0 offset:260
	buffer_load_dword v7, off, s[0:3], 0 offset:268
	buffer_load_dword v8, off, s[0:3], 0 offset:276
	buffer_load_dword v134, off, s[0:3], 0 offset:284
	buffer_load_dword v135, off, s[0:3], 0 offset:292
	buffer_load_dword v136, off, s[0:3], 0 offset:300
	buffer_load_dword v137, off, s[0:3], 0 offset:308
	buffer_load_dword v138, off, s[0:3], 0 offset:316
	buffer_load_dword v139, off, s[0:3], 0 offset:324
	buffer_load_dword v140, off, s[0:3], 0 offset:332
	buffer_load_dword v141, off, s[0:3], 0 offset:340
	buffer_load_dword v142, off, s[0:3], 0 offset:348
	buffer_load_dword v143, off, s[0:3], 0 offset:356
	buffer_load_dword v144, off, s[0:3], 0 offset:364
	buffer_load_dword v145, off, s[0:3], 0 offset:372
	buffer_load_dword v146, off, s[0:3], 0 offset:380
	buffer_load_dword v147, off, s[0:3], 0 offset:256
	buffer_load_dword v148, off, s[0:3], 0 offset:264
	buffer_load_dword v149, off, s[0:3], 0 offset:272
	buffer_load_dword v150, off, s[0:3], 0 offset:280
	buffer_load_dword v151, off, s[0:3], 0 offset:288
	buffer_load_dword v152, off, s[0:3], 0 offset:296
	buffer_load_dword v153, off, s[0:3], 0 offset:304
	buffer_load_dword v154, off, s[0:3], 0 offset:312
	buffer_load_dword v155, off, s[0:3], 0 offset:320
	buffer_load_dword v156, off, s[0:3], 0 offset:328
	buffer_load_dword v157, off, s[0:3], 0 offset:336
	buffer_load_dword v158, off, s[0:3], 0 offset:344
	buffer_load_dword v159, off, s[0:3], 0 offset:352
	buffer_load_dword v160, off, s[0:3], 0 offset:360
	buffer_load_dword v161, off, s[0:3], 0 offset:368
	buffer_load_dword v162, off, s[0:3], 0 offset:376
	buffer_load_dword v163, off, s[0:3], 0 offset:248
	buffer_load_dword v164, off, s[0:3], 0 offset:252
	ds_read_b128 v[2:5], v1 offset:640
	ds_read_b128 v[106:109], v1 offset:656
	;; [unrolled: 1-line block ×8, first 2 shown]
	s_mov_b32 s4, exec_lo
	s_waitcnt vmcnt(33) lgkmcnt(7)
	v_mul_f32_e32 v1, v2, v6
	v_mul_f32_e32 v6, v3, v6
	s_waitcnt vmcnt(32)
	v_mul_f32_e32 v165, v4, v7
	v_mul_f32_e32 v7, v5, v7
	s_waitcnt vmcnt(31) lgkmcnt(6)
	v_mul_f32_e32 v166, v106, v8
	s_waitcnt vmcnt(30)
	v_mul_f32_e32 v167, v108, v134
	s_waitcnt vmcnt(29) lgkmcnt(5)
	v_mul_f32_e32 v168, v110, v135
	s_waitcnt vmcnt(28)
	;; [unrolled: 4-line block ×6, first 2 shown]
	v_mul_f32_e32 v177, v128, v144
	s_waitcnt vmcnt(17)
	v_fma_f32 v2, v2, v147, -v6
	v_fmac_f32_e32 v1, v3, v147
	v_mul_f32_e32 v3, v107, v8
	s_waitcnt vmcnt(16)
	v_fma_f32 v4, v4, v148, -v7
	v_fmac_f32_e32 v165, v5, v148
	v_add_f32_e32 v2, 0, v2
	v_add_f32_e32 v1, 0, v1
	v_mul_f32_e32 v5, v109, v134
	s_waitcnt vmcnt(15)
	v_fma_f32 v3, v106, v149, -v3
	v_fmac_f32_e32 v166, v107, v149
	v_add_f32_e32 v2, v2, v4
	v_add_f32_e32 v1, v1, v165
	;; [unrolled: 6-line block ×12, first 2 shown]
	s_waitcnt lgkmcnt(0)
	v_mul_f32_e32 v3, v131, v145
	s_waitcnt vmcnt(4)
	v_fma_f32 v4, v128, v160, -v4
	v_mul_f32_e32 v178, v130, v145
	v_add_f32_e32 v2, v2, v5
	v_fmac_f32_e32 v177, v129, v160
	v_add_f32_e32 v1, v1, v176
	v_mul_f32_e32 v5, v133, v146
	s_waitcnt vmcnt(3)
	v_fma_f32 v3, v130, v161, -v3
	v_add_f32_e32 v2, v2, v4
	v_mul_f32_e32 v179, v132, v146
	v_fmac_f32_e32 v178, v131, v161
	v_add_f32_e32 v1, v1, v177
	s_waitcnt vmcnt(2)
	v_fma_f32 v4, v132, v162, -v5
	v_add_f32_e32 v2, v2, v3
	v_fmac_f32_e32 v179, v133, v162
	v_add_f32_e32 v1, v1, v178
	v_add_f32_e32 v2, v2, v4
	;; [unrolled: 1-line block ×3, first 2 shown]
	s_waitcnt vmcnt(1)
	v_sub_f32_e32 v2, v163, v2
	s_waitcnt vmcnt(0)
	v_sub_f32_e32 v1, v164, v1
	buffer_store_dword v2, off, s[0:3], 0 offset:248
	buffer_store_dword v1, off, s[0:3], 0 offset:252
	v_cmpx_lt_u32_e32 30, v0
	s_cbranch_execz .LBB47_241
; %bb.240:
	s_clause 0x1
	buffer_load_dword v1, off, s[0:3], 0 offset:240
	buffer_load_dword v2, off, s[0:3], 0 offset:244
	v_mov_b32_e32 v3, 0
	buffer_store_dword v3, off, s[0:3], 0 offset:240
	buffer_store_dword v3, off, s[0:3], 0 offset:244
	s_waitcnt vmcnt(0)
	ds_write_b64 v105, v[1:2]
.LBB47_241:
	s_or_b32 exec_lo, exec_lo, s4
	s_waitcnt lgkmcnt(0)
	s_waitcnt_vscnt null, 0x0
	s_barrier
	buffer_gl0_inv
	s_clause 0x23
	buffer_load_dword v8, off, s[0:3], 0 offset:252
	buffer_load_dword v134, off, s[0:3], 0 offset:260
	;; [unrolled: 1-line block ×36, first 2 shown]
	v_mov_b32_e32 v1, 0
	ds_read2_b64 v[2:5], v1 offset0:79 offset1:80
	ds_read2_b64 v[106:109], v1 offset0:81 offset1:82
	;; [unrolled: 1-line block ×8, first 2 shown]
	ds_read_b64 v[6:7], v1 offset:760
	s_mov_b32 s4, exec_lo
	s_waitcnt vmcnt(35) lgkmcnt(8)
	v_mul_f32_e32 v169, v2, v8
	v_mul_f32_e32 v8, v3, v8
	s_waitcnt vmcnt(34)
	v_mul_f32_e32 v170, v4, v134
	v_mul_f32_e32 v134, v5, v134
	s_waitcnt vmcnt(33) lgkmcnt(7)
	v_mul_f32_e32 v171, v106, v135
	s_waitcnt vmcnt(32)
	v_mul_f32_e32 v172, v108, v136
	s_waitcnt vmcnt(31) lgkmcnt(6)
	v_mul_f32_e32 v173, v110, v137
	s_waitcnt vmcnt(30)
	;; [unrolled: 4-line block ×7, first 2 shown]
	v_fma_f32 v2, v2, v150, -v8
	v_fmac_f32_e32 v169, v3, v150
	v_mul_f32_e32 v3, v107, v135
	s_waitcnt vmcnt(17)
	v_fma_f32 v4, v4, v151, -v134
	v_fmac_f32_e32 v170, v5, v151
	v_add_f32_e32 v2, 0, v2
	v_add_f32_e32 v5, 0, v169
	v_mul_f32_e32 v8, v109, v136
	s_waitcnt vmcnt(16)
	v_fma_f32 v3, v106, v152, -v3
	v_fmac_f32_e32 v171, v107, v152
	v_add_f32_e32 v2, v2, v4
	v_add_f32_e32 v4, v5, v170
	;; [unrolled: 6-line block ×13, first 2 shown]
	v_mul_f32_e32 v8, v133, v148
	s_waitcnt vmcnt(4)
	v_fma_f32 v4, v130, v164, -v4
	v_mul_f32_e32 v184, v132, v148
	v_add_f32_e32 v2, v2, v5
	v_fmac_f32_e32 v183, v131, v164
	v_add_f32_e32 v3, v3, v182
	s_waitcnt lgkmcnt(0)
	v_mul_f32_e32 v5, v7, v149
	s_waitcnt vmcnt(3)
	v_fma_f32 v8, v132, v165, -v8
	v_add_f32_e32 v2, v2, v4
	v_mul_f32_e32 v185, v6, v149
	v_fmac_f32_e32 v184, v133, v165
	v_add_f32_e32 v3, v3, v183
	s_waitcnt vmcnt(2)
	v_fma_f32 v4, v6, v166, -v5
	v_add_f32_e32 v2, v2, v8
	v_fmac_f32_e32 v185, v7, v166
	v_add_f32_e32 v3, v3, v184
	v_add_f32_e32 v2, v2, v4
	;; [unrolled: 1-line block ×3, first 2 shown]
	s_waitcnt vmcnt(1)
	v_sub_f32_e32 v2, v167, v2
	s_waitcnt vmcnt(0)
	v_sub_f32_e32 v3, v168, v3
	buffer_store_dword v2, off, s[0:3], 0 offset:240
	buffer_store_dword v3, off, s[0:3], 0 offset:244
	v_cmpx_lt_u32_e32 29, v0
	s_cbranch_execz .LBB47_243
; %bb.242:
	s_clause 0x1
	buffer_load_dword v2, off, s[0:3], 0 offset:232
	buffer_load_dword v3, off, s[0:3], 0 offset:236
	buffer_store_dword v1, off, s[0:3], 0 offset:232
	buffer_store_dword v1, off, s[0:3], 0 offset:236
	s_waitcnt vmcnt(0)
	ds_write_b64 v105, v[2:3]
.LBB47_243:
	s_or_b32 exec_lo, exec_lo, s4
	s_waitcnt lgkmcnt(0)
	s_waitcnt_vscnt null, 0x0
	s_barrier
	buffer_gl0_inv
	s_clause 0x25
	buffer_load_dword v6, off, s[0:3], 0 offset:244
	buffer_load_dword v7, off, s[0:3], 0 offset:252
	;; [unrolled: 1-line block ×38, first 2 shown]
	ds_read_b128 v[2:5], v1 offset:624
	ds_read_b128 v[106:109], v1 offset:640
	;; [unrolled: 1-line block ×9, first 2 shown]
	s_mov_b32 s4, exec_lo
	s_waitcnt vmcnt(37) lgkmcnt(8)
	v_mul_f32_e32 v1, v2, v6
	v_mul_f32_e32 v6, v3, v6
	s_waitcnt vmcnt(36)
	v_mul_f32_e32 v173, v4, v7
	v_mul_f32_e32 v7, v5, v7
	s_waitcnt vmcnt(35) lgkmcnt(7)
	v_mul_f32_e32 v174, v106, v8
	s_waitcnt vmcnt(34)
	v_mul_f32_e32 v175, v108, v138
	s_waitcnt vmcnt(33) lgkmcnt(6)
	v_mul_f32_e32 v176, v110, v139
	s_waitcnt vmcnt(32)
	;; [unrolled: 4-line block ×7, first 2 shown]
	v_mul_f32_e32 v187, v132, v150
	s_waitcnt vmcnt(19)
	v_fma_f32 v2, v2, v153, -v6
	v_fmac_f32_e32 v1, v3, v153
	v_mul_f32_e32 v3, v107, v8
	s_waitcnt vmcnt(18)
	v_fma_f32 v4, v4, v154, -v7
	v_fmac_f32_e32 v173, v5, v154
	v_add_f32_e32 v2, 0, v2
	v_add_f32_e32 v1, 0, v1
	v_mul_f32_e32 v5, v109, v138
	s_waitcnt vmcnt(17)
	v_fma_f32 v3, v106, v155, -v3
	v_fmac_f32_e32 v174, v107, v155
	v_add_f32_e32 v2, v2, v4
	v_add_f32_e32 v1, v1, v173
	v_mul_f32_e32 v4, v111, v139
	s_waitcnt vmcnt(16)
	v_fma_f32 v5, v108, v156, -v5
	v_fmac_f32_e32 v175, v109, v156
	v_add_f32_e32 v2, v2, v3
	v_add_f32_e32 v1, v1, v174
	v_mul_f32_e32 v3, v113, v140
	s_waitcnt vmcnt(15)
	v_fma_f32 v4, v110, v157, -v4
	v_fmac_f32_e32 v176, v111, v157
	v_add_f32_e32 v2, v2, v5
	v_add_f32_e32 v1, v1, v175
	v_mul_f32_e32 v5, v115, v141
	s_waitcnt vmcnt(14)
	v_fma_f32 v3, v112, v158, -v3
	v_fmac_f32_e32 v177, v113, v158
	v_add_f32_e32 v2, v2, v4
	v_add_f32_e32 v1, v1, v176
	v_mul_f32_e32 v4, v117, v142
	s_waitcnt vmcnt(13)
	v_fma_f32 v5, v114, v159, -v5
	v_fmac_f32_e32 v178, v115, v159
	v_add_f32_e32 v2, v2, v3
	v_add_f32_e32 v1, v1, v177
	v_mul_f32_e32 v3, v119, v143
	s_waitcnt vmcnt(12)
	v_fma_f32 v4, v116, v160, -v4
	v_fmac_f32_e32 v179, v117, v160
	v_add_f32_e32 v2, v2, v5
	v_add_f32_e32 v1, v1, v178
	v_mul_f32_e32 v5, v121, v144
	s_waitcnt vmcnt(11)
	v_fma_f32 v3, v118, v161, -v3
	v_fmac_f32_e32 v180, v119, v161
	v_add_f32_e32 v2, v2, v4
	v_add_f32_e32 v1, v1, v179
	v_mul_f32_e32 v4, v123, v145
	s_waitcnt vmcnt(10)
	v_fma_f32 v5, v120, v162, -v5
	v_fmac_f32_e32 v181, v121, v162
	v_add_f32_e32 v2, v2, v3
	v_add_f32_e32 v1, v1, v180
	v_mul_f32_e32 v3, v125, v146
	s_waitcnt vmcnt(9)
	v_fma_f32 v4, v122, v163, -v4
	v_fmac_f32_e32 v182, v123, v163
	v_add_f32_e32 v2, v2, v5
	v_add_f32_e32 v1, v1, v181
	v_mul_f32_e32 v5, v127, v147
	s_waitcnt vmcnt(8)
	v_fma_f32 v3, v124, v164, -v3
	v_fmac_f32_e32 v183, v125, v164
	v_add_f32_e32 v2, v2, v4
	v_add_f32_e32 v1, v1, v182
	v_mul_f32_e32 v4, v129, v148
	s_waitcnt vmcnt(7)
	v_fma_f32 v5, v126, v165, -v5
	v_fmac_f32_e32 v184, v127, v165
	v_add_f32_e32 v2, v2, v3
	v_add_f32_e32 v1, v1, v183
	v_mul_f32_e32 v3, v131, v149
	s_waitcnt vmcnt(6)
	v_fma_f32 v4, v128, v166, -v4
	v_fmac_f32_e32 v185, v129, v166
	v_add_f32_e32 v2, v2, v5
	v_add_f32_e32 v1, v1, v184
	v_mul_f32_e32 v5, v133, v150
	s_waitcnt vmcnt(5)
	v_fma_f32 v3, v130, v167, -v3
	v_fmac_f32_e32 v186, v131, v167
	v_add_f32_e32 v2, v2, v4
	v_add_f32_e32 v1, v1, v185
	s_waitcnt lgkmcnt(0)
	v_mul_f32_e32 v4, v135, v151
	s_waitcnt vmcnt(4)
	v_fma_f32 v5, v132, v168, -v5
	v_mul_f32_e32 v188, v134, v151
	v_add_f32_e32 v2, v2, v3
	v_fmac_f32_e32 v187, v133, v168
	v_add_f32_e32 v1, v1, v186
	v_mul_f32_e32 v3, v137, v152
	s_waitcnt vmcnt(3)
	v_fma_f32 v4, v134, v169, -v4
	v_add_f32_e32 v2, v2, v5
	v_mul_f32_e32 v189, v136, v152
	v_fmac_f32_e32 v188, v135, v169
	v_add_f32_e32 v1, v1, v187
	s_waitcnt vmcnt(2)
	v_fma_f32 v3, v136, v170, -v3
	v_add_f32_e32 v2, v2, v4
	v_fmac_f32_e32 v189, v137, v170
	v_add_f32_e32 v1, v1, v188
	v_add_f32_e32 v2, v2, v3
	;; [unrolled: 1-line block ×3, first 2 shown]
	s_waitcnt vmcnt(1)
	v_sub_f32_e32 v2, v171, v2
	s_waitcnt vmcnt(0)
	v_sub_f32_e32 v1, v172, v1
	buffer_store_dword v2, off, s[0:3], 0 offset:232
	buffer_store_dword v1, off, s[0:3], 0 offset:236
	v_cmpx_lt_u32_e32 28, v0
	s_cbranch_execz .LBB47_245
; %bb.244:
	s_clause 0x1
	buffer_load_dword v1, off, s[0:3], 0 offset:224
	buffer_load_dword v2, off, s[0:3], 0 offset:228
	v_mov_b32_e32 v3, 0
	buffer_store_dword v3, off, s[0:3], 0 offset:224
	buffer_store_dword v3, off, s[0:3], 0 offset:228
	s_waitcnt vmcnt(0)
	ds_write_b64 v105, v[1:2]
.LBB47_245:
	s_or_b32 exec_lo, exec_lo, s4
	s_waitcnt lgkmcnt(0)
	s_waitcnt_vscnt null, 0x0
	s_barrier
	buffer_gl0_inv
	s_clause 0x27
	buffer_load_dword v8, off, s[0:3], 0 offset:236
	buffer_load_dword v138, off, s[0:3], 0 offset:244
	;; [unrolled: 1-line block ×40, first 2 shown]
	v_mov_b32_e32 v1, 0
	ds_read2_b64 v[2:5], v1 offset0:77 offset1:78
	ds_read2_b64 v[106:109], v1 offset0:79 offset1:80
	;; [unrolled: 1-line block ×9, first 2 shown]
	ds_read_b64 v[6:7], v1 offset:760
	s_mov_b32 s4, exec_lo
	s_waitcnt vmcnt(39) lgkmcnt(9)
	v_mul_f32_e32 v177, v2, v8
	v_mul_f32_e32 v8, v3, v8
	s_waitcnt vmcnt(38)
	v_mul_f32_e32 v178, v4, v138
	v_mul_f32_e32 v138, v5, v138
	s_waitcnt vmcnt(37) lgkmcnt(8)
	v_mul_f32_e32 v179, v106, v139
	s_waitcnt vmcnt(36)
	v_mul_f32_e32 v180, v108, v140
	s_waitcnt vmcnt(35) lgkmcnt(7)
	v_mul_f32_e32 v181, v110, v141
	s_waitcnt vmcnt(34)
	;; [unrolled: 4-line block ×8, first 2 shown]
	v_fma_f32 v2, v2, v156, -v8
	v_fmac_f32_e32 v177, v3, v156
	v_mul_f32_e32 v3, v107, v139
	s_waitcnt vmcnt(19)
	v_fma_f32 v4, v4, v157, -v138
	v_fmac_f32_e32 v178, v5, v157
	v_add_f32_e32 v2, 0, v2
	v_add_f32_e32 v5, 0, v177
	v_mul_f32_e32 v8, v109, v140
	s_waitcnt vmcnt(18)
	v_fma_f32 v3, v106, v158, -v3
	v_fmac_f32_e32 v179, v107, v158
	v_add_f32_e32 v2, v2, v4
	v_add_f32_e32 v4, v5, v178
	;; [unrolled: 6-line block ×15, first 2 shown]
	v_mul_f32_e32 v4, v137, v154
	s_waitcnt vmcnt(4)
	v_fma_f32 v5, v134, v172, -v5
	v_mul_f32_e32 v194, v136, v154
	v_add_f32_e32 v2, v2, v8
	v_fmac_f32_e32 v193, v135, v172
	v_add_f32_e32 v3, v3, v192
	s_waitcnt lgkmcnt(0)
	v_mul_f32_e32 v8, v7, v155
	s_waitcnt vmcnt(3)
	v_fma_f32 v4, v136, v173, -v4
	v_add_f32_e32 v2, v2, v5
	v_mul_f32_e32 v195, v6, v155
	v_fmac_f32_e32 v194, v137, v173
	v_add_f32_e32 v3, v3, v193
	s_waitcnt vmcnt(2)
	v_fma_f32 v5, v6, v174, -v8
	v_add_f32_e32 v2, v2, v4
	v_fmac_f32_e32 v195, v7, v174
	v_add_f32_e32 v3, v3, v194
	v_add_f32_e32 v2, v2, v5
	;; [unrolled: 1-line block ×3, first 2 shown]
	s_waitcnt vmcnt(1)
	v_sub_f32_e32 v2, v175, v2
	s_waitcnt vmcnt(0)
	v_sub_f32_e32 v3, v176, v3
	buffer_store_dword v2, off, s[0:3], 0 offset:224
	buffer_store_dword v3, off, s[0:3], 0 offset:228
	v_cmpx_lt_u32_e32 27, v0
	s_cbranch_execz .LBB47_247
; %bb.246:
	s_clause 0x1
	buffer_load_dword v2, off, s[0:3], 0 offset:216
	buffer_load_dword v3, off, s[0:3], 0 offset:220
	buffer_store_dword v1, off, s[0:3], 0 offset:216
	buffer_store_dword v1, off, s[0:3], 0 offset:220
	s_waitcnt vmcnt(0)
	ds_write_b64 v105, v[2:3]
.LBB47_247:
	s_or_b32 exec_lo, exec_lo, s4
	s_waitcnt lgkmcnt(0)
	s_waitcnt_vscnt null, 0x0
	s_barrier
	buffer_gl0_inv
	s_clause 0x29
	buffer_load_dword v6, off, s[0:3], 0 offset:228
	buffer_load_dword v7, off, s[0:3], 0 offset:236
	;; [unrolled: 1-line block ×42, first 2 shown]
	ds_read_b128 v[2:5], v1 offset:608
	ds_read_b128 v[106:109], v1 offset:624
	;; [unrolled: 1-line block ×10, first 2 shown]
	s_mov_b32 s4, exec_lo
	s_waitcnt vmcnt(41) lgkmcnt(9)
	v_mul_f32_e32 v1, v2, v6
	v_mul_f32_e32 v6, v3, v6
	s_waitcnt vmcnt(40)
	v_mul_f32_e32 v181, v4, v7
	v_mul_f32_e32 v7, v5, v7
	s_waitcnt vmcnt(39) lgkmcnt(8)
	v_mul_f32_e32 v182, v106, v8
	s_waitcnt vmcnt(38)
	v_mul_f32_e32 v183, v108, v142
	s_waitcnt vmcnt(37) lgkmcnt(7)
	v_mul_f32_e32 v184, v110, v143
	s_waitcnt vmcnt(36)
	;; [unrolled: 4-line block ×8, first 2 shown]
	v_mul_f32_e32 v197, v136, v156
	s_waitcnt vmcnt(21)
	v_fma_f32 v2, v2, v159, -v6
	v_fmac_f32_e32 v1, v3, v159
	v_mul_f32_e32 v3, v107, v8
	s_waitcnt vmcnt(20)
	v_fma_f32 v4, v4, v160, -v7
	v_fmac_f32_e32 v181, v5, v160
	v_add_f32_e32 v2, 0, v2
	v_add_f32_e32 v1, 0, v1
	v_mul_f32_e32 v5, v109, v142
	s_waitcnt vmcnt(19)
	v_fma_f32 v3, v106, v161, -v3
	v_fmac_f32_e32 v182, v107, v161
	v_add_f32_e32 v2, v2, v4
	v_add_f32_e32 v1, v1, v181
	;; [unrolled: 6-line block ×16, first 2 shown]
	s_waitcnt lgkmcnt(0)
	v_mul_f32_e32 v5, v139, v157
	s_waitcnt vmcnt(4)
	v_fma_f32 v3, v136, v176, -v3
	v_mul_f32_e32 v198, v138, v157
	v_add_f32_e32 v2, v2, v4
	v_fmac_f32_e32 v197, v137, v176
	v_add_f32_e32 v1, v1, v196
	v_mul_f32_e32 v4, v141, v158
	s_waitcnt vmcnt(3)
	v_fma_f32 v5, v138, v177, -v5
	v_add_f32_e32 v2, v2, v3
	v_mul_f32_e32 v199, v140, v158
	v_fmac_f32_e32 v198, v139, v177
	v_add_f32_e32 v1, v1, v197
	s_waitcnt vmcnt(2)
	v_fma_f32 v3, v140, v178, -v4
	v_add_f32_e32 v2, v2, v5
	v_fmac_f32_e32 v199, v141, v178
	v_add_f32_e32 v1, v1, v198
	v_add_f32_e32 v2, v2, v3
	;; [unrolled: 1-line block ×3, first 2 shown]
	s_waitcnt vmcnt(1)
	v_sub_f32_e32 v2, v179, v2
	s_waitcnt vmcnt(0)
	v_sub_f32_e32 v1, v180, v1
	buffer_store_dword v2, off, s[0:3], 0 offset:216
	buffer_store_dword v1, off, s[0:3], 0 offset:220
	v_cmpx_lt_u32_e32 26, v0
	s_cbranch_execz .LBB47_249
; %bb.248:
	s_clause 0x1
	buffer_load_dword v1, off, s[0:3], 0 offset:208
	buffer_load_dword v2, off, s[0:3], 0 offset:212
	v_mov_b32_e32 v3, 0
	buffer_store_dword v3, off, s[0:3], 0 offset:208
	buffer_store_dword v3, off, s[0:3], 0 offset:212
	s_waitcnt vmcnt(0)
	ds_write_b64 v105, v[1:2]
.LBB47_249:
	s_or_b32 exec_lo, exec_lo, s4
	s_waitcnt lgkmcnt(0)
	s_waitcnt_vscnt null, 0x0
	s_barrier
	buffer_gl0_inv
	s_clause 0x2b
	buffer_load_dword v8, off, s[0:3], 0 offset:220
	buffer_load_dword v142, off, s[0:3], 0 offset:228
	;; [unrolled: 1-line block ×44, first 2 shown]
	v_mov_b32_e32 v1, 0
	ds_read2_b64 v[2:5], v1 offset0:75 offset1:76
	ds_read2_b64 v[106:109], v1 offset0:77 offset1:78
	ds_read2_b64 v[110:113], v1 offset0:79 offset1:80
	ds_read2_b64 v[114:117], v1 offset0:81 offset1:82
	ds_read2_b64 v[118:121], v1 offset0:83 offset1:84
	ds_read2_b64 v[122:125], v1 offset0:85 offset1:86
	ds_read2_b64 v[126:129], v1 offset0:87 offset1:88
	ds_read2_b64 v[130:133], v1 offset0:89 offset1:90
	ds_read2_b64 v[134:137], v1 offset0:91 offset1:92
	ds_read2_b64 v[138:141], v1 offset0:93 offset1:94
	ds_read_b64 v[6:7], v1 offset:760
	s_mov_b32 s4, exec_lo
	s_waitcnt vmcnt(43) lgkmcnt(10)
	v_mul_f32_e32 v185, v2, v8
	v_mul_f32_e32 v8, v3, v8
	s_waitcnt vmcnt(42)
	v_mul_f32_e32 v186, v4, v142
	v_mul_f32_e32 v142, v5, v142
	s_waitcnt vmcnt(41) lgkmcnt(9)
	v_mul_f32_e32 v187, v106, v143
	s_waitcnt vmcnt(40)
	v_mul_f32_e32 v188, v108, v144
	s_waitcnt vmcnt(39) lgkmcnt(8)
	v_mul_f32_e32 v189, v110, v145
	s_waitcnt vmcnt(38)
	;; [unrolled: 4-line block ×9, first 2 shown]
	v_fma_f32 v2, v2, v162, -v8
	v_fmac_f32_e32 v185, v3, v162
	v_mul_f32_e32 v3, v107, v143
	s_waitcnt vmcnt(21)
	v_fma_f32 v4, v4, v163, -v142
	v_fmac_f32_e32 v186, v5, v163
	v_add_f32_e32 v2, 0, v2
	v_add_f32_e32 v5, 0, v185
	v_mul_f32_e32 v8, v109, v144
	s_waitcnt vmcnt(20)
	v_fma_f32 v3, v106, v164, -v3
	v_fmac_f32_e32 v187, v107, v164
	v_add_f32_e32 v2, v2, v4
	v_add_f32_e32 v4, v5, v186
	;; [unrolled: 6-line block ×17, first 2 shown]
	v_mul_f32_e32 v5, v141, v160
	s_waitcnt vmcnt(4)
	v_fma_f32 v8, v138, v180, -v8
	v_mul_f32_e32 v204, v140, v160
	v_add_f32_e32 v2, v2, v4
	v_fmac_f32_e32 v203, v139, v180
	v_add_f32_e32 v3, v3, v202
	s_waitcnt lgkmcnt(0)
	v_mul_f32_e32 v4, v7, v161
	s_waitcnt vmcnt(3)
	v_fma_f32 v5, v140, v181, -v5
	v_add_f32_e32 v2, v2, v8
	v_mul_f32_e32 v205, v6, v161
	v_fmac_f32_e32 v204, v141, v181
	v_add_f32_e32 v3, v3, v203
	s_waitcnt vmcnt(2)
	v_fma_f32 v4, v6, v182, -v4
	v_add_f32_e32 v2, v2, v5
	v_fmac_f32_e32 v205, v7, v182
	v_add_f32_e32 v3, v3, v204
	v_add_f32_e32 v2, v2, v4
	;; [unrolled: 1-line block ×3, first 2 shown]
	s_waitcnt vmcnt(1)
	v_sub_f32_e32 v2, v183, v2
	s_waitcnt vmcnt(0)
	v_sub_f32_e32 v3, v184, v3
	buffer_store_dword v2, off, s[0:3], 0 offset:208
	buffer_store_dword v3, off, s[0:3], 0 offset:212
	v_cmpx_lt_u32_e32 25, v0
	s_cbranch_execz .LBB47_251
; %bb.250:
	s_clause 0x1
	buffer_load_dword v2, off, s[0:3], 0 offset:200
	buffer_load_dword v3, off, s[0:3], 0 offset:204
	buffer_store_dword v1, off, s[0:3], 0 offset:200
	buffer_store_dword v1, off, s[0:3], 0 offset:204
	s_waitcnt vmcnt(0)
	ds_write_b64 v105, v[2:3]
.LBB47_251:
	s_or_b32 exec_lo, exec_lo, s4
	s_waitcnt lgkmcnt(0)
	s_waitcnt_vscnt null, 0x0
	s_barrier
	buffer_gl0_inv
	s_clause 0x2d
	buffer_load_dword v6, off, s[0:3], 0 offset:212
	buffer_load_dword v7, off, s[0:3], 0 offset:220
	;; [unrolled: 1-line block ×46, first 2 shown]
	ds_read_b128 v[2:5], v1 offset:592
	ds_read_b128 v[106:109], v1 offset:608
	;; [unrolled: 1-line block ×11, first 2 shown]
	s_mov_b32 s4, exec_lo
	s_waitcnt vmcnt(45) lgkmcnt(10)
	v_mul_f32_e32 v1, v2, v6
	v_mul_f32_e32 v6, v3, v6
	s_waitcnt vmcnt(44)
	v_mul_f32_e32 v189, v4, v7
	v_mul_f32_e32 v7, v5, v7
	s_waitcnt vmcnt(43) lgkmcnt(9)
	v_mul_f32_e32 v190, v106, v8
	s_waitcnt vmcnt(42)
	v_mul_f32_e32 v191, v108, v146
	s_waitcnt vmcnt(41) lgkmcnt(8)
	v_mul_f32_e32 v192, v110, v147
	s_waitcnt vmcnt(40)
	;; [unrolled: 4-line block ×9, first 2 shown]
	v_mul_f32_e32 v207, v140, v162
	s_waitcnt vmcnt(23)
	v_fma_f32 v2, v2, v165, -v6
	v_fmac_f32_e32 v1, v3, v165
	v_mul_f32_e32 v3, v107, v8
	s_waitcnt vmcnt(22)
	v_fma_f32 v4, v4, v166, -v7
	v_fmac_f32_e32 v189, v5, v166
	v_add_f32_e32 v2, 0, v2
	v_add_f32_e32 v1, 0, v1
	v_mul_f32_e32 v5, v109, v146
	s_waitcnt vmcnt(21)
	v_fma_f32 v3, v106, v167, -v3
	v_fmac_f32_e32 v190, v107, v167
	v_add_f32_e32 v2, v2, v4
	v_add_f32_e32 v1, v1, v189
	v_mul_f32_e32 v4, v111, v147
	s_waitcnt vmcnt(20)
	v_fma_f32 v5, v108, v168, -v5
	v_fmac_f32_e32 v191, v109, v168
	v_add_f32_e32 v2, v2, v3
	v_add_f32_e32 v1, v1, v190
	v_mul_f32_e32 v3, v113, v148
	s_waitcnt vmcnt(19)
	v_fma_f32 v4, v110, v169, -v4
	v_fmac_f32_e32 v192, v111, v169
	v_add_f32_e32 v2, v2, v5
	v_add_f32_e32 v1, v1, v191
	v_mul_f32_e32 v5, v115, v149
	s_waitcnt vmcnt(18)
	v_fma_f32 v3, v112, v170, -v3
	v_fmac_f32_e32 v193, v113, v170
	v_add_f32_e32 v2, v2, v4
	v_add_f32_e32 v1, v1, v192
	v_mul_f32_e32 v4, v117, v150
	s_waitcnt vmcnt(17)
	v_fma_f32 v5, v114, v171, -v5
	v_fmac_f32_e32 v194, v115, v171
	v_add_f32_e32 v2, v2, v3
	v_add_f32_e32 v1, v1, v193
	v_mul_f32_e32 v3, v119, v151
	s_waitcnt vmcnt(16)
	v_fma_f32 v4, v116, v172, -v4
	v_fmac_f32_e32 v195, v117, v172
	v_add_f32_e32 v2, v2, v5
	v_add_f32_e32 v1, v1, v194
	v_mul_f32_e32 v5, v121, v152
	s_waitcnt vmcnt(15)
	v_fma_f32 v3, v118, v173, -v3
	v_fmac_f32_e32 v196, v119, v173
	v_add_f32_e32 v2, v2, v4
	v_add_f32_e32 v1, v1, v195
	v_mul_f32_e32 v4, v123, v153
	s_waitcnt vmcnt(14)
	v_fma_f32 v5, v120, v174, -v5
	v_fmac_f32_e32 v197, v121, v174
	v_add_f32_e32 v2, v2, v3
	v_add_f32_e32 v1, v1, v196
	v_mul_f32_e32 v3, v125, v154
	s_waitcnt vmcnt(13)
	v_fma_f32 v4, v122, v175, -v4
	v_fmac_f32_e32 v198, v123, v175
	v_add_f32_e32 v2, v2, v5
	v_add_f32_e32 v1, v1, v197
	v_mul_f32_e32 v5, v127, v155
	s_waitcnt vmcnt(12)
	v_fma_f32 v3, v124, v176, -v3
	v_fmac_f32_e32 v199, v125, v176
	v_add_f32_e32 v2, v2, v4
	v_add_f32_e32 v1, v1, v198
	v_mul_f32_e32 v4, v129, v156
	s_waitcnt vmcnt(11)
	v_fma_f32 v5, v126, v177, -v5
	v_fmac_f32_e32 v200, v127, v177
	v_add_f32_e32 v2, v2, v3
	v_add_f32_e32 v1, v1, v199
	v_mul_f32_e32 v3, v131, v157
	s_waitcnt vmcnt(10)
	v_fma_f32 v4, v128, v178, -v4
	v_fmac_f32_e32 v201, v129, v178
	v_add_f32_e32 v2, v2, v5
	v_add_f32_e32 v1, v1, v200
	v_mul_f32_e32 v5, v133, v158
	s_waitcnt vmcnt(9)
	v_fma_f32 v3, v130, v179, -v3
	v_fmac_f32_e32 v202, v131, v179
	v_add_f32_e32 v2, v2, v4
	v_add_f32_e32 v1, v1, v201
	v_mul_f32_e32 v4, v135, v159
	s_waitcnt vmcnt(8)
	v_fma_f32 v5, v132, v180, -v5
	v_fmac_f32_e32 v203, v133, v180
	v_add_f32_e32 v2, v2, v3
	v_add_f32_e32 v1, v1, v202
	v_mul_f32_e32 v3, v137, v160
	s_waitcnt vmcnt(7)
	v_fma_f32 v4, v134, v181, -v4
	v_fmac_f32_e32 v204, v135, v181
	v_add_f32_e32 v2, v2, v5
	v_add_f32_e32 v1, v1, v203
	v_mul_f32_e32 v5, v139, v161
	s_waitcnt vmcnt(6)
	v_fma_f32 v3, v136, v182, -v3
	v_fmac_f32_e32 v205, v137, v182
	v_add_f32_e32 v2, v2, v4
	v_add_f32_e32 v1, v1, v204
	v_mul_f32_e32 v4, v141, v162
	s_waitcnt vmcnt(5)
	v_fma_f32 v5, v138, v183, -v5
	v_fmac_f32_e32 v206, v139, v183
	v_add_f32_e32 v2, v2, v3
	v_add_f32_e32 v1, v1, v205
	s_waitcnt lgkmcnt(0)
	v_mul_f32_e32 v3, v143, v163
	s_waitcnt vmcnt(4)
	v_fma_f32 v4, v140, v184, -v4
	v_mul_f32_e32 v208, v142, v163
	v_add_f32_e32 v2, v2, v5
	v_fmac_f32_e32 v207, v141, v184
	v_add_f32_e32 v1, v1, v206
	v_mul_f32_e32 v5, v145, v164
	s_waitcnt vmcnt(3)
	v_fma_f32 v3, v142, v185, -v3
	v_add_f32_e32 v2, v2, v4
	v_mul_f32_e32 v209, v144, v164
	v_fmac_f32_e32 v208, v143, v185
	v_add_f32_e32 v1, v1, v207
	s_waitcnt vmcnt(2)
	v_fma_f32 v4, v144, v186, -v5
	v_add_f32_e32 v2, v2, v3
	v_fmac_f32_e32 v209, v145, v186
	v_add_f32_e32 v1, v1, v208
	v_add_f32_e32 v2, v2, v4
	;; [unrolled: 1-line block ×3, first 2 shown]
	s_waitcnt vmcnt(1)
	v_sub_f32_e32 v2, v187, v2
	s_waitcnt vmcnt(0)
	v_sub_f32_e32 v1, v188, v1
	buffer_store_dword v2, off, s[0:3], 0 offset:200
	buffer_store_dword v1, off, s[0:3], 0 offset:204
	v_cmpx_lt_u32_e32 24, v0
	s_cbranch_execz .LBB47_253
; %bb.252:
	s_clause 0x1
	buffer_load_dword v1, off, s[0:3], 0 offset:192
	buffer_load_dword v2, off, s[0:3], 0 offset:196
	v_mov_b32_e32 v3, 0
	buffer_store_dword v3, off, s[0:3], 0 offset:192
	buffer_store_dword v3, off, s[0:3], 0 offset:196
	s_waitcnt vmcnt(0)
	ds_write_b64 v105, v[1:2]
.LBB47_253:
	s_or_b32 exec_lo, exec_lo, s4
	s_waitcnt lgkmcnt(0)
	s_waitcnt_vscnt null, 0x0
	s_barrier
	buffer_gl0_inv
	s_clause 0x2f
	buffer_load_dword v8, off, s[0:3], 0 offset:204
	buffer_load_dword v146, off, s[0:3], 0 offset:212
	;; [unrolled: 1-line block ×48, first 2 shown]
	v_mov_b32_e32 v1, 0
	ds_read2_b64 v[2:5], v1 offset0:73 offset1:74
	ds_read2_b64 v[106:109], v1 offset0:75 offset1:76
	;; [unrolled: 1-line block ×11, first 2 shown]
	ds_read_b64 v[6:7], v1 offset:760
	s_mov_b32 s4, exec_lo
	s_waitcnt vmcnt(47) lgkmcnt(11)
	v_mul_f32_e32 v193, v2, v8
	v_mul_f32_e32 v8, v3, v8
	s_waitcnt vmcnt(46)
	v_mul_f32_e32 v194, v4, v146
	v_mul_f32_e32 v146, v5, v146
	s_waitcnt vmcnt(45) lgkmcnt(10)
	v_mul_f32_e32 v195, v106, v147
	s_waitcnt vmcnt(44)
	v_mul_f32_e32 v196, v108, v148
	s_waitcnt vmcnt(43) lgkmcnt(9)
	v_mul_f32_e32 v197, v110, v149
	s_waitcnt vmcnt(42)
	v_mul_f32_e32 v198, v112, v150
	s_waitcnt vmcnt(41) lgkmcnt(8)
	v_mul_f32_e32 v199, v114, v151
	s_waitcnt vmcnt(40)
	v_mul_f32_e32 v200, v116, v152
	s_waitcnt vmcnt(39) lgkmcnt(7)
	v_mul_f32_e32 v201, v118, v153
	s_waitcnt vmcnt(38)
	v_mul_f32_e32 v202, v120, v154
	s_waitcnt vmcnt(37) lgkmcnt(6)
	v_mul_f32_e32 v203, v122, v155
	s_waitcnt vmcnt(36)
	v_mul_f32_e32 v204, v124, v156
	s_waitcnt vmcnt(35) lgkmcnt(5)
	v_mul_f32_e32 v205, v126, v157
	s_waitcnt vmcnt(34)
	v_mul_f32_e32 v206, v128, v158
	s_waitcnt vmcnt(33) lgkmcnt(4)
	v_mul_f32_e32 v207, v130, v159
	s_waitcnt vmcnt(32)
	v_mul_f32_e32 v208, v132, v160
	s_waitcnt vmcnt(31) lgkmcnt(3)
	v_mul_f32_e32 v209, v134, v161
	s_waitcnt vmcnt(30)
	v_mul_f32_e32 v210, v136, v162
	s_waitcnt vmcnt(29) lgkmcnt(2)
	v_mul_f32_e32 v211, v138, v163
	s_waitcnt vmcnt(28)
	v_mul_f32_e32 v212, v140, v164
	s_waitcnt vmcnt(27) lgkmcnt(1)
	v_mul_f32_e32 v213, v142, v165
	s_waitcnt vmcnt(24)
	v_fma_f32 v2, v2, v168, -v8
	v_fmac_f32_e32 v193, v3, v168
	v_mul_f32_e32 v3, v107, v147
	s_waitcnt vmcnt(23)
	v_fma_f32 v4, v4, v169, -v146
	v_fmac_f32_e32 v194, v5, v169
	v_add_f32_e32 v2, 0, v2
	v_add_f32_e32 v5, 0, v193
	v_mul_f32_e32 v8, v109, v148
	s_waitcnt vmcnt(22)
	v_fma_f32 v3, v106, v170, -v3
	v_fmac_f32_e32 v195, v107, v170
	v_add_f32_e32 v2, v2, v4
	v_add_f32_e32 v4, v5, v194
	;; [unrolled: 6-line block ×19, first 2 shown]
	v_mul_f32_e32 v8, v145, v166
	s_waitcnt vmcnt(4)
	v_fma_f32 v4, v142, v188, -v4
	v_mul_f32_e32 v214, v144, v166
	v_add_f32_e32 v2, v2, v5
	v_fmac_f32_e32 v213, v143, v188
	v_add_f32_e32 v3, v3, v212
	s_waitcnt lgkmcnt(0)
	v_mul_f32_e32 v5, v7, v167
	s_waitcnt vmcnt(3)
	v_fma_f32 v8, v144, v189, -v8
	v_add_f32_e32 v2, v2, v4
	v_mul_f32_e32 v215, v6, v167
	v_fmac_f32_e32 v214, v145, v189
	v_add_f32_e32 v3, v3, v213
	s_waitcnt vmcnt(2)
	v_fma_f32 v4, v6, v190, -v5
	v_add_f32_e32 v2, v2, v8
	v_fmac_f32_e32 v215, v7, v190
	v_add_f32_e32 v3, v3, v214
	v_add_f32_e32 v2, v2, v4
	v_add_f32_e32 v3, v3, v215
	s_waitcnt vmcnt(1)
	v_sub_f32_e32 v2, v191, v2
	s_waitcnt vmcnt(0)
	v_sub_f32_e32 v3, v192, v3
	buffer_store_dword v2, off, s[0:3], 0 offset:192
	buffer_store_dword v3, off, s[0:3], 0 offset:196
	v_cmpx_lt_u32_e32 23, v0
	s_cbranch_execz .LBB47_255
; %bb.254:
	s_clause 0x1
	buffer_load_dword v2, off, s[0:3], 0 offset:184
	buffer_load_dword v3, off, s[0:3], 0 offset:188
	buffer_store_dword v1, off, s[0:3], 0 offset:184
	buffer_store_dword v1, off, s[0:3], 0 offset:188
	s_waitcnt vmcnt(0)
	ds_write_b64 v105, v[2:3]
.LBB47_255:
	s_or_b32 exec_lo, exec_lo, s4
	s_waitcnt lgkmcnt(0)
	s_waitcnt_vscnt null, 0x0
	s_barrier
	buffer_gl0_inv
	s_clause 0x31
	buffer_load_dword v6, off, s[0:3], 0 offset:196
	buffer_load_dword v7, off, s[0:3], 0 offset:204
	;; [unrolled: 1-line block ×50, first 2 shown]
	ds_read_b128 v[2:5], v1 offset:576
	ds_read_b128 v[106:109], v1 offset:592
	;; [unrolled: 1-line block ×12, first 2 shown]
	s_mov_b32 s4, exec_lo
	s_waitcnt vmcnt(49) lgkmcnt(11)
	v_mul_f32_e32 v1, v2, v6
	v_mul_f32_e32 v6, v3, v6
	s_waitcnt vmcnt(48)
	v_mul_f32_e32 v197, v4, v7
	v_mul_f32_e32 v7, v5, v7
	s_waitcnt vmcnt(47) lgkmcnt(10)
	v_mul_f32_e32 v198, v106, v8
	s_waitcnt vmcnt(46)
	v_mul_f32_e32 v199, v108, v150
	s_waitcnt vmcnt(45) lgkmcnt(9)
	v_mul_f32_e32 v200, v110, v151
	s_waitcnt vmcnt(44)
	;; [unrolled: 4-line block ×10, first 2 shown]
	v_mul_f32_e32 v217, v144, v168
	s_waitcnt vmcnt(25)
	v_fma_f32 v2, v2, v171, -v6
	v_fmac_f32_e32 v1, v3, v171
	v_mul_f32_e32 v3, v107, v8
	s_waitcnt vmcnt(24)
	v_fma_f32 v4, v4, v172, -v7
	v_fmac_f32_e32 v197, v5, v172
	v_add_f32_e32 v2, 0, v2
	v_add_f32_e32 v1, 0, v1
	v_mul_f32_e32 v5, v109, v150
	s_waitcnt vmcnt(23)
	v_fma_f32 v3, v106, v173, -v3
	v_fmac_f32_e32 v198, v107, v173
	v_add_f32_e32 v2, v2, v4
	v_add_f32_e32 v1, v1, v197
	;; [unrolled: 6-line block ×20, first 2 shown]
	s_waitcnt lgkmcnt(0)
	v_mul_f32_e32 v4, v147, v169
	s_waitcnt vmcnt(4)
	v_fma_f32 v5, v144, v192, -v5
	v_mul_f32_e32 v218, v146, v169
	v_add_f32_e32 v2, v2, v3
	v_fmac_f32_e32 v217, v145, v192
	v_add_f32_e32 v1, v1, v216
	v_mul_f32_e32 v3, v149, v170
	s_waitcnt vmcnt(3)
	v_fma_f32 v4, v146, v193, -v4
	v_add_f32_e32 v2, v2, v5
	v_mul_f32_e32 v219, v148, v170
	v_fmac_f32_e32 v218, v147, v193
	v_add_f32_e32 v1, v1, v217
	s_waitcnt vmcnt(2)
	v_fma_f32 v3, v148, v194, -v3
	v_add_f32_e32 v2, v2, v4
	v_fmac_f32_e32 v219, v149, v194
	v_add_f32_e32 v1, v1, v218
	v_add_f32_e32 v2, v2, v3
	v_add_f32_e32 v1, v1, v219
	s_waitcnt vmcnt(1)
	v_sub_f32_e32 v2, v195, v2
	s_waitcnt vmcnt(0)
	v_sub_f32_e32 v1, v196, v1
	buffer_store_dword v2, off, s[0:3], 0 offset:184
	buffer_store_dword v1, off, s[0:3], 0 offset:188
	v_cmpx_lt_u32_e32 22, v0
	s_cbranch_execz .LBB47_257
; %bb.256:
	s_clause 0x1
	buffer_load_dword v1, off, s[0:3], 0 offset:176
	buffer_load_dword v2, off, s[0:3], 0 offset:180
	v_mov_b32_e32 v3, 0
	buffer_store_dword v3, off, s[0:3], 0 offset:176
	buffer_store_dword v3, off, s[0:3], 0 offset:180
	s_waitcnt vmcnt(0)
	ds_write_b64 v105, v[1:2]
.LBB47_257:
	s_or_b32 exec_lo, exec_lo, s4
	s_waitcnt lgkmcnt(0)
	s_waitcnt_vscnt null, 0x0
	s_barrier
	buffer_gl0_inv
	s_clause 0x33
	buffer_load_dword v8, off, s[0:3], 0 offset:188
	buffer_load_dword v150, off, s[0:3], 0 offset:196
	;; [unrolled: 1-line block ×52, first 2 shown]
	v_mov_b32_e32 v1, 0
	ds_read2_b64 v[2:5], v1 offset0:71 offset1:72
	ds_read2_b64 v[106:109], v1 offset0:73 offset1:74
	;; [unrolled: 1-line block ×12, first 2 shown]
	ds_read_b64 v[6:7], v1 offset:760
	s_mov_b32 s4, exec_lo
	s_waitcnt vmcnt(51) lgkmcnt(12)
	v_mul_f32_e32 v201, v2, v8
	v_mul_f32_e32 v8, v3, v8
	s_waitcnt vmcnt(50)
	v_mul_f32_e32 v202, v4, v150
	v_mul_f32_e32 v150, v5, v150
	s_waitcnt vmcnt(49) lgkmcnt(11)
	v_mul_f32_e32 v203, v106, v151
	s_waitcnt vmcnt(48)
	v_mul_f32_e32 v204, v108, v152
	s_waitcnt vmcnt(47) lgkmcnt(10)
	v_mul_f32_e32 v205, v110, v153
	s_waitcnt vmcnt(46)
	;; [unrolled: 4-line block ×11, first 2 shown]
	v_fma_f32 v2, v2, v174, -v8
	v_fmac_f32_e32 v201, v3, v174
	v_mul_f32_e32 v3, v107, v151
	s_waitcnt vmcnt(25)
	v_fma_f32 v4, v4, v175, -v150
	v_fmac_f32_e32 v202, v5, v175
	v_add_f32_e32 v2, 0, v2
	v_add_f32_e32 v5, 0, v201
	v_mul_f32_e32 v8, v109, v152
	s_waitcnt vmcnt(24)
	v_fma_f32 v3, v106, v176, -v3
	v_fmac_f32_e32 v203, v107, v176
	v_add_f32_e32 v2, v2, v4
	v_add_f32_e32 v4, v5, v202
	;; [unrolled: 6-line block ×21, first 2 shown]
	v_mul_f32_e32 v4, v149, v172
	s_waitcnt vmcnt(4)
	v_fma_f32 v5, v146, v196, -v5
	v_mul_f32_e32 v224, v148, v172
	v_add_f32_e32 v2, v2, v8
	v_fmac_f32_e32 v223, v147, v196
	v_add_f32_e32 v3, v3, v222
	s_waitcnt lgkmcnt(0)
	v_mul_f32_e32 v8, v7, v173
	s_waitcnt vmcnt(3)
	v_fma_f32 v4, v148, v197, -v4
	v_add_f32_e32 v2, v2, v5
	v_mul_f32_e32 v225, v6, v173
	v_fmac_f32_e32 v224, v149, v197
	v_add_f32_e32 v3, v3, v223
	s_waitcnt vmcnt(2)
	v_fma_f32 v5, v6, v198, -v8
	v_add_f32_e32 v2, v2, v4
	v_fmac_f32_e32 v225, v7, v198
	v_add_f32_e32 v3, v3, v224
	v_add_f32_e32 v2, v2, v5
	;; [unrolled: 1-line block ×3, first 2 shown]
	s_waitcnt vmcnt(1)
	v_sub_f32_e32 v2, v199, v2
	s_waitcnt vmcnt(0)
	v_sub_f32_e32 v3, v200, v3
	buffer_store_dword v2, off, s[0:3], 0 offset:176
	buffer_store_dword v3, off, s[0:3], 0 offset:180
	v_cmpx_lt_u32_e32 21, v0
	s_cbranch_execz .LBB47_259
; %bb.258:
	s_clause 0x1
	buffer_load_dword v2, off, s[0:3], 0 offset:168
	buffer_load_dword v3, off, s[0:3], 0 offset:172
	buffer_store_dword v1, off, s[0:3], 0 offset:168
	buffer_store_dword v1, off, s[0:3], 0 offset:172
	s_waitcnt vmcnt(0)
	ds_write_b64 v105, v[2:3]
.LBB47_259:
	s_or_b32 exec_lo, exec_lo, s4
	s_waitcnt lgkmcnt(0)
	s_waitcnt_vscnt null, 0x0
	s_barrier
	buffer_gl0_inv
	s_clause 0x35
	buffer_load_dword v6, off, s[0:3], 0 offset:180
	buffer_load_dword v7, off, s[0:3], 0 offset:188
	;; [unrolled: 1-line block ×54, first 2 shown]
	ds_read_b128 v[2:5], v1 offset:560
	ds_read_b128 v[106:109], v1 offset:576
	;; [unrolled: 1-line block ×13, first 2 shown]
	s_mov_b32 s4, exec_lo
	s_waitcnt vmcnt(53) lgkmcnt(12)
	v_mul_f32_e32 v1, v2, v6
	v_mul_f32_e32 v6, v3, v6
	s_waitcnt vmcnt(52)
	v_mul_f32_e32 v205, v4, v7
	v_mul_f32_e32 v7, v5, v7
	s_waitcnt vmcnt(51) lgkmcnt(11)
	v_mul_f32_e32 v206, v106, v8
	s_waitcnt vmcnt(50)
	v_mul_f32_e32 v207, v108, v154
	s_waitcnt vmcnt(49) lgkmcnt(10)
	v_mul_f32_e32 v208, v110, v155
	s_waitcnt vmcnt(48)
	;; [unrolled: 4-line block ×11, first 2 shown]
	v_mul_f32_e32 v227, v148, v174
	s_waitcnt vmcnt(27)
	v_fma_f32 v2, v2, v177, -v6
	v_fmac_f32_e32 v1, v3, v177
	v_mul_f32_e32 v3, v107, v8
	s_waitcnt vmcnt(26)
	v_fma_f32 v4, v4, v178, -v7
	v_fmac_f32_e32 v205, v5, v178
	v_add_f32_e32 v2, 0, v2
	v_add_f32_e32 v1, 0, v1
	v_mul_f32_e32 v5, v109, v154
	s_waitcnt vmcnt(25)
	v_fma_f32 v3, v106, v179, -v3
	v_fmac_f32_e32 v206, v107, v179
	v_add_f32_e32 v2, v2, v4
	v_add_f32_e32 v1, v1, v205
	;; [unrolled: 6-line block ×22, first 2 shown]
	s_waitcnt lgkmcnt(0)
	v_mul_f32_e32 v5, v151, v175
	s_waitcnt vmcnt(4)
	v_fma_f32 v3, v148, v200, -v3
	v_mul_f32_e32 v228, v150, v175
	v_add_f32_e32 v2, v2, v4
	v_fmac_f32_e32 v227, v149, v200
	v_add_f32_e32 v1, v1, v226
	v_mul_f32_e32 v4, v153, v176
	s_waitcnt vmcnt(3)
	v_fma_f32 v5, v150, v201, -v5
	v_add_f32_e32 v2, v2, v3
	v_mul_f32_e32 v229, v152, v176
	v_fmac_f32_e32 v228, v151, v201
	v_add_f32_e32 v1, v1, v227
	s_waitcnt vmcnt(2)
	v_fma_f32 v3, v152, v202, -v4
	v_add_f32_e32 v2, v2, v5
	v_fmac_f32_e32 v229, v153, v202
	v_add_f32_e32 v1, v1, v228
	v_add_f32_e32 v2, v2, v3
	;; [unrolled: 1-line block ×3, first 2 shown]
	s_waitcnt vmcnt(1)
	v_sub_f32_e32 v2, v203, v2
	s_waitcnt vmcnt(0)
	v_sub_f32_e32 v1, v204, v1
	buffer_store_dword v2, off, s[0:3], 0 offset:168
	buffer_store_dword v1, off, s[0:3], 0 offset:172
	v_cmpx_lt_u32_e32 20, v0
	s_cbranch_execz .LBB47_261
; %bb.260:
	s_clause 0x1
	buffer_load_dword v1, off, s[0:3], 0 offset:160
	buffer_load_dword v2, off, s[0:3], 0 offset:164
	v_mov_b32_e32 v3, 0
	buffer_store_dword v3, off, s[0:3], 0 offset:160
	buffer_store_dword v3, off, s[0:3], 0 offset:164
	s_waitcnt vmcnt(0)
	ds_write_b64 v105, v[1:2]
.LBB47_261:
	s_or_b32 exec_lo, exec_lo, s4
	s_waitcnt lgkmcnt(0)
	s_waitcnt_vscnt null, 0x0
	s_barrier
	buffer_gl0_inv
	s_clause 0x37
	buffer_load_dword v8, off, s[0:3], 0 offset:172
	buffer_load_dword v154, off, s[0:3], 0 offset:180
	;; [unrolled: 1-line block ×56, first 2 shown]
	v_mov_b32_e32 v1, 0
	ds_read2_b64 v[2:5], v1 offset0:69 offset1:70
	ds_read2_b64 v[106:109], v1 offset0:71 offset1:72
	;; [unrolled: 1-line block ×13, first 2 shown]
	ds_read_b64 v[6:7], v1 offset:760
	s_mov_b32 s4, exec_lo
	s_waitcnt vmcnt(55) lgkmcnt(13)
	v_mul_f32_e32 v209, v2, v8
	v_mul_f32_e32 v8, v3, v8
	s_waitcnt vmcnt(54)
	v_mul_f32_e32 v210, v4, v154
	v_mul_f32_e32 v154, v5, v154
	s_waitcnt vmcnt(53) lgkmcnt(12)
	v_mul_f32_e32 v211, v106, v155
	s_waitcnt vmcnt(52)
	v_mul_f32_e32 v212, v108, v156
	s_waitcnt vmcnt(51) lgkmcnt(11)
	v_mul_f32_e32 v213, v110, v157
	s_waitcnt vmcnt(50)
	;; [unrolled: 4-line block ×12, first 2 shown]
	v_fma_f32 v2, v2, v180, -v8
	v_fmac_f32_e32 v209, v3, v180
	v_mul_f32_e32 v3, v107, v155
	s_waitcnt vmcnt(27)
	v_fma_f32 v4, v4, v181, -v154
	v_fmac_f32_e32 v210, v5, v181
	v_add_f32_e32 v2, 0, v2
	v_add_f32_e32 v5, 0, v209
	v_mul_f32_e32 v8, v109, v156
	s_waitcnt vmcnt(26)
	v_fma_f32 v3, v106, v182, -v3
	v_fmac_f32_e32 v211, v107, v182
	v_add_f32_e32 v2, v2, v4
	v_add_f32_e32 v4, v5, v210
	;; [unrolled: 6-line block ×23, first 2 shown]
	v_mul_f32_e32 v5, v153, v178
	s_waitcnt vmcnt(4)
	v_fma_f32 v8, v150, v204, -v8
	v_mul_f32_e32 v234, v152, v178
	v_add_f32_e32 v2, v2, v4
	v_fmac_f32_e32 v233, v151, v204
	v_add_f32_e32 v3, v3, v232
	s_waitcnt lgkmcnt(0)
	v_mul_f32_e32 v4, v7, v179
	s_waitcnt vmcnt(3)
	v_fma_f32 v5, v152, v205, -v5
	v_add_f32_e32 v2, v2, v8
	v_mul_f32_e32 v235, v6, v179
	v_fmac_f32_e32 v234, v153, v205
	v_add_f32_e32 v3, v3, v233
	s_waitcnt vmcnt(2)
	v_fma_f32 v4, v6, v206, -v4
	v_add_f32_e32 v2, v2, v5
	v_fmac_f32_e32 v235, v7, v206
	v_add_f32_e32 v3, v3, v234
	v_add_f32_e32 v2, v2, v4
	;; [unrolled: 1-line block ×3, first 2 shown]
	s_waitcnt vmcnt(1)
	v_sub_f32_e32 v2, v207, v2
	s_waitcnt vmcnt(0)
	v_sub_f32_e32 v3, v208, v3
	buffer_store_dword v2, off, s[0:3], 0 offset:160
	buffer_store_dword v3, off, s[0:3], 0 offset:164
	v_cmpx_lt_u32_e32 19, v0
	s_cbranch_execz .LBB47_263
; %bb.262:
	s_clause 0x1
	buffer_load_dword v2, off, s[0:3], 0 offset:152
	buffer_load_dword v3, off, s[0:3], 0 offset:156
	buffer_store_dword v1, off, s[0:3], 0 offset:152
	buffer_store_dword v1, off, s[0:3], 0 offset:156
	s_waitcnt vmcnt(0)
	ds_write_b64 v105, v[2:3]
.LBB47_263:
	s_or_b32 exec_lo, exec_lo, s4
	s_waitcnt lgkmcnt(0)
	s_waitcnt_vscnt null, 0x0
	s_barrier
	buffer_gl0_inv
	s_clause 0x39
	buffer_load_dword v6, off, s[0:3], 0 offset:164
	buffer_load_dword v7, off, s[0:3], 0 offset:172
	;; [unrolled: 1-line block ×58, first 2 shown]
	ds_read_b128 v[2:5], v1 offset:544
	ds_read_b128 v[106:109], v1 offset:560
	;; [unrolled: 1-line block ×14, first 2 shown]
	s_mov_b32 s4, exec_lo
	s_waitcnt vmcnt(57) lgkmcnt(13)
	v_mul_f32_e32 v1, v2, v6
	v_mul_f32_e32 v6, v3, v6
	s_waitcnt vmcnt(56)
	v_mul_f32_e32 v213, v4, v7
	v_mul_f32_e32 v7, v5, v7
	s_waitcnt vmcnt(55) lgkmcnt(12)
	v_mul_f32_e32 v214, v106, v8
	s_waitcnt vmcnt(54)
	v_mul_f32_e32 v215, v108, v158
	s_waitcnt vmcnt(53) lgkmcnt(11)
	v_mul_f32_e32 v216, v110, v159
	s_waitcnt vmcnt(52)
	;; [unrolled: 4-line block ×12, first 2 shown]
	v_mul_f32_e32 v237, v152, v180
	s_waitcnt vmcnt(29)
	v_fma_f32 v2, v2, v183, -v6
	v_fmac_f32_e32 v1, v3, v183
	v_mul_f32_e32 v3, v107, v8
	s_waitcnt vmcnt(28)
	v_fma_f32 v4, v4, v184, -v7
	v_fmac_f32_e32 v213, v5, v184
	v_add_f32_e32 v2, 0, v2
	v_add_f32_e32 v1, 0, v1
	v_mul_f32_e32 v5, v109, v158
	s_waitcnt vmcnt(27)
	v_fma_f32 v3, v106, v185, -v3
	v_fmac_f32_e32 v214, v107, v185
	v_add_f32_e32 v2, v2, v4
	v_add_f32_e32 v1, v1, v213
	;; [unrolled: 6-line block ×24, first 2 shown]
	s_waitcnt lgkmcnt(0)
	v_mul_f32_e32 v3, v155, v181
	s_waitcnt vmcnt(4)
	v_fma_f32 v4, v152, v208, -v4
	v_mul_f32_e32 v238, v154, v181
	v_add_f32_e32 v2, v2, v5
	v_fmac_f32_e32 v237, v153, v208
	v_add_f32_e32 v1, v1, v236
	v_mul_f32_e32 v5, v157, v182
	s_waitcnt vmcnt(3)
	v_fma_f32 v3, v154, v209, -v3
	v_add_f32_e32 v2, v2, v4
	v_mul_f32_e32 v239, v156, v182
	v_fmac_f32_e32 v238, v155, v209
	v_add_f32_e32 v1, v1, v237
	s_waitcnt vmcnt(2)
	v_fma_f32 v4, v156, v210, -v5
	v_add_f32_e32 v2, v2, v3
	v_fmac_f32_e32 v239, v157, v210
	v_add_f32_e32 v1, v1, v238
	v_add_f32_e32 v2, v2, v4
	;; [unrolled: 1-line block ×3, first 2 shown]
	s_waitcnt vmcnt(1)
	v_sub_f32_e32 v2, v211, v2
	s_waitcnt vmcnt(0)
	v_sub_f32_e32 v1, v212, v1
	buffer_store_dword v2, off, s[0:3], 0 offset:152
	buffer_store_dword v1, off, s[0:3], 0 offset:156
	v_cmpx_lt_u32_e32 18, v0
	s_cbranch_execz .LBB47_265
; %bb.264:
	s_clause 0x1
	buffer_load_dword v1, off, s[0:3], 0 offset:144
	buffer_load_dword v2, off, s[0:3], 0 offset:148
	v_mov_b32_e32 v3, 0
	buffer_store_dword v3, off, s[0:3], 0 offset:144
	buffer_store_dword v3, off, s[0:3], 0 offset:148
	s_waitcnt vmcnt(0)
	ds_write_b64 v105, v[1:2]
.LBB47_265:
	s_or_b32 exec_lo, exec_lo, s4
	s_waitcnt lgkmcnt(0)
	s_waitcnt_vscnt null, 0x0
	s_barrier
	buffer_gl0_inv
	s_clause 0x3b
	buffer_load_dword v8, off, s[0:3], 0 offset:156
	buffer_load_dword v158, off, s[0:3], 0 offset:164
	;; [unrolled: 1-line block ×60, first 2 shown]
	v_mov_b32_e32 v1, 0
	ds_read2_b64 v[2:5], v1 offset0:67 offset1:68
	ds_read2_b64 v[106:109], v1 offset0:69 offset1:70
	;; [unrolled: 1-line block ×14, first 2 shown]
	ds_read_b64 v[6:7], v1 offset:760
	s_mov_b32 s4, exec_lo
	s_waitcnt vmcnt(59) lgkmcnt(14)
	v_mul_f32_e32 v217, v2, v8
	v_mul_f32_e32 v8, v3, v8
	s_waitcnt vmcnt(58)
	v_mul_f32_e32 v218, v4, v158
	v_mul_f32_e32 v158, v5, v158
	s_waitcnt vmcnt(57) lgkmcnt(13)
	v_mul_f32_e32 v219, v106, v159
	s_waitcnt vmcnt(56)
	v_mul_f32_e32 v220, v108, v160
	s_waitcnt vmcnt(55) lgkmcnt(12)
	v_mul_f32_e32 v221, v110, v161
	s_waitcnt vmcnt(54)
	;; [unrolled: 4-line block ×13, first 2 shown]
	v_fma_f32 v2, v2, v186, -v8
	v_fmac_f32_e32 v217, v3, v186
	v_mul_f32_e32 v3, v107, v159
	s_waitcnt vmcnt(29)
	v_fma_f32 v4, v4, v187, -v158
	v_fmac_f32_e32 v218, v5, v187
	v_add_f32_e32 v2, 0, v2
	v_add_f32_e32 v5, 0, v217
	v_mul_f32_e32 v8, v109, v160
	s_waitcnt vmcnt(28)
	v_fma_f32 v3, v106, v188, -v3
	v_fmac_f32_e32 v219, v107, v188
	v_add_f32_e32 v2, v2, v4
	v_add_f32_e32 v4, v5, v218
	;; [unrolled: 6-line block ×25, first 2 shown]
	v_mul_f32_e32 v8, v157, v184
	s_waitcnt vmcnt(4)
	v_fma_f32 v4, v154, v212, -v4
	v_mul_f32_e32 v244, v156, v184
	v_add_f32_e32 v2, v2, v5
	v_fmac_f32_e32 v243, v155, v212
	v_add_f32_e32 v3, v3, v242
	s_waitcnt lgkmcnt(0)
	v_mul_f32_e32 v5, v7, v185
	s_waitcnt vmcnt(3)
	v_fma_f32 v8, v156, v213, -v8
	v_add_f32_e32 v2, v2, v4
	v_mul_f32_e32 v245, v6, v185
	v_fmac_f32_e32 v244, v157, v213
	v_add_f32_e32 v3, v3, v243
	s_waitcnt vmcnt(2)
	v_fma_f32 v4, v6, v214, -v5
	v_add_f32_e32 v2, v2, v8
	v_fmac_f32_e32 v245, v7, v214
	v_add_f32_e32 v3, v3, v244
	v_add_f32_e32 v2, v2, v4
	;; [unrolled: 1-line block ×3, first 2 shown]
	s_waitcnt vmcnt(1)
	v_sub_f32_e32 v2, v215, v2
	s_waitcnt vmcnt(0)
	v_sub_f32_e32 v3, v216, v3
	buffer_store_dword v2, off, s[0:3], 0 offset:144
	buffer_store_dword v3, off, s[0:3], 0 offset:148
	v_cmpx_lt_u32_e32 17, v0
	s_cbranch_execz .LBB47_267
; %bb.266:
	s_clause 0x1
	buffer_load_dword v2, off, s[0:3], 0 offset:136
	buffer_load_dword v3, off, s[0:3], 0 offset:140
	buffer_store_dword v1, off, s[0:3], 0 offset:136
	buffer_store_dword v1, off, s[0:3], 0 offset:140
	s_waitcnt vmcnt(0)
	ds_write_b64 v105, v[2:3]
.LBB47_267:
	s_or_b32 exec_lo, exec_lo, s4
	s_waitcnt lgkmcnt(0)
	s_waitcnt_vscnt null, 0x0
	s_barrier
	buffer_gl0_inv
	s_clause 0x3d
	buffer_load_dword v6, off, s[0:3], 0 offset:148
	buffer_load_dword v7, off, s[0:3], 0 offset:156
	;; [unrolled: 1-line block ×62, first 2 shown]
	ds_read_b128 v[2:5], v1 offset:528
	ds_read_b128 v[106:109], v1 offset:544
	;; [unrolled: 1-line block ×15, first 2 shown]
	s_mov_b32 s4, exec_lo
	s_waitcnt vmcnt(61) lgkmcnt(14)
	v_mul_f32_e32 v1, v2, v6
	v_mul_f32_e32 v6, v3, v6
	s_waitcnt vmcnt(60)
	v_mul_f32_e32 v221, v4, v7
	v_mul_f32_e32 v7, v5, v7
	s_waitcnt vmcnt(59) lgkmcnt(13)
	v_mul_f32_e32 v222, v106, v8
	s_waitcnt vmcnt(58)
	v_mul_f32_e32 v223, v108, v162
	s_waitcnt vmcnt(57) lgkmcnt(12)
	v_mul_f32_e32 v224, v110, v163
	s_waitcnt vmcnt(56)
	;; [unrolled: 4-line block ×13, first 2 shown]
	v_mul_f32_e32 v247, v156, v186
	s_waitcnt vmcnt(31)
	v_fma_f32 v2, v2, v189, -v6
	v_fmac_f32_e32 v1, v3, v189
	v_mul_f32_e32 v3, v107, v8
	s_waitcnt vmcnt(30)
	v_fma_f32 v4, v4, v190, -v7
	v_fmac_f32_e32 v221, v5, v190
	v_add_f32_e32 v2, 0, v2
	v_add_f32_e32 v1, 0, v1
	v_mul_f32_e32 v5, v109, v162
	s_waitcnt vmcnt(29)
	v_fma_f32 v3, v106, v191, -v3
	v_fmac_f32_e32 v222, v107, v191
	v_add_f32_e32 v2, v2, v4
	v_add_f32_e32 v1, v1, v221
	;; [unrolled: 6-line block ×26, first 2 shown]
	s_waitcnt lgkmcnt(0)
	v_mul_f32_e32 v4, v159, v187
	s_waitcnt vmcnt(4)
	v_fma_f32 v5, v156, v216, -v5
	v_mul_f32_e32 v248, v158, v187
	v_add_f32_e32 v2, v2, v3
	v_fmac_f32_e32 v247, v157, v216
	v_add_f32_e32 v1, v1, v246
	v_mul_f32_e32 v3, v161, v188
	s_waitcnt vmcnt(3)
	v_fma_f32 v4, v158, v217, -v4
	v_add_f32_e32 v2, v2, v5
	v_mul_f32_e32 v249, v160, v188
	v_fmac_f32_e32 v248, v159, v217
	v_add_f32_e32 v1, v1, v247
	s_waitcnt vmcnt(2)
	v_fma_f32 v3, v160, v218, -v3
	v_add_f32_e32 v2, v2, v4
	v_fmac_f32_e32 v249, v161, v218
	v_add_f32_e32 v1, v1, v248
	v_add_f32_e32 v2, v2, v3
	;; [unrolled: 1-line block ×3, first 2 shown]
	s_waitcnt vmcnt(1)
	v_sub_f32_e32 v2, v219, v2
	s_waitcnt vmcnt(0)
	v_sub_f32_e32 v1, v220, v1
	buffer_store_dword v2, off, s[0:3], 0 offset:136
	buffer_store_dword v1, off, s[0:3], 0 offset:140
	v_cmpx_lt_u32_e32 16, v0
	s_cbranch_execz .LBB47_269
; %bb.268:
	s_clause 0x1
	buffer_load_dword v1, off, s[0:3], 0 offset:128
	buffer_load_dword v2, off, s[0:3], 0 offset:132
	v_mov_b32_e32 v3, 0
	buffer_store_dword v3, off, s[0:3], 0 offset:128
	buffer_store_dword v3, off, s[0:3], 0 offset:132
	s_waitcnt vmcnt(0)
	ds_write_b64 v105, v[1:2]
.LBB47_269:
	s_or_b32 exec_lo, exec_lo, s4
	s_waitcnt lgkmcnt(0)
	s_waitcnt_vscnt null, 0x0
	s_barrier
	buffer_gl0_inv
	s_clause 0x23
	buffer_load_dword v3, off, s[0:3], 0 offset:140
	buffer_load_dword v4, off, s[0:3], 0 offset:148
	;; [unrolled: 1-line block ×36, first 2 shown]
	v_mov_b32_e32 v1, 0
	ds_read2_b64 v[130:133], v1 offset0:65 offset1:66
	ds_read2_b64 v[134:137], v1 offset0:67 offset1:68
	;; [unrolled: 1-line block ×3, first 2 shown]
	s_clause 0x3
	buffer_load_dword v151, off, s[0:3], 0 offset:268
	buffer_load_dword v152, off, s[0:3], 0 offset:276
	;; [unrolled: 1-line block ×4, first 2 shown]
	ds_read2_b64 v[142:145], v1 offset0:71 offset1:72
	s_mov_b32 s4, exec_lo
	s_waitcnt vmcnt(39) lgkmcnt(3)
	v_mul_f32_e32 v155, v130, v3
	v_mul_f32_e32 v3, v131, v3
	s_waitcnt vmcnt(38)
	v_mul_f32_e32 v156, v132, v4
	v_mul_f32_e32 v4, v133, v4
	s_waitcnt vmcnt(35)
	v_fmac_f32_e32 v155, v131, v106
	v_fma_f32 v157, v130, v106, -v3
	s_waitcnt vmcnt(34) lgkmcnt(2)
	v_mul_f32_e32 v158, v134, v8
	v_mul_f32_e32 v3, v135, v8
	v_fmac_f32_e32 v156, v133, v5
	v_fma_f32 v8, v132, v5, -v4
	ds_read2_b64 v[130:133], v1 offset0:73 offset1:74
	s_waitcnt vmcnt(33)
	v_mul_f32_e32 v4, v137, v6
	v_mul_f32_e32 v159, v136, v6
	v_fmac_f32_e32 v158, v135, v2
	v_fma_f32 v6, v134, v2, -v3
	s_waitcnt vmcnt(32) lgkmcnt(2)
	v_mul_f32_e32 v134, v138, v7
	s_waitcnt vmcnt(28)
	v_fma_f32 v135, v136, v113, -v4
	ds_read2_b64 v[2:5], v1 offset0:75 offset1:76
	v_mul_f32_e32 v7, v139, v7
	s_waitcnt vmcnt(27)
	v_mul_f32_e32 v106, v141, v112
	v_mul_f32_e32 v136, v140, v112
	v_fmac_f32_e32 v159, v137, v113
	s_waitcnt vmcnt(26) lgkmcnt(2)
	v_mul_f32_e32 v137, v142, v109
	v_fma_f32 v7, v138, v111, -v7
	v_fma_f32 v138, v140, v108, -v106
	v_mul_f32_e32 v106, v143, v109
	v_fmac_f32_e32 v136, v141, v108
	v_fmac_f32_e32 v134, v139, v111
	s_waitcnt vmcnt(25)
	v_mul_f32_e32 v139, v144, v110
	v_mul_f32_e32 v108, v145, v110
	v_fma_f32 v141, v142, v107, -v106
	s_waitcnt vmcnt(19) lgkmcnt(1)
	v_mul_f32_e32 v142, v132, v120
	v_mul_f32_e32 v120, v133, v120
	;; [unrolled: 1-line block ×4, first 2 shown]
	v_fmac_f32_e32 v137, v143, v107
	v_fmac_f32_e32 v142, v133, v116
	v_fma_f32 v116, v132, v116, -v120
	s_waitcnt vmcnt(17) lgkmcnt(0)
	v_mul_f32_e32 v120, v4, v117
	v_mul_f32_e32 v117, v5, v117
	v_fmac_f32_e32 v139, v145, v121
	v_fma_f32 v121, v144, v121, -v108
	ds_read2_b64 v[106:109], v1 offset0:77 offset1:78
	ds_read2_b64 v[110:113], v1 offset0:79 offset1:80
	v_fmac_f32_e32 v140, v131, v118
	v_fma_f32 v114, v130, v118, -v114
	s_waitcnt vmcnt(13)
	v_fmac_f32_e32 v120, v5, v129
	v_fma_f32 v117, v4, v129, -v117
	s_clause 0x6
	buffer_load_dword v129, off, s[0:3], 0 offset:288
	buffer_load_dword v130, off, s[0:3], 0 offset:300
	;; [unrolled: 1-line block ×7, first 2 shown]
	v_mul_f32_e32 v118, v2, v119
	v_mul_f32_e32 v119, v3, v119
	v_fmac_f32_e32 v118, v3, v115
	v_fma_f32 v115, v2, v115, -v119
	s_waitcnt vmcnt(19) lgkmcnt(1)
	v_mul_f32_e32 v119, v106, v128
	v_mul_f32_e32 v2, v107, v128
	s_waitcnt vmcnt(16) lgkmcnt(0)
	v_mul_f32_e32 v162, v112, v126
	v_mul_f32_e32 v128, v108, v127
	;; [unrolled: 1-line block ×3, first 2 shown]
	v_fmac_f32_e32 v119, v107, v124
	v_fma_f32 v124, v106, v124, -v2
	v_mul_f32_e32 v2, v113, v126
	s_waitcnt vmcnt(11)
	v_fmac_f32_e32 v162, v113, v150
	v_mul_f32_e32 v127, v110, v125
	v_mul_f32_e32 v4, v111, v125
	s_clause 0x3
	buffer_load_dword v125, off, s[0:3], 0 offset:324
	buffer_load_dword v145, off, s[0:3], 0 offset:332
	;; [unrolled: 1-line block ×4, first 2 shown]
	v_fma_f32 v150, v112, v150, -v2
	v_add_f32_e32 v2, 0, v155
	s_clause 0x3
	buffer_load_dword v126, off, s[0:3], 0 offset:356
	buffer_load_dword v163, off, s[0:3], 0 offset:364
	;; [unrolled: 1-line block ×4, first 2 shown]
	v_fmac_f32_e32 v128, v109, v123
	v_fma_f32 v123, v108, v123, -v3
	v_add_f32_e32 v2, v2, v156
	s_clause 0x3
	buffer_load_dword v155, off, s[0:3], 0 offset:344
	buffer_load_dword v156, off, s[0:3], 0 offset:336
	;; [unrolled: 1-line block ×4, first 2 shown]
	v_add_f32_e32 v3, 0, v157
	v_fmac_f32_e32 v127, v111, v122
	v_fma_f32 v122, v110, v122, -v4
	v_add_f32_e32 v2, v2, v158
	v_add_f32_e32 v3, v3, v8
	;; [unrolled: 1-line block ×3, first 2 shown]
	s_clause 0x3
	buffer_load_dword v8, off, s[0:3], 0 offset:376
	buffer_load_dword v157, off, s[0:3], 0 offset:368
	;; [unrolled: 1-line block ×4, first 2 shown]
	v_add_f32_e32 v3, v3, v6
	ds_read2_b64 v[106:109], v1 offset0:83 offset1:84
	v_add_f32_e32 v2, v2, v134
	v_add_f32_e32 v3, v3, v135
	buffer_load_dword v135, off, s[0:3], 0 offset:128
	v_add_f32_e32 v6, v2, v136
	v_add_f32_e32 v3, v3, v7
	;; [unrolled: 1-line block ×4, first 2 shown]
	ds_read2_b64 v[2:5], v1 offset0:81 offset1:82
	v_add_f32_e32 v6, v6, v139
	v_add_f32_e32 v7, v7, v141
	s_waitcnt vmcnt(25) lgkmcnt(1)
	v_mul_f32_e32 v139, v108, v153
	v_add_f32_e32 v6, v6, v140
	v_add_f32_e32 v7, v7, v121
	;; [unrolled: 1-line block ×5, first 2 shown]
	v_mul_f32_e32 v118, v107, v147
	v_add_f32_e32 v7, v7, v116
	s_waitcnt lgkmcnt(0)
	v_mul_f32_e32 v134, v2, v151
	v_mul_f32_e32 v110, v3, v151
	v_add_f32_e32 v6, v6, v120
	v_mul_f32_e32 v136, v4, v152
	v_mul_f32_e32 v111, v5, v152
	v_fmac_f32_e32 v134, v3, v149
	v_add_f32_e32 v3, v7, v115
	v_add_f32_e32 v6, v6, v119
	v_fma_f32 v137, v2, v149, -v110
	v_fmac_f32_e32 v136, v5, v148
	v_fma_f32 v138, v4, v148, -v111
	v_add_f32_e32 v7, v3, v117
	v_add_f32_e32 v6, v6, v128
	ds_read2_b64 v[2:5], v1 offset0:85 offset1:86
	ds_read2_b64 v[110:113], v1 offset0:87 offset1:88
	v_fma_f32 v140, v106, v146, -v118
	ds_read2_b64 v[114:117], v1 offset0:89 offset1:90
	ds_read2_b64 v[118:121], v1 offset0:91 offset1:92
	v_add_f32_e32 v7, v7, v124
	v_mul_f32_e32 v124, v106, v147
	v_add_f32_e32 v7, v7, v123
	v_mul_f32_e32 v123, v109, v153
	v_fmac_f32_e32 v124, v107, v146
	v_add_f32_e32 v7, v7, v122
	s_waitcnt vmcnt(23)
	v_fma_f32 v122, v108, v129, -v123
	v_add_f32_e32 v123, v6, v127
	v_add_f32_e32 v127, v7, v150
	s_waitcnt vmcnt(22) lgkmcnt(3)
	v_mul_f32_e32 v128, v2, v130
	v_mul_f32_e32 v130, v3, v130
	v_fmac_f32_e32 v139, v109, v129
	v_add_f32_e32 v123, v123, v162
	v_add_f32_e32 v127, v127, v137
	s_waitcnt vmcnt(21)
	v_mul_f32_e32 v129, v4, v131
	v_mul_f32_e32 v131, v5, v131
	s_waitcnt vmcnt(17)
	v_fma_f32 v2, v2, v144, -v130
	v_add_f32_e32 v123, v123, v134
	v_add_f32_e32 v127, v127, v138
	v_fmac_f32_e32 v128, v3, v144
	s_waitcnt lgkmcnt(2)
	v_mul_f32_e32 v130, v111, v132
	v_fma_f32 v4, v4, v143, -v131
	v_add_f32_e32 v123, v123, v136
	v_add_f32_e32 v127, v127, v140
	v_mul_f32_e32 v134, v110, v132
	v_fmac_f32_e32 v129, v5, v143
	v_fma_f32 v110, v110, v133, -v130
	v_add_f32_e32 v123, v123, v124
	v_add_f32_e32 v122, v127, v122
	v_fmac_f32_e32 v134, v111, v133
	ds_read2_b64 v[106:109], v1 offset0:93 offset1:94
	ds_read_b64 v[6:7], v1 offset:760
	v_add_f32_e32 v123, v123, v139
	v_add_f32_e32 v2, v122, v2
	s_waitcnt vmcnt(16)
	v_mul_f32_e32 v122, v113, v125
	v_mul_f32_e32 v137, v112, v125
	s_waitcnt vmcnt(15) lgkmcnt(3)
	v_mul_f32_e32 v138, v114, v145
	v_add_f32_e32 v5, v123, v128
	v_add_f32_e32 v2, v2, v4
	s_waitcnt vmcnt(14)
	v_mul_f32_e32 v136, v116, v160
	s_waitcnt vmcnt(13) lgkmcnt(2)
	v_mul_f32_e32 v140, v118, v161
	s_waitcnt vmcnt(12)
	v_mul_f32_e32 v3, v120, v126
	v_add_f32_e32 v4, v5, v129
	v_mul_f32_e32 v5, v115, v145
	v_add_f32_e32 v2, v2, v110
	s_waitcnt vmcnt(5)
	v_fma_f32 v111, v112, v167, -v122
	v_fmac_f32_e32 v137, v113, v167
	v_add_f32_e32 v4, v4, v134
	v_mul_f32_e32 v110, v117, v160
	v_fma_f32 v5, v114, v166, -v5
	v_add_f32_e32 v2, v2, v111
	v_fmac_f32_e32 v138, v115, v166
	v_add_f32_e32 v4, v4, v137
	v_mul_f32_e32 v111, v119, v161
	v_fma_f32 v110, v116, v156, -v110
	v_add_f32_e32 v2, v2, v5
	;; [unrolled: 5-line block ×3, first 2 shown]
	v_fmac_f32_e32 v140, v119, v155
	v_add_f32_e32 v4, v4, v136
	s_waitcnt lgkmcnt(1)
	v_mul_f32_e32 v110, v107, v163
	s_waitcnt vmcnt(1)
	v_fma_f32 v5, v120, v159, -v5
	v_add_f32_e32 v2, v2, v111
	v_mul_f32_e32 v124, v106, v163
	v_fmac_f32_e32 v3, v121, v159
	v_add_f32_e32 v4, v4, v140
	v_mul_f32_e32 v111, v109, v164
	v_fma_f32 v106, v106, v158, -v110
	v_add_f32_e32 v2, v2, v5
	v_mul_f32_e32 v127, v108, v164
	v_fmac_f32_e32 v124, v107, v158
	v_add_f32_e32 v3, v4, v3
	s_waitcnt lgkmcnt(0)
	v_mul_f32_e32 v4, v7, v165
	v_fma_f32 v5, v108, v157, -v111
	v_add_f32_e32 v2, v2, v106
	v_mul_f32_e32 v132, v6, v165
	v_fmac_f32_e32 v127, v109, v157
	v_add_f32_e32 v3, v3, v124
	v_fma_f32 v4, v6, v8, -v4
	v_add_f32_e32 v2, v2, v5
	v_fmac_f32_e32 v132, v7, v8
	v_add_f32_e32 v3, v3, v127
	v_add_f32_e32 v2, v2, v4
	;; [unrolled: 1-line block ×3, first 2 shown]
	s_waitcnt vmcnt(0)
	v_sub_f32_e32 v2, v135, v2
	v_sub_f32_e32 v3, v154, v3
	buffer_store_dword v2, off, s[0:3], 0 offset:128
	buffer_store_dword v3, off, s[0:3], 0 offset:132
	v_cmpx_lt_u32_e32 15, v0
	s_cbranch_execz .LBB47_271
; %bb.270:
	s_clause 0x1
	buffer_load_dword v2, off, s[0:3], 0 offset:120
	buffer_load_dword v3, off, s[0:3], 0 offset:124
	buffer_store_dword v1, off, s[0:3], 0 offset:120
	buffer_store_dword v1, off, s[0:3], 0 offset:124
	s_waitcnt vmcnt(0)
	ds_write_b64 v105, v[2:3]
.LBB47_271:
	s_or_b32 exec_lo, exec_lo, s4
	s_waitcnt lgkmcnt(0)
	s_waitcnt_vscnt null, 0x0
	s_barrier
	buffer_gl0_inv
	s_clause 0x23
	buffer_load_dword v3, off, s[0:3], 0 offset:132
	buffer_load_dword v4, off, s[0:3], 0 offset:140
	;; [unrolled: 1-line block ×36, first 2 shown]
	ds_read_b128 v[130:133], v1 offset:512
	ds_read_b128 v[134:137], v1 offset:528
	s_clause 0x1
	buffer_load_dword v151, off, s[0:3], 0 offset:260
	buffer_load_dword v152, off, s[0:3], 0 offset:268
	ds_read_b128 v[138:141], v1 offset:544
	ds_read_b128 v[142:145], v1 offset:560
	buffer_load_dword v153, off, s[0:3], 0 offset:124
	s_mov_b32 s4, exec_lo
	s_waitcnt vmcnt(38) lgkmcnt(3)
	v_mul_f32_e32 v154, v130, v3
	v_mul_f32_e32 v3, v131, v3
	s_waitcnt vmcnt(37)
	v_mul_f32_e32 v155, v132, v4
	v_mul_f32_e32 v4, v133, v4
	s_waitcnt vmcnt(36) lgkmcnt(2)
	v_mul_f32_e32 v156, v134, v5
	s_waitcnt vmcnt(33)
	v_fmac_f32_e32 v154, v131, v8
	v_fma_f32 v8, v130, v8, -v3
	v_mul_f32_e32 v3, v135, v5
	s_waitcnt vmcnt(32)
	v_mul_f32_e32 v5, v137, v7
	v_mul_f32_e32 v157, v136, v7
	v_fmac_f32_e32 v155, v133, v6
	v_fma_f32 v6, v132, v6, -v4
	v_fmac_f32_e32 v156, v135, v2
	v_fma_f32 v7, v134, v2, -v3
	s_waitcnt vmcnt(28)
	v_fma_f32 v134, v136, v113, -v5
	ds_read_b128 v[2:5], v1 offset:576
	ds_read_b128 v[130:133], v1 offset:592
	s_waitcnt vmcnt(27) lgkmcnt(3)
	v_mul_f32_e32 v135, v138, v112
	v_mul_f32_e32 v112, v139, v112
	v_fmac_f32_e32 v157, v137, v113
	s_waitcnt vmcnt(26)
	v_mul_f32_e32 v136, v140, v111
	v_mul_f32_e32 v111, v141, v111
	s_waitcnt vmcnt(25) lgkmcnt(2)
	v_mul_f32_e32 v137, v142, v109
	v_fmac_f32_e32 v135, v139, v108
	v_fma_f32 v138, v138, v108, -v112
	s_waitcnt vmcnt(24)
	v_mul_f32_e32 v139, v144, v110
	v_mul_f32_e32 v108, v143, v109
	;; [unrolled: 1-line block ×3, first 2 shown]
	v_fmac_f32_e32 v136, v141, v107
	v_fma_f32 v140, v140, v107, -v111
	v_fmac_f32_e32 v137, v143, v106
	s_waitcnt vmcnt(20)
	v_fmac_f32_e32 v139, v145, v121
	v_fma_f32 v141, v142, v106, -v108
	v_fma_f32 v121, v144, v121, -v109
	ds_read_b128 v[106:109], v1 offset:608
	ds_read_b128 v[110:113], v1 offset:624
	s_waitcnt vmcnt(19) lgkmcnt(3)
	v_mul_f32_e32 v142, v2, v119
	s_waitcnt vmcnt(18)
	v_mul_f32_e32 v143, v4, v120
	v_mul_f32_e32 v119, v3, v119
	;; [unrolled: 1-line block ×3, first 2 shown]
	buffer_load_dword v144, off, s[0:3], 0 offset:284
	v_fmac_f32_e32 v142, v3, v118
	v_fmac_f32_e32 v143, v5, v117
	v_fma_f32 v118, v2, v118, -v119
	v_fma_f32 v117, v4, v117, -v120
	s_clause 0x3
	buffer_load_dword v145, off, s[0:3], 0 offset:304
	buffer_load_dword v158, off, s[0:3], 0 offset:296
	;; [unrolled: 1-line block ×4, first 2 shown]
	s_waitcnt vmcnt(22) lgkmcnt(2)
	v_mul_f32_e32 v120, v130, v116
	v_mul_f32_e32 v2, v131, v116
	s_waitcnt vmcnt(21)
	v_mul_f32_e32 v3, v133, v115
	v_mul_f32_e32 v116, v132, v115
	v_fmac_f32_e32 v120, v131, v114
	v_fma_f32 v114, v130, v114, -v2
	buffer_load_dword v130, off, s[0:3], 0 offset:292
	s_waitcnt vmcnt(18)
	v_fma_f32 v115, v132, v129, -v3
	s_waitcnt vmcnt(17) lgkmcnt(1)
	v_mul_f32_e32 v132, v106, v127
	v_mul_f32_e32 v2, v107, v127
	v_fmac_f32_e32 v116, v133, v129
	s_clause 0x1
	buffer_load_dword v129, off, s[0:3], 0 offset:300
	buffer_load_dword v131, off, s[0:3], 0 offset:308
	s_waitcnt vmcnt(18)
	v_mul_f32_e32 v133, v108, v128
	v_mul_f32_e32 v3, v109, v128
	v_fmac_f32_e32 v132, v107, v125
	v_fma_f32 v125, v106, v125, -v2
	s_waitcnt vmcnt(16) lgkmcnt(0)
	v_mul_f32_e32 v2, v113, v124
	v_fmac_f32_e32 v133, v109, v123
	v_fma_f32 v123, v108, v123, -v3
	v_mul_f32_e32 v162, v112, v124
	v_add_f32_e32 v3, 0, v8
	s_waitcnt vmcnt(11)
	v_fma_f32 v124, v112, v150, -v2
	v_add_f32_e32 v2, 0, v154
	v_mul_f32_e32 v127, v110, v126
	v_mul_f32_e32 v4, v111, v126
	s_clause 0x5
	buffer_load_dword v126, off, s[0:3], 0 offset:316
	buffer_load_dword v128, off, s[0:3], 0 offset:324
	;; [unrolled: 1-line block ×6, first 2 shown]
	v_fmac_f32_e32 v162, v113, v150
	s_clause 0x2
	buffer_load_dword v150, off, s[0:3], 0 offset:364
	buffer_load_dword v165, off, s[0:3], 0 offset:372
	;; [unrolled: 1-line block ×3, first 2 shown]
	v_add_f32_e32 v2, v2, v155
	v_add_f32_e32 v3, v3, v6
	s_clause 0x3
	buffer_load_dword v6, off, s[0:3], 0 offset:336
	buffer_load_dword v154, off, s[0:3], 0 offset:328
	;; [unrolled: 1-line block ×4, first 2 shown]
	v_fmac_f32_e32 v127, v111, v122
	v_fma_f32 v122, v110, v122, -v4
	v_add_f32_e32 v2, v2, v156
	v_add_f32_e32 v3, v3, v7
	;; [unrolled: 1-line block ×4, first 2 shown]
	s_clause 0x3
	buffer_load_dword v7, off, s[0:3], 0 offset:368
	buffer_load_dword v134, off, s[0:3], 0 offset:360
	;; [unrolled: 1-line block ×4, first 2 shown]
	v_add_f32_e32 v2, v2, v135
	buffer_load_dword v135, off, s[0:3], 0 offset:376
	v_add_f32_e32 v3, v3, v138
	buffer_load_dword v138, off, s[0:3], 0 offset:120
	v_add_f32_e32 v2, v2, v136
	v_add_f32_e32 v3, v3, v140
	v_add_f32_e32 v106, v2, v137
	v_add_f32_e32 v107, v3, v141
	ds_read_b128 v[2:5], v1 offset:640
	v_add_f32_e32 v106, v106, v139
	v_add_f32_e32 v107, v107, v121
	;; [unrolled: 1-line block ×4, first 2 shown]
	ds_read_b128 v[106:109], v1 offset:656
	v_add_f32_e32 v110, v110, v143
	v_add_f32_e32 v111, v111, v117
	v_add_f32_e32 v110, v110, v120
	v_add_f32_e32 v114, v111, v114
	s_waitcnt vmcnt(29) lgkmcnt(1)
	v_mul_f32_e32 v136, v2, v151
	v_mul_f32_e32 v112, v3, v151
	s_waitcnt vmcnt(28)
	v_mul_f32_e32 v137, v4, v152
	v_mul_f32_e32 v113, v5, v152
	v_add_f32_e32 v116, v110, v116
	v_fmac_f32_e32 v136, v3, v149
	v_fma_f32 v139, v2, v149, -v112
	v_fmac_f32_e32 v137, v5, v148
	v_fma_f32 v140, v4, v148, -v113
	ds_read_b128 v[2:5], v1 offset:672
	ds_read_b128 v[110:113], v1 offset:688
	v_add_f32_e32 v114, v114, v115
	s_waitcnt lgkmcnt(2)
	v_mul_f32_e32 v141, v106, v147
	v_add_f32_e32 v115, v116, v132
	v_mul_f32_e32 v116, v107, v147
	v_add_f32_e32 v114, v114, v125
	v_fmac_f32_e32 v141, v107, v146
	v_add_f32_e32 v107, v115, v133
	v_fma_f32 v132, v106, v146, -v116
	v_add_f32_e32 v118, v114, v123
	v_add_f32_e32 v122, v118, v122
	s_waitcnt vmcnt(26)
	v_mul_f32_e32 v142, v108, v144
	v_mul_f32_e32 v117, v109, v144
	s_waitcnt vmcnt(22)
	v_fmac_f32_e32 v142, v109, v119
	v_fma_f32 v133, v108, v119, -v117
	v_add_f32_e32 v119, v107, v127
	ds_read_b128 v[106:109], v1 offset:704
	ds_read_b128 v[114:117], v1 offset:720
	v_add_f32_e32 v125, v119, v162
	s_waitcnt vmcnt(21) lgkmcnt(3)
	v_mul_f32_e32 v127, v2, v130
	v_mul_f32_e32 v123, v3, v130
	v_add_f32_e32 v130, v122, v124
	ds_read_b128 v[118:121], v1 offset:736
	v_fmac_f32_e32 v127, v3, v159
	v_fma_f32 v2, v2, v159, -v123
	v_add_f32_e32 v3, v125, v136
	ds_read_b128 v[122:125], v1 offset:752
	v_add_f32_e32 v1, v130, v139
	s_waitcnt vmcnt(20)
	v_mul_f32_e32 v130, v4, v129
	v_mul_f32_e32 v129, v5, v129
	v_add_f32_e32 v3, v3, v137
	s_waitcnt vmcnt(19) lgkmcnt(4)
	v_mul_f32_e32 v136, v110, v131
	v_add_f32_e32 v1, v1, v140
	v_mul_f32_e32 v131, v111, v131
	v_fma_f32 v4, v4, v158, -v129
	v_add_f32_e32 v3, v3, v141
	v_fmac_f32_e32 v130, v5, v158
	v_add_f32_e32 v1, v1, v132
	s_waitcnt vmcnt(18)
	v_mul_f32_e32 v137, v112, v126
	v_mul_f32_e32 v126, v113, v126
	v_add_f32_e32 v3, v3, v142
	v_fma_f32 v110, v110, v145, -v131
	v_add_f32_e32 v1, v1, v133
	v_fmac_f32_e32 v136, v111, v145
	s_waitcnt vmcnt(6)
	v_fma_f32 v111, v112, v166, -v126
	s_waitcnt lgkmcnt(3)
	v_mul_f32_e32 v5, v106, v128
	v_fmac_f32_e32 v137, v113, v166
	v_add_f32_e32 v1, v1, v2
	v_add_f32_e32 v2, v3, v127
	v_mul_f32_e32 v129, v108, v160
	v_fmac_f32_e32 v5, v107, v155
	s_waitcnt lgkmcnt(2)
	v_mul_f32_e32 v132, v114, v161
	v_add_f32_e32 v1, v1, v4
	v_add_f32_e32 v2, v2, v130
	v_mul_f32_e32 v4, v107, v128
	v_fmac_f32_e32 v129, v109, v154
	v_mul_f32_e32 v139, v116, v163
	v_add_f32_e32 v1, v1, v110
	v_add_f32_e32 v2, v2, v136
	v_mul_f32_e32 v110, v109, v160
	v_fma_f32 v4, v106, v155, -v4
	v_mul_f32_e32 v106, v115, v161
	v_add_f32_e32 v1, v1, v111
	v_add_f32_e32 v2, v2, v137
	v_fma_f32 v107, v108, v154, -v110
	v_fmac_f32_e32 v132, v115, v6
	s_waitcnt lgkmcnt(1)
	v_mul_f32_e32 v140, v118, v164
	v_add_f32_e32 v1, v1, v4
	v_add_f32_e32 v2, v2, v5
	v_mul_f32_e32 v4, v117, v163
	v_fma_f32 v5, v114, v6, -v106
	v_mul_f32_e32 v6, v119, v164
	v_add_f32_e32 v1, v1, v107
	v_add_f32_e32 v2, v2, v129
	s_waitcnt vmcnt(2)
	v_fma_f32 v4, v116, v157, -v4
	v_fmac_f32_e32 v139, v117, v157
	v_fma_f32 v6, v118, v156, -v6
	v_add_f32_e32 v1, v1, v5
	v_add_f32_e32 v2, v2, v132
	v_mul_f32_e32 v5, v121, v150
	v_mul_f32_e32 v133, v120, v150
	v_fmac_f32_e32 v140, v119, v156
	v_add_f32_e32 v1, v1, v4
	v_add_f32_e32 v2, v2, v139
	s_waitcnt lgkmcnt(0)
	v_mul_f32_e32 v4, v123, v165
	v_fma_f32 v5, v120, v134, -v5
	v_mul_f32_e32 v141, v122, v165
	v_add_f32_e32 v1, v1, v6
	v_fmac_f32_e32 v133, v121, v134
	v_add_f32_e32 v2, v2, v140
	v_mul_f32_e32 v6, v125, v8
	v_fma_f32 v4, v122, v7, -v4
	v_add_f32_e32 v1, v1, v5
	v_mul_f32_e32 v3, v124, v8
	v_fmac_f32_e32 v141, v123, v7
	v_add_f32_e32 v2, v2, v133
	s_waitcnt vmcnt(1)
	v_fma_f32 v5, v124, v135, -v6
	v_add_f32_e32 v1, v1, v4
	v_fmac_f32_e32 v3, v125, v135
	v_add_f32_e32 v2, v2, v141
	v_add_f32_e32 v1, v1, v5
	;; [unrolled: 1-line block ×3, first 2 shown]
	s_waitcnt vmcnt(0)
	v_sub_f32_e32 v1, v138, v1
	v_sub_f32_e32 v2, v153, v2
	buffer_store_dword v1, off, s[0:3], 0 offset:120
	buffer_store_dword v2, off, s[0:3], 0 offset:124
	v_cmpx_lt_u32_e32 14, v0
	s_cbranch_execz .LBB47_273
; %bb.272:
	s_clause 0x1
	buffer_load_dword v1, off, s[0:3], 0 offset:112
	buffer_load_dword v2, off, s[0:3], 0 offset:116
	v_mov_b32_e32 v3, 0
	buffer_store_dword v3, off, s[0:3], 0 offset:112
	buffer_store_dword v3, off, s[0:3], 0 offset:116
	s_waitcnt vmcnt(0)
	ds_write_b64 v105, v[1:2]
.LBB47_273:
	s_or_b32 exec_lo, exec_lo, s4
	s_waitcnt lgkmcnt(0)
	s_waitcnt_vscnt null, 0x0
	s_barrier
	buffer_gl0_inv
	s_clause 0x23
	buffer_load_dword v107, off, s[0:3], 0 offset:124
	buffer_load_dword v109, off, s[0:3], 0 offset:132
	buffer_load_dword v110, off, s[0:3], 0 offset:140
	buffer_load_dword v108, off, s[0:3], 0 offset:136
	buffer_load_dword v112, off, s[0:3], 0 offset:128
	buffer_load_dword v113, off, s[0:3], 0 offset:120
	buffer_load_dword v111, off, s[0:3], 0 offset:148
	buffer_load_dword v114, off, s[0:3], 0 offset:168
	buffer_load_dword v115, off, s[0:3], 0 offset:160
	buffer_load_dword v117, off, s[0:3], 0 offset:152
	buffer_load_dword v122, off, s[0:3], 0 offset:144
	buffer_load_dword v120, off, s[0:3], 0 offset:156
	buffer_load_dword v121, off, s[0:3], 0 offset:164
	buffer_load_dword v118, off, s[0:3], 0 offset:172
	buffer_load_dword v116, off, s[0:3], 0 offset:180
	buffer_load_dword v119, off, s[0:3], 0 offset:188
	buffer_load_dword v123, off, s[0:3], 0 offset:196
	buffer_load_dword v124, off, s[0:3], 0 offset:200
	buffer_load_dword v127, off, s[0:3], 0 offset:192
	buffer_load_dword v128, off, s[0:3], 0 offset:184
	buffer_load_dword v130, off, s[0:3], 0 offset:176
	buffer_load_dword v129, off, s[0:3], 0 offset:204
	buffer_load_dword v125, off, s[0:3], 0 offset:212
	buffer_load_dword v131, off, s[0:3], 0 offset:232
	buffer_load_dword v135, off, s[0:3], 0 offset:224
	buffer_load_dword v136, off, s[0:3], 0 offset:216
	buffer_load_dword v141, off, s[0:3], 0 offset:208
	buffer_load_dword v139, off, s[0:3], 0 offset:220
	buffer_load_dword v140, off, s[0:3], 0 offset:228
	buffer_load_dword v134, off, s[0:3], 0 offset:236
	buffer_load_dword v133, off, s[0:3], 0 offset:244
	buffer_load_dword v126, off, s[0:3], 0 offset:264
	buffer_load_dword v132, off, s[0:3], 0 offset:256
	buffer_load_dword v137, off, s[0:3], 0 offset:248
	buffer_load_dword v142, off, s[0:3], 0 offset:240
	buffer_load_dword v138, off, s[0:3], 0 offset:252
	v_mov_b32_e32 v106, 0
	ds_read2_b64 v[5:8], v106 offset0:63 offset1:64
	ds_read2_b64 v[1:4], v106 offset0:65 offset1:66
	buffer_load_dword v151, off, s[0:3], 0 offset:116
	ds_read2_b64 v[143:146], v106 offset0:67 offset1:68
	ds_read2_b64 v[147:150], v106 offset0:69 offset1:70
	s_mov_b32 s4, exec_lo
	s_waitcnt vmcnt(36) lgkmcnt(3)
	v_mul_f32_e32 v152, v5, v107
	s_waitcnt vmcnt(35)
	v_mul_f32_e32 v153, v7, v109
	v_mul_f32_e32 v107, v6, v107
	;; [unrolled: 1-line block ×3, first 2 shown]
	s_waitcnt vmcnt(34) lgkmcnt(2)
	v_mul_f32_e32 v154, v1, v110
	v_mul_f32_e32 v110, v2, v110
	s_waitcnt vmcnt(30)
	v_mul_f32_e32 v155, v3, v111
	v_mul_f32_e32 v111, v4, v111
	v_fmac_f32_e32 v152, v6, v113
	v_fmac_f32_e32 v153, v8, v112
	v_fma_f32 v113, v5, v113, -v107
	v_fma_f32 v112, v7, v112, -v109
	ds_read2_b64 v[5:8], v106 offset0:71 offset1:72
	v_fmac_f32_e32 v154, v2, v108
	v_fma_f32 v156, v1, v108, -v110
	ds_read2_b64 v[107:110], v106 offset0:73 offset1:74
	s_waitcnt vmcnt(26)
	v_fmac_f32_e32 v155, v4, v122
	v_fma_f32 v111, v3, v122, -v111
	s_waitcnt vmcnt(25) lgkmcnt(3)
	v_mul_f32_e32 v122, v143, v120
	s_waitcnt vmcnt(24)
	v_mul_f32_e32 v157, v145, v121
	v_mul_f32_e32 v1, v144, v120
	;; [unrolled: 1-line block ×3, first 2 shown]
	s_clause 0x1
	buffer_load_dword v120, off, s[0:3], 0 offset:260
	buffer_load_dword v121, off, s[0:3], 0 offset:268
	v_fmac_f32_e32 v122, v144, v117
	v_fmac_f32_e32 v157, v146, v115
	v_fma_f32 v117, v143, v117, -v1
	v_fma_f32 v115, v145, v115, -v2
	ds_read2_b64 v[1:4], v106 offset0:75 offset1:76
	s_waitcnt vmcnt(25) lgkmcnt(3)
	v_mul_f32_e32 v143, v147, v118
	v_mul_f32_e32 v118, v148, v118
	s_waitcnt vmcnt(24)
	v_mul_f32_e32 v144, v149, v116
	v_mul_f32_e32 v116, v150, v116
	s_waitcnt vmcnt(23) lgkmcnt(2)
	v_mul_f32_e32 v145, v5, v119
	v_fmac_f32_e32 v143, v148, v114
	v_fma_f32 v114, v147, v114, -v118
	s_waitcnt vmcnt(22)
	v_mul_f32_e32 v118, v7, v123
	v_mul_f32_e32 v119, v6, v119
	;; [unrolled: 1-line block ×3, first 2 shown]
	s_waitcnt vmcnt(18)
	v_fma_f32 v116, v149, v130, -v116
	v_fmac_f32_e32 v145, v6, v128
	v_fmac_f32_e32 v118, v8, v127
	v_fma_f32 v119, v5, v128, -v119
	v_fma_f32 v123, v7, v127, -v123
	s_clause 0x5
	buffer_load_dword v127, off, s[0:3], 0 offset:276
	buffer_load_dword v128, off, s[0:3], 0 offset:284
	;; [unrolled: 1-line block ×6, first 2 shown]
	v_fmac_f32_e32 v144, v150, v130
	s_waitcnt vmcnt(23) lgkmcnt(1)
	v_mul_f32_e32 v130, v107, v129
	v_mul_f32_e32 v129, v108, v129
	s_waitcnt vmcnt(22)
	v_mul_f32_e32 v150, v109, v125
	v_mul_f32_e32 v125, v110, v125
	ds_read2_b64 v[5:8], v106 offset0:77 offset1:78
	v_fmac_f32_e32 v130, v108, v124
	v_fma_f32 v107, v107, v124, -v129
	s_waitcnt vmcnt(18)
	v_fmac_f32_e32 v150, v110, v141
	v_fma_f32 v108, v109, v141, -v125
	s_waitcnt vmcnt(17) lgkmcnt(1)
	v_mul_f32_e32 v109, v1, v139
	v_mul_f32_e32 v110, v2, v139
	s_clause 0x1
	buffer_load_dword v129, off, s[0:3], 0 offset:292
	buffer_load_dword v139, off, s[0:3], 0 offset:300
	v_add_f32_e32 v113, 0, v113
	s_waitcnt vmcnt(18)
	v_mul_f32_e32 v124, v3, v140
	v_mul_f32_e32 v125, v4, v140
	v_fma_f32 v110, v1, v136, -v110
	v_add_f32_e32 v1, 0, v152
	v_add_f32_e32 v112, v113, v112
	v_fmac_f32_e32 v109, v2, v136
	v_fmac_f32_e32 v124, v4, v135
	v_fma_f32 v125, v3, v135, -v125
	v_add_f32_e32 v152, v1, v153
	s_clause 0x3
	buffer_load_dword v135, off, s[0:3], 0 offset:308
	buffer_load_dword v136, off, s[0:3], 0 offset:316
	;; [unrolled: 1-line block ×4, first 2 shown]
	ds_read2_b64 v[1:4], v106 offset0:79 offset1:80
	s_waitcnt vmcnt(21) lgkmcnt(1)
	v_mul_f32_e32 v153, v5, v134
	v_mul_f32_e32 v113, v6, v134
	v_add_f32_e32 v134, v152, v154
	s_waitcnt vmcnt(20)
	v_mul_f32_e32 v152, v7, v133
	v_mul_f32_e32 v133, v8, v133
	v_fmac_f32_e32 v153, v6, v131
	v_fma_f32 v131, v5, v131, -v113
	v_add_f32_e32 v5, v134, v155
	v_add_f32_e32 v112, v112, v156
	s_clause 0x3
	buffer_load_dword v134, off, s[0:3], 0 offset:340
	buffer_load_dword v154, off, s[0:3], 0 offset:348
	;; [unrolled: 1-line block ×4, first 2 shown]
	s_waitcnt vmcnt(20)
	v_fmac_f32_e32 v152, v8, v142
	v_fma_f32 v133, v7, v142, -v133
	v_add_f32_e32 v5, v5, v122
	s_clause 0x5
	buffer_load_dword v142, off, s[0:3], 0 offset:372
	buffer_load_dword v122, off, s[0:3], 0 offset:328
	;; [unrolled: 1-line block ×6, first 2 shown]
	v_add_f32_e32 v6, v112, v111
	v_add_f32_e32 v5, v5, v157
	s_waitcnt vmcnt(25) lgkmcnt(0)
	v_mul_f32_e32 v113, v2, v138
	v_add_f32_e32 v6, v6, v117
	v_add_f32_e32 v112, v5, v143
	v_mul_f32_e32 v143, v1, v138
	v_add_f32_e32 v111, v6, v115
	ds_read2_b64 v[5:8], v106 offset0:81 offset1:82
	v_add_f32_e32 v112, v112, v144
	v_fmac_f32_e32 v143, v2, v137
	v_fma_f32 v115, v1, v137, -v113
	v_add_f32_e32 v111, v111, v114
	v_add_f32_e32 v2, v112, v145
	s_clause 0x5
	buffer_load_dword v137, off, s[0:3], 0 offset:360
	buffer_load_dword v138, off, s[0:3], 0 offset:352
	;; [unrolled: 1-line block ×6, first 2 shown]
	v_add_f32_e32 v1, v111, v116
	v_add_f32_e32 v2, v2, v118
	;; [unrolled: 1-line block ×5, first 2 shown]
	buffer_load_dword v123, off, s[0:3], 0 offset:112
	v_add_f32_e32 v111, v111, v150
	v_add_f32_e32 v107, v1, v107
	;; [unrolled: 1-line block ×6, first 2 shown]
	ds_read2_b64 v[107:110], v106 offset0:85 offset1:86
	v_add_f32_e32 v117, v117, v153
	v_add_f32_e32 v116, v113, v125
	;; [unrolled: 1-line block ×4, first 2 shown]
	s_waitcnt vmcnt(30)
	v_mul_f32_e32 v130, v3, v120
	v_mul_f32_e32 v2, v4, v120
	s_waitcnt vmcnt(29) lgkmcnt(1)
	v_mul_f32_e32 v112, v6, v121
	v_fmac_f32_e32 v130, v4, v132
	v_fma_f32 v119, v3, v132, -v2
	ds_read2_b64 v[1:4], v106 offset0:83 offset1:84
	v_mul_f32_e32 v132, v5, v121
	v_fmac_f32_e32 v132, v6, v126
	v_fma_f32 v126, v5, v126, -v112
	s_waitcnt vmcnt(28)
	v_mul_f32_e32 v121, v7, v127
	v_mul_f32_e32 v114, v8, v127
	s_waitcnt vmcnt(23)
	v_fmac_f32_e32 v121, v8, v149
	v_fma_f32 v125, v7, v149, -v114
	ds_read2_b64 v[5:8], v106 offset0:87 offset1:88
	ds_read2_b64 v[111:114], v106 offset0:89 offset1:90
	s_waitcnt lgkmcnt(2)
	v_mul_f32_e32 v118, v2, v128
	v_mul_f32_e32 v124, v1, v128
	v_fma_f32 v128, v1, v148, -v118
	v_add_f32_e32 v1, v117, v152
	s_waitcnt vmcnt(22)
	v_mul_f32_e32 v127, v3, v129
	v_mul_f32_e32 v120, v4, v129
	v_add_f32_e32 v129, v116, v115
	v_fmac_f32_e32 v124, v2, v148
	v_add_f32_e32 v133, v1, v143
	v_fmac_f32_e32 v127, v4, v147
	v_fma_f32 v131, v3, v147, -v120
	v_add_f32_e32 v129, v129, v119
	s_waitcnt vmcnt(21)
	v_mul_f32_e32 v143, v107, v139
	v_add_f32_e32 v130, v133, v130
	s_waitcnt vmcnt(20)
	v_mul_f32_e32 v133, v109, v135
	v_mul_f32_e32 v135, v110, v135
	v_add_f32_e32 v126, v129, v126
	v_mul_f32_e32 v129, v108, v139
	v_add_f32_e32 v130, v130, v132
	v_fmac_f32_e32 v143, v108, v146
	ds_read2_b64 v[115:118], v106 offset0:91 offset1:92
	ds_read2_b64 v[1:4], v106 offset0:93 offset1:94
	v_add_f32_e32 v125, v126, v125
	v_add_f32_e32 v121, v130, v121
	v_fma_f32 v107, v107, v146, -v129
	s_waitcnt vmcnt(19) lgkmcnt(3)
	v_mul_f32_e32 v132, v5, v136
	s_waitcnt vmcnt(18)
	v_mul_f32_e32 v126, v7, v140
	v_add_f32_e32 v125, v125, v128
	v_add_f32_e32 v121, v121, v124
	s_waitcnt vmcnt(17) lgkmcnt(2)
	v_mul_f32_e32 v139, v111, v141
	s_waitcnt vmcnt(9)
	v_fmac_f32_e32 v132, v6, v159
	s_waitcnt vmcnt(8)
	v_fma_f32 v109, v109, v160, -v135
	v_add_f32_e32 v125, v125, v131
	v_add_f32_e32 v121, v121, v127
	v_mul_f32_e32 v131, v6, v136
	v_fmac_f32_e32 v133, v110, v160
	v_fmac_f32_e32 v126, v8, v158
	v_add_f32_e32 v107, v125, v107
	v_add_f32_e32 v110, v121, v143
	v_mul_f32_e32 v121, v8, v140
	v_fma_f32 v5, v5, v159, -v131
	v_mul_f32_e32 v8, v114, v134
	v_add_f32_e32 v6, v107, v109
	v_add_f32_e32 v107, v110, v133
	v_mul_f32_e32 v109, v112, v141
	v_fma_f32 v7, v7, v158, -v121
	v_mul_f32_e32 v130, v113, v134
	v_add_f32_e32 v5, v6, v5
	v_add_f32_e32 v6, v107, v132
	v_fma_f32 v107, v111, v122, -v109
	v_fmac_f32_e32 v139, v112, v122
	ds_read_b64 v[119:120], v106 offset:760
	v_add_f32_e32 v5, v5, v7
	v_add_f32_e32 v6, v6, v126
	s_waitcnt lgkmcnt(2)
	v_mul_f32_e32 v7, v116, v154
	s_waitcnt vmcnt(3)
	v_fma_f32 v8, v113, v145, -v8
	v_mul_f32_e32 v128, v115, v154
	v_add_f32_e32 v5, v5, v107
	v_fmac_f32_e32 v130, v114, v145
	v_add_f32_e32 v6, v6, v139
	v_mul_f32_e32 v107, v118, v155
	v_fma_f32 v7, v115, v144, -v7
	v_add_f32_e32 v5, v5, v8
	v_mul_f32_e32 v108, v117, v155
	v_fmac_f32_e32 v128, v116, v144
	v_add_f32_e32 v6, v6, v130
	s_waitcnt lgkmcnt(1)
	v_mul_f32_e32 v124, v1, v156
	v_mul_f32_e32 v8, v2, v156
	v_fma_f32 v107, v117, v138, -v107
	v_add_f32_e32 v5, v5, v7
	v_fmac_f32_e32 v108, v118, v138
	v_add_f32_e32 v6, v6, v128
	v_mul_f32_e32 v7, v4, v142
	v_fmac_f32_e32 v124, v2, v137
	v_fma_f32 v1, v1, v137, -v8
	v_add_f32_e32 v2, v5, v107
	v_mul_f32_e32 v129, v3, v142
	v_add_f32_e32 v5, v6, v108
	s_waitcnt lgkmcnt(0)
	v_mul_f32_e32 v6, v120, v161
	s_waitcnt vmcnt(1)
	v_fma_f32 v3, v3, v162, -v7
	v_add_f32_e32 v1, v2, v1
	v_mul_f32_e32 v127, v119, v161
	v_fmac_f32_e32 v129, v4, v162
	v_add_f32_e32 v2, v5, v124
	v_fma_f32 v4, v119, v157, -v6
	v_add_f32_e32 v1, v1, v3
	v_fmac_f32_e32 v127, v120, v157
	v_add_f32_e32 v2, v2, v129
	v_add_f32_e32 v1, v1, v4
	;; [unrolled: 1-line block ×3, first 2 shown]
	s_waitcnt vmcnt(0)
	v_sub_f32_e32 v1, v123, v1
	v_sub_f32_e32 v2, v151, v2
	buffer_store_dword v1, off, s[0:3], 0 offset:112
	buffer_store_dword v2, off, s[0:3], 0 offset:116
	v_cmpx_lt_u32_e32 13, v0
	s_cbranch_execz .LBB47_275
; %bb.274:
	s_clause 0x1
	buffer_load_dword v1, off, s[0:3], 0 offset:104
	buffer_load_dword v2, off, s[0:3], 0 offset:108
	buffer_store_dword v106, off, s[0:3], 0 offset:104
	buffer_store_dword v106, off, s[0:3], 0 offset:108
	s_waitcnt vmcnt(0)
	ds_write_b64 v105, v[1:2]
.LBB47_275:
	s_or_b32 exec_lo, exec_lo, s4
	s_waitcnt lgkmcnt(0)
	s_waitcnt_vscnt null, 0x0
	s_barrier
	buffer_gl0_inv
	s_clause 0x23
	buffer_load_dword v141, off, s[0:3], 0 offset:116
	buffer_load_dword v142, off, s[0:3], 0 offset:124
	;; [unrolled: 1-line block ×36, first 2 shown]
	ds_read_b128 v[5:8], v106 offset:496
	ds_read_b128 v[1:4], v106 offset:512
	;; [unrolled: 1-line block ×3, first 2 shown]
	s_clause 0x1
	buffer_load_dword v151, off, s[0:3], 0 offset:252
	buffer_load_dword v152, off, s[0:3], 0 offset:260
	ds_read_b128 v[147:150], v106 offset:544
	buffer_load_dword v155, off, s[0:3], 0 offset:108
	s_mov_b32 s4, exec_lo
	s_waitcnt vmcnt(38) lgkmcnt(3)
	v_mul_f32_e32 v153, v5, v141
	s_waitcnt vmcnt(37)
	v_mul_f32_e32 v154, v7, v142
	v_mul_f32_e32 v141, v6, v141
	;; [unrolled: 1-line block ×3, first 2 shown]
	s_waitcnt vmcnt(34)
	v_fmac_f32_e32 v153, v6, v113
	v_fmac_f32_e32 v154, v8, v112
	v_fma_f32 v113, v5, v113, -v141
	v_fma_f32 v112, v7, v112, -v142
	ds_read_b128 v[5:8], v106 offset:560
	s_waitcnt vmcnt(33) lgkmcnt(3)
	v_mul_f32_e32 v141, v1, v110
	v_mul_f32_e32 v110, v2, v110
	s_waitcnt vmcnt(32)
	v_mul_f32_e32 v142, v3, v109
	v_mul_f32_e32 v109, v4, v109
	s_waitcnt vmcnt(31) lgkmcnt(2)
	v_mul_f32_e32 v156, v143, v108
	v_fmac_f32_e32 v141, v2, v107
	v_fma_f32 v157, v1, v107, -v110
	s_waitcnt vmcnt(30)
	v_mul_f32_e32 v158, v145, v111
	v_mul_f32_e32 v107, v144, v108
	;; [unrolled: 1-line block ×3, first 2 shown]
	s_waitcnt vmcnt(26)
	v_fmac_f32_e32 v142, v4, v119
	v_fma_f32 v111, v3, v119, -v109
	ds_read_b128 v[1:4], v106 offset:576
	v_fmac_f32_e32 v156, v144, v118
	v_fma_f32 v118, v143, v118, -v107
	s_waitcnt vmcnt(25) lgkmcnt(2)
	v_mul_f32_e32 v119, v147, v115
	s_waitcnt vmcnt(24)
	v_mul_f32_e32 v143, v149, v116
	v_mul_f32_e32 v115, v148, v115
	v_mul_f32_e32 v116, v150, v116
	v_fmac_f32_e32 v158, v146, v117
	v_fma_f32 v117, v145, v117, -v108
	ds_read_b128 v[107:110], v106 offset:592
	v_fmac_f32_e32 v119, v148, v114
	s_waitcnt vmcnt(19)
	v_fmac_f32_e32 v143, v150, v130
	v_fma_f32 v114, v147, v114, -v115
	v_fma_f32 v115, v149, v130, -v116
	s_clause 0x4
	buffer_load_dword v116, off, s[0:3], 0 offset:268
	buffer_load_dword v130, off, s[0:3], 0 offset:288
	;; [unrolled: 1-line block ×5, first 2 shown]
	s_waitcnt lgkmcnt(2)
	v_mul_f32_e32 v144, v5, v120
	v_mul_f32_e32 v120, v6, v120
	s_waitcnt vmcnt(23)
	v_mul_f32_e32 v148, v7, v126
	v_mul_f32_e32 v126, v8, v126
	v_fmac_f32_e32 v144, v6, v125
	v_fma_f32 v5, v5, v125, -v120
	s_waitcnt vmcnt(22) lgkmcnt(1)
	v_mul_f32_e32 v120, v1, v123
	v_fmac_f32_e32 v148, v8, v122
	v_fma_f32 v122, v7, v122, -v126
	s_waitcnt vmcnt(21)
	v_mul_f32_e32 v125, v3, v124
	v_mul_f32_e32 v6, v2, v123
	;; [unrolled: 1-line block ×3, first 2 shown]
	s_clause 0x2
	buffer_load_dword v123, off, s[0:3], 0 offset:276
	buffer_load_dword v124, off, s[0:3], 0 offset:284
	;; [unrolled: 1-line block ×3, first 2 shown]
	v_fmac_f32_e32 v120, v2, v121
	s_waitcnt vmcnt(20)
	v_fmac_f32_e32 v125, v4, v139
	v_fma_f32 v121, v1, v121, -v6
	v_fma_f32 v139, v3, v139, -v7
	ds_read_b128 v[1:4], v106 offset:608
	v_add_f32_e32 v6, 0, v153
	v_add_f32_e32 v7, 0, v113
	s_waitcnt vmcnt(19) lgkmcnt(1)
	v_mul_f32_e32 v149, v107, v136
	s_waitcnt vmcnt(18)
	v_mul_f32_e32 v150, v109, v137
	v_mul_f32_e32 v8, v108, v136
	v_add_f32_e32 v6, v6, v154
	v_mul_f32_e32 v113, v110, v137
	v_add_f32_e32 v7, v7, v112
	v_fmac_f32_e32 v149, v108, v134
	v_fmac_f32_e32 v150, v110, v133
	v_add_f32_e32 v6, v6, v141
	v_fma_f32 v107, v107, v134, -v8
	v_fma_f32 v112, v109, v133, -v113
	v_add_f32_e32 v7, v7, v157
	s_clause 0x7
	buffer_load_dword v133, off, s[0:3], 0 offset:300
	buffer_load_dword v134, off, s[0:3], 0 offset:308
	;; [unrolled: 1-line block ×8, first 2 shown]
	v_add_f32_e32 v6, v6, v142
	v_add_f32_e32 v7, v7, v111
	s_waitcnt vmcnt(25) lgkmcnt(0)
	v_mul_f32_e32 v8, v2, v131
	v_mul_f32_e32 v113, v1, v131
	s_clause 0x3
	buffer_load_dword v131, off, s[0:3], 0 offset:332
	buffer_load_dword v142, off, s[0:3], 0 offset:340
	;; [unrolled: 1-line block ×4, first 2 shown]
	v_fma_f32 v111, v1, v128, -v8
	v_add_f32_e32 v1, v6, v156
	v_fmac_f32_e32 v113, v2, v128
	v_add_f32_e32 v6, v7, v118
	s_waitcnt vmcnt(28)
	v_mul_f32_e32 v118, v3, v129
	v_mul_f32_e32 v2, v4, v129
	v_add_f32_e32 v7, v1, v158
	s_clause 0x2
	buffer_load_dword v128, off, s[0:3], 0 offset:364
	buffer_load_dword v156, off, s[0:3], 0 offset:372
	;; [unrolled: 1-line block ×3, first 2 shown]
	s_waitcnt vmcnt(27)
	v_fmac_f32_e32 v118, v4, v140
	v_fma_f32 v140, v3, v140, -v2
	ds_read_b128 v[1:4], v106 offset:624
	v_add_f32_e32 v7, v7, v119
	v_add_f32_e32 v6, v6, v117
	;; [unrolled: 1-line block ×3, first 2 shown]
	s_clause 0x3
	buffer_load_dword v143, off, s[0:3], 0 offset:352
	buffer_load_dword v158, off, s[0:3], 0 offset:344
	;; [unrolled: 1-line block ×4, first 2 shown]
	v_add_f32_e32 v6, v6, v114
	v_add_f32_e32 v108, v7, v144
	;; [unrolled: 1-line block ×5, first 2 shown]
	ds_read_b128 v[5:8], v106 offset:640
	s_waitcnt vmcnt(30) lgkmcnt(1)
	v_mul_f32_e32 v115, v1, v138
	v_mul_f32_e32 v110, v2, v138
	s_waitcnt vmcnt(29)
	v_mul_f32_e32 v119, v3, v151
	v_fmac_f32_e32 v115, v2, v135
	v_fma_f32 v117, v1, v135, -v110
	s_clause 0x3
	buffer_load_dword v135, off, s[0:3], 0 offset:376
	buffer_load_dword v138, off, s[0:3], 0 offset:368
	buffer_load_dword v144, off, s[0:3], 0 offset:360
	buffer_load_dword v148, off, s[0:3], 0 offset:104
	v_add_f32_e32 v1, v109, v122
	v_add_f32_e32 v2, v108, v120
	v_mul_f32_e32 v108, v4, v151
	v_fmac_f32_e32 v119, v4, v132
	v_add_f32_e32 v1, v1, v121
	v_add_f32_e32 v2, v2, v125
	v_fma_f32 v120, v3, v132, -v108
	v_add_f32_e32 v109, v1, v139
	v_add_f32_e32 v114, v2, v149
	ds_read_b128 v[1:4], v106 offset:656
	s_waitcnt vmcnt(32) lgkmcnt(1)
	v_mul_f32_e32 v122, v5, v152
	v_mul_f32_e32 v125, v6, v152
	v_add_f32_e32 v121, v109, v107
	ds_read_b128 v[107:110], v106 offset:672
	v_add_f32_e32 v114, v114, v150
	v_fmac_f32_e32 v122, v6, v127
	v_fma_f32 v125, v5, v127, -v125
	v_add_f32_e32 v112, v121, v112
	v_add_f32_e32 v121, v114, v113
	;; [unrolled: 1-line block ×5, first 2 shown]
	s_waitcnt vmcnt(30)
	v_mul_f32_e32 v132, v7, v116
	v_mul_f32_e32 v116, v8, v116
	s_waitcnt vmcnt(26)
	v_fmac_f32_e32 v132, v8, v147
	v_fma_f32 v127, v7, v147, -v116
	v_add_f32_e32 v116, v112, v111
	ds_read_b128 v[5:8], v106 offset:688
	ds_read_b128 v[111:114], v106 offset:704
	v_add_f32_e32 v116, v116, v140
	s_waitcnt vmcnt(25) lgkmcnt(3)
	v_mul_f32_e32 v139, v1, v123
	v_mul_f32_e32 v121, v2, v123
	s_waitcnt vmcnt(24)
	v_mul_f32_e32 v140, v3, v124
	v_mul_f32_e32 v123, v4, v124
	s_waitcnt vmcnt(23) lgkmcnt(2)
	v_mul_f32_e32 v124, v107, v126
	v_fmac_f32_e32 v139, v2, v146
	v_fma_f32 v146, v1, v146, -v121
	v_add_f32_e32 v121, v116, v117
	v_fmac_f32_e32 v140, v4, v145
	v_fma_f32 v123, v3, v145, -v123
	v_mul_f32_e32 v126, v108, v126
	ds_read_b128 v[1:4], v106 offset:720
	ds_read_b128 v[115:118], v106 offset:736
	v_add_f32_e32 v145, v121, v120
	v_fmac_f32_e32 v124, v108, v130
	v_add_f32_e32 v108, v119, v122
	ds_read_b128 v[119:122], v106 offset:752
	v_fma_f32 v107, v107, v130, -v126
	v_add_f32_e32 v106, v145, v125
	s_waitcnt vmcnt(22)
	v_mul_f32_e32 v126, v110, v133
	v_add_f32_e32 v108, v108, v132
	v_mul_f32_e32 v125, v109, v133
	s_waitcnt vmcnt(21) lgkmcnt(4)
	v_mul_f32_e32 v130, v5, v134
	v_add_f32_e32 v106, v106, v127
	v_mul_f32_e32 v132, v6, v134
	v_add_f32_e32 v108, v108, v139
	s_waitcnt vmcnt(15)
	v_fma_f32 v109, v109, v157, -v126
	v_fmac_f32_e32 v125, v110, v157
	v_add_f32_e32 v106, v106, v146
	v_fmac_f32_e32 v130, v6, v154
	v_add_f32_e32 v108, v108, v140
	v_fma_f32 v5, v5, v154, -v132
	v_mul_f32_e32 v127, v7, v136
	v_add_f32_e32 v106, v106, v123
	v_mul_f32_e32 v123, v8, v136
	s_waitcnt lgkmcnt(3)
	v_mul_f32_e32 v110, v111, v137
	s_waitcnt vmcnt(14)
	v_mul_f32_e32 v126, v113, v131
	v_fmac_f32_e32 v127, v8, v153
	v_add_f32_e32 v106, v106, v107
	v_add_f32_e32 v107, v108, v124
	v_fma_f32 v7, v7, v153, -v123
	v_mul_f32_e32 v8, v114, v131
	v_fmac_f32_e32 v110, v112, v141
	v_add_f32_e32 v6, v106, v109
	v_add_f32_e32 v106, v107, v125
	v_mul_f32_e32 v107, v112, v137
	s_waitcnt vmcnt(13) lgkmcnt(2)
	v_mul_f32_e32 v133, v1, v142
	s_waitcnt vmcnt(12)
	v_mul_f32_e32 v134, v3, v159
	v_add_f32_e32 v5, v6, v5
	v_add_f32_e32 v6, v106, v130
	v_fma_f32 v106, v111, v141, -v107
	s_waitcnt vmcnt(4)
	v_fma_f32 v8, v113, v162, -v8
	v_fmac_f32_e32 v126, v114, v162
	v_add_f32_e32 v5, v5, v7
	v_add_f32_e32 v6, v6, v127
	v_mul_f32_e32 v7, v2, v142
	v_fmac_f32_e32 v133, v2, v161
	s_waitcnt lgkmcnt(1)
	v_mul_f32_e32 v139, v115, v160
	v_add_f32_e32 v5, v5, v106
	v_add_f32_e32 v6, v6, v110
	v_mul_f32_e32 v106, v4, v159
	v_fma_f32 v1, v1, v161, -v7
	v_fmac_f32_e32 v134, v4, v158
	v_add_f32_e32 v2, v5, v8
	v_add_f32_e32 v5, v6, v126
	v_mul_f32_e32 v6, v116, v160
	v_fma_f32 v3, v3, v158, -v106
	v_mul_f32_e32 v4, v118, v128
	v_add_f32_e32 v1, v2, v1
	v_add_f32_e32 v2, v5, v133
	v_fma_f32 v5, v115, v143, -v6
	v_mul_f32_e32 v136, v117, v128
	v_fmac_f32_e32 v139, v116, v143
	v_add_f32_e32 v1, v1, v3
	v_add_f32_e32 v2, v2, v134
	s_waitcnt lgkmcnt(0)
	v_mul_f32_e32 v3, v120, v156
	s_waitcnt vmcnt(1)
	v_fma_f32 v4, v117, v144, -v4
	v_mul_f32_e32 v140, v119, v156
	v_add_f32_e32 v1, v1, v5
	v_fmac_f32_e32 v136, v118, v144
	v_add_f32_e32 v2, v2, v139
	v_mul_f32_e32 v5, v122, v129
	v_fma_f32 v3, v119, v138, -v3
	v_add_f32_e32 v1, v1, v4
	v_mul_f32_e32 v108, v121, v129
	v_fmac_f32_e32 v140, v120, v138
	v_add_f32_e32 v2, v2, v136
	v_fma_f32 v4, v121, v135, -v5
	v_add_f32_e32 v1, v1, v3
	v_fmac_f32_e32 v108, v122, v135
	v_add_f32_e32 v2, v2, v140
	v_add_f32_e32 v1, v1, v4
	;; [unrolled: 1-line block ×3, first 2 shown]
	s_waitcnt vmcnt(0)
	v_sub_f32_e32 v1, v148, v1
	v_sub_f32_e32 v2, v155, v2
	buffer_store_dword v1, off, s[0:3], 0 offset:104
	buffer_store_dword v2, off, s[0:3], 0 offset:108
	v_cmpx_lt_u32_e32 12, v0
	s_cbranch_execz .LBB47_277
; %bb.276:
	s_clause 0x1
	buffer_load_dword v1, off, s[0:3], 0 offset:96
	buffer_load_dword v2, off, s[0:3], 0 offset:100
	v_mov_b32_e32 v3, 0
	buffer_store_dword v3, off, s[0:3], 0 offset:96
	buffer_store_dword v3, off, s[0:3], 0 offset:100
	s_waitcnt vmcnt(0)
	ds_write_b64 v105, v[1:2]
.LBB47_277:
	s_or_b32 exec_lo, exec_lo, s4
	s_waitcnt lgkmcnt(0)
	s_waitcnt_vscnt null, 0x0
	s_barrier
	buffer_gl0_inv
	s_clause 0x2a
	buffer_load_dword v7, off, s[0:3], 0 offset:108
	buffer_load_dword v8, off, s[0:3], 0 offset:116
	;; [unrolled: 1-line block ×43, first 2 shown]
	v_mov_b32_e32 v1, 0
	ds_read2_b64 v[138:141], v1 offset0:61 offset1:62
	ds_read2_b64 v[142:145], v1 offset0:63 offset1:64
	;; [unrolled: 1-line block ×3, first 2 shown]
	buffer_load_dword v156, off, s[0:3], 0 offset:100
	s_mov_b32 s4, exec_lo
	s_waitcnt vmcnt(43) lgkmcnt(2)
	v_mul_f32_e32 v154, v138, v7
	s_waitcnt vmcnt(42)
	v_mul_f32_e32 v155, v140, v8
	v_mul_f32_e32 v7, v139, v7
	;; [unrolled: 1-line block ×3, first 2 shown]
	s_waitcnt vmcnt(39)
	v_fmac_f32_e32 v154, v139, v6
	v_fmac_f32_e32 v155, v141, v5
	v_fma_f32 v157, v138, v6, -v7
	v_fma_f32 v158, v140, v5, -v8
	ds_read2_b64 v[5:8], v1 offset0:67 offset1:68
	ds_read2_b64 v[138:141], v1 offset0:69 offset1:70
	s_waitcnt vmcnt(38) lgkmcnt(3)
	v_mul_f32_e32 v159, v142, v3
	v_mul_f32_e32 v3, v143, v3
	s_waitcnt vmcnt(37)
	v_mul_f32_e32 v160, v144, v4
	v_mul_f32_e32 v4, v145, v4
	s_waitcnt vmcnt(32) lgkmcnt(2)
	v_mul_f32_e32 v162, v146, v113
	v_fmac_f32_e32 v159, v143, v2
	v_fma_f32 v161, v142, v2, -v3
	v_mul_f32_e32 v2, v147, v113
	s_waitcnt vmcnt(31)
	v_mul_f32_e32 v163, v148, v112
	v_mul_f32_e32 v3, v149, v112
	v_fmac_f32_e32 v160, v145, v114
	v_fma_f32 v114, v144, v114, -v4
	v_fmac_f32_e32 v162, v147, v109
	v_fma_f32 v146, v146, v109, -v2
	;; [unrolled: 2-line block ×3, first 2 shown]
	ds_read2_b64 v[142:145], v1 offset0:71 offset1:72
	s_waitcnt vmcnt(30) lgkmcnt(2)
	v_mul_f32_e32 v147, v5, v110
	v_mul_f32_e32 v2, v6, v110
	s_waitcnt vmcnt(29)
	v_mul_f32_e32 v149, v7, v108
	v_mul_f32_e32 v3, v8, v108
	s_waitcnt vmcnt(28) lgkmcnt(1)
	v_mul_f32_e32 v164, v138, v111
	v_fmac_f32_e32 v147, v6, v106
	v_fma_f32 v6, v5, v106, -v2
	s_waitcnt vmcnt(24)
	v_fmac_f32_e32 v149, v8, v121
	v_fma_f32 v7, v7, v121, -v3
	s_waitcnt vmcnt(23)
	v_mul_f32_e32 v8, v140, v120
	v_mul_f32_e32 v106, v139, v111
	v_mul_f32_e32 v107, v141, v120
	ds_read2_b64 v[2:5], v1 offset0:73 offset1:74
	v_fmac_f32_e32 v164, v139, v119
	v_fmac_f32_e32 v8, v141, v116
	v_fma_f32 v119, v138, v119, -v106
	v_fma_f32 v116, v140, v116, -v107
	ds_read2_b64 v[106:109], v1 offset0:75 offset1:76
	s_waitcnt vmcnt(22) lgkmcnt(2)
	v_mul_f32_e32 v120, v142, v118
	v_mul_f32_e32 v110, v143, v118
	s_waitcnt vmcnt(21)
	v_mul_f32_e32 v118, v144, v117
	v_mul_f32_e32 v111, v145, v117
	buffer_load_dword v117, off, s[0:3], 0 offset:268
	v_fmac_f32_e32 v120, v143, v115
	v_fma_f32 v115, v142, v115, -v110
	s_waitcnt vmcnt(18)
	v_fmac_f32_e32 v118, v145, v129
	v_fma_f32 v121, v144, v129, -v111
	s_waitcnt vmcnt(17) lgkmcnt(1)
	v_mul_f32_e32 v129, v2, v127
	s_waitcnt vmcnt(16)
	v_mul_f32_e32 v138, v4, v128
	v_mul_f32_e32 v110, v3, v127
	;; [unrolled: 1-line block ×3, first 2 shown]
	v_fmac_f32_e32 v129, v3, v124
	v_fmac_f32_e32 v138, v5, v123
	v_fma_f32 v124, v2, v124, -v110
	v_fma_f32 v123, v4, v123, -v111
	ds_read2_b64 v[2:5], v1 offset0:77 offset1:78
	s_waitcnt vmcnt(15) lgkmcnt(1)
	v_mul_f32_e32 v127, v106, v126
	v_mul_f32_e32 v112, v107, v126
	s_waitcnt vmcnt(14)
	v_mul_f32_e32 v126, v108, v125
	v_mul_f32_e32 v125, v109, v125
	v_fmac_f32_e32 v127, v107, v122
	v_fma_f32 v122, v106, v122, -v112
	ds_read2_b64 v[110:113], v1 offset0:79 offset1:80
	s_waitcnt vmcnt(10)
	v_fmac_f32_e32 v126, v109, v137
	v_fma_f32 v125, v108, v137, -v125
	s_clause 0x1
	buffer_load_dword v128, off, s[0:3], 0 offset:276
	buffer_load_dword v137, off, s[0:3], 0 offset:284
	s_waitcnt vmcnt(11) lgkmcnt(1)
	v_mul_f32_e32 v139, v2, v136
	v_mul_f32_e32 v106, v3, v136
	s_waitcnt vmcnt(10)
	v_mul_f32_e32 v140, v4, v135
	v_mul_f32_e32 v107, v5, v135
	buffer_load_dword v136, off, s[0:3], 0 offset:292
	v_fmac_f32_e32 v139, v3, v133
	v_fma_f32 v133, v2, v133, -v106
	v_fmac_f32_e32 v140, v5, v131
	s_waitcnt vmcnt(10) lgkmcnt(0)
	v_mul_f32_e32 v135, v110, v134
	v_mul_f32_e32 v2, v111, v134
	s_waitcnt vmcnt(9)
	v_mul_f32_e32 v3, v113, v132
	s_clause 0x3
	buffer_load_dword v134, off, s[0:3], 0 offset:312
	buffer_load_dword v141, off, s[0:3], 0 offset:304
	;; [unrolled: 1-line block ×4, first 2 shown]
	v_mul_f32_e32 v144, v112, v132
	v_fmac_f32_e32 v135, v111, v130
	v_fma_f32 v130, v110, v130, -v2
	v_add_f32_e32 v2, 0, v154
	s_clause 0x1
	buffer_load_dword v132, off, s[0:3], 0 offset:300
	buffer_load_dword v154, off, s[0:3], 0 offset:316
	s_waitcnt vmcnt(11)
	v_fma_f32 v145, v112, v153, -v3
	v_add_f32_e32 v3, 0, v157
	v_add_f32_e32 v2, v2, v155
	v_fmac_f32_e32 v144, v113, v153
	s_clause 0x4
	buffer_load_dword v153, off, s[0:3], 0 offset:308
	buffer_load_dword v155, off, s[0:3], 0 offset:324
	;; [unrolled: 1-line block ×5, first 2 shown]
	v_add_f32_e32 v3, v3, v158
	v_add_f32_e32 v2, v2, v159
	s_clause 0x1
	buffer_load_dword v158, off, s[0:3], 0 offset:356
	buffer_load_dword v159, off, s[0:3], 0 offset:364
	v_fma_f32 v131, v4, v131, -v107
	v_add_f32_e32 v3, v3, v161
	v_add_f32_e32 v2, v2, v160
	s_clause 0x1
	buffer_load_dword v160, off, s[0:3], 0 offset:372
	buffer_load_dword v161, off, s[0:3], 0 offset:380
	v_add_f32_e32 v3, v3, v114
	v_add_f32_e32 v2, v2, v162
	;; [unrolled: 1-line block ×4, first 2 shown]
	s_clause 0x3
	buffer_load_dword v146, off, s[0:3], 0 offset:344
	buffer_load_dword v162, off, s[0:3], 0 offset:336
	;; [unrolled: 1-line block ×4, first 2 shown]
	v_add_f32_e32 v3, v3, v148
	v_add_f32_e32 v2, v2, v147
	;; [unrolled: 1-line block ×4, first 2 shown]
	s_clause 0x4
	buffer_load_dword v147, off, s[0:3], 0 offset:376
	buffer_load_dword v148, off, s[0:3], 0 offset:368
	;; [unrolled: 1-line block ×5, first 2 shown]
	ds_read2_b64 v[106:109], v1 offset0:83 offset1:84
	v_add_f32_e32 v3, v3, v7
	v_add_f32_e32 v2, v2, v164
	;; [unrolled: 1-line block ×5, first 2 shown]
	ds_read2_b64 v[2:5], v1 offset0:81 offset1:82
	v_add_f32_e32 v6, v6, v120
	v_add_f32_e32 v7, v7, v115
	v_add_f32_e32 v6, v6, v118
	v_add_f32_e32 v7, v7, v121
	v_add_f32_e32 v6, v6, v129
	v_add_f32_e32 v7, v7, v124
	v_add_f32_e32 v6, v6, v138
	v_add_f32_e32 v7, v7, v123
	v_add_f32_e32 v6, v6, v127
	v_add_f32_e32 v6, v6, v126
	v_add_f32_e32 v6, v6, v139
	v_add_f32_e32 v6, v6, v140
	v_add_f32_e32 v129, v6, v135
	v_add_f32_e32 v129, v129, v144
	s_waitcnt vmcnt(27) lgkmcnt(0)
	v_mul_f32_e32 v8, v2, v117
	v_mul_f32_e32 v110, v3, v117
	v_fmac_f32_e32 v8, v3, v152
	v_add_f32_e32 v3, v7, v122
	v_fma_f32 v122, v2, v152, -v110
	v_add_f32_e32 v8, v129, v8
	v_add_f32_e32 v7, v3, v125
	;; [unrolled: 1-line block ×5, first 2 shown]
	s_waitcnt vmcnt(26)
	v_mul_f32_e32 v123, v4, v128
	v_mul_f32_e32 v111, v5, v128
	v_add_f32_e32 v130, v7, v145
	s_waitcnt vmcnt(25)
	v_mul_f32_e32 v118, v107, v137
	v_mul_f32_e32 v125, v106, v137
	v_fmac_f32_e32 v123, v5, v151
	v_fma_f32 v124, v4, v151, -v111
	ds_read2_b64 v[2:5], v1 offset0:85 offset1:86
	ds_read2_b64 v[110:113], v1 offset0:87 offset1:88
	v_add_f32_e32 v122, v130, v122
	v_fma_f32 v128, v106, v150, -v118
	v_fmac_f32_e32 v125, v107, v150
	v_add_f32_e32 v8, v8, v123
	ds_read2_b64 v[114:117], v1 offset0:89 offset1:90
	ds_read2_b64 v[118:121], v1 offset0:91 offset1:92
	s_waitcnt vmcnt(24)
	v_mul_f32_e32 v127, v109, v136
	v_add_f32_e32 v122, v122, v124
	v_mul_f32_e32 v126, v108, v136
	v_add_f32_e32 v8, v8, v125
	v_add_f32_e32 v122, v122, v128
	s_waitcnt vmcnt(20)
	v_fma_f32 v127, v108, v143, -v127
	v_fmac_f32_e32 v126, v109, v143
	ds_read2_b64 v[106:109], v1 offset0:93 offset1:94
	ds_read_b64 v[6:7], v1 offset:760
	s_waitcnt vmcnt(19) lgkmcnt(5)
	v_mul_f32_e32 v130, v3, v132
	v_mul_f32_e32 v131, v2, v132
	v_add_f32_e32 v122, v122, v127
	v_add_f32_e32 v8, v8, v126
	s_waitcnt vmcnt(18) lgkmcnt(4)
	v_mul_f32_e32 v129, v110, v154
	v_fma_f32 v2, v2, v142, -v130
	s_waitcnt vmcnt(17)
	v_mul_f32_e32 v132, v5, v153
	v_mul_f32_e32 v133, v4, v153
	v_fmac_f32_e32 v131, v3, v142
	v_mul_f32_e32 v130, v111, v154
	v_add_f32_e32 v2, v122, v2
	v_fma_f32 v4, v4, v141, -v132
	v_fmac_f32_e32 v133, v5, v141
	v_add_f32_e32 v5, v8, v131
	s_waitcnt vmcnt(16)
	v_mul_f32_e32 v8, v113, v155
	v_fma_f32 v110, v110, v134, -v130
	v_add_f32_e32 v2, v2, v4
	v_mul_f32_e32 v124, v112, v155
	v_fmac_f32_e32 v129, v111, v134
	v_add_f32_e32 v4, v5, v133
	s_waitcnt vmcnt(15) lgkmcnt(3)
	v_mul_f32_e32 v5, v115, v157
	v_add_f32_e32 v2, v2, v110
	v_mul_f32_e32 v135, v114, v157
	s_waitcnt vmcnt(14)
	v_mul_f32_e32 v110, v117, v165
	v_add_f32_e32 v4, v4, v129
	s_waitcnt vmcnt(5)
	v_fma_f32 v8, v112, v167, -v8
	v_fmac_f32_e32 v124, v113, v167
	v_fma_f32 v5, v114, v163, -v5
	v_mul_f32_e32 v123, v116, v165
	v_fmac_f32_e32 v135, v115, v163
	v_add_f32_e32 v2, v2, v8
	v_add_f32_e32 v4, v4, v124
	s_waitcnt lgkmcnt(2)
	v_mul_f32_e32 v8, v119, v166
	v_fma_f32 v110, v116, v162, -v110
	v_mul_f32_e32 v128, v118, v166
	v_add_f32_e32 v2, v2, v5
	v_fmac_f32_e32 v123, v117, v162
	v_add_f32_e32 v4, v4, v135
	v_mul_f32_e32 v5, v121, v158
	v_fma_f32 v8, v118, v146, -v8
	v_add_f32_e32 v2, v2, v110
	v_mul_f32_e32 v3, v120, v158
	v_fmac_f32_e32 v128, v119, v146
	v_add_f32_e32 v4, v4, v123
	s_waitcnt lgkmcnt(1)
	v_mul_f32_e32 v110, v107, v159
	s_waitcnt vmcnt(1)
	v_fma_f32 v5, v120, v168, -v5
	v_add_f32_e32 v2, v2, v8
	v_mul_f32_e32 v125, v106, v159
	v_fmac_f32_e32 v3, v121, v168
	v_add_f32_e32 v4, v4, v128
	v_mul_f32_e32 v8, v109, v160
	v_fma_f32 v106, v106, v149, -v110
	v_add_f32_e32 v2, v2, v5
	v_mul_f32_e32 v127, v108, v160
	v_fmac_f32_e32 v125, v107, v149
	v_add_f32_e32 v3, v4, v3
	s_waitcnt lgkmcnt(0)
	v_mul_f32_e32 v4, v7, v161
	v_fma_f32 v5, v108, v148, -v8
	v_add_f32_e32 v2, v2, v106
	v_mul_f32_e32 v126, v6, v161
	v_fmac_f32_e32 v127, v109, v148
	v_add_f32_e32 v3, v3, v125
	v_fma_f32 v4, v6, v147, -v4
	v_add_f32_e32 v2, v2, v5
	v_fmac_f32_e32 v126, v7, v147
	v_add_f32_e32 v3, v3, v127
	v_add_f32_e32 v2, v2, v4
	;; [unrolled: 1-line block ×3, first 2 shown]
	s_waitcnt vmcnt(0)
	v_sub_f32_e32 v2, v169, v2
	v_sub_f32_e32 v3, v156, v3
	buffer_store_dword v2, off, s[0:3], 0 offset:96
	buffer_store_dword v3, off, s[0:3], 0 offset:100
	v_cmpx_lt_u32_e32 11, v0
	s_cbranch_execz .LBB47_279
; %bb.278:
	s_clause 0x1
	buffer_load_dword v2, off, s[0:3], 0 offset:88
	buffer_load_dword v3, off, s[0:3], 0 offset:92
	buffer_store_dword v1, off, s[0:3], 0 offset:88
	buffer_store_dword v1, off, s[0:3], 0 offset:92
	s_waitcnt vmcnt(0)
	ds_write_b64 v105, v[2:3]
.LBB47_279:
	s_or_b32 exec_lo, exec_lo, s4
	s_waitcnt lgkmcnt(0)
	s_waitcnt_vscnt null, 0x0
	s_barrier
	buffer_gl0_inv
	s_clause 0x2a
	buffer_load_dword v8, off, s[0:3], 0 offset:100
	buffer_load_dword v106, off, s[0:3], 0 offset:108
	;; [unrolled: 1-line block ×43, first 2 shown]
	ds_read_b128 v[138:141], v1 offset:480
	ds_read_b128 v[142:145], v1 offset:496
	;; [unrolled: 1-line block ×3, first 2 shown]
	buffer_load_dword v156, off, s[0:3], 0 offset:92
	s_mov_b32 s4, exec_lo
	s_waitcnt vmcnt(43) lgkmcnt(2)
	v_mul_f32_e32 v154, v138, v8
	s_waitcnt vmcnt(42)
	v_mul_f32_e32 v155, v140, v106
	v_mul_f32_e32 v8, v139, v8
	;; [unrolled: 1-line block ×3, first 2 shown]
	s_waitcnt vmcnt(39)
	v_fmac_f32_e32 v154, v139, v6
	v_fmac_f32_e32 v155, v141, v5
	v_fma_f32 v6, v138, v6, -v8
	v_fma_f32 v8, v140, v5, -v106
	ds_read_b128 v[138:141], v1 offset:528
	s_waitcnt vmcnt(38) lgkmcnt(2)
	v_mul_f32_e32 v157, v142, v3
	s_waitcnt vmcnt(37)
	v_mul_f32_e32 v158, v144, v4
	v_mul_f32_e32 v3, v143, v3
	;; [unrolled: 1-line block ×3, first 2 shown]
	s_waitcnt vmcnt(32) lgkmcnt(1)
	v_mul_f32_e32 v106, v147, v111
	v_fmac_f32_e32 v157, v143, v2
	v_fmac_f32_e32 v158, v145, v113
	v_fma_f32 v142, v142, v2, -v3
	v_fma_f32 v143, v144, v113, -v4
	ds_read_b128 v[2:5], v1 offset:544
	v_mul_f32_e32 v144, v146, v111
	s_waitcnt vmcnt(31)
	v_mul_f32_e32 v145, v148, v112
	v_mul_f32_e32 v111, v149, v112
	v_fma_f32 v146, v146, v110, -v106
	v_fmac_f32_e32 v144, v147, v110
	v_fmac_f32_e32 v145, v149, v107
	v_fma_f32 v147, v148, v107, -v111
	ds_read_b128 v[110:113], v1 offset:560
	s_waitcnt vmcnt(30) lgkmcnt(2)
	v_mul_f32_e32 v148, v138, v108
	s_waitcnt vmcnt(29)
	v_mul_f32_e32 v149, v140, v109
	v_mul_f32_e32 v106, v139, v108
	;; [unrolled: 1-line block ×3, first 2 shown]
	v_fmac_f32_e32 v148, v139, v7
	s_waitcnt vmcnt(25)
	v_fmac_f32_e32 v149, v141, v121
	v_fma_f32 v7, v138, v7, -v106
	v_fma_f32 v121, v140, v121, -v107
	ds_read_b128 v[106:109], v1 offset:576
	s_waitcnt vmcnt(24) lgkmcnt(2)
	v_mul_f32_e32 v138, v2, v119
	s_waitcnt vmcnt(23)
	v_mul_f32_e32 v139, v4, v120
	v_mul_f32_e32 v119, v3, v119
	;; [unrolled: 1-line block ×3, first 2 shown]
	v_fmac_f32_e32 v138, v3, v118
	v_fmac_f32_e32 v139, v5, v115
	v_fma_f32 v118, v2, v118, -v119
	v_fma_f32 v115, v4, v115, -v120
	ds_read_b128 v[2:5], v1 offset:592
	s_waitcnt vmcnt(22) lgkmcnt(2)
	v_mul_f32_e32 v119, v110, v116
	s_waitcnt vmcnt(21)
	v_mul_f32_e32 v120, v112, v117
	v_mul_f32_e32 v116, v111, v116
	;; [unrolled: 1-line block ×3, first 2 shown]
	v_fmac_f32_e32 v119, v111, v114
	s_waitcnt vmcnt(17)
	v_fmac_f32_e32 v120, v113, v129
	v_fma_f32 v114, v110, v114, -v116
	v_fma_f32 v116, v112, v129, -v117
	s_waitcnt vmcnt(16) lgkmcnt(1)
	v_mul_f32_e32 v117, v106, v127
	v_mul_f32_e32 v127, v107, v127
	ds_read_b128 v[110:113], v1 offset:608
	s_waitcnt vmcnt(15)
	v_mul_f32_e32 v129, v108, v128
	v_mul_f32_e32 v128, v109, v128
	v_fmac_f32_e32 v117, v107, v126
	v_fma_f32 v106, v106, v126, -v127
	s_clause 0x1
	buffer_load_dword v126, off, s[0:3], 0 offset:260
	buffer_load_dword v127, off, s[0:3], 0 offset:268
	v_fmac_f32_e32 v129, v109, v123
	v_fma_f32 v123, v108, v123, -v128
	s_waitcnt vmcnt(16) lgkmcnt(1)
	v_mul_f32_e32 v128, v2, v124
	s_waitcnt vmcnt(15)
	v_mul_f32_e32 v140, v4, v125
	v_mul_f32_e32 v107, v3, v124
	;; [unrolled: 1-line block ×3, first 2 shown]
	buffer_load_dword v125, off, s[0:3], 0 offset:276
	v_fmac_f32_e32 v128, v3, v122
	s_waitcnt vmcnt(12)
	v_fmac_f32_e32 v140, v5, v137
	v_fma_f32 v122, v2, v122, -v107
	v_fma_f32 v124, v4, v137, -v108
	ds_read_b128 v[2:5], v1 offset:624
	s_waitcnt vmcnt(11) lgkmcnt(1)
	v_mul_f32_e32 v137, v110, v135
	s_waitcnt vmcnt(10)
	v_mul_f32_e32 v141, v112, v136
	v_mul_f32_e32 v107, v111, v135
	;; [unrolled: 1-line block ×3, first 2 shown]
	s_clause 0x5
	buffer_load_dword v135, off, s[0:3], 0 offset:284
	buffer_load_dword v136, off, s[0:3], 0 offset:304
	;; [unrolled: 1-line block ×6, first 2 shown]
	v_fmac_f32_e32 v137, v111, v134
	v_fma_f32 v134, v110, v134, -v107
	v_fmac_f32_e32 v141, v113, v133
	v_fma_f32 v133, v112, v133, -v108
	s_waitcnt vmcnt(15) lgkmcnt(0)
	v_mul_f32_e32 v162, v2, v132
	v_mul_f32_e32 v107, v3, v132
	v_fmac_f32_e32 v162, v3, v130
	v_add_f32_e32 v3, 0, v154
	v_fma_f32 v130, v2, v130, -v107
	v_add_f32_e32 v2, 0, v6
	s_waitcnt vmcnt(14)
	v_mul_f32_e32 v6, v4, v131
	v_mul_f32_e32 v107, v5, v131
	v_add_f32_e32 v3, v3, v155
	buffer_load_dword v131, off, s[0:3], 0 offset:300
	v_add_f32_e32 v2, v2, v8
	buffer_load_dword v8, off, s[0:3], 0 offset:308
	s_waitcnt vmcnt(12)
	v_fmac_f32_e32 v6, v5, v153
	v_add_f32_e32 v3, v3, v157
	v_fma_f32 v132, v4, v153, -v107
	v_add_f32_e32 v2, v2, v142
	s_clause 0x3
	buffer_load_dword v153, off, s[0:3], 0 offset:316
	buffer_load_dword v142, off, s[0:3], 0 offset:324
	;; [unrolled: 1-line block ×4, first 2 shown]
	v_add_f32_e32 v3, v3, v158
	v_add_f32_e32 v2, v2, v143
	s_clause 0x3
	buffer_load_dword v143, off, s[0:3], 0 offset:348
	buffer_load_dword v157, off, s[0:3], 0 offset:356
	;; [unrolled: 1-line block ×4, first 2 shown]
	v_add_f32_e32 v3, v3, v144
	buffer_load_dword v144, off, s[0:3], 0 offset:380
	v_add_f32_e32 v2, v2, v146
	v_add_f32_e32 v3, v3, v145
	;; [unrolled: 1-line block ×3, first 2 shown]
	s_clause 0x3
	buffer_load_dword v145, off, s[0:3], 0 offset:336
	buffer_load_dword v146, off, s[0:3], 0 offset:328
	;; [unrolled: 1-line block ×4, first 2 shown]
	v_add_f32_e32 v3, v3, v148
	v_add_f32_e32 v2, v2, v7
	;; [unrolled: 1-line block ×3, first 2 shown]
	s_clause 0x4
	buffer_load_dword v7, off, s[0:3], 0 offset:368
	buffer_load_dword v148, off, s[0:3], 0 offset:360
	;; [unrolled: 1-line block ×5, first 2 shown]
	v_add_f32_e32 v2, v2, v121
	v_add_f32_e32 v3, v3, v138
	buffer_load_dword v138, off, s[0:3], 0 offset:376
	v_add_f32_e32 v2, v2, v118
	v_add_f32_e32 v3, v3, v139
	v_add_f32_e32 v2, v2, v115
	v_add_f32_e32 v107, v3, v119
	v_add_f32_e32 v108, v2, v114
	ds_read_b128 v[2:5], v1 offset:640
	v_add_f32_e32 v107, v107, v120
	v_add_f32_e32 v108, v108, v116
	;; [unrolled: 1-line block ×4, first 2 shown]
	ds_read_b128 v[106:109], v1 offset:656
	v_add_f32_e32 v110, v110, v129
	v_add_f32_e32 v111, v111, v123
	;; [unrolled: 1-line block ×11, first 2 shown]
	s_waitcnt vmcnt(29) lgkmcnt(1)
	v_mul_f32_e32 v129, v2, v126
	v_mul_f32_e32 v112, v3, v126
	s_waitcnt vmcnt(28)
	v_mul_f32_e32 v126, v4, v127
	v_mul_f32_e32 v113, v5, v127
	v_fmac_f32_e32 v129, v3, v152
	v_fma_f32 v127, v2, v152, -v112
	v_fmac_f32_e32 v126, v5, v151
	v_fma_f32 v128, v4, v151, -v113
	ds_read_b128 v[2:5], v1 offset:672
	ds_read_b128 v[110:113], v1 offset:688
	s_waitcnt vmcnt(27) lgkmcnt(2)
	v_mul_f32_e32 v139, v106, v125
	v_mul_f32_e32 v116, v107, v125
	v_fmac_f32_e32 v139, v107, v150
	v_add_f32_e32 v107, v115, v141
	v_fma_f32 v134, v106, v150, -v116
	s_waitcnt vmcnt(26)
	v_mul_f32_e32 v140, v108, v135
	v_mul_f32_e32 v117, v109, v135
	v_add_f32_e32 v119, v107, v162
	s_waitcnt vmcnt(22)
	v_fmac_f32_e32 v140, v109, v161
	v_fma_f32 v133, v108, v161, -v117
	v_add_f32_e32 v6, v119, v6
	ds_read_b128 v[106:109], v1 offset:704
	ds_read_b128 v[114:117], v1 offset:720
	s_waitcnt vmcnt(21) lgkmcnt(3)
	v_mul_f32_e32 v123, v3, v163
	v_mul_f32_e32 v130, v2, v163
	ds_read_b128 v[118:121], v1 offset:736
	v_fma_f32 v2, v2, v160, -v123
	ds_read_b128 v[122:125], v1 offset:752
	v_add_f32_e32 v1, v132, v127
	v_fmac_f32_e32 v130, v3, v160
	v_add_f32_e32 v3, v6, v129
	v_add_f32_e32 v1, v1, v128
	;; [unrolled: 1-line block ×3, first 2 shown]
	s_waitcnt vmcnt(20)
	v_mul_f32_e32 v127, v5, v131
	v_add_f32_e32 v1, v1, v134
	v_mul_f32_e32 v6, v4, v131
	v_add_f32_e32 v3, v3, v139
	s_waitcnt vmcnt(19) lgkmcnt(4)
	v_mul_f32_e32 v126, v110, v8
	v_mul_f32_e32 v8, v111, v8
	v_add_f32_e32 v1, v1, v133
	v_fma_f32 v4, v4, v159, -v127
	v_add_f32_e32 v3, v3, v140
	v_fmac_f32_e32 v6, v5, v159
	s_waitcnt vmcnt(18)
	v_mul_f32_e32 v133, v113, v153
	v_add_f32_e32 v1, v1, v2
	v_fma_f32 v8, v110, v136, -v8
	v_add_f32_e32 v2, v3, v130
	v_mul_f32_e32 v128, v112, v153
	v_fmac_f32_e32 v126, v111, v136
	v_add_f32_e32 v1, v1, v4
	s_waitcnt vmcnt(17) lgkmcnt(3)
	v_mul_f32_e32 v4, v107, v142
	v_add_f32_e32 v2, v2, v6
	v_mul_f32_e32 v5, v106, v142
	s_waitcnt vmcnt(16)
	v_mul_f32_e32 v127, v108, v154
	v_add_f32_e32 v1, v1, v8
	s_waitcnt vmcnt(6)
	v_fma_f32 v6, v112, v165, -v133
	v_fmac_f32_e32 v128, v113, v165
	v_add_f32_e32 v2, v2, v126
	v_mul_f32_e32 v8, v109, v154
	v_fma_f32 v4, v106, v147, -v4
	v_add_f32_e32 v1, v1, v6
	v_fmac_f32_e32 v5, v107, v147
	v_add_f32_e32 v2, v2, v128
	s_waitcnt lgkmcnt(2)
	v_mul_f32_e32 v6, v115, v155
	v_fma_f32 v8, v108, v146, -v8
	v_add_f32_e32 v1, v1, v4
	v_mul_f32_e32 v129, v114, v155
	v_fmac_f32_e32 v127, v109, v146
	v_add_f32_e32 v2, v2, v5
	v_mul_f32_e32 v4, v117, v143
	v_fma_f32 v5, v114, v145, -v6
	v_add_f32_e32 v1, v1, v8
	v_mul_f32_e32 v131, v116, v143
	v_fmac_f32_e32 v129, v115, v145
	v_add_f32_e32 v2, v2, v127
	s_waitcnt lgkmcnt(1)
	v_mul_f32_e32 v6, v119, v157
	s_waitcnt vmcnt(2)
	v_fma_f32 v4, v116, v166, -v4
	v_add_f32_e32 v1, v1, v5
	v_mul_f32_e32 v132, v118, v157
	v_fmac_f32_e32 v131, v117, v166
	v_add_f32_e32 v2, v2, v129
	v_mul_f32_e32 v5, v121, v158
	v_fma_f32 v6, v118, v149, -v6
	v_add_f32_e32 v1, v1, v4
	v_mul_f32_e32 v134, v120, v158
	v_fmac_f32_e32 v132, v119, v149
	v_add_f32_e32 v2, v2, v131
	s_waitcnt lgkmcnt(0)
	v_mul_f32_e32 v4, v123, v164
	v_fma_f32 v5, v120, v148, -v5
	v_add_f32_e32 v1, v1, v6
	v_mul_f32_e32 v135, v122, v164
	v_fmac_f32_e32 v134, v121, v148
	v_add_f32_e32 v2, v2, v132
	v_mul_f32_e32 v6, v125, v144
	v_fma_f32 v4, v122, v7, -v4
	v_add_f32_e32 v1, v1, v5
	v_mul_f32_e32 v3, v124, v144
	v_fmac_f32_e32 v135, v123, v7
	v_add_f32_e32 v2, v2, v134
	s_waitcnt vmcnt(0)
	v_fma_f32 v5, v124, v138, -v6
	v_add_f32_e32 v1, v1, v4
	v_fmac_f32_e32 v3, v125, v138
	v_add_f32_e32 v2, v2, v135
	v_add_f32_e32 v1, v1, v5
	;; [unrolled: 1-line block ×3, first 2 shown]
	v_sub_f32_e32 v1, v167, v1
	v_sub_f32_e32 v2, v156, v2
	buffer_store_dword v1, off, s[0:3], 0 offset:88
	buffer_store_dword v2, off, s[0:3], 0 offset:92
	v_cmpx_lt_u32_e32 10, v0
	s_cbranch_execz .LBB47_281
; %bb.280:
	s_clause 0x1
	buffer_load_dword v1, off, s[0:3], 0 offset:80
	buffer_load_dword v2, off, s[0:3], 0 offset:84
	v_mov_b32_e32 v3, 0
	buffer_store_dword v3, off, s[0:3], 0 offset:80
	buffer_store_dword v3, off, s[0:3], 0 offset:84
	s_waitcnt vmcnt(0)
	ds_write_b64 v105, v[1:2]
.LBB47_281:
	s_or_b32 exec_lo, exec_lo, s4
	s_waitcnt lgkmcnt(0)
	s_waitcnt_vscnt null, 0x0
	s_barrier
	buffer_gl0_inv
	s_clause 0x2b
	buffer_load_dword v137, off, s[0:3], 0 offset:92
	buffer_load_dword v2, off, s[0:3], 0 offset:104
	;; [unrolled: 1-line block ×44, first 2 shown]
	v_mov_b32_e32 v1, 0
	ds_read2_b64 v[138:141], v1 offset0:59 offset1:60
	ds_read2_b64 v[142:145], v1 offset0:61 offset1:62
	;; [unrolled: 1-line block ×3, first 2 shown]
	buffer_load_dword v156, off, s[0:3], 0 offset:84
	s_mov_b32 s4, exec_lo
	s_waitcnt vmcnt(44) lgkmcnt(2)
	v_mul_f32_e32 v155, v138, v137
	v_mul_f32_e32 v137, v139, v137
	s_waitcnt vmcnt(40)
	v_mul_f32_e32 v158, v140, v106
	v_mul_f32_e32 v106, v141, v106
	v_fmac_f32_e32 v155, v139, v107
	v_fma_f32 v157, v138, v107, -v137
	s_waitcnt vmcnt(39) lgkmcnt(1)
	v_mul_f32_e32 v160, v142, v7
	v_fmac_f32_e32 v158, v141, v5
	v_fma_f32 v159, v140, v5, -v106
	v_mul_f32_e32 v5, v143, v7
	ds_read2_b64 v[137:140], v1 offset0:65 offset1:66
	v_fmac_f32_e32 v160, v143, v2
	s_waitcnt vmcnt(38)
	v_mul_f32_e32 v162, v144, v4
	v_fma_f32 v161, v142, v2, -v5
	v_mul_f32_e32 v2, v145, v4
	s_waitcnt vmcnt(34)
	v_fmac_f32_e32 v162, v145, v111
	s_waitcnt vmcnt(33) lgkmcnt(1)
	v_mul_f32_e32 v145, v146, v110
	v_fma_f32 v111, v144, v111, -v2
	v_mul_f32_e32 v2, v147, v110
	ds_read2_b64 v[141:144], v1 offset0:67 offset1:68
	v_fmac_f32_e32 v145, v147, v108
	v_fma_f32 v110, v146, v108, -v2
	s_waitcnt vmcnt(32)
	v_mul_f32_e32 v146, v148, v109
	v_mul_f32_e32 v2, v149, v109
	ds_read2_b64 v[106:109], v1 offset0:71 offset1:72
	v_fmac_f32_e32 v146, v149, v6
	v_fma_f32 v147, v148, v6, -v2
	s_waitcnt vmcnt(31) lgkmcnt(2)
	v_mul_f32_e32 v2, v138, v8
	ds_read2_b64 v[4:7], v1 offset0:69 offset1:70
	v_mul_f32_e32 v148, v137, v8
	v_fma_f32 v8, v137, v3, -v2
	s_waitcnt vmcnt(30)
	v_mul_f32_e32 v2, v140, v112
	v_mul_f32_e32 v137, v139, v112
	v_fmac_f32_e32 v148, v138, v3
	s_waitcnt vmcnt(24) lgkmcnt(2)
	v_mul_f32_e32 v138, v143, v117
	v_fma_f32 v112, v139, v120, -v2
	v_mul_f32_e32 v2, v142, v119
	v_fmac_f32_e32 v137, v140, v120
	v_mul_f32_e32 v120, v141, v119
	v_fmac_f32_e32 v138, v144, v114
	v_fma_f32 v119, v141, v116, -v2
	v_mul_f32_e32 v2, v144, v117
	v_fmac_f32_e32 v120, v142, v116
	s_waitcnt vmcnt(23) lgkmcnt(0)
	v_mul_f32_e32 v140, v4, v115
	s_waitcnt vmcnt(22)
	v_mul_f32_e32 v141, v6, v118
	v_fma_f32 v139, v143, v114, -v2
	v_mul_f32_e32 v2, v5, v115
	ds_read2_b64 v[114:117], v1 offset0:73 offset1:74
	v_fmac_f32_e32 v140, v5, v113
	s_waitcnt vmcnt(18)
	v_fmac_f32_e32 v141, v7, v129
	v_fma_f32 v113, v4, v113, -v2
	v_mul_f32_e32 v2, v7, v118
	s_waitcnt vmcnt(17)
	v_mul_f32_e32 v7, v106, v128
	s_waitcnt vmcnt(16)
	v_mul_f32_e32 v118, v108, v127
	v_mul_f32_e32 v127, v109, v127
	v_fma_f32 v6, v6, v129, -v2
	v_mul_f32_e32 v2, v107, v128
	v_fmac_f32_e32 v7, v107, v125
	v_fmac_f32_e32 v118, v109, v122
	v_fma_f32 v122, v108, v122, -v127
	v_add_f32_e32 v108, 0, v155
	v_fma_f32 v125, v106, v125, -v2
	ds_read2_b64 v[2:5], v1 offset0:75 offset1:76
	s_clause 0x2
	buffer_load_dword v127, off, s[0:3], 0 offset:260
	buffer_load_dword v128, off, s[0:3], 0 offset:268
	;; [unrolled: 1-line block ×3, first 2 shown]
	s_waitcnt vmcnt(18) lgkmcnt(1)
	v_mul_f32_e32 v129, v114, v123
	v_mul_f32_e32 v106, v115, v123
	s_waitcnt vmcnt(17)
	v_mul_f32_e32 v123, v116, v126
	v_mul_f32_e32 v107, v117, v126
	v_fmac_f32_e32 v129, v115, v121
	v_fma_f32 v114, v114, v121, -v106
	s_waitcnt vmcnt(13)
	v_fmac_f32_e32 v123, v117, v136
	v_fma_f32 v115, v116, v136, -v107
	v_add_f32_e32 v117, v108, v158
	ds_read2_b64 v[106:109], v1 offset0:77 offset1:78
	v_add_f32_e32 v116, 0, v157
	v_add_f32_e32 v117, v117, v160
	;; [unrolled: 1-line block ×3, first 2 shown]
	s_waitcnt vmcnt(12) lgkmcnt(1)
	v_mul_f32_e32 v121, v2, v135
	v_mul_f32_e32 v126, v3, v135
	s_clause 0x3
	buffer_load_dword v135, off, s[0:3], 0 offset:296
	buffer_load_dword v136, off, s[0:3], 0 offset:288
	;; [unrolled: 1-line block ×4, first 2 shown]
	v_fmac_f32_e32 v121, v3, v134
	v_fma_f32 v126, v2, v134, -v126
	s_clause 0x1
	buffer_load_dword v134, off, s[0:3], 0 offset:284
	buffer_load_dword v149, off, s[0:3], 0 offset:292
	v_add_f32_e32 v2, v116, v161
	v_add_f32_e32 v3, v117, v162
	s_waitcnt vmcnt(17)
	v_mul_f32_e32 v116, v4, v133
	v_mul_f32_e32 v117, v5, v133
	buffer_load_dword v133, off, s[0:3], 0 offset:300
	v_add_f32_e32 v2, v2, v111
	v_add_f32_e32 v3, v3, v145
	v_fmac_f32_e32 v116, v5, v131
	v_fma_f32 v117, v4, v131, -v117
	s_clause 0x3
	buffer_load_dword v131, off, s[0:3], 0 offset:308
	buffer_load_dword v145, off, s[0:3], 0 offset:316
	buffer_load_dword v155, off, s[0:3], 0 offset:324
	buffer_load_dword v157, off, s[0:3], 0 offset:332
	v_add_f32_e32 v110, v2, v110
	v_add_f32_e32 v111, v3, v146
	ds_read2_b64 v[2:5], v1 offset0:79 offset1:80
	s_waitcnt vmcnt(21) lgkmcnt(1)
	v_mul_f32_e32 v146, v106, v130
	v_mul_f32_e32 v130, v107, v130
	v_add_f32_e32 v110, v110, v147
	v_add_f32_e32 v111, v111, v148
	s_waitcnt vmcnt(20)
	v_mul_f32_e32 v147, v108, v132
	v_fmac_f32_e32 v146, v107, v124
	v_fma_f32 v124, v106, v124, -v130
	v_add_f32_e32 v8, v110, v8
	v_add_f32_e32 v106, v111, v137
	v_mul_f32_e32 v110, v109, v132
	s_clause 0x4
	buffer_load_dword v130, off, s[0:3], 0 offset:340
	buffer_load_dword v132, off, s[0:3], 0 offset:348
	;; [unrolled: 1-line block ×5, first 2 shown]
	v_add_f32_e32 v8, v8, v112
	s_clause 0x4
	buffer_load_dword v159, off, s[0:3], 0 offset:328
	buffer_load_dword v160, off, s[0:3], 0 offset:320
	;; [unrolled: 1-line block ×5, first 2 shown]
	v_add_f32_e32 v106, v106, v120
	s_waitcnt vmcnt(26)
	v_fmac_f32_e32 v147, v109, v153
	v_fma_f32 v153, v108, v153, -v110
	v_add_f32_e32 v8, v8, v119
	v_add_f32_e32 v106, v106, v138
	s_waitcnt vmcnt(25) lgkmcnt(0)
	v_mul_f32_e32 v111, v3, v154
	v_mul_f32_e32 v138, v2, v154
	v_add_f32_e32 v8, v8, v139
	v_add_f32_e32 v110, v106, v140
	ds_read2_b64 v[106:109], v1 offset0:81 offset1:82
	v_fma_f32 v119, v2, v152, -v111
	v_add_f32_e32 v8, v8, v113
	v_fmac_f32_e32 v138, v3, v152
	v_add_f32_e32 v110, v110, v141
	v_add_f32_e32 v2, v8, v6
	s_clause 0x3
	buffer_load_dword v8, off, s[0:3], 0 offset:360
	buffer_load_dword v139, off, s[0:3], 0 offset:352
	;; [unrolled: 1-line block ×4, first 2 shown]
	v_add_f32_e32 v3, v110, v7
	v_add_f32_e32 v2, v2, v125
	s_clause 0x1
	buffer_load_dword v125, off, s[0:3], 0 offset:376
	buffer_load_dword v152, off, s[0:3], 0 offset:368
	v_add_f32_e32 v3, v3, v118
	ds_read2_b64 v[110:113], v1 offset0:85 offset1:86
	v_add_f32_e32 v2, v2, v122
	buffer_load_dword v122, off, s[0:3], 0 offset:80
	v_add_f32_e32 v6, v3, v129
	v_add_f32_e32 v7, v2, v114
	;; [unrolled: 1-line block ×11, first 2 shown]
	s_waitcnt vmcnt(30)
	v_mul_f32_e32 v129, v4, v127
	v_mul_f32_e32 v3, v5, v127
	s_waitcnt vmcnt(29) lgkmcnt(1)
	v_mul_f32_e32 v114, v107, v128
	v_mul_f32_e32 v123, v106, v128
	s_waitcnt vmcnt(28)
	v_mul_f32_e32 v115, v109, v142
	v_fmac_f32_e32 v129, v5, v151
	v_fma_f32 v127, v4, v151, -v3
	ds_read2_b64 v[2:5], v1 offset0:83 offset1:84
	v_fma_f32 v126, v106, v150, -v114
	v_mul_f32_e32 v128, v108, v142
	v_fmac_f32_e32 v123, v107, v150
	s_waitcnt vmcnt(24)
	v_fma_f32 v142, v108, v144, -v115
	v_fmac_f32_e32 v128, v109, v144
	ds_read2_b64 v[106:109], v1 offset0:87 offset1:88
	ds_read2_b64 v[114:117], v1 offset0:89 offset1:90
	s_waitcnt vmcnt(23) lgkmcnt(2)
	v_mul_f32_e32 v124, v2, v134
	v_mul_f32_e32 v118, v3, v134
	s_waitcnt vmcnt(22)
	v_mul_f32_e32 v134, v4, v149
	v_mul_f32_e32 v144, v5, v149
	v_fmac_f32_e32 v124, v3, v143
	v_fma_f32 v143, v2, v143, -v118
	v_add_f32_e32 v2, v6, v147
	v_add_f32_e32 v6, v7, v119
	v_fmac_f32_e32 v134, v5, v136
	v_fma_f32 v136, v4, v136, -v144
	s_waitcnt vmcnt(21)
	v_mul_f32_e32 v144, v110, v133
	v_add_f32_e32 v138, v2, v138
	v_add_f32_e32 v127, v6, v127
	ds_read2_b64 v[118:121], v1 offset0:91 offset1:92
	ds_read2_b64 v[2:5], v1 offset0:93 offset1:94
	v_fmac_f32_e32 v144, v111, v135
	v_add_f32_e32 v129, v138, v129
	v_add_f32_e32 v126, v127, v126
	v_mul_f32_e32 v127, v111, v133
	s_waitcnt vmcnt(20)
	v_mul_f32_e32 v138, v112, v131
	v_mul_f32_e32 v131, v113, v131
	v_add_f32_e32 v123, v129, v123
	v_add_f32_e32 v126, v126, v142
	v_fma_f32 v110, v110, v135, -v127
	s_waitcnt vmcnt(19) lgkmcnt(3)
	v_mul_f32_e32 v129, v106, v145
	v_mul_f32_e32 v135, v107, v145
	v_add_f32_e32 v123, v123, v128
	v_add_f32_e32 v126, v126, v143
	s_waitcnt vmcnt(8)
	v_fma_f32 v112, v112, v162, -v131
	v_fmac_f32_e32 v138, v113, v162
	v_fmac_f32_e32 v129, v107, v161
	v_add_f32_e32 v123, v123, v124
	v_add_f32_e32 v126, v126, v136
	v_fma_f32 v106, v106, v161, -v135
	v_mul_f32_e32 v133, v108, v155
	s_waitcnt lgkmcnt(2)
	v_mul_f32_e32 v142, v114, v157
	v_add_f32_e32 v123, v123, v134
	v_add_f32_e32 v110, v126, v110
	v_mul_f32_e32 v128, v116, v130
	v_fmac_f32_e32 v133, v109, v160
	v_fmac_f32_e32 v142, v115, v159
	v_add_f32_e32 v113, v123, v144
	v_mul_f32_e32 v123, v109, v155
	v_add_f32_e32 v107, v110, v112
	v_mul_f32_e32 v112, v115, v157
	v_mul_f32_e32 v109, v117, v130
	v_add_f32_e32 v110, v113, v138
	v_fma_f32 v108, v108, v160, -v123
	v_add_f32_e32 v106, v107, v106
	ds_read_b64 v[6:7], v1 offset:760
	s_waitcnt vmcnt(3)
	v_fma_f32 v109, v116, v141, -v109
	v_add_f32_e32 v107, v110, v129
	v_fma_f32 v110, v114, v159, -v112
	v_add_f32_e32 v106, v106, v108
	s_waitcnt lgkmcnt(2)
	v_mul_f32_e32 v108, v119, v132
	v_mul_f32_e32 v143, v118, v132
	v_add_f32_e32 v107, v107, v133
	v_fmac_f32_e32 v128, v117, v141
	v_add_f32_e32 v106, v106, v110
	v_mul_f32_e32 v110, v121, v137
	v_fma_f32 v108, v118, v140, -v108
	v_add_f32_e32 v107, v107, v142
	v_mul_f32_e32 v111, v120, v137
	v_add_f32_e32 v106, v106, v109
	v_fmac_f32_e32 v143, v119, v140
	s_waitcnt lgkmcnt(1)
	v_mul_f32_e32 v124, v2, v148
	v_add_f32_e32 v107, v107, v128
	v_mul_f32_e32 v109, v3, v148
	v_fma_f32 v110, v120, v139, -v110
	v_add_f32_e32 v106, v106, v108
	v_fmac_f32_e32 v111, v121, v139
	v_add_f32_e32 v107, v107, v143
	v_mul_f32_e32 v108, v5, v158
	v_fmac_f32_e32 v124, v3, v8
	v_fma_f32 v2, v2, v8, -v109
	v_add_f32_e32 v3, v106, v110
	v_mul_f32_e32 v127, v4, v158
	v_add_f32_e32 v8, v107, v111
	s_waitcnt lgkmcnt(0)
	v_mul_f32_e32 v106, v7, v163
	s_waitcnt vmcnt(1)
	v_fma_f32 v4, v4, v152, -v108
	v_add_f32_e32 v2, v3, v2
	v_mul_f32_e32 v134, v6, v163
	v_fmac_f32_e32 v127, v5, v152
	v_add_f32_e32 v3, v8, v124
	v_fma_f32 v5, v6, v125, -v106
	v_add_f32_e32 v2, v2, v4
	v_fmac_f32_e32 v134, v7, v125
	v_add_f32_e32 v3, v3, v127
	v_add_f32_e32 v2, v2, v5
	;; [unrolled: 1-line block ×3, first 2 shown]
	s_waitcnt vmcnt(0)
	v_sub_f32_e32 v2, v122, v2
	v_sub_f32_e32 v3, v156, v3
	buffer_store_dword v2, off, s[0:3], 0 offset:80
	buffer_store_dword v3, off, s[0:3], 0 offset:84
	v_cmpx_lt_u32_e32 9, v0
	s_cbranch_execz .LBB47_283
; %bb.282:
	s_clause 0x1
	buffer_load_dword v2, off, s[0:3], 0 offset:72
	buffer_load_dword v3, off, s[0:3], 0 offset:76
	buffer_store_dword v1, off, s[0:3], 0 offset:72
	buffer_store_dword v1, off, s[0:3], 0 offset:76
	s_waitcnt vmcnt(0)
	ds_write_b64 v105, v[2:3]
.LBB47_283:
	s_or_b32 exec_lo, exec_lo, s4
	s_waitcnt lgkmcnt(0)
	s_waitcnt_vscnt null, 0x0
	s_barrier
	buffer_gl0_inv
	s_clause 0x2b
	buffer_load_dword v137, off, s[0:3], 0 offset:84
	buffer_load_dword v2, off, s[0:3], 0 offset:96
	;; [unrolled: 1-line block ×44, first 2 shown]
	ds_read_b128 v[138:141], v1 offset:464
	ds_read_b128 v[142:145], v1 offset:480
	;; [unrolled: 1-line block ×3, first 2 shown]
	buffer_load_dword v156, off, s[0:3], 0 offset:76
	s_mov_b32 s4, exec_lo
	s_waitcnt vmcnt(44) lgkmcnt(2)
	v_mul_f32_e32 v155, v138, v137
	v_mul_f32_e32 v137, v139, v137
	s_waitcnt vmcnt(40)
	v_mul_f32_e32 v158, v140, v106
	v_mul_f32_e32 v106, v141, v106
	s_waitcnt vmcnt(39) lgkmcnt(1)
	v_mul_f32_e32 v160, v142, v7
	v_fmac_f32_e32 v155, v139, v107
	v_fma_f32 v157, v138, v107, -v137
	v_fmac_f32_e32 v158, v141, v5
	v_fma_f32 v159, v140, v5, -v106
	v_mul_f32_e32 v5, v143, v7
	ds_read_b128 v[137:140], v1 offset:512
	v_fmac_f32_e32 v160, v143, v2
	s_waitcnt vmcnt(38)
	v_mul_f32_e32 v162, v144, v4
	v_fma_f32 v161, v142, v2, -v5
	v_mul_f32_e32 v2, v145, v4
	s_waitcnt vmcnt(34)
	v_fmac_f32_e32 v162, v145, v111
	s_waitcnt vmcnt(33) lgkmcnt(1)
	v_mul_f32_e32 v145, v146, v110
	v_fma_f32 v111, v144, v111, -v2
	v_mul_f32_e32 v2, v147, v110
	ds_read_b128 v[141:144], v1 offset:528
	v_fmac_f32_e32 v145, v147, v108
	v_fma_f32 v110, v146, v108, -v2
	s_waitcnt vmcnt(32)
	v_mul_f32_e32 v146, v148, v109
	v_mul_f32_e32 v2, v149, v109
	ds_read_b128 v[106:109], v1 offset:560
	v_fmac_f32_e32 v146, v149, v6
	v_fma_f32 v147, v148, v6, -v2
	ds_read_b128 v[4:7], v1 offset:544
	s_waitcnt vmcnt(31) lgkmcnt(3)
	v_mul_f32_e32 v2, v138, v8
	v_mul_f32_e32 v148, v137, v8
	s_waitcnt vmcnt(30)
	v_mul_f32_e32 v149, v139, v112
	v_fma_f32 v8, v137, v3, -v2
	v_mul_f32_e32 v2, v140, v112
	s_waitcnt vmcnt(26)
	v_fmac_f32_e32 v149, v140, v120
	v_fmac_f32_e32 v148, v138, v3
	s_waitcnt vmcnt(24) lgkmcnt(2)
	v_mul_f32_e32 v3, v144, v118
	v_fma_f32 v112, v139, v120, -v2
	v_mul_f32_e32 v120, v141, v119
	v_mul_f32_e32 v2, v142, v119
	;; [unrolled: 1-line block ×3, first 2 shown]
	ds_read_b128 v[137:140], v1 offset:576
	v_fmac_f32_e32 v120, v142, v116
	v_fma_f32 v116, v141, v116, -v2
	s_waitcnt vmcnt(23) lgkmcnt(1)
	v_mul_f32_e32 v118, v4, v115
	v_mul_f32_e32 v2, v5, v115
	s_waitcnt vmcnt(22)
	v_mul_f32_e32 v115, v6, v117
	v_fmac_f32_e32 v119, v144, v114
	v_fma_f32 v114, v143, v114, -v3
	v_fmac_f32_e32 v118, v5, v113
	v_fma_f32 v113, v4, v113, -v2
	v_mul_f32_e32 v2, v7, v117
	s_waitcnt vmcnt(18)
	v_fmac_f32_e32 v115, v7, v130
	s_clause 0x1
	buffer_load_dword v7, off, s[0:3], 0 offset:252
	buffer_load_dword v117, off, s[0:3], 0 offset:260
	s_waitcnt vmcnt(18)
	v_mul_f32_e32 v3, v109, v127
	v_fma_f32 v6, v6, v130, -v2
	v_mul_f32_e32 v130, v106, v128
	v_mul_f32_e32 v2, v107, v128
	;; [unrolled: 1-line block ×3, first 2 shown]
	s_waitcnt vmcnt(17) lgkmcnt(0)
	v_mul_f32_e32 v127, v137, v126
	v_mul_f32_e32 v126, v138, v126
	v_fmac_f32_e32 v130, v107, v124
	v_fma_f32 v124, v106, v124, -v2
	s_waitcnt vmcnt(16)
	v_mul_f32_e32 v141, v139, v131
	v_mul_f32_e32 v106, v140, v131
	v_fmac_f32_e32 v128, v109, v123
	v_fma_f32 v123, v108, v123, -v3
	ds_read_b128 v[2:5], v1 offset:592
	v_fmac_f32_e32 v127, v138, v121
	v_fma_f32 v121, v137, v121, -v126
	s_waitcnt vmcnt(12)
	v_fmac_f32_e32 v141, v140, v136
	v_fma_f32 v126, v139, v136, -v106
	s_clause 0x7
	buffer_load_dword v131, off, s[0:3], 0 offset:268
	buffer_load_dword v136, off, s[0:3], 0 offset:288
	;; [unrolled: 1-line block ×8, first 2 shown]
	v_add_f32_e32 v106, 0, v155
	v_add_f32_e32 v107, 0, v157
	;; [unrolled: 1-line block ×6, first 2 shown]
	s_waitcnt vmcnt(19) lgkmcnt(0)
	v_mul_f32_e32 v155, v2, v135
	v_mul_f32_e32 v135, v3, v135
	v_add_f32_e32 v144, v106, v162
	v_add_f32_e32 v111, v107, v111
	ds_read_b128 v[106:109], v1 offset:608
	v_fmac_f32_e32 v155, v3, v133
	v_fma_f32 v133, v2, v133, -v135
	v_add_f32_e32 v144, v144, v145
	v_add_f32_e32 v110, v111, v110
	s_waitcnt vmcnt(18)
	v_mul_f32_e32 v145, v4, v134
	v_mul_f32_e32 v111, v5, v134
	v_add_f32_e32 v3, v144, v146
	v_add_f32_e32 v110, v110, v147
	v_fmac_f32_e32 v145, v5, v132
	v_fma_f32 v132, v4, v132, -v111
	v_add_f32_e32 v2, v3, v148
	v_add_f32_e32 v3, v110, v8
	s_clause 0x7
	buffer_load_dword v8, off, s[0:3], 0 offset:300
	buffer_load_dword v134, off, s[0:3], 0 offset:308
	;; [unrolled: 1-line block ×8, first 2 shown]
	v_add_f32_e32 v2, v2, v149
	v_add_f32_e32 v3, v3, v112
	s_waitcnt vmcnt(25) lgkmcnt(0)
	v_mul_f32_e32 v158, v106, v129
	v_mul_f32_e32 v4, v107, v129
	s_clause 0x3
	buffer_load_dword v129, off, s[0:3], 0 offset:332
	buffer_load_dword v149, off, s[0:3], 0 offset:340
	buffer_load_dword v159, off, s[0:3], 0 offset:348
	buffer_load_dword v160, off, s[0:3], 0 offset:356
	v_add_f32_e32 v2, v2, v120
	s_clause 0x1
	buffer_load_dword v161, off, s[0:3], 0 offset:364
	buffer_load_dword v162, off, s[0:3], 0 offset:372
	v_fmac_f32_e32 v158, v107, v122
	v_fma_f32 v122, v106, v122, -v4
	v_add_f32_e32 v106, v3, v116
	s_waitcnt vmcnt(30)
	v_mul_f32_e32 v3, v109, v125
	v_mul_f32_e32 v120, v108, v125
	v_add_f32_e32 v107, v2, v119
	buffer_load_dword v163, off, s[0:3], 0 offset:380
	v_add_f32_e32 v106, v106, v114
	s_waitcnt vmcnt(27)
	v_fma_f32 v119, v108, v153, -v3
	ds_read_b128 v[2:5], v1 offset:624
	v_fmac_f32_e32 v120, v109, v153
	v_add_f32_e32 v107, v107, v118
	s_clause 0x3
	buffer_load_dword v153, off, s[0:3], 0 offset:352
	buffer_load_dword v164, off, s[0:3], 0 offset:344
	;; [unrolled: 1-line block ×4, first 2 shown]
	v_add_f32_e32 v106, v106, v113
	v_add_f32_e32 v107, v107, v115
	;; [unrolled: 1-line block ×4, first 2 shown]
	ds_read_b128 v[106:109], v1 offset:640
	v_add_f32_e32 v6, v6, v124
	v_add_f32_e32 v110, v110, v128
	s_waitcnt vmcnt(30) lgkmcnt(1)
	v_mul_f32_e32 v118, v2, v154
	v_mul_f32_e32 v111, v3, v154
	v_fmac_f32_e32 v118, v3, v152
	v_fma_f32 v124, v2, v152, -v111
	v_add_f32_e32 v2, v6, v123
	v_add_f32_e32 v3, v110, v127
	s_clause 0x3
	buffer_load_dword v6, off, s[0:3], 0 offset:376
	buffer_load_dword v127, off, s[0:3], 0 offset:368
	;; [unrolled: 1-line block ×4, first 2 shown]
	v_add_f32_e32 v2, v2, v121
	v_add_f32_e32 v3, v3, v141
	;; [unrolled: 1-line block ×6, first 2 shown]
	ds_read_b128 v[110:113], v1 offset:672
	v_add_f32_e32 v115, v115, v132
	v_add_f32_e32 v125, v114, v158
	v_add_f32_e32 v122, v115, v122
	v_add_f32_e32 v120, v125, v120
	v_add_f32_e32 v119, v122, v119
	v_add_f32_e32 v118, v120, v118
	s_waitcnt vmcnt(32)
	v_mul_f32_e32 v121, v4, v7
	v_mul_f32_e32 v7, v5, v7
	s_waitcnt vmcnt(31) lgkmcnt(1)
	v_mul_f32_e32 v123, v106, v117
	v_mul_f32_e32 v116, v107, v117
	v_fmac_f32_e32 v121, v5, v151
	v_fma_f32 v7, v4, v151, -v7
	ds_read_b128 v[2:5], v1 offset:656
	v_fmac_f32_e32 v123, v107, v150
	s_waitcnt vmcnt(30)
	v_mul_f32_e32 v126, v108, v131
	v_mul_f32_e32 v117, v109, v131
	v_fma_f32 v131, v106, v150, -v116
	s_waitcnt vmcnt(26)
	v_fmac_f32_e32 v126, v109, v139
	v_fma_f32 v132, v108, v139, -v117
	ds_read_b128 v[106:109], v1 offset:688
	ds_read_b128 v[114:117], v1 offset:704
	s_waitcnt vmcnt(23) lgkmcnt(3)
	v_mul_f32_e32 v141, v111, v143
	s_waitcnt lgkmcnt(2)
	v_mul_f32_e32 v133, v2, v140
	v_mul_f32_e32 v122, v3, v140
	;; [unrolled: 1-line block ×5, first 2 shown]
	v_fmac_f32_e32 v133, v3, v138
	v_fma_f32 v138, v2, v138, -v122
	v_add_f32_e32 v122, v119, v124
	v_add_f32_e32 v124, v118, v121
	v_fmac_f32_e32 v139, v5, v137
	v_fma_f32 v137, v4, v137, -v125
	ds_read_b128 v[2:5], v1 offset:720
	ds_read_b128 v[118:121], v1 offset:736
	v_add_f32_e32 v7, v122, v7
	v_fmac_f32_e32 v140, v111, v136
	v_add_f32_e32 v111, v124, v123
	ds_read_b128 v[122:125], v1 offset:752
	v_fma_f32 v110, v110, v136, -v141
	v_add_f32_e32 v1, v7, v131
	v_add_f32_e32 v111, v111, v126
	s_waitcnt vmcnt(22)
	v_mul_f32_e32 v7, v112, v8
	v_add_f32_e32 v1, v1, v132
	v_mul_f32_e32 v8, v113, v8
	v_add_f32_e32 v111, v111, v133
	s_waitcnt vmcnt(21) lgkmcnt(4)
	v_mul_f32_e32 v132, v107, v134
	v_mul_f32_e32 v126, v106, v134
	v_add_f32_e32 v1, v1, v138
	s_waitcnt vmcnt(15)
	v_fma_f32 v8, v112, v157, -v8
	v_add_f32_e32 v111, v111, v139
	v_fmac_f32_e32 v7, v113, v157
	v_mul_f32_e32 v131, v108, v135
	v_add_f32_e32 v1, v1, v137
	v_mul_f32_e32 v135, v109, v135
	v_fma_f32 v106, v106, v148, -v132
	v_fmac_f32_e32 v126, v107, v148
	s_waitcnt lgkmcnt(3)
	v_mul_f32_e32 v112, v114, v144
	v_add_f32_e32 v1, v1, v110
	v_add_f32_e32 v110, v111, v140
	v_fma_f32 v107, v108, v147, -v135
	v_fmac_f32_e32 v131, v109, v147
	s_waitcnt vmcnt(14)
	v_mul_f32_e32 v113, v116, v129
	v_add_f32_e32 v1, v1, v8
	v_add_f32_e32 v7, v110, v7
	v_mul_f32_e32 v8, v115, v144
	v_fmac_f32_e32 v112, v115, v146
	s_waitcnt vmcnt(13) lgkmcnt(2)
	v_mul_f32_e32 v133, v2, v149
	v_add_f32_e32 v1, v1, v106
	v_add_f32_e32 v7, v7, v126
	v_mul_f32_e32 v106, v117, v129
	v_fma_f32 v8, v114, v146, -v8
	s_waitcnt vmcnt(4)
	v_fmac_f32_e32 v113, v117, v166
	v_add_f32_e32 v1, v1, v107
	v_add_f32_e32 v7, v7, v131
	v_mul_f32_e32 v107, v3, v149
	v_fma_f32 v106, v116, v166, -v106
	v_mul_f32_e32 v134, v4, v159
	v_add_f32_e32 v1, v1, v8
	v_add_f32_e32 v7, v7, v112
	v_mul_f32_e32 v8, v5, v159
	v_fma_f32 v2, v2, v165, -v107
	v_fmac_f32_e32 v133, v3, v165
	v_add_f32_e32 v1, v1, v106
	v_add_f32_e32 v3, v7, v113
	s_waitcnt lgkmcnt(1)
	v_mul_f32_e32 v7, v119, v160
	v_fma_f32 v4, v4, v164, -v8
	v_mul_f32_e32 v136, v118, v160
	v_add_f32_e32 v1, v1, v2
	v_fmac_f32_e32 v134, v5, v164
	v_add_f32_e32 v2, v3, v133
	v_mul_f32_e32 v3, v121, v161
	v_fma_f32 v5, v118, v153, -v7
	v_add_f32_e32 v1, v1, v4
	v_mul_f32_e32 v137, v120, v161
	v_fmac_f32_e32 v136, v119, v153
	v_add_f32_e32 v2, v2, v134
	s_waitcnt lgkmcnt(0)
	v_mul_f32_e32 v4, v123, v162
	s_waitcnt vmcnt(1)
	v_fma_f32 v3, v120, v128, -v3
	v_add_f32_e32 v1, v1, v5
	v_mul_f32_e32 v138, v122, v162
	v_fmac_f32_e32 v137, v121, v128
	v_add_f32_e32 v2, v2, v136
	v_mul_f32_e32 v5, v125, v163
	v_fma_f32 v4, v122, v127, -v4
	v_add_f32_e32 v1, v1, v3
	v_mul_f32_e32 v111, v124, v163
	v_fmac_f32_e32 v138, v123, v127
	v_add_f32_e32 v2, v2, v137
	v_fma_f32 v3, v124, v6, -v5
	v_add_f32_e32 v1, v1, v4
	v_fmac_f32_e32 v111, v125, v6
	v_add_f32_e32 v2, v2, v138
	v_add_f32_e32 v1, v1, v3
	;; [unrolled: 1-line block ×3, first 2 shown]
	s_waitcnt vmcnt(0)
	v_sub_f32_e32 v1, v130, v1
	v_sub_f32_e32 v2, v156, v2
	buffer_store_dword v1, off, s[0:3], 0 offset:72
	buffer_store_dword v2, off, s[0:3], 0 offset:76
	v_cmpx_lt_u32_e32 8, v0
	s_cbranch_execz .LBB47_285
; %bb.284:
	s_clause 0x1
	buffer_load_dword v1, off, s[0:3], 0 offset:64
	buffer_load_dword v2, off, s[0:3], 0 offset:68
	v_mov_b32_e32 v3, 0
	buffer_store_dword v3, off, s[0:3], 0 offset:64
	buffer_store_dword v3, off, s[0:3], 0 offset:68
	s_waitcnt vmcnt(0)
	ds_write_b64 v105, v[1:2]
.LBB47_285:
	s_or_b32 exec_lo, exec_lo, s4
	s_waitcnt lgkmcnt(0)
	s_waitcnt_vscnt null, 0x0
	s_barrier
	buffer_gl0_inv
	s_clause 0x2c
	buffer_load_dword v6, off, s[0:3], 0 offset:76
	buffer_load_dword v7, off, s[0:3], 0 offset:84
	;; [unrolled: 1-line block ×45, first 2 shown]
	v_mov_b32_e32 v1, 0
	ds_read2_b64 v[2:5], v1 offset0:57 offset1:58
	ds_read2_b64 v[106:109], v1 offset0:59 offset1:60
	s_clause 0x2
	buffer_load_dword v154, off, s[0:3], 0 offset:68
	buffer_load_dword v155, off, s[0:3], 0 offset:252
	;; [unrolled: 1-line block ×3, first 2 shown]
	s_mov_b32 s4, exec_lo
	s_waitcnt vmcnt(47) lgkmcnt(1)
	v_mul_f32_e32 v152, v3, v6
	v_mul_f32_e32 v6, v2, v6
	s_waitcnt vmcnt(46)
	v_mul_f32_e32 v153, v4, v7
	v_mul_f32_e32 v7, v5, v7
	s_waitcnt vmcnt(43)
	v_fma_f32 v152, v2, v111, -v152
	v_fmac_f32_e32 v6, v3, v111
	v_fmac_f32_e32 v153, v5, v110
	v_fma_f32 v7, v4, v110, -v7
	ds_read2_b64 v[2:5], v1 offset0:61 offset1:62
	s_waitcnt vmcnt(42) lgkmcnt(1)
	v_mul_f32_e32 v110, v106, v112
	v_mul_f32_e32 v111, v107, v112
	s_waitcnt vmcnt(41)
	v_mul_f32_e32 v112, v108, v113
	v_mul_f32_e32 v113, v109, v113
	v_fmac_f32_e32 v110, v107, v8
	v_fma_f32 v8, v106, v8, -v111
	s_waitcnt vmcnt(37)
	v_fmac_f32_e32 v112, v109, v117
	v_fma_f32 v111, v108, v117, -v113
	ds_read2_b64 v[106:109], v1 offset0:63 offset1:64
	s_waitcnt vmcnt(36) lgkmcnt(1)
	v_mul_f32_e32 v113, v2, v118
	v_mul_f32_e32 v117, v3, v118
	s_waitcnt vmcnt(35)
	v_mul_f32_e32 v118, v4, v119
	v_mul_f32_e32 v119, v5, v119
	v_fmac_f32_e32 v113, v3, v116
	v_fma_f32 v116, v2, v116, -v117
	v_fmac_f32_e32 v118, v5, v115
	v_fma_f32 v115, v4, v115, -v119
	ds_read2_b64 v[2:5], v1 offset0:65 offset1:66
	s_waitcnt vmcnt(34) lgkmcnt(1)
	v_mul_f32_e32 v117, v106, v120
	v_mul_f32_e32 v119, v107, v120
	s_waitcnt vmcnt(33)
	v_mul_f32_e32 v120, v108, v121
	v_mul_f32_e32 v121, v109, v121
	v_fmac_f32_e32 v117, v107, v114
	v_fma_f32 v114, v106, v114, -v119
	s_waitcnt vmcnt(29)
	v_fmac_f32_e32 v120, v109, v125
	v_fma_f32 v119, v108, v125, -v121
	ds_read2_b64 v[106:109], v1 offset0:67 offset1:68
	s_waitcnt vmcnt(28) lgkmcnt(1)
	v_mul_f32_e32 v121, v2, v126
	v_mul_f32_e32 v125, v3, v126
	s_waitcnt vmcnt(27)
	v_mul_f32_e32 v126, v4, v127
	v_mul_f32_e32 v127, v5, v127
	v_fmac_f32_e32 v121, v3, v124
	v_fma_f32 v124, v2, v124, -v125
	v_fmac_f32_e32 v126, v5, v123
	v_fma_f32 v123, v4, v123, -v127
	ds_read2_b64 v[2:5], v1 offset0:69 offset1:70
	s_waitcnt vmcnt(26) lgkmcnt(1)
	v_mul_f32_e32 v125, v106, v128
	v_mul_f32_e32 v127, v107, v128
	s_waitcnt vmcnt(25)
	v_mul_f32_e32 v128, v108, v129
	v_mul_f32_e32 v129, v109, v129
	v_fmac_f32_e32 v125, v107, v122
	v_fma_f32 v122, v106, v122, -v127
	s_waitcnt vmcnt(21)
	v_fmac_f32_e32 v128, v109, v133
	v_fma_f32 v127, v108, v133, -v129
	ds_read2_b64 v[106:109], v1 offset0:71 offset1:72
	s_waitcnt vmcnt(20) lgkmcnt(1)
	v_mul_f32_e32 v129, v2, v134
	v_mul_f32_e32 v133, v3, v134
	s_waitcnt vmcnt(19)
	v_mul_f32_e32 v134, v4, v135
	v_mul_f32_e32 v135, v5, v135
	v_fmac_f32_e32 v129, v3, v132
	v_fma_f32 v132, v2, v132, -v133
	v_fmac_f32_e32 v134, v5, v131
	v_fma_f32 v131, v4, v131, -v135
	ds_read2_b64 v[2:5], v1 offset0:73 offset1:74
	s_waitcnt vmcnt(18) lgkmcnt(1)
	v_mul_f32_e32 v133, v106, v136
	v_mul_f32_e32 v135, v107, v136
	s_waitcnt vmcnt(17)
	v_mul_f32_e32 v136, v108, v137
	v_mul_f32_e32 v137, v109, v137
	v_fmac_f32_e32 v133, v107, v130
	v_fma_f32 v130, v106, v130, -v135
	s_waitcnt vmcnt(13)
	v_fmac_f32_e32 v136, v109, v141
	v_fma_f32 v135, v108, v141, -v137
	ds_read2_b64 v[106:109], v1 offset0:75 offset1:76
	s_waitcnt vmcnt(12) lgkmcnt(1)
	v_mul_f32_e32 v137, v2, v142
	v_mul_f32_e32 v141, v3, v142
	s_waitcnt vmcnt(11)
	v_mul_f32_e32 v142, v4, v143
	v_mul_f32_e32 v143, v5, v143
	v_fmac_f32_e32 v137, v3, v140
	v_fma_f32 v140, v2, v140, -v141
	v_fmac_f32_e32 v142, v5, v139
	v_fma_f32 v139, v4, v139, -v143
	ds_read2_b64 v[2:5], v1 offset0:77 offset1:78
	s_waitcnt vmcnt(10) lgkmcnt(1)
	v_mul_f32_e32 v141, v106, v144
	v_mul_f32_e32 v143, v107, v144
	s_waitcnt vmcnt(9)
	v_mul_f32_e32 v144, v108, v145
	v_mul_f32_e32 v145, v109, v145
	v_fmac_f32_e32 v141, v107, v138
	v_fma_f32 v138, v106, v138, -v143
	s_waitcnt vmcnt(5)
	v_fmac_f32_e32 v144, v109, v149
	v_fma_f32 v143, v108, v149, -v145
	ds_read2_b64 v[106:109], v1 offset0:79 offset1:80
	s_waitcnt vmcnt(4) lgkmcnt(1)
	v_mul_f32_e32 v145, v2, v150
	v_mul_f32_e32 v149, v3, v150
	s_waitcnt vmcnt(3)
	v_mul_f32_e32 v150, v4, v151
	v_mul_f32_e32 v151, v5, v151
	v_fmac_f32_e32 v145, v3, v148
	v_fma_f32 v148, v2, v148, -v149
	v_fmac_f32_e32 v150, v5, v147
	v_fma_f32 v147, v4, v147, -v151
	s_clause 0x3
	buffer_load_dword v149, off, s[0:3], 0 offset:280
	buffer_load_dword v151, off, s[0:3], 0 offset:272
	;; [unrolled: 1-line block ×4, first 2 shown]
	s_waitcnt vmcnt(5) lgkmcnt(0)
	v_mul_f32_e32 v158, v106, v155
	v_mul_f32_e32 v3, v107, v155
	s_waitcnt vmcnt(4)
	v_mul_f32_e32 v155, v108, v156
	v_mul_f32_e32 v4, v109, v156
	s_clause 0x1
	buffer_load_dword v156, off, s[0:3], 0 offset:268
	buffer_load_dword v160, off, s[0:3], 0 offset:276
	v_fmac_f32_e32 v158, v107, v146
	v_fma_f32 v146, v106, v146, -v3
	v_add_f32_e32 v3, 0, v6
	buffer_load_dword v6, off, s[0:3], 0 offset:292
	v_add_f32_e32 v3, v3, v153
	v_add_f32_e32 v3, v3, v110
	;; [unrolled: 1-line block ×17, first 2 shown]
	s_waitcnt vmcnt(3)
	v_fmac_f32_e32 v155, v109, v2
	v_fma_f32 v159, v108, v2, -v4
	v_add_f32_e32 v2, 0, v152
	buffer_load_dword v152, off, s[0:3], 0 offset:284
	v_add_f32_e32 v2, v2, v7
	v_add_f32_e32 v2, v2, v8
	s_clause 0xa
	buffer_load_dword v8, off, s[0:3], 0 offset:312
	buffer_load_dword v153, off, s[0:3], 0 offset:304
	;; [unrolled: 1-line block ×11, first 2 shown]
	v_add_f32_e32 v2, v2, v111
	s_clause 0x3
	buffer_load_dword v169, off, s[0:3], 0 offset:356
	buffer_load_dword v170, off, s[0:3], 0 offset:364
	;; [unrolled: 1-line block ×4, first 2 shown]
	v_add_f32_e32 v2, v2, v116
	v_add_f32_e32 v2, v2, v115
	;; [unrolled: 1-line block ×9, first 2 shown]
	s_clause 0x3
	buffer_load_dword v123, off, s[0:3], 0 offset:344
	buffer_load_dword v124, off, s[0:3], 0 offset:336
	;; [unrolled: 1-line block ×4, first 2 shown]
	v_add_f32_e32 v2, v2, v122
	v_add_f32_e32 v2, v2, v127
	s_clause 0x4
	buffer_load_dword v122, off, s[0:3], 0 offset:376
	buffer_load_dword v125, off, s[0:3], 0 offset:368
	;; [unrolled: 1-line block ×5, first 2 shown]
	v_add_f32_e32 v2, v2, v132
	v_add_f32_e32 v106, v2, v131
	ds_read2_b64 v[2:5], v1 offset0:81 offset1:82
	v_add_f32_e32 v106, v106, v130
	v_add_f32_e32 v106, v106, v135
	;; [unrolled: 1-line block ×3, first 2 shown]
	ds_read2_b64 v[106:109], v1 offset0:83 offset1:84
	v_add_f32_e32 v111, v111, v139
	s_waitcnt vmcnt(27) lgkmcnt(1)
	v_mul_f32_e32 v129, v2, v156
	v_mul_f32_e32 v112, v3, v156
	s_waitcnt vmcnt(26)
	v_mul_f32_e32 v130, v4, v160
	v_mul_f32_e32 v113, v5, v160
	v_fmac_f32_e32 v129, v3, v157
	v_add_f32_e32 v3, v111, v138
	v_fma_f32 v131, v2, v157, -v112
	v_fmac_f32_e32 v130, v5, v151
	v_fma_f32 v132, v4, v151, -v113
	v_add_f32_e32 v118, v3, v143
	ds_read2_b64 v[2:5], v1 offset0:85 offset1:86
	ds_read2_b64 v[110:113], v1 offset0:87 offset1:88
	;; [unrolled: 1-line block ×3, first 2 shown]
	s_waitcnt vmcnt(25) lgkmcnt(3)
	v_mul_f32_e32 v134, v108, v6
	v_add_f32_e32 v118, v118, v148
	v_mul_f32_e32 v6, v109, v6
	v_add_f32_e32 v118, v118, v147
	s_waitcnt vmcnt(24)
	v_mul_f32_e32 v120, v107, v152
	v_mul_f32_e32 v133, v106, v152
	v_fma_f32 v135, v106, v149, -v120
	v_add_f32_e32 v106, v119, v150
	v_fmac_f32_e32 v133, v107, v149
	v_add_f32_e32 v107, v118, v146
	ds_read2_b64 v[118:121], v1 offset0:91 offset1:92
	s_waitcnt vmcnt(20)
	v_fma_f32 v136, v108, v7, -v6
	v_add_f32_e32 v137, v106, v158
	v_fmac_f32_e32 v134, v109, v7
	v_add_f32_e32 v138, v107, v159
	s_waitcnt vmcnt(19) lgkmcnt(3)
	v_mul_f32_e32 v139, v2, v162
	s_waitcnt vmcnt(18)
	v_mul_f32_e32 v141, v5, v163
	v_add_f32_e32 v137, v137, v155
	v_mul_f32_e32 v140, v4, v163
	v_add_f32_e32 v131, v138, v131
	v_mul_f32_e32 v138, v3, v162
	v_fmac_f32_e32 v139, v3, v161
	v_add_f32_e32 v129, v137, v129
	s_waitcnt vmcnt(17) lgkmcnt(2)
	v_mul_f32_e32 v137, v110, v164
	v_add_f32_e32 v131, v131, v132
	v_fma_f32 v2, v2, v161, -v138
	v_mul_f32_e32 v138, v111, v164
	v_add_f32_e32 v129, v129, v130
	v_fma_f32 v4, v4, v153, -v141
	v_add_f32_e32 v131, v131, v135
	v_fmac_f32_e32 v140, v5, v153
	v_fmac_f32_e32 v137, v111, v8
	v_add_f32_e32 v129, v129, v133
	v_fma_f32 v8, v110, v8, -v138
	v_add_f32_e32 v131, v131, v136
	s_waitcnt vmcnt(16)
	v_mul_f32_e32 v132, v112, v165
	ds_read2_b64 v[106:109], v1 offset0:93 offset1:94
	ds_read_b64 v[6:7], v1 offset:760
	v_add_f32_e32 v129, v129, v134
	s_waitcnt vmcnt(15) lgkmcnt(3)
	v_mul_f32_e32 v142, v114, v166
	v_add_f32_e32 v2, v131, v2
	s_waitcnt vmcnt(14)
	v_mul_f32_e32 v130, v116, v167
	s_waitcnt vmcnt(13) lgkmcnt(2)
	v_mul_f32_e32 v135, v118, v168
	v_add_f32_e32 v5, v129, v139
	v_mul_f32_e32 v129, v113, v165
	v_add_f32_e32 v2, v2, v4
	s_waitcnt vmcnt(6)
	v_fmac_f32_e32 v142, v115, v173
	s_waitcnt vmcnt(5)
	v_fmac_f32_e32 v132, v113, v174
	v_add_f32_e32 v4, v5, v140
	v_mul_f32_e32 v5, v115, v166
	v_fma_f32 v110, v112, v174, -v129
	v_add_f32_e32 v2, v2, v8
	v_mul_f32_e32 v8, v117, v167
	v_add_f32_e32 v4, v4, v137
	v_fma_f32 v5, v114, v173, -v5
	v_fmac_f32_e32 v130, v117, v124
	v_add_f32_e32 v2, v2, v110
	v_mul_f32_e32 v110, v119, v168
	v_add_f32_e32 v4, v4, v132
	v_fma_f32 v8, v116, v124, -v8
	v_mul_f32_e32 v3, v120, v169
	v_add_f32_e32 v2, v2, v5
	v_mul_f32_e32 v5, v121, v169
	v_add_f32_e32 v4, v4, v142
	v_fma_f32 v110, v118, v123, -v110
	v_fmac_f32_e32 v135, v119, v123
	v_add_f32_e32 v2, v2, v8
	s_waitcnt lgkmcnt(1)
	v_mul_f32_e32 v8, v107, v170
	v_add_f32_e32 v4, v4, v130
	s_waitcnt vmcnt(1)
	v_fma_f32 v5, v120, v127, -v5
	v_mul_f32_e32 v133, v106, v170
	v_add_f32_e32 v2, v2, v110
	v_fmac_f32_e32 v3, v121, v127
	v_add_f32_e32 v4, v4, v135
	v_mul_f32_e32 v110, v109, v171
	v_fma_f32 v8, v106, v126, -v8
	v_add_f32_e32 v2, v2, v5
	v_mul_f32_e32 v136, v108, v171
	v_fmac_f32_e32 v133, v107, v126
	v_add_f32_e32 v3, v4, v3
	s_waitcnt lgkmcnt(0)
	v_mul_f32_e32 v4, v7, v172
	v_fma_f32 v5, v108, v125, -v110
	v_add_f32_e32 v2, v2, v8
	v_mul_f32_e32 v134, v6, v172
	v_fmac_f32_e32 v136, v109, v125
	v_add_f32_e32 v3, v3, v133
	v_fma_f32 v4, v6, v122, -v4
	v_add_f32_e32 v2, v2, v5
	v_fmac_f32_e32 v134, v7, v122
	v_add_f32_e32 v3, v3, v136
	v_add_f32_e32 v2, v2, v4
	;; [unrolled: 1-line block ×3, first 2 shown]
	s_waitcnt vmcnt(0)
	v_sub_f32_e32 v2, v128, v2
	v_sub_f32_e32 v3, v154, v3
	buffer_store_dword v2, off, s[0:3], 0 offset:64
	buffer_store_dword v3, off, s[0:3], 0 offset:68
	v_cmpx_lt_u32_e32 7, v0
	s_cbranch_execz .LBB47_287
; %bb.286:
	s_clause 0x1
	buffer_load_dword v2, off, s[0:3], 0 offset:56
	buffer_load_dword v3, off, s[0:3], 0 offset:60
	buffer_store_dword v1, off, s[0:3], 0 offset:56
	buffer_store_dword v1, off, s[0:3], 0 offset:60
	s_waitcnt vmcnt(0)
	ds_write_b64 v105, v[2:3]
.LBB47_287:
	s_or_b32 exec_lo, exec_lo, s4
	s_waitcnt lgkmcnt(0)
	s_waitcnt_vscnt null, 0x0
	s_barrier
	buffer_gl0_inv
	s_clause 0x2c
	buffer_load_dword v6, off, s[0:3], 0 offset:68
	buffer_load_dword v7, off, s[0:3], 0 offset:76
	;; [unrolled: 1-line block ×45, first 2 shown]
	ds_read_b128 v[2:5], v1 offset:448
	ds_read_b128 v[106:109], v1 offset:464
	s_clause 0x2
	buffer_load_dword v154, off, s[0:3], 0 offset:60
	buffer_load_dword v155, off, s[0:3], 0 offset:244
	buffer_load_dword v156, off, s[0:3], 0 offset:252
	s_mov_b32 s4, exec_lo
	s_waitcnt vmcnt(47) lgkmcnt(1)
	v_mul_f32_e32 v152, v3, v6
	v_mul_f32_e32 v6, v2, v6
	s_waitcnt vmcnt(46)
	v_mul_f32_e32 v153, v4, v7
	v_mul_f32_e32 v7, v5, v7
	s_waitcnt vmcnt(43)
	v_fma_f32 v152, v2, v111, -v152
	v_fmac_f32_e32 v6, v3, v111
	v_fmac_f32_e32 v153, v5, v110
	v_fma_f32 v7, v4, v110, -v7
	ds_read_b128 v[2:5], v1 offset:480
	s_waitcnt vmcnt(42) lgkmcnt(1)
	v_mul_f32_e32 v110, v106, v112
	v_mul_f32_e32 v111, v107, v112
	s_waitcnt vmcnt(41)
	v_mul_f32_e32 v112, v108, v113
	v_mul_f32_e32 v113, v109, v113
	v_fmac_f32_e32 v110, v107, v8
	v_fma_f32 v8, v106, v8, -v111
	s_waitcnt vmcnt(37)
	v_fmac_f32_e32 v112, v109, v117
	v_fma_f32 v111, v108, v117, -v113
	ds_read_b128 v[106:109], v1 offset:496
	s_waitcnt vmcnt(36) lgkmcnt(1)
	v_mul_f32_e32 v113, v2, v118
	v_mul_f32_e32 v117, v3, v118
	s_waitcnt vmcnt(35)
	v_mul_f32_e32 v118, v4, v119
	v_mul_f32_e32 v119, v5, v119
	v_fmac_f32_e32 v113, v3, v116
	v_fma_f32 v116, v2, v116, -v117
	v_fmac_f32_e32 v118, v5, v115
	v_fma_f32 v115, v4, v115, -v119
	ds_read_b128 v[2:5], v1 offset:512
	s_waitcnt vmcnt(34) lgkmcnt(1)
	v_mul_f32_e32 v117, v106, v120
	v_mul_f32_e32 v119, v107, v120
	s_waitcnt vmcnt(33)
	v_mul_f32_e32 v120, v108, v121
	v_mul_f32_e32 v121, v109, v121
	v_fmac_f32_e32 v117, v107, v114
	v_fma_f32 v114, v106, v114, -v119
	s_waitcnt vmcnt(29)
	v_fmac_f32_e32 v120, v109, v125
	v_fma_f32 v119, v108, v125, -v121
	ds_read_b128 v[106:109], v1 offset:528
	s_waitcnt vmcnt(28) lgkmcnt(1)
	v_mul_f32_e32 v121, v2, v126
	v_mul_f32_e32 v125, v3, v126
	s_waitcnt vmcnt(27)
	v_mul_f32_e32 v126, v4, v127
	v_mul_f32_e32 v127, v5, v127
	v_fmac_f32_e32 v121, v3, v124
	v_fma_f32 v124, v2, v124, -v125
	;; [unrolled: 23-line block ×5, first 2 shown]
	v_fmac_f32_e32 v150, v5, v147
	v_fma_f32 v147, v4, v147, -v151
	s_clause 0x5
	buffer_load_dword v149, off, s[0:3], 0 offset:272
	buffer_load_dword v151, off, s[0:3], 0 offset:264
	buffer_load_dword v157, off, s[0:3], 0 offset:256
	buffer_load_dword v2, off, s[0:3], 0 offset:248
	buffer_load_dword v158, off, s[0:3], 0 offset:260
	buffer_load_dword v159, off, s[0:3], 0 offset:268
	v_add_f32_e32 v4, 0, v6
	buffer_load_dword v6, off, s[0:3], 0 offset:276
	v_add_f32_e32 v3, 0, v152
	s_waitcnt vmcnt(8) lgkmcnt(0)
	v_mul_f32_e32 v5, v107, v155
	s_waitcnt vmcnt(7)
	v_mul_f32_e32 v162, v108, v156
	v_add_f32_e32 v4, v4, v153
	v_add_f32_e32 v3, v3, v7
	v_mul_f32_e32 v7, v106, v155
	v_add_f32_e32 v4, v4, v110
	v_add_f32_e32 v3, v3, v8
	s_clause 0x7
	buffer_load_dword v8, off, s[0:3], 0 offset:284
	buffer_load_dword v152, off, s[0:3], 0 offset:304
	;; [unrolled: 1-line block ×8, first 2 shown]
	v_add_f32_e32 v3, v3, v111
	v_add_f32_e32 v4, v4, v112
	v_fmac_f32_e32 v7, v107, v146
	v_fma_f32 v146, v106, v146, -v5
	v_mul_f32_e32 v5, v109, v156
	v_add_f32_e32 v3, v3, v116
	v_add_f32_e32 v4, v4, v113
	s_clause 0x7
	buffer_load_dword v156, off, s[0:3], 0 offset:300
	buffer_load_dword v165, off, s[0:3], 0 offset:324
	;; [unrolled: 1-line block ×8, first 2 shown]
	v_add_f32_e32 v3, v3, v115
	v_add_f32_e32 v4, v4, v118
	buffer_load_dword v172, off, s[0:3], 0 offset:380
	s_waitcnt vmcnt(20)
	v_fmac_f32_e32 v162, v109, v2
	v_fma_f32 v118, v108, v2, -v5
	v_add_f32_e32 v2, v3, v114
	v_add_f32_e32 v3, v4, v117
	;; [unrolled: 1-line block ×8, first 2 shown]
	s_clause 0x3
	buffer_load_dword v126, off, s[0:3], 0 offset:336
	buffer_load_dword v173, off, s[0:3], 0 offset:328
	;; [unrolled: 1-line block ×4, first 2 shown]
	v_add_f32_e32 v2, v2, v122
	v_add_f32_e32 v3, v3, v125
	;; [unrolled: 1-line block ×4, first 2 shown]
	s_clause 0x3
	buffer_load_dword v127, off, s[0:3], 0 offset:368
	buffer_load_dword v128, off, s[0:3], 0 offset:360
	;; [unrolled: 1-line block ×4, first 2 shown]
	v_add_f32_e32 v2, v2, v132
	buffer_load_dword v132, off, s[0:3], 0 offset:376
	v_add_f32_e32 v3, v3, v129
	buffer_load_dword v129, off, s[0:3], 0 offset:56
	v_add_f32_e32 v2, v2, v131
	v_add_f32_e32 v3, v3, v134
	;; [unrolled: 1-line block ×4, first 2 shown]
	ds_read_b128 v[2:5], v1 offset:640
	v_add_f32_e32 v106, v106, v135
	v_add_f32_e32 v107, v107, v136
	;; [unrolled: 1-line block ×4, first 2 shown]
	ds_read_b128 v[106:109], v1 offset:656
	v_add_f32_e32 v110, v110, v139
	v_add_f32_e32 v111, v111, v142
	;; [unrolled: 1-line block ×4, first 2 shown]
	s_waitcnt vmcnt(29) lgkmcnt(1)
	v_mul_f32_e32 v130, v2, v158
	v_mul_f32_e32 v112, v3, v158
	s_waitcnt vmcnt(28)
	v_mul_f32_e32 v131, v4, v159
	v_mul_f32_e32 v113, v5, v159
	v_add_f32_e32 v115, v110, v143
	v_fmac_f32_e32 v130, v3, v157
	v_fma_f32 v122, v2, v157, -v112
	v_fmac_f32_e32 v131, v5, v151
	v_fma_f32 v133, v4, v151, -v113
	ds_read_b128 v[2:5], v1 offset:672
	ds_read_b128 v[110:113], v1 offset:688
	v_add_f32_e32 v114, v114, v144
	s_waitcnt vmcnt(27) lgkmcnt(2)
	v_mul_f32_e32 v134, v106, v6
	v_add_f32_e32 v115, v115, v148
	v_mul_f32_e32 v6, v107, v6
	s_waitcnt vmcnt(26)
	v_mul_f32_e32 v135, v108, v8
	v_add_f32_e32 v114, v114, v145
	v_fmac_f32_e32 v134, v107, v149
	v_add_f32_e32 v107, v115, v147
	v_mul_f32_e32 v8, v109, v8
	v_fma_f32 v6, v106, v149, -v6
	v_add_f32_e32 v119, v114, v150
	s_waitcnt vmcnt(22)
	v_fmac_f32_e32 v135, v109, v160
	v_add_f32_e32 v120, v107, v146
	v_fma_f32 v8, v108, v160, -v8
	ds_read_b128 v[106:109], v1 offset:704
	ds_read_b128 v[114:117], v1 offset:720
	v_add_f32_e32 v7, v119, v7
	v_add_f32_e32 v124, v120, v118
	s_waitcnt vmcnt(21) lgkmcnt(3)
	v_mul_f32_e32 v136, v2, v161
	v_mul_f32_e32 v123, v3, v161
	v_add_f32_e32 v7, v7, v162
	ds_read_b128 v[118:121], v1 offset:736
	s_waitcnt vmcnt(20) lgkmcnt(3)
	v_mul_f32_e32 v137, v111, v163
	v_fmac_f32_e32 v136, v3, v155
	v_add_f32_e32 v3, v124, v122
	v_fma_f32 v2, v2, v155, -v123
	ds_read_b128 v[122:125], v1 offset:752
	v_add_f32_e32 v1, v7, v130
	s_waitcnt vmcnt(18)
	v_mul_f32_e32 v130, v5, v156
	v_add_f32_e32 v3, v3, v133
	v_mul_f32_e32 v7, v4, v156
	v_mul_f32_e32 v133, v110, v163
	v_add_f32_e32 v1, v1, v131
	v_fma_f32 v4, v4, v153, -v130
	v_add_f32_e32 v3, v3, v6
	v_fmac_f32_e32 v7, v5, v153
	v_fma_f32 v110, v110, v152, -v137
	v_add_f32_e32 v1, v1, v134
	v_mul_f32_e32 v131, v112, v164
	v_add_f32_e32 v3, v3, v8
	v_mul_f32_e32 v8, v113, v164
	v_fmac_f32_e32 v133, v111, v152
	v_add_f32_e32 v1, v1, v135
	s_waitcnt vmcnt(17) lgkmcnt(3)
	v_mul_f32_e32 v5, v106, v165
	v_add_f32_e32 v2, v3, v2
	s_waitcnt vmcnt(16)
	v_mul_f32_e32 v130, v108, v166
	s_waitcnt vmcnt(15) lgkmcnt(2)
	v_mul_f32_e32 v6, v114, v167
	v_add_f32_e32 v1, v1, v136
	s_waitcnt vmcnt(14)
	v_mul_f32_e32 v134, v116, v168
	v_add_f32_e32 v2, v2, v4
	v_mul_f32_e32 v4, v107, v165
	s_waitcnt vmcnt(13) lgkmcnt(1)
	v_mul_f32_e32 v138, v118, v169
	v_add_f32_e32 v1, v1, v7
	s_waitcnt vmcnt(12)
	v_mul_f32_e32 v135, v120, v170
	v_add_f32_e32 v2, v2, v110
	s_waitcnt vmcnt(11) lgkmcnt(0)
	v_mul_f32_e32 v139, v122, v171
	s_waitcnt vmcnt(10)
	v_mul_f32_e32 v3, v124, v172
	v_add_f32_e32 v1, v1, v133
	s_waitcnt vmcnt(9)
	v_fmac_f32_e32 v6, v115, v126
	s_waitcnt vmcnt(8)
	v_fmac_f32_e32 v130, v109, v173
	s_waitcnt vmcnt(7)
	v_fma_f32 v4, v106, v174, -v4
	s_waitcnt vmcnt(6)
	v_fma_f32 v7, v112, v175, -v8
	v_fmac_f32_e32 v131, v113, v175
	v_mul_f32_e32 v8, v109, v166
	v_fmac_f32_e32 v5, v107, v174
	v_add_f32_e32 v2, v2, v7
	v_add_f32_e32 v1, v1, v131
	v_mul_f32_e32 v7, v115, v167
	v_fma_f32 v8, v108, v173, -v8
	s_waitcnt vmcnt(3)
	v_fmac_f32_e32 v138, v119, v176
	v_add_f32_e32 v2, v2, v4
	v_add_f32_e32 v1, v1, v5
	v_mul_f32_e32 v4, v117, v168
	v_fma_f32 v5, v114, v126, -v7
	v_mul_f32_e32 v7, v119, v169
	v_add_f32_e32 v2, v2, v8
	v_add_f32_e32 v1, v1, v130
	s_waitcnt vmcnt(2)
	v_fma_f32 v4, v116, v177, -v4
	v_fmac_f32_e32 v134, v117, v177
	v_fmac_f32_e32 v135, v121, v128
	v_add_f32_e32 v2, v2, v5
	v_add_f32_e32 v1, v1, v6
	v_mul_f32_e32 v5, v121, v170
	v_fma_f32 v6, v118, v176, -v7
	v_fmac_f32_e32 v139, v123, v127
	v_add_f32_e32 v2, v2, v4
	v_add_f32_e32 v1, v1, v134
	v_mul_f32_e32 v4, v123, v171
	v_fma_f32 v5, v120, v128, -v5
	s_waitcnt vmcnt(1)
	v_fmac_f32_e32 v3, v125, v132
	v_add_f32_e32 v2, v2, v6
	v_add_f32_e32 v1, v1, v138
	v_mul_f32_e32 v6, v125, v172
	v_fma_f32 v4, v122, v127, -v4
	v_add_f32_e32 v2, v2, v5
	v_add_f32_e32 v1, v1, v135
	v_fma_f32 v5, v124, v132, -v6
	v_add_f32_e32 v2, v2, v4
	v_add_f32_e32 v1, v1, v139
	;; [unrolled: 1-line block ×4, first 2 shown]
	s_waitcnt vmcnt(0)
	v_sub_f32_e32 v2, v129, v2
	v_sub_f32_e32 v1, v154, v1
	buffer_store_dword v2, off, s[0:3], 0 offset:56
	buffer_store_dword v1, off, s[0:3], 0 offset:60
	v_cmpx_lt_u32_e32 6, v0
	s_cbranch_execz .LBB47_289
; %bb.288:
	s_clause 0x1
	buffer_load_dword v1, off, s[0:3], 0 offset:48
	buffer_load_dword v2, off, s[0:3], 0 offset:52
	v_mov_b32_e32 v3, 0
	buffer_store_dword v3, off, s[0:3], 0 offset:48
	buffer_store_dword v3, off, s[0:3], 0 offset:52
	s_waitcnt vmcnt(0)
	ds_write_b64 v105, v[1:2]
.LBB47_289:
	s_or_b32 exec_lo, exec_lo, s4
	s_waitcnt lgkmcnt(0)
	s_waitcnt_vscnt null, 0x0
	s_barrier
	buffer_gl0_inv
	s_clause 0x24
	buffer_load_dword v2, off, s[0:3], 0 offset:60
	buffer_load_dword v3, off, s[0:3], 0 offset:68
	;; [unrolled: 1-line block ×37, first 2 shown]
	v_mov_b32_e32 v1, 0
	ds_read2_b64 v[114:117], v1 offset0:55 offset1:56
	ds_read2_b64 v[118:121], v1 offset0:57 offset1:58
	;; [unrolled: 1-line block ×3, first 2 shown]
	s_clause 0x1
	buffer_load_dword v152, off, s[0:3], 0 offset:204
	buffer_load_dword v153, off, s[0:3], 0 offset:52
	ds_read2_b64 v[126:129], v1 offset0:61 offset1:62
	s_mov_b32 s4, exec_lo
	s_waitcnt vmcnt(38) lgkmcnt(3)
	v_mul_f32_e32 v154, v115, v2
	v_mul_f32_e32 v2, v114, v2
	s_waitcnt vmcnt(37)
	v_mul_f32_e32 v155, v116, v3
	v_mul_f32_e32 v3, v117, v3
	s_waitcnt vmcnt(34)
	v_fma_f32 v154, v114, v132, -v154
	v_fmac_f32_e32 v2, v115, v132
	v_fmac_f32_e32 v155, v117, v131
	v_fma_f32 v3, v116, v131, -v3
	ds_read2_b64 v[114:117], v1 offset0:63 offset1:64
	s_waitcnt vmcnt(33) lgkmcnt(3)
	v_mul_f32_e32 v131, v118, v133
	v_mul_f32_e32 v132, v119, v133
	s_waitcnt vmcnt(32)
	v_mul_f32_e32 v133, v120, v134
	v_mul_f32_e32 v134, v121, v134
	s_waitcnt vmcnt(31) lgkmcnt(2)
	v_mul_f32_e32 v156, v122, v135
	v_fmac_f32_e32 v131, v119, v130
	v_fma_f32 v130, v118, v130, -v132
	s_waitcnt vmcnt(26)
	v_fmac_f32_e32 v133, v121, v140
	v_fma_f32 v134, v120, v140, -v134
	ds_read2_b64 v[118:121], v1 offset0:65 offset1:66
	v_mul_f32_e32 v135, v123, v135
	v_mul_f32_e32 v132, v124, v136
	;; [unrolled: 1-line block ×3, first 2 shown]
	v_fmac_f32_e32 v156, v123, v139
	s_waitcnt vmcnt(24) lgkmcnt(2)
	v_mul_f32_e32 v140, v128, v142
	v_fma_f32 v135, v122, v139, -v135
	v_fmac_f32_e32 v132, v125, v138
	v_fma_f32 v136, v124, v138, -v136
	v_mul_f32_e32 v138, v126, v141
	v_mul_f32_e32 v139, v127, v141
	;; [unrolled: 1-line block ×3, first 2 shown]
	ds_read2_b64 v[122:125], v1 offset0:67 offset1:68
	s_waitcnt vmcnt(19)
	v_fmac_f32_e32 v140, v129, v145
	v_fmac_f32_e32 v138, v127, v137
	v_fma_f32 v126, v126, v137, -v139
	v_fma_f32 v127, v128, v145, -v141
	s_clause 0x4
	buffer_load_dword v128, off, s[0:3], 0 offset:212
	buffer_load_dword v129, off, s[0:3], 0 offset:232
	;; [unrolled: 1-line block ×5, first 2 shown]
	s_waitcnt lgkmcnt(2)
	v_mul_f32_e32 v142, v114, v143
	v_mul_f32_e32 v143, v115, v143
	s_waitcnt vmcnt(23)
	v_mul_f32_e32 v145, v116, v146
	v_mul_f32_e32 v146, v117, v146
	s_waitcnt vmcnt(21) lgkmcnt(1)
	v_mul_f32_e32 v157, v120, v148
	v_fmac_f32_e32 v142, v115, v144
	v_fma_f32 v143, v114, v144, -v143
	v_mul_f32_e32 v144, v118, v147
	v_mul_f32_e32 v114, v119, v147
	buffer_load_dword v147, off, s[0:3], 0 offset:220
	v_fmac_f32_e32 v145, v117, v111
	v_fma_f32 v146, v116, v111, -v146
	v_mul_f32_e32 v111, v121, v148
	v_fmac_f32_e32 v144, v119, v8
	v_fma_f32 v8, v118, v8, -v114
	ds_read2_b64 v[114:117], v1 offset0:69 offset1:70
	s_waitcnt vmcnt(18)
	v_fmac_f32_e32 v157, v121, v149
	v_fma_f32 v148, v120, v149, -v111
	ds_read2_b64 v[118:121], v1 offset0:71 offset1:72
	s_waitcnt vmcnt(17) lgkmcnt(2)
	v_mul_f32_e32 v149, v122, v150
	v_mul_f32_e32 v111, v123, v150
	s_waitcnt vmcnt(16)
	v_mul_f32_e32 v150, v124, v151
	v_mul_f32_e32 v151, v125, v151
	v_add_f32_e32 v2, 0, v2
	v_fmac_f32_e32 v149, v123, v112
	v_fma_f32 v122, v122, v112, -v111
	v_fmac_f32_e32 v150, v125, v106
	v_fma_f32 v123, v124, v106, -v151
	s_clause 0x2
	buffer_load_dword v124, off, s[0:3], 0 offset:228
	buffer_load_dword v125, off, s[0:3], 0 offset:236
	;; [unrolled: 1-line block ×3, first 2 shown]
	s_waitcnt vmcnt(18) lgkmcnt(1)
	v_mul_f32_e32 v151, v114, v108
	v_mul_f32_e32 v106, v115, v108
	s_waitcnt vmcnt(17)
	v_mul_f32_e32 v158, v116, v107
	v_mul_f32_e32 v107, v117, v107
	v_fmac_f32_e32 v151, v115, v5
	v_fma_f32 v115, v114, v5, -v106
	s_waitcnt vmcnt(13)
	v_fmac_f32_e32 v158, v117, v113
	s_waitcnt vmcnt(12) lgkmcnt(0)
	v_mul_f32_e32 v117, v118, v110
	v_mul_f32_e32 v5, v119, v110
	s_waitcnt vmcnt(11)
	v_mul_f32_e32 v110, v120, v109
	v_mul_f32_e32 v106, v121, v109
	v_fma_f32 v116, v116, v113, -v107
	ds_read2_b64 v[111:114], v1 offset0:73 offset1:74
	v_fmac_f32_e32 v117, v119, v7
	v_fma_f32 v7, v118, v7, -v5
	v_fmac_f32_e32 v110, v121, v6
	v_fma_f32 v6, v120, v6, -v106
	s_clause 0x4
	buffer_load_dword v118, off, s[0:3], 0 offset:264
	buffer_load_dword v119, off, s[0:3], 0 offset:256
	;; [unrolled: 1-line block ×5, first 2 shown]
	v_add_f32_e32 v5, 0, v154
	v_add_f32_e32 v3, v5, v3
	;; [unrolled: 1-line block ×3, first 2 shown]
	s_waitcnt vmcnt(15) lgkmcnt(0)
	v_mul_f32_e32 v154, v111, v152
	v_mul_f32_e32 v106, v112, v152
	v_add_f32_e32 v107, v107, v134
	v_fmac_f32_e32 v154, v112, v4
	buffer_load_dword v112, off, s[0:3], 0 offset:260
	v_fma_f32 v111, v111, v4, -v106
	v_add_f32_e32 v106, v2, v155
	ds_read2_b64 v[2:5], v1 offset0:75 offset1:76
	v_add_f32_e32 v107, v107, v135
	v_add_f32_e32 v106, v106, v131
	buffer_load_dword v131, off, s[0:3], 0 offset:276
	v_add_f32_e32 v106, v106, v133
	v_add_f32_e32 v133, v107, v136
	;; [unrolled: 1-line block ×3, first 2 shown]
	s_waitcnt vmcnt(15)
	v_mul_f32_e32 v130, v113, v128
	v_mul_f32_e32 v108, v114, v128
	buffer_load_dword v128, off, s[0:3], 0 offset:268
	s_waitcnt vmcnt(12)
	v_fmac_f32_e32 v130, v114, v141
	v_add_f32_e32 v114, v106, v156
	v_fma_f32 v113, v113, v141, -v108
	ds_read2_b64 v[106:109], v1 offset0:77 offset1:78
	v_add_f32_e32 v114, v114, v132
	s_clause 0x3
	buffer_load_dword v132, off, s[0:3], 0 offset:296
	buffer_load_dword v133, off, s[0:3], 0 offset:288
	;; [unrolled: 1-line block ×4, first 2 shown]
	s_waitcnt vmcnt(15) lgkmcnt(1)
	v_mul_f32_e32 v134, v2, v147
	v_mul_f32_e32 v135, v3, v147
	v_fmac_f32_e32 v134, v3, v139
	v_fma_f32 v135, v2, v139, -v135
	v_add_f32_e32 v2, v114, v138
	s_clause 0x1
	buffer_load_dword v138, off, s[0:3], 0 offset:284
	buffer_load_dword v139, off, s[0:3], 0 offset:292
	v_add_f32_e32 v3, v126, v127
	buffer_load_dword v126, off, s[0:3], 0 offset:300
	v_add_f32_e32 v2, v2, v140
	v_add_f32_e32 v3, v3, v143
	;; [unrolled: 1-line block ×3, first 2 shown]
	s_waitcnt vmcnt(17)
	v_mul_f32_e32 v114, v4, v124
	v_add_f32_e32 v146, v3, v146
	v_mul_f32_e32 v124, v5, v124
	v_add_f32_e32 v127, v127, v145
	s_waitcnt vmcnt(16) lgkmcnt(0)
	v_mul_f32_e32 v145, v106, v125
	v_add_f32_e32 v8, v146, v8
	v_mul_f32_e32 v125, v107, v125
	v_fmac_f32_e32 v114, v5, v137
	v_add_f32_e32 v127, v127, v144
	v_fma_f32 v124, v4, v137, -v124
	s_clause 0x3
	buffer_load_dword v137, off, s[0:3], 0 offset:308
	buffer_load_dword v140, off, s[0:3], 0 offset:316
	;; [unrolled: 1-line block ×4, first 2 shown]
	ds_read2_b64 v[2:5], v1 offset0:79 offset1:80
	v_add_f32_e32 v8, v8, v148
	s_waitcnt vmcnt(19)
	v_mul_f32_e32 v146, v108, v159
	v_mul_f32_e32 v144, v109, v159
	v_fma_f32 v125, v106, v129, -v125
	v_add_f32_e32 v106, v127, v157
	v_add_f32_e32 v8, v8, v122
	v_fmac_f32_e32 v145, v107, v129
	s_clause 0x3
	buffer_load_dword v127, off, s[0:3], 0 offset:340
	buffer_load_dword v129, off, s[0:3], 0 offset:348
	;; [unrolled: 1-line block ×4, first 2 shown]
	v_add_f32_e32 v106, v106, v149
	v_add_f32_e32 v8, v8, v123
	s_waitcnt vmcnt(19)
	v_fmac_f32_e32 v146, v109, v121
	v_fma_f32 v121, v108, v121, -v144
	s_clause 0x5
	buffer_load_dword v144, off, s[0:3], 0 offset:372
	buffer_load_dword v122, off, s[0:3], 0 offset:328
	;; [unrolled: 1-line block ×6, first 2 shown]
	v_add_f32_e32 v123, v106, v150
	v_add_f32_e32 v8, v8, v115
	ds_read2_b64 v[106:109], v1 offset0:81 offset1:82
	s_waitcnt vmcnt(24) lgkmcnt(1)
	v_mul_f32_e32 v150, v3, v160
	v_add_f32_e32 v115, v123, v151
	v_mul_f32_e32 v123, v2, v160
	v_add_f32_e32 v8, v8, v116
	v_fmac_f32_e32 v123, v3, v120
	v_fma_f32 v120, v2, v120, -v150
	v_add_f32_e32 v3, v8, v7
	s_clause 0x3
	buffer_load_dword v8, off, s[0:3], 0 offset:360
	buffer_load_dword v150, off, s[0:3], 0 offset:352
	;; [unrolled: 1-line block ×4, first 2 shown]
	v_add_f32_e32 v2, v115, v158
	s_clause 0x2
	buffer_load_dword v158, off, s[0:3], 0 offset:376
	buffer_load_dword v159, off, s[0:3], 0 offset:368
	;; [unrolled: 1-line block ×3, first 2 shown]
	v_add_f32_e32 v3, v3, v6
	s_waitcnt vmcnt(30)
	v_mul_f32_e32 v161, v4, v112
	v_add_f32_e32 v2, v2, v117
	v_add_f32_e32 v6, v3, v111
	v_mul_f32_e32 v3, v5, v112
	v_add_f32_e32 v2, v2, v110
	v_fmac_f32_e32 v161, v5, v119
	s_waitcnt vmcnt(29) lgkmcnt(0)
	v_mul_f32_e32 v116, v109, v131
	v_add_f32_e32 v6, v6, v113
	ds_read2_b64 v[110:113], v1 offset0:85 offset1:86
	v_add_f32_e32 v7, v2, v154
	v_fma_f32 v154, v4, v119, -v3
	ds_read2_b64 v[2:5], v1 offset0:83 offset1:84
	v_add_f32_e32 v6, v6, v135
	v_add_f32_e32 v7, v7, v130
	;; [unrolled: 1-line block ×9, first 2 shown]
	s_waitcnt vmcnt(28)
	v_mul_f32_e32 v130, v106, v128
	v_mul_f32_e32 v115, v107, v128
	;; [unrolled: 1-line block ×3, first 2 shown]
	v_fmac_f32_e32 v130, v107, v118
	v_fma_f32 v131, v106, v118, -v115
	s_waitcnt vmcnt(24)
	v_fma_f32 v124, v108, v141, -v116
	v_fmac_f32_e32 v128, v109, v141
	ds_read2_b64 v[106:109], v1 offset0:87 offset1:88
	ds_read2_b64 v[114:117], v1 offset0:89 offset1:90
	s_waitcnt vmcnt(23) lgkmcnt(2)
	v_mul_f32_e32 v125, v2, v138
	v_mul_f32_e32 v118, v3, v138
	s_waitcnt vmcnt(22)
	v_mul_f32_e32 v134, v4, v139
	v_mul_f32_e32 v135, v5, v139
	s_waitcnt vmcnt(21)
	v_mul_f32_e32 v138, v110, v126
	v_fmac_f32_e32 v125, v3, v136
	v_fma_f32 v136, v2, v136, -v118
	v_add_f32_e32 v2, v7, v146
	v_fmac_f32_e32 v134, v5, v133
	v_fma_f32 v133, v4, v133, -v135
	v_add_f32_e32 v135, v6, v154
	v_mul_f32_e32 v126, v111, v126
	v_add_f32_e32 v123, v2, v123
	v_fmac_f32_e32 v138, v111, v132
	ds_read2_b64 v[118:121], v1 offset0:91 offset1:92
	ds_read2_b64 v[2:5], v1 offset0:93 offset1:94
	v_add_f32_e32 v131, v135, v131
	v_add_f32_e32 v123, v123, v161
	v_fma_f32 v110, v110, v132, -v126
	s_waitcnt vmcnt(20)
	v_mul_f32_e32 v135, v113, v137
	v_mul_f32_e32 v139, v112, v137
	v_add_f32_e32 v124, v131, v124
	v_add_f32_e32 v123, v123, v130
	s_waitcnt vmcnt(19) lgkmcnt(3)
	v_mul_f32_e32 v130, v106, v140
	v_mul_f32_e32 v132, v107, v140
	s_waitcnt vmcnt(18)
	v_mul_f32_e32 v131, v108, v142
	v_add_f32_e32 v124, v124, v136
	v_add_f32_e32 v123, v123, v128
	s_waitcnt vmcnt(17) lgkmcnt(2)
	v_mul_f32_e32 v137, v114, v143
	s_waitcnt vmcnt(16)
	v_mul_f32_e32 v128, v116, v127
	ds_read_b64 v[6:7], v1 offset:760
	v_add_f32_e32 v124, v124, v133
	v_add_f32_e32 v123, v123, v125
	s_waitcnt vmcnt(15) lgkmcnt(2)
	v_mul_f32_e32 v136, v118, v129
	s_waitcnt vmcnt(11)
	v_fmac_f32_e32 v137, v115, v122
	v_add_f32_e32 v110, v124, v110
	v_add_f32_e32 v123, v123, v134
	s_waitcnt vmcnt(8)
	v_fma_f32 v112, v112, v155, -v135
	v_fmac_f32_e32 v139, v113, v155
	v_fmac_f32_e32 v130, v107, v152
	v_fma_f32 v106, v106, v152, -v132
	v_add_f32_e32 v113, v123, v138
	v_mul_f32_e32 v123, v109, v142
	v_add_f32_e32 v107, v110, v112
	v_mul_f32_e32 v112, v115, v143
	v_fmac_f32_e32 v131, v109, v149
	v_add_f32_e32 v110, v113, v139
	v_fma_f32 v108, v108, v149, -v123
	v_add_f32_e32 v106, v107, v106
	v_mul_f32_e32 v109, v117, v127
	v_mul_f32_e32 v111, v120, v147
	v_add_f32_e32 v107, v110, v130
	v_fma_f32 v110, v114, v122, -v112
	v_add_f32_e32 v106, v106, v108
	v_mul_f32_e32 v108, v119, v129
	s_waitcnt vmcnt(3)
	v_fma_f32 v109, v116, v157, -v109
	v_add_f32_e32 v107, v107, v131
	v_fmac_f32_e32 v128, v117, v157
	v_add_f32_e32 v106, v106, v110
	v_mul_f32_e32 v110, v121, v147
	v_fma_f32 v108, v118, v151, -v108
	v_add_f32_e32 v107, v107, v137
	v_fmac_f32_e32 v136, v119, v151
	v_add_f32_e32 v106, v106, v109
	s_waitcnt lgkmcnt(1)
	v_mul_f32_e32 v125, v2, v148
	v_mul_f32_e32 v109, v3, v148
	v_add_f32_e32 v107, v107, v128
	v_fma_f32 v110, v120, v150, -v110
	v_add_f32_e32 v106, v106, v108
	v_fmac_f32_e32 v111, v121, v150
	v_mul_f32_e32 v108, v5, v144
	v_add_f32_e32 v107, v107, v136
	v_fmac_f32_e32 v125, v3, v8
	v_fma_f32 v2, v2, v8, -v109
	v_add_f32_e32 v3, v106, v110
	v_mul_f32_e32 v126, v4, v144
	v_add_f32_e32 v8, v107, v111
	s_waitcnt lgkmcnt(0)
	v_mul_f32_e32 v106, v7, v156
	s_waitcnt vmcnt(1)
	v_fma_f32 v4, v4, v159, -v108
	v_add_f32_e32 v2, v3, v2
	v_mul_f32_e32 v133, v6, v156
	v_fmac_f32_e32 v126, v5, v159
	v_add_f32_e32 v3, v8, v125
	v_fma_f32 v5, v6, v158, -v106
	v_add_f32_e32 v2, v2, v4
	v_fmac_f32_e32 v133, v7, v158
	v_add_f32_e32 v3, v3, v126
	v_add_f32_e32 v2, v2, v5
	;; [unrolled: 1-line block ×3, first 2 shown]
	s_waitcnt vmcnt(0)
	v_sub_f32_e32 v2, v160, v2
	v_sub_f32_e32 v3, v153, v3
	buffer_store_dword v2, off, s[0:3], 0 offset:48
	buffer_store_dword v3, off, s[0:3], 0 offset:52
	v_cmpx_lt_u32_e32 5, v0
	s_cbranch_execz .LBB47_291
; %bb.290:
	s_clause 0x1
	buffer_load_dword v2, off, s[0:3], 0 offset:40
	buffer_load_dword v3, off, s[0:3], 0 offset:44
	buffer_store_dword v1, off, s[0:3], 0 offset:40
	buffer_store_dword v1, off, s[0:3], 0 offset:44
	s_waitcnt vmcnt(0)
	ds_write_b64 v105, v[2:3]
.LBB47_291:
	s_or_b32 exec_lo, exec_lo, s4
	s_waitcnt lgkmcnt(0)
	s_waitcnt_vscnt null, 0x0
	s_barrier
	buffer_gl0_inv
	s_clause 0x24
	buffer_load_dword v134, off, s[0:3], 0 offset:52
	buffer_load_dword v2, off, s[0:3], 0 offset:60
	;; [unrolled: 1-line block ×37, first 2 shown]
	ds_read_b128 v[118:121], v1 offset:432
	ds_read_b128 v[122:125], v1 offset:448
	;; [unrolled: 1-line block ×3, first 2 shown]
	s_clause 0x1
	buffer_load_dword v152, off, s[0:3], 0 offset:196
	buffer_load_dword v153, off, s[0:3], 0 offset:204
	ds_read_b128 v[130:133], v1 offset:480
	buffer_load_dword v155, off, s[0:3], 0 offset:44
	s_mov_b32 s4, exec_lo
	s_waitcnt vmcnt(39) lgkmcnt(3)
	v_mul_f32_e32 v154, v119, v134
	v_mul_f32_e32 v134, v118, v134
	s_waitcnt vmcnt(38)
	v_mul_f32_e32 v156, v120, v2
	v_mul_f32_e32 v2, v121, v2
	s_waitcnt vmcnt(35)
	v_fma_f32 v154, v118, v137, -v154
	v_fmac_f32_e32 v134, v119, v137
	v_fmac_f32_e32 v156, v121, v136
	v_fma_f32 v2, v120, v136, -v2
	s_waitcnt vmcnt(33) lgkmcnt(2)
	v_mul_f32_e32 v136, v124, v139
	v_mul_f32_e32 v119, v125, v139
	;; [unrolled: 1-line block ×4, first 2 shown]
	s_waitcnt vmcnt(32) lgkmcnt(1)
	v_mul_f32_e32 v138, v126, v140
	v_mul_f32_e32 v139, v127, v140
	s_waitcnt vmcnt(28)
	v_fmac_f32_e32 v136, v125, v143
	v_fma_f32 v140, v124, v143, -v119
	s_waitcnt vmcnt(27)
	v_mul_f32_e32 v143, v128, v144
	v_mul_f32_e32 v144, v129, v144
	v_fmac_f32_e32 v137, v123, v135
	v_fma_f32 v135, v122, v135, -v118
	ds_read_b128 v[118:121], v1 offset:496
	ds_read_b128 v[122:125], v1 offset:512
	v_fmac_f32_e32 v138, v127, v142
	v_fma_f32 v139, v126, v142, -v139
	s_waitcnt vmcnt(26) lgkmcnt(2)
	v_mul_f32_e32 v142, v130, v145
	v_mul_f32_e32 v126, v131, v145
	v_fmac_f32_e32 v143, v129, v141
	v_fma_f32 v141, v128, v141, -v144
	s_waitcnt vmcnt(25)
	v_mul_f32_e32 v144, v132, v146
	v_mul_f32_e32 v127, v133, v146
	s_clause 0x3
	buffer_load_dword v145, off, s[0:3], 0 offset:224
	buffer_load_dword v146, off, s[0:3], 0 offset:216
	;; [unrolled: 1-line block ×4, first 2 shown]
	v_fmac_f32_e32 v142, v131, v108
	v_fma_f32 v130, v130, v108, -v126
	s_waitcnt vmcnt(25)
	v_fmac_f32_e32 v144, v133, v147
	v_fma_f32 v131, v132, v147, -v127
	ds_read_b128 v[126:129], v1 offset:528
	s_clause 0x1
	buffer_load_dword v159, off, s[0:3], 0 offset:212
	buffer_load_dword v160, off, s[0:3], 0 offset:220
	s_waitcnt vmcnt(26) lgkmcnt(2)
	v_mul_f32_e32 v132, v118, v148
	v_mul_f32_e32 v108, v119, v148
	s_waitcnt vmcnt(25)
	v_mul_f32_e32 v133, v120, v149
	v_mul_f32_e32 v147, v121, v149
	s_waitcnt vmcnt(24) lgkmcnt(1)
	v_mul_f32_e32 v149, v122, v150
	v_fmac_f32_e32 v132, v119, v115
	v_fma_f32 v148, v118, v115, -v108
	v_fmac_f32_e32 v133, v121, v109
	v_fma_f32 v147, v120, v109, -v147
	ds_read_b128 v[118:121], v1 offset:544
	v_mul_f32_e32 v108, v123, v150
	s_waitcnt vmcnt(23)
	v_mul_f32_e32 v109, v125, v114
	v_mul_f32_e32 v150, v124, v114
	v_fmac_f32_e32 v149, v123, v6
	v_fma_f32 v6, v122, v6, -v108
	s_waitcnt vmcnt(19)
	v_fma_f32 v122, v124, v151, -v109
	s_waitcnt vmcnt(18) lgkmcnt(1)
	v_mul_f32_e32 v123, v126, v117
	v_mul_f32_e32 v108, v127, v117
	s_waitcnt vmcnt(17)
	v_mul_f32_e32 v124, v128, v116
	v_mul_f32_e32 v109, v129, v116
	ds_read_b128 v[114:117], v1 offset:560
	v_fmac_f32_e32 v150, v125, v151
	v_fmac_f32_e32 v123, v127, v110
	buffer_load_dword v125, off, s[0:3], 0 offset:228
	v_fma_f32 v110, v126, v110, -v108
	v_fmac_f32_e32 v124, v129, v8
	v_fma_f32 v8, v128, v8, -v109
	s_waitcnt vmcnt(16) lgkmcnt(1)
	v_mul_f32_e32 v127, v120, v106
	v_mul_f32_e32 v106, v121, v106
	;; [unrolled: 1-line block ×4, first 2 shown]
	s_waitcnt vmcnt(12)
	v_fmac_f32_e32 v127, v121, v113
	v_fma_f32 v113, v120, v113, -v106
	buffer_load_dword v120, off, s[0:3], 0 offset:236
	v_fmac_f32_e32 v126, v119, v4
	v_fma_f32 v118, v118, v4, -v107
	ds_read_b128 v[106:109], v1 offset:576
	s_waitcnt vmcnt(12) lgkmcnt(1)
	v_mul_f32_e32 v119, v114, v112
	v_mul_f32_e32 v4, v115, v112
	s_waitcnt vmcnt(11)
	v_mul_f32_e32 v112, v116, v111
	v_mul_f32_e32 v111, v117, v111
	v_fmac_f32_e32 v119, v115, v7
	v_fma_f32 v7, v114, v7, -v4
	v_fmac_f32_e32 v112, v117, v5
	v_fma_f32 v111, v116, v5, -v111
	s_clause 0x4
	buffer_load_dword v114, off, s[0:3], 0 offset:256
	buffer_load_dword v115, off, s[0:3], 0 offset:248
	;; [unrolled: 1-line block ×5, first 2 shown]
	v_add_f32_e32 v4, 0, v154
	v_add_f32_e32 v5, 0, v134
	s_clause 0x1
	buffer_load_dword v128, off, s[0:3], 0 offset:252
	buffer_load_dword v129, off, s[0:3], 0 offset:260
	v_add_f32_e32 v2, v4, v2
	v_add_f32_e32 v4, v5, v156
	s_waitcnt vmcnt(17) lgkmcnt(0)
	v_mul_f32_e32 v134, v106, v152
	v_mul_f32_e32 v5, v107, v152
	v_add_f32_e32 v2, v2, v135
	v_add_f32_e32 v4, v4, v137
	s_waitcnt vmcnt(16)
	v_mul_f32_e32 v137, v109, v153
	v_fmac_f32_e32 v134, v107, v3
	v_fma_f32 v151, v106, v3, -v5
	v_add_f32_e32 v106, v2, v140
	v_add_f32_e32 v107, v4, v136
	ds_read_b128 v[2:5], v1 offset:592
	v_mul_f32_e32 v135, v108, v153
	v_add_f32_e32 v106, v106, v139
	v_add_f32_e32 v107, v107, v138
	;; [unrolled: 1-line block ×10, first 2 shown]
	s_waitcnt vmcnt(11)
	v_fma_f32 v136, v108, v158, -v137
	s_clause 0x7
	buffer_load_dword v137, off, s[0:3], 0 offset:268
	buffer_load_dword v138, off, s[0:3], 0 offset:288
	buffer_load_dword v139, off, s[0:3], 0 offset:280
	buffer_load_dword v140, off, s[0:3], 0 offset:272
	buffer_load_dword v152, off, s[0:3], 0 offset:264
	buffer_load_dword v130, off, s[0:3], 0 offset:276
	buffer_load_dword v141, off, s[0:3], 0 offset:284
	buffer_load_dword v142, off, s[0:3], 0 offset:292
	v_fmac_f32_e32 v135, v109, v158
	ds_read_b128 v[106:109], v1 offset:608
	s_waitcnt vmcnt(18) lgkmcnt(1)
	v_mul_f32_e32 v144, v2, v159
	v_mul_f32_e32 v153, v3, v159
	s_waitcnt vmcnt(17)
	v_mul_f32_e32 v143, v4, v160
	v_mul_f32_e32 v148, v5, v160
	v_fmac_f32_e32 v144, v3, v157
	v_add_f32_e32 v3, v131, v147
	v_add_f32_e32 v131, v132, v133
	v_fma_f32 v132, v2, v157, -v153
	v_fmac_f32_e32 v143, v5, v146
	v_fma_f32 v133, v4, v146, -v148
	v_add_f32_e32 v2, v3, v6
	v_add_f32_e32 v3, v131, v149
	s_clause 0x7
	buffer_load_dword v6, off, s[0:3], 0 offset:300
	buffer_load_dword v131, off, s[0:3], 0 offset:308
	;; [unrolled: 1-line block ×8, first 2 shown]
	v_add_f32_e32 v2, v2, v122
	v_add_f32_e32 v3, v3, v150
	s_clause 0x3
	buffer_load_dword v150, off, s[0:3], 0 offset:332
	buffer_load_dword v157, off, s[0:3], 0 offset:340
	;; [unrolled: 1-line block ×4, first 2 shown]
	v_add_f32_e32 v2, v2, v110
	v_add_f32_e32 v8, v2, v8
	s_waitcnt vmcnt(28) lgkmcnt(0)
	v_mul_f32_e32 v4, v107, v125
	v_mul_f32_e32 v156, v106, v125
	v_add_f32_e32 v8, v8, v118
	v_fma_f32 v122, v106, v145, -v4
	v_add_f32_e32 v106, v3, v123
	v_fmac_f32_e32 v156, v107, v145
	s_clause 0x2
	buffer_load_dword v145, off, s[0:3], 0 offset:364
	buffer_load_dword v160, off, s[0:3], 0 offset:372
	;; [unrolled: 1-line block ×3, first 2 shown]
	v_add_f32_e32 v8, v8, v113
	v_add_f32_e32 v106, v106, v124
	s_waitcnt vmcnt(30)
	v_mul_f32_e32 v3, v109, v120
	v_mul_f32_e32 v123, v108, v120
	v_add_f32_e32 v7, v8, v7
	v_add_f32_e32 v106, v106, v126
	;; [unrolled: 1-line block ×4, first 2 shown]
	s_waitcnt vmcnt(26)
	v_fma_f32 v120, v108, v117, -v3
	ds_read_b128 v[2:5], v1 offset:624
	s_clause 0x3
	buffer_load_dword v126, off, s[0:3], 0 offset:352
	buffer_load_dword v162, off, s[0:3], 0 offset:344
	;; [unrolled: 1-line block ×4, first 2 shown]
	v_add_f32_e32 v8, v106, v119
	v_fmac_f32_e32 v123, v109, v117
	ds_read_b128 v[106:109], v1 offset:640
	s_waitcnt vmcnt(29) lgkmcnt(1)
	v_mul_f32_e32 v118, v2, v121
	v_mul_f32_e32 v110, v3, v121
	s_waitcnt vmcnt(28)
	v_mul_f32_e32 v124, v4, v128
	s_waitcnt vmcnt(27) lgkmcnt(0)
	v_mul_f32_e32 v117, v107, v129
	v_fmac_f32_e32 v118, v3, v116
	v_fma_f32 v119, v2, v116, -v110
	v_add_f32_e32 v2, v8, v112
	v_add_f32_e32 v3, v7, v151
	s_clause 0x2
	buffer_load_dword v7, off, s[0:3], 0 offset:376
	buffer_load_dword v8, off, s[0:3], 0 offset:368
	;; [unrolled: 1-line block ×3, first 2 shown]
	v_mul_f32_e32 v110, v5, v128
	v_fmac_f32_e32 v124, v5, v115
	v_add_f32_e32 v2, v2, v134
	buffer_load_dword v134, off, s[0:3], 0 offset:40
	v_add_f32_e32 v3, v3, v136
	v_fma_f32 v121, v4, v115, -v110
	v_mul_f32_e32 v128, v106, v129
	v_add_f32_e32 v111, v2, v135
	v_add_f32_e32 v115, v3, v132
	ds_read_b128 v[2:5], v1 offset:656
	v_fma_f32 v132, v106, v114, -v117
	v_add_f32_e32 v116, v111, v144
	ds_read_b128 v[110:113], v1 offset:672
	v_add_f32_e32 v115, v115, v133
	v_fmac_f32_e32 v128, v107, v114
	v_add_f32_e32 v116, v116, v143
	v_add_f32_e32 v122, v115, v122
	;; [unrolled: 1-line block ×4, first 2 shown]
	s_waitcnt vmcnt(30)
	v_mul_f32_e32 v125, v109, v137
	v_mul_f32_e32 v129, v108, v137
	s_waitcnt vmcnt(25) lgkmcnt(1)
	v_mul_f32_e32 v135, v2, v130
	v_mul_f32_e32 v122, v3, v130
	v_fma_f32 v133, v108, v152, -v125
	v_add_f32_e32 v125, v116, v156
	s_waitcnt vmcnt(23) lgkmcnt(0)
	v_mul_f32_e32 v136, v110, v142
	v_fmac_f32_e32 v135, v3, v140
	v_fma_f32 v140, v2, v140, -v122
	v_mul_f32_e32 v130, v4, v141
	v_add_f32_e32 v123, v125, v123
	v_mul_f32_e32 v125, v5, v141
	v_mul_f32_e32 v137, v111, v142
	v_fmac_f32_e32 v136, v111, v138
	v_fmac_f32_e32 v129, v109, v152
	v_add_f32_e32 v122, v123, v118
	v_add_f32_e32 v123, v119, v121
	ds_read_b128 v[106:109], v1 offset:688
	ds_read_b128 v[114:117], v1 offset:704
	v_fmac_f32_e32 v130, v5, v139
	v_fma_f32 v139, v4, v139, -v125
	v_add_f32_e32 v141, v122, v124
	v_add_f32_e32 v111, v123, v132
	ds_read_b128 v[2:5], v1 offset:720
	ds_read_b128 v[118:121], v1 offset:736
	;; [unrolled: 1-line block ×3, first 2 shown]
	v_fma_f32 v110, v110, v138, -v137
	v_add_f32_e32 v1, v141, v128
	v_add_f32_e32 v111, v111, v133
	s_waitcnt vmcnt(22)
	v_mul_f32_e32 v128, v112, v6
	v_mul_f32_e32 v6, v113, v6
	v_add_f32_e32 v1, v1, v129
	v_add_f32_e32 v111, v111, v140
	s_waitcnt vmcnt(15)
	v_fmac_f32_e32 v128, v113, v154
	v_fma_f32 v6, v112, v154, -v6
	v_add_f32_e32 v1, v1, v135
	v_add_f32_e32 v111, v111, v139
	s_waitcnt lgkmcnt(4)
	v_mul_f32_e32 v132, v106, v131
	v_mul_f32_e32 v131, v107, v131
	;; [unrolled: 1-line block ×3, first 2 shown]
	v_add_f32_e32 v1, v1, v130
	v_add_f32_e32 v110, v111, v110
	v_mul_f32_e32 v130, v109, v146
	v_fma_f32 v106, v106, v153, -v131
	v_fmac_f32_e32 v132, v107, v153
	v_add_f32_e32 v1, v1, v136
	v_add_f32_e32 v6, v110, v6
	s_waitcnt lgkmcnt(3)
	v_mul_f32_e32 v107, v115, v147
	v_fma_f32 v108, v108, v149, -v130
	v_mul_f32_e32 v112, v114, v147
	v_add_f32_e32 v1, v1, v128
	v_add_f32_e32 v6, v6, v106
	v_fmac_f32_e32 v129, v109, v149
	s_waitcnt vmcnt(14)
	v_mul_f32_e32 v106, v117, v150
	v_fma_f32 v107, v114, v148, -v107
	v_add_f32_e32 v1, v1, v132
	v_add_f32_e32 v6, v6, v108
	v_mul_f32_e32 v113, v116, v150
	v_fmac_f32_e32 v112, v115, v148
	s_waitcnt vmcnt(13) lgkmcnt(2)
	v_mul_f32_e32 v133, v2, v157
	v_add_f32_e32 v1, v1, v129
	v_mul_f32_e32 v108, v3, v157
	v_add_f32_e32 v6, v6, v107
	s_waitcnt vmcnt(4)
	v_fma_f32 v106, v116, v164, -v106
	v_fmac_f32_e32 v113, v117, v164
	v_add_f32_e32 v1, v1, v112
	v_mul_f32_e32 v107, v5, v158
	v_fmac_f32_e32 v133, v3, v163
	v_fma_f32 v2, v2, v163, -v108
	v_add_f32_e32 v3, v6, v106
	v_mul_f32_e32 v135, v4, v158
	v_add_f32_e32 v1, v1, v113
	s_waitcnt lgkmcnt(1)
	v_mul_f32_e32 v6, v119, v159
	v_fma_f32 v4, v4, v162, -v107
	v_add_f32_e32 v2, v3, v2
	v_mul_f32_e32 v137, v118, v159
	v_fmac_f32_e32 v135, v5, v162
	v_add_f32_e32 v1, v1, v133
	v_mul_f32_e32 v3, v121, v145
	v_fma_f32 v5, v118, v126, -v6
	v_add_f32_e32 v2, v2, v4
	v_mul_f32_e32 v138, v120, v145
	v_fmac_f32_e32 v137, v119, v126
	v_add_f32_e32 v1, v1, v135
	s_waitcnt lgkmcnt(0)
	v_mul_f32_e32 v4, v123, v160
	v_add_f32_e32 v2, v2, v5
	v_mul_f32_e32 v139, v122, v160
	v_mul_f32_e32 v5, v125, v161
	v_add_f32_e32 v1, v1, v137
	v_mul_f32_e32 v111, v124, v161
	s_waitcnt vmcnt(2)
	v_fma_f32 v4, v122, v8, -v4
	s_waitcnt vmcnt(1)
	v_fma_f32 v3, v120, v127, -v3
	v_fmac_f32_e32 v138, v121, v127
	v_fmac_f32_e32 v139, v123, v8
	;; [unrolled: 1-line block ×3, first 2 shown]
	v_add_f32_e32 v2, v2, v3
	v_add_f32_e32 v1, v1, v138
	v_fma_f32 v3, v124, v7, -v5
	v_add_f32_e32 v2, v2, v4
	v_add_f32_e32 v1, v1, v139
	;; [unrolled: 1-line block ×4, first 2 shown]
	s_waitcnt vmcnt(0)
	v_sub_f32_e32 v2, v134, v2
	v_sub_f32_e32 v1, v155, v1
	buffer_store_dword v2, off, s[0:3], 0 offset:40
	buffer_store_dword v1, off, s[0:3], 0 offset:44
	v_cmpx_lt_u32_e32 4, v0
	s_cbranch_execz .LBB47_293
; %bb.292:
	s_clause 0x1
	buffer_load_dword v1, off, s[0:3], 0 offset:32
	buffer_load_dword v2, off, s[0:3], 0 offset:36
	v_mov_b32_e32 v3, 0
	buffer_store_dword v3, off, s[0:3], 0 offset:32
	buffer_store_dword v3, off, s[0:3], 0 offset:36
	s_waitcnt vmcnt(0)
	ds_write_b64 v105, v[1:2]
.LBB47_293:
	s_or_b32 exec_lo, exec_lo, s4
	s_waitcnt lgkmcnt(0)
	s_waitcnt_vscnt null, 0x0
	s_barrier
	buffer_gl0_inv
	s_clause 0x2c
	buffer_load_dword v144, off, s[0:3], 0 offset:44
	buffer_load_dword v145, off, s[0:3], 0 offset:52
	;; [unrolled: 1-line block ×45, first 2 shown]
	v_mov_b32_e32 v1, 0
	ds_read2_b64 v[136:139], v1 offset0:53 offset1:54
	ds_read2_b64 v[140:143], v1 offset0:55 offset1:56
	buffer_load_dword v154, off, s[0:3], 0 offset:36
	s_mov_b32 s4, exec_lo
	s_waitcnt vmcnt(45) lgkmcnt(1)
	v_mul_f32_e32 v152, v137, v144
	v_mul_f32_e32 v144, v136, v144
	s_waitcnt vmcnt(44)
	v_mul_f32_e32 v153, v138, v145
	v_mul_f32_e32 v145, v139, v145
	s_waitcnt vmcnt(41)
	v_fma_f32 v152, v136, v133, -v152
	v_fmac_f32_e32 v144, v137, v133
	v_fmac_f32_e32 v153, v139, v129
	v_fma_f32 v145, v138, v129, -v145
	ds_read2_b64 v[136:139], v1 offset0:57 offset1:58
	s_waitcnt vmcnt(40) lgkmcnt(1)
	v_mul_f32_e32 v155, v140, v128
	v_mul_f32_e32 v128, v141, v128
	s_waitcnt vmcnt(39)
	v_mul_f32_e32 v156, v142, v126
	v_mul_f32_e32 v126, v143, v126
	v_fmac_f32_e32 v155, v141, v115
	v_fma_f32 v115, v140, v115, -v128
	s_waitcnt vmcnt(35)
	v_fmac_f32_e32 v156, v143, v134
	v_fma_f32 v157, v142, v134, -v126
	ds_read2_b64 v[140:143], v1 offset0:59 offset1:60
	s_waitcnt vmcnt(34) lgkmcnt(1)
	v_mul_f32_e32 v158, v136, v132
	v_mul_f32_e32 v126, v137, v132
	s_waitcnt vmcnt(33)
	v_mul_f32_e32 v159, v138, v131
	v_mul_f32_e32 v128, v139, v131
	ds_read2_b64 v[131:134], v1 offset0:61 offset1:62
	v_fmac_f32_e32 v158, v137, v123
	v_fma_f32 v123, v136, v123, -v126
	v_fmac_f32_e32 v159, v139, v118
	v_fma_f32 v160, v138, v118, -v128
	ds_read2_b64 v[136:139], v1 offset0:63 offset1:64
	s_waitcnt vmcnt(32) lgkmcnt(2)
	v_mul_f32_e32 v161, v140, v122
	v_mul_f32_e32 v118, v141, v122
	s_waitcnt vmcnt(31)
	v_mul_f32_e32 v122, v142, v120
	v_mul_f32_e32 v120, v143, v120
	v_fmac_f32_e32 v161, v141, v8
	v_fma_f32 v8, v140, v8, -v118
	s_waitcnt vmcnt(27)
	v_fmac_f32_e32 v122, v143, v130
	v_fma_f32 v140, v142, v130, -v120
	s_waitcnt vmcnt(26) lgkmcnt(1)
	v_mul_f32_e32 v141, v131, v127
	v_mul_f32_e32 v118, v132, v127
	s_waitcnt vmcnt(25)
	v_mul_f32_e32 v142, v133, v125
	v_mul_f32_e32 v120, v134, v125
	ds_read2_b64 v[125:128], v1 offset0:65 offset1:66
	v_fmac_f32_e32 v141, v132, v116
	v_fma_f32 v116, v131, v116, -v118
	ds_read2_b64 v[129:132], v1 offset0:67 offset1:68
	v_fmac_f32_e32 v142, v134, v110
	v_fma_f32 v133, v133, v110, -v120
	s_waitcnt vmcnt(24) lgkmcnt(2)
	v_mul_f32_e32 v134, v136, v114
	v_mul_f32_e32 v110, v137, v114
	s_waitcnt vmcnt(23)
	v_mul_f32_e32 v114, v138, v112
	v_mul_f32_e32 v112, v139, v112
	v_fmac_f32_e32 v134, v137, v4
	v_fma_f32 v136, v136, v4, -v110
	s_waitcnt vmcnt(19)
	v_fmac_f32_e32 v114, v139, v124
	v_fma_f32 v124, v138, v124, -v112
	s_waitcnt vmcnt(18) lgkmcnt(1)
	v_mul_f32_e32 v137, v125, v121
	v_mul_f32_e32 v4, v126, v121
	s_waitcnt vmcnt(17)
	v_mul_f32_e32 v138, v127, v119
	v_mul_f32_e32 v110, v128, v119
	ds_read2_b64 v[118:121], v1 offset0:69 offset1:70
	v_fmac_f32_e32 v137, v126, v109
	v_fma_f32 v125, v125, v109, -v4
	v_fmac_f32_e32 v138, v128, v106
	v_fma_f32 v126, v127, v106, -v110
	s_waitcnt vmcnt(15) lgkmcnt(1)
	v_mul_f32_e32 v128, v131, v107
	v_mul_f32_e32 v106, v132, v107
	;; [unrolled: 1-line block ×4, first 2 shown]
	s_waitcnt vmcnt(11)
	v_fmac_f32_e32 v128, v132, v117
	v_fma_f32 v117, v131, v117, -v106
	ds_read2_b64 v[106:109], v1 offset0:71 offset1:72
	v_fmac_f32_e32 v127, v130, v3
	v_fma_f32 v129, v129, v3, -v4
	s_waitcnt vmcnt(10) lgkmcnt(1)
	v_mul_f32_e32 v130, v118, v113
	v_mul_f32_e32 v3, v119, v113
	s_waitcnt vmcnt(9)
	v_mul_f32_e32 v131, v120, v111
	v_mul_f32_e32 v4, v121, v111
	ds_read2_b64 v[110:113], v1 offset0:73 offset1:74
	v_fmac_f32_e32 v130, v119, v7
	v_fma_f32 v7, v118, v7, -v3
	v_fmac_f32_e32 v131, v121, v5
	v_fma_f32 v118, v120, v5, -v4
	buffer_load_dword v120, off, s[0:3], 0 offset:220
	s_waitcnt vmcnt(8) lgkmcnt(1)
	v_mul_f32_e32 v4, v109, v135
	v_mul_f32_e32 v119, v106, v6
	;; [unrolled: 1-line block ×4, first 2 shown]
	s_waitcnt vmcnt(4)
	v_fma_f32 v132, v108, v149, -v4
	buffer_load_dword v108, off, s[0:3], 0 offset:228
	v_fmac_f32_e32 v119, v107, v2
	v_fma_f32 v121, v106, v2, -v3
	ds_read2_b64 v[2:5], v1 offset0:75 offset1:76
	v_fmac_f32_e32 v6, v109, v149
	s_waitcnt vmcnt(4) lgkmcnt(1)
	v_mul_f32_e32 v135, v110, v150
	v_mul_f32_e32 v106, v111, v150
	s_waitcnt vmcnt(3)
	v_mul_f32_e32 v139, v112, v151
	v_mul_f32_e32 v107, v113, v151
	v_fmac_f32_e32 v135, v111, v148
	v_fma_f32 v110, v110, v148, -v106
	v_fmac_f32_e32 v139, v113, v147
	v_fma_f32 v111, v112, v147, -v107
	s_clause 0x4
	buffer_load_dword v112, off, s[0:3], 0 offset:248
	buffer_load_dword v113, off, s[0:3], 0 offset:240
	;; [unrolled: 1-line block ×5, first 2 shown]
	s_waitcnt vmcnt(6) lgkmcnt(0)
	v_mul_f32_e32 v148, v2, v120
	v_mul_f32_e32 v107, v3, v120
	v_fmac_f32_e32 v148, v3, v146
	v_fma_f32 v120, v2, v146, -v107
	s_waitcnt vmcnt(5)
	v_mul_f32_e32 v146, v4, v108
	v_mul_f32_e32 v2, v5, v108
	s_waitcnt vmcnt(1)
	v_fmac_f32_e32 v146, v5, v106
	v_fma_f32 v149, v4, v106, -v2
	ds_read2_b64 v[2:5], v1 offset0:77 offset1:78
	ds_read2_b64 v[106:109], v1 offset0:79 offset1:80
	s_waitcnt vmcnt(0) lgkmcnt(1)
	v_mul_f32_e32 v150, v2, v147
	v_mul_f32_e32 v147, v3, v147
	v_fmac_f32_e32 v150, v3, v143
	v_fma_f32 v143, v2, v143, -v147
	buffer_load_dword v2, off, s[0:3], 0 offset:244
	s_waitcnt vmcnt(0)
	v_mul_f32_e32 v147, v4, v2
	v_mul_f32_e32 v2, v5, v2
	v_fmac_f32_e32 v147, v5, v113
	v_fma_f32 v151, v4, v113, -v2
	buffer_load_dword v2, off, s[0:3], 0 offset:252
	s_waitcnt vmcnt(0) lgkmcnt(0)
	v_mul_f32_e32 v162, v106, v2
	v_mul_f32_e32 v2, v107, v2
	v_fmac_f32_e32 v162, v107, v112
	v_fma_f32 v163, v106, v112, -v2
	s_clause 0x4
	buffer_load_dword v2, off, s[0:3], 0 offset:260
	buffer_load_dword v164, off, s[0:3], 0 offset:280
	;; [unrolled: 1-line block ×5, first 2 shown]
	s_waitcnt vmcnt(4)
	v_mul_f32_e32 v165, v108, v2
	v_mul_f32_e32 v2, v109, v2
	s_waitcnt vmcnt(0)
	v_fmac_f32_e32 v165, v109, v3
	v_fma_f32 v166, v108, v3, -v2
	v_add_f32_e32 v2, 0, v152
	v_add_f32_e32 v3, 0, v144
	buffer_load_dword v144, off, s[0:3], 0 offset:276
	v_add_f32_e32 v2, v2, v145
	v_add_f32_e32 v3, v3, v153
	buffer_load_dword v145, off, s[0:3], 0 offset:292
	v_add_f32_e32 v2, v2, v115
	buffer_load_dword v115, off, s[0:3], 0 offset:268
	v_add_f32_e32 v3, v3, v155
	v_add_f32_e32 v2, v2, v157
	;; [unrolled: 1-line block ×4, first 2 shown]
	buffer_load_dword v123, off, s[0:3], 0 offset:284
	v_add_f32_e32 v3, v3, v158
	v_add_f32_e32 v2, v2, v160
	;; [unrolled: 1-line block ×4, first 2 shown]
	s_clause 0x3
	buffer_load_dword v8, off, s[0:3], 0 offset:312
	buffer_load_dword v152, off, s[0:3], 0 offset:304
	buffer_load_dword v153, off, s[0:3], 0 offset:296
	buffer_load_dword v155, off, s[0:3], 0 offset:288
	v_add_f32_e32 v3, v3, v161
	v_add_f32_e32 v2, v2, v140
	s_clause 0x1
	buffer_load_dword v140, off, s[0:3], 0 offset:300
	buffer_load_dword v156, off, s[0:3], 0 offset:308
	v_add_f32_e32 v3, v3, v122
	buffer_load_dword v122, off, s[0:3], 0 offset:316
	v_add_f32_e32 v2, v2, v116
	v_add_f32_e32 v3, v3, v141
	;; [unrolled: 1-line block ×3, first 2 shown]
	s_clause 0x3
	buffer_load_dword v133, off, s[0:3], 0 offset:324
	buffer_load_dword v141, off, s[0:3], 0 offset:332
	;; [unrolled: 1-line block ×4, first 2 shown]
	v_add_f32_e32 v3, v3, v142
	v_add_f32_e32 v2, v2, v136
	s_clause 0x1
	buffer_load_dword v136, off, s[0:3], 0 offset:356
	buffer_load_dword v142, off, s[0:3], 0 offset:364
	v_add_f32_e32 v3, v3, v134
	v_add_f32_e32 v2, v2, v124
	s_clause 0x1
	buffer_load_dword v124, off, s[0:3], 0 offset:372
	buffer_load_dword v134, off, s[0:3], 0 offset:380
	v_add_f32_e32 v3, v3, v114
	v_add_f32_e32 v2, v2, v125
	;; [unrolled: 1-line block ×4, first 2 shown]
	s_clause 0x3
	buffer_load_dword v125, off, s[0:3], 0 offset:344
	buffer_load_dword v126, off, s[0:3], 0 offset:336
	;; [unrolled: 1-line block ×4, first 2 shown]
	v_add_f32_e32 v3, v3, v138
	v_add_f32_e32 v2, v2, v129
	;; [unrolled: 1-line block ×3, first 2 shown]
	s_clause 0x3
	buffer_load_dword v127, off, s[0:3], 0 offset:376
	buffer_load_dword v129, off, s[0:3], 0 offset:368
	buffer_load_dword v138, off, s[0:3], 0 offset:360
	buffer_load_dword v160, off, s[0:3], 0 offset:352
	v_add_f32_e32 v2, v2, v117
	v_add_f32_e32 v3, v3, v128
	buffer_load_dword v128, off, s[0:3], 0 offset:32
	v_add_f32_e32 v2, v2, v7
	v_add_f32_e32 v3, v3, v130
	;; [unrolled: 1-line block ×4, first 2 shown]
	ds_read2_b64 v[2:5], v1 offset0:81 offset1:82
	v_add_f32_e32 v7, v7, v121
	v_add_f32_e32 v106, v106, v119
	;; [unrolled: 1-line block ×4, first 2 shown]
	ds_read2_b64 v[106:109], v1 offset0:83 offset1:84
	v_add_f32_e32 v7, v7, v110
	v_add_f32_e32 v6, v6, v135
	;; [unrolled: 1-line block ×8, first 2 shown]
	s_waitcnt vmcnt(27) lgkmcnt(1)
	v_mul_f32_e32 v131, v4, v144
	v_mul_f32_e32 v111, v5, v144
	v_fmac_f32_e32 v131, v5, v112
	v_fma_f32 v135, v4, v112, -v111
	s_waitcnt vmcnt(25)
	v_mul_f32_e32 v130, v2, v115
	v_mul_f32_e32 v110, v3, v115
	v_fmac_f32_e32 v130, v3, v113
	v_add_f32_e32 v3, v7, v120
	v_fma_f32 v132, v2, v113, -v110
	s_waitcnt vmcnt(24) lgkmcnt(0)
	v_mul_f32_e32 v139, v106, v123
	v_add_f32_e32 v7, v3, v149
	ds_read2_b64 v[2:5], v1 offset0:85 offset1:86
	ds_read2_b64 v[110:113], v1 offset0:87 offset1:88
	v_mul_f32_e32 v118, v107, v123
	v_mul_f32_e32 v123, v108, v145
	v_fmac_f32_e32 v139, v107, v164
	v_add_f32_e32 v7, v7, v143
	v_mul_f32_e32 v143, v109, v145
	v_add_f32_e32 v145, v6, v162
	v_fma_f32 v144, v106, v164, -v118
	ds_read2_b64 v[114:117], v1 offset0:89 offset1:90
	ds_read2_b64 v[118:121], v1 offset0:91 offset1:92
	v_add_f32_e32 v7, v7, v151
	v_add_f32_e32 v145, v145, v165
	s_waitcnt vmcnt(20)
	v_fma_f32 v143, v108, v155, -v143
	v_fmac_f32_e32 v123, v109, v155
	v_add_f32_e32 v7, v7, v163
	v_add_f32_e32 v130, v145, v130
	s_waitcnt vmcnt(19) lgkmcnt(3)
	v_mul_f32_e32 v147, v2, v140
	v_add_f32_e32 v146, v7, v166
	v_add_f32_e32 v130, v130, v131
	v_mul_f32_e32 v140, v3, v140
	s_waitcnt vmcnt(18)
	v_mul_f32_e32 v148, v4, v156
	v_fmac_f32_e32 v147, v3, v153
	v_add_f32_e32 v132, v146, v132
	v_add_f32_e32 v130, v130, v139
	v_mul_f32_e32 v146, v5, v156
	v_fma_f32 v2, v2, v153, -v140
	s_waitcnt vmcnt(17) lgkmcnt(2)
	v_mul_f32_e32 v145, v110, v122
	v_add_f32_e32 v132, v132, v135
	v_add_f32_e32 v123, v130, v123
	v_mul_f32_e32 v122, v111, v122
	v_fma_f32 v4, v4, v152, -v146
	v_fmac_f32_e32 v148, v5, v152
	v_add_f32_e32 v132, v132, v144
	v_add_f32_e32 v5, v123, v147
	s_waitcnt vmcnt(16)
	v_mul_f32_e32 v123, v113, v133
	v_fmac_f32_e32 v145, v111, v8
	v_fma_f32 v8, v110, v8, -v122
	v_add_f32_e32 v132, v132, v143
	v_mul_f32_e32 v135, v112, v133
	ds_read2_b64 v[106:109], v1 offset0:93 offset1:94
	ds_read_b64 v[6:7], v1 offset:760
	s_waitcnt vmcnt(5)
	v_fma_f32 v110, v112, v159, -v123
	s_waitcnt lgkmcnt(3)
	v_mul_f32_e32 v149, v114, v141
	v_add_f32_e32 v2, v132, v2
	v_fmac_f32_e32 v135, v113, v159
	v_mul_f32_e32 v131, v116, v157
	s_waitcnt lgkmcnt(2)
	v_mul_f32_e32 v144, v118, v158
	v_fmac_f32_e32 v149, v115, v137
	v_add_f32_e32 v2, v2, v4
	v_add_f32_e32 v4, v5, v148
	v_mul_f32_e32 v5, v115, v141
	v_fmac_f32_e32 v131, v117, v126
	v_mul_f32_e32 v3, v120, v136
	v_add_f32_e32 v2, v2, v8
	v_add_f32_e32 v4, v4, v145
	v_mul_f32_e32 v8, v117, v157
	v_fma_f32 v5, v114, v137, -v5
	v_fmac_f32_e32 v144, v119, v125
	v_add_f32_e32 v2, v2, v110
	v_add_f32_e32 v4, v4, v135
	v_mul_f32_e32 v110, v119, v158
	v_fma_f32 v8, v116, v126, -v8
	s_waitcnt lgkmcnt(1)
	v_mul_f32_e32 v139, v106, v142
	v_add_f32_e32 v2, v2, v5
	v_add_f32_e32 v4, v4, v149
	v_mul_f32_e32 v5, v121, v136
	v_fma_f32 v110, v118, v125, -v110
	s_waitcnt vmcnt(1)
	v_fmac_f32_e32 v3, v121, v160
	v_add_f32_e32 v2, v2, v8
	v_add_f32_e32 v4, v4, v131
	v_mul_f32_e32 v8, v107, v142
	v_fma_f32 v5, v120, v160, -v5
	v_mul_f32_e32 v140, v108, v124
	v_add_f32_e32 v2, v2, v110
	v_add_f32_e32 v4, v4, v144
	v_mul_f32_e32 v110, v109, v124
	v_fma_f32 v8, v106, v138, -v8
	v_fmac_f32_e32 v139, v107, v138
	v_add_f32_e32 v2, v2, v5
	v_add_f32_e32 v3, v4, v3
	s_waitcnt lgkmcnt(0)
	v_mul_f32_e32 v4, v7, v134
	v_fma_f32 v5, v108, v129, -v110
	v_mul_f32_e32 v130, v6, v134
	v_add_f32_e32 v2, v2, v8
	v_fmac_f32_e32 v140, v109, v129
	v_add_f32_e32 v3, v3, v139
	v_fma_f32 v4, v6, v127, -v4
	v_fmac_f32_e32 v130, v7, v127
	v_add_f32_e32 v2, v2, v5
	v_add_f32_e32 v3, v3, v140
	;; [unrolled: 1-line block ×4, first 2 shown]
	s_waitcnt vmcnt(0)
	v_sub_f32_e32 v2, v128, v2
	v_sub_f32_e32 v3, v154, v3
	buffer_store_dword v2, off, s[0:3], 0 offset:32
	buffer_store_dword v3, off, s[0:3], 0 offset:36
	v_cmpx_lt_u32_e32 3, v0
	s_cbranch_execz .LBB47_295
; %bb.294:
	s_clause 0x1
	buffer_load_dword v2, off, s[0:3], 0 offset:24
	buffer_load_dword v3, off, s[0:3], 0 offset:28
	buffer_store_dword v1, off, s[0:3], 0 offset:24
	buffer_store_dword v1, off, s[0:3], 0 offset:28
	s_waitcnt vmcnt(0)
	ds_write_b64 v105, v[2:3]
.LBB47_295:
	s_or_b32 exec_lo, exec_lo, s4
	s_waitcnt lgkmcnt(0)
	s_waitcnt_vscnt null, 0x0
	s_barrier
	buffer_gl0_inv
	s_clause 0x2c
	buffer_load_dword v144, off, s[0:3], 0 offset:36
	buffer_load_dword v145, off, s[0:3], 0 offset:44
	;; [unrolled: 1-line block ×45, first 2 shown]
	ds_read_b128 v[136:139], v1 offset:416
	ds_read_b128 v[140:143], v1 offset:432
	buffer_load_dword v154, off, s[0:3], 0 offset:28
	s_mov_b32 s4, exec_lo
	s_waitcnt vmcnt(45) lgkmcnt(1)
	v_mul_f32_e32 v152, v137, v144
	v_mul_f32_e32 v144, v136, v144
	s_waitcnt vmcnt(44)
	v_mul_f32_e32 v153, v138, v145
	v_mul_f32_e32 v145, v139, v145
	s_waitcnt vmcnt(41)
	v_fma_f32 v152, v136, v134, -v152
	v_fmac_f32_e32 v144, v137, v134
	v_fmac_f32_e32 v153, v139, v130
	v_fma_f32 v145, v138, v130, -v145
	ds_read_b128 v[136:139], v1 offset:448
	s_waitcnt vmcnt(40) lgkmcnt(1)
	v_mul_f32_e32 v155, v140, v129
	v_mul_f32_e32 v129, v141, v129
	s_waitcnt vmcnt(39)
	v_mul_f32_e32 v156, v142, v127
	v_mul_f32_e32 v127, v143, v127
	v_fmac_f32_e32 v155, v141, v116
	v_fma_f32 v116, v140, v116, -v129
	s_waitcnt vmcnt(35)
	v_fmac_f32_e32 v156, v143, v135
	v_fma_f32 v157, v142, v135, -v127
	ds_read_b128 v[140:143], v1 offset:464
	s_waitcnt vmcnt(34) lgkmcnt(1)
	v_mul_f32_e32 v158, v136, v133
	v_mul_f32_e32 v127, v137, v133
	s_waitcnt vmcnt(33)
	v_mul_f32_e32 v159, v138, v132
	v_mul_f32_e32 v129, v139, v132
	ds_read_b128 v[132:135], v1 offset:480
	v_fmac_f32_e32 v158, v137, v124
	v_fma_f32 v124, v136, v124, -v127
	v_fmac_f32_e32 v159, v139, v119
	v_fma_f32 v160, v138, v119, -v129
	ds_read_b128 v[136:139], v1 offset:496
	s_waitcnt vmcnt(32) lgkmcnt(2)
	v_mul_f32_e32 v161, v140, v123
	v_mul_f32_e32 v119, v141, v123
	s_waitcnt vmcnt(31)
	v_mul_f32_e32 v123, v142, v121
	v_mul_f32_e32 v121, v143, v121
	v_fmac_f32_e32 v161, v141, v106
	v_fma_f32 v140, v140, v106, -v119
	s_waitcnt vmcnt(27)
	v_fmac_f32_e32 v123, v143, v131
	v_fma_f32 v141, v142, v131, -v121
	s_waitcnt vmcnt(26) lgkmcnt(1)
	v_mul_f32_e32 v142, v132, v128
	v_mul_f32_e32 v106, v133, v128
	s_waitcnt vmcnt(25)
	v_mul_f32_e32 v143, v134, v126
	v_mul_f32_e32 v119, v135, v126
	ds_read_b128 v[126:129], v1 offset:512
	v_fmac_f32_e32 v142, v133, v117
	v_fma_f32 v117, v132, v117, -v106
	ds_read_b128 v[130:133], v1 offset:528
	v_fmac_f32_e32 v143, v135, v111
	v_fma_f32 v134, v134, v111, -v119
	s_waitcnt vmcnt(24) lgkmcnt(2)
	v_mul_f32_e32 v135, v136, v115
	v_mul_f32_e32 v106, v137, v115
	s_waitcnt vmcnt(23)
	v_mul_f32_e32 v115, v138, v113
	v_mul_f32_e32 v111, v139, v113
	v_fmac_f32_e32 v135, v137, v4
	v_fma_f32 v136, v136, v4, -v106
	s_waitcnt vmcnt(19)
	v_fmac_f32_e32 v115, v139, v125
	v_fma_f32 v125, v138, v125, -v111
	s_waitcnt vmcnt(18) lgkmcnt(1)
	v_mul_f32_e32 v137, v126, v122
	v_mul_f32_e32 v4, v127, v122
	s_waitcnt vmcnt(17)
	v_mul_f32_e32 v138, v128, v120
	v_mul_f32_e32 v106, v129, v120
	ds_read_b128 v[119:122], v1 offset:544
	v_fmac_f32_e32 v137, v127, v110
	v_fma_f32 v126, v126, v110, -v4
	v_fmac_f32_e32 v138, v129, v107
	v_fma_f32 v127, v128, v107, -v106
	s_waitcnt vmcnt(15) lgkmcnt(1)
	v_mul_f32_e32 v129, v132, v108
	v_mul_f32_e32 v106, v133, v108
	v_mul_f32_e32 v128, v130, v109
	v_mul_f32_e32 v4, v131, v109
	s_waitcnt vmcnt(11)
	v_fmac_f32_e32 v129, v133, v118
	v_fma_f32 v118, v132, v118, -v106
	ds_read_b128 v[106:109], v1 offset:560
	v_fmac_f32_e32 v128, v131, v3
	v_fma_f32 v130, v130, v3, -v4
	s_waitcnt vmcnt(10) lgkmcnt(1)
	v_mul_f32_e32 v131, v119, v114
	v_mul_f32_e32 v3, v120, v114
	s_waitcnt vmcnt(9)
	v_mul_f32_e32 v114, v121, v112
	v_mul_f32_e32 v4, v122, v112
	ds_read_b128 v[110:113], v1 offset:576
	v_fmac_f32_e32 v131, v120, v8
	v_fma_f32 v8, v119, v8, -v3
	v_fmac_f32_e32 v114, v122, v5
	v_fma_f32 v119, v121, v5, -v4
	s_waitcnt vmcnt(8) lgkmcnt(1)
	v_mul_f32_e32 v120, v106, v7
	v_mul_f32_e32 v3, v107, v7
	s_waitcnt vmcnt(7)
	v_mul_f32_e32 v7, v108, v6
	v_mul_f32_e32 v4, v109, v6
	buffer_load_dword v6, off, s[0:3], 0 offset:212
	v_fmac_f32_e32 v120, v107, v2
	v_fma_f32 v121, v106, v2, -v3
	s_waitcnt vmcnt(4)
	v_fmac_f32_e32 v7, v109, v149
	v_fma_f32 v122, v108, v149, -v4
	buffer_load_dword v108, off, s[0:3], 0 offset:220
	ds_read_b128 v[2:5], v1 offset:592
	s_waitcnt vmcnt(4) lgkmcnt(1)
	v_mul_f32_e32 v132, v110, v150
	v_mul_f32_e32 v106, v111, v150
	s_waitcnt vmcnt(3)
	v_mul_f32_e32 v133, v112, v151
	v_mul_f32_e32 v107, v113, v151
	v_fmac_f32_e32 v132, v111, v148
	v_fma_f32 v110, v110, v148, -v106
	v_fmac_f32_e32 v133, v113, v147
	v_fma_f32 v111, v112, v147, -v107
	s_clause 0x4
	buffer_load_dword v112, off, s[0:3], 0 offset:240
	buffer_load_dword v113, off, s[0:3], 0 offset:232
	;; [unrolled: 1-line block ×5, first 2 shown]
	s_waitcnt vmcnt(6) lgkmcnt(0)
	v_mul_f32_e32 v148, v2, v6
	v_mul_f32_e32 v6, v3, v6
	v_fmac_f32_e32 v148, v3, v146
	v_fma_f32 v6, v2, v146, -v6
	s_waitcnt vmcnt(5)
	v_mul_f32_e32 v146, v4, v108
	v_mul_f32_e32 v2, v5, v108
	s_waitcnt vmcnt(1)
	v_fmac_f32_e32 v146, v5, v106
	v_fma_f32 v149, v4, v106, -v2
	ds_read_b128 v[2:5], v1 offset:608
	ds_read_b128 v[106:109], v1 offset:624
	s_waitcnt vmcnt(0) lgkmcnt(1)
	v_mul_f32_e32 v150, v2, v147
	v_mul_f32_e32 v147, v3, v147
	v_fmac_f32_e32 v150, v3, v139
	v_fma_f32 v139, v2, v139, -v147
	s_clause 0x1
	buffer_load_dword v2, off, s[0:3], 0 offset:236
	buffer_load_dword v3, off, s[0:3], 0 offset:244
	s_waitcnt vmcnt(1)
	v_mul_f32_e32 v147, v4, v2
	v_mul_f32_e32 v2, v5, v2
	v_fmac_f32_e32 v147, v5, v113
	v_fma_f32 v151, v4, v113, -v2
	v_add_f32_e32 v2, 0, v152
	buffer_load_dword v5, off, s[0:3], 0 offset:252
	v_add_f32_e32 v4, 0, v144
	v_add_f32_e32 v2, v2, v145
	;; [unrolled: 1-line block ×4, first 2 shown]
	s_clause 0x3
	buffer_load_dword v116, off, s[0:3], 0 offset:272
	buffer_load_dword v113, off, s[0:3], 0 offset:264
	;; [unrolled: 1-line block ×4, first 2 shown]
	v_add_f32_e32 v4, v4, v155
	s_clause 0x1
	buffer_load_dword v152, off, s[0:3], 0 offset:268
	buffer_load_dword v153, off, s[0:3], 0 offset:276
	v_add_f32_e32 v2, v2, v157
	s_waitcnt vmcnt(7) lgkmcnt(0)
	v_mul_f32_e32 v155, v106, v3
	v_add_f32_e32 v4, v4, v156
	v_mul_f32_e32 v3, v107, v3
	v_add_f32_e32 v2, v2, v124
	buffer_load_dword v124, off, s[0:3], 0 offset:260
	v_add_f32_e32 v4, v4, v158
	v_fma_f32 v156, v106, v112, -v3
	v_fmac_f32_e32 v155, v107, v112
	v_add_f32_e32 v2, v2, v160
	v_add_f32_e32 v4, v4, v159
	;; [unrolled: 1-line block ×3, first 2 shown]
	buffer_load_dword v140, off, s[0:3], 0 offset:284
	v_add_f32_e32 v4, v4, v161
	v_add_f32_e32 v2, v2, v141
	;; [unrolled: 1-line block ×3, first 2 shown]
	s_clause 0x5
	buffer_load_dword v141, off, s[0:3], 0 offset:304
	buffer_load_dword v157, off, s[0:3], 0 offset:296
	;; [unrolled: 1-line block ×6, first 2 shown]
	v_add_f32_e32 v2, v2, v117
	v_add_f32_e32 v3, v3, v142
	;; [unrolled: 1-line block ×4, first 2 shown]
	s_clause 0x1
	buffer_load_dword v134, off, s[0:3], 0 offset:300
	buffer_load_dword v143, off, s[0:3], 0 offset:308
	v_add_f32_e32 v2, v2, v136
	v_add_f32_e32 v3, v3, v135
	s_clause 0x6
	buffer_load_dword v135, off, s[0:3], 0 offset:324
	buffer_load_dword v136, off, s[0:3], 0 offset:332
	;; [unrolled: 1-line block ×7, first 2 shown]
	v_add_f32_e32 v2, v2, v125
	v_add_f32_e32 v3, v3, v115
	;; [unrolled: 1-line block ×4, first 2 shown]
	buffer_load_dword v126, off, s[0:3], 0 offset:380
	v_add_f32_e32 v2, v2, v127
	v_add_f32_e32 v3, v3, v138
	s_clause 0x3
	buffer_load_dword v127, off, s[0:3], 0 offset:336
	buffer_load_dword v137, off, s[0:3], 0 offset:328
	;; [unrolled: 1-line block ×4, first 2 shown]
	v_add_f32_e32 v2, v2, v130
	v_add_f32_e32 v3, v3, v128
	;; [unrolled: 1-line block ×4, first 2 shown]
	s_clause 0x3
	buffer_load_dword v128, off, s[0:3], 0 offset:368
	buffer_load_dword v129, off, s[0:3], 0 offset:360
	buffer_load_dword v130, off, s[0:3], 0 offset:352
	buffer_load_dword v167, off, s[0:3], 0 offset:344
	v_add_f32_e32 v2, v2, v8
	buffer_load_dword v8, off, s[0:3], 0 offset:376
	v_add_f32_e32 v3, v3, v131
	buffer_load_dword v131, off, s[0:3], 0 offset:24
	v_add_f32_e32 v2, v2, v119
	v_add_f32_e32 v3, v3, v114
	;; [unrolled: 1-line block ×20, first 2 shown]
	s_waitcnt vmcnt(34)
	v_mul_f32_e32 v142, v108, v5
	v_mul_f32_e32 v4, v109, v5
	s_waitcnt vmcnt(30)
	v_fmac_f32_e32 v142, v109, v145
	v_fma_f32 v145, v108, v145, -v4
	ds_read_b128 v[2:5], v1 offset:640
	ds_read_b128 v[106:109], v1 offset:656
	v_add_f32_e32 v7, v7, v142
	v_add_f32_e32 v6, v6, v145
	s_waitcnt vmcnt(27) lgkmcnt(1)
	v_mul_f32_e32 v132, v2, v124
	v_mul_f32_e32 v111, v3, v124
	;; [unrolled: 1-line block ×4, first 2 shown]
	s_waitcnt lgkmcnt(0)
	v_mul_f32_e32 v148, v106, v153
	v_fmac_f32_e32 v132, v3, v144
	v_fma_f32 v122, v2, v144, -v111
	v_fmac_f32_e32 v133, v5, v113
	v_fma_f32 v144, v4, v113, -v112
	ds_read_b128 v[2:5], v1 offset:672
	ds_read_b128 v[110:113], v1 offset:688
	v_mul_f32_e32 v114, v107, v153
	s_waitcnt vmcnt(26)
	v_mul_f32_e32 v139, v108, v140
	v_mul_f32_e32 v115, v109, v140
	v_fmac_f32_e32 v148, v107, v116
	v_fma_f32 v140, v106, v116, -v114
	s_waitcnt vmcnt(22)
	v_fmac_f32_e32 v139, v109, v158
	v_fma_f32 v146, v108, v158, -v115
	ds_read_b128 v[106:109], v1 offset:704
	ds_read_b128 v[114:117], v1 offset:720
	;; [unrolled: 1-line block ×3, first 2 shown]
	s_waitcnt vmcnt(21) lgkmcnt(4)
	v_mul_f32_e32 v147, v2, v159
	v_mul_f32_e32 v124, v3, v159
	v_fmac_f32_e32 v147, v3, v123
	v_add_f32_e32 v3, v6, v122
	v_fma_f32 v2, v2, v123, -v124
	ds_read_b128 v[122:125], v1 offset:752
	v_add_f32_e32 v1, v7, v132
	s_waitcnt vmcnt(19)
	v_mul_f32_e32 v7, v5, v134
	v_add_f32_e32 v3, v3, v144
	v_mul_f32_e32 v6, v4, v134
	s_waitcnt vmcnt(18) lgkmcnt(4)
	v_mul_f32_e32 v134, v111, v143
	v_add_f32_e32 v1, v1, v133
	v_fma_f32 v4, v4, v157, -v7
	v_add_f32_e32 v3, v3, v140
	v_mul_f32_e32 v132, v110, v143
	v_fmac_f32_e32 v6, v5, v157
	v_add_f32_e32 v1, v1, v148
	v_fma_f32 v110, v110, v141, -v134
	v_add_f32_e32 v3, v3, v146
	v_mul_f32_e32 v133, v112, v160
	v_fmac_f32_e32 v132, v111, v141
	v_add_f32_e32 v1, v1, v139
	v_mul_f32_e32 v139, v113, v160
	v_add_f32_e32 v2, v3, v2
	s_waitcnt vmcnt(17) lgkmcnt(3)
	v_mul_f32_e32 v5, v106, v135
	s_waitcnt vmcnt(6)
	v_fmac_f32_e32 v133, v113, v166
	v_add_f32_e32 v1, v1, v147
	v_mul_f32_e32 v7, v108, v136
	v_add_f32_e32 v2, v2, v4
	v_mul_f32_e32 v4, v107, v135
	v_fmac_f32_e32 v5, v107, v138
	v_add_f32_e32 v1, v1, v6
	v_fma_f32 v6, v112, v166, -v139
	v_add_f32_e32 v2, v2, v110
	v_mul_f32_e32 v110, v109, v136
	v_fma_f32 v4, v106, v138, -v4
	v_add_f32_e32 v1, v1, v132
	s_waitcnt lgkmcnt(2)
	v_mul_f32_e32 v140, v114, v161
	v_add_f32_e32 v2, v2, v6
	v_mul_f32_e32 v6, v115, v161
	v_fma_f32 v106, v108, v137, -v110
	v_add_f32_e32 v1, v1, v133
	v_fmac_f32_e32 v7, v109, v137
	v_add_f32_e32 v2, v2, v4
	v_mul_f32_e32 v4, v117, v162
	v_mul_f32_e32 v142, v116, v162
	v_add_f32_e32 v1, v1, v5
	v_fma_f32 v5, v114, v127, -v6
	v_add_f32_e32 v2, v2, v106
	v_fmac_f32_e32 v140, v115, v127
	s_waitcnt lgkmcnt(1)
	v_mul_f32_e32 v6, v119, v163
	v_add_f32_e32 v1, v1, v7
	s_waitcnt vmcnt(2)
	v_fma_f32 v4, v116, v167, -v4
	v_add_f32_e32 v2, v2, v5
	v_mul_f32_e32 v143, v118, v163
	v_fmac_f32_e32 v142, v117, v167
	v_add_f32_e32 v1, v1, v140
	v_mul_f32_e32 v5, v121, v164
	v_fma_f32 v6, v118, v130, -v6
	v_add_f32_e32 v2, v2, v4
	v_mul_f32_e32 v144, v120, v164
	v_fmac_f32_e32 v143, v119, v130
	v_add_f32_e32 v1, v1, v142
	s_waitcnt lgkmcnt(0)
	v_mul_f32_e32 v4, v123, v165
	v_fma_f32 v5, v120, v129, -v5
	v_add_f32_e32 v2, v2, v6
	v_mul_f32_e32 v145, v122, v165
	v_fmac_f32_e32 v144, v121, v129
	v_add_f32_e32 v1, v1, v143
	v_mul_f32_e32 v6, v125, v126
	v_fma_f32 v4, v122, v128, -v4
	v_add_f32_e32 v2, v2, v5
	v_mul_f32_e32 v3, v124, v126
	v_fmac_f32_e32 v145, v123, v128
	v_add_f32_e32 v1, v1, v144
	s_waitcnt vmcnt(1)
	v_fma_f32 v5, v124, v8, -v6
	v_add_f32_e32 v2, v2, v4
	v_fmac_f32_e32 v3, v125, v8
	v_add_f32_e32 v1, v1, v145
	v_add_f32_e32 v2, v2, v5
	;; [unrolled: 1-line block ×3, first 2 shown]
	s_waitcnt vmcnt(0)
	v_sub_f32_e32 v2, v131, v2
	v_sub_f32_e32 v1, v154, v1
	buffer_store_dword v2, off, s[0:3], 0 offset:24
	buffer_store_dword v1, off, s[0:3], 0 offset:28
	v_cmpx_lt_u32_e32 2, v0
	s_cbranch_execz .LBB47_297
; %bb.296:
	s_clause 0x1
	buffer_load_dword v1, off, s[0:3], 0 offset:16
	buffer_load_dword v2, off, s[0:3], 0 offset:20
	v_mov_b32_e32 v3, 0
	buffer_store_dword v3, off, s[0:3], 0 offset:16
	buffer_store_dword v3, off, s[0:3], 0 offset:20
	s_waitcnt vmcnt(0)
	ds_write_b64 v105, v[1:2]
.LBB47_297:
	s_or_b32 exec_lo, exec_lo, s4
	s_waitcnt lgkmcnt(0)
	s_waitcnt_vscnt null, 0x0
	s_barrier
	buffer_gl0_inv
	s_clause 0x2c
	buffer_load_dword v144, off, s[0:3], 0 offset:28
	buffer_load_dword v145, off, s[0:3], 0 offset:36
	;; [unrolled: 1-line block ×45, first 2 shown]
	v_mov_b32_e32 v1, 0
	ds_read2_b64 v[136:139], v1 offset0:51 offset1:52
	ds_read2_b64 v[140:143], v1 offset0:53 offset1:54
	buffer_load_dword v154, off, s[0:3], 0 offset:20
	s_mov_b32 s4, exec_lo
	s_waitcnt vmcnt(45) lgkmcnt(1)
	v_mul_f32_e32 v152, v137, v144
	v_mul_f32_e32 v144, v136, v144
	s_waitcnt vmcnt(44)
	v_mul_f32_e32 v153, v138, v145
	v_mul_f32_e32 v145, v139, v145
	s_waitcnt vmcnt(41)
	v_fma_f32 v152, v136, v133, -v152
	v_fmac_f32_e32 v144, v137, v133
	v_fmac_f32_e32 v153, v139, v129
	v_fma_f32 v145, v138, v129, -v145
	ds_read2_b64 v[136:139], v1 offset0:55 offset1:56
	s_waitcnt vmcnt(40) lgkmcnt(1)
	v_mul_f32_e32 v155, v140, v128
	v_mul_f32_e32 v128, v141, v128
	s_waitcnt vmcnt(39)
	v_mul_f32_e32 v156, v142, v126
	v_mul_f32_e32 v126, v143, v126
	v_fmac_f32_e32 v155, v141, v115
	v_fma_f32 v115, v140, v115, -v128
	s_waitcnt vmcnt(35)
	v_fmac_f32_e32 v156, v143, v134
	v_fma_f32 v157, v142, v134, -v126
	ds_read2_b64 v[140:143], v1 offset0:57 offset1:58
	s_waitcnt vmcnt(34) lgkmcnt(1)
	v_mul_f32_e32 v158, v136, v132
	v_mul_f32_e32 v126, v137, v132
	s_waitcnt vmcnt(33)
	v_mul_f32_e32 v159, v138, v131
	v_mul_f32_e32 v128, v139, v131
	ds_read2_b64 v[131:134], v1 offset0:59 offset1:60
	v_fmac_f32_e32 v158, v137, v123
	v_fma_f32 v123, v136, v123, -v126
	v_fmac_f32_e32 v159, v139, v118
	v_fma_f32 v160, v138, v118, -v128
	ds_read2_b64 v[136:139], v1 offset0:61 offset1:62
	s_waitcnt vmcnt(32) lgkmcnt(2)
	v_mul_f32_e32 v161, v140, v122
	v_mul_f32_e32 v118, v141, v122
	s_waitcnt vmcnt(31)
	v_mul_f32_e32 v122, v142, v120
	v_mul_f32_e32 v120, v143, v120
	v_fmac_f32_e32 v161, v141, v8
	v_fma_f32 v8, v140, v8, -v118
	s_waitcnt vmcnt(27)
	v_fmac_f32_e32 v122, v143, v130
	v_fma_f32 v140, v142, v130, -v120
	buffer_load_dword v143, off, s[0:3], 0 offset:212
	s_waitcnt vmcnt(27) lgkmcnt(1)
	v_mul_f32_e32 v141, v131, v127
	v_mul_f32_e32 v118, v132, v127
	s_waitcnt vmcnt(26)
	v_mul_f32_e32 v142, v133, v125
	v_mul_f32_e32 v120, v134, v125
	ds_read2_b64 v[125:128], v1 offset0:63 offset1:64
	v_fmac_f32_e32 v141, v132, v116
	v_fma_f32 v116, v131, v116, -v118
	v_fmac_f32_e32 v142, v134, v110
	v_fma_f32 v133, v133, v110, -v120
	s_waitcnt vmcnt(25) lgkmcnt(1)
	v_mul_f32_e32 v134, v136, v114
	v_mul_f32_e32 v110, v137, v114
	s_waitcnt vmcnt(24)
	v_mul_f32_e32 v114, v138, v112
	v_mul_f32_e32 v112, v139, v112
	ds_read2_b64 v[129:132], v1 offset0:65 offset1:66
	v_fmac_f32_e32 v134, v137, v4
	v_fma_f32 v136, v136, v4, -v110
	s_waitcnt vmcnt(20)
	v_fmac_f32_e32 v114, v139, v124
	v_fma_f32 v124, v138, v124, -v112
	s_waitcnt vmcnt(19) lgkmcnt(1)
	v_mul_f32_e32 v137, v125, v121
	v_mul_f32_e32 v4, v126, v121
	s_waitcnt vmcnt(18)
	v_mul_f32_e32 v138, v127, v119
	v_mul_f32_e32 v110, v128, v119
	ds_read2_b64 v[118:121], v1 offset0:67 offset1:68
	v_fmac_f32_e32 v137, v126, v109
	v_fma_f32 v125, v125, v109, -v4
	v_fmac_f32_e32 v138, v128, v106
	v_fma_f32 v126, v127, v106, -v110
	s_waitcnt vmcnt(17) lgkmcnt(1)
	v_mul_f32_e32 v127, v129, v108
	s_waitcnt vmcnt(16)
	v_mul_f32_e32 v128, v131, v107
	v_mul_f32_e32 v106, v132, v107
	;; [unrolled: 1-line block ×3, first 2 shown]
	v_fmac_f32_e32 v127, v130, v3
	s_waitcnt vmcnt(12)
	v_fmac_f32_e32 v128, v132, v117
	v_fma_f32 v117, v131, v117, -v106
	ds_read2_b64 v[106:109], v1 offset0:69 offset1:70
	v_fma_f32 v129, v129, v3, -v4
	s_waitcnt vmcnt(11) lgkmcnt(1)
	v_mul_f32_e32 v130, v118, v113
	v_mul_f32_e32 v3, v119, v113
	s_waitcnt vmcnt(10)
	v_mul_f32_e32 v131, v120, v111
	v_mul_f32_e32 v4, v121, v111
	ds_read2_b64 v[110:113], v1 offset0:71 offset1:72
	v_fmac_f32_e32 v130, v119, v7
	buffer_load_dword v119, off, s[0:3], 0 offset:204
	v_fma_f32 v7, v118, v7, -v3
	v_fma_f32 v118, v120, v5, -v4
	v_fmac_f32_e32 v131, v121, v5
	s_waitcnt vmcnt(10) lgkmcnt(1)
	v_mul_f32_e32 v120, v106, v6
	v_mul_f32_e32 v3, v107, v6
	s_waitcnt vmcnt(9)
	v_mul_f32_e32 v4, v109, v135
	v_mul_f32_e32 v6, v108, v135
	v_fmac_f32_e32 v120, v107, v2
	v_fma_f32 v121, v106, v2, -v3
	s_waitcnt vmcnt(5)
	v_fma_f32 v132, v108, v149, -v4
	ds_read2_b64 v[2:5], v1 offset0:73 offset1:74
	v_fmac_f32_e32 v6, v109, v149
	s_waitcnt vmcnt(4) lgkmcnt(1)
	v_mul_f32_e32 v135, v110, v150
	v_mul_f32_e32 v106, v111, v150
	s_waitcnt vmcnt(3)
	v_mul_f32_e32 v139, v112, v151
	v_mul_f32_e32 v107, v113, v151
	v_fmac_f32_e32 v135, v111, v148
	v_fma_f32 v110, v110, v148, -v106
	v_fmac_f32_e32 v139, v113, v147
	v_fma_f32 v111, v112, v147, -v107
	s_clause 0x5
	buffer_load_dword v112, off, s[0:3], 0 offset:232
	buffer_load_dword v113, off, s[0:3], 0 offset:224
	;; [unrolled: 1-line block ×6, first 2 shown]
	v_add_f32_e32 v106, 0, v152
	v_add_f32_e32 v107, 0, v144
	buffer_load_dword v144, off, s[0:3], 0 offset:236
	v_add_f32_e32 v106, v106, v145
	buffer_load_dword v145, off, s[0:3], 0 offset:244
	v_add_f32_e32 v107, v107, v153
	v_add_f32_e32 v106, v106, v115
	s_clause 0x3
	buffer_load_dword v115, off, s[0:3], 0 offset:264
	buffer_load_dword v151, off, s[0:3], 0 offset:256
	;; [unrolled: 1-line block ×4, first 2 shown]
	v_add_f32_e32 v107, v107, v155
	v_add_f32_e32 v106, v106, v157
	;; [unrolled: 1-line block ×4, first 2 shown]
	buffer_load_dword v123, off, s[0:3], 0 offset:252
	v_add_f32_e32 v107, v107, v158
	v_add_f32_e32 v106, v106, v160
	s_waitcnt vmcnt(13) lgkmcnt(0)
	v_mul_f32_e32 v155, v2, v119
	v_mul_f32_e32 v108, v3, v119
	v_fmac_f32_e32 v155, v3, v146
	v_fma_f32 v119, v2, v146, -v108
	v_add_f32_e32 v2, v107, v159
	v_add_f32_e32 v3, v106, v8
	ds_read2_b64 v[106:109], v1 offset0:75 offset1:76
	buffer_load_dword v8, off, s[0:3], 0 offset:260
	v_add_f32_e32 v2, v2, v161
	v_add_f32_e32 v3, v3, v140
	v_mul_f32_e32 v140, v4, v143
	v_mul_f32_e32 v143, v5, v143
	v_add_f32_e32 v2, v2, v122
	v_add_f32_e32 v3, v3, v116
	s_clause 0x1
	buffer_load_dword v122, off, s[0:3], 0 offset:268
	buffer_load_dword v116, off, s[0:3], 0 offset:276
	v_add_f32_e32 v141, v2, v141
	v_add_f32_e32 v133, v3, v133
	s_waitcnt vmcnt(12)
	v_fmac_f32_e32 v140, v5, v148
	v_fma_f32 v143, v4, v148, -v143
	ds_read2_b64 v[2:5], v1 offset0:77 offset1:78
	v_add_f32_e32 v141, v141, v142
	s_waitcnt vmcnt(11) lgkmcnt(1)
	v_mul_f32_e32 v146, v106, v149
	v_mul_f32_e32 v148, v107, v149
	v_add_f32_e32 v133, v133, v136
	s_clause 0x3
	buffer_load_dword v136, off, s[0:3], 0 offset:296
	buffer_load_dword v142, off, s[0:3], 0 offset:288
	buffer_load_dword v149, off, s[0:3], 0 offset:280
	buffer_load_dword v156, off, s[0:3], 0 offset:272
	v_fmac_f32_e32 v146, v107, v147
	v_fma_f32 v147, v106, v147, -v148
	v_add_f32_e32 v106, v141, v134
	v_add_f32_e32 v107, v133, v124
	s_waitcnt vmcnt(14)
	v_mul_f32_e32 v124, v108, v150
	v_mul_f32_e32 v133, v109, v150
	s_clause 0x1
	buffer_load_dword v134, off, s[0:3], 0 offset:284
	buffer_load_dword v141, off, s[0:3], 0 offset:292
	v_add_f32_e32 v106, v106, v114
	v_add_f32_e32 v107, v107, v125
	v_fmac_f32_e32 v124, v109, v113
	v_fma_f32 v114, v108, v113, -v133
	buffer_load_dword v148, off, s[0:3], 0 offset:300
	v_add_f32_e32 v113, v106, v137
	v_add_f32_e32 v126, v107, v126
	s_clause 0x3
	buffer_load_dword v125, off, s[0:3], 0 offset:308
	buffer_load_dword v133, off, s[0:3], 0 offset:316
	;; [unrolled: 1-line block ×4, first 2 shown]
	ds_read2_b64 v[106:109], v1 offset0:79 offset1:80
	v_add_f32_e32 v113, v113, v138
	s_waitcnt vmcnt(20) lgkmcnt(1)
	v_mul_f32_e32 v138, v2, v144
	v_mul_f32_e32 v144, v3, v144
	v_add_f32_e32 v126, v126, v129
	s_waitcnt vmcnt(19)
	v_mul_f32_e32 v129, v4, v145
	v_add_f32_e32 v113, v113, v127
	v_mul_f32_e32 v127, v5, v145
	v_fmac_f32_e32 v138, v3, v112
	v_fma_f32 v144, v2, v112, -v144
	v_add_f32_e32 v2, v126, v117
	v_add_f32_e32 v3, v113, v128
	s_clause 0x3
	buffer_load_dword v126, off, s[0:3], 0 offset:340
	buffer_load_dword v128, off, s[0:3], 0 offset:348
	;; [unrolled: 1-line block ×4, first 2 shown]
	s_waitcnt vmcnt(19)
	v_fmac_f32_e32 v129, v5, v153
	v_fma_f32 v127, v4, v153, -v127
	buffer_load_dword v153, off, s[0:3], 0 offset:372
	v_add_f32_e32 v3, v3, v130
	s_clause 0x4
	buffer_load_dword v130, off, s[0:3], 0 offset:328
	buffer_load_dword v158, off, s[0:3], 0 offset:320
	;; [unrolled: 1-line block ×5, first 2 shown]
	v_add_f32_e32 v2, v2, v7
	s_waitcnt vmcnt(24) lgkmcnt(0)
	v_mul_f32_e32 v113, v107, v123
	v_add_f32_e32 v7, v3, v131
	v_mul_f32_e32 v131, v106, v123
	v_add_f32_e32 v2, v2, v118
	v_fma_f32 v118, v106, v152, -v113
	v_add_f32_e32 v7, v7, v120
	v_fmac_f32_e32 v131, v107, v152
	v_add_f32_e32 v112, v2, v121
	ds_read2_b64 v[2:5], v1 offset0:81 offset1:82
	v_add_f32_e32 v6, v7, v6
	v_add_f32_e32 v112, v112, v132
	s_clause 0x3
	buffer_load_dword v123, off, s[0:3], 0 offset:360
	buffer_load_dword v132, off, s[0:3], 0 offset:352
	;; [unrolled: 1-line block ×4, first 2 shown]
	v_add_f32_e32 v6, v6, v135
	s_clause 0x1
	buffer_load_dword v135, off, s[0:3], 0 offset:376
	buffer_load_dword v163, off, s[0:3], 0 offset:368
	v_add_f32_e32 v7, v112, v110
	v_add_f32_e32 v6, v6, v139
	buffer_load_dword v139, off, s[0:3], 0 offset:16
	v_add_f32_e32 v7, v7, v111
	ds_read2_b64 v[110:113], v1 offset0:85 offset1:86
	v_add_f32_e32 v6, v6, v155
	v_add_f32_e32 v7, v7, v119
	;; [unrolled: 1-line block ×14, first 2 shown]
	s_waitcnt vmcnt(30)
	v_mul_f32_e32 v164, v108, v8
	v_mul_f32_e32 v8, v109, v8
	v_fmac_f32_e32 v164, v109, v151
	v_fma_f32 v8, v108, v151, -v8
	ds_read2_b64 v[106:109], v1 offset0:83 offset1:84
	s_waitcnt vmcnt(29) lgkmcnt(2)
	v_mul_f32_e32 v117, v3, v122
	v_mul_f32_e32 v140, v2, v122
	s_waitcnt vmcnt(28)
	v_mul_f32_e32 v122, v4, v116
	v_mul_f32_e32 v116, v5, v116
	v_add_f32_e32 v8, v7, v8
	v_fma_f32 v143, v2, v115, -v117
	v_fmac_f32_e32 v140, v3, v115
	v_add_f32_e32 v129, v129, v164
	v_add_f32_e32 v8, v8, v143
	;; [unrolled: 1-line block ×3, first 2 shown]
	s_waitcnt vmcnt(24)
	v_fma_f32 v146, v4, v156, -v116
	v_fmac_f32_e32 v122, v5, v156
	ds_read2_b64 v[2:5], v1 offset0:87 offset1:88
	ds_read2_b64 v[114:117], v1 offset0:89 offset1:90
	ds_read_b64 v[6:7], v1 offset:760
	v_add_f32_e32 v8, v8, v146
	v_add_f32_e32 v122, v129, v122
	s_waitcnt vmcnt(23) lgkmcnt(3)
	v_mul_f32_e32 v119, v107, v134
	v_mul_f32_e32 v124, v106, v134
	s_waitcnt vmcnt(22)
	v_mul_f32_e32 v134, v108, v141
	v_mul_f32_e32 v127, v109, v141
	v_fma_f32 v138, v106, v149, -v119
	v_fmac_f32_e32 v124, v107, v149
	v_fmac_f32_e32 v134, v109, v142
	v_fma_f32 v127, v108, v142, -v127
	s_waitcnt vmcnt(21)
	v_mul_f32_e32 v142, v111, v148
	v_add_f32_e32 v8, v8, v138
	v_mul_f32_e32 v131, v110, v148
	v_add_f32_e32 v122, v122, v124
	s_waitcnt vmcnt(20)
	v_mul_f32_e32 v141, v112, v125
	v_mul_f32_e32 v125, v113, v125
	v_fma_f32 v110, v110, v136, -v142
	v_add_f32_e32 v8, v8, v127
	v_fmac_f32_e32 v131, v111, v136
	v_add_f32_e32 v122, v122, v134
	ds_read2_b64 v[118:121], v1 offset0:91 offset1:92
	ds_read2_b64 v[106:109], v1 offset0:93 offset1:94
	s_waitcnt vmcnt(19) lgkmcnt(4)
	v_mul_f32_e32 v140, v2, v133
	v_mul_f32_e32 v133, v3, v133
	v_add_f32_e32 v8, v8, v110
	v_add_f32_e32 v110, v122, v131
	s_waitcnt vmcnt(18)
	v_mul_f32_e32 v143, v4, v137
	s_waitcnt vmcnt(9)
	v_fmac_f32_e32 v140, v3, v159
	s_waitcnt vmcnt(8)
	v_fma_f32 v112, v112, v160, -v125
	v_fmac_f32_e32 v141, v113, v160
	v_mul_f32_e32 v113, v5, v137
	v_fma_f32 v2, v2, v159, -v133
	s_waitcnt lgkmcnt(3)
	v_mul_f32_e32 v144, v114, v150
	v_add_f32_e32 v3, v8, v112
	v_add_f32_e32 v8, v110, v141
	v_mul_f32_e32 v110, v115, v150
	v_fma_f32 v4, v4, v158, -v113
	v_fmac_f32_e32 v143, v5, v158
	v_add_f32_e32 v2, v3, v2
	v_add_f32_e32 v3, v8, v140
	v_mul_f32_e32 v5, v117, v126
	v_fma_f32 v8, v114, v130, -v110
	v_mul_f32_e32 v129, v116, v126
	v_add_f32_e32 v2, v2, v4
	v_fmac_f32_e32 v144, v115, v130
	v_add_f32_e32 v3, v3, v143
	s_waitcnt lgkmcnt(1)
	v_mul_f32_e32 v4, v119, v128
	s_waitcnt vmcnt(3)
	v_fma_f32 v5, v116, v162, -v5
	v_add_f32_e32 v2, v2, v8
	v_mul_f32_e32 v138, v118, v128
	v_fmac_f32_e32 v129, v117, v162
	v_add_f32_e32 v3, v3, v144
	v_mul_f32_e32 v8, v121, v145
	v_fma_f32 v4, v118, v152, -v4
	v_add_f32_e32 v2, v2, v5
	v_mul_f32_e32 v111, v120, v145
	v_fmac_f32_e32 v138, v119, v152
	v_add_f32_e32 v3, v3, v129
	s_waitcnt lgkmcnt(0)
	v_mul_f32_e32 v5, v107, v157
	v_fma_f32 v8, v120, v132, -v8
	v_add_f32_e32 v2, v2, v4
	v_mul_f32_e32 v124, v106, v157
	v_fmac_f32_e32 v111, v121, v132
	v_add_f32_e32 v3, v3, v138
	v_mul_f32_e32 v4, v109, v153
	v_fma_f32 v5, v106, v123, -v5
	v_add_f32_e32 v2, v2, v8
	v_mul_f32_e32 v127, v108, v153
	v_fmac_f32_e32 v124, v107, v123
	v_add_f32_e32 v3, v3, v111
	v_mul_f32_e32 v8, v7, v161
	s_waitcnt vmcnt(1)
	v_fma_f32 v4, v108, v163, -v4
	v_add_f32_e32 v2, v2, v5
	v_mul_f32_e32 v134, v6, v161
	v_fmac_f32_e32 v127, v109, v163
	v_add_f32_e32 v3, v3, v124
	v_fma_f32 v5, v6, v135, -v8
	v_add_f32_e32 v2, v2, v4
	v_fmac_f32_e32 v134, v7, v135
	v_add_f32_e32 v3, v3, v127
	v_add_f32_e32 v2, v2, v5
	;; [unrolled: 1-line block ×3, first 2 shown]
	s_waitcnt vmcnt(0)
	v_sub_f32_e32 v2, v139, v2
	v_sub_f32_e32 v3, v154, v3
	buffer_store_dword v2, off, s[0:3], 0 offset:16
	buffer_store_dword v3, off, s[0:3], 0 offset:20
	v_cmpx_lt_u32_e32 1, v0
	s_cbranch_execz .LBB47_299
; %bb.298:
	s_clause 0x1
	buffer_load_dword v2, off, s[0:3], 0 offset:8
	buffer_load_dword v3, off, s[0:3], 0 offset:12
	buffer_store_dword v1, off, s[0:3], 0 offset:8
	buffer_store_dword v1, off, s[0:3], 0 offset:12
	s_waitcnt vmcnt(0)
	ds_write_b64 v105, v[2:3]
.LBB47_299:
	s_or_b32 exec_lo, exec_lo, s4
	s_waitcnt lgkmcnt(0)
	s_waitcnt_vscnt null, 0x0
	s_barrier
	buffer_gl0_inv
	s_clause 0x2c
	buffer_load_dword v144, off, s[0:3], 0 offset:20
	buffer_load_dword v145, off, s[0:3], 0 offset:28
	;; [unrolled: 1-line block ×45, first 2 shown]
	ds_read_b128 v[136:139], v1 offset:400
	ds_read_b128 v[140:143], v1 offset:416
	buffer_load_dword v154, off, s[0:3], 0 offset:12
	s_mov_b32 s4, exec_lo
	s_waitcnt vmcnt(45) lgkmcnt(1)
	v_mul_f32_e32 v152, v137, v144
	v_mul_f32_e32 v144, v136, v144
	s_waitcnt vmcnt(44)
	v_mul_f32_e32 v153, v138, v145
	v_mul_f32_e32 v145, v139, v145
	s_waitcnt vmcnt(41)
	v_fma_f32 v152, v136, v134, -v152
	v_fmac_f32_e32 v144, v137, v134
	v_fmac_f32_e32 v153, v139, v130
	v_fma_f32 v145, v138, v130, -v145
	ds_read_b128 v[136:139], v1 offset:432
	s_waitcnt vmcnt(40) lgkmcnt(1)
	v_mul_f32_e32 v155, v140, v129
	v_mul_f32_e32 v129, v141, v129
	s_waitcnt vmcnt(39)
	v_mul_f32_e32 v156, v142, v127
	v_mul_f32_e32 v127, v143, v127
	v_fmac_f32_e32 v155, v141, v116
	v_fma_f32 v116, v140, v116, -v129
	s_waitcnt vmcnt(35)
	v_fmac_f32_e32 v156, v143, v135
	v_fma_f32 v157, v142, v135, -v127
	ds_read_b128 v[140:143], v1 offset:448
	s_waitcnt vmcnt(34) lgkmcnt(1)
	v_mul_f32_e32 v158, v136, v133
	v_mul_f32_e32 v127, v137, v133
	s_waitcnt vmcnt(33)
	v_mul_f32_e32 v159, v138, v132
	v_mul_f32_e32 v129, v139, v132
	ds_read_b128 v[132:135], v1 offset:464
	v_fmac_f32_e32 v158, v137, v124
	v_fma_f32 v124, v136, v124, -v127
	v_fmac_f32_e32 v159, v139, v119
	v_fma_f32 v160, v138, v119, -v129
	ds_read_b128 v[136:139], v1 offset:480
	s_waitcnt vmcnt(32) lgkmcnt(2)
	v_mul_f32_e32 v161, v140, v123
	v_mul_f32_e32 v119, v141, v123
	s_waitcnt vmcnt(31)
	v_mul_f32_e32 v123, v142, v121
	v_mul_f32_e32 v121, v143, v121
	v_fmac_f32_e32 v161, v141, v106
	v_fma_f32 v140, v140, v106, -v119
	s_waitcnt vmcnt(27)
	v_fmac_f32_e32 v123, v143, v131
	v_fma_f32 v141, v142, v131, -v121
	s_waitcnt vmcnt(26) lgkmcnt(1)
	v_mul_f32_e32 v142, v132, v128
	v_mul_f32_e32 v106, v133, v128
	s_waitcnt vmcnt(25)
	v_mul_f32_e32 v143, v134, v126
	v_mul_f32_e32 v119, v135, v126
	ds_read_b128 v[126:129], v1 offset:496
	v_fmac_f32_e32 v142, v133, v117
	v_fma_f32 v117, v132, v117, -v106
	ds_read_b128 v[130:133], v1 offset:512
	v_fmac_f32_e32 v143, v135, v111
	v_fma_f32 v134, v134, v111, -v119
	s_waitcnt vmcnt(24) lgkmcnt(2)
	v_mul_f32_e32 v135, v136, v115
	v_mul_f32_e32 v106, v137, v115
	s_waitcnt vmcnt(23)
	v_mul_f32_e32 v115, v138, v113
	v_mul_f32_e32 v111, v139, v113
	v_fmac_f32_e32 v135, v137, v4
	v_fma_f32 v136, v136, v4, -v106
	s_waitcnt vmcnt(19)
	v_fmac_f32_e32 v115, v139, v125
	v_fma_f32 v125, v138, v125, -v111
	s_waitcnt vmcnt(18) lgkmcnt(1)
	v_mul_f32_e32 v137, v126, v122
	s_waitcnt vmcnt(17)
	v_mul_f32_e32 v138, v128, v120
	v_mul_f32_e32 v106, v129, v120
	;; [unrolled: 1-line block ×3, first 2 shown]
	ds_read_b128 v[119:122], v1 offset:528
	v_fmac_f32_e32 v137, v127, v110
	v_fmac_f32_e32 v138, v129, v107
	v_fma_f32 v127, v128, v107, -v106
	s_waitcnt vmcnt(15) lgkmcnt(1)
	v_mul_f32_e32 v129, v132, v108
	v_mul_f32_e32 v106, v133, v108
	v_fma_f32 v126, v126, v110, -v4
	v_mul_f32_e32 v128, v130, v109
	v_mul_f32_e32 v4, v131, v109
	s_waitcnt vmcnt(11)
	v_fmac_f32_e32 v129, v133, v118
	v_fma_f32 v118, v132, v118, -v106
	ds_read_b128 v[106:109], v1 offset:544
	v_fmac_f32_e32 v128, v131, v3
	v_fma_f32 v130, v130, v3, -v4
	s_waitcnt vmcnt(10) lgkmcnt(1)
	v_mul_f32_e32 v131, v119, v114
	v_mul_f32_e32 v3, v120, v114
	s_waitcnt vmcnt(9)
	v_mul_f32_e32 v4, v122, v112
	v_mul_f32_e32 v114, v121, v112
	ds_read_b128 v[110:113], v1 offset:560
	v_fmac_f32_e32 v131, v120, v8
	v_fma_f32 v8, v119, v8, -v3
	v_fma_f32 v119, v121, v5, -v4
	v_fmac_f32_e32 v114, v122, v5
	s_waitcnt vmcnt(8) lgkmcnt(1)
	v_mul_f32_e32 v120, v106, v7
	v_mul_f32_e32 v3, v107, v7
	s_waitcnt vmcnt(7)
	v_mul_f32_e32 v7, v108, v6
	v_mul_f32_e32 v4, v109, v6
	buffer_load_dword v6, off, s[0:3], 0 offset:196
	v_fmac_f32_e32 v120, v107, v2
	v_fma_f32 v121, v106, v2, -v3
	s_waitcnt vmcnt(4)
	v_fmac_f32_e32 v7, v109, v149
	v_fma_f32 v122, v108, v149, -v4
	buffer_load_dword v108, off, s[0:3], 0 offset:204
	ds_read_b128 v[2:5], v1 offset:576
	s_waitcnt vmcnt(4) lgkmcnt(1)
	v_mul_f32_e32 v132, v110, v150
	v_mul_f32_e32 v106, v111, v150
	s_waitcnt vmcnt(3)
	v_mul_f32_e32 v133, v112, v151
	v_mul_f32_e32 v107, v113, v151
	v_fmac_f32_e32 v132, v111, v148
	v_fma_f32 v110, v110, v148, -v106
	v_fmac_f32_e32 v133, v113, v147
	v_fma_f32 v111, v112, v147, -v107
	s_clause 0x5
	buffer_load_dword v112, off, s[0:3], 0 offset:224
	buffer_load_dword v113, off, s[0:3], 0 offset:216
	buffer_load_dword v139, off, s[0:3], 0 offset:208
	buffer_load_dword v147, off, s[0:3], 0 offset:200
	buffer_load_dword v148, off, s[0:3], 0 offset:212
	buffer_load_dword v149, off, s[0:3], 0 offset:220
	v_add_f32_e32 v106, 0, v152
	v_add_f32_e32 v107, 0, v144
	;; [unrolled: 1-line block ×3, first 2 shown]
	buffer_load_dword v145, off, s[0:3], 0 offset:228
	v_add_f32_e32 v107, v107, v153
	v_add_f32_e32 v106, v106, v116
	s_clause 0x4
	buffer_load_dword v116, off, s[0:3], 0 offset:236
	buffer_load_dword v144, off, s[0:3], 0 offset:256
	;; [unrolled: 1-line block ×5, first 2 shown]
	v_add_f32_e32 v107, v107, v155
	v_add_f32_e32 v106, v106, v157
	;; [unrolled: 1-line block ×4, first 2 shown]
	s_clause 0x2
	buffer_load_dword v124, off, s[0:3], 0 offset:244
	buffer_load_dword v153, off, s[0:3], 0 offset:252
	;; [unrolled: 1-line block ×3, first 2 shown]
	v_add_f32_e32 v107, v107, v158
	v_add_f32_e32 v106, v106, v160
	;; [unrolled: 1-line block ×5, first 2 shown]
	s_waitcnt vmcnt(16) lgkmcnt(0)
	v_mul_f32_e32 v156, v2, v6
	v_mul_f32_e32 v6, v3, v6
	v_fmac_f32_e32 v156, v3, v146
	v_fma_f32 v6, v2, v146, -v6
	v_add_f32_e32 v2, v106, v141
	v_add_f32_e32 v3, v107, v123
	s_waitcnt vmcnt(15)
	v_mul_f32_e32 v140, v4, v108
	v_mul_f32_e32 v157, v5, v108
	ds_read_b128 v[106:109], v1 offset:592
	v_add_f32_e32 v2, v2, v117
	v_add_f32_e32 v3, v3, v142
	s_waitcnt vmcnt(11)
	v_fmac_f32_e32 v140, v5, v147
	v_add_f32_e32 v2, v2, v134
	v_add_f32_e32 v3, v3, v143
	v_fma_f32 v123, v4, v147, -v157
	s_clause 0x4
	buffer_load_dword v117, off, s[0:3], 0 offset:268
	buffer_load_dword v141, off, s[0:3], 0 offset:288
	;; [unrolled: 1-line block ×5, first 2 shown]
	v_add_f32_e32 v2, v2, v136
	v_add_f32_e32 v3, v3, v135
	s_clause 0x2
	buffer_load_dword v134, off, s[0:3], 0 offset:276
	buffer_load_dword v135, off, s[0:3], 0 offset:284
	;; [unrolled: 1-line block ×3, first 2 shown]
	v_add_f32_e32 v125, v2, v125
	v_add_f32_e32 v115, v3, v115
	ds_read_b128 v[2:5], v1 offset:608
	s_waitcnt vmcnt(18) lgkmcnt(1)
	v_mul_f32_e32 v143, v106, v148
	v_add_f32_e32 v125, v125, v126
	v_add_f32_e32 v115, v115, v137
	v_mul_f32_e32 v148, v107, v148
	s_waitcnt vmcnt(17)
	v_mul_f32_e32 v137, v109, v149
	v_fmac_f32_e32 v143, v107, v139
	v_add_f32_e32 v107, v125, v127
	v_add_f32_e32 v115, v115, v138
	v_mul_f32_e32 v126, v108, v149
	v_fma_f32 v125, v106, v139, -v148
	v_fma_f32 v127, v108, v113, -v137
	v_add_f32_e32 v106, v107, v130
	v_add_f32_e32 v107, v115, v128
	s_clause 0x7
	buffer_load_dword v128, off, s[0:3], 0 offset:300
	buffer_load_dword v130, off, s[0:3], 0 offset:308
	;; [unrolled: 1-line block ×8, first 2 shown]
	v_fmac_f32_e32 v126, v109, v113
	v_add_f32_e32 v106, v106, v118
	v_add_f32_e32 v107, v107, v129
	s_waitcnt vmcnt(24) lgkmcnt(0)
	v_mul_f32_e32 v115, v2, v145
	v_mul_f32_e32 v108, v3, v145
	s_clause 0x3
	buffer_load_dword v129, off, s[0:3], 0 offset:332
	buffer_load_dword v145, off, s[0:3], 0 offset:340
	;; [unrolled: 1-line block ×4, first 2 shown]
	v_fmac_f32_e32 v115, v3, v112
	v_fma_f32 v118, v2, v112, -v108
	v_add_f32_e32 v2, v106, v8
	v_add_f32_e32 v106, v107, v131
	s_waitcnt vmcnt(27)
	v_mul_f32_e32 v131, v4, v116
	v_mul_f32_e32 v3, v5, v116
	s_clause 0x1
	buffer_load_dword v8, off, s[0:3], 0 offset:364
	buffer_load_dword v160, off, s[0:3], 0 offset:372
	v_add_f32_e32 v107, v2, v119
	buffer_load_dword v161, off, s[0:3], 0 offset:380
	s_waitcnt vmcnt(26)
	v_fmac_f32_e32 v131, v5, v152
	v_fma_f32 v119, v4, v152, -v3
	ds_read_b128 v[2:5], v1 offset:624
	v_add_f32_e32 v106, v106, v114
	v_add_f32_e32 v107, v107, v121
	s_clause 0x3
	buffer_load_dword v152, off, s[0:3], 0 offset:352
	buffer_load_dword v162, off, s[0:3], 0 offset:344
	;; [unrolled: 1-line block ×4, first 2 shown]
	v_add_f32_e32 v106, v106, v120
	v_add_f32_e32 v107, v107, v122
	;; [unrolled: 1-line block ×4, first 2 shown]
	ds_read_b128 v[106:109], v1 offset:640
	v_add_f32_e32 v7, v7, v132
	v_add_f32_e32 v110, v110, v111
	s_waitcnt vmcnt(29) lgkmcnt(1)
	v_mul_f32_e32 v120, v2, v124
	v_mul_f32_e32 v111, v3, v124
	s_waitcnt vmcnt(28)
	v_mul_f32_e32 v122, v4, v153
	v_fmac_f32_e32 v120, v3, v151
	v_fma_f32 v121, v2, v151, -v111
	v_add_f32_e32 v2, v7, v133
	v_add_f32_e32 v3, v110, v6
	s_clause 0x3
	buffer_load_dword v6, off, s[0:3], 0 offset:376
	buffer_load_dword v7, off, s[0:3], 0 offset:368
	;; [unrolled: 1-line block ×4, first 2 shown]
	v_mul_f32_e32 v110, v5, v153
	v_add_f32_e32 v2, v2, v156
	v_add_f32_e32 v3, v3, v123
	v_fmac_f32_e32 v122, v5, v150
	s_waitcnt vmcnt(31) lgkmcnt(0)
	v_mul_f32_e32 v124, v107, v155
	v_fma_f32 v123, v4, v150, -v110
	v_add_f32_e32 v111, v2, v140
	v_add_f32_e32 v114, v3, v125
	ds_read_b128 v[2:5], v1 offset:656
	v_fma_f32 v124, v106, v144, -v124
	v_add_f32_e32 v116, v111, v143
	ds_read_b128 v[110:113], v1 offset:672
	v_add_f32_e32 v114, v114, v127
	v_mul_f32_e32 v127, v106, v155
	v_add_f32_e32 v116, v116, v126
	v_add_f32_e32 v118, v114, v118
	v_fmac_f32_e32 v127, v107, v144
	v_add_f32_e32 v125, v116, v115
	v_add_f32_e32 v118, v118, v119
	v_add_f32_e32 v125, v125, v131
	v_add_f32_e32 v118, v118, v121
	v_add_f32_e32 v125, v125, v120
	v_add_f32_e32 v123, v118, v123
	s_waitcnt vmcnt(30)
	v_mul_f32_e32 v126, v108, v117
	v_mul_f32_e32 v117, v109, v117
	s_waitcnt vmcnt(26)
	v_fmac_f32_e32 v126, v109, v147
	s_waitcnt vmcnt(25) lgkmcnt(1)
	v_mul_f32_e32 v143, v2, v134
	v_mul_f32_e32 v119, v3, v134
	s_waitcnt vmcnt(24)
	v_mul_f32_e32 v131, v4, v135
	v_mul_f32_e32 v134, v5, v135
	s_waitcnt vmcnt(23) lgkmcnt(0)
	v_mul_f32_e32 v135, v110, v136
	v_fma_f32 v140, v108, v147, -v117
	v_mul_f32_e32 v136, v111, v136
	v_fmac_f32_e32 v131, v5, v142
	v_fma_f32 v134, v4, v142, -v134
	v_add_f32_e32 v142, v125, v122
	v_fmac_f32_e32 v135, v111, v141
	v_add_f32_e32 v111, v123, v124
	ds_read_b128 v[106:109], v1 offset:688
	ds_read_b128 v[114:117], v1 offset:704
	v_fmac_f32_e32 v143, v3, v146
	v_fma_f32 v144, v2, v146, -v119
	ds_read_b128 v[2:5], v1 offset:720
	ds_read_b128 v[118:121], v1 offset:736
	;; [unrolled: 1-line block ×3, first 2 shown]
	v_add_f32_e32 v1, v142, v127
	v_add_f32_e32 v111, v111, v140
	v_fma_f32 v110, v110, v141, -v136
	s_waitcnt vmcnt(22)
	v_mul_f32_e32 v127, v112, v128
	v_mul_f32_e32 v128, v113, v128
	v_add_f32_e32 v1, v1, v126
	v_add_f32_e32 v111, v111, v144
	s_waitcnt vmcnt(15)
	v_fmac_f32_e32 v127, v113, v157
	v_fma_f32 v112, v112, v157, -v128
	v_add_f32_e32 v1, v1, v143
	v_add_f32_e32 v111, v111, v134
	s_waitcnt lgkmcnt(4)
	v_mul_f32_e32 v136, v106, v130
	v_add_f32_e32 v1, v1, v131
	v_mul_f32_e32 v130, v107, v130
	v_add_f32_e32 v110, v111, v110
	v_mul_f32_e32 v131, v109, v137
	v_fmac_f32_e32 v136, v107, v149
	v_add_f32_e32 v1, v1, v135
	v_fma_f32 v106, v106, v149, -v130
	v_add_f32_e32 v107, v110, v112
	v_mul_f32_e32 v126, v108, v137
	s_waitcnt lgkmcnt(3)
	v_mul_f32_e32 v110, v115, v138
	v_add_f32_e32 v1, v1, v127
	v_fma_f32 v108, v108, v148, -v131
	v_add_f32_e32 v106, v107, v106
	v_mul_f32_e32 v113, v114, v138
	v_fmac_f32_e32 v126, v109, v148
	v_add_f32_e32 v1, v1, v136
	s_waitcnt vmcnt(14)
	v_mul_f32_e32 v107, v117, v129
	v_fma_f32 v109, v114, v139, -v110
	v_add_f32_e32 v106, v106, v108
	v_mul_f32_e32 v128, v116, v129
	v_fmac_f32_e32 v113, v115, v139
	v_add_f32_e32 v1, v1, v126
	s_waitcnt vmcnt(13) lgkmcnt(2)
	v_mul_f32_e32 v140, v2, v145
	v_mul_f32_e32 v108, v3, v145
	s_waitcnt vmcnt(4)
	v_fma_f32 v107, v116, v164, -v107
	v_add_f32_e32 v106, v106, v109
	v_fmac_f32_e32 v128, v117, v164
	v_add_f32_e32 v1, v1, v113
	v_mul_f32_e32 v109, v5, v158
	v_fmac_f32_e32 v140, v3, v163
	v_fma_f32 v2, v2, v163, -v108
	v_add_f32_e32 v3, v106, v107
	v_mul_f32_e32 v141, v4, v158
	v_add_f32_e32 v1, v1, v128
	s_waitcnt lgkmcnt(1)
	v_mul_f32_e32 v106, v119, v159
	v_fma_f32 v4, v4, v162, -v109
	v_add_f32_e32 v2, v3, v2
	v_mul_f32_e32 v142, v118, v159
	v_fmac_f32_e32 v141, v5, v162
	v_add_f32_e32 v1, v1, v140
	v_mul_f32_e32 v3, v121, v8
	v_fma_f32 v5, v118, v152, -v106
	v_add_f32_e32 v2, v2, v4
	v_mul_f32_e32 v134, v120, v8
	v_fmac_f32_e32 v142, v119, v152
	v_add_f32_e32 v1, v1, v141
	s_waitcnt lgkmcnt(0)
	v_mul_f32_e32 v4, v123, v160
	s_waitcnt vmcnt(1)
	v_fma_f32 v3, v120, v132, -v3
	v_add_f32_e32 v2, v2, v5
	v_mul_f32_e32 v137, v122, v160
	v_fmac_f32_e32 v134, v121, v132
	v_add_f32_e32 v1, v1, v142
	v_mul_f32_e32 v5, v125, v161
	v_fma_f32 v4, v122, v7, -v4
	v_add_f32_e32 v2, v2, v3
	v_mul_f32_e32 v111, v124, v161
	v_fmac_f32_e32 v137, v123, v7
	v_add_f32_e32 v1, v1, v134
	v_fma_f32 v3, v124, v6, -v5
	v_add_f32_e32 v2, v2, v4
	v_fmac_f32_e32 v111, v125, v6
	v_add_f32_e32 v1, v1, v137
	v_add_f32_e32 v2, v2, v3
	v_add_f32_e32 v1, v1, v111
	s_waitcnt vmcnt(0)
	v_sub_f32_e32 v2, v133, v2
	v_sub_f32_e32 v1, v154, v1
	buffer_store_dword v2, off, s[0:3], 0 offset:8
	buffer_store_dword v1, off, s[0:3], 0 offset:12
	v_cmpx_ne_u32_e32 0, v0
	s_cbranch_execz .LBB47_301
; %bb.300:
	s_clause 0x1
	buffer_load_dword v0, off, s[0:3], 0
	buffer_load_dword v1, off, s[0:3], 0 offset:4
	v_mov_b32_e32 v2, 0
	buffer_store_dword v2, off, s[0:3], 0
	buffer_store_dword v2, off, s[0:3], 0 offset:4
	s_waitcnt vmcnt(0)
	ds_write_b64 v105, v[0:1]
.LBB47_301:
	s_or_b32 exec_lo, exec_lo, s4
	s_waitcnt lgkmcnt(0)
	s_waitcnt_vscnt null, 0x0
	s_barrier
	buffer_gl0_inv
	s_clause 0x2c
	buffer_load_dword v135, off, s[0:3], 0 offset:12
	buffer_load_dword v117, off, s[0:3], 0 offset:24
	;; [unrolled: 1-line block ×45, first 2 shown]
	v_mov_b32_e32 v0, 0
	ds_read2_b64 v[136:139], v0 offset0:49 offset1:50
	ds_read2_b64 v[140:143], v0 offset0:51 offset1:52
	;; [unrolled: 1-line block ×3, first 2 shown]
	buffer_load_dword v155, off, s[0:3], 0 offset:4
	s_and_b32 vcc_lo, exec_lo, s22
	s_waitcnt vmcnt(45) lgkmcnt(2)
	v_mul_f32_e32 v154, v137, v135
	v_mul_f32_e32 v135, v136, v135
	s_waitcnt vmcnt(41)
	v_mul_f32_e32 v156, v138, v131
	v_mul_f32_e32 v131, v139, v131
	v_fma_f32 v154, v136, v133, -v154
	v_fmac_f32_e32 v135, v137, v133
	s_waitcnt vmcnt(40) lgkmcnt(1)
	v_mul_f32_e32 v158, v140, v129
	v_fmac_f32_e32 v156, v139, v126
	v_fma_f32 v157, v138, v126, -v131
	v_mul_f32_e32 v126, v141, v129
	ds_read2_b64 v[136:139], v0 offset0:55 offset1:56
	v_fmac_f32_e32 v158, v141, v117
	s_waitcnt vmcnt(39)
	v_mul_f32_e32 v159, v142, v122
	s_waitcnt vmcnt(34) lgkmcnt(1)
	v_mul_f32_e32 v161, v144, v132
	v_fma_f32 v129, v140, v117, -v126
	v_mul_f32_e32 v117, v143, v122
	v_fmac_f32_e32 v159, v143, v134
	v_fmac_f32_e32 v161, v145, v125
	v_fma_f32 v160, v142, v134, -v117
	v_mul_f32_e32 v117, v145, v132
	ds_read2_b64 v[131:134], v0 offset0:57 offset1:58
	ds_read2_b64 v[140:143], v0 offset0:59 offset1:60
	s_waitcnt vmcnt(33)
	v_mul_f32_e32 v145, v146, v127
	v_fma_f32 v144, v144, v125, -v117
	v_mul_f32_e32 v117, v147, v127
	v_fmac_f32_e32 v145, v147, v118
	s_waitcnt vmcnt(32) lgkmcnt(2)
	v_mul_f32_e32 v147, v136, v123
	v_fma_f32 v146, v146, v118, -v117
	v_mul_f32_e32 v117, v137, v123
	v_fmac_f32_e32 v147, v137, v106
	v_fma_f32 v106, v136, v106, -v117
	s_waitcnt vmcnt(31)
	v_mul_f32_e32 v136, v138, v114
	v_mul_f32_e32 v114, v139, v114
	s_waitcnt vmcnt(26) lgkmcnt(1)
	v_mul_f32_e32 v137, v131, v128
	v_fmac_f32_e32 v136, v139, v130
	v_fma_f32 v130, v138, v130, -v114
	v_mul_f32_e32 v114, v132, v128
	ds_read2_b64 v[125:128], v0 offset0:61 offset1:62
	v_fmac_f32_e32 v137, v132, v119
	s_waitcnt vmcnt(25)
	v_mul_f32_e32 v132, v133, v120
	s_waitcnt vmcnt(23) lgkmcnt(1)
	v_mul_f32_e32 v139, v142, v108
	v_fma_f32 v131, v131, v119, -v114
	v_mul_f32_e32 v114, v134, v120
	ds_read2_b64 v[117:120], v0 offset0:63 offset1:64
	v_fmac_f32_e32 v132, v134, v110
	v_mul_f32_e32 v134, v140, v115
	s_waitcnt vmcnt(19)
	v_fmac_f32_e32 v139, v143, v124
	v_fma_f32 v133, v133, v110, -v114
	v_mul_f32_e32 v110, v141, v115
	v_fmac_f32_e32 v134, v141, v4
	v_fma_f32 v138, v140, v4, -v110
	v_mul_f32_e32 v4, v143, v108
	s_waitcnt vmcnt(18) lgkmcnt(1)
	v_mul_f32_e32 v141, v125, v121
	v_fma_f32 v140, v142, v124, -v4
	v_mul_f32_e32 v4, v126, v121
	ds_read2_b64 v[121:124], v0 offset0:65 offset1:66
	v_fmac_f32_e32 v141, v126, v111
	s_waitcnt vmcnt(17)
	v_mul_f32_e32 v126, v127, v112
	v_fma_f32 v125, v125, v111, -v4
	v_mul_f32_e32 v4, v128, v112
	v_fmac_f32_e32 v126, v128, v8
	s_waitcnt vmcnt(16) lgkmcnt(1)
	v_mul_f32_e32 v128, v117, v109
	v_fma_f32 v127, v127, v8, -v4
	v_mul_f32_e32 v4, v118, v109
	ds_read2_b64 v[108:111], v0 offset0:67 offset1:68
	v_fmac_f32_e32 v128, v118, v2
	s_waitcnt vmcnt(15)
	v_mul_f32_e32 v118, v119, v6
	buffer_load_dword v8, off, s[0:3], 0 offset:196
	v_fma_f32 v117, v117, v2, -v4
	v_mul_f32_e32 v2, v120, v6
	s_waitcnt vmcnt(12)
	v_fmac_f32_e32 v118, v120, v116
	s_waitcnt vmcnt(10) lgkmcnt(1)
	v_mul_f32_e32 v120, v123, v107
	v_fma_f32 v116, v119, v116, -v2
	v_mul_f32_e32 v119, v121, v113
	v_mul_f32_e32 v2, v122, v113
	ds_read2_b64 v[112:115], v0 offset0:69 offset1:70
	v_fmac_f32_e32 v120, v124, v3
	v_fmac_f32_e32 v119, v122, v105
	v_fma_f32 v105, v121, v105, -v2
	v_mul_f32_e32 v2, v124, v107
	s_waitcnt vmcnt(9) lgkmcnt(1)
	v_mul_f32_e32 v121, v108, v7
	s_waitcnt vmcnt(8)
	v_mul_f32_e32 v122, v110, v5
	v_fma_f32 v107, v123, v3, -v2
	v_mul_f32_e32 v2, v109, v7
	v_mul_f32_e32 v3, v111, v5
	buffer_load_dword v5, off, s[0:3], 0 offset:188
	v_fmac_f32_e32 v121, v109, v1
	s_waitcnt vmcnt(5)
	v_fmac_f32_e32 v122, v111, v151
	v_fma_f32 v108, v108, v1, -v2
	v_fma_f32 v109, v110, v151, -v3
	ds_read2_b64 v[1:4], v0 offset0:71 offset1:72
	s_waitcnt vmcnt(4) lgkmcnt(1)
	v_mul_f32_e32 v110, v112, v152
	v_mul_f32_e32 v6, v113, v152
	s_waitcnt vmcnt(3)
	v_mul_f32_e32 v111, v114, v153
	v_mul_f32_e32 v7, v115, v153
	v_fmac_f32_e32 v110, v113, v150
	v_fma_f32 v112, v112, v150, -v6
	v_fmac_f32_e32 v111, v115, v149
	v_fma_f32 v113, v114, v149, -v7
	s_clause 0x4
	buffer_load_dword v114, off, s[0:3], 0 offset:216
	buffer_load_dword v115, off, s[0:3], 0 offset:208
	;; [unrolled: 1-line block ×5, first 2 shown]
	s_waitcnt vmcnt(6) lgkmcnt(0)
	v_mul_f32_e32 v143, v3, v8
	v_mul_f32_e32 v7, v4, v8
	s_waitcnt vmcnt(5)
	v_mul_f32_e32 v142, v1, v5
	v_mul_f32_e32 v5, v2, v5
	v_fmac_f32_e32 v142, v2, v148
	v_fma_f32 v148, v1, v148, -v5
	s_waitcnt vmcnt(1)
	v_fmac_f32_e32 v143, v4, v6
	v_fma_f32 v149, v3, v6, -v7
	ds_read2_b64 v[1:4], v0 offset0:73 offset1:74
	ds_read2_b64 v[5:8], v0 offset0:75 offset1:76
	s_waitcnt vmcnt(0) lgkmcnt(1)
	v_mul_f32_e32 v150, v1, v124
	v_mul_f32_e32 v124, v2, v124
	v_fmac_f32_e32 v150, v2, v123
	v_fma_f32 v123, v1, v123, -v124
	buffer_load_dword v1, off, s[0:3], 0 offset:212
	s_waitcnt vmcnt(0)
	v_mul_f32_e32 v124, v3, v1
	v_mul_f32_e32 v1, v4, v1
	v_fmac_f32_e32 v124, v4, v115
	v_fma_f32 v115, v3, v115, -v1
	buffer_load_dword v1, off, s[0:3], 0 offset:220
	s_waitcnt vmcnt(0) lgkmcnt(0)
	v_mul_f32_e32 v151, v5, v1
	v_mul_f32_e32 v1, v6, v1
	v_fmac_f32_e32 v151, v6, v114
	v_fma_f32 v114, v5, v114, -v1
	s_clause 0x5
	buffer_load_dword v1, off, s[0:3], 0 offset:228
	buffer_load_dword v152, off, s[0:3], 0 offset:248
	;; [unrolled: 1-line block ×6, first 2 shown]
	s_waitcnt vmcnt(5)
	v_mul_f32_e32 v163, v7, v1
	v_mul_f32_e32 v1, v8, v1
	s_waitcnt vmcnt(1)
	v_fmac_f32_e32 v163, v8, v2
	v_fma_f32 v164, v7, v2, -v1
	ds_read2_b64 v[1:4], v0 offset0:77 offset1:78
	ds_read2_b64 v[5:8], v0 offset0:79 offset1:80
	s_waitcnt vmcnt(0) lgkmcnt(1)
	v_mul_f32_e32 v166, v1, v165
	v_mul_f32_e32 v165, v2, v165
	v_fmac_f32_e32 v166, v2, v162
	v_fma_f32 v162, v1, v162, -v165
	buffer_load_dword v1, off, s[0:3], 0 offset:244
	s_waitcnt vmcnt(0)
	v_mul_f32_e32 v165, v3, v1
	v_mul_f32_e32 v1, v4, v1
	v_fmac_f32_e32 v165, v4, v153
	v_fma_f32 v153, v3, v153, -v1
	buffer_load_dword v1, off, s[0:3], 0 offset:252
	s_waitcnt vmcnt(0) lgkmcnt(0)
	v_mul_f32_e32 v167, v5, v1
	v_mul_f32_e32 v1, v6, v1
	v_fmac_f32_e32 v167, v6, v152
	v_fma_f32 v152, v5, v152, -v1
	s_clause 0x4
	buffer_load_dword v1, off, s[0:3], 0 offset:260
	buffer_load_dword v168, off, s[0:3], 0 offset:280
	;; [unrolled: 1-line block ×5, first 2 shown]
	s_waitcnt vmcnt(4)
	v_mul_f32_e32 v171, v7, v1
	v_mul_f32_e32 v1, v8, v1
	s_waitcnt vmcnt(0)
	v_fmac_f32_e32 v171, v8, v2
	v_fma_f32 v172, v7, v2, -v1
	v_add_f32_e32 v1, 0, v154
	v_add_f32_e32 v2, 0, v135
	v_add_f32_e32 v1, v1, v157
	v_add_f32_e32 v2, v2, v156
	v_add_f32_e32 v1, v1, v129
	v_add_f32_e32 v2, v2, v158
	buffer_load_dword v129, off, s[0:3], 0 offset:268
	v_add_f32_e32 v1, v1, v160
	v_add_f32_e32 v2, v2, v159
	;; [unrolled: 1-line block ×7, first 2 shown]
	buffer_load_dword v106, off, s[0:3], 0 offset:276
	v_add_f32_e32 v2, v2, v147
	v_add_f32_e32 v1, v1, v130
	buffer_load_dword v130, off, s[0:3], 0 offset:284
	v_add_f32_e32 v2, v2, v136
	v_add_f32_e32 v1, v1, v131
	;; [unrolled: 3-line block ×3, first 2 shown]
	s_clause 0x3
	buffer_load_dword v133, off, s[0:3], 0 offset:312
	buffer_load_dword v135, off, s[0:3], 0 offset:304
	;; [unrolled: 1-line block ×4, first 2 shown]
	v_add_f32_e32 v2, v2, v132
	buffer_load_dword v132, off, s[0:3], 0 offset:300
	v_add_f32_e32 v1, v1, v138
	v_add_f32_e32 v2, v2, v134
	buffer_load_dword v134, off, s[0:3], 0 offset:308
	v_add_f32_e32 v1, v1, v140
	v_add_f32_e32 v2, v2, v139
	s_clause 0x1
	buffer_load_dword v138, off, s[0:3], 0 offset:316
	buffer_load_dword v139, off, s[0:3], 0 offset:324
	v_add_f32_e32 v1, v1, v125
	buffer_load_dword v125, off, s[0:3], 0 offset:332
	v_add_f32_e32 v2, v2, v141
	s_clause 0x2
	buffer_load_dword v140, off, s[0:3], 0 offset:340
	buffer_load_dword v141, off, s[0:3], 0 offset:348
	;; [unrolled: 1-line block ×3, first 2 shown]
	v_add_f32_e32 v1, v1, v127
	buffer_load_dword v127, off, s[0:3], 0 offset:356
	v_add_f32_e32 v2, v2, v126
	buffer_load_dword v126, off, s[0:3], 0 offset:364
	v_add_f32_e32 v1, v1, v117
	v_add_f32_e32 v2, v2, v128
	buffer_load_dword v128, off, s[0:3], 0 offset:380
	v_add_f32_e32 v1, v1, v116
	v_add_f32_e32 v2, v2, v118
	;; [unrolled: 1-line block ×4, first 2 shown]
	s_clause 0x3
	buffer_load_dword v119, off, s[0:3], 0 offset:344
	buffer_load_dword v145, off, s[0:3], 0 offset:336
	;; [unrolled: 1-line block ×4, first 2 shown]
	v_add_f32_e32 v1, v1, v107
	v_add_f32_e32 v2, v2, v120
	v_add_f32_e32 v1, v1, v108
	v_add_f32_e32 v2, v2, v121
	s_clause 0x4
	buffer_load_dword v120, off, s[0:3], 0 offset:376
	buffer_load_dword v121, off, s[0:3], 0 offset:368
	;; [unrolled: 1-line block ×4, first 2 shown]
	buffer_load_dword v157, off, s[0:3], 0
	v_add_f32_e32 v1, v1, v109
	v_add_f32_e32 v2, v2, v122
	;; [unrolled: 1-line block ×5, first 2 shown]
	ds_read2_b64 v[1:4], v0 offset0:81 offset1:82
	v_add_f32_e32 v5, v5, v111
	v_add_f32_e32 v6, v6, v148
	;; [unrolled: 1-line block ×5, first 2 shown]
	ds_read2_b64 v[5:8], v0 offset0:83 offset1:84
	v_add_f32_e32 v105, v105, v123
	v_add_f32_e32 v107, v107, v150
	;; [unrolled: 1-line block ×6, first 2 shown]
	s_waitcnt vmcnt(27) lgkmcnt(1)
	v_mul_f32_e32 v122, v1, v129
	v_mul_f32_e32 v108, v2, v129
	v_fmac_f32_e32 v122, v2, v170
	v_add_f32_e32 v2, v107, v124
	v_fma_f32 v124, v1, v170, -v108
	v_add_f32_e32 v113, v2, v151
	v_add_f32_e32 v113, v113, v163
	s_waitcnt vmcnt(26)
	v_mul_f32_e32 v123, v3, v106
	v_mul_f32_e32 v106, v4, v106
	v_add_f32_e32 v113, v113, v166
	s_waitcnt vmcnt(25) lgkmcnt(0)
	v_mul_f32_e32 v142, v5, v130
	v_mul_f32_e32 v115, v6, v130
	v_fmac_f32_e32 v123, v4, v169
	v_fma_f32 v129, v3, v169, -v106
	ds_read2_b64 v[1:4], v0 offset0:85 offset1:86
	ds_read2_b64 v[105:108], v0 offset0:87 offset1:88
	v_fmac_f32_e32 v142, v6, v168
	v_add_f32_e32 v6, v114, v153
	s_waitcnt vmcnt(24)
	v_mul_f32_e32 v130, v7, v131
	v_mul_f32_e32 v117, v8, v131
	v_fma_f32 v131, v5, v168, -v115
	v_add_f32_e32 v5, v113, v165
	v_add_f32_e32 v143, v6, v152
	ds_read2_b64 v[109:112], v0 offset0:89 offset1:90
	ds_read2_b64 v[113:116], v0 offset0:91 offset1:92
	s_waitcnt vmcnt(20)
	v_fmac_f32_e32 v130, v8, v137
	v_add_f32_e32 v148, v5, v167
	v_add_f32_e32 v143, v143, v172
	v_fma_f32 v137, v7, v137, -v117
	ds_read2_b64 v[5:8], v0 offset0:93 offset1:94
	ds_read_b64 v[117:118], v0 offset:760
	v_add_f32_e32 v148, v148, v171
	v_add_f32_e32 v124, v143, v124
	s_waitcnt vmcnt(19) lgkmcnt(5)
	v_mul_f32_e32 v149, v1, v132
	v_mul_f32_e32 v132, v2, v132
	v_add_f32_e32 v122, v148, v122
	v_add_f32_e32 v124, v124, v129
	s_waitcnt vmcnt(18)
	v_mul_f32_e32 v150, v3, v134
	v_mul_f32_e32 v134, v4, v134
	v_fma_f32 v1, v1, v136, -v132
	v_add_f32_e32 v122, v122, v123
	v_add_f32_e32 v124, v124, v131
	v_fmac_f32_e32 v149, v2, v136
	s_waitcnt vmcnt(17) lgkmcnt(4)
	v_mul_f32_e32 v132, v106, v138
	v_fma_f32 v3, v3, v135, -v134
	v_add_f32_e32 v122, v122, v142
	v_add_f32_e32 v124, v124, v137
	v_mul_f32_e32 v143, v105, v138
	v_fmac_f32_e32 v150, v4, v135
	v_fma_f32 v105, v105, v133, -v132
	v_add_f32_e32 v122, v122, v130
	v_add_f32_e32 v1, v124, v1
	s_waitcnt vmcnt(16)
	v_mul_f32_e32 v148, v107, v139
	v_fmac_f32_e32 v143, v106, v133
	s_waitcnt vmcnt(15) lgkmcnt(3)
	v_mul_f32_e32 v129, v109, v125
	v_add_f32_e32 v4, v122, v149
	v_mul_f32_e32 v122, v108, v139
	v_add_f32_e32 v1, v1, v3
	s_waitcnt vmcnt(5)
	v_fmac_f32_e32 v148, v108, v147
	v_mul_f32_e32 v123, v111, v140
	v_add_f32_e32 v3, v4, v150
	v_mul_f32_e32 v4, v110, v125
	v_fma_f32 v106, v107, v147, -v122
	v_add_f32_e32 v1, v1, v105
	v_mul_f32_e32 v105, v112, v140
	v_add_f32_e32 v3, v3, v143
	v_fma_f32 v4, v109, v146, -v4
	v_fmac_f32_e32 v129, v110, v146
	v_add_f32_e32 v1, v1, v106
	s_waitcnt lgkmcnt(2)
	v_mul_f32_e32 v106, v114, v141
	v_add_f32_e32 v3, v3, v148
	v_fma_f32 v105, v111, v145, -v105
	v_mul_f32_e32 v151, v113, v141
	v_add_f32_e32 v1, v1, v4
	v_fmac_f32_e32 v123, v112, v145
	v_add_f32_e32 v3, v3, v129
	v_mul_f32_e32 v4, v116, v127
	v_fma_f32 v106, v113, v119, -v106
	v_add_f32_e32 v1, v1, v105
	v_mul_f32_e32 v131, v115, v127
	v_fmac_f32_e32 v151, v114, v119
	v_add_f32_e32 v3, v3, v123
	s_waitcnt lgkmcnt(1)
	v_mul_f32_e32 v105, v6, v126
	s_waitcnt vmcnt(1)
	v_fma_f32 v4, v115, v156, -v4
	v_add_f32_e32 v1, v1, v106
	v_mul_f32_e32 v142, v5, v126
	v_fmac_f32_e32 v131, v116, v156
	v_add_f32_e32 v3, v3, v151
	v_mul_f32_e32 v106, v8, v144
	v_fma_f32 v5, v5, v154, -v105
	v_add_f32_e32 v1, v1, v4
	v_mul_f32_e32 v2, v7, v144
	v_fmac_f32_e32 v142, v6, v154
	v_add_f32_e32 v3, v3, v131
	s_waitcnt lgkmcnt(0)
	v_mul_f32_e32 v4, v118, v128
	v_fma_f32 v6, v7, v121, -v106
	v_add_f32_e32 v1, v1, v5
	v_mul_f32_e32 v130, v117, v128
	v_fmac_f32_e32 v2, v8, v121
	v_add_f32_e32 v3, v3, v142
	v_fma_f32 v4, v117, v120, -v4
	v_add_f32_e32 v1, v1, v6
	v_fmac_f32_e32 v130, v118, v120
	v_add_f32_e32 v2, v3, v2
	v_add_f32_e32 v1, v1, v4
	;; [unrolled: 1-line block ×3, first 2 shown]
	s_waitcnt vmcnt(0)
	v_sub_f32_e32 v1, v157, v1
	v_sub_f32_e32 v2, v155, v2
	buffer_store_dword v1, off, s[0:3], 0
	buffer_store_dword v2, off, s[0:3], 0 offset:4
	s_cbranch_vccz .LBB47_396
; %bb.302:
	global_load_dword v0, v0, s[20:21] offset:184
	s_waitcnt vmcnt(0)
	v_add_nc_u32_e32 v0, -1, v0
	v_cmp_ne_u32_e32 vcc_lo, 46, v0
	s_cbranch_vccz .LBB47_304
; %bb.303:
	v_lshlrev_b32_e32 v0, 3, v0
	s_clause 0x3
	buffer_load_dword v1, v0, s[0:3], 0 offen
	buffer_load_dword v2, v0, s[0:3], 0 offen offset:4
	buffer_load_dword v3, off, s[0:3], 0 offset:372
	buffer_load_dword v4, off, s[0:3], 0 offset:368
	s_waitcnt vmcnt(3)
	buffer_store_dword v1, off, s[0:3], 0 offset:368
	s_waitcnt vmcnt(2)
	buffer_store_dword v2, off, s[0:3], 0 offset:372
	s_waitcnt vmcnt(1)
	buffer_store_dword v3, v0, s[0:3], 0 offen offset:4
	s_waitcnt vmcnt(0)
	buffer_store_dword v4, v0, s[0:3], 0 offen
.LBB47_304:
	v_mov_b32_e32 v0, 0
	global_load_dword v1, v0, s[20:21] offset:180
	s_waitcnt vmcnt(0)
	v_add_nc_u32_e32 v1, -1, v1
	v_cmp_eq_u32_e32 vcc_lo, 45, v1
	s_cbranch_vccnz .LBB47_306
; %bb.305:
	v_lshlrev_b32_e32 v1, 3, v1
	s_clause 0x3
	buffer_load_dword v2, v1, s[0:3], 0 offen
	buffer_load_dword v3, v1, s[0:3], 0 offen offset:4
	buffer_load_dword v4, off, s[0:3], 0 offset:360
	buffer_load_dword v5, off, s[0:3], 0 offset:364
	s_waitcnt vmcnt(3)
	buffer_store_dword v2, off, s[0:3], 0 offset:360
	s_waitcnt vmcnt(2)
	buffer_store_dword v3, off, s[0:3], 0 offset:364
	s_waitcnt vmcnt(1)
	buffer_store_dword v4, v1, s[0:3], 0 offen
	s_waitcnt vmcnt(0)
	buffer_store_dword v5, v1, s[0:3], 0 offen offset:4
.LBB47_306:
	global_load_dword v0, v0, s[20:21] offset:176
	s_waitcnt vmcnt(0)
	v_add_nc_u32_e32 v0, -1, v0
	v_cmp_eq_u32_e32 vcc_lo, 44, v0
	s_cbranch_vccnz .LBB47_308
; %bb.307:
	v_lshlrev_b32_e32 v0, 3, v0
	s_clause 0x3
	buffer_load_dword v1, v0, s[0:3], 0 offen
	buffer_load_dword v2, v0, s[0:3], 0 offen offset:4
	buffer_load_dword v3, off, s[0:3], 0 offset:356
	buffer_load_dword v4, off, s[0:3], 0 offset:352
	s_waitcnt vmcnt(3)
	buffer_store_dword v1, off, s[0:3], 0 offset:352
	s_waitcnt vmcnt(2)
	buffer_store_dword v2, off, s[0:3], 0 offset:356
	s_waitcnt vmcnt(1)
	buffer_store_dword v3, v0, s[0:3], 0 offen offset:4
	s_waitcnt vmcnt(0)
	buffer_store_dword v4, v0, s[0:3], 0 offen
.LBB47_308:
	v_mov_b32_e32 v0, 0
	global_load_dword v1, v0, s[20:21] offset:172
	s_waitcnt vmcnt(0)
	v_add_nc_u32_e32 v1, -1, v1
	v_cmp_eq_u32_e32 vcc_lo, 43, v1
	s_cbranch_vccnz .LBB47_310
; %bb.309:
	v_lshlrev_b32_e32 v1, 3, v1
	s_clause 0x3
	buffer_load_dword v2, v1, s[0:3], 0 offen
	buffer_load_dword v3, v1, s[0:3], 0 offen offset:4
	buffer_load_dword v4, off, s[0:3], 0 offset:344
	buffer_load_dword v5, off, s[0:3], 0 offset:348
	s_waitcnt vmcnt(3)
	buffer_store_dword v2, off, s[0:3], 0 offset:344
	s_waitcnt vmcnt(2)
	buffer_store_dword v3, off, s[0:3], 0 offset:348
	s_waitcnt vmcnt(1)
	buffer_store_dword v4, v1, s[0:3], 0 offen
	s_waitcnt vmcnt(0)
	buffer_store_dword v5, v1, s[0:3], 0 offen offset:4
.LBB47_310:
	global_load_dword v0, v0, s[20:21] offset:168
	s_waitcnt vmcnt(0)
	v_add_nc_u32_e32 v0, -1, v0
	v_cmp_eq_u32_e32 vcc_lo, 42, v0
	s_cbranch_vccnz .LBB47_312
; %bb.311:
	v_lshlrev_b32_e32 v0, 3, v0
	s_clause 0x3
	buffer_load_dword v1, v0, s[0:3], 0 offen
	buffer_load_dword v2, v0, s[0:3], 0 offen offset:4
	buffer_load_dword v3, off, s[0:3], 0 offset:340
	buffer_load_dword v4, off, s[0:3], 0 offset:336
	s_waitcnt vmcnt(3)
	buffer_store_dword v1, off, s[0:3], 0 offset:336
	s_waitcnt vmcnt(2)
	buffer_store_dword v2, off, s[0:3], 0 offset:340
	s_waitcnt vmcnt(1)
	buffer_store_dword v3, v0, s[0:3], 0 offen offset:4
	s_waitcnt vmcnt(0)
	buffer_store_dword v4, v0, s[0:3], 0 offen
.LBB47_312:
	;; [unrolled: 43-line block ×22, first 2 shown]
	v_mov_b32_e32 v0, 0
	global_load_dword v1, v0, s[20:21] offset:4
	s_waitcnt vmcnt(0)
	v_add_nc_u32_e32 v1, -1, v1
	v_cmp_eq_u32_e32 vcc_lo, 1, v1
	s_cbranch_vccnz .LBB47_394
; %bb.393:
	v_lshlrev_b32_e32 v1, 3, v1
	s_clause 0x3
	buffer_load_dword v2, v1, s[0:3], 0 offen
	buffer_load_dword v3, v1, s[0:3], 0 offen offset:4
	buffer_load_dword v4, off, s[0:3], 0 offset:8
	buffer_load_dword v5, off, s[0:3], 0 offset:12
	s_waitcnt vmcnt(3)
	buffer_store_dword v2, off, s[0:3], 0 offset:8
	s_waitcnt vmcnt(2)
	buffer_store_dword v3, off, s[0:3], 0 offset:12
	s_waitcnt vmcnt(1)
	buffer_store_dword v4, v1, s[0:3], 0 offen
	s_waitcnt vmcnt(0)
	buffer_store_dword v5, v1, s[0:3], 0 offen offset:4
.LBB47_394:
	global_load_dword v0, v0, s[20:21]
	s_waitcnt vmcnt(0)
	v_add_nc_u32_e32 v0, -1, v0
	v_cmp_eq_u32_e32 vcc_lo, 0, v0
	s_cbranch_vccnz .LBB47_396
; %bb.395:
	v_lshlrev_b32_e32 v0, 3, v0
	s_clause 0x3
	buffer_load_dword v1, v0, s[0:3], 0 offen
	buffer_load_dword v2, v0, s[0:3], 0 offen offset:4
	buffer_load_dword v3, off, s[0:3], 0 offset:4
	buffer_load_dword v4, off, s[0:3], 0
	s_waitcnt vmcnt(3)
	buffer_store_dword v1, off, s[0:3], 0
	s_waitcnt vmcnt(2)
	buffer_store_dword v2, off, s[0:3], 0 offset:4
	s_waitcnt vmcnt(1)
	buffer_store_dword v3, v0, s[0:3], 0 offen offset:4
	s_waitcnt vmcnt(0)
	buffer_store_dword v4, v0, s[0:3], 0 offen
.LBB47_396:
	s_clause 0x3e
	buffer_load_dword v0, off, s[0:3], 0
	buffer_load_dword v1, off, s[0:3], 0 offset:4
	buffer_load_dword v2, off, s[0:3], 0 offset:8
	;; [unrolled: 1-line block ×62, first 2 shown]
	s_clause 0x20
	buffer_load_dword v160, off, s[0:3], 0 offset:252
	buffer_load_dword v161, off, s[0:3], 0 offset:256
	;; [unrolled: 1-line block ×33, first 2 shown]
	s_waitcnt vmcnt(62)
	global_store_dwordx2 v[89:90], v[0:1], off
	global_store_dwordx2 v[91:92], v[2:3], off
	;; [unrolled: 1-line block ×17, first 2 shown]
	s_waitcnt vmcnt(60)
	global_store_dwordx2 v[39:40], v[131:132], off
	s_waitcnt vmcnt(58)
	global_store_dwordx2 v[41:42], v[133:134], off
	;; [unrolled: 2-line block ×31, first 2 shown]
	s_endpgm
	.section	.rodata,"a",@progbits
	.p2align	6, 0x0
	.amdhsa_kernel _ZN9rocsolver6v33100L18getri_kernel_smallILi48E19rocblas_complex_numIfEPS3_EEvT1_iilPiilS6_bb
		.amdhsa_group_segment_fixed_size 772
		.amdhsa_private_segment_fixed_size 400
		.amdhsa_kernarg_size 60
		.amdhsa_user_sgpr_count 6
		.amdhsa_user_sgpr_private_segment_buffer 1
		.amdhsa_user_sgpr_dispatch_ptr 0
		.amdhsa_user_sgpr_queue_ptr 0
		.amdhsa_user_sgpr_kernarg_segment_ptr 1
		.amdhsa_user_sgpr_dispatch_id 0
		.amdhsa_user_sgpr_flat_scratch_init 0
		.amdhsa_user_sgpr_private_segment_size 0
		.amdhsa_wavefront_size32 1
		.amdhsa_uses_dynamic_stack 0
		.amdhsa_system_sgpr_private_segment_wavefront_offset 1
		.amdhsa_system_sgpr_workgroup_id_x 1
		.amdhsa_system_sgpr_workgroup_id_y 0
		.amdhsa_system_sgpr_workgroup_id_z 0
		.amdhsa_system_sgpr_workgroup_info 0
		.amdhsa_system_vgpr_workitem_id 0
		.amdhsa_next_free_vgpr 250
		.amdhsa_next_free_sgpr 23
		.amdhsa_reserve_vcc 1
		.amdhsa_reserve_flat_scratch 0
		.amdhsa_float_round_mode_32 0
		.amdhsa_float_round_mode_16_64 0
		.amdhsa_float_denorm_mode_32 3
		.amdhsa_float_denorm_mode_16_64 3
		.amdhsa_dx10_clamp 1
		.amdhsa_ieee_mode 1
		.amdhsa_fp16_overflow 0
		.amdhsa_workgroup_processor_mode 1
		.amdhsa_memory_ordered 1
		.amdhsa_forward_progress 1
		.amdhsa_shared_vgpr_count 0
		.amdhsa_exception_fp_ieee_invalid_op 0
		.amdhsa_exception_fp_denorm_src 0
		.amdhsa_exception_fp_ieee_div_zero 0
		.amdhsa_exception_fp_ieee_overflow 0
		.amdhsa_exception_fp_ieee_underflow 0
		.amdhsa_exception_fp_ieee_inexact 0
		.amdhsa_exception_int_div_zero 0
	.end_amdhsa_kernel
	.section	.text._ZN9rocsolver6v33100L18getri_kernel_smallILi48E19rocblas_complex_numIfEPS3_EEvT1_iilPiilS6_bb,"axG",@progbits,_ZN9rocsolver6v33100L18getri_kernel_smallILi48E19rocblas_complex_numIfEPS3_EEvT1_iilPiilS6_bb,comdat
.Lfunc_end47:
	.size	_ZN9rocsolver6v33100L18getri_kernel_smallILi48E19rocblas_complex_numIfEPS3_EEvT1_iilPiilS6_bb, .Lfunc_end47-_ZN9rocsolver6v33100L18getri_kernel_smallILi48E19rocblas_complex_numIfEPS3_EEvT1_iilPiilS6_bb
                                        ; -- End function
	.set _ZN9rocsolver6v33100L18getri_kernel_smallILi48E19rocblas_complex_numIfEPS3_EEvT1_iilPiilS6_bb.num_vgpr, 250
	.set _ZN9rocsolver6v33100L18getri_kernel_smallILi48E19rocblas_complex_numIfEPS3_EEvT1_iilPiilS6_bb.num_agpr, 0
	.set _ZN9rocsolver6v33100L18getri_kernel_smallILi48E19rocblas_complex_numIfEPS3_EEvT1_iilPiilS6_bb.numbered_sgpr, 23
	.set _ZN9rocsolver6v33100L18getri_kernel_smallILi48E19rocblas_complex_numIfEPS3_EEvT1_iilPiilS6_bb.num_named_barrier, 0
	.set _ZN9rocsolver6v33100L18getri_kernel_smallILi48E19rocblas_complex_numIfEPS3_EEvT1_iilPiilS6_bb.private_seg_size, 400
	.set _ZN9rocsolver6v33100L18getri_kernel_smallILi48E19rocblas_complex_numIfEPS3_EEvT1_iilPiilS6_bb.uses_vcc, 1
	.set _ZN9rocsolver6v33100L18getri_kernel_smallILi48E19rocblas_complex_numIfEPS3_EEvT1_iilPiilS6_bb.uses_flat_scratch, 0
	.set _ZN9rocsolver6v33100L18getri_kernel_smallILi48E19rocblas_complex_numIfEPS3_EEvT1_iilPiilS6_bb.has_dyn_sized_stack, 0
	.set _ZN9rocsolver6v33100L18getri_kernel_smallILi48E19rocblas_complex_numIfEPS3_EEvT1_iilPiilS6_bb.has_recursion, 0
	.set _ZN9rocsolver6v33100L18getri_kernel_smallILi48E19rocblas_complex_numIfEPS3_EEvT1_iilPiilS6_bb.has_indirect_call, 0
	.section	.AMDGPU.csdata,"",@progbits
; Kernel info:
; codeLenInByte = 90524
; TotalNumSgprs: 25
; NumVgprs: 250
; ScratchSize: 400
; MemoryBound: 0
; FloatMode: 240
; IeeeMode: 1
; LDSByteSize: 772 bytes/workgroup (compile time only)
; SGPRBlocks: 0
; VGPRBlocks: 31
; NumSGPRsForWavesPerEU: 25
; NumVGPRsForWavesPerEU: 250
; Occupancy: 4
; WaveLimiterHint : 1
; COMPUTE_PGM_RSRC2:SCRATCH_EN: 1
; COMPUTE_PGM_RSRC2:USER_SGPR: 6
; COMPUTE_PGM_RSRC2:TRAP_HANDLER: 0
; COMPUTE_PGM_RSRC2:TGID_X_EN: 1
; COMPUTE_PGM_RSRC2:TGID_Y_EN: 0
; COMPUTE_PGM_RSRC2:TGID_Z_EN: 0
; COMPUTE_PGM_RSRC2:TIDIG_COMP_CNT: 0
	.section	.text._ZN9rocsolver6v33100L18getri_kernel_smallILi49E19rocblas_complex_numIfEPS3_EEvT1_iilPiilS6_bb,"axG",@progbits,_ZN9rocsolver6v33100L18getri_kernel_smallILi49E19rocblas_complex_numIfEPS3_EEvT1_iilPiilS6_bb,comdat
	.globl	_ZN9rocsolver6v33100L18getri_kernel_smallILi49E19rocblas_complex_numIfEPS3_EEvT1_iilPiilS6_bb ; -- Begin function _ZN9rocsolver6v33100L18getri_kernel_smallILi49E19rocblas_complex_numIfEPS3_EEvT1_iilPiilS6_bb
	.p2align	8
	.type	_ZN9rocsolver6v33100L18getri_kernel_smallILi49E19rocblas_complex_numIfEPS3_EEvT1_iilPiilS6_bb,@function
_ZN9rocsolver6v33100L18getri_kernel_smallILi49E19rocblas_complex_numIfEPS3_EEvT1_iilPiilS6_bb: ; @_ZN9rocsolver6v33100L18getri_kernel_smallILi49E19rocblas_complex_numIfEPS3_EEvT1_iilPiilS6_bb
; %bb.0:
	s_add_u32 s0, s0, s7
	s_addc_u32 s1, s1, 0
	s_mov_b32 s7, exec_lo
	v_cmpx_gt_u32_e32 49, v0
	s_cbranch_execz .LBB48_210
; %bb.1:
	s_clause 0x2
	s_load_dword s7, s[4:5], 0x38
	s_load_dwordx4 s[16:19], s[4:5], 0x10
	s_load_dwordx4 s[8:11], s[4:5], 0x28
                                        ; implicit-def: $sgpr20_sgpr21
	s_waitcnt lgkmcnt(0)
	s_bitcmp1_b32 s7, 8
	s_cselect_b32 s22, -1, 0
	s_bfe_u32 s12, s7, 0x10008
	s_ashr_i32 s7, s6, 31
	s_cmp_eq_u32 s12, 0
	s_cbranch_scc1 .LBB48_3
; %bb.2:
	s_load_dword s12, s[4:5], 0x20
	s_mul_i32 s13, s8, s7
	s_mul_hi_u32 s14, s8, s6
	s_mul_i32 s9, s9, s6
	s_add_i32 s13, s14, s13
	s_mul_i32 s8, s8, s6
	s_add_i32 s9, s13, s9
	s_lshl_b64 s[8:9], s[8:9], 2
	s_waitcnt lgkmcnt(0)
	s_ashr_i32 s13, s12, 31
	s_add_u32 s14, s18, s8
	s_addc_u32 s15, s19, s9
	s_lshl_b64 s[8:9], s[12:13], 2
	s_add_u32 s20, s14, s8
	s_addc_u32 s21, s15, s9
.LBB48_3:
	s_clause 0x1
	s_load_dwordx4 s[12:15], s[4:5], 0x0
	s_load_dword s8, s[4:5], 0x38
	s_mul_i32 s4, s16, s7
	s_mul_hi_u32 s5, s16, s6
	s_mul_i32 s9, s17, s6
	s_add_i32 s5, s5, s4
	s_mul_i32 s4, s16, s6
	s_add_i32 s5, s5, s9
	s_lshl_b64 s[4:5], s[4:5], 3
	s_waitcnt lgkmcnt(0)
	v_add3_u32 v1, s15, s15, v0
	s_ashr_i32 s17, s14, 31
	s_mov_b32 s16, s14
	s_add_u32 s9, s12, s4
	s_addc_u32 s12, s13, s5
	v_add_nc_u32_e32 v3, s15, v1
	v_ashrrev_i32_e32 v2, 31, v1
	s_lshl_b64 s[4:5], s[16:17], 3
	s_add_u32 s4, s9, s4
	v_add_nc_u32_e32 v5, s15, v3
	v_ashrrev_i32_e32 v4, 31, v3
	v_lshlrev_b64 v[1:2], 3, v[1:2]
	s_addc_u32 s5, s12, s5
	s_ashr_i32 s13, s15, 31
	v_ashrrev_i32_e32 v6, 31, v5
	v_add_nc_u32_e32 v7, s15, v5
	v_lshlrev_b64 v[3:4], 3, v[3:4]
	v_add_co_u32 v9, vcc_lo, s4, v1
	v_add_co_ci_u32_e64 v10, null, s5, v2, vcc_lo
	v_lshlrev_b64 v[1:2], 3, v[5:6]
	v_ashrrev_i32_e32 v8, 31, v7
	v_add_nc_u32_e32 v5, s15, v7
	v_add_co_u32 v11, vcc_lo, s4, v3
	v_add_co_ci_u32_e64 v12, null, s5, v4, vcc_lo
	v_lshlrev_b64 v[3:4], 3, v[7:8]
	v_ashrrev_i32_e32 v6, 31, v5
	v_add_nc_u32_e32 v7, s15, v5
	;; [unrolled: 5-line block ×34, first 2 shown]
	v_add_co_u32 v77, vcc_lo, s4, v1
	v_add_co_ci_u32_e64 v78, null, s5, v2, vcc_lo
	v_lshlrev_b64 v[1:2], 3, v[5:6]
	v_add_nc_u32_e32 v5, s15, v7
	v_ashrrev_i32_e32 v8, 31, v7
	v_add_co_u32 v79, vcc_lo, s4, v3
	v_add_co_ci_u32_e64 v80, null, s5, v4, vcc_lo
	v_ashrrev_i32_e32 v6, 31, v5
	v_lshlrev_b64 v[3:4], 3, v[7:8]
	v_add_co_u32 v81, vcc_lo, s4, v1
	v_add_co_ci_u32_e64 v82, null, s5, v2, vcc_lo
	v_lshlrev_b64 v[1:2], 3, v[5:6]
	v_add_nc_u32_e32 v5, s15, v5
	v_add_co_u32 v83, vcc_lo, s4, v3
	v_add_co_ci_u32_e64 v84, null, s5, v4, vcc_lo
	v_ashrrev_i32_e32 v6, 31, v5
	v_add_nc_u32_e32 v4, s15, v5
	v_add_co_u32 v85, vcc_lo, s4, v1
	v_add_co_ci_u32_e64 v86, null, s5, v2, vcc_lo
	v_lshlrev_b64 v[1:2], 3, v[5:6]
	v_add_nc_u32_e32 v6, s15, v4
	v_lshlrev_b32_e32 v3, 3, v0
	v_ashrrev_i32_e32 v5, 31, v4
	s_mov_b32 s12, s15
	global_load_dwordx2 v[109:110], v[9:10], off
	v_add_nc_u32_e32 v97, s15, v6
	v_add_co_u32 v91, s9, s4, v3
	v_ashrrev_i32_e32 v7, 31, v6
	v_add_co_ci_u32_e64 v92, null, s5, 0, s9
	v_add_nc_u32_e32 v99, s15, v97
	v_ashrrev_i32_e32 v98, 31, v97
	s_lshl_b64 s[12:13], s[12:13], 3
	v_lshlrev_b64 v[4:5], 3, v[4:5]
	v_add_co_u32 v93, vcc_lo, v91, s12
	v_add_nc_u32_e32 v101, s15, v99
	v_ashrrev_i32_e32 v100, 31, v99
	v_lshlrev_b64 v[6:7], 3, v[6:7]
	v_add_co_ci_u32_e64 v94, null, s13, v92, vcc_lo
	v_add_nc_u32_e32 v103, s15, v101
	v_ashrrev_i32_e32 v102, 31, v101
	v_add_co_u32 v87, vcc_lo, s4, v1
	v_lshlrev_b64 v[97:98], 3, v[97:98]
	v_add_nc_u32_e32 v105, s15, v103
	v_ashrrev_i32_e32 v104, 31, v103
	v_add_co_ci_u32_e64 v88, null, s5, v2, vcc_lo
	v_add_co_u32 v89, vcc_lo, s4, v4
	v_lshlrev_b64 v[99:100], 3, v[99:100]
	v_ashrrev_i32_e32 v106, 31, v105
	v_add_co_ci_u32_e64 v90, null, s5, v5, vcc_lo
	v_add_co_u32 v95, vcc_lo, s4, v6
	v_lshlrev_b64 v[101:102], 3, v[101:102]
	v_add_co_ci_u32_e64 v96, null, s5, v7, vcc_lo
	v_add_co_u32 v97, vcc_lo, s4, v97
	v_lshlrev_b64 v[103:104], 3, v[103:104]
	;; [unrolled: 3-line block ×3, first 2 shown]
	v_add_co_ci_u32_e64 v100, null, s5, v100, vcc_lo
	v_add_co_u32 v101, vcc_lo, s4, v101
	v_add_co_ci_u32_e64 v102, null, s5, v102, vcc_lo
	v_add_co_u32 v103, vcc_lo, s4, v103
	;; [unrolled: 2-line block ×3, first 2 shown]
	v_add_co_ci_u32_e64 v106, null, s5, v106, vcc_lo
	s_clause 0x2f
	global_load_dwordx2 v[1:2], v3, s[4:5]
	global_load_dwordx2 v[107:108], v[93:94], off
	global_load_dwordx2 v[111:112], v[11:12], off
	;; [unrolled: 1-line block ×47, first 2 shown]
	s_mov_b32 s5, -1
	s_bitcmp0_b32 s8, 0
	s_waitcnt vmcnt(47)
	buffer_store_dword v2, off, s[0:3], 0 offset:4
	buffer_store_dword v1, off, s[0:3], 0
	s_waitcnt vmcnt(46)
	buffer_store_dword v108, off, s[0:3], 0 offset:12
	buffer_store_dword v107, off, s[0:3], 0 offset:8
	buffer_store_dword v110, off, s[0:3], 0 offset:20
	buffer_store_dword v109, off, s[0:3], 0 offset:16
	s_waitcnt vmcnt(45)
	buffer_store_dword v112, off, s[0:3], 0 offset:28
	buffer_store_dword v111, off, s[0:3], 0 offset:24
	s_waitcnt vmcnt(44)
	buffer_store_dword v114, off, s[0:3], 0 offset:36
	buffer_store_dword v113, off, s[0:3], 0 offset:32
	;; [unrolled: 3-line block ×46, first 2 shown]
	s_cbranch_scc1 .LBB48_208
; %bb.4:
	v_cmp_eq_u32_e64 s4, 0, v0
	s_and_saveexec_b32 s5, s4
; %bb.5:
	v_mov_b32_e32 v1, 0
	ds_write_b32 v1, v1 offset:392
; %bb.6:
	s_or_b32 exec_lo, exec_lo, s5
	v_lshl_add_u32 v5, v0, 3, 0
	s_waitcnt lgkmcnt(0)
	s_waitcnt_vscnt null, 0x0
	s_barrier
	buffer_gl0_inv
	s_clause 0x1
	buffer_load_dword v1, v5, s[0:3], 0 offen
	buffer_load_dword v2, v5, s[0:3], 0 offen offset:4
	s_waitcnt vmcnt(1)
	v_cmp_eq_f32_e32 vcc_lo, 0, v1
	s_waitcnt vmcnt(0)
	v_cmp_eq_f32_e64 s5, 0, v2
	s_and_b32 s5, vcc_lo, s5
	s_and_saveexec_b32 s8, s5
	s_cbranch_execz .LBB48_10
; %bb.7:
	v_mov_b32_e32 v1, 0
	s_mov_b32 s9, 0
	ds_read_b32 v2, v1 offset:392
	s_waitcnt lgkmcnt(0)
	v_readfirstlane_b32 s5, v2
	v_add_nc_u32_e32 v2, 1, v0
	s_cmp_eq_u32 s5, 0
	v_cmp_gt_i32_e32 vcc_lo, s5, v2
	s_cselect_b32 s12, -1, 0
	s_or_b32 s12, s12, vcc_lo
	s_and_b32 exec_lo, exec_lo, s12
	s_cbranch_execz .LBB48_10
; %bb.8:
	v_mov_b32_e32 v4, s5
.LBB48_9:                               ; =>This Inner Loop Header: Depth=1
	ds_cmpst_rtn_b32 v4, v1, v4, v2 offset:392
	s_waitcnt lgkmcnt(0)
	v_cmp_ne_u32_e32 vcc_lo, 0, v4
	v_cmp_le_i32_e64 s5, v4, v2
	s_and_b32 s5, vcc_lo, s5
	s_and_b32 s5, exec_lo, s5
	s_or_b32 s9, s5, s9
	s_andn2_b32 exec_lo, exec_lo, s9
	s_cbranch_execnz .LBB48_9
.LBB48_10:
	s_or_b32 exec_lo, exec_lo, s8
	v_mov_b32_e32 v1, 0
	s_barrier
	buffer_gl0_inv
	ds_read_b32 v2, v1 offset:392
	s_and_saveexec_b32 s5, s4
	s_cbranch_execz .LBB48_12
; %bb.11:
	s_lshl_b64 s[8:9], s[6:7], 2
	s_add_u32 s8, s10, s8
	s_addc_u32 s9, s11, s9
	s_waitcnt lgkmcnt(0)
	global_store_dword v1, v2, s[8:9]
.LBB48_12:
	s_or_b32 exec_lo, exec_lo, s5
	s_waitcnt lgkmcnt(0)
	v_cmp_ne_u32_e32 vcc_lo, 0, v2
	s_mov_b32 s5, 0
	s_cbranch_vccnz .LBB48_208
; %bb.13:
	s_clause 0x1
	buffer_load_dword v2, v5, s[0:3], 0 offen
	buffer_load_dword v4, v5, s[0:3], 0 offen offset:4
                                        ; implicit-def: $vgpr7
                                        ; implicit-def: $vgpr6
                                        ; implicit-def: $vgpr1
	s_waitcnt vmcnt(0)
	v_cmp_ngt_f32_e64 s5, |v2|, |v4|
	s_and_saveexec_b32 s8, s5
	s_xor_b32 s5, exec_lo, s8
	s_cbranch_execz .LBB48_15
; %bb.14:
	v_div_scale_f32 v1, null, v4, v4, v2
	v_div_scale_f32 v8, vcc_lo, v2, v4, v2
	v_rcp_f32_e32 v6, v1
	v_fma_f32 v7, -v1, v6, 1.0
	v_fmac_f32_e32 v6, v7, v6
	v_mul_f32_e32 v7, v8, v6
	v_fma_f32 v107, -v1, v7, v8
	v_fmac_f32_e32 v7, v107, v6
	v_fma_f32 v1, -v1, v7, v8
	v_div_fmas_f32 v1, v1, v6, v7
	v_div_fixup_f32 v1, v1, v4, v2
	v_fmac_f32_e32 v4, v2, v1
	v_div_scale_f32 v2, null, v4, v4, 1.0
	v_rcp_f32_e32 v6, v2
	v_fma_f32 v7, -v2, v6, 1.0
	v_fmac_f32_e32 v6, v7, v6
	v_div_scale_f32 v7, vcc_lo, 1.0, v4, 1.0
	v_mul_f32_e32 v8, v7, v6
	v_fma_f32 v107, -v2, v8, v7
	v_fmac_f32_e32 v8, v107, v6
	v_fma_f32 v2, -v2, v8, v7
	v_div_fmas_f32 v2, v2, v6, v8
	v_div_fixup_f32 v2, v2, v4, 1.0
                                        ; implicit-def: $vgpr4
	v_mul_f32_e32 v7, v1, v2
	v_xor_b32_e32 v6, 0x80000000, v2
                                        ; implicit-def: $vgpr2
	v_xor_b32_e32 v1, 0x80000000, v7
.LBB48_15:
	s_andn2_saveexec_b32 s5, s5
	s_cbranch_execz .LBB48_17
; %bb.16:
	v_div_scale_f32 v1, null, v2, v2, v4
	v_div_scale_f32 v8, vcc_lo, v4, v2, v4
	v_rcp_f32_e32 v6, v1
	v_fma_f32 v7, -v1, v6, 1.0
	v_fmac_f32_e32 v6, v7, v6
	v_mul_f32_e32 v7, v8, v6
	v_fma_f32 v107, -v1, v7, v8
	v_fmac_f32_e32 v7, v107, v6
	v_fma_f32 v1, -v1, v7, v8
	v_div_fmas_f32 v1, v1, v6, v7
	v_div_fixup_f32 v6, v1, v2, v4
	v_fmac_f32_e32 v2, v4, v6
	v_div_scale_f32 v1, null, v2, v2, 1.0
	v_div_scale_f32 v8, vcc_lo, 1.0, v2, 1.0
	v_rcp_f32_e32 v4, v1
	v_fma_f32 v7, -v1, v4, 1.0
	v_fmac_f32_e32 v4, v7, v4
	v_mul_f32_e32 v7, v8, v4
	v_fma_f32 v107, -v1, v7, v8
	v_fmac_f32_e32 v7, v107, v4
	v_fma_f32 v1, -v1, v7, v8
	v_div_fmas_f32 v1, v1, v4, v7
	v_div_fixup_f32 v7, v1, v2, 1.0
	v_xor_b32_e32 v1, 0x80000000, v7
	v_mul_f32_e64 v6, v6, -v7
.LBB48_17:
	s_or_b32 exec_lo, exec_lo, s5
	buffer_store_dword v7, v5, s[0:3], 0 offen
	buffer_store_dword v6, v5, s[0:3], 0 offen offset:4
	s_clause 0x1
	buffer_load_dword v8, off, s[0:3], 0 offset:12
	buffer_load_dword v7, off, s[0:3], 0 offset:8
	v_xor_b32_e32 v2, 0x80000000, v6
	v_add_nc_u32_e32 v4, 0x190, v3
	s_waitcnt vmcnt(0)
	ds_write2_b64 v3, v[1:2], v[7:8] offset1:50
	s_waitcnt lgkmcnt(0)
	s_waitcnt_vscnt null, 0x0
	s_barrier
	buffer_gl0_inv
	s_and_saveexec_b32 s5, s4
	s_cbranch_execz .LBB48_19
; %bb.18:
	s_clause 0x1
	buffer_load_dword v8, v5, s[0:3], 0 offen offset:4
	buffer_load_dword v107, v5, s[0:3], 0 offen
	ds_read_b64 v[1:2], v4
	v_mov_b32_e32 v6, 0
	ds_read_b64 v[6:7], v6 offset:8
	s_waitcnt vmcnt(1) lgkmcnt(1)
	v_mul_f32_e32 v108, v1, v8
	v_mul_f32_e32 v8, v2, v8
	s_waitcnt vmcnt(0)
	v_fmac_f32_e32 v108, v2, v107
	v_fma_f32 v1, v1, v107, -v8
	v_add_f32_e32 v2, 0, v108
	v_add_f32_e32 v1, 0, v1
	s_waitcnt lgkmcnt(0)
	v_mul_f32_e32 v8, v2, v7
	v_mul_f32_e32 v7, v1, v7
	v_fma_f32 v1, v1, v6, -v8
	v_fmac_f32_e32 v7, v2, v6
	buffer_store_dword v1, off, s[0:3], 0 offset:8
	buffer_store_dword v7, off, s[0:3], 0 offset:12
.LBB48_19:
	s_or_b32 exec_lo, exec_lo, s5
	s_waitcnt_vscnt null, 0x0
	s_barrier
	buffer_gl0_inv
	s_clause 0x1
	buffer_load_dword v1, off, s[0:3], 0 offset:16
	buffer_load_dword v2, off, s[0:3], 0 offset:20
	s_mov_b32 s5, exec_lo
	s_waitcnt vmcnt(0)
	ds_write_b64 v4, v[1:2]
	s_waitcnt lgkmcnt(0)
	s_barrier
	buffer_gl0_inv
	v_cmpx_gt_u32_e32 2, v0
	s_cbranch_execz .LBB48_23
; %bb.20:
	s_clause 0x1
	buffer_load_dword v6, v5, s[0:3], 0 offen offset:4
	buffer_load_dword v5, v5, s[0:3], 0 offen
	ds_read_b64 v[1:2], v4
	s_waitcnt vmcnt(1) lgkmcnt(0)
	v_mul_f32_e32 v7, v2, v6
	v_mul_f32_e32 v6, v1, v6
	s_waitcnt vmcnt(0)
	v_fma_f32 v1, v1, v5, -v7
	v_fmac_f32_e32 v6, v2, v5
	v_add_f32_e32 v2, 0, v1
	v_add_f32_e32 v1, 0, v6
	s_and_saveexec_b32 s8, s4
	s_cbranch_execz .LBB48_22
; %bb.21:
	s_clause 0x1
	buffer_load_dword v7, off, s[0:3], 0 offset:12
	buffer_load_dword v8, off, s[0:3], 0 offset:8
	v_mov_b32_e32 v5, 0
	ds_read_b64 v[5:6], v5 offset:408
	s_waitcnt vmcnt(1) lgkmcnt(0)
	v_mul_f32_e32 v107, v5, v7
	v_mul_f32_e32 v7, v6, v7
	s_waitcnt vmcnt(0)
	v_fmac_f32_e32 v107, v6, v8
	v_fma_f32 v5, v5, v8, -v7
	v_add_f32_e32 v1, v1, v107
	v_add_f32_e32 v2, v2, v5
.LBB48_22:
	s_or_b32 exec_lo, exec_lo, s8
	v_mov_b32_e32 v5, 0
	ds_read_b64 v[5:6], v5 offset:16
	s_waitcnt lgkmcnt(0)
	v_mul_f32_e32 v7, v1, v6
	v_mul_f32_e32 v6, v2, v6
	v_fma_f32 v2, v2, v5, -v7
	v_fmac_f32_e32 v6, v1, v5
	buffer_store_dword v2, off, s[0:3], 0 offset:16
	buffer_store_dword v6, off, s[0:3], 0 offset:20
.LBB48_23:
	s_or_b32 exec_lo, exec_lo, s5
	s_waitcnt_vscnt null, 0x0
	s_barrier
	buffer_gl0_inv
	s_clause 0x1
	buffer_load_dword v5, off, s[0:3], 0 offset:24
	buffer_load_dword v6, off, s[0:3], 0 offset:28
	v_add_nc_u32_e32 v1, -1, v0
	s_mov_b32 s4, exec_lo
	s_waitcnt vmcnt(0)
	ds_write_b64 v4, v[5:6]
	s_waitcnt lgkmcnt(0)
	s_barrier
	buffer_gl0_inv
	v_cmpx_gt_u32_e32 3, v0
	s_cbranch_execz .LBB48_27
; %bb.24:
	v_add_nc_u32_e32 v5, -1, v0
	v_add_nc_u32_e32 v6, 0x190, v3
	v_mov_b32_e32 v7, v3
	v_mov_b32_e32 v2, 0
	;; [unrolled: 1-line block ×3, first 2 shown]
	s_mov_b32 s5, 0
	.p2align	6
.LBB48_25:                              ; =>This Inner Loop Header: Depth=1
	s_clause 0x1
	buffer_load_dword v109, v7, s[0:3], 0 offen offset:4
	buffer_load_dword v110, v7, s[0:3], 0 offen
	ds_read_b64 v[107:108], v6
	v_add_nc_u32_e32 v5, 1, v5
	v_add_nc_u32_e32 v6, 8, v6
	;; [unrolled: 1-line block ×3, first 2 shown]
	v_cmp_lt_u32_e32 vcc_lo, 1, v5
	s_or_b32 s5, vcc_lo, s5
	s_waitcnt vmcnt(1) lgkmcnt(0)
	v_mul_f32_e32 v111, v108, v109
	v_mul_f32_e32 v109, v107, v109
	s_waitcnt vmcnt(0)
	v_fma_f32 v107, v107, v110, -v111
	v_fmac_f32_e32 v109, v108, v110
	v_add_f32_e32 v8, v8, v107
	v_add_f32_e32 v2, v2, v109
	s_andn2_b32 exec_lo, exec_lo, s5
	s_cbranch_execnz .LBB48_25
; %bb.26:
	s_or_b32 exec_lo, exec_lo, s5
	v_mov_b32_e32 v5, 0
	ds_read_b64 v[5:6], v5 offset:24
	s_waitcnt lgkmcnt(0)
	v_mul_f32_e32 v7, v2, v6
	v_mul_f32_e32 v6, v8, v6
	v_fma_f32 v7, v8, v5, -v7
	v_fmac_f32_e32 v6, v2, v5
	buffer_store_dword v7, off, s[0:3], 0 offset:24
	buffer_store_dword v6, off, s[0:3], 0 offset:28
.LBB48_27:
	s_or_b32 exec_lo, exec_lo, s4
	s_waitcnt_vscnt null, 0x0
	s_barrier
	buffer_gl0_inv
	s_clause 0x1
	buffer_load_dword v5, off, s[0:3], 0 offset:32
	buffer_load_dword v6, off, s[0:3], 0 offset:36
	s_mov_b32 s4, exec_lo
	s_waitcnt vmcnt(0)
	ds_write_b64 v4, v[5:6]
	s_waitcnt lgkmcnt(0)
	s_barrier
	buffer_gl0_inv
	v_cmpx_gt_u32_e32 4, v0
	s_cbranch_execz .LBB48_31
; %bb.28:
	v_add_nc_u32_e32 v5, -1, v0
	v_add_nc_u32_e32 v6, 0x190, v3
	v_mov_b32_e32 v7, v3
	v_mov_b32_e32 v2, 0
	;; [unrolled: 1-line block ×3, first 2 shown]
	s_mov_b32 s5, 0
	.p2align	6
.LBB48_29:                              ; =>This Inner Loop Header: Depth=1
	s_clause 0x1
	buffer_load_dword v109, v7, s[0:3], 0 offen offset:4
	buffer_load_dword v110, v7, s[0:3], 0 offen
	ds_read_b64 v[107:108], v6
	v_add_nc_u32_e32 v5, 1, v5
	v_add_nc_u32_e32 v6, 8, v6
	;; [unrolled: 1-line block ×3, first 2 shown]
	v_cmp_lt_u32_e32 vcc_lo, 2, v5
	s_or_b32 s5, vcc_lo, s5
	s_waitcnt vmcnt(1) lgkmcnt(0)
	v_mul_f32_e32 v111, v108, v109
	v_mul_f32_e32 v109, v107, v109
	s_waitcnt vmcnt(0)
	v_fma_f32 v107, v107, v110, -v111
	v_fmac_f32_e32 v109, v108, v110
	v_add_f32_e32 v8, v8, v107
	v_add_f32_e32 v2, v2, v109
	s_andn2_b32 exec_lo, exec_lo, s5
	s_cbranch_execnz .LBB48_29
; %bb.30:
	s_or_b32 exec_lo, exec_lo, s5
	v_mov_b32_e32 v5, 0
	ds_read_b64 v[5:6], v5 offset:32
	s_waitcnt lgkmcnt(0)
	v_mul_f32_e32 v7, v2, v6
	v_mul_f32_e32 v6, v8, v6
	v_fma_f32 v7, v8, v5, -v7
	v_fmac_f32_e32 v6, v2, v5
	buffer_store_dword v7, off, s[0:3], 0 offset:32
	buffer_store_dword v6, off, s[0:3], 0 offset:36
.LBB48_31:
	s_or_b32 exec_lo, exec_lo, s4
	s_waitcnt_vscnt null, 0x0
	s_barrier
	buffer_gl0_inv
	s_clause 0x1
	buffer_load_dword v5, off, s[0:3], 0 offset:40
	buffer_load_dword v6, off, s[0:3], 0 offset:44
	s_mov_b32 s4, exec_lo
	s_waitcnt vmcnt(0)
	ds_write_b64 v4, v[5:6]
	s_waitcnt lgkmcnt(0)
	s_barrier
	buffer_gl0_inv
	v_cmpx_gt_u32_e32 5, v0
	s_cbranch_execz .LBB48_35
; %bb.32:
	v_add_nc_u32_e32 v5, -1, v0
	v_add_nc_u32_e32 v6, 0x190, v3
	v_mov_b32_e32 v7, v3
	v_mov_b32_e32 v2, 0
	;; [unrolled: 1-line block ×3, first 2 shown]
	s_mov_b32 s5, 0
	.p2align	6
.LBB48_33:                              ; =>This Inner Loop Header: Depth=1
	s_clause 0x1
	buffer_load_dword v109, v7, s[0:3], 0 offen offset:4
	buffer_load_dword v110, v7, s[0:3], 0 offen
	ds_read_b64 v[107:108], v6
	v_add_nc_u32_e32 v5, 1, v5
	v_add_nc_u32_e32 v6, 8, v6
	v_add_nc_u32_e32 v7, 8, v7
	v_cmp_lt_u32_e32 vcc_lo, 3, v5
	s_or_b32 s5, vcc_lo, s5
	s_waitcnt vmcnt(1) lgkmcnt(0)
	v_mul_f32_e32 v111, v108, v109
	v_mul_f32_e32 v109, v107, v109
	s_waitcnt vmcnt(0)
	v_fma_f32 v107, v107, v110, -v111
	v_fmac_f32_e32 v109, v108, v110
	v_add_f32_e32 v8, v8, v107
	v_add_f32_e32 v2, v2, v109
	s_andn2_b32 exec_lo, exec_lo, s5
	s_cbranch_execnz .LBB48_33
; %bb.34:
	s_or_b32 exec_lo, exec_lo, s5
	v_mov_b32_e32 v5, 0
	ds_read_b64 v[5:6], v5 offset:40
	s_waitcnt lgkmcnt(0)
	v_mul_f32_e32 v7, v2, v6
	v_mul_f32_e32 v6, v8, v6
	v_fma_f32 v7, v8, v5, -v7
	v_fmac_f32_e32 v6, v2, v5
	buffer_store_dword v7, off, s[0:3], 0 offset:40
	buffer_store_dword v6, off, s[0:3], 0 offset:44
.LBB48_35:
	s_or_b32 exec_lo, exec_lo, s4
	s_waitcnt_vscnt null, 0x0
	s_barrier
	buffer_gl0_inv
	s_clause 0x1
	buffer_load_dword v5, off, s[0:3], 0 offset:48
	buffer_load_dword v6, off, s[0:3], 0 offset:52
	s_mov_b32 s4, exec_lo
	s_waitcnt vmcnt(0)
	ds_write_b64 v4, v[5:6]
	s_waitcnt lgkmcnt(0)
	s_barrier
	buffer_gl0_inv
	v_cmpx_gt_u32_e32 6, v0
	s_cbranch_execz .LBB48_39
; %bb.36:
	v_add_nc_u32_e32 v5, -1, v0
	v_add_nc_u32_e32 v6, 0x190, v3
	v_mov_b32_e32 v7, v3
	v_mov_b32_e32 v2, 0
	;; [unrolled: 1-line block ×3, first 2 shown]
	s_mov_b32 s5, 0
	.p2align	6
.LBB48_37:                              ; =>This Inner Loop Header: Depth=1
	s_clause 0x1
	buffer_load_dword v109, v7, s[0:3], 0 offen offset:4
	buffer_load_dword v110, v7, s[0:3], 0 offen
	ds_read_b64 v[107:108], v6
	v_add_nc_u32_e32 v5, 1, v5
	v_add_nc_u32_e32 v6, 8, v6
	;; [unrolled: 1-line block ×3, first 2 shown]
	v_cmp_lt_u32_e32 vcc_lo, 4, v5
	s_or_b32 s5, vcc_lo, s5
	s_waitcnt vmcnt(1) lgkmcnt(0)
	v_mul_f32_e32 v111, v108, v109
	v_mul_f32_e32 v109, v107, v109
	s_waitcnt vmcnt(0)
	v_fma_f32 v107, v107, v110, -v111
	v_fmac_f32_e32 v109, v108, v110
	v_add_f32_e32 v8, v8, v107
	v_add_f32_e32 v2, v2, v109
	s_andn2_b32 exec_lo, exec_lo, s5
	s_cbranch_execnz .LBB48_37
; %bb.38:
	s_or_b32 exec_lo, exec_lo, s5
	v_mov_b32_e32 v5, 0
	ds_read_b64 v[5:6], v5 offset:48
	s_waitcnt lgkmcnt(0)
	v_mul_f32_e32 v7, v2, v6
	v_mul_f32_e32 v6, v8, v6
	v_fma_f32 v7, v8, v5, -v7
	v_fmac_f32_e32 v6, v2, v5
	buffer_store_dword v7, off, s[0:3], 0 offset:48
	buffer_store_dword v6, off, s[0:3], 0 offset:52
.LBB48_39:
	s_or_b32 exec_lo, exec_lo, s4
	s_waitcnt_vscnt null, 0x0
	s_barrier
	buffer_gl0_inv
	s_clause 0x1
	buffer_load_dword v5, off, s[0:3], 0 offset:56
	buffer_load_dword v6, off, s[0:3], 0 offset:60
	s_mov_b32 s4, exec_lo
	s_waitcnt vmcnt(0)
	ds_write_b64 v4, v[5:6]
	s_waitcnt lgkmcnt(0)
	s_barrier
	buffer_gl0_inv
	v_cmpx_gt_u32_e32 7, v0
	s_cbranch_execz .LBB48_43
; %bb.40:
	v_add_nc_u32_e32 v5, -1, v0
	v_add_nc_u32_e32 v6, 0x190, v3
	v_mov_b32_e32 v7, v3
	v_mov_b32_e32 v2, 0
	v_mov_b32_e32 v8, 0
	s_mov_b32 s5, 0
	.p2align	6
.LBB48_41:                              ; =>This Inner Loop Header: Depth=1
	s_clause 0x1
	buffer_load_dword v109, v7, s[0:3], 0 offen offset:4
	buffer_load_dword v110, v7, s[0:3], 0 offen
	ds_read_b64 v[107:108], v6
	v_add_nc_u32_e32 v5, 1, v5
	v_add_nc_u32_e32 v6, 8, v6
	;; [unrolled: 1-line block ×3, first 2 shown]
	v_cmp_lt_u32_e32 vcc_lo, 5, v5
	s_or_b32 s5, vcc_lo, s5
	s_waitcnt vmcnt(1) lgkmcnt(0)
	v_mul_f32_e32 v111, v108, v109
	v_mul_f32_e32 v109, v107, v109
	s_waitcnt vmcnt(0)
	v_fma_f32 v107, v107, v110, -v111
	v_fmac_f32_e32 v109, v108, v110
	v_add_f32_e32 v8, v8, v107
	v_add_f32_e32 v2, v2, v109
	s_andn2_b32 exec_lo, exec_lo, s5
	s_cbranch_execnz .LBB48_41
; %bb.42:
	s_or_b32 exec_lo, exec_lo, s5
	v_mov_b32_e32 v5, 0
	ds_read_b64 v[5:6], v5 offset:56
	s_waitcnt lgkmcnt(0)
	v_mul_f32_e32 v7, v2, v6
	v_mul_f32_e32 v6, v8, v6
	v_fma_f32 v7, v8, v5, -v7
	v_fmac_f32_e32 v6, v2, v5
	buffer_store_dword v7, off, s[0:3], 0 offset:56
	buffer_store_dword v6, off, s[0:3], 0 offset:60
.LBB48_43:
	s_or_b32 exec_lo, exec_lo, s4
	s_waitcnt_vscnt null, 0x0
	s_barrier
	buffer_gl0_inv
	s_clause 0x1
	buffer_load_dword v5, off, s[0:3], 0 offset:64
	buffer_load_dword v6, off, s[0:3], 0 offset:68
	s_mov_b32 s4, exec_lo
	s_waitcnt vmcnt(0)
	ds_write_b64 v4, v[5:6]
	s_waitcnt lgkmcnt(0)
	s_barrier
	buffer_gl0_inv
	v_cmpx_gt_u32_e32 8, v0
	s_cbranch_execz .LBB48_47
; %bb.44:
	v_add_nc_u32_e32 v5, -1, v0
	v_add_nc_u32_e32 v6, 0x190, v3
	v_mov_b32_e32 v7, v3
	v_mov_b32_e32 v2, 0
	;; [unrolled: 1-line block ×3, first 2 shown]
	s_mov_b32 s5, 0
	.p2align	6
.LBB48_45:                              ; =>This Inner Loop Header: Depth=1
	s_clause 0x1
	buffer_load_dword v109, v7, s[0:3], 0 offen offset:4
	buffer_load_dword v110, v7, s[0:3], 0 offen
	ds_read_b64 v[107:108], v6
	v_add_nc_u32_e32 v5, 1, v5
	v_add_nc_u32_e32 v6, 8, v6
	;; [unrolled: 1-line block ×3, first 2 shown]
	v_cmp_lt_u32_e32 vcc_lo, 6, v5
	s_or_b32 s5, vcc_lo, s5
	s_waitcnt vmcnt(1) lgkmcnt(0)
	v_mul_f32_e32 v111, v108, v109
	v_mul_f32_e32 v109, v107, v109
	s_waitcnt vmcnt(0)
	v_fma_f32 v107, v107, v110, -v111
	v_fmac_f32_e32 v109, v108, v110
	v_add_f32_e32 v8, v8, v107
	v_add_f32_e32 v2, v2, v109
	s_andn2_b32 exec_lo, exec_lo, s5
	s_cbranch_execnz .LBB48_45
; %bb.46:
	s_or_b32 exec_lo, exec_lo, s5
	v_mov_b32_e32 v5, 0
	ds_read_b64 v[5:6], v5 offset:64
	s_waitcnt lgkmcnt(0)
	v_mul_f32_e32 v7, v2, v6
	v_mul_f32_e32 v6, v8, v6
	v_fma_f32 v7, v8, v5, -v7
	v_fmac_f32_e32 v6, v2, v5
	buffer_store_dword v7, off, s[0:3], 0 offset:64
	buffer_store_dword v6, off, s[0:3], 0 offset:68
.LBB48_47:
	s_or_b32 exec_lo, exec_lo, s4
	s_waitcnt_vscnt null, 0x0
	s_barrier
	buffer_gl0_inv
	s_clause 0x1
	buffer_load_dword v5, off, s[0:3], 0 offset:72
	buffer_load_dword v6, off, s[0:3], 0 offset:76
	s_mov_b32 s4, exec_lo
	s_waitcnt vmcnt(0)
	ds_write_b64 v4, v[5:6]
	s_waitcnt lgkmcnt(0)
	s_barrier
	buffer_gl0_inv
	v_cmpx_gt_u32_e32 9, v0
	s_cbranch_execz .LBB48_51
; %bb.48:
	v_add_nc_u32_e32 v5, -1, v0
	v_add_nc_u32_e32 v6, 0x190, v3
	v_mov_b32_e32 v7, v3
	v_mov_b32_e32 v2, 0
	;; [unrolled: 1-line block ×3, first 2 shown]
	s_mov_b32 s5, 0
	.p2align	6
.LBB48_49:                              ; =>This Inner Loop Header: Depth=1
	s_clause 0x1
	buffer_load_dword v109, v7, s[0:3], 0 offen offset:4
	buffer_load_dword v110, v7, s[0:3], 0 offen
	ds_read_b64 v[107:108], v6
	v_add_nc_u32_e32 v5, 1, v5
	v_add_nc_u32_e32 v6, 8, v6
	;; [unrolled: 1-line block ×3, first 2 shown]
	v_cmp_lt_u32_e32 vcc_lo, 7, v5
	s_or_b32 s5, vcc_lo, s5
	s_waitcnt vmcnt(1) lgkmcnt(0)
	v_mul_f32_e32 v111, v108, v109
	v_mul_f32_e32 v109, v107, v109
	s_waitcnt vmcnt(0)
	v_fma_f32 v107, v107, v110, -v111
	v_fmac_f32_e32 v109, v108, v110
	v_add_f32_e32 v8, v8, v107
	v_add_f32_e32 v2, v2, v109
	s_andn2_b32 exec_lo, exec_lo, s5
	s_cbranch_execnz .LBB48_49
; %bb.50:
	s_or_b32 exec_lo, exec_lo, s5
	v_mov_b32_e32 v5, 0
	ds_read_b64 v[5:6], v5 offset:72
	s_waitcnt lgkmcnt(0)
	v_mul_f32_e32 v7, v2, v6
	v_mul_f32_e32 v6, v8, v6
	v_fma_f32 v7, v8, v5, -v7
	v_fmac_f32_e32 v6, v2, v5
	buffer_store_dword v7, off, s[0:3], 0 offset:72
	buffer_store_dword v6, off, s[0:3], 0 offset:76
.LBB48_51:
	s_or_b32 exec_lo, exec_lo, s4
	s_waitcnt_vscnt null, 0x0
	s_barrier
	buffer_gl0_inv
	s_clause 0x1
	buffer_load_dword v5, off, s[0:3], 0 offset:80
	buffer_load_dword v6, off, s[0:3], 0 offset:84
	s_mov_b32 s4, exec_lo
	s_waitcnt vmcnt(0)
	ds_write_b64 v4, v[5:6]
	s_waitcnt lgkmcnt(0)
	s_barrier
	buffer_gl0_inv
	v_cmpx_gt_u32_e32 10, v0
	s_cbranch_execz .LBB48_55
; %bb.52:
	v_add_nc_u32_e32 v5, -1, v0
	v_add_nc_u32_e32 v6, 0x190, v3
	v_mov_b32_e32 v7, v3
	v_mov_b32_e32 v2, 0
	;; [unrolled: 1-line block ×3, first 2 shown]
	s_mov_b32 s5, 0
	.p2align	6
.LBB48_53:                              ; =>This Inner Loop Header: Depth=1
	s_clause 0x1
	buffer_load_dword v109, v7, s[0:3], 0 offen offset:4
	buffer_load_dword v110, v7, s[0:3], 0 offen
	ds_read_b64 v[107:108], v6
	v_add_nc_u32_e32 v5, 1, v5
	v_add_nc_u32_e32 v6, 8, v6
	;; [unrolled: 1-line block ×3, first 2 shown]
	v_cmp_lt_u32_e32 vcc_lo, 8, v5
	s_or_b32 s5, vcc_lo, s5
	s_waitcnt vmcnt(1) lgkmcnt(0)
	v_mul_f32_e32 v111, v108, v109
	v_mul_f32_e32 v109, v107, v109
	s_waitcnt vmcnt(0)
	v_fma_f32 v107, v107, v110, -v111
	v_fmac_f32_e32 v109, v108, v110
	v_add_f32_e32 v8, v8, v107
	v_add_f32_e32 v2, v2, v109
	s_andn2_b32 exec_lo, exec_lo, s5
	s_cbranch_execnz .LBB48_53
; %bb.54:
	s_or_b32 exec_lo, exec_lo, s5
	v_mov_b32_e32 v5, 0
	ds_read_b64 v[5:6], v5 offset:80
	s_waitcnt lgkmcnt(0)
	v_mul_f32_e32 v7, v2, v6
	v_mul_f32_e32 v6, v8, v6
	v_fma_f32 v7, v8, v5, -v7
	v_fmac_f32_e32 v6, v2, v5
	buffer_store_dword v7, off, s[0:3], 0 offset:80
	buffer_store_dword v6, off, s[0:3], 0 offset:84
.LBB48_55:
	s_or_b32 exec_lo, exec_lo, s4
	s_waitcnt_vscnt null, 0x0
	s_barrier
	buffer_gl0_inv
	s_clause 0x1
	buffer_load_dword v5, off, s[0:3], 0 offset:88
	buffer_load_dword v6, off, s[0:3], 0 offset:92
	s_mov_b32 s4, exec_lo
	s_waitcnt vmcnt(0)
	ds_write_b64 v4, v[5:6]
	s_waitcnt lgkmcnt(0)
	s_barrier
	buffer_gl0_inv
	v_cmpx_gt_u32_e32 11, v0
	s_cbranch_execz .LBB48_59
; %bb.56:
	v_add_nc_u32_e32 v5, -1, v0
	v_add_nc_u32_e32 v6, 0x190, v3
	v_mov_b32_e32 v7, v3
	v_mov_b32_e32 v2, 0
	;; [unrolled: 1-line block ×3, first 2 shown]
	s_mov_b32 s5, 0
	.p2align	6
.LBB48_57:                              ; =>This Inner Loop Header: Depth=1
	s_clause 0x1
	buffer_load_dword v109, v7, s[0:3], 0 offen offset:4
	buffer_load_dword v110, v7, s[0:3], 0 offen
	ds_read_b64 v[107:108], v6
	v_add_nc_u32_e32 v5, 1, v5
	v_add_nc_u32_e32 v6, 8, v6
	;; [unrolled: 1-line block ×3, first 2 shown]
	v_cmp_lt_u32_e32 vcc_lo, 9, v5
	s_or_b32 s5, vcc_lo, s5
	s_waitcnt vmcnt(1) lgkmcnt(0)
	v_mul_f32_e32 v111, v108, v109
	v_mul_f32_e32 v109, v107, v109
	s_waitcnt vmcnt(0)
	v_fma_f32 v107, v107, v110, -v111
	v_fmac_f32_e32 v109, v108, v110
	v_add_f32_e32 v8, v8, v107
	v_add_f32_e32 v2, v2, v109
	s_andn2_b32 exec_lo, exec_lo, s5
	s_cbranch_execnz .LBB48_57
; %bb.58:
	s_or_b32 exec_lo, exec_lo, s5
	v_mov_b32_e32 v5, 0
	ds_read_b64 v[5:6], v5 offset:88
	s_waitcnt lgkmcnt(0)
	v_mul_f32_e32 v7, v2, v6
	v_mul_f32_e32 v6, v8, v6
	v_fma_f32 v7, v8, v5, -v7
	v_fmac_f32_e32 v6, v2, v5
	buffer_store_dword v7, off, s[0:3], 0 offset:88
	buffer_store_dword v6, off, s[0:3], 0 offset:92
.LBB48_59:
	s_or_b32 exec_lo, exec_lo, s4
	s_waitcnt_vscnt null, 0x0
	s_barrier
	buffer_gl0_inv
	s_clause 0x1
	buffer_load_dword v5, off, s[0:3], 0 offset:96
	buffer_load_dword v6, off, s[0:3], 0 offset:100
	s_mov_b32 s4, exec_lo
	s_waitcnt vmcnt(0)
	ds_write_b64 v4, v[5:6]
	s_waitcnt lgkmcnt(0)
	s_barrier
	buffer_gl0_inv
	v_cmpx_gt_u32_e32 12, v0
	s_cbranch_execz .LBB48_63
; %bb.60:
	v_add_nc_u32_e32 v5, -1, v0
	v_add_nc_u32_e32 v6, 0x190, v3
	v_mov_b32_e32 v7, v3
	v_mov_b32_e32 v2, 0
	;; [unrolled: 1-line block ×3, first 2 shown]
	s_mov_b32 s5, 0
	.p2align	6
.LBB48_61:                              ; =>This Inner Loop Header: Depth=1
	s_clause 0x1
	buffer_load_dword v109, v7, s[0:3], 0 offen offset:4
	buffer_load_dword v110, v7, s[0:3], 0 offen
	ds_read_b64 v[107:108], v6
	v_add_nc_u32_e32 v5, 1, v5
	v_add_nc_u32_e32 v6, 8, v6
	;; [unrolled: 1-line block ×3, first 2 shown]
	v_cmp_lt_u32_e32 vcc_lo, 10, v5
	s_or_b32 s5, vcc_lo, s5
	s_waitcnt vmcnt(1) lgkmcnt(0)
	v_mul_f32_e32 v111, v108, v109
	v_mul_f32_e32 v109, v107, v109
	s_waitcnt vmcnt(0)
	v_fma_f32 v107, v107, v110, -v111
	v_fmac_f32_e32 v109, v108, v110
	v_add_f32_e32 v8, v8, v107
	v_add_f32_e32 v2, v2, v109
	s_andn2_b32 exec_lo, exec_lo, s5
	s_cbranch_execnz .LBB48_61
; %bb.62:
	s_or_b32 exec_lo, exec_lo, s5
	v_mov_b32_e32 v5, 0
	ds_read_b64 v[5:6], v5 offset:96
	s_waitcnt lgkmcnt(0)
	v_mul_f32_e32 v7, v2, v6
	v_mul_f32_e32 v6, v8, v6
	v_fma_f32 v7, v8, v5, -v7
	v_fmac_f32_e32 v6, v2, v5
	buffer_store_dword v7, off, s[0:3], 0 offset:96
	buffer_store_dword v6, off, s[0:3], 0 offset:100
.LBB48_63:
	s_or_b32 exec_lo, exec_lo, s4
	s_waitcnt_vscnt null, 0x0
	s_barrier
	buffer_gl0_inv
	s_clause 0x1
	buffer_load_dword v5, off, s[0:3], 0 offset:104
	buffer_load_dword v6, off, s[0:3], 0 offset:108
	s_mov_b32 s4, exec_lo
	s_waitcnt vmcnt(0)
	ds_write_b64 v4, v[5:6]
	s_waitcnt lgkmcnt(0)
	s_barrier
	buffer_gl0_inv
	v_cmpx_gt_u32_e32 13, v0
	s_cbranch_execz .LBB48_67
; %bb.64:
	v_add_nc_u32_e32 v5, -1, v0
	v_add_nc_u32_e32 v6, 0x190, v3
	v_mov_b32_e32 v7, v3
	v_mov_b32_e32 v2, 0
	;; [unrolled: 1-line block ×3, first 2 shown]
	s_mov_b32 s5, 0
	.p2align	6
.LBB48_65:                              ; =>This Inner Loop Header: Depth=1
	s_clause 0x1
	buffer_load_dword v109, v7, s[0:3], 0 offen offset:4
	buffer_load_dword v110, v7, s[0:3], 0 offen
	ds_read_b64 v[107:108], v6
	v_add_nc_u32_e32 v5, 1, v5
	v_add_nc_u32_e32 v6, 8, v6
	;; [unrolled: 1-line block ×3, first 2 shown]
	v_cmp_lt_u32_e32 vcc_lo, 11, v5
	s_or_b32 s5, vcc_lo, s5
	s_waitcnt vmcnt(1) lgkmcnt(0)
	v_mul_f32_e32 v111, v108, v109
	v_mul_f32_e32 v109, v107, v109
	s_waitcnt vmcnt(0)
	v_fma_f32 v107, v107, v110, -v111
	v_fmac_f32_e32 v109, v108, v110
	v_add_f32_e32 v8, v8, v107
	v_add_f32_e32 v2, v2, v109
	s_andn2_b32 exec_lo, exec_lo, s5
	s_cbranch_execnz .LBB48_65
; %bb.66:
	s_or_b32 exec_lo, exec_lo, s5
	v_mov_b32_e32 v5, 0
	ds_read_b64 v[5:6], v5 offset:104
	s_waitcnt lgkmcnt(0)
	v_mul_f32_e32 v7, v2, v6
	v_mul_f32_e32 v6, v8, v6
	v_fma_f32 v7, v8, v5, -v7
	v_fmac_f32_e32 v6, v2, v5
	buffer_store_dword v7, off, s[0:3], 0 offset:104
	buffer_store_dword v6, off, s[0:3], 0 offset:108
.LBB48_67:
	s_or_b32 exec_lo, exec_lo, s4
	s_waitcnt_vscnt null, 0x0
	s_barrier
	buffer_gl0_inv
	s_clause 0x1
	buffer_load_dword v5, off, s[0:3], 0 offset:112
	buffer_load_dword v6, off, s[0:3], 0 offset:116
	s_mov_b32 s4, exec_lo
	s_waitcnt vmcnt(0)
	ds_write_b64 v4, v[5:6]
	s_waitcnt lgkmcnt(0)
	s_barrier
	buffer_gl0_inv
	v_cmpx_gt_u32_e32 14, v0
	s_cbranch_execz .LBB48_71
; %bb.68:
	v_add_nc_u32_e32 v5, -1, v0
	v_add_nc_u32_e32 v6, 0x190, v3
	v_mov_b32_e32 v7, v3
	v_mov_b32_e32 v2, 0
	;; [unrolled: 1-line block ×3, first 2 shown]
	s_mov_b32 s5, 0
	.p2align	6
.LBB48_69:                              ; =>This Inner Loop Header: Depth=1
	s_clause 0x1
	buffer_load_dword v109, v7, s[0:3], 0 offen offset:4
	buffer_load_dword v110, v7, s[0:3], 0 offen
	ds_read_b64 v[107:108], v6
	v_add_nc_u32_e32 v5, 1, v5
	v_add_nc_u32_e32 v6, 8, v6
	;; [unrolled: 1-line block ×3, first 2 shown]
	v_cmp_lt_u32_e32 vcc_lo, 12, v5
	s_or_b32 s5, vcc_lo, s5
	s_waitcnt vmcnt(1) lgkmcnt(0)
	v_mul_f32_e32 v111, v108, v109
	v_mul_f32_e32 v109, v107, v109
	s_waitcnt vmcnt(0)
	v_fma_f32 v107, v107, v110, -v111
	v_fmac_f32_e32 v109, v108, v110
	v_add_f32_e32 v8, v8, v107
	v_add_f32_e32 v2, v2, v109
	s_andn2_b32 exec_lo, exec_lo, s5
	s_cbranch_execnz .LBB48_69
; %bb.70:
	s_or_b32 exec_lo, exec_lo, s5
	v_mov_b32_e32 v5, 0
	ds_read_b64 v[5:6], v5 offset:112
	s_waitcnt lgkmcnt(0)
	v_mul_f32_e32 v7, v2, v6
	v_mul_f32_e32 v6, v8, v6
	v_fma_f32 v7, v8, v5, -v7
	v_fmac_f32_e32 v6, v2, v5
	buffer_store_dword v7, off, s[0:3], 0 offset:112
	buffer_store_dword v6, off, s[0:3], 0 offset:116
.LBB48_71:
	s_or_b32 exec_lo, exec_lo, s4
	s_waitcnt_vscnt null, 0x0
	s_barrier
	buffer_gl0_inv
	s_clause 0x1
	buffer_load_dword v5, off, s[0:3], 0 offset:120
	buffer_load_dword v6, off, s[0:3], 0 offset:124
	s_mov_b32 s4, exec_lo
	s_waitcnt vmcnt(0)
	ds_write_b64 v4, v[5:6]
	s_waitcnt lgkmcnt(0)
	s_barrier
	buffer_gl0_inv
	v_cmpx_gt_u32_e32 15, v0
	s_cbranch_execz .LBB48_75
; %bb.72:
	v_add_nc_u32_e32 v5, -1, v0
	v_add_nc_u32_e32 v6, 0x190, v3
	v_mov_b32_e32 v7, v3
	v_mov_b32_e32 v2, 0
	;; [unrolled: 1-line block ×3, first 2 shown]
	s_mov_b32 s5, 0
	.p2align	6
.LBB48_73:                              ; =>This Inner Loop Header: Depth=1
	s_clause 0x1
	buffer_load_dword v109, v7, s[0:3], 0 offen offset:4
	buffer_load_dword v110, v7, s[0:3], 0 offen
	ds_read_b64 v[107:108], v6
	v_add_nc_u32_e32 v5, 1, v5
	v_add_nc_u32_e32 v6, 8, v6
	;; [unrolled: 1-line block ×3, first 2 shown]
	v_cmp_lt_u32_e32 vcc_lo, 13, v5
	s_or_b32 s5, vcc_lo, s5
	s_waitcnt vmcnt(1) lgkmcnt(0)
	v_mul_f32_e32 v111, v108, v109
	v_mul_f32_e32 v109, v107, v109
	s_waitcnt vmcnt(0)
	v_fma_f32 v107, v107, v110, -v111
	v_fmac_f32_e32 v109, v108, v110
	v_add_f32_e32 v8, v8, v107
	v_add_f32_e32 v2, v2, v109
	s_andn2_b32 exec_lo, exec_lo, s5
	s_cbranch_execnz .LBB48_73
; %bb.74:
	s_or_b32 exec_lo, exec_lo, s5
	v_mov_b32_e32 v5, 0
	ds_read_b64 v[5:6], v5 offset:120
	s_waitcnt lgkmcnt(0)
	v_mul_f32_e32 v7, v2, v6
	v_mul_f32_e32 v6, v8, v6
	v_fma_f32 v7, v8, v5, -v7
	v_fmac_f32_e32 v6, v2, v5
	buffer_store_dword v7, off, s[0:3], 0 offset:120
	buffer_store_dword v6, off, s[0:3], 0 offset:124
.LBB48_75:
	s_or_b32 exec_lo, exec_lo, s4
	s_waitcnt_vscnt null, 0x0
	s_barrier
	buffer_gl0_inv
	s_clause 0x1
	buffer_load_dword v5, off, s[0:3], 0 offset:128
	buffer_load_dword v6, off, s[0:3], 0 offset:132
	s_mov_b32 s4, exec_lo
	s_waitcnt vmcnt(0)
	ds_write_b64 v4, v[5:6]
	s_waitcnt lgkmcnt(0)
	s_barrier
	buffer_gl0_inv
	v_cmpx_gt_u32_e32 16, v0
	s_cbranch_execz .LBB48_79
; %bb.76:
	v_add_nc_u32_e32 v5, -1, v0
	v_add_nc_u32_e32 v6, 0x190, v3
	v_mov_b32_e32 v7, v3
	v_mov_b32_e32 v2, 0
	;; [unrolled: 1-line block ×3, first 2 shown]
	s_mov_b32 s5, 0
	.p2align	6
.LBB48_77:                              ; =>This Inner Loop Header: Depth=1
	s_clause 0x1
	buffer_load_dword v109, v7, s[0:3], 0 offen offset:4
	buffer_load_dword v110, v7, s[0:3], 0 offen
	ds_read_b64 v[107:108], v6
	v_add_nc_u32_e32 v5, 1, v5
	v_add_nc_u32_e32 v6, 8, v6
	;; [unrolled: 1-line block ×3, first 2 shown]
	v_cmp_lt_u32_e32 vcc_lo, 14, v5
	s_or_b32 s5, vcc_lo, s5
	s_waitcnt vmcnt(1) lgkmcnt(0)
	v_mul_f32_e32 v111, v108, v109
	v_mul_f32_e32 v109, v107, v109
	s_waitcnt vmcnt(0)
	v_fma_f32 v107, v107, v110, -v111
	v_fmac_f32_e32 v109, v108, v110
	v_add_f32_e32 v8, v8, v107
	v_add_f32_e32 v2, v2, v109
	s_andn2_b32 exec_lo, exec_lo, s5
	s_cbranch_execnz .LBB48_77
; %bb.78:
	s_or_b32 exec_lo, exec_lo, s5
	v_mov_b32_e32 v5, 0
	ds_read_b64 v[5:6], v5 offset:128
	s_waitcnt lgkmcnt(0)
	v_mul_f32_e32 v7, v2, v6
	v_mul_f32_e32 v6, v8, v6
	v_fma_f32 v7, v8, v5, -v7
	v_fmac_f32_e32 v6, v2, v5
	buffer_store_dword v7, off, s[0:3], 0 offset:128
	buffer_store_dword v6, off, s[0:3], 0 offset:132
.LBB48_79:
	s_or_b32 exec_lo, exec_lo, s4
	s_waitcnt_vscnt null, 0x0
	s_barrier
	buffer_gl0_inv
	s_clause 0x1
	buffer_load_dword v5, off, s[0:3], 0 offset:136
	buffer_load_dword v6, off, s[0:3], 0 offset:140
	s_mov_b32 s4, exec_lo
	s_waitcnt vmcnt(0)
	ds_write_b64 v4, v[5:6]
	s_waitcnt lgkmcnt(0)
	s_barrier
	buffer_gl0_inv
	v_cmpx_gt_u32_e32 17, v0
	s_cbranch_execz .LBB48_83
; %bb.80:
	v_add_nc_u32_e32 v5, -1, v0
	v_add_nc_u32_e32 v6, 0x190, v3
	v_mov_b32_e32 v7, v3
	v_mov_b32_e32 v2, 0
	v_mov_b32_e32 v8, 0
	s_mov_b32 s5, 0
	.p2align	6
.LBB48_81:                              ; =>This Inner Loop Header: Depth=1
	s_clause 0x1
	buffer_load_dword v109, v7, s[0:3], 0 offen offset:4
	buffer_load_dword v110, v7, s[0:3], 0 offen
	ds_read_b64 v[107:108], v6
	v_add_nc_u32_e32 v5, 1, v5
	v_add_nc_u32_e32 v6, 8, v6
	;; [unrolled: 1-line block ×3, first 2 shown]
	v_cmp_lt_u32_e32 vcc_lo, 15, v5
	s_or_b32 s5, vcc_lo, s5
	s_waitcnt vmcnt(1) lgkmcnt(0)
	v_mul_f32_e32 v111, v108, v109
	v_mul_f32_e32 v109, v107, v109
	s_waitcnt vmcnt(0)
	v_fma_f32 v107, v107, v110, -v111
	v_fmac_f32_e32 v109, v108, v110
	v_add_f32_e32 v8, v8, v107
	v_add_f32_e32 v2, v2, v109
	s_andn2_b32 exec_lo, exec_lo, s5
	s_cbranch_execnz .LBB48_81
; %bb.82:
	s_or_b32 exec_lo, exec_lo, s5
	v_mov_b32_e32 v5, 0
	ds_read_b64 v[5:6], v5 offset:136
	s_waitcnt lgkmcnt(0)
	v_mul_f32_e32 v7, v2, v6
	v_mul_f32_e32 v6, v8, v6
	v_fma_f32 v7, v8, v5, -v7
	v_fmac_f32_e32 v6, v2, v5
	buffer_store_dword v7, off, s[0:3], 0 offset:136
	buffer_store_dword v6, off, s[0:3], 0 offset:140
.LBB48_83:
	s_or_b32 exec_lo, exec_lo, s4
	s_waitcnt_vscnt null, 0x0
	s_barrier
	buffer_gl0_inv
	s_clause 0x1
	buffer_load_dword v5, off, s[0:3], 0 offset:144
	buffer_load_dword v6, off, s[0:3], 0 offset:148
	s_mov_b32 s4, exec_lo
	s_waitcnt vmcnt(0)
	ds_write_b64 v4, v[5:6]
	s_waitcnt lgkmcnt(0)
	s_barrier
	buffer_gl0_inv
	v_cmpx_gt_u32_e32 18, v0
	s_cbranch_execz .LBB48_87
; %bb.84:
	v_add_nc_u32_e32 v5, -1, v0
	v_add_nc_u32_e32 v6, 0x190, v3
	v_mov_b32_e32 v7, v3
	v_mov_b32_e32 v2, 0
	;; [unrolled: 1-line block ×3, first 2 shown]
	s_mov_b32 s5, 0
	.p2align	6
.LBB48_85:                              ; =>This Inner Loop Header: Depth=1
	s_clause 0x1
	buffer_load_dword v109, v7, s[0:3], 0 offen offset:4
	buffer_load_dword v110, v7, s[0:3], 0 offen
	ds_read_b64 v[107:108], v6
	v_add_nc_u32_e32 v5, 1, v5
	v_add_nc_u32_e32 v6, 8, v6
	;; [unrolled: 1-line block ×3, first 2 shown]
	v_cmp_lt_u32_e32 vcc_lo, 16, v5
	s_or_b32 s5, vcc_lo, s5
	s_waitcnt vmcnt(1) lgkmcnt(0)
	v_mul_f32_e32 v111, v108, v109
	v_mul_f32_e32 v109, v107, v109
	s_waitcnt vmcnt(0)
	v_fma_f32 v107, v107, v110, -v111
	v_fmac_f32_e32 v109, v108, v110
	v_add_f32_e32 v8, v8, v107
	v_add_f32_e32 v2, v2, v109
	s_andn2_b32 exec_lo, exec_lo, s5
	s_cbranch_execnz .LBB48_85
; %bb.86:
	s_or_b32 exec_lo, exec_lo, s5
	v_mov_b32_e32 v5, 0
	ds_read_b64 v[5:6], v5 offset:144
	s_waitcnt lgkmcnt(0)
	v_mul_f32_e32 v7, v2, v6
	v_mul_f32_e32 v6, v8, v6
	v_fma_f32 v7, v8, v5, -v7
	v_fmac_f32_e32 v6, v2, v5
	buffer_store_dword v7, off, s[0:3], 0 offset:144
	buffer_store_dword v6, off, s[0:3], 0 offset:148
.LBB48_87:
	s_or_b32 exec_lo, exec_lo, s4
	s_waitcnt_vscnt null, 0x0
	s_barrier
	buffer_gl0_inv
	s_clause 0x1
	buffer_load_dword v5, off, s[0:3], 0 offset:152
	buffer_load_dword v6, off, s[0:3], 0 offset:156
	s_mov_b32 s4, exec_lo
	s_waitcnt vmcnt(0)
	ds_write_b64 v4, v[5:6]
	s_waitcnt lgkmcnt(0)
	s_barrier
	buffer_gl0_inv
	v_cmpx_gt_u32_e32 19, v0
	s_cbranch_execz .LBB48_91
; %bb.88:
	v_add_nc_u32_e32 v5, -1, v0
	v_add_nc_u32_e32 v6, 0x190, v3
	v_mov_b32_e32 v7, v3
	v_mov_b32_e32 v2, 0
	;; [unrolled: 1-line block ×3, first 2 shown]
	s_mov_b32 s5, 0
	.p2align	6
.LBB48_89:                              ; =>This Inner Loop Header: Depth=1
	s_clause 0x1
	buffer_load_dword v109, v7, s[0:3], 0 offen offset:4
	buffer_load_dword v110, v7, s[0:3], 0 offen
	ds_read_b64 v[107:108], v6
	v_add_nc_u32_e32 v5, 1, v5
	v_add_nc_u32_e32 v6, 8, v6
	v_add_nc_u32_e32 v7, 8, v7
	v_cmp_lt_u32_e32 vcc_lo, 17, v5
	s_or_b32 s5, vcc_lo, s5
	s_waitcnt vmcnt(1) lgkmcnt(0)
	v_mul_f32_e32 v111, v108, v109
	v_mul_f32_e32 v109, v107, v109
	s_waitcnt vmcnt(0)
	v_fma_f32 v107, v107, v110, -v111
	v_fmac_f32_e32 v109, v108, v110
	v_add_f32_e32 v8, v8, v107
	v_add_f32_e32 v2, v2, v109
	s_andn2_b32 exec_lo, exec_lo, s5
	s_cbranch_execnz .LBB48_89
; %bb.90:
	s_or_b32 exec_lo, exec_lo, s5
	v_mov_b32_e32 v5, 0
	ds_read_b64 v[5:6], v5 offset:152
	s_waitcnt lgkmcnt(0)
	v_mul_f32_e32 v7, v2, v6
	v_mul_f32_e32 v6, v8, v6
	v_fma_f32 v7, v8, v5, -v7
	v_fmac_f32_e32 v6, v2, v5
	buffer_store_dword v7, off, s[0:3], 0 offset:152
	buffer_store_dword v6, off, s[0:3], 0 offset:156
.LBB48_91:
	s_or_b32 exec_lo, exec_lo, s4
	s_waitcnt_vscnt null, 0x0
	s_barrier
	buffer_gl0_inv
	s_clause 0x1
	buffer_load_dword v5, off, s[0:3], 0 offset:160
	buffer_load_dword v6, off, s[0:3], 0 offset:164
	s_mov_b32 s4, exec_lo
	s_waitcnt vmcnt(0)
	ds_write_b64 v4, v[5:6]
	s_waitcnt lgkmcnt(0)
	s_barrier
	buffer_gl0_inv
	v_cmpx_gt_u32_e32 20, v0
	s_cbranch_execz .LBB48_95
; %bb.92:
	v_add_nc_u32_e32 v5, -1, v0
	v_add_nc_u32_e32 v6, 0x190, v3
	v_mov_b32_e32 v7, v3
	v_mov_b32_e32 v2, 0
	;; [unrolled: 1-line block ×3, first 2 shown]
	s_mov_b32 s5, 0
	.p2align	6
.LBB48_93:                              ; =>This Inner Loop Header: Depth=1
	s_clause 0x1
	buffer_load_dword v109, v7, s[0:3], 0 offen offset:4
	buffer_load_dword v110, v7, s[0:3], 0 offen
	ds_read_b64 v[107:108], v6
	v_add_nc_u32_e32 v5, 1, v5
	v_add_nc_u32_e32 v6, 8, v6
	;; [unrolled: 1-line block ×3, first 2 shown]
	v_cmp_lt_u32_e32 vcc_lo, 18, v5
	s_or_b32 s5, vcc_lo, s5
	s_waitcnt vmcnt(1) lgkmcnt(0)
	v_mul_f32_e32 v111, v108, v109
	v_mul_f32_e32 v109, v107, v109
	s_waitcnt vmcnt(0)
	v_fma_f32 v107, v107, v110, -v111
	v_fmac_f32_e32 v109, v108, v110
	v_add_f32_e32 v8, v8, v107
	v_add_f32_e32 v2, v2, v109
	s_andn2_b32 exec_lo, exec_lo, s5
	s_cbranch_execnz .LBB48_93
; %bb.94:
	s_or_b32 exec_lo, exec_lo, s5
	v_mov_b32_e32 v5, 0
	ds_read_b64 v[5:6], v5 offset:160
	s_waitcnt lgkmcnt(0)
	v_mul_f32_e32 v7, v2, v6
	v_mul_f32_e32 v6, v8, v6
	v_fma_f32 v7, v8, v5, -v7
	v_fmac_f32_e32 v6, v2, v5
	buffer_store_dword v7, off, s[0:3], 0 offset:160
	buffer_store_dword v6, off, s[0:3], 0 offset:164
.LBB48_95:
	s_or_b32 exec_lo, exec_lo, s4
	s_waitcnt_vscnt null, 0x0
	s_barrier
	buffer_gl0_inv
	s_clause 0x1
	buffer_load_dword v5, off, s[0:3], 0 offset:168
	buffer_load_dword v6, off, s[0:3], 0 offset:172
	s_mov_b32 s4, exec_lo
	s_waitcnt vmcnt(0)
	ds_write_b64 v4, v[5:6]
	s_waitcnt lgkmcnt(0)
	s_barrier
	buffer_gl0_inv
	v_cmpx_gt_u32_e32 21, v0
	s_cbranch_execz .LBB48_99
; %bb.96:
	v_add_nc_u32_e32 v5, -1, v0
	v_add_nc_u32_e32 v6, 0x190, v3
	v_mov_b32_e32 v7, v3
	v_mov_b32_e32 v2, 0
	;; [unrolled: 1-line block ×3, first 2 shown]
	s_mov_b32 s5, 0
	.p2align	6
.LBB48_97:                              ; =>This Inner Loop Header: Depth=1
	s_clause 0x1
	buffer_load_dword v109, v7, s[0:3], 0 offen offset:4
	buffer_load_dword v110, v7, s[0:3], 0 offen
	ds_read_b64 v[107:108], v6
	v_add_nc_u32_e32 v5, 1, v5
	v_add_nc_u32_e32 v6, 8, v6
	;; [unrolled: 1-line block ×3, first 2 shown]
	v_cmp_lt_u32_e32 vcc_lo, 19, v5
	s_or_b32 s5, vcc_lo, s5
	s_waitcnt vmcnt(1) lgkmcnt(0)
	v_mul_f32_e32 v111, v108, v109
	v_mul_f32_e32 v109, v107, v109
	s_waitcnt vmcnt(0)
	v_fma_f32 v107, v107, v110, -v111
	v_fmac_f32_e32 v109, v108, v110
	v_add_f32_e32 v8, v8, v107
	v_add_f32_e32 v2, v2, v109
	s_andn2_b32 exec_lo, exec_lo, s5
	s_cbranch_execnz .LBB48_97
; %bb.98:
	s_or_b32 exec_lo, exec_lo, s5
	v_mov_b32_e32 v5, 0
	ds_read_b64 v[5:6], v5 offset:168
	s_waitcnt lgkmcnt(0)
	v_mul_f32_e32 v7, v2, v6
	v_mul_f32_e32 v6, v8, v6
	v_fma_f32 v7, v8, v5, -v7
	v_fmac_f32_e32 v6, v2, v5
	buffer_store_dword v7, off, s[0:3], 0 offset:168
	buffer_store_dword v6, off, s[0:3], 0 offset:172
.LBB48_99:
	s_or_b32 exec_lo, exec_lo, s4
	s_waitcnt_vscnt null, 0x0
	s_barrier
	buffer_gl0_inv
	s_clause 0x1
	buffer_load_dword v5, off, s[0:3], 0 offset:176
	buffer_load_dword v6, off, s[0:3], 0 offset:180
	s_mov_b32 s4, exec_lo
	s_waitcnt vmcnt(0)
	ds_write_b64 v4, v[5:6]
	s_waitcnt lgkmcnt(0)
	s_barrier
	buffer_gl0_inv
	v_cmpx_gt_u32_e32 22, v0
	s_cbranch_execz .LBB48_103
; %bb.100:
	v_add_nc_u32_e32 v5, -1, v0
	v_add_nc_u32_e32 v6, 0x190, v3
	v_mov_b32_e32 v7, v3
	v_mov_b32_e32 v2, 0
	;; [unrolled: 1-line block ×3, first 2 shown]
	s_mov_b32 s5, 0
	.p2align	6
.LBB48_101:                             ; =>This Inner Loop Header: Depth=1
	s_clause 0x1
	buffer_load_dword v109, v7, s[0:3], 0 offen offset:4
	buffer_load_dword v110, v7, s[0:3], 0 offen
	ds_read_b64 v[107:108], v6
	v_add_nc_u32_e32 v5, 1, v5
	v_add_nc_u32_e32 v6, 8, v6
	;; [unrolled: 1-line block ×3, first 2 shown]
	v_cmp_lt_u32_e32 vcc_lo, 20, v5
	s_or_b32 s5, vcc_lo, s5
	s_waitcnt vmcnt(1) lgkmcnt(0)
	v_mul_f32_e32 v111, v108, v109
	v_mul_f32_e32 v109, v107, v109
	s_waitcnt vmcnt(0)
	v_fma_f32 v107, v107, v110, -v111
	v_fmac_f32_e32 v109, v108, v110
	v_add_f32_e32 v8, v8, v107
	v_add_f32_e32 v2, v2, v109
	s_andn2_b32 exec_lo, exec_lo, s5
	s_cbranch_execnz .LBB48_101
; %bb.102:
	s_or_b32 exec_lo, exec_lo, s5
	v_mov_b32_e32 v5, 0
	ds_read_b64 v[5:6], v5 offset:176
	s_waitcnt lgkmcnt(0)
	v_mul_f32_e32 v7, v2, v6
	v_mul_f32_e32 v6, v8, v6
	v_fma_f32 v7, v8, v5, -v7
	v_fmac_f32_e32 v6, v2, v5
	buffer_store_dword v7, off, s[0:3], 0 offset:176
	buffer_store_dword v6, off, s[0:3], 0 offset:180
.LBB48_103:
	s_or_b32 exec_lo, exec_lo, s4
	s_waitcnt_vscnt null, 0x0
	s_barrier
	buffer_gl0_inv
	s_clause 0x1
	buffer_load_dword v5, off, s[0:3], 0 offset:184
	buffer_load_dword v6, off, s[0:3], 0 offset:188
	s_mov_b32 s4, exec_lo
	s_waitcnt vmcnt(0)
	ds_write_b64 v4, v[5:6]
	s_waitcnt lgkmcnt(0)
	s_barrier
	buffer_gl0_inv
	v_cmpx_gt_u32_e32 23, v0
	s_cbranch_execz .LBB48_107
; %bb.104:
	v_add_nc_u32_e32 v5, -1, v0
	v_add_nc_u32_e32 v6, 0x190, v3
	v_mov_b32_e32 v7, v3
	v_mov_b32_e32 v2, 0
	;; [unrolled: 1-line block ×3, first 2 shown]
	s_mov_b32 s5, 0
	.p2align	6
.LBB48_105:                             ; =>This Inner Loop Header: Depth=1
	s_clause 0x1
	buffer_load_dword v109, v7, s[0:3], 0 offen offset:4
	buffer_load_dword v110, v7, s[0:3], 0 offen
	ds_read_b64 v[107:108], v6
	v_add_nc_u32_e32 v5, 1, v5
	v_add_nc_u32_e32 v6, 8, v6
	;; [unrolled: 1-line block ×3, first 2 shown]
	v_cmp_lt_u32_e32 vcc_lo, 21, v5
	s_or_b32 s5, vcc_lo, s5
	s_waitcnt vmcnt(1) lgkmcnt(0)
	v_mul_f32_e32 v111, v108, v109
	v_mul_f32_e32 v109, v107, v109
	s_waitcnt vmcnt(0)
	v_fma_f32 v107, v107, v110, -v111
	v_fmac_f32_e32 v109, v108, v110
	v_add_f32_e32 v8, v8, v107
	v_add_f32_e32 v2, v2, v109
	s_andn2_b32 exec_lo, exec_lo, s5
	s_cbranch_execnz .LBB48_105
; %bb.106:
	s_or_b32 exec_lo, exec_lo, s5
	v_mov_b32_e32 v5, 0
	ds_read_b64 v[5:6], v5 offset:184
	s_waitcnt lgkmcnt(0)
	v_mul_f32_e32 v7, v2, v6
	v_mul_f32_e32 v6, v8, v6
	v_fma_f32 v7, v8, v5, -v7
	v_fmac_f32_e32 v6, v2, v5
	buffer_store_dword v7, off, s[0:3], 0 offset:184
	buffer_store_dword v6, off, s[0:3], 0 offset:188
.LBB48_107:
	s_or_b32 exec_lo, exec_lo, s4
	s_waitcnt_vscnt null, 0x0
	s_barrier
	buffer_gl0_inv
	s_clause 0x1
	buffer_load_dword v5, off, s[0:3], 0 offset:192
	buffer_load_dword v6, off, s[0:3], 0 offset:196
	s_mov_b32 s4, exec_lo
	s_waitcnt vmcnt(0)
	ds_write_b64 v4, v[5:6]
	s_waitcnt lgkmcnt(0)
	s_barrier
	buffer_gl0_inv
	v_cmpx_gt_u32_e32 24, v0
	s_cbranch_execz .LBB48_111
; %bb.108:
	v_add_nc_u32_e32 v5, -1, v0
	v_add_nc_u32_e32 v6, 0x190, v3
	v_mov_b32_e32 v7, v3
	v_mov_b32_e32 v2, 0
	;; [unrolled: 1-line block ×3, first 2 shown]
	s_mov_b32 s5, 0
	.p2align	6
.LBB48_109:                             ; =>This Inner Loop Header: Depth=1
	s_clause 0x1
	buffer_load_dword v109, v7, s[0:3], 0 offen offset:4
	buffer_load_dword v110, v7, s[0:3], 0 offen
	ds_read_b64 v[107:108], v6
	v_add_nc_u32_e32 v5, 1, v5
	v_add_nc_u32_e32 v6, 8, v6
	;; [unrolled: 1-line block ×3, first 2 shown]
	v_cmp_lt_u32_e32 vcc_lo, 22, v5
	s_or_b32 s5, vcc_lo, s5
	s_waitcnt vmcnt(1) lgkmcnt(0)
	v_mul_f32_e32 v111, v108, v109
	v_mul_f32_e32 v109, v107, v109
	s_waitcnt vmcnt(0)
	v_fma_f32 v107, v107, v110, -v111
	v_fmac_f32_e32 v109, v108, v110
	v_add_f32_e32 v8, v8, v107
	v_add_f32_e32 v2, v2, v109
	s_andn2_b32 exec_lo, exec_lo, s5
	s_cbranch_execnz .LBB48_109
; %bb.110:
	s_or_b32 exec_lo, exec_lo, s5
	v_mov_b32_e32 v5, 0
	ds_read_b64 v[5:6], v5 offset:192
	s_waitcnt lgkmcnt(0)
	v_mul_f32_e32 v7, v2, v6
	v_mul_f32_e32 v6, v8, v6
	v_fma_f32 v7, v8, v5, -v7
	v_fmac_f32_e32 v6, v2, v5
	buffer_store_dword v7, off, s[0:3], 0 offset:192
	buffer_store_dword v6, off, s[0:3], 0 offset:196
.LBB48_111:
	s_or_b32 exec_lo, exec_lo, s4
	s_waitcnt_vscnt null, 0x0
	s_barrier
	buffer_gl0_inv
	s_clause 0x1
	buffer_load_dword v5, off, s[0:3], 0 offset:200
	buffer_load_dword v6, off, s[0:3], 0 offset:204
	s_mov_b32 s4, exec_lo
	s_waitcnt vmcnt(0)
	ds_write_b64 v4, v[5:6]
	s_waitcnt lgkmcnt(0)
	s_barrier
	buffer_gl0_inv
	v_cmpx_gt_u32_e32 25, v0
	s_cbranch_execz .LBB48_115
; %bb.112:
	v_add_nc_u32_e32 v5, -1, v0
	v_add_nc_u32_e32 v6, 0x190, v3
	v_mov_b32_e32 v7, v3
	v_mov_b32_e32 v2, 0
	;; [unrolled: 1-line block ×3, first 2 shown]
	s_mov_b32 s5, 0
	.p2align	6
.LBB48_113:                             ; =>This Inner Loop Header: Depth=1
	s_clause 0x1
	buffer_load_dword v109, v7, s[0:3], 0 offen offset:4
	buffer_load_dword v110, v7, s[0:3], 0 offen
	ds_read_b64 v[107:108], v6
	v_add_nc_u32_e32 v5, 1, v5
	v_add_nc_u32_e32 v6, 8, v6
	;; [unrolled: 1-line block ×3, first 2 shown]
	v_cmp_lt_u32_e32 vcc_lo, 23, v5
	s_or_b32 s5, vcc_lo, s5
	s_waitcnt vmcnt(1) lgkmcnt(0)
	v_mul_f32_e32 v111, v108, v109
	v_mul_f32_e32 v109, v107, v109
	s_waitcnt vmcnt(0)
	v_fma_f32 v107, v107, v110, -v111
	v_fmac_f32_e32 v109, v108, v110
	v_add_f32_e32 v8, v8, v107
	v_add_f32_e32 v2, v2, v109
	s_andn2_b32 exec_lo, exec_lo, s5
	s_cbranch_execnz .LBB48_113
; %bb.114:
	s_or_b32 exec_lo, exec_lo, s5
	v_mov_b32_e32 v5, 0
	ds_read_b64 v[5:6], v5 offset:200
	s_waitcnt lgkmcnt(0)
	v_mul_f32_e32 v7, v2, v6
	v_mul_f32_e32 v6, v8, v6
	v_fma_f32 v7, v8, v5, -v7
	v_fmac_f32_e32 v6, v2, v5
	buffer_store_dword v7, off, s[0:3], 0 offset:200
	buffer_store_dword v6, off, s[0:3], 0 offset:204
.LBB48_115:
	s_or_b32 exec_lo, exec_lo, s4
	s_waitcnt_vscnt null, 0x0
	s_barrier
	buffer_gl0_inv
	s_clause 0x1
	buffer_load_dword v5, off, s[0:3], 0 offset:208
	buffer_load_dword v6, off, s[0:3], 0 offset:212
	s_mov_b32 s4, exec_lo
	s_waitcnt vmcnt(0)
	ds_write_b64 v4, v[5:6]
	s_waitcnt lgkmcnt(0)
	s_barrier
	buffer_gl0_inv
	v_cmpx_gt_u32_e32 26, v0
	s_cbranch_execz .LBB48_119
; %bb.116:
	v_add_nc_u32_e32 v5, -1, v0
	v_add_nc_u32_e32 v6, 0x190, v3
	v_mov_b32_e32 v7, v3
	v_mov_b32_e32 v2, 0
	;; [unrolled: 1-line block ×3, first 2 shown]
	s_mov_b32 s5, 0
	.p2align	6
.LBB48_117:                             ; =>This Inner Loop Header: Depth=1
	s_clause 0x1
	buffer_load_dword v109, v7, s[0:3], 0 offen offset:4
	buffer_load_dword v110, v7, s[0:3], 0 offen
	ds_read_b64 v[107:108], v6
	v_add_nc_u32_e32 v5, 1, v5
	v_add_nc_u32_e32 v6, 8, v6
	;; [unrolled: 1-line block ×3, first 2 shown]
	v_cmp_lt_u32_e32 vcc_lo, 24, v5
	s_or_b32 s5, vcc_lo, s5
	s_waitcnt vmcnt(1) lgkmcnt(0)
	v_mul_f32_e32 v111, v108, v109
	v_mul_f32_e32 v109, v107, v109
	s_waitcnt vmcnt(0)
	v_fma_f32 v107, v107, v110, -v111
	v_fmac_f32_e32 v109, v108, v110
	v_add_f32_e32 v8, v8, v107
	v_add_f32_e32 v2, v2, v109
	s_andn2_b32 exec_lo, exec_lo, s5
	s_cbranch_execnz .LBB48_117
; %bb.118:
	s_or_b32 exec_lo, exec_lo, s5
	v_mov_b32_e32 v5, 0
	ds_read_b64 v[5:6], v5 offset:208
	s_waitcnt lgkmcnt(0)
	v_mul_f32_e32 v7, v2, v6
	v_mul_f32_e32 v6, v8, v6
	v_fma_f32 v7, v8, v5, -v7
	v_fmac_f32_e32 v6, v2, v5
	buffer_store_dword v7, off, s[0:3], 0 offset:208
	buffer_store_dword v6, off, s[0:3], 0 offset:212
.LBB48_119:
	s_or_b32 exec_lo, exec_lo, s4
	s_waitcnt_vscnt null, 0x0
	s_barrier
	buffer_gl0_inv
	s_clause 0x1
	buffer_load_dword v5, off, s[0:3], 0 offset:216
	buffer_load_dword v6, off, s[0:3], 0 offset:220
	s_mov_b32 s4, exec_lo
	s_waitcnt vmcnt(0)
	ds_write_b64 v4, v[5:6]
	s_waitcnt lgkmcnt(0)
	s_barrier
	buffer_gl0_inv
	v_cmpx_gt_u32_e32 27, v0
	s_cbranch_execz .LBB48_123
; %bb.120:
	v_add_nc_u32_e32 v5, -1, v0
	v_add_nc_u32_e32 v6, 0x190, v3
	v_mov_b32_e32 v7, v3
	v_mov_b32_e32 v2, 0
	;; [unrolled: 1-line block ×3, first 2 shown]
	s_mov_b32 s5, 0
	.p2align	6
.LBB48_121:                             ; =>This Inner Loop Header: Depth=1
	s_clause 0x1
	buffer_load_dword v109, v7, s[0:3], 0 offen offset:4
	buffer_load_dword v110, v7, s[0:3], 0 offen
	ds_read_b64 v[107:108], v6
	v_add_nc_u32_e32 v5, 1, v5
	v_add_nc_u32_e32 v6, 8, v6
	;; [unrolled: 1-line block ×3, first 2 shown]
	v_cmp_lt_u32_e32 vcc_lo, 25, v5
	s_or_b32 s5, vcc_lo, s5
	s_waitcnt vmcnt(1) lgkmcnt(0)
	v_mul_f32_e32 v111, v108, v109
	v_mul_f32_e32 v109, v107, v109
	s_waitcnt vmcnt(0)
	v_fma_f32 v107, v107, v110, -v111
	v_fmac_f32_e32 v109, v108, v110
	v_add_f32_e32 v8, v8, v107
	v_add_f32_e32 v2, v2, v109
	s_andn2_b32 exec_lo, exec_lo, s5
	s_cbranch_execnz .LBB48_121
; %bb.122:
	s_or_b32 exec_lo, exec_lo, s5
	v_mov_b32_e32 v5, 0
	ds_read_b64 v[5:6], v5 offset:216
	s_waitcnt lgkmcnt(0)
	v_mul_f32_e32 v7, v2, v6
	v_mul_f32_e32 v6, v8, v6
	v_fma_f32 v7, v8, v5, -v7
	v_fmac_f32_e32 v6, v2, v5
	buffer_store_dword v7, off, s[0:3], 0 offset:216
	buffer_store_dword v6, off, s[0:3], 0 offset:220
.LBB48_123:
	s_or_b32 exec_lo, exec_lo, s4
	s_waitcnt_vscnt null, 0x0
	s_barrier
	buffer_gl0_inv
	s_clause 0x1
	buffer_load_dword v5, off, s[0:3], 0 offset:224
	buffer_load_dword v6, off, s[0:3], 0 offset:228
	s_mov_b32 s4, exec_lo
	s_waitcnt vmcnt(0)
	ds_write_b64 v4, v[5:6]
	s_waitcnt lgkmcnt(0)
	s_barrier
	buffer_gl0_inv
	v_cmpx_gt_u32_e32 28, v0
	s_cbranch_execz .LBB48_127
; %bb.124:
	v_add_nc_u32_e32 v5, -1, v0
	v_add_nc_u32_e32 v6, 0x190, v3
	v_mov_b32_e32 v7, v3
	v_mov_b32_e32 v2, 0
	;; [unrolled: 1-line block ×3, first 2 shown]
	s_mov_b32 s5, 0
	.p2align	6
.LBB48_125:                             ; =>This Inner Loop Header: Depth=1
	s_clause 0x1
	buffer_load_dword v109, v7, s[0:3], 0 offen offset:4
	buffer_load_dword v110, v7, s[0:3], 0 offen
	ds_read_b64 v[107:108], v6
	v_add_nc_u32_e32 v5, 1, v5
	v_add_nc_u32_e32 v6, 8, v6
	;; [unrolled: 1-line block ×3, first 2 shown]
	v_cmp_lt_u32_e32 vcc_lo, 26, v5
	s_or_b32 s5, vcc_lo, s5
	s_waitcnt vmcnt(1) lgkmcnt(0)
	v_mul_f32_e32 v111, v108, v109
	v_mul_f32_e32 v109, v107, v109
	s_waitcnt vmcnt(0)
	v_fma_f32 v107, v107, v110, -v111
	v_fmac_f32_e32 v109, v108, v110
	v_add_f32_e32 v8, v8, v107
	v_add_f32_e32 v2, v2, v109
	s_andn2_b32 exec_lo, exec_lo, s5
	s_cbranch_execnz .LBB48_125
; %bb.126:
	s_or_b32 exec_lo, exec_lo, s5
	v_mov_b32_e32 v5, 0
	ds_read_b64 v[5:6], v5 offset:224
	s_waitcnt lgkmcnt(0)
	v_mul_f32_e32 v7, v2, v6
	v_mul_f32_e32 v6, v8, v6
	v_fma_f32 v7, v8, v5, -v7
	v_fmac_f32_e32 v6, v2, v5
	buffer_store_dword v7, off, s[0:3], 0 offset:224
	buffer_store_dword v6, off, s[0:3], 0 offset:228
.LBB48_127:
	s_or_b32 exec_lo, exec_lo, s4
	s_waitcnt_vscnt null, 0x0
	s_barrier
	buffer_gl0_inv
	s_clause 0x1
	buffer_load_dword v5, off, s[0:3], 0 offset:232
	buffer_load_dword v6, off, s[0:3], 0 offset:236
	s_mov_b32 s4, exec_lo
	s_waitcnt vmcnt(0)
	ds_write_b64 v4, v[5:6]
	s_waitcnt lgkmcnt(0)
	s_barrier
	buffer_gl0_inv
	v_cmpx_gt_u32_e32 29, v0
	s_cbranch_execz .LBB48_131
; %bb.128:
	v_add_nc_u32_e32 v5, -1, v0
	v_add_nc_u32_e32 v6, 0x190, v3
	v_mov_b32_e32 v7, v3
	v_mov_b32_e32 v2, 0
	;; [unrolled: 1-line block ×3, first 2 shown]
	s_mov_b32 s5, 0
	.p2align	6
.LBB48_129:                             ; =>This Inner Loop Header: Depth=1
	s_clause 0x1
	buffer_load_dword v109, v7, s[0:3], 0 offen offset:4
	buffer_load_dword v110, v7, s[0:3], 0 offen
	ds_read_b64 v[107:108], v6
	v_add_nc_u32_e32 v5, 1, v5
	v_add_nc_u32_e32 v6, 8, v6
	;; [unrolled: 1-line block ×3, first 2 shown]
	v_cmp_lt_u32_e32 vcc_lo, 27, v5
	s_or_b32 s5, vcc_lo, s5
	s_waitcnt vmcnt(1) lgkmcnt(0)
	v_mul_f32_e32 v111, v108, v109
	v_mul_f32_e32 v109, v107, v109
	s_waitcnt vmcnt(0)
	v_fma_f32 v107, v107, v110, -v111
	v_fmac_f32_e32 v109, v108, v110
	v_add_f32_e32 v8, v8, v107
	v_add_f32_e32 v2, v2, v109
	s_andn2_b32 exec_lo, exec_lo, s5
	s_cbranch_execnz .LBB48_129
; %bb.130:
	s_or_b32 exec_lo, exec_lo, s5
	v_mov_b32_e32 v5, 0
	ds_read_b64 v[5:6], v5 offset:232
	s_waitcnt lgkmcnt(0)
	v_mul_f32_e32 v7, v2, v6
	v_mul_f32_e32 v6, v8, v6
	v_fma_f32 v7, v8, v5, -v7
	v_fmac_f32_e32 v6, v2, v5
	buffer_store_dword v7, off, s[0:3], 0 offset:232
	buffer_store_dword v6, off, s[0:3], 0 offset:236
.LBB48_131:
	s_or_b32 exec_lo, exec_lo, s4
	s_waitcnt_vscnt null, 0x0
	s_barrier
	buffer_gl0_inv
	s_clause 0x1
	buffer_load_dword v5, off, s[0:3], 0 offset:240
	buffer_load_dword v6, off, s[0:3], 0 offset:244
	s_mov_b32 s4, exec_lo
	s_waitcnt vmcnt(0)
	ds_write_b64 v4, v[5:6]
	s_waitcnt lgkmcnt(0)
	s_barrier
	buffer_gl0_inv
	v_cmpx_gt_u32_e32 30, v0
	s_cbranch_execz .LBB48_135
; %bb.132:
	v_add_nc_u32_e32 v5, -1, v0
	v_add_nc_u32_e32 v6, 0x190, v3
	v_mov_b32_e32 v7, v3
	v_mov_b32_e32 v2, 0
	;; [unrolled: 1-line block ×3, first 2 shown]
	s_mov_b32 s5, 0
	.p2align	6
.LBB48_133:                             ; =>This Inner Loop Header: Depth=1
	s_clause 0x1
	buffer_load_dword v109, v7, s[0:3], 0 offen offset:4
	buffer_load_dword v110, v7, s[0:3], 0 offen
	ds_read_b64 v[107:108], v6
	v_add_nc_u32_e32 v5, 1, v5
	v_add_nc_u32_e32 v6, 8, v6
	;; [unrolled: 1-line block ×3, first 2 shown]
	v_cmp_lt_u32_e32 vcc_lo, 28, v5
	s_or_b32 s5, vcc_lo, s5
	s_waitcnt vmcnt(1) lgkmcnt(0)
	v_mul_f32_e32 v111, v108, v109
	v_mul_f32_e32 v109, v107, v109
	s_waitcnt vmcnt(0)
	v_fma_f32 v107, v107, v110, -v111
	v_fmac_f32_e32 v109, v108, v110
	v_add_f32_e32 v8, v8, v107
	v_add_f32_e32 v2, v2, v109
	s_andn2_b32 exec_lo, exec_lo, s5
	s_cbranch_execnz .LBB48_133
; %bb.134:
	s_or_b32 exec_lo, exec_lo, s5
	v_mov_b32_e32 v5, 0
	ds_read_b64 v[5:6], v5 offset:240
	s_waitcnt lgkmcnt(0)
	v_mul_f32_e32 v7, v2, v6
	v_mul_f32_e32 v6, v8, v6
	v_fma_f32 v7, v8, v5, -v7
	v_fmac_f32_e32 v6, v2, v5
	buffer_store_dword v7, off, s[0:3], 0 offset:240
	buffer_store_dword v6, off, s[0:3], 0 offset:244
.LBB48_135:
	s_or_b32 exec_lo, exec_lo, s4
	s_waitcnt_vscnt null, 0x0
	s_barrier
	buffer_gl0_inv
	s_clause 0x1
	buffer_load_dword v5, off, s[0:3], 0 offset:248
	buffer_load_dword v6, off, s[0:3], 0 offset:252
	s_mov_b32 s4, exec_lo
	s_waitcnt vmcnt(0)
	ds_write_b64 v4, v[5:6]
	s_waitcnt lgkmcnt(0)
	s_barrier
	buffer_gl0_inv
	v_cmpx_gt_u32_e32 31, v0
	s_cbranch_execz .LBB48_139
; %bb.136:
	v_add_nc_u32_e32 v5, -1, v0
	v_add_nc_u32_e32 v6, 0x190, v3
	v_mov_b32_e32 v7, v3
	v_mov_b32_e32 v2, 0
	;; [unrolled: 1-line block ×3, first 2 shown]
	s_mov_b32 s5, 0
	.p2align	6
.LBB48_137:                             ; =>This Inner Loop Header: Depth=1
	s_clause 0x1
	buffer_load_dword v109, v7, s[0:3], 0 offen offset:4
	buffer_load_dword v110, v7, s[0:3], 0 offen
	ds_read_b64 v[107:108], v6
	v_add_nc_u32_e32 v5, 1, v5
	v_add_nc_u32_e32 v6, 8, v6
	;; [unrolled: 1-line block ×3, first 2 shown]
	v_cmp_lt_u32_e32 vcc_lo, 29, v5
	s_or_b32 s5, vcc_lo, s5
	s_waitcnt vmcnt(1) lgkmcnt(0)
	v_mul_f32_e32 v111, v108, v109
	v_mul_f32_e32 v109, v107, v109
	s_waitcnt vmcnt(0)
	v_fma_f32 v107, v107, v110, -v111
	v_fmac_f32_e32 v109, v108, v110
	v_add_f32_e32 v8, v8, v107
	v_add_f32_e32 v2, v2, v109
	s_andn2_b32 exec_lo, exec_lo, s5
	s_cbranch_execnz .LBB48_137
; %bb.138:
	s_or_b32 exec_lo, exec_lo, s5
	v_mov_b32_e32 v5, 0
	ds_read_b64 v[5:6], v5 offset:248
	s_waitcnt lgkmcnt(0)
	v_mul_f32_e32 v7, v2, v6
	v_mul_f32_e32 v6, v8, v6
	v_fma_f32 v7, v8, v5, -v7
	v_fmac_f32_e32 v6, v2, v5
	buffer_store_dword v7, off, s[0:3], 0 offset:248
	buffer_store_dword v6, off, s[0:3], 0 offset:252
.LBB48_139:
	s_or_b32 exec_lo, exec_lo, s4
	s_waitcnt_vscnt null, 0x0
	s_barrier
	buffer_gl0_inv
	s_clause 0x1
	buffer_load_dword v5, off, s[0:3], 0 offset:256
	buffer_load_dword v6, off, s[0:3], 0 offset:260
	s_mov_b32 s4, exec_lo
	s_waitcnt vmcnt(0)
	ds_write_b64 v4, v[5:6]
	s_waitcnt lgkmcnt(0)
	s_barrier
	buffer_gl0_inv
	v_cmpx_gt_u32_e32 32, v0
	s_cbranch_execz .LBB48_143
; %bb.140:
	v_add_nc_u32_e32 v5, -1, v0
	v_add_nc_u32_e32 v6, 0x190, v3
	v_mov_b32_e32 v7, v3
	v_mov_b32_e32 v2, 0
	v_mov_b32_e32 v8, 0
	s_mov_b32 s5, 0
	.p2align	6
.LBB48_141:                             ; =>This Inner Loop Header: Depth=1
	s_clause 0x1
	buffer_load_dword v109, v7, s[0:3], 0 offen offset:4
	buffer_load_dword v110, v7, s[0:3], 0 offen
	ds_read_b64 v[107:108], v6
	v_add_nc_u32_e32 v5, 1, v5
	v_add_nc_u32_e32 v6, 8, v6
	;; [unrolled: 1-line block ×3, first 2 shown]
	v_cmp_lt_u32_e32 vcc_lo, 30, v5
	s_or_b32 s5, vcc_lo, s5
	s_waitcnt vmcnt(1) lgkmcnt(0)
	v_mul_f32_e32 v111, v108, v109
	v_mul_f32_e32 v109, v107, v109
	s_waitcnt vmcnt(0)
	v_fma_f32 v107, v107, v110, -v111
	v_fmac_f32_e32 v109, v108, v110
	v_add_f32_e32 v8, v8, v107
	v_add_f32_e32 v2, v2, v109
	s_andn2_b32 exec_lo, exec_lo, s5
	s_cbranch_execnz .LBB48_141
; %bb.142:
	s_or_b32 exec_lo, exec_lo, s5
	v_mov_b32_e32 v5, 0
	ds_read_b64 v[5:6], v5 offset:256
	s_waitcnt lgkmcnt(0)
	v_mul_f32_e32 v7, v2, v6
	v_mul_f32_e32 v6, v8, v6
	v_fma_f32 v7, v8, v5, -v7
	v_fmac_f32_e32 v6, v2, v5
	buffer_store_dword v7, off, s[0:3], 0 offset:256
	buffer_store_dword v6, off, s[0:3], 0 offset:260
.LBB48_143:
	s_or_b32 exec_lo, exec_lo, s4
	s_waitcnt_vscnt null, 0x0
	s_barrier
	buffer_gl0_inv
	s_clause 0x1
	buffer_load_dword v5, off, s[0:3], 0 offset:264
	buffer_load_dword v6, off, s[0:3], 0 offset:268
	s_mov_b32 s4, exec_lo
	s_waitcnt vmcnt(0)
	ds_write_b64 v4, v[5:6]
	s_waitcnt lgkmcnt(0)
	s_barrier
	buffer_gl0_inv
	v_cmpx_gt_u32_e32 33, v0
	s_cbranch_execz .LBB48_147
; %bb.144:
	v_add_nc_u32_e32 v5, -1, v0
	v_add_nc_u32_e32 v6, 0x190, v3
	v_mov_b32_e32 v7, v3
	v_mov_b32_e32 v2, 0
	;; [unrolled: 1-line block ×3, first 2 shown]
	s_mov_b32 s5, 0
	.p2align	6
.LBB48_145:                             ; =>This Inner Loop Header: Depth=1
	s_clause 0x1
	buffer_load_dword v109, v7, s[0:3], 0 offen offset:4
	buffer_load_dword v110, v7, s[0:3], 0 offen
	ds_read_b64 v[107:108], v6
	v_add_nc_u32_e32 v5, 1, v5
	v_add_nc_u32_e32 v6, 8, v6
	;; [unrolled: 1-line block ×3, first 2 shown]
	v_cmp_lt_u32_e32 vcc_lo, 31, v5
	s_or_b32 s5, vcc_lo, s5
	s_waitcnt vmcnt(1) lgkmcnt(0)
	v_mul_f32_e32 v111, v108, v109
	v_mul_f32_e32 v109, v107, v109
	s_waitcnt vmcnt(0)
	v_fma_f32 v107, v107, v110, -v111
	v_fmac_f32_e32 v109, v108, v110
	v_add_f32_e32 v8, v8, v107
	v_add_f32_e32 v2, v2, v109
	s_andn2_b32 exec_lo, exec_lo, s5
	s_cbranch_execnz .LBB48_145
; %bb.146:
	s_or_b32 exec_lo, exec_lo, s5
	v_mov_b32_e32 v5, 0
	ds_read_b64 v[5:6], v5 offset:264
	s_waitcnt lgkmcnt(0)
	v_mul_f32_e32 v7, v2, v6
	v_mul_f32_e32 v6, v8, v6
	v_fma_f32 v7, v8, v5, -v7
	v_fmac_f32_e32 v6, v2, v5
	buffer_store_dword v7, off, s[0:3], 0 offset:264
	buffer_store_dword v6, off, s[0:3], 0 offset:268
.LBB48_147:
	s_or_b32 exec_lo, exec_lo, s4
	s_waitcnt_vscnt null, 0x0
	s_barrier
	buffer_gl0_inv
	s_clause 0x1
	buffer_load_dword v5, off, s[0:3], 0 offset:272
	buffer_load_dword v6, off, s[0:3], 0 offset:276
	s_mov_b32 s4, exec_lo
	s_waitcnt vmcnt(0)
	ds_write_b64 v4, v[5:6]
	s_waitcnt lgkmcnt(0)
	s_barrier
	buffer_gl0_inv
	v_cmpx_gt_u32_e32 34, v0
	s_cbranch_execz .LBB48_151
; %bb.148:
	v_add_nc_u32_e32 v5, -1, v0
	v_add_nc_u32_e32 v6, 0x190, v3
	v_mov_b32_e32 v7, v3
	v_mov_b32_e32 v2, 0
	;; [unrolled: 1-line block ×3, first 2 shown]
	s_mov_b32 s5, 0
	.p2align	6
.LBB48_149:                             ; =>This Inner Loop Header: Depth=1
	s_clause 0x1
	buffer_load_dword v109, v7, s[0:3], 0 offen offset:4
	buffer_load_dword v110, v7, s[0:3], 0 offen
	ds_read_b64 v[107:108], v6
	v_add_nc_u32_e32 v5, 1, v5
	v_add_nc_u32_e32 v6, 8, v6
	;; [unrolled: 1-line block ×3, first 2 shown]
	v_cmp_lt_u32_e32 vcc_lo, 32, v5
	s_or_b32 s5, vcc_lo, s5
	s_waitcnt vmcnt(1) lgkmcnt(0)
	v_mul_f32_e32 v111, v108, v109
	v_mul_f32_e32 v109, v107, v109
	s_waitcnt vmcnt(0)
	v_fma_f32 v107, v107, v110, -v111
	v_fmac_f32_e32 v109, v108, v110
	v_add_f32_e32 v8, v8, v107
	v_add_f32_e32 v2, v2, v109
	s_andn2_b32 exec_lo, exec_lo, s5
	s_cbranch_execnz .LBB48_149
; %bb.150:
	s_or_b32 exec_lo, exec_lo, s5
	v_mov_b32_e32 v5, 0
	ds_read_b64 v[5:6], v5 offset:272
	s_waitcnt lgkmcnt(0)
	v_mul_f32_e32 v7, v2, v6
	v_mul_f32_e32 v6, v8, v6
	v_fma_f32 v7, v8, v5, -v7
	v_fmac_f32_e32 v6, v2, v5
	buffer_store_dword v7, off, s[0:3], 0 offset:272
	buffer_store_dword v6, off, s[0:3], 0 offset:276
.LBB48_151:
	s_or_b32 exec_lo, exec_lo, s4
	s_waitcnt_vscnt null, 0x0
	s_barrier
	buffer_gl0_inv
	s_clause 0x1
	buffer_load_dword v5, off, s[0:3], 0 offset:280
	buffer_load_dword v6, off, s[0:3], 0 offset:284
	s_mov_b32 s4, exec_lo
	s_waitcnt vmcnt(0)
	ds_write_b64 v4, v[5:6]
	s_waitcnt lgkmcnt(0)
	s_barrier
	buffer_gl0_inv
	v_cmpx_gt_u32_e32 35, v0
	s_cbranch_execz .LBB48_155
; %bb.152:
	v_add_nc_u32_e32 v5, -1, v0
	v_add_nc_u32_e32 v6, 0x190, v3
	v_mov_b32_e32 v7, v3
	v_mov_b32_e32 v2, 0
	v_mov_b32_e32 v8, 0
	s_mov_b32 s5, 0
	.p2align	6
.LBB48_153:                             ; =>This Inner Loop Header: Depth=1
	s_clause 0x1
	buffer_load_dword v109, v7, s[0:3], 0 offen offset:4
	buffer_load_dword v110, v7, s[0:3], 0 offen
	ds_read_b64 v[107:108], v6
	v_add_nc_u32_e32 v5, 1, v5
	v_add_nc_u32_e32 v6, 8, v6
	;; [unrolled: 1-line block ×3, first 2 shown]
	v_cmp_lt_u32_e32 vcc_lo, 33, v5
	s_or_b32 s5, vcc_lo, s5
	s_waitcnt vmcnt(1) lgkmcnt(0)
	v_mul_f32_e32 v111, v108, v109
	v_mul_f32_e32 v109, v107, v109
	s_waitcnt vmcnt(0)
	v_fma_f32 v107, v107, v110, -v111
	v_fmac_f32_e32 v109, v108, v110
	v_add_f32_e32 v8, v8, v107
	v_add_f32_e32 v2, v2, v109
	s_andn2_b32 exec_lo, exec_lo, s5
	s_cbranch_execnz .LBB48_153
; %bb.154:
	s_or_b32 exec_lo, exec_lo, s5
	v_mov_b32_e32 v5, 0
	ds_read_b64 v[5:6], v5 offset:280
	s_waitcnt lgkmcnt(0)
	v_mul_f32_e32 v7, v2, v6
	v_mul_f32_e32 v6, v8, v6
	v_fma_f32 v7, v8, v5, -v7
	v_fmac_f32_e32 v6, v2, v5
	buffer_store_dword v7, off, s[0:3], 0 offset:280
	buffer_store_dword v6, off, s[0:3], 0 offset:284
.LBB48_155:
	s_or_b32 exec_lo, exec_lo, s4
	s_waitcnt_vscnt null, 0x0
	s_barrier
	buffer_gl0_inv
	s_clause 0x1
	buffer_load_dword v5, off, s[0:3], 0 offset:288
	buffer_load_dword v6, off, s[0:3], 0 offset:292
	s_mov_b32 s4, exec_lo
	s_waitcnt vmcnt(0)
	ds_write_b64 v4, v[5:6]
	s_waitcnt lgkmcnt(0)
	s_barrier
	buffer_gl0_inv
	v_cmpx_gt_u32_e32 36, v0
	s_cbranch_execz .LBB48_159
; %bb.156:
	v_add_nc_u32_e32 v5, -1, v0
	v_add_nc_u32_e32 v6, 0x190, v3
	v_mov_b32_e32 v7, v3
	v_mov_b32_e32 v2, 0
	;; [unrolled: 1-line block ×3, first 2 shown]
	s_mov_b32 s5, 0
	.p2align	6
.LBB48_157:                             ; =>This Inner Loop Header: Depth=1
	s_clause 0x1
	buffer_load_dword v109, v7, s[0:3], 0 offen offset:4
	buffer_load_dword v110, v7, s[0:3], 0 offen
	ds_read_b64 v[107:108], v6
	v_add_nc_u32_e32 v5, 1, v5
	v_add_nc_u32_e32 v6, 8, v6
	;; [unrolled: 1-line block ×3, first 2 shown]
	v_cmp_lt_u32_e32 vcc_lo, 34, v5
	s_or_b32 s5, vcc_lo, s5
	s_waitcnt vmcnt(1) lgkmcnt(0)
	v_mul_f32_e32 v111, v108, v109
	v_mul_f32_e32 v109, v107, v109
	s_waitcnt vmcnt(0)
	v_fma_f32 v107, v107, v110, -v111
	v_fmac_f32_e32 v109, v108, v110
	v_add_f32_e32 v8, v8, v107
	v_add_f32_e32 v2, v2, v109
	s_andn2_b32 exec_lo, exec_lo, s5
	s_cbranch_execnz .LBB48_157
; %bb.158:
	s_or_b32 exec_lo, exec_lo, s5
	v_mov_b32_e32 v5, 0
	ds_read_b64 v[5:6], v5 offset:288
	s_waitcnt lgkmcnt(0)
	v_mul_f32_e32 v7, v2, v6
	v_mul_f32_e32 v6, v8, v6
	v_fma_f32 v7, v8, v5, -v7
	v_fmac_f32_e32 v6, v2, v5
	buffer_store_dword v7, off, s[0:3], 0 offset:288
	buffer_store_dword v6, off, s[0:3], 0 offset:292
.LBB48_159:
	s_or_b32 exec_lo, exec_lo, s4
	s_waitcnt_vscnt null, 0x0
	s_barrier
	buffer_gl0_inv
	s_clause 0x1
	buffer_load_dword v5, off, s[0:3], 0 offset:296
	buffer_load_dword v6, off, s[0:3], 0 offset:300
	s_mov_b32 s4, exec_lo
	s_waitcnt vmcnt(0)
	ds_write_b64 v4, v[5:6]
	s_waitcnt lgkmcnt(0)
	s_barrier
	buffer_gl0_inv
	v_cmpx_gt_u32_e32 37, v0
	s_cbranch_execz .LBB48_163
; %bb.160:
	v_add_nc_u32_e32 v5, -1, v0
	v_add_nc_u32_e32 v6, 0x190, v3
	v_mov_b32_e32 v7, v3
	v_mov_b32_e32 v2, 0
	v_mov_b32_e32 v8, 0
	s_mov_b32 s5, 0
	.p2align	6
.LBB48_161:                             ; =>This Inner Loop Header: Depth=1
	s_clause 0x1
	buffer_load_dword v109, v7, s[0:3], 0 offen offset:4
	buffer_load_dword v110, v7, s[0:3], 0 offen
	ds_read_b64 v[107:108], v6
	v_add_nc_u32_e32 v5, 1, v5
	v_add_nc_u32_e32 v6, 8, v6
	v_add_nc_u32_e32 v7, 8, v7
	v_cmp_lt_u32_e32 vcc_lo, 35, v5
	s_or_b32 s5, vcc_lo, s5
	s_waitcnt vmcnt(1) lgkmcnt(0)
	v_mul_f32_e32 v111, v108, v109
	v_mul_f32_e32 v109, v107, v109
	s_waitcnt vmcnt(0)
	v_fma_f32 v107, v107, v110, -v111
	v_fmac_f32_e32 v109, v108, v110
	v_add_f32_e32 v8, v8, v107
	v_add_f32_e32 v2, v2, v109
	s_andn2_b32 exec_lo, exec_lo, s5
	s_cbranch_execnz .LBB48_161
; %bb.162:
	s_or_b32 exec_lo, exec_lo, s5
	v_mov_b32_e32 v5, 0
	ds_read_b64 v[5:6], v5 offset:296
	s_waitcnt lgkmcnt(0)
	v_mul_f32_e32 v7, v2, v6
	v_mul_f32_e32 v6, v8, v6
	v_fma_f32 v7, v8, v5, -v7
	v_fmac_f32_e32 v6, v2, v5
	buffer_store_dword v7, off, s[0:3], 0 offset:296
	buffer_store_dword v6, off, s[0:3], 0 offset:300
.LBB48_163:
	s_or_b32 exec_lo, exec_lo, s4
	s_waitcnt_vscnt null, 0x0
	s_barrier
	buffer_gl0_inv
	s_clause 0x1
	buffer_load_dword v5, off, s[0:3], 0 offset:304
	buffer_load_dword v6, off, s[0:3], 0 offset:308
	s_mov_b32 s4, exec_lo
	s_waitcnt vmcnt(0)
	ds_write_b64 v4, v[5:6]
	s_waitcnt lgkmcnt(0)
	s_barrier
	buffer_gl0_inv
	v_cmpx_gt_u32_e32 38, v0
	s_cbranch_execz .LBB48_167
; %bb.164:
	v_add_nc_u32_e32 v5, -1, v0
	v_add_nc_u32_e32 v6, 0x190, v3
	v_mov_b32_e32 v7, v3
	v_mov_b32_e32 v2, 0
	;; [unrolled: 1-line block ×3, first 2 shown]
	s_mov_b32 s5, 0
	.p2align	6
.LBB48_165:                             ; =>This Inner Loop Header: Depth=1
	s_clause 0x1
	buffer_load_dword v109, v7, s[0:3], 0 offen offset:4
	buffer_load_dword v110, v7, s[0:3], 0 offen
	ds_read_b64 v[107:108], v6
	v_add_nc_u32_e32 v5, 1, v5
	v_add_nc_u32_e32 v6, 8, v6
	;; [unrolled: 1-line block ×3, first 2 shown]
	v_cmp_lt_u32_e32 vcc_lo, 36, v5
	s_or_b32 s5, vcc_lo, s5
	s_waitcnt vmcnt(1) lgkmcnt(0)
	v_mul_f32_e32 v111, v108, v109
	v_mul_f32_e32 v109, v107, v109
	s_waitcnt vmcnt(0)
	v_fma_f32 v107, v107, v110, -v111
	v_fmac_f32_e32 v109, v108, v110
	v_add_f32_e32 v8, v8, v107
	v_add_f32_e32 v2, v2, v109
	s_andn2_b32 exec_lo, exec_lo, s5
	s_cbranch_execnz .LBB48_165
; %bb.166:
	s_or_b32 exec_lo, exec_lo, s5
	v_mov_b32_e32 v5, 0
	ds_read_b64 v[5:6], v5 offset:304
	s_waitcnt lgkmcnt(0)
	v_mul_f32_e32 v7, v2, v6
	v_mul_f32_e32 v6, v8, v6
	v_fma_f32 v7, v8, v5, -v7
	v_fmac_f32_e32 v6, v2, v5
	buffer_store_dword v7, off, s[0:3], 0 offset:304
	buffer_store_dword v6, off, s[0:3], 0 offset:308
.LBB48_167:
	s_or_b32 exec_lo, exec_lo, s4
	s_waitcnt_vscnt null, 0x0
	s_barrier
	buffer_gl0_inv
	s_clause 0x1
	buffer_load_dword v5, off, s[0:3], 0 offset:312
	buffer_load_dword v6, off, s[0:3], 0 offset:316
	s_mov_b32 s4, exec_lo
	s_waitcnt vmcnt(0)
	ds_write_b64 v4, v[5:6]
	s_waitcnt lgkmcnt(0)
	s_barrier
	buffer_gl0_inv
	v_cmpx_gt_u32_e32 39, v0
	s_cbranch_execz .LBB48_171
; %bb.168:
	v_add_nc_u32_e32 v5, -1, v0
	v_add_nc_u32_e32 v6, 0x190, v3
	v_mov_b32_e32 v7, v3
	v_mov_b32_e32 v2, 0
	;; [unrolled: 1-line block ×3, first 2 shown]
	s_mov_b32 s5, 0
	.p2align	6
.LBB48_169:                             ; =>This Inner Loop Header: Depth=1
	s_clause 0x1
	buffer_load_dword v109, v7, s[0:3], 0 offen offset:4
	buffer_load_dword v110, v7, s[0:3], 0 offen
	ds_read_b64 v[107:108], v6
	v_add_nc_u32_e32 v5, 1, v5
	v_add_nc_u32_e32 v6, 8, v6
	;; [unrolled: 1-line block ×3, first 2 shown]
	v_cmp_lt_u32_e32 vcc_lo, 37, v5
	s_or_b32 s5, vcc_lo, s5
	s_waitcnt vmcnt(1) lgkmcnt(0)
	v_mul_f32_e32 v111, v108, v109
	v_mul_f32_e32 v109, v107, v109
	s_waitcnt vmcnt(0)
	v_fma_f32 v107, v107, v110, -v111
	v_fmac_f32_e32 v109, v108, v110
	v_add_f32_e32 v8, v8, v107
	v_add_f32_e32 v2, v2, v109
	s_andn2_b32 exec_lo, exec_lo, s5
	s_cbranch_execnz .LBB48_169
; %bb.170:
	s_or_b32 exec_lo, exec_lo, s5
	v_mov_b32_e32 v5, 0
	ds_read_b64 v[5:6], v5 offset:312
	s_waitcnt lgkmcnt(0)
	v_mul_f32_e32 v7, v2, v6
	v_mul_f32_e32 v6, v8, v6
	v_fma_f32 v7, v8, v5, -v7
	v_fmac_f32_e32 v6, v2, v5
	buffer_store_dword v7, off, s[0:3], 0 offset:312
	buffer_store_dword v6, off, s[0:3], 0 offset:316
.LBB48_171:
	s_or_b32 exec_lo, exec_lo, s4
	s_waitcnt_vscnt null, 0x0
	s_barrier
	buffer_gl0_inv
	s_clause 0x1
	buffer_load_dword v5, off, s[0:3], 0 offset:320
	buffer_load_dword v6, off, s[0:3], 0 offset:324
	s_mov_b32 s4, exec_lo
	s_waitcnt vmcnt(0)
	ds_write_b64 v4, v[5:6]
	s_waitcnt lgkmcnt(0)
	s_barrier
	buffer_gl0_inv
	v_cmpx_gt_u32_e32 40, v0
	s_cbranch_execz .LBB48_175
; %bb.172:
	v_add_nc_u32_e32 v5, -1, v0
	v_add_nc_u32_e32 v6, 0x190, v3
	v_mov_b32_e32 v7, v3
	v_mov_b32_e32 v2, 0
	;; [unrolled: 1-line block ×3, first 2 shown]
	s_mov_b32 s5, 0
	.p2align	6
.LBB48_173:                             ; =>This Inner Loop Header: Depth=1
	s_clause 0x1
	buffer_load_dword v109, v7, s[0:3], 0 offen offset:4
	buffer_load_dword v110, v7, s[0:3], 0 offen
	ds_read_b64 v[107:108], v6
	v_add_nc_u32_e32 v5, 1, v5
	v_add_nc_u32_e32 v6, 8, v6
	;; [unrolled: 1-line block ×3, first 2 shown]
	v_cmp_lt_u32_e32 vcc_lo, 38, v5
	s_or_b32 s5, vcc_lo, s5
	s_waitcnt vmcnt(1) lgkmcnt(0)
	v_mul_f32_e32 v111, v108, v109
	v_mul_f32_e32 v109, v107, v109
	s_waitcnt vmcnt(0)
	v_fma_f32 v107, v107, v110, -v111
	v_fmac_f32_e32 v109, v108, v110
	v_add_f32_e32 v8, v8, v107
	v_add_f32_e32 v2, v2, v109
	s_andn2_b32 exec_lo, exec_lo, s5
	s_cbranch_execnz .LBB48_173
; %bb.174:
	s_or_b32 exec_lo, exec_lo, s5
	v_mov_b32_e32 v5, 0
	ds_read_b64 v[5:6], v5 offset:320
	s_waitcnt lgkmcnt(0)
	v_mul_f32_e32 v7, v2, v6
	v_mul_f32_e32 v6, v8, v6
	v_fma_f32 v7, v8, v5, -v7
	v_fmac_f32_e32 v6, v2, v5
	buffer_store_dword v7, off, s[0:3], 0 offset:320
	buffer_store_dword v6, off, s[0:3], 0 offset:324
.LBB48_175:
	s_or_b32 exec_lo, exec_lo, s4
	s_waitcnt_vscnt null, 0x0
	s_barrier
	buffer_gl0_inv
	s_clause 0x1
	buffer_load_dword v5, off, s[0:3], 0 offset:328
	buffer_load_dword v6, off, s[0:3], 0 offset:332
	s_mov_b32 s4, exec_lo
	s_waitcnt vmcnt(0)
	ds_write_b64 v4, v[5:6]
	s_waitcnt lgkmcnt(0)
	s_barrier
	buffer_gl0_inv
	v_cmpx_gt_u32_e32 41, v0
	s_cbranch_execz .LBB48_179
; %bb.176:
	v_add_nc_u32_e32 v5, -1, v0
	v_add_nc_u32_e32 v6, 0x190, v3
	v_mov_b32_e32 v7, v3
	v_mov_b32_e32 v2, 0
	;; [unrolled: 1-line block ×3, first 2 shown]
	s_mov_b32 s5, 0
	.p2align	6
.LBB48_177:                             ; =>This Inner Loop Header: Depth=1
	s_clause 0x1
	buffer_load_dword v109, v7, s[0:3], 0 offen offset:4
	buffer_load_dword v110, v7, s[0:3], 0 offen
	ds_read_b64 v[107:108], v6
	v_add_nc_u32_e32 v5, 1, v5
	v_add_nc_u32_e32 v6, 8, v6
	;; [unrolled: 1-line block ×3, first 2 shown]
	v_cmp_lt_u32_e32 vcc_lo, 39, v5
	s_or_b32 s5, vcc_lo, s5
	s_waitcnt vmcnt(1) lgkmcnt(0)
	v_mul_f32_e32 v111, v108, v109
	v_mul_f32_e32 v109, v107, v109
	s_waitcnt vmcnt(0)
	v_fma_f32 v107, v107, v110, -v111
	v_fmac_f32_e32 v109, v108, v110
	v_add_f32_e32 v8, v8, v107
	v_add_f32_e32 v2, v2, v109
	s_andn2_b32 exec_lo, exec_lo, s5
	s_cbranch_execnz .LBB48_177
; %bb.178:
	s_or_b32 exec_lo, exec_lo, s5
	v_mov_b32_e32 v5, 0
	ds_read_b64 v[5:6], v5 offset:328
	s_waitcnt lgkmcnt(0)
	v_mul_f32_e32 v7, v2, v6
	v_mul_f32_e32 v6, v8, v6
	v_fma_f32 v7, v8, v5, -v7
	v_fmac_f32_e32 v6, v2, v5
	buffer_store_dword v7, off, s[0:3], 0 offset:328
	buffer_store_dword v6, off, s[0:3], 0 offset:332
.LBB48_179:
	s_or_b32 exec_lo, exec_lo, s4
	s_waitcnt_vscnt null, 0x0
	s_barrier
	buffer_gl0_inv
	s_clause 0x1
	buffer_load_dword v5, off, s[0:3], 0 offset:336
	buffer_load_dword v6, off, s[0:3], 0 offset:340
	s_mov_b32 s4, exec_lo
	s_waitcnt vmcnt(0)
	ds_write_b64 v4, v[5:6]
	s_waitcnt lgkmcnt(0)
	s_barrier
	buffer_gl0_inv
	v_cmpx_gt_u32_e32 42, v0
	s_cbranch_execz .LBB48_183
; %bb.180:
	v_add_nc_u32_e32 v5, -1, v0
	v_add_nc_u32_e32 v6, 0x190, v3
	v_mov_b32_e32 v7, v3
	v_mov_b32_e32 v2, 0
	v_mov_b32_e32 v8, 0
	s_mov_b32 s5, 0
	.p2align	6
.LBB48_181:                             ; =>This Inner Loop Header: Depth=1
	s_clause 0x1
	buffer_load_dword v109, v7, s[0:3], 0 offen offset:4
	buffer_load_dword v110, v7, s[0:3], 0 offen
	ds_read_b64 v[107:108], v6
	v_add_nc_u32_e32 v5, 1, v5
	v_add_nc_u32_e32 v6, 8, v6
	;; [unrolled: 1-line block ×3, first 2 shown]
	v_cmp_lt_u32_e32 vcc_lo, 40, v5
	s_or_b32 s5, vcc_lo, s5
	s_waitcnt vmcnt(1) lgkmcnt(0)
	v_mul_f32_e32 v111, v108, v109
	v_mul_f32_e32 v109, v107, v109
	s_waitcnt vmcnt(0)
	v_fma_f32 v107, v107, v110, -v111
	v_fmac_f32_e32 v109, v108, v110
	v_add_f32_e32 v8, v8, v107
	v_add_f32_e32 v2, v2, v109
	s_andn2_b32 exec_lo, exec_lo, s5
	s_cbranch_execnz .LBB48_181
; %bb.182:
	s_or_b32 exec_lo, exec_lo, s5
	v_mov_b32_e32 v5, 0
	ds_read_b64 v[5:6], v5 offset:336
	s_waitcnt lgkmcnt(0)
	v_mul_f32_e32 v7, v2, v6
	v_mul_f32_e32 v6, v8, v6
	v_fma_f32 v7, v8, v5, -v7
	v_fmac_f32_e32 v6, v2, v5
	buffer_store_dword v7, off, s[0:3], 0 offset:336
	buffer_store_dword v6, off, s[0:3], 0 offset:340
.LBB48_183:
	s_or_b32 exec_lo, exec_lo, s4
	s_waitcnt_vscnt null, 0x0
	s_barrier
	buffer_gl0_inv
	s_clause 0x1
	buffer_load_dword v5, off, s[0:3], 0 offset:344
	buffer_load_dword v6, off, s[0:3], 0 offset:348
	s_mov_b32 s4, exec_lo
	s_waitcnt vmcnt(0)
	ds_write_b64 v4, v[5:6]
	s_waitcnt lgkmcnt(0)
	s_barrier
	buffer_gl0_inv
	v_cmpx_gt_u32_e32 43, v0
	s_cbranch_execz .LBB48_187
; %bb.184:
	v_add_nc_u32_e32 v5, -1, v0
	v_add_nc_u32_e32 v6, 0x190, v3
	v_mov_b32_e32 v7, v3
	v_mov_b32_e32 v2, 0
	;; [unrolled: 1-line block ×3, first 2 shown]
	s_mov_b32 s5, 0
	.p2align	6
.LBB48_185:                             ; =>This Inner Loop Header: Depth=1
	s_clause 0x1
	buffer_load_dword v109, v7, s[0:3], 0 offen offset:4
	buffer_load_dword v110, v7, s[0:3], 0 offen
	ds_read_b64 v[107:108], v6
	v_add_nc_u32_e32 v5, 1, v5
	v_add_nc_u32_e32 v6, 8, v6
	;; [unrolled: 1-line block ×3, first 2 shown]
	v_cmp_lt_u32_e32 vcc_lo, 41, v5
	s_or_b32 s5, vcc_lo, s5
	s_waitcnt vmcnt(1) lgkmcnt(0)
	v_mul_f32_e32 v111, v108, v109
	v_mul_f32_e32 v109, v107, v109
	s_waitcnt vmcnt(0)
	v_fma_f32 v107, v107, v110, -v111
	v_fmac_f32_e32 v109, v108, v110
	v_add_f32_e32 v8, v8, v107
	v_add_f32_e32 v2, v2, v109
	s_andn2_b32 exec_lo, exec_lo, s5
	s_cbranch_execnz .LBB48_185
; %bb.186:
	s_or_b32 exec_lo, exec_lo, s5
	v_mov_b32_e32 v5, 0
	ds_read_b64 v[5:6], v5 offset:344
	s_waitcnt lgkmcnt(0)
	v_mul_f32_e32 v7, v2, v6
	v_mul_f32_e32 v6, v8, v6
	v_fma_f32 v7, v8, v5, -v7
	v_fmac_f32_e32 v6, v2, v5
	buffer_store_dword v7, off, s[0:3], 0 offset:344
	buffer_store_dword v6, off, s[0:3], 0 offset:348
.LBB48_187:
	s_or_b32 exec_lo, exec_lo, s4
	s_waitcnt_vscnt null, 0x0
	s_barrier
	buffer_gl0_inv
	s_clause 0x1
	buffer_load_dword v5, off, s[0:3], 0 offset:352
	buffer_load_dword v6, off, s[0:3], 0 offset:356
	s_mov_b32 s4, exec_lo
	s_waitcnt vmcnt(0)
	ds_write_b64 v4, v[5:6]
	s_waitcnt lgkmcnt(0)
	s_barrier
	buffer_gl0_inv
	v_cmpx_gt_u32_e32 44, v0
	s_cbranch_execz .LBB48_191
; %bb.188:
	v_add_nc_u32_e32 v5, -1, v0
	v_add_nc_u32_e32 v6, 0x190, v3
	v_mov_b32_e32 v7, v3
	v_mov_b32_e32 v2, 0
	;; [unrolled: 1-line block ×3, first 2 shown]
	s_mov_b32 s5, 0
	.p2align	6
.LBB48_189:                             ; =>This Inner Loop Header: Depth=1
	s_clause 0x1
	buffer_load_dword v109, v7, s[0:3], 0 offen offset:4
	buffer_load_dword v110, v7, s[0:3], 0 offen
	ds_read_b64 v[107:108], v6
	v_add_nc_u32_e32 v5, 1, v5
	v_add_nc_u32_e32 v6, 8, v6
	;; [unrolled: 1-line block ×3, first 2 shown]
	v_cmp_lt_u32_e32 vcc_lo, 42, v5
	s_or_b32 s5, vcc_lo, s5
	s_waitcnt vmcnt(1) lgkmcnt(0)
	v_mul_f32_e32 v111, v108, v109
	v_mul_f32_e32 v109, v107, v109
	s_waitcnt vmcnt(0)
	v_fma_f32 v107, v107, v110, -v111
	v_fmac_f32_e32 v109, v108, v110
	v_add_f32_e32 v8, v8, v107
	v_add_f32_e32 v2, v2, v109
	s_andn2_b32 exec_lo, exec_lo, s5
	s_cbranch_execnz .LBB48_189
; %bb.190:
	s_or_b32 exec_lo, exec_lo, s5
	v_mov_b32_e32 v5, 0
	ds_read_b64 v[5:6], v5 offset:352
	s_waitcnt lgkmcnt(0)
	v_mul_f32_e32 v7, v2, v6
	v_mul_f32_e32 v6, v8, v6
	v_fma_f32 v7, v8, v5, -v7
	v_fmac_f32_e32 v6, v2, v5
	buffer_store_dword v7, off, s[0:3], 0 offset:352
	buffer_store_dword v6, off, s[0:3], 0 offset:356
.LBB48_191:
	s_or_b32 exec_lo, exec_lo, s4
	s_waitcnt_vscnt null, 0x0
	s_barrier
	buffer_gl0_inv
	s_clause 0x1
	buffer_load_dword v5, off, s[0:3], 0 offset:360
	buffer_load_dword v6, off, s[0:3], 0 offset:364
	s_mov_b32 s4, exec_lo
	s_waitcnt vmcnt(0)
	ds_write_b64 v4, v[5:6]
	s_waitcnt lgkmcnt(0)
	s_barrier
	buffer_gl0_inv
	v_cmpx_gt_u32_e32 45, v0
	s_cbranch_execz .LBB48_195
; %bb.192:
	v_add_nc_u32_e32 v5, -1, v0
	v_add_nc_u32_e32 v6, 0x190, v3
	v_mov_b32_e32 v7, v3
	v_mov_b32_e32 v2, 0
	;; [unrolled: 1-line block ×3, first 2 shown]
	s_mov_b32 s5, 0
	.p2align	6
.LBB48_193:                             ; =>This Inner Loop Header: Depth=1
	s_clause 0x1
	buffer_load_dword v109, v7, s[0:3], 0 offen offset:4
	buffer_load_dword v110, v7, s[0:3], 0 offen
	ds_read_b64 v[107:108], v6
	v_add_nc_u32_e32 v5, 1, v5
	v_add_nc_u32_e32 v6, 8, v6
	;; [unrolled: 1-line block ×3, first 2 shown]
	v_cmp_lt_u32_e32 vcc_lo, 43, v5
	s_or_b32 s5, vcc_lo, s5
	s_waitcnt vmcnt(1) lgkmcnt(0)
	v_mul_f32_e32 v111, v108, v109
	v_mul_f32_e32 v109, v107, v109
	s_waitcnt vmcnt(0)
	v_fma_f32 v107, v107, v110, -v111
	v_fmac_f32_e32 v109, v108, v110
	v_add_f32_e32 v8, v8, v107
	v_add_f32_e32 v2, v2, v109
	s_andn2_b32 exec_lo, exec_lo, s5
	s_cbranch_execnz .LBB48_193
; %bb.194:
	s_or_b32 exec_lo, exec_lo, s5
	v_mov_b32_e32 v5, 0
	ds_read_b64 v[5:6], v5 offset:360
	s_waitcnt lgkmcnt(0)
	v_mul_f32_e32 v7, v2, v6
	v_mul_f32_e32 v6, v8, v6
	v_fma_f32 v7, v8, v5, -v7
	v_fmac_f32_e32 v6, v2, v5
	buffer_store_dword v7, off, s[0:3], 0 offset:360
	buffer_store_dword v6, off, s[0:3], 0 offset:364
.LBB48_195:
	s_or_b32 exec_lo, exec_lo, s4
	s_waitcnt_vscnt null, 0x0
	s_barrier
	buffer_gl0_inv
	s_clause 0x1
	buffer_load_dword v5, off, s[0:3], 0 offset:368
	buffer_load_dword v6, off, s[0:3], 0 offset:372
	s_mov_b32 s4, exec_lo
	s_waitcnt vmcnt(0)
	ds_write_b64 v4, v[5:6]
	s_waitcnt lgkmcnt(0)
	s_barrier
	buffer_gl0_inv
	v_cmpx_gt_u32_e32 46, v0
	s_cbranch_execz .LBB48_199
; %bb.196:
	v_add_nc_u32_e32 v5, -1, v0
	v_add_nc_u32_e32 v6, 0x190, v3
	v_mov_b32_e32 v7, v3
	v_mov_b32_e32 v2, 0
	;; [unrolled: 1-line block ×3, first 2 shown]
	s_mov_b32 s5, 0
	.p2align	6
.LBB48_197:                             ; =>This Inner Loop Header: Depth=1
	s_clause 0x1
	buffer_load_dword v109, v7, s[0:3], 0 offen offset:4
	buffer_load_dword v110, v7, s[0:3], 0 offen
	ds_read_b64 v[107:108], v6
	v_add_nc_u32_e32 v5, 1, v5
	v_add_nc_u32_e32 v6, 8, v6
	;; [unrolled: 1-line block ×3, first 2 shown]
	v_cmp_lt_u32_e32 vcc_lo, 44, v5
	s_or_b32 s5, vcc_lo, s5
	s_waitcnt vmcnt(1) lgkmcnt(0)
	v_mul_f32_e32 v111, v108, v109
	v_mul_f32_e32 v109, v107, v109
	s_waitcnt vmcnt(0)
	v_fma_f32 v107, v107, v110, -v111
	v_fmac_f32_e32 v109, v108, v110
	v_add_f32_e32 v8, v8, v107
	v_add_f32_e32 v2, v2, v109
	s_andn2_b32 exec_lo, exec_lo, s5
	s_cbranch_execnz .LBB48_197
; %bb.198:
	s_or_b32 exec_lo, exec_lo, s5
	v_mov_b32_e32 v5, 0
	ds_read_b64 v[5:6], v5 offset:368
	s_waitcnt lgkmcnt(0)
	v_mul_f32_e32 v7, v2, v6
	v_mul_f32_e32 v6, v8, v6
	v_fma_f32 v7, v8, v5, -v7
	v_fmac_f32_e32 v6, v2, v5
	buffer_store_dword v7, off, s[0:3], 0 offset:368
	buffer_store_dword v6, off, s[0:3], 0 offset:372
.LBB48_199:
	s_or_b32 exec_lo, exec_lo, s4
	s_waitcnt_vscnt null, 0x0
	s_barrier
	buffer_gl0_inv
	s_clause 0x1
	buffer_load_dword v5, off, s[0:3], 0 offset:376
	buffer_load_dword v6, off, s[0:3], 0 offset:380
	s_mov_b32 s4, exec_lo
	s_waitcnt vmcnt(0)
	ds_write_b64 v4, v[5:6]
	s_waitcnt lgkmcnt(0)
	s_barrier
	buffer_gl0_inv
	v_cmpx_gt_u32_e32 47, v0
	s_cbranch_execz .LBB48_203
; %bb.200:
	v_add_nc_u32_e32 v5, -1, v0
	v_add_nc_u32_e32 v6, 0x190, v3
	v_mov_b32_e32 v7, v3
	v_mov_b32_e32 v2, 0
	;; [unrolled: 1-line block ×3, first 2 shown]
	s_mov_b32 s5, 0
	.p2align	6
.LBB48_201:                             ; =>This Inner Loop Header: Depth=1
	s_clause 0x1
	buffer_load_dword v109, v7, s[0:3], 0 offen offset:4
	buffer_load_dword v110, v7, s[0:3], 0 offen
	ds_read_b64 v[107:108], v6
	v_add_nc_u32_e32 v5, 1, v5
	v_add_nc_u32_e32 v6, 8, v6
	;; [unrolled: 1-line block ×3, first 2 shown]
	v_cmp_lt_u32_e32 vcc_lo, 45, v5
	s_or_b32 s5, vcc_lo, s5
	s_waitcnt vmcnt(1) lgkmcnt(0)
	v_mul_f32_e32 v111, v108, v109
	v_mul_f32_e32 v109, v107, v109
	s_waitcnt vmcnt(0)
	v_fma_f32 v107, v107, v110, -v111
	v_fmac_f32_e32 v109, v108, v110
	v_add_f32_e32 v8, v8, v107
	v_add_f32_e32 v2, v2, v109
	s_andn2_b32 exec_lo, exec_lo, s5
	s_cbranch_execnz .LBB48_201
; %bb.202:
	s_or_b32 exec_lo, exec_lo, s5
	v_mov_b32_e32 v5, 0
	ds_read_b64 v[5:6], v5 offset:376
	s_waitcnt lgkmcnt(0)
	v_mul_f32_e32 v7, v2, v6
	v_mul_f32_e32 v6, v8, v6
	v_fma_f32 v7, v8, v5, -v7
	v_fmac_f32_e32 v6, v2, v5
	buffer_store_dword v7, off, s[0:3], 0 offset:376
	buffer_store_dword v6, off, s[0:3], 0 offset:380
.LBB48_203:
	s_or_b32 exec_lo, exec_lo, s4
	s_waitcnt_vscnt null, 0x0
	s_barrier
	buffer_gl0_inv
	s_clause 0x1
	buffer_load_dword v5, off, s[0:3], 0 offset:384
	buffer_load_dword v6, off, s[0:3], 0 offset:388
	s_mov_b32 s4, exec_lo
	s_waitcnt vmcnt(0)
	ds_write_b64 v4, v[5:6]
	s_waitcnt lgkmcnt(0)
	s_barrier
	buffer_gl0_inv
	v_cmpx_ne_u32_e32 48, v0
	s_cbranch_execz .LBB48_207
; %bb.204:
	v_mov_b32_e32 v2, 0
	v_mov_b32_e32 v5, 0
	s_mov_b32 s5, 0
	.p2align	6
.LBB48_205:                             ; =>This Inner Loop Header: Depth=1
	s_clause 0x1
	buffer_load_dword v8, v3, s[0:3], 0 offen offset:4
	buffer_load_dword v107, v3, s[0:3], 0 offen
	ds_read_b64 v[6:7], v4
	v_add_nc_u32_e32 v1, 1, v1
	v_add_nc_u32_e32 v4, 8, v4
	;; [unrolled: 1-line block ×3, first 2 shown]
	v_cmp_lt_u32_e32 vcc_lo, 46, v1
	s_or_b32 s5, vcc_lo, s5
	s_waitcnt vmcnt(1) lgkmcnt(0)
	v_mul_f32_e32 v108, v7, v8
	v_mul_f32_e32 v8, v6, v8
	s_waitcnt vmcnt(0)
	v_fma_f32 v6, v6, v107, -v108
	v_fmac_f32_e32 v8, v7, v107
	v_add_f32_e32 v5, v5, v6
	v_add_f32_e32 v2, v2, v8
	s_andn2_b32 exec_lo, exec_lo, s5
	s_cbranch_execnz .LBB48_205
; %bb.206:
	s_or_b32 exec_lo, exec_lo, s5
	v_mov_b32_e32 v1, 0
	ds_read_b64 v[3:4], v1 offset:384
	s_waitcnt lgkmcnt(0)
	v_mul_f32_e32 v1, v2, v4
	v_mul_f32_e32 v4, v5, v4
	v_fma_f32 v1, v5, v3, -v1
	v_fmac_f32_e32 v4, v2, v3
	buffer_store_dword v1, off, s[0:3], 0 offset:384
	buffer_store_dword v4, off, s[0:3], 0 offset:388
.LBB48_207:
	s_or_b32 exec_lo, exec_lo, s4
	s_mov_b32 s5, -1
	s_waitcnt_vscnt null, 0x0
	s_barrier
	buffer_gl0_inv
.LBB48_208:
	s_and_b32 vcc_lo, exec_lo, s5
	s_cbranch_vccz .LBB48_210
; %bb.209:
	s_lshl_b64 s[4:5], s[6:7], 2
	v_mov_b32_e32 v1, 0
	s_add_u32 s4, s10, s4
	s_addc_u32 s5, s11, s5
	global_load_dword v1, v1, s[4:5]
	s_waitcnt vmcnt(0)
	v_cmp_ne_u32_e32 vcc_lo, 0, v1
	s_cbranch_vccz .LBB48_211
.LBB48_210:
	s_endpgm
.LBB48_211:
	v_lshl_add_u32 v107, v0, 3, 0x190
	s_mov_b32 s4, exec_lo
	v_cmpx_eq_u32_e32 48, v0
	s_cbranch_execz .LBB48_213
; %bb.212:
	s_clause 0x1
	buffer_load_dword v1, off, s[0:3], 0 offset:376
	buffer_load_dword v2, off, s[0:3], 0 offset:380
	v_mov_b32_e32 v3, 0
	buffer_store_dword v3, off, s[0:3], 0 offset:376
	buffer_store_dword v3, off, s[0:3], 0 offset:380
	s_waitcnt vmcnt(0)
	ds_write_b64 v107, v[1:2]
.LBB48_213:
	s_or_b32 exec_lo, exec_lo, s4
	s_waitcnt lgkmcnt(0)
	s_waitcnt_vscnt null, 0x0
	s_barrier
	buffer_gl0_inv
	s_clause 0x3
	buffer_load_dword v4, off, s[0:3], 0 offset:388
	buffer_load_dword v5, off, s[0:3], 0 offset:384
	;; [unrolled: 1-line block ×4, first 2 shown]
	v_mov_b32_e32 v1, 0
	s_mov_b32 s4, exec_lo
	ds_read_b64 v[2:3], v1 offset:784
	s_waitcnt vmcnt(3) lgkmcnt(0)
	v_mul_f32_e32 v8, v3, v4
	v_mul_f32_e32 v4, v2, v4
	s_waitcnt vmcnt(2)
	v_fma_f32 v2, v2, v5, -v8
	v_fmac_f32_e32 v4, v3, v5
	v_add_f32_e32 v2, 0, v2
	v_add_f32_e32 v3, 0, v4
	s_waitcnt vmcnt(1)
	v_sub_f32_e32 v2, v6, v2
	s_waitcnt vmcnt(0)
	v_sub_f32_e32 v3, v7, v3
	buffer_store_dword v2, off, s[0:3], 0 offset:376
	buffer_store_dword v3, off, s[0:3], 0 offset:380
	v_cmpx_lt_u32_e32 46, v0
	s_cbranch_execz .LBB48_215
; %bb.214:
	s_clause 0x1
	buffer_load_dword v2, off, s[0:3], 0 offset:368
	buffer_load_dword v3, off, s[0:3], 0 offset:372
	buffer_store_dword v1, off, s[0:3], 0 offset:368
	buffer_store_dword v1, off, s[0:3], 0 offset:372
	s_waitcnt vmcnt(0)
	ds_write_b64 v107, v[2:3]
.LBB48_215:
	s_or_b32 exec_lo, exec_lo, s4
	s_waitcnt lgkmcnt(0)
	s_waitcnt_vscnt null, 0x0
	s_barrier
	buffer_gl0_inv
	s_clause 0x5
	buffer_load_dword v5, off, s[0:3], 0 offset:380
	buffer_load_dword v6, off, s[0:3], 0 offset:388
	;; [unrolled: 1-line block ×6, first 2 shown]
	ds_read2_b64 v[1:4], v1 offset0:97 offset1:98
	s_mov_b32 s4, exec_lo
	s_waitcnt vmcnt(5) lgkmcnt(0)
	v_mul_f32_e32 v110, v2, v5
	v_mul_f32_e32 v5, v1, v5
	s_waitcnt vmcnt(4)
	v_mul_f32_e32 v111, v3, v6
	v_mul_f32_e32 v6, v4, v6
	s_waitcnt vmcnt(3)
	v_fma_f32 v1, v1, v7, -v110
	v_fmac_f32_e32 v5, v2, v7
	s_waitcnt vmcnt(2)
	v_fmac_f32_e32 v111, v4, v8
	v_fma_f32 v2, v3, v8, -v6
	v_add_f32_e32 v1, 0, v1
	v_add_f32_e32 v3, 0, v5
	;; [unrolled: 1-line block ×4, first 2 shown]
	s_waitcnt vmcnt(1)
	v_sub_f32_e32 v1, v108, v1
	s_waitcnt vmcnt(0)
	v_sub_f32_e32 v2, v109, v2
	buffer_store_dword v1, off, s[0:3], 0 offset:368
	buffer_store_dword v2, off, s[0:3], 0 offset:372
	v_cmpx_lt_u32_e32 45, v0
	s_cbranch_execz .LBB48_217
; %bb.216:
	s_clause 0x1
	buffer_load_dword v1, off, s[0:3], 0 offset:360
	buffer_load_dword v2, off, s[0:3], 0 offset:364
	v_mov_b32_e32 v3, 0
	buffer_store_dword v3, off, s[0:3], 0 offset:360
	buffer_store_dword v3, off, s[0:3], 0 offset:364
	s_waitcnt vmcnt(0)
	ds_write_b64 v107, v[1:2]
.LBB48_217:
	s_or_b32 exec_lo, exec_lo, s4
	s_waitcnt lgkmcnt(0)
	s_waitcnt_vscnt null, 0x0
	s_barrier
	buffer_gl0_inv
	s_clause 0x7
	buffer_load_dword v8, off, s[0:3], 0 offset:372
	buffer_load_dword v108, off, s[0:3], 0 offset:380
	buffer_load_dword v109, off, s[0:3], 0 offset:388
	buffer_load_dword v110, off, s[0:3], 0 offset:368
	buffer_load_dword v111, off, s[0:3], 0 offset:376
	buffer_load_dword v112, off, s[0:3], 0 offset:384
	buffer_load_dword v113, off, s[0:3], 0 offset:360
	buffer_load_dword v114, off, s[0:3], 0 offset:364
	v_mov_b32_e32 v1, 0
	ds_read_b128 v[2:5], v1 offset:768
	ds_read_b64 v[6:7], v1 offset:784
	s_mov_b32 s4, exec_lo
	s_waitcnt vmcnt(7) lgkmcnt(1)
	v_mul_f32_e32 v115, v3, v8
	v_mul_f32_e32 v8, v2, v8
	s_waitcnt vmcnt(6)
	v_mul_f32_e32 v116, v4, v108
	v_mul_f32_e32 v108, v5, v108
	s_waitcnt vmcnt(5) lgkmcnt(0)
	v_mul_f32_e32 v117, v6, v109
	s_waitcnt vmcnt(4)
	v_fma_f32 v2, v2, v110, -v115
	v_fmac_f32_e32 v8, v3, v110
	v_mul_f32_e32 v3, v7, v109
	s_waitcnt vmcnt(3)
	v_fma_f32 v4, v4, v111, -v108
	v_fmac_f32_e32 v116, v5, v111
	v_add_f32_e32 v2, 0, v2
	v_add_f32_e32 v5, 0, v8
	s_waitcnt vmcnt(2)
	v_fma_f32 v3, v6, v112, -v3
	v_fmac_f32_e32 v117, v7, v112
	v_add_f32_e32 v2, v2, v4
	v_add_f32_e32 v4, v5, v116
	;; [unrolled: 1-line block ×4, first 2 shown]
	s_waitcnt vmcnt(1)
	v_sub_f32_e32 v2, v113, v2
	s_waitcnt vmcnt(0)
	v_sub_f32_e32 v3, v114, v3
	buffer_store_dword v2, off, s[0:3], 0 offset:360
	buffer_store_dword v3, off, s[0:3], 0 offset:364
	v_cmpx_lt_u32_e32 44, v0
	s_cbranch_execz .LBB48_219
; %bb.218:
	s_clause 0x1
	buffer_load_dword v2, off, s[0:3], 0 offset:352
	buffer_load_dword v3, off, s[0:3], 0 offset:356
	buffer_store_dword v1, off, s[0:3], 0 offset:352
	buffer_store_dword v1, off, s[0:3], 0 offset:356
	s_waitcnt vmcnt(0)
	ds_write_b64 v107, v[2:3]
.LBB48_219:
	s_or_b32 exec_lo, exec_lo, s4
	s_waitcnt lgkmcnt(0)
	s_waitcnt_vscnt null, 0x0
	s_barrier
	buffer_gl0_inv
	s_clause 0x9
	buffer_load_dword v6, off, s[0:3], 0 offset:364
	buffer_load_dword v7, off, s[0:3], 0 offset:372
	buffer_load_dword v8, off, s[0:3], 0 offset:380
	buffer_load_dword v112, off, s[0:3], 0 offset:388
	buffer_load_dword v113, off, s[0:3], 0 offset:360
	buffer_load_dword v114, off, s[0:3], 0 offset:368
	buffer_load_dword v115, off, s[0:3], 0 offset:376
	buffer_load_dword v116, off, s[0:3], 0 offset:384
	buffer_load_dword v117, off, s[0:3], 0 offset:352
	buffer_load_dword v118, off, s[0:3], 0 offset:356
	ds_read2_b64 v[2:5], v1 offset0:95 offset1:96
	ds_read2_b64 v[108:111], v1 offset0:97 offset1:98
	s_mov_b32 s4, exec_lo
	s_waitcnt vmcnt(9) lgkmcnt(1)
	v_mul_f32_e32 v1, v2, v6
	v_mul_f32_e32 v6, v3, v6
	s_waitcnt vmcnt(8)
	v_mul_f32_e32 v119, v4, v7
	v_mul_f32_e32 v7, v5, v7
	s_waitcnt vmcnt(7) lgkmcnt(0)
	v_mul_f32_e32 v120, v108, v8
	s_waitcnt vmcnt(5)
	v_fmac_f32_e32 v1, v3, v113
	v_fma_f32 v2, v2, v113, -v6
	v_mul_f32_e32 v3, v109, v8
	s_waitcnt vmcnt(4)
	v_fma_f32 v4, v4, v114, -v7
	v_fmac_f32_e32 v119, v5, v114
	v_add_f32_e32 v1, 0, v1
	v_add_f32_e32 v2, 0, v2
	v_mul_f32_e32 v5, v111, v112
	s_waitcnt vmcnt(3)
	v_fma_f32 v3, v108, v115, -v3
	v_mul_f32_e32 v121, v110, v112
	v_fmac_f32_e32 v120, v109, v115
	v_add_f32_e32 v2, v2, v4
	v_add_f32_e32 v1, v1, v119
	s_waitcnt vmcnt(2)
	v_fma_f32 v4, v110, v116, -v5
	v_fmac_f32_e32 v121, v111, v116
	v_add_f32_e32 v2, v2, v3
	v_add_f32_e32 v1, v1, v120
	;; [unrolled: 1-line block ×4, first 2 shown]
	s_waitcnt vmcnt(1)
	v_sub_f32_e32 v2, v117, v2
	s_waitcnt vmcnt(0)
	v_sub_f32_e32 v1, v118, v1
	buffer_store_dword v2, off, s[0:3], 0 offset:352
	buffer_store_dword v1, off, s[0:3], 0 offset:356
	v_cmpx_lt_u32_e32 43, v0
	s_cbranch_execz .LBB48_221
; %bb.220:
	s_clause 0x1
	buffer_load_dword v1, off, s[0:3], 0 offset:344
	buffer_load_dword v2, off, s[0:3], 0 offset:348
	v_mov_b32_e32 v3, 0
	buffer_store_dword v3, off, s[0:3], 0 offset:344
	buffer_store_dword v3, off, s[0:3], 0 offset:348
	s_waitcnt vmcnt(0)
	ds_write_b64 v107, v[1:2]
.LBB48_221:
	s_or_b32 exec_lo, exec_lo, s4
	s_waitcnt lgkmcnt(0)
	s_waitcnt_vscnt null, 0x0
	s_barrier
	buffer_gl0_inv
	s_clause 0xb
	buffer_load_dword v8, off, s[0:3], 0 offset:356
	buffer_load_dword v112, off, s[0:3], 0 offset:364
	;; [unrolled: 1-line block ×12, first 2 shown]
	v_mov_b32_e32 v1, 0
	ds_read_b128 v[2:5], v1 offset:752
	ds_read_b128 v[108:111], v1 offset:768
	ds_read_b64 v[6:7], v1 offset:784
	s_mov_b32 s4, exec_lo
	s_waitcnt vmcnt(11) lgkmcnt(2)
	v_mul_f32_e32 v123, v2, v8
	v_mul_f32_e32 v8, v3, v8
	s_waitcnt vmcnt(10)
	v_mul_f32_e32 v124, v4, v112
	v_mul_f32_e32 v112, v5, v112
	s_waitcnt vmcnt(9) lgkmcnt(1)
	v_mul_f32_e32 v125, v108, v113
	s_waitcnt vmcnt(6)
	v_fmac_f32_e32 v123, v3, v116
	v_fma_f32 v2, v2, v116, -v8
	v_mul_f32_e32 v3, v109, v113
	s_waitcnt vmcnt(5)
	v_fma_f32 v4, v4, v117, -v112
	v_fmac_f32_e32 v124, v5, v117
	v_add_f32_e32 v5, 0, v123
	v_add_f32_e32 v2, 0, v2
	v_mul_f32_e32 v8, v111, v114
	s_waitcnt vmcnt(4)
	v_fma_f32 v3, v108, v118, -v3
	v_mul_f32_e32 v126, v110, v114
	v_fmac_f32_e32 v125, v109, v118
	v_add_f32_e32 v2, v2, v4
	v_add_f32_e32 v4, v5, v124
	s_waitcnt lgkmcnt(0)
	v_mul_f32_e32 v5, v7, v115
	s_waitcnt vmcnt(3)
	v_fma_f32 v8, v110, v119, -v8
	v_mul_f32_e32 v127, v6, v115
	v_add_f32_e32 v2, v2, v3
	v_fmac_f32_e32 v126, v111, v119
	v_add_f32_e32 v3, v4, v125
	s_waitcnt vmcnt(2)
	v_fma_f32 v4, v6, v120, -v5
	v_fmac_f32_e32 v127, v7, v120
	v_add_f32_e32 v2, v2, v8
	v_add_f32_e32 v3, v3, v126
	v_add_f32_e32 v2, v2, v4
	v_add_f32_e32 v3, v3, v127
	s_waitcnt vmcnt(1)
	v_sub_f32_e32 v2, v121, v2
	s_waitcnt vmcnt(0)
	v_sub_f32_e32 v3, v122, v3
	buffer_store_dword v2, off, s[0:3], 0 offset:344
	buffer_store_dword v3, off, s[0:3], 0 offset:348
	v_cmpx_lt_u32_e32 42, v0
	s_cbranch_execz .LBB48_223
; %bb.222:
	s_clause 0x1
	buffer_load_dword v2, off, s[0:3], 0 offset:336
	buffer_load_dword v3, off, s[0:3], 0 offset:340
	buffer_store_dword v1, off, s[0:3], 0 offset:336
	buffer_store_dword v1, off, s[0:3], 0 offset:340
	s_waitcnt vmcnt(0)
	ds_write_b64 v107, v[2:3]
.LBB48_223:
	s_or_b32 exec_lo, exec_lo, s4
	s_waitcnt lgkmcnt(0)
	s_waitcnt_vscnt null, 0x0
	s_barrier
	buffer_gl0_inv
	s_clause 0xd
	buffer_load_dword v6, off, s[0:3], 0 offset:348
	buffer_load_dword v7, off, s[0:3], 0 offset:356
	;; [unrolled: 1-line block ×14, first 2 shown]
	ds_read2_b64 v[2:5], v1 offset0:93 offset1:94
	ds_read2_b64 v[108:111], v1 offset0:95 offset1:96
	;; [unrolled: 1-line block ×3, first 2 shown]
	s_mov_b32 s4, exec_lo
	s_waitcnt vmcnt(13) lgkmcnt(2)
	v_mul_f32_e32 v1, v2, v6
	v_mul_f32_e32 v6, v3, v6
	s_waitcnt vmcnt(12)
	v_mul_f32_e32 v127, v4, v7
	v_mul_f32_e32 v7, v5, v7
	s_waitcnt vmcnt(11) lgkmcnt(1)
	v_mul_f32_e32 v128, v108, v8
	s_waitcnt vmcnt(10)
	v_mul_f32_e32 v129, v110, v116
	s_waitcnt vmcnt(7)
	v_fma_f32 v2, v2, v119, -v6
	v_fmac_f32_e32 v1, v3, v119
	v_mul_f32_e32 v3, v109, v8
	s_waitcnt vmcnt(6)
	v_fma_f32 v4, v4, v120, -v7
	v_fmac_f32_e32 v127, v5, v120
	v_add_f32_e32 v2, 0, v2
	v_add_f32_e32 v1, 0, v1
	v_mul_f32_e32 v5, v111, v116
	s_waitcnt vmcnt(5)
	v_fma_f32 v3, v108, v121, -v3
	v_fmac_f32_e32 v128, v109, v121
	v_add_f32_e32 v2, v2, v4
	v_add_f32_e32 v1, v1, v127
	s_waitcnt lgkmcnt(0)
	v_mul_f32_e32 v4, v113, v117
	s_waitcnt vmcnt(4)
	v_fma_f32 v5, v110, v122, -v5
	v_mul_f32_e32 v130, v112, v117
	v_add_f32_e32 v2, v2, v3
	v_fmac_f32_e32 v129, v111, v122
	v_add_f32_e32 v1, v1, v128
	v_mul_f32_e32 v3, v115, v118
	s_waitcnt vmcnt(3)
	v_fma_f32 v4, v112, v123, -v4
	v_add_f32_e32 v2, v2, v5
	v_mul_f32_e32 v131, v114, v118
	v_fmac_f32_e32 v130, v113, v123
	v_add_f32_e32 v1, v1, v129
	s_waitcnt vmcnt(2)
	v_fma_f32 v3, v114, v124, -v3
	v_add_f32_e32 v2, v2, v4
	v_fmac_f32_e32 v131, v115, v124
	v_add_f32_e32 v1, v1, v130
	v_add_f32_e32 v2, v2, v3
	;; [unrolled: 1-line block ×3, first 2 shown]
	s_waitcnt vmcnt(1)
	v_sub_f32_e32 v2, v125, v2
	s_waitcnt vmcnt(0)
	v_sub_f32_e32 v1, v126, v1
	buffer_store_dword v2, off, s[0:3], 0 offset:336
	buffer_store_dword v1, off, s[0:3], 0 offset:340
	v_cmpx_lt_u32_e32 41, v0
	s_cbranch_execz .LBB48_225
; %bb.224:
	s_clause 0x1
	buffer_load_dword v1, off, s[0:3], 0 offset:328
	buffer_load_dword v2, off, s[0:3], 0 offset:332
	v_mov_b32_e32 v3, 0
	buffer_store_dword v3, off, s[0:3], 0 offset:328
	buffer_store_dword v3, off, s[0:3], 0 offset:332
	s_waitcnt vmcnt(0)
	ds_write_b64 v107, v[1:2]
.LBB48_225:
	s_or_b32 exec_lo, exec_lo, s4
	s_waitcnt lgkmcnt(0)
	s_waitcnt_vscnt null, 0x0
	s_barrier
	buffer_gl0_inv
	s_clause 0xf
	buffer_load_dword v8, off, s[0:3], 0 offset:340
	buffer_load_dword v116, off, s[0:3], 0 offset:348
	;; [unrolled: 1-line block ×16, first 2 shown]
	v_mov_b32_e32 v1, 0
	ds_read_b128 v[2:5], v1 offset:736
	ds_read_b128 v[108:111], v1 offset:752
	;; [unrolled: 1-line block ×3, first 2 shown]
	ds_read_b64 v[6:7], v1 offset:784
	s_mov_b32 s4, exec_lo
	s_waitcnt vmcnt(15) lgkmcnt(3)
	v_mul_f32_e32 v131, v2, v8
	v_mul_f32_e32 v8, v3, v8
	s_waitcnt vmcnt(14)
	v_mul_f32_e32 v132, v4, v116
	v_mul_f32_e32 v116, v5, v116
	s_waitcnt vmcnt(13) lgkmcnt(2)
	v_mul_f32_e32 v133, v108, v117
	s_waitcnt vmcnt(12)
	v_mul_f32_e32 v134, v110, v118
	s_waitcnt vmcnt(11) lgkmcnt(1)
	v_mul_f32_e32 v135, v112, v119
	s_waitcnt vmcnt(8)
	v_fma_f32 v2, v2, v122, -v8
	v_fmac_f32_e32 v131, v3, v122
	v_mul_f32_e32 v3, v109, v117
	s_waitcnt vmcnt(7)
	v_fma_f32 v4, v4, v123, -v116
	v_fmac_f32_e32 v132, v5, v123
	v_add_f32_e32 v2, 0, v2
	v_add_f32_e32 v5, 0, v131
	v_mul_f32_e32 v8, v111, v118
	s_waitcnt vmcnt(6)
	v_fma_f32 v3, v108, v124, -v3
	v_fmac_f32_e32 v133, v109, v124
	v_add_f32_e32 v2, v2, v4
	v_add_f32_e32 v4, v5, v132
	;; [unrolled: 6-line block ×3, first 2 shown]
	v_mul_f32_e32 v4, v115, v120
	s_waitcnt vmcnt(4)
	v_fma_f32 v5, v112, v126, -v5
	v_mul_f32_e32 v136, v114, v120
	v_add_f32_e32 v2, v2, v8
	v_fmac_f32_e32 v135, v113, v126
	v_add_f32_e32 v3, v3, v134
	s_waitcnt lgkmcnt(0)
	v_mul_f32_e32 v8, v7, v121
	s_waitcnt vmcnt(3)
	v_fma_f32 v4, v114, v127, -v4
	v_add_f32_e32 v2, v2, v5
	v_mul_f32_e32 v137, v6, v121
	v_fmac_f32_e32 v136, v115, v127
	v_add_f32_e32 v3, v3, v135
	s_waitcnt vmcnt(2)
	v_fma_f32 v5, v6, v128, -v8
	v_add_f32_e32 v2, v2, v4
	v_fmac_f32_e32 v137, v7, v128
	v_add_f32_e32 v3, v3, v136
	v_add_f32_e32 v2, v2, v5
	;; [unrolled: 1-line block ×3, first 2 shown]
	s_waitcnt vmcnt(1)
	v_sub_f32_e32 v2, v129, v2
	s_waitcnt vmcnt(0)
	v_sub_f32_e32 v3, v130, v3
	buffer_store_dword v2, off, s[0:3], 0 offset:328
	buffer_store_dword v3, off, s[0:3], 0 offset:332
	v_cmpx_lt_u32_e32 40, v0
	s_cbranch_execz .LBB48_227
; %bb.226:
	s_clause 0x1
	buffer_load_dword v2, off, s[0:3], 0 offset:320
	buffer_load_dword v3, off, s[0:3], 0 offset:324
	buffer_store_dword v1, off, s[0:3], 0 offset:320
	buffer_store_dword v1, off, s[0:3], 0 offset:324
	s_waitcnt vmcnt(0)
	ds_write_b64 v107, v[2:3]
.LBB48_227:
	s_or_b32 exec_lo, exec_lo, s4
	s_waitcnt lgkmcnt(0)
	s_waitcnt_vscnt null, 0x0
	s_barrier
	buffer_gl0_inv
	s_clause 0x11
	buffer_load_dword v6, off, s[0:3], 0 offset:332
	buffer_load_dword v7, off, s[0:3], 0 offset:340
	;; [unrolled: 1-line block ×18, first 2 shown]
	ds_read2_b64 v[2:5], v1 offset0:91 offset1:92
	ds_read2_b64 v[108:111], v1 offset0:93 offset1:94
	;; [unrolled: 1-line block ×4, first 2 shown]
	s_mov_b32 s4, exec_lo
	s_waitcnt vmcnt(17) lgkmcnt(3)
	v_mul_f32_e32 v1, v2, v6
	v_mul_f32_e32 v6, v3, v6
	s_waitcnt vmcnt(16)
	v_mul_f32_e32 v135, v4, v7
	v_mul_f32_e32 v7, v5, v7
	s_waitcnt vmcnt(15) lgkmcnt(2)
	v_mul_f32_e32 v136, v108, v8
	s_waitcnt vmcnt(14)
	v_mul_f32_e32 v137, v110, v120
	s_waitcnt vmcnt(13) lgkmcnt(1)
	v_mul_f32_e32 v138, v112, v121
	s_waitcnt vmcnt(12)
	v_mul_f32_e32 v139, v114, v122
	s_waitcnt vmcnt(9)
	v_fma_f32 v2, v2, v125, -v6
	v_fmac_f32_e32 v1, v3, v125
	v_mul_f32_e32 v3, v109, v8
	s_waitcnt vmcnt(8)
	v_fma_f32 v4, v4, v126, -v7
	v_fmac_f32_e32 v135, v5, v126
	v_add_f32_e32 v2, 0, v2
	v_add_f32_e32 v1, 0, v1
	v_mul_f32_e32 v5, v111, v120
	s_waitcnt vmcnt(7)
	v_fma_f32 v3, v108, v127, -v3
	v_fmac_f32_e32 v136, v109, v127
	v_add_f32_e32 v2, v2, v4
	v_add_f32_e32 v1, v1, v135
	;; [unrolled: 6-line block ×4, first 2 shown]
	s_waitcnt lgkmcnt(0)
	v_mul_f32_e32 v5, v117, v123
	s_waitcnt vmcnt(4)
	v_fma_f32 v3, v114, v130, -v3
	v_mul_f32_e32 v140, v116, v123
	v_add_f32_e32 v2, v2, v4
	v_fmac_f32_e32 v139, v115, v130
	v_add_f32_e32 v1, v1, v138
	v_mul_f32_e32 v4, v119, v124
	s_waitcnt vmcnt(3)
	v_fma_f32 v5, v116, v131, -v5
	v_add_f32_e32 v2, v2, v3
	v_mul_f32_e32 v141, v118, v124
	v_fmac_f32_e32 v140, v117, v131
	v_add_f32_e32 v1, v1, v139
	s_waitcnt vmcnt(2)
	v_fma_f32 v3, v118, v132, -v4
	v_add_f32_e32 v2, v2, v5
	v_fmac_f32_e32 v141, v119, v132
	v_add_f32_e32 v1, v1, v140
	v_add_f32_e32 v2, v2, v3
	;; [unrolled: 1-line block ×3, first 2 shown]
	s_waitcnt vmcnt(1)
	v_sub_f32_e32 v2, v133, v2
	s_waitcnt vmcnt(0)
	v_sub_f32_e32 v1, v134, v1
	buffer_store_dword v2, off, s[0:3], 0 offset:320
	buffer_store_dword v1, off, s[0:3], 0 offset:324
	v_cmpx_lt_u32_e32 39, v0
	s_cbranch_execz .LBB48_229
; %bb.228:
	s_clause 0x1
	buffer_load_dword v1, off, s[0:3], 0 offset:312
	buffer_load_dword v2, off, s[0:3], 0 offset:316
	v_mov_b32_e32 v3, 0
	buffer_store_dword v3, off, s[0:3], 0 offset:312
	buffer_store_dword v3, off, s[0:3], 0 offset:316
	s_waitcnt vmcnt(0)
	ds_write_b64 v107, v[1:2]
.LBB48_229:
	s_or_b32 exec_lo, exec_lo, s4
	s_waitcnt lgkmcnt(0)
	s_waitcnt_vscnt null, 0x0
	s_barrier
	buffer_gl0_inv
	s_clause 0x13
	buffer_load_dword v8, off, s[0:3], 0 offset:324
	buffer_load_dword v120, off, s[0:3], 0 offset:332
	;; [unrolled: 1-line block ×20, first 2 shown]
	v_mov_b32_e32 v1, 0
	ds_read_b128 v[2:5], v1 offset:720
	ds_read_b128 v[108:111], v1 offset:736
	;; [unrolled: 1-line block ×4, first 2 shown]
	ds_read_b64 v[6:7], v1 offset:784
	s_mov_b32 s4, exec_lo
	s_waitcnt vmcnt(19) lgkmcnt(4)
	v_mul_f32_e32 v139, v2, v8
	v_mul_f32_e32 v8, v3, v8
	s_waitcnt vmcnt(18)
	v_mul_f32_e32 v140, v4, v120
	v_mul_f32_e32 v120, v5, v120
	s_waitcnt vmcnt(17) lgkmcnt(3)
	v_mul_f32_e32 v141, v108, v121
	s_waitcnt vmcnt(16)
	v_mul_f32_e32 v142, v110, v122
	s_waitcnt vmcnt(15) lgkmcnt(2)
	v_mul_f32_e32 v143, v112, v123
	s_waitcnt vmcnt(14)
	;; [unrolled: 4-line block ×3, first 2 shown]
	v_fma_f32 v2, v2, v128, -v8
	v_fmac_f32_e32 v139, v3, v128
	v_mul_f32_e32 v3, v109, v121
	s_waitcnt vmcnt(9)
	v_fma_f32 v4, v4, v129, -v120
	v_fmac_f32_e32 v140, v5, v129
	v_add_f32_e32 v2, 0, v2
	v_add_f32_e32 v5, 0, v139
	v_mul_f32_e32 v8, v111, v122
	s_waitcnt vmcnt(8)
	v_fma_f32 v3, v108, v130, -v3
	v_fmac_f32_e32 v141, v109, v130
	v_add_f32_e32 v2, v2, v4
	v_add_f32_e32 v4, v5, v140
	;; [unrolled: 6-line block ×5, first 2 shown]
	v_mul_f32_e32 v5, v119, v126
	s_waitcnt vmcnt(4)
	v_fma_f32 v8, v116, v134, -v8
	v_mul_f32_e32 v146, v118, v126
	v_add_f32_e32 v2, v2, v4
	v_fmac_f32_e32 v145, v117, v134
	v_add_f32_e32 v3, v3, v144
	s_waitcnt lgkmcnt(0)
	v_mul_f32_e32 v4, v7, v127
	s_waitcnt vmcnt(3)
	v_fma_f32 v5, v118, v135, -v5
	v_add_f32_e32 v2, v2, v8
	v_mul_f32_e32 v147, v6, v127
	v_fmac_f32_e32 v146, v119, v135
	v_add_f32_e32 v3, v3, v145
	s_waitcnt vmcnt(2)
	v_fma_f32 v4, v6, v136, -v4
	v_add_f32_e32 v2, v2, v5
	v_fmac_f32_e32 v147, v7, v136
	v_add_f32_e32 v3, v3, v146
	v_add_f32_e32 v2, v2, v4
	v_add_f32_e32 v3, v3, v147
	s_waitcnt vmcnt(1)
	v_sub_f32_e32 v2, v137, v2
	s_waitcnt vmcnt(0)
	v_sub_f32_e32 v3, v138, v3
	buffer_store_dword v2, off, s[0:3], 0 offset:312
	buffer_store_dword v3, off, s[0:3], 0 offset:316
	v_cmpx_lt_u32_e32 38, v0
	s_cbranch_execz .LBB48_231
; %bb.230:
	s_clause 0x1
	buffer_load_dword v2, off, s[0:3], 0 offset:304
	buffer_load_dword v3, off, s[0:3], 0 offset:308
	buffer_store_dword v1, off, s[0:3], 0 offset:304
	buffer_store_dword v1, off, s[0:3], 0 offset:308
	s_waitcnt vmcnt(0)
	ds_write_b64 v107, v[2:3]
.LBB48_231:
	s_or_b32 exec_lo, exec_lo, s4
	s_waitcnt lgkmcnt(0)
	s_waitcnt_vscnt null, 0x0
	s_barrier
	buffer_gl0_inv
	s_clause 0x15
	buffer_load_dword v6, off, s[0:3], 0 offset:316
	buffer_load_dword v7, off, s[0:3], 0 offset:324
	buffer_load_dword v8, off, s[0:3], 0 offset:332
	buffer_load_dword v124, off, s[0:3], 0 offset:340
	buffer_load_dword v125, off, s[0:3], 0 offset:348
	buffer_load_dword v126, off, s[0:3], 0 offset:356
	buffer_load_dword v127, off, s[0:3], 0 offset:364
	buffer_load_dword v128, off, s[0:3], 0 offset:372
	buffer_load_dword v129, off, s[0:3], 0 offset:380
	buffer_load_dword v130, off, s[0:3], 0 offset:388
	buffer_load_dword v131, off, s[0:3], 0 offset:312
	buffer_load_dword v132, off, s[0:3], 0 offset:320
	buffer_load_dword v133, off, s[0:3], 0 offset:328
	buffer_load_dword v134, off, s[0:3], 0 offset:336
	buffer_load_dword v135, off, s[0:3], 0 offset:344
	buffer_load_dword v136, off, s[0:3], 0 offset:352
	buffer_load_dword v137, off, s[0:3], 0 offset:360
	buffer_load_dword v138, off, s[0:3], 0 offset:368
	buffer_load_dword v139, off, s[0:3], 0 offset:376
	buffer_load_dword v140, off, s[0:3], 0 offset:384
	buffer_load_dword v141, off, s[0:3], 0 offset:304
	buffer_load_dword v142, off, s[0:3], 0 offset:308
	ds_read2_b64 v[2:5], v1 offset0:89 offset1:90
	ds_read2_b64 v[108:111], v1 offset0:91 offset1:92
	;; [unrolled: 1-line block ×5, first 2 shown]
	s_mov_b32 s4, exec_lo
	s_waitcnt vmcnt(21) lgkmcnt(4)
	v_mul_f32_e32 v1, v2, v6
	v_mul_f32_e32 v6, v3, v6
	s_waitcnt vmcnt(20)
	v_mul_f32_e32 v143, v4, v7
	v_mul_f32_e32 v7, v5, v7
	s_waitcnt vmcnt(19) lgkmcnt(3)
	v_mul_f32_e32 v144, v108, v8
	s_waitcnt vmcnt(18)
	v_mul_f32_e32 v145, v110, v124
	s_waitcnt vmcnt(17) lgkmcnt(2)
	v_mul_f32_e32 v146, v112, v125
	s_waitcnt vmcnt(16)
	;; [unrolled: 4-line block ×3, first 2 shown]
	v_mul_f32_e32 v149, v118, v128
	s_waitcnt vmcnt(11)
	v_fma_f32 v2, v2, v131, -v6
	v_fmac_f32_e32 v1, v3, v131
	v_mul_f32_e32 v3, v109, v8
	s_waitcnt vmcnt(10)
	v_fma_f32 v4, v4, v132, -v7
	v_fmac_f32_e32 v143, v5, v132
	v_add_f32_e32 v2, 0, v2
	v_add_f32_e32 v1, 0, v1
	v_mul_f32_e32 v5, v111, v124
	s_waitcnt vmcnt(9)
	v_fma_f32 v3, v108, v133, -v3
	v_fmac_f32_e32 v144, v109, v133
	v_add_f32_e32 v2, v2, v4
	v_add_f32_e32 v1, v1, v143
	;; [unrolled: 6-line block ×6, first 2 shown]
	s_waitcnt lgkmcnt(0)
	v_mul_f32_e32 v3, v121, v129
	s_waitcnt vmcnt(4)
	v_fma_f32 v4, v118, v138, -v4
	v_mul_f32_e32 v150, v120, v129
	v_add_f32_e32 v2, v2, v5
	v_fmac_f32_e32 v149, v119, v138
	v_add_f32_e32 v1, v1, v148
	v_mul_f32_e32 v5, v123, v130
	s_waitcnt vmcnt(3)
	v_fma_f32 v3, v120, v139, -v3
	v_add_f32_e32 v2, v2, v4
	v_mul_f32_e32 v151, v122, v130
	v_fmac_f32_e32 v150, v121, v139
	v_add_f32_e32 v1, v1, v149
	s_waitcnt vmcnt(2)
	v_fma_f32 v4, v122, v140, -v5
	v_add_f32_e32 v2, v2, v3
	v_fmac_f32_e32 v151, v123, v140
	v_add_f32_e32 v1, v1, v150
	v_add_f32_e32 v2, v2, v4
	;; [unrolled: 1-line block ×3, first 2 shown]
	s_waitcnt vmcnt(1)
	v_sub_f32_e32 v2, v141, v2
	s_waitcnt vmcnt(0)
	v_sub_f32_e32 v1, v142, v1
	buffer_store_dword v2, off, s[0:3], 0 offset:304
	buffer_store_dword v1, off, s[0:3], 0 offset:308
	v_cmpx_lt_u32_e32 37, v0
	s_cbranch_execz .LBB48_233
; %bb.232:
	s_clause 0x1
	buffer_load_dword v1, off, s[0:3], 0 offset:296
	buffer_load_dword v2, off, s[0:3], 0 offset:300
	v_mov_b32_e32 v3, 0
	buffer_store_dword v3, off, s[0:3], 0 offset:296
	buffer_store_dword v3, off, s[0:3], 0 offset:300
	s_waitcnt vmcnt(0)
	ds_write_b64 v107, v[1:2]
.LBB48_233:
	s_or_b32 exec_lo, exec_lo, s4
	s_waitcnt lgkmcnt(0)
	s_waitcnt_vscnt null, 0x0
	s_barrier
	buffer_gl0_inv
	s_clause 0x17
	buffer_load_dword v8, off, s[0:3], 0 offset:308
	buffer_load_dword v124, off, s[0:3], 0 offset:316
	;; [unrolled: 1-line block ×24, first 2 shown]
	v_mov_b32_e32 v1, 0
	ds_read_b128 v[2:5], v1 offset:704
	ds_read_b128 v[108:111], v1 offset:720
	;; [unrolled: 1-line block ×5, first 2 shown]
	ds_read_b64 v[6:7], v1 offset:784
	s_mov_b32 s4, exec_lo
	s_waitcnt vmcnt(23) lgkmcnt(5)
	v_mul_f32_e32 v147, v2, v8
	v_mul_f32_e32 v8, v3, v8
	s_waitcnt vmcnt(22)
	v_mul_f32_e32 v148, v4, v124
	v_mul_f32_e32 v124, v5, v124
	s_waitcnt vmcnt(21) lgkmcnt(4)
	v_mul_f32_e32 v149, v108, v125
	s_waitcnt vmcnt(20)
	v_mul_f32_e32 v150, v110, v126
	s_waitcnt vmcnt(19) lgkmcnt(3)
	v_mul_f32_e32 v151, v112, v127
	s_waitcnt vmcnt(18)
	;; [unrolled: 4-line block ×4, first 2 shown]
	v_fma_f32 v2, v2, v134, -v8
	v_fmac_f32_e32 v147, v3, v134
	v_mul_f32_e32 v3, v109, v125
	s_waitcnt vmcnt(11)
	v_fma_f32 v4, v4, v135, -v124
	v_fmac_f32_e32 v148, v5, v135
	v_add_f32_e32 v2, 0, v2
	v_add_f32_e32 v5, 0, v147
	v_mul_f32_e32 v8, v111, v126
	s_waitcnt vmcnt(10)
	v_fma_f32 v3, v108, v136, -v3
	v_fmac_f32_e32 v149, v109, v136
	v_add_f32_e32 v2, v2, v4
	v_add_f32_e32 v4, v5, v148
	;; [unrolled: 6-line block ×7, first 2 shown]
	v_mul_f32_e32 v8, v123, v132
	s_waitcnt vmcnt(4)
	v_fma_f32 v4, v120, v142, -v4
	v_mul_f32_e32 v156, v122, v132
	v_add_f32_e32 v2, v2, v5
	v_fmac_f32_e32 v155, v121, v142
	v_add_f32_e32 v3, v3, v154
	s_waitcnt lgkmcnt(0)
	v_mul_f32_e32 v5, v7, v133
	s_waitcnt vmcnt(3)
	v_fma_f32 v8, v122, v143, -v8
	v_add_f32_e32 v2, v2, v4
	v_mul_f32_e32 v157, v6, v133
	v_fmac_f32_e32 v156, v123, v143
	v_add_f32_e32 v3, v3, v155
	s_waitcnt vmcnt(2)
	v_fma_f32 v4, v6, v144, -v5
	v_add_f32_e32 v2, v2, v8
	v_fmac_f32_e32 v157, v7, v144
	v_add_f32_e32 v3, v3, v156
	v_add_f32_e32 v2, v2, v4
	;; [unrolled: 1-line block ×3, first 2 shown]
	s_waitcnt vmcnt(1)
	v_sub_f32_e32 v2, v145, v2
	s_waitcnt vmcnt(0)
	v_sub_f32_e32 v3, v146, v3
	buffer_store_dword v2, off, s[0:3], 0 offset:296
	buffer_store_dword v3, off, s[0:3], 0 offset:300
	v_cmpx_lt_u32_e32 36, v0
	s_cbranch_execz .LBB48_235
; %bb.234:
	s_clause 0x1
	buffer_load_dword v2, off, s[0:3], 0 offset:288
	buffer_load_dword v3, off, s[0:3], 0 offset:292
	buffer_store_dword v1, off, s[0:3], 0 offset:288
	buffer_store_dword v1, off, s[0:3], 0 offset:292
	s_waitcnt vmcnt(0)
	ds_write_b64 v107, v[2:3]
.LBB48_235:
	s_or_b32 exec_lo, exec_lo, s4
	s_waitcnt lgkmcnt(0)
	s_waitcnt_vscnt null, 0x0
	s_barrier
	buffer_gl0_inv
	s_clause 0x19
	buffer_load_dword v6, off, s[0:3], 0 offset:300
	buffer_load_dword v7, off, s[0:3], 0 offset:308
	;; [unrolled: 1-line block ×26, first 2 shown]
	ds_read2_b64 v[2:5], v1 offset0:87 offset1:88
	ds_read2_b64 v[108:111], v1 offset0:89 offset1:90
	ds_read2_b64 v[112:115], v1 offset0:91 offset1:92
	ds_read2_b64 v[116:119], v1 offset0:93 offset1:94
	ds_read2_b64 v[120:123], v1 offset0:95 offset1:96
	ds_read2_b64 v[124:127], v1 offset0:97 offset1:98
	s_mov_b32 s4, exec_lo
	s_waitcnt vmcnt(25) lgkmcnt(5)
	v_mul_f32_e32 v1, v2, v6
	v_mul_f32_e32 v6, v3, v6
	s_waitcnt vmcnt(24)
	v_mul_f32_e32 v151, v4, v7
	v_mul_f32_e32 v7, v5, v7
	s_waitcnt vmcnt(23) lgkmcnt(4)
	v_mul_f32_e32 v152, v108, v8
	s_waitcnt vmcnt(22)
	v_mul_f32_e32 v153, v110, v128
	s_waitcnt vmcnt(21) lgkmcnt(3)
	v_mul_f32_e32 v154, v112, v129
	s_waitcnt vmcnt(20)
	;; [unrolled: 4-line block ×4, first 2 shown]
	v_mul_f32_e32 v159, v122, v134
	s_waitcnt vmcnt(13)
	v_fma_f32 v2, v2, v137, -v6
	v_fmac_f32_e32 v1, v3, v137
	v_mul_f32_e32 v3, v109, v8
	s_waitcnt vmcnt(12)
	v_fma_f32 v4, v4, v138, -v7
	v_fmac_f32_e32 v151, v5, v138
	v_add_f32_e32 v2, 0, v2
	v_add_f32_e32 v1, 0, v1
	v_mul_f32_e32 v5, v111, v128
	s_waitcnt vmcnt(11)
	v_fma_f32 v3, v108, v139, -v3
	v_fmac_f32_e32 v152, v109, v139
	v_add_f32_e32 v2, v2, v4
	v_add_f32_e32 v1, v1, v151
	;; [unrolled: 6-line block ×8, first 2 shown]
	s_waitcnt lgkmcnt(0)
	v_mul_f32_e32 v4, v125, v135
	s_waitcnt vmcnt(4)
	v_fma_f32 v5, v122, v146, -v5
	v_mul_f32_e32 v160, v124, v135
	v_add_f32_e32 v2, v2, v3
	v_fmac_f32_e32 v159, v123, v146
	v_add_f32_e32 v1, v1, v158
	v_mul_f32_e32 v3, v127, v136
	s_waitcnt vmcnt(3)
	v_fma_f32 v4, v124, v147, -v4
	v_add_f32_e32 v2, v2, v5
	v_mul_f32_e32 v161, v126, v136
	v_fmac_f32_e32 v160, v125, v147
	v_add_f32_e32 v1, v1, v159
	s_waitcnt vmcnt(2)
	v_fma_f32 v3, v126, v148, -v3
	v_add_f32_e32 v2, v2, v4
	v_fmac_f32_e32 v161, v127, v148
	v_add_f32_e32 v1, v1, v160
	v_add_f32_e32 v2, v2, v3
	v_add_f32_e32 v1, v1, v161
	s_waitcnt vmcnt(1)
	v_sub_f32_e32 v2, v149, v2
	s_waitcnt vmcnt(0)
	v_sub_f32_e32 v1, v150, v1
	buffer_store_dword v2, off, s[0:3], 0 offset:288
	buffer_store_dword v1, off, s[0:3], 0 offset:292
	v_cmpx_lt_u32_e32 35, v0
	s_cbranch_execz .LBB48_237
; %bb.236:
	s_clause 0x1
	buffer_load_dword v1, off, s[0:3], 0 offset:280
	buffer_load_dword v2, off, s[0:3], 0 offset:284
	v_mov_b32_e32 v3, 0
	buffer_store_dword v3, off, s[0:3], 0 offset:280
	buffer_store_dword v3, off, s[0:3], 0 offset:284
	s_waitcnt vmcnt(0)
	ds_write_b64 v107, v[1:2]
.LBB48_237:
	s_or_b32 exec_lo, exec_lo, s4
	s_waitcnt lgkmcnt(0)
	s_waitcnt_vscnt null, 0x0
	s_barrier
	buffer_gl0_inv
	s_clause 0x1b
	buffer_load_dword v8, off, s[0:3], 0 offset:292
	buffer_load_dword v128, off, s[0:3], 0 offset:300
	;; [unrolled: 1-line block ×28, first 2 shown]
	v_mov_b32_e32 v1, 0
	ds_read_b128 v[2:5], v1 offset:688
	ds_read_b128 v[108:111], v1 offset:704
	;; [unrolled: 1-line block ×6, first 2 shown]
	ds_read_b64 v[6:7], v1 offset:784
	s_mov_b32 s4, exec_lo
	s_waitcnt vmcnt(27) lgkmcnt(6)
	v_mul_f32_e32 v155, v2, v8
	v_mul_f32_e32 v8, v3, v8
	s_waitcnt vmcnt(26)
	v_mul_f32_e32 v156, v4, v128
	v_mul_f32_e32 v128, v5, v128
	s_waitcnt vmcnt(25) lgkmcnt(5)
	v_mul_f32_e32 v157, v108, v129
	s_waitcnt vmcnt(24)
	v_mul_f32_e32 v158, v110, v130
	s_waitcnt vmcnt(23) lgkmcnt(4)
	v_mul_f32_e32 v159, v112, v131
	s_waitcnt vmcnt(22)
	;; [unrolled: 4-line block ×5, first 2 shown]
	v_fma_f32 v2, v2, v140, -v8
	v_fmac_f32_e32 v155, v3, v140
	v_mul_f32_e32 v3, v109, v129
	s_waitcnt vmcnt(13)
	v_fma_f32 v4, v4, v141, -v128
	v_fmac_f32_e32 v156, v5, v141
	v_add_f32_e32 v2, 0, v2
	v_add_f32_e32 v5, 0, v155
	v_mul_f32_e32 v8, v111, v130
	s_waitcnt vmcnt(12)
	v_fma_f32 v3, v108, v142, -v3
	v_fmac_f32_e32 v157, v109, v142
	v_add_f32_e32 v2, v2, v4
	v_add_f32_e32 v4, v5, v156
	v_mul_f32_e32 v5, v113, v131
	s_waitcnt vmcnt(11)
	v_fma_f32 v8, v110, v143, -v8
	v_fmac_f32_e32 v158, v111, v143
	v_add_f32_e32 v2, v2, v3
	v_add_f32_e32 v3, v4, v157
	v_mul_f32_e32 v4, v115, v132
	s_waitcnt vmcnt(10)
	v_fma_f32 v5, v112, v144, -v5
	v_fmac_f32_e32 v159, v113, v144
	v_add_f32_e32 v2, v2, v8
	v_add_f32_e32 v3, v3, v158
	v_mul_f32_e32 v8, v117, v133
	s_waitcnt vmcnt(9)
	v_fma_f32 v4, v114, v145, -v4
	v_fmac_f32_e32 v160, v115, v145
	v_add_f32_e32 v2, v2, v5
	v_add_f32_e32 v3, v3, v159
	v_mul_f32_e32 v5, v119, v134
	s_waitcnt vmcnt(8)
	v_fma_f32 v8, v116, v146, -v8
	v_fmac_f32_e32 v161, v117, v146
	v_add_f32_e32 v2, v2, v4
	v_add_f32_e32 v3, v3, v160
	v_mul_f32_e32 v4, v121, v135
	s_waitcnt vmcnt(7)
	v_fma_f32 v5, v118, v147, -v5
	v_fmac_f32_e32 v162, v119, v147
	v_add_f32_e32 v2, v2, v8
	v_add_f32_e32 v3, v3, v161
	v_mul_f32_e32 v8, v123, v136
	s_waitcnt vmcnt(6)
	v_fma_f32 v4, v120, v148, -v4
	v_fmac_f32_e32 v163, v121, v148
	v_add_f32_e32 v2, v2, v5
	v_add_f32_e32 v3, v3, v162
	v_mul_f32_e32 v5, v125, v137
	s_waitcnt vmcnt(5)
	v_fma_f32 v8, v122, v149, -v8
	v_fmac_f32_e32 v164, v123, v149
	v_add_f32_e32 v2, v2, v4
	v_add_f32_e32 v3, v3, v163
	v_mul_f32_e32 v4, v127, v138
	s_waitcnt vmcnt(4)
	v_fma_f32 v5, v124, v150, -v5
	v_mul_f32_e32 v166, v126, v138
	v_add_f32_e32 v2, v2, v8
	v_fmac_f32_e32 v165, v125, v150
	v_add_f32_e32 v3, v3, v164
	s_waitcnt lgkmcnt(0)
	v_mul_f32_e32 v8, v7, v139
	s_waitcnt vmcnt(3)
	v_fma_f32 v4, v126, v151, -v4
	v_add_f32_e32 v2, v2, v5
	v_mul_f32_e32 v167, v6, v139
	v_fmac_f32_e32 v166, v127, v151
	v_add_f32_e32 v3, v3, v165
	s_waitcnt vmcnt(2)
	v_fma_f32 v5, v6, v152, -v8
	v_add_f32_e32 v2, v2, v4
	v_fmac_f32_e32 v167, v7, v152
	v_add_f32_e32 v3, v3, v166
	v_add_f32_e32 v2, v2, v5
	;; [unrolled: 1-line block ×3, first 2 shown]
	s_waitcnt vmcnt(1)
	v_sub_f32_e32 v2, v153, v2
	s_waitcnt vmcnt(0)
	v_sub_f32_e32 v3, v154, v3
	buffer_store_dword v2, off, s[0:3], 0 offset:280
	buffer_store_dword v3, off, s[0:3], 0 offset:284
	v_cmpx_lt_u32_e32 34, v0
	s_cbranch_execz .LBB48_239
; %bb.238:
	s_clause 0x1
	buffer_load_dword v2, off, s[0:3], 0 offset:272
	buffer_load_dword v3, off, s[0:3], 0 offset:276
	buffer_store_dword v1, off, s[0:3], 0 offset:272
	buffer_store_dword v1, off, s[0:3], 0 offset:276
	s_waitcnt vmcnt(0)
	ds_write_b64 v107, v[2:3]
.LBB48_239:
	s_or_b32 exec_lo, exec_lo, s4
	s_waitcnt lgkmcnt(0)
	s_waitcnt_vscnt null, 0x0
	s_barrier
	buffer_gl0_inv
	s_clause 0x1d
	buffer_load_dword v6, off, s[0:3], 0 offset:284
	buffer_load_dword v7, off, s[0:3], 0 offset:292
	buffer_load_dword v8, off, s[0:3], 0 offset:300
	buffer_load_dword v132, off, s[0:3], 0 offset:308
	buffer_load_dword v133, off, s[0:3], 0 offset:316
	buffer_load_dword v134, off, s[0:3], 0 offset:324
	buffer_load_dword v135, off, s[0:3], 0 offset:332
	buffer_load_dword v136, off, s[0:3], 0 offset:340
	buffer_load_dword v137, off, s[0:3], 0 offset:348
	buffer_load_dword v138, off, s[0:3], 0 offset:356
	buffer_load_dword v139, off, s[0:3], 0 offset:364
	buffer_load_dword v140, off, s[0:3], 0 offset:372
	buffer_load_dword v141, off, s[0:3], 0 offset:380
	buffer_load_dword v142, off, s[0:3], 0 offset:388
	buffer_load_dword v143, off, s[0:3], 0 offset:280
	buffer_load_dword v144, off, s[0:3], 0 offset:288
	buffer_load_dword v145, off, s[0:3], 0 offset:296
	buffer_load_dword v146, off, s[0:3], 0 offset:304
	buffer_load_dword v147, off, s[0:3], 0 offset:312
	buffer_load_dword v148, off, s[0:3], 0 offset:320
	buffer_load_dword v149, off, s[0:3], 0 offset:328
	buffer_load_dword v150, off, s[0:3], 0 offset:336
	buffer_load_dword v151, off, s[0:3], 0 offset:344
	buffer_load_dword v152, off, s[0:3], 0 offset:352
	buffer_load_dword v153, off, s[0:3], 0 offset:360
	buffer_load_dword v154, off, s[0:3], 0 offset:368
	buffer_load_dword v155, off, s[0:3], 0 offset:376
	buffer_load_dword v156, off, s[0:3], 0 offset:384
	buffer_load_dword v157, off, s[0:3], 0 offset:272
	buffer_load_dword v158, off, s[0:3], 0 offset:276
	ds_read2_b64 v[2:5], v1 offset0:85 offset1:86
	ds_read2_b64 v[108:111], v1 offset0:87 offset1:88
	;; [unrolled: 1-line block ×7, first 2 shown]
	s_mov_b32 s4, exec_lo
	s_waitcnt vmcnt(29) lgkmcnt(6)
	v_mul_f32_e32 v1, v2, v6
	v_mul_f32_e32 v6, v3, v6
	s_waitcnt vmcnt(28)
	v_mul_f32_e32 v159, v4, v7
	v_mul_f32_e32 v7, v5, v7
	s_waitcnt vmcnt(27) lgkmcnt(5)
	v_mul_f32_e32 v160, v108, v8
	s_waitcnt vmcnt(26)
	v_mul_f32_e32 v161, v110, v132
	s_waitcnt vmcnt(25) lgkmcnt(4)
	v_mul_f32_e32 v162, v112, v133
	s_waitcnt vmcnt(24)
	;; [unrolled: 4-line block ×5, first 2 shown]
	v_mul_f32_e32 v169, v126, v140
	s_waitcnt vmcnt(15)
	v_fma_f32 v2, v2, v143, -v6
	v_fmac_f32_e32 v1, v3, v143
	v_mul_f32_e32 v3, v109, v8
	s_waitcnt vmcnt(14)
	v_fma_f32 v4, v4, v144, -v7
	v_fmac_f32_e32 v159, v5, v144
	v_add_f32_e32 v2, 0, v2
	v_add_f32_e32 v1, 0, v1
	v_mul_f32_e32 v5, v111, v132
	s_waitcnt vmcnt(13)
	v_fma_f32 v3, v108, v145, -v3
	v_fmac_f32_e32 v160, v109, v145
	v_add_f32_e32 v2, v2, v4
	v_add_f32_e32 v1, v1, v159
	;; [unrolled: 6-line block ×10, first 2 shown]
	s_waitcnt lgkmcnt(0)
	v_mul_f32_e32 v5, v129, v141
	s_waitcnt vmcnt(4)
	v_fma_f32 v3, v126, v154, -v3
	v_mul_f32_e32 v170, v128, v141
	v_add_f32_e32 v2, v2, v4
	v_fmac_f32_e32 v169, v127, v154
	v_add_f32_e32 v1, v1, v168
	v_mul_f32_e32 v4, v131, v142
	s_waitcnt vmcnt(3)
	v_fma_f32 v5, v128, v155, -v5
	v_add_f32_e32 v2, v2, v3
	v_mul_f32_e32 v171, v130, v142
	v_fmac_f32_e32 v170, v129, v155
	v_add_f32_e32 v1, v1, v169
	s_waitcnt vmcnt(2)
	v_fma_f32 v3, v130, v156, -v4
	v_add_f32_e32 v2, v2, v5
	v_fmac_f32_e32 v171, v131, v156
	v_add_f32_e32 v1, v1, v170
	v_add_f32_e32 v2, v2, v3
	;; [unrolled: 1-line block ×3, first 2 shown]
	s_waitcnt vmcnt(1)
	v_sub_f32_e32 v2, v157, v2
	s_waitcnt vmcnt(0)
	v_sub_f32_e32 v1, v158, v1
	buffer_store_dword v2, off, s[0:3], 0 offset:272
	buffer_store_dword v1, off, s[0:3], 0 offset:276
	v_cmpx_lt_u32_e32 33, v0
	s_cbranch_execz .LBB48_241
; %bb.240:
	s_clause 0x1
	buffer_load_dword v1, off, s[0:3], 0 offset:264
	buffer_load_dword v2, off, s[0:3], 0 offset:268
	v_mov_b32_e32 v3, 0
	buffer_store_dword v3, off, s[0:3], 0 offset:264
	buffer_store_dword v3, off, s[0:3], 0 offset:268
	s_waitcnt vmcnt(0)
	ds_write_b64 v107, v[1:2]
.LBB48_241:
	s_or_b32 exec_lo, exec_lo, s4
	s_waitcnt lgkmcnt(0)
	s_waitcnt_vscnt null, 0x0
	s_barrier
	buffer_gl0_inv
	s_clause 0x1f
	buffer_load_dword v8, off, s[0:3], 0 offset:276
	buffer_load_dword v132, off, s[0:3], 0 offset:284
	;; [unrolled: 1-line block ×32, first 2 shown]
	v_mov_b32_e32 v1, 0
	ds_read_b128 v[2:5], v1 offset:672
	ds_read_b128 v[108:111], v1 offset:688
	;; [unrolled: 1-line block ×7, first 2 shown]
	ds_read_b64 v[6:7], v1 offset:784
	s_mov_b32 s4, exec_lo
	s_waitcnt vmcnt(31) lgkmcnt(7)
	v_mul_f32_e32 v163, v2, v8
	v_mul_f32_e32 v8, v3, v8
	s_waitcnt vmcnt(30)
	v_mul_f32_e32 v164, v4, v132
	v_mul_f32_e32 v132, v5, v132
	s_waitcnt vmcnt(29) lgkmcnt(6)
	v_mul_f32_e32 v165, v108, v133
	s_waitcnt vmcnt(28)
	v_mul_f32_e32 v166, v110, v134
	s_waitcnt vmcnt(27) lgkmcnt(5)
	v_mul_f32_e32 v167, v112, v135
	s_waitcnt vmcnt(26)
	;; [unrolled: 4-line block ×6, first 2 shown]
	v_fma_f32 v2, v2, v146, -v8
	v_fmac_f32_e32 v163, v3, v146
	v_mul_f32_e32 v3, v109, v133
	s_waitcnt vmcnt(15)
	v_fma_f32 v4, v4, v147, -v132
	v_fmac_f32_e32 v164, v5, v147
	v_add_f32_e32 v2, 0, v2
	v_add_f32_e32 v5, 0, v163
	v_mul_f32_e32 v8, v111, v134
	s_waitcnt vmcnt(14)
	v_fma_f32 v3, v108, v148, -v3
	v_fmac_f32_e32 v165, v109, v148
	v_add_f32_e32 v2, v2, v4
	v_add_f32_e32 v4, v5, v164
	;; [unrolled: 6-line block ×11, first 2 shown]
	v_mul_f32_e32 v5, v131, v144
	s_waitcnt vmcnt(4)
	v_fma_f32 v8, v128, v158, -v8
	v_mul_f32_e32 v176, v130, v144
	v_add_f32_e32 v2, v2, v4
	v_fmac_f32_e32 v175, v129, v158
	v_add_f32_e32 v3, v3, v174
	s_waitcnt lgkmcnt(0)
	v_mul_f32_e32 v4, v7, v145
	s_waitcnt vmcnt(3)
	v_fma_f32 v5, v130, v159, -v5
	v_add_f32_e32 v2, v2, v8
	v_mul_f32_e32 v177, v6, v145
	v_fmac_f32_e32 v176, v131, v159
	v_add_f32_e32 v3, v3, v175
	s_waitcnt vmcnt(2)
	v_fma_f32 v4, v6, v160, -v4
	v_add_f32_e32 v2, v2, v5
	v_fmac_f32_e32 v177, v7, v160
	v_add_f32_e32 v3, v3, v176
	v_add_f32_e32 v2, v2, v4
	;; [unrolled: 1-line block ×3, first 2 shown]
	s_waitcnt vmcnt(1)
	v_sub_f32_e32 v2, v161, v2
	s_waitcnt vmcnt(0)
	v_sub_f32_e32 v3, v162, v3
	buffer_store_dword v2, off, s[0:3], 0 offset:264
	buffer_store_dword v3, off, s[0:3], 0 offset:268
	v_cmpx_lt_u32_e32 32, v0
	s_cbranch_execz .LBB48_243
; %bb.242:
	s_clause 0x1
	buffer_load_dword v2, off, s[0:3], 0 offset:256
	buffer_load_dword v3, off, s[0:3], 0 offset:260
	buffer_store_dword v1, off, s[0:3], 0 offset:256
	buffer_store_dword v1, off, s[0:3], 0 offset:260
	s_waitcnt vmcnt(0)
	ds_write_b64 v107, v[2:3]
.LBB48_243:
	s_or_b32 exec_lo, exec_lo, s4
	s_waitcnt lgkmcnt(0)
	s_waitcnt_vscnt null, 0x0
	s_barrier
	buffer_gl0_inv
	s_clause 0x21
	buffer_load_dword v6, off, s[0:3], 0 offset:268
	buffer_load_dword v7, off, s[0:3], 0 offset:276
	;; [unrolled: 1-line block ×34, first 2 shown]
	ds_read2_b64 v[2:5], v1 offset0:83 offset1:84
	ds_read2_b64 v[108:111], v1 offset0:85 offset1:86
	;; [unrolled: 1-line block ×8, first 2 shown]
	s_mov_b32 s4, exec_lo
	s_waitcnt vmcnt(33) lgkmcnt(7)
	v_mul_f32_e32 v1, v2, v6
	v_mul_f32_e32 v6, v3, v6
	s_waitcnt vmcnt(32)
	v_mul_f32_e32 v167, v4, v7
	v_mul_f32_e32 v7, v5, v7
	s_waitcnt vmcnt(31) lgkmcnt(6)
	v_mul_f32_e32 v168, v108, v8
	s_waitcnt vmcnt(30)
	v_mul_f32_e32 v169, v110, v136
	s_waitcnt vmcnt(29) lgkmcnt(5)
	v_mul_f32_e32 v170, v112, v137
	s_waitcnt vmcnt(28)
	;; [unrolled: 4-line block ×6, first 2 shown]
	v_mul_f32_e32 v179, v130, v146
	s_waitcnt vmcnt(17)
	v_fma_f32 v2, v2, v149, -v6
	v_fmac_f32_e32 v1, v3, v149
	v_mul_f32_e32 v3, v109, v8
	s_waitcnt vmcnt(16)
	v_fma_f32 v4, v4, v150, -v7
	v_fmac_f32_e32 v167, v5, v150
	v_add_f32_e32 v2, 0, v2
	v_add_f32_e32 v1, 0, v1
	v_mul_f32_e32 v5, v111, v136
	s_waitcnt vmcnt(15)
	v_fma_f32 v3, v108, v151, -v3
	v_fmac_f32_e32 v168, v109, v151
	v_add_f32_e32 v2, v2, v4
	v_add_f32_e32 v1, v1, v167
	;; [unrolled: 6-line block ×12, first 2 shown]
	s_waitcnt lgkmcnt(0)
	v_mul_f32_e32 v3, v133, v147
	s_waitcnt vmcnt(4)
	v_fma_f32 v4, v130, v162, -v4
	v_mul_f32_e32 v180, v132, v147
	v_add_f32_e32 v2, v2, v5
	v_fmac_f32_e32 v179, v131, v162
	v_add_f32_e32 v1, v1, v178
	v_mul_f32_e32 v5, v135, v148
	s_waitcnt vmcnt(3)
	v_fma_f32 v3, v132, v163, -v3
	v_add_f32_e32 v2, v2, v4
	v_mul_f32_e32 v181, v134, v148
	v_fmac_f32_e32 v180, v133, v163
	v_add_f32_e32 v1, v1, v179
	s_waitcnt vmcnt(2)
	v_fma_f32 v4, v134, v164, -v5
	v_add_f32_e32 v2, v2, v3
	v_fmac_f32_e32 v181, v135, v164
	v_add_f32_e32 v1, v1, v180
	v_add_f32_e32 v2, v2, v4
	;; [unrolled: 1-line block ×3, first 2 shown]
	s_waitcnt vmcnt(1)
	v_sub_f32_e32 v2, v165, v2
	s_waitcnt vmcnt(0)
	v_sub_f32_e32 v1, v166, v1
	buffer_store_dword v2, off, s[0:3], 0 offset:256
	buffer_store_dword v1, off, s[0:3], 0 offset:260
	v_cmpx_lt_u32_e32 31, v0
	s_cbranch_execz .LBB48_245
; %bb.244:
	s_clause 0x1
	buffer_load_dword v1, off, s[0:3], 0 offset:248
	buffer_load_dword v2, off, s[0:3], 0 offset:252
	v_mov_b32_e32 v3, 0
	buffer_store_dword v3, off, s[0:3], 0 offset:248
	buffer_store_dword v3, off, s[0:3], 0 offset:252
	s_waitcnt vmcnt(0)
	ds_write_b64 v107, v[1:2]
.LBB48_245:
	s_or_b32 exec_lo, exec_lo, s4
	s_waitcnt lgkmcnt(0)
	s_waitcnt_vscnt null, 0x0
	s_barrier
	buffer_gl0_inv
	s_clause 0x23
	buffer_load_dword v8, off, s[0:3], 0 offset:260
	buffer_load_dword v136, off, s[0:3], 0 offset:268
	;; [unrolled: 1-line block ×36, first 2 shown]
	v_mov_b32_e32 v1, 0
	ds_read_b128 v[2:5], v1 offset:656
	ds_read_b128 v[108:111], v1 offset:672
	;; [unrolled: 1-line block ×8, first 2 shown]
	ds_read_b64 v[6:7], v1 offset:784
	s_mov_b32 s4, exec_lo
	s_waitcnt vmcnt(35) lgkmcnt(8)
	v_mul_f32_e32 v171, v2, v8
	v_mul_f32_e32 v8, v3, v8
	s_waitcnt vmcnt(34)
	v_mul_f32_e32 v172, v4, v136
	v_mul_f32_e32 v136, v5, v136
	s_waitcnt vmcnt(33) lgkmcnt(7)
	v_mul_f32_e32 v173, v108, v137
	s_waitcnt vmcnt(32)
	v_mul_f32_e32 v174, v110, v138
	s_waitcnt vmcnt(31) lgkmcnt(6)
	v_mul_f32_e32 v175, v112, v139
	s_waitcnt vmcnt(30)
	;; [unrolled: 4-line block ×7, first 2 shown]
	v_fma_f32 v2, v2, v152, -v8
	v_fmac_f32_e32 v171, v3, v152
	v_mul_f32_e32 v3, v109, v137
	s_waitcnt vmcnt(17)
	v_fma_f32 v4, v4, v153, -v136
	v_fmac_f32_e32 v172, v5, v153
	v_add_f32_e32 v2, 0, v2
	v_add_f32_e32 v5, 0, v171
	v_mul_f32_e32 v8, v111, v138
	s_waitcnt vmcnt(16)
	v_fma_f32 v3, v108, v154, -v3
	v_fmac_f32_e32 v173, v109, v154
	v_add_f32_e32 v2, v2, v4
	v_add_f32_e32 v4, v5, v172
	;; [unrolled: 6-line block ×13, first 2 shown]
	v_mul_f32_e32 v8, v135, v150
	s_waitcnt vmcnt(4)
	v_fma_f32 v4, v132, v166, -v4
	v_mul_f32_e32 v186, v134, v150
	v_add_f32_e32 v2, v2, v5
	v_fmac_f32_e32 v185, v133, v166
	v_add_f32_e32 v3, v3, v184
	s_waitcnt lgkmcnt(0)
	v_mul_f32_e32 v5, v7, v151
	s_waitcnt vmcnt(3)
	v_fma_f32 v8, v134, v167, -v8
	v_add_f32_e32 v2, v2, v4
	v_mul_f32_e32 v187, v6, v151
	v_fmac_f32_e32 v186, v135, v167
	v_add_f32_e32 v3, v3, v185
	s_waitcnt vmcnt(2)
	v_fma_f32 v4, v6, v168, -v5
	v_add_f32_e32 v2, v2, v8
	v_fmac_f32_e32 v187, v7, v168
	v_add_f32_e32 v3, v3, v186
	v_add_f32_e32 v2, v2, v4
	;; [unrolled: 1-line block ×3, first 2 shown]
	s_waitcnt vmcnt(1)
	v_sub_f32_e32 v2, v169, v2
	s_waitcnt vmcnt(0)
	v_sub_f32_e32 v3, v170, v3
	buffer_store_dword v2, off, s[0:3], 0 offset:248
	buffer_store_dword v3, off, s[0:3], 0 offset:252
	v_cmpx_lt_u32_e32 30, v0
	s_cbranch_execz .LBB48_247
; %bb.246:
	s_clause 0x1
	buffer_load_dword v2, off, s[0:3], 0 offset:240
	buffer_load_dword v3, off, s[0:3], 0 offset:244
	buffer_store_dword v1, off, s[0:3], 0 offset:240
	buffer_store_dword v1, off, s[0:3], 0 offset:244
	s_waitcnt vmcnt(0)
	ds_write_b64 v107, v[2:3]
.LBB48_247:
	s_or_b32 exec_lo, exec_lo, s4
	s_waitcnt lgkmcnt(0)
	s_waitcnt_vscnt null, 0x0
	s_barrier
	buffer_gl0_inv
	s_clause 0x25
	buffer_load_dword v6, off, s[0:3], 0 offset:252
	buffer_load_dword v7, off, s[0:3], 0 offset:260
	buffer_load_dword v8, off, s[0:3], 0 offset:268
	buffer_load_dword v140, off, s[0:3], 0 offset:276
	buffer_load_dword v141, off, s[0:3], 0 offset:284
	buffer_load_dword v142, off, s[0:3], 0 offset:292
	buffer_load_dword v143, off, s[0:3], 0 offset:300
	buffer_load_dword v144, off, s[0:3], 0 offset:308
	buffer_load_dword v145, off, s[0:3], 0 offset:316
	buffer_load_dword v146, off, s[0:3], 0 offset:324
	buffer_load_dword v147, off, s[0:3], 0 offset:332
	buffer_load_dword v148, off, s[0:3], 0 offset:340
	buffer_load_dword v149, off, s[0:3], 0 offset:348
	buffer_load_dword v150, off, s[0:3], 0 offset:356
	buffer_load_dword v151, off, s[0:3], 0 offset:364
	buffer_load_dword v152, off, s[0:3], 0 offset:372
	buffer_load_dword v153, off, s[0:3], 0 offset:380
	buffer_load_dword v154, off, s[0:3], 0 offset:388
	buffer_load_dword v155, off, s[0:3], 0 offset:248
	buffer_load_dword v156, off, s[0:3], 0 offset:256
	buffer_load_dword v157, off, s[0:3], 0 offset:264
	buffer_load_dword v158, off, s[0:3], 0 offset:272
	buffer_load_dword v159, off, s[0:3], 0 offset:280
	buffer_load_dword v160, off, s[0:3], 0 offset:288
	buffer_load_dword v161, off, s[0:3], 0 offset:296
	buffer_load_dword v162, off, s[0:3], 0 offset:304
	buffer_load_dword v163, off, s[0:3], 0 offset:312
	buffer_load_dword v164, off, s[0:3], 0 offset:320
	buffer_load_dword v165, off, s[0:3], 0 offset:328
	buffer_load_dword v166, off, s[0:3], 0 offset:336
	buffer_load_dword v167, off, s[0:3], 0 offset:344
	buffer_load_dword v168, off, s[0:3], 0 offset:352
	buffer_load_dword v169, off, s[0:3], 0 offset:360
	buffer_load_dword v170, off, s[0:3], 0 offset:368
	buffer_load_dword v171, off, s[0:3], 0 offset:376
	buffer_load_dword v172, off, s[0:3], 0 offset:384
	buffer_load_dword v173, off, s[0:3], 0 offset:240
	buffer_load_dword v174, off, s[0:3], 0 offset:244
	ds_read2_b64 v[2:5], v1 offset0:81 offset1:82
	ds_read2_b64 v[108:111], v1 offset0:83 offset1:84
	;; [unrolled: 1-line block ×9, first 2 shown]
	s_mov_b32 s4, exec_lo
	s_waitcnt vmcnt(37) lgkmcnt(8)
	v_mul_f32_e32 v1, v2, v6
	v_mul_f32_e32 v6, v3, v6
	s_waitcnt vmcnt(36)
	v_mul_f32_e32 v175, v4, v7
	v_mul_f32_e32 v7, v5, v7
	s_waitcnt vmcnt(35) lgkmcnt(7)
	v_mul_f32_e32 v176, v108, v8
	s_waitcnt vmcnt(34)
	v_mul_f32_e32 v177, v110, v140
	s_waitcnt vmcnt(33) lgkmcnt(6)
	v_mul_f32_e32 v178, v112, v141
	s_waitcnt vmcnt(32)
	;; [unrolled: 4-line block ×7, first 2 shown]
	v_mul_f32_e32 v189, v134, v152
	s_waitcnt vmcnt(19)
	v_fma_f32 v2, v2, v155, -v6
	v_fmac_f32_e32 v1, v3, v155
	v_mul_f32_e32 v3, v109, v8
	s_waitcnt vmcnt(18)
	v_fma_f32 v4, v4, v156, -v7
	v_fmac_f32_e32 v175, v5, v156
	v_add_f32_e32 v2, 0, v2
	v_add_f32_e32 v1, 0, v1
	v_mul_f32_e32 v5, v111, v140
	s_waitcnt vmcnt(17)
	v_fma_f32 v3, v108, v157, -v3
	v_fmac_f32_e32 v176, v109, v157
	v_add_f32_e32 v2, v2, v4
	v_add_f32_e32 v1, v1, v175
	;; [unrolled: 6-line block ×14, first 2 shown]
	s_waitcnt lgkmcnt(0)
	v_mul_f32_e32 v4, v137, v153
	s_waitcnt vmcnt(4)
	v_fma_f32 v5, v134, v170, -v5
	v_mul_f32_e32 v190, v136, v153
	v_add_f32_e32 v2, v2, v3
	v_fmac_f32_e32 v189, v135, v170
	v_add_f32_e32 v1, v1, v188
	v_mul_f32_e32 v3, v139, v154
	s_waitcnt vmcnt(3)
	v_fma_f32 v4, v136, v171, -v4
	v_add_f32_e32 v2, v2, v5
	v_mul_f32_e32 v191, v138, v154
	v_fmac_f32_e32 v190, v137, v171
	v_add_f32_e32 v1, v1, v189
	s_waitcnt vmcnt(2)
	v_fma_f32 v3, v138, v172, -v3
	v_add_f32_e32 v2, v2, v4
	v_fmac_f32_e32 v191, v139, v172
	v_add_f32_e32 v1, v1, v190
	v_add_f32_e32 v2, v2, v3
	;; [unrolled: 1-line block ×3, first 2 shown]
	s_waitcnt vmcnt(1)
	v_sub_f32_e32 v2, v173, v2
	s_waitcnt vmcnt(0)
	v_sub_f32_e32 v1, v174, v1
	buffer_store_dword v2, off, s[0:3], 0 offset:240
	buffer_store_dword v1, off, s[0:3], 0 offset:244
	v_cmpx_lt_u32_e32 29, v0
	s_cbranch_execz .LBB48_249
; %bb.248:
	s_clause 0x1
	buffer_load_dword v1, off, s[0:3], 0 offset:232
	buffer_load_dword v2, off, s[0:3], 0 offset:236
	v_mov_b32_e32 v3, 0
	buffer_store_dword v3, off, s[0:3], 0 offset:232
	buffer_store_dword v3, off, s[0:3], 0 offset:236
	s_waitcnt vmcnt(0)
	ds_write_b64 v107, v[1:2]
.LBB48_249:
	s_or_b32 exec_lo, exec_lo, s4
	s_waitcnt lgkmcnt(0)
	s_waitcnt_vscnt null, 0x0
	s_barrier
	buffer_gl0_inv
	s_clause 0x27
	buffer_load_dword v8, off, s[0:3], 0 offset:244
	buffer_load_dword v140, off, s[0:3], 0 offset:252
	;; [unrolled: 1-line block ×40, first 2 shown]
	v_mov_b32_e32 v1, 0
	ds_read_b128 v[2:5], v1 offset:640
	ds_read_b128 v[108:111], v1 offset:656
	;; [unrolled: 1-line block ×9, first 2 shown]
	ds_read_b64 v[6:7], v1 offset:784
	s_mov_b32 s4, exec_lo
	s_waitcnt vmcnt(39) lgkmcnt(9)
	v_mul_f32_e32 v179, v2, v8
	v_mul_f32_e32 v8, v3, v8
	s_waitcnt vmcnt(38)
	v_mul_f32_e32 v180, v4, v140
	v_mul_f32_e32 v140, v5, v140
	s_waitcnt vmcnt(37) lgkmcnt(8)
	v_mul_f32_e32 v181, v108, v141
	s_waitcnt vmcnt(36)
	v_mul_f32_e32 v182, v110, v142
	s_waitcnt vmcnt(35) lgkmcnt(7)
	v_mul_f32_e32 v183, v112, v143
	s_waitcnt vmcnt(34)
	;; [unrolled: 4-line block ×8, first 2 shown]
	v_fma_f32 v2, v2, v158, -v8
	v_fmac_f32_e32 v179, v3, v158
	v_mul_f32_e32 v3, v109, v141
	s_waitcnt vmcnt(19)
	v_fma_f32 v4, v4, v159, -v140
	v_fmac_f32_e32 v180, v5, v159
	v_add_f32_e32 v2, 0, v2
	v_add_f32_e32 v5, 0, v179
	v_mul_f32_e32 v8, v111, v142
	s_waitcnt vmcnt(18)
	v_fma_f32 v3, v108, v160, -v3
	v_fmac_f32_e32 v181, v109, v160
	v_add_f32_e32 v2, v2, v4
	v_add_f32_e32 v4, v5, v180
	;; [unrolled: 6-line block ×15, first 2 shown]
	v_mul_f32_e32 v4, v139, v156
	s_waitcnt vmcnt(4)
	v_fma_f32 v5, v136, v174, -v5
	v_mul_f32_e32 v196, v138, v156
	v_add_f32_e32 v2, v2, v8
	v_fmac_f32_e32 v195, v137, v174
	v_add_f32_e32 v3, v3, v194
	s_waitcnt lgkmcnt(0)
	v_mul_f32_e32 v8, v7, v157
	s_waitcnt vmcnt(3)
	v_fma_f32 v4, v138, v175, -v4
	v_add_f32_e32 v2, v2, v5
	v_mul_f32_e32 v197, v6, v157
	v_fmac_f32_e32 v196, v139, v175
	v_add_f32_e32 v3, v3, v195
	s_waitcnt vmcnt(2)
	v_fma_f32 v5, v6, v176, -v8
	v_add_f32_e32 v2, v2, v4
	v_fmac_f32_e32 v197, v7, v176
	v_add_f32_e32 v3, v3, v196
	v_add_f32_e32 v2, v2, v5
	;; [unrolled: 1-line block ×3, first 2 shown]
	s_waitcnt vmcnt(1)
	v_sub_f32_e32 v2, v177, v2
	s_waitcnt vmcnt(0)
	v_sub_f32_e32 v3, v178, v3
	buffer_store_dword v2, off, s[0:3], 0 offset:232
	buffer_store_dword v3, off, s[0:3], 0 offset:236
	v_cmpx_lt_u32_e32 28, v0
	s_cbranch_execz .LBB48_251
; %bb.250:
	s_clause 0x1
	buffer_load_dword v2, off, s[0:3], 0 offset:224
	buffer_load_dword v3, off, s[0:3], 0 offset:228
	buffer_store_dword v1, off, s[0:3], 0 offset:224
	buffer_store_dword v1, off, s[0:3], 0 offset:228
	s_waitcnt vmcnt(0)
	ds_write_b64 v107, v[2:3]
.LBB48_251:
	s_or_b32 exec_lo, exec_lo, s4
	s_waitcnt lgkmcnt(0)
	s_waitcnt_vscnt null, 0x0
	s_barrier
	buffer_gl0_inv
	s_clause 0x29
	buffer_load_dword v6, off, s[0:3], 0 offset:236
	buffer_load_dword v7, off, s[0:3], 0 offset:244
	;; [unrolled: 1-line block ×42, first 2 shown]
	ds_read2_b64 v[2:5], v1 offset0:79 offset1:80
	ds_read2_b64 v[108:111], v1 offset0:81 offset1:82
	ds_read2_b64 v[112:115], v1 offset0:83 offset1:84
	ds_read2_b64 v[116:119], v1 offset0:85 offset1:86
	ds_read2_b64 v[120:123], v1 offset0:87 offset1:88
	ds_read2_b64 v[124:127], v1 offset0:89 offset1:90
	ds_read2_b64 v[128:131], v1 offset0:91 offset1:92
	ds_read2_b64 v[132:135], v1 offset0:93 offset1:94
	ds_read2_b64 v[136:139], v1 offset0:95 offset1:96
	ds_read2_b64 v[140:143], v1 offset0:97 offset1:98
	s_mov_b32 s4, exec_lo
	s_waitcnt vmcnt(41) lgkmcnt(9)
	v_mul_f32_e32 v1, v2, v6
	v_mul_f32_e32 v6, v3, v6
	s_waitcnt vmcnt(40)
	v_mul_f32_e32 v183, v4, v7
	v_mul_f32_e32 v7, v5, v7
	s_waitcnt vmcnt(39) lgkmcnt(8)
	v_mul_f32_e32 v184, v108, v8
	s_waitcnt vmcnt(38)
	v_mul_f32_e32 v185, v110, v144
	s_waitcnt vmcnt(37) lgkmcnt(7)
	v_mul_f32_e32 v186, v112, v145
	s_waitcnt vmcnt(36)
	;; [unrolled: 4-line block ×8, first 2 shown]
	v_mul_f32_e32 v199, v138, v158
	s_waitcnt vmcnt(21)
	v_fma_f32 v2, v2, v161, -v6
	v_fmac_f32_e32 v1, v3, v161
	v_mul_f32_e32 v3, v109, v8
	s_waitcnt vmcnt(20)
	v_fma_f32 v4, v4, v162, -v7
	v_fmac_f32_e32 v183, v5, v162
	v_add_f32_e32 v2, 0, v2
	v_add_f32_e32 v1, 0, v1
	v_mul_f32_e32 v5, v111, v144
	s_waitcnt vmcnt(19)
	v_fma_f32 v3, v108, v163, -v3
	v_fmac_f32_e32 v184, v109, v163
	v_add_f32_e32 v2, v2, v4
	v_add_f32_e32 v1, v1, v183
	;; [unrolled: 6-line block ×16, first 2 shown]
	s_waitcnt lgkmcnt(0)
	v_mul_f32_e32 v5, v141, v159
	s_waitcnt vmcnt(4)
	v_fma_f32 v3, v138, v178, -v3
	v_mul_f32_e32 v200, v140, v159
	v_add_f32_e32 v2, v2, v4
	v_fmac_f32_e32 v199, v139, v178
	v_add_f32_e32 v1, v1, v198
	v_mul_f32_e32 v4, v143, v160
	s_waitcnt vmcnt(3)
	v_fma_f32 v5, v140, v179, -v5
	v_add_f32_e32 v2, v2, v3
	v_mul_f32_e32 v201, v142, v160
	v_fmac_f32_e32 v200, v141, v179
	v_add_f32_e32 v1, v1, v199
	s_waitcnt vmcnt(2)
	v_fma_f32 v3, v142, v180, -v4
	v_add_f32_e32 v2, v2, v5
	v_fmac_f32_e32 v201, v143, v180
	v_add_f32_e32 v1, v1, v200
	v_add_f32_e32 v2, v2, v3
	;; [unrolled: 1-line block ×3, first 2 shown]
	s_waitcnt vmcnt(1)
	v_sub_f32_e32 v2, v181, v2
	s_waitcnt vmcnt(0)
	v_sub_f32_e32 v1, v182, v1
	buffer_store_dword v2, off, s[0:3], 0 offset:224
	buffer_store_dword v1, off, s[0:3], 0 offset:228
	v_cmpx_lt_u32_e32 27, v0
	s_cbranch_execz .LBB48_253
; %bb.252:
	s_clause 0x1
	buffer_load_dword v1, off, s[0:3], 0 offset:216
	buffer_load_dword v2, off, s[0:3], 0 offset:220
	v_mov_b32_e32 v3, 0
	buffer_store_dword v3, off, s[0:3], 0 offset:216
	buffer_store_dword v3, off, s[0:3], 0 offset:220
	s_waitcnt vmcnt(0)
	ds_write_b64 v107, v[1:2]
.LBB48_253:
	s_or_b32 exec_lo, exec_lo, s4
	s_waitcnt lgkmcnt(0)
	s_waitcnt_vscnt null, 0x0
	s_barrier
	buffer_gl0_inv
	s_clause 0x2b
	buffer_load_dword v8, off, s[0:3], 0 offset:228
	buffer_load_dword v144, off, s[0:3], 0 offset:236
	;; [unrolled: 1-line block ×44, first 2 shown]
	v_mov_b32_e32 v1, 0
	ds_read_b128 v[2:5], v1 offset:624
	ds_read_b128 v[108:111], v1 offset:640
	;; [unrolled: 1-line block ×10, first 2 shown]
	ds_read_b64 v[6:7], v1 offset:784
	s_mov_b32 s4, exec_lo
	s_waitcnt vmcnt(43) lgkmcnt(10)
	v_mul_f32_e32 v187, v2, v8
	v_mul_f32_e32 v8, v3, v8
	s_waitcnt vmcnt(42)
	v_mul_f32_e32 v188, v4, v144
	v_mul_f32_e32 v144, v5, v144
	s_waitcnt vmcnt(41) lgkmcnt(9)
	v_mul_f32_e32 v189, v108, v145
	s_waitcnt vmcnt(40)
	v_mul_f32_e32 v190, v110, v146
	s_waitcnt vmcnt(39) lgkmcnt(8)
	v_mul_f32_e32 v191, v112, v147
	s_waitcnt vmcnt(38)
	;; [unrolled: 4-line block ×9, first 2 shown]
	v_fma_f32 v2, v2, v164, -v8
	v_fmac_f32_e32 v187, v3, v164
	v_mul_f32_e32 v3, v109, v145
	s_waitcnt vmcnt(21)
	v_fma_f32 v4, v4, v165, -v144
	v_fmac_f32_e32 v188, v5, v165
	v_add_f32_e32 v2, 0, v2
	v_add_f32_e32 v5, 0, v187
	v_mul_f32_e32 v8, v111, v146
	s_waitcnt vmcnt(20)
	v_fma_f32 v3, v108, v166, -v3
	v_fmac_f32_e32 v189, v109, v166
	v_add_f32_e32 v2, v2, v4
	v_add_f32_e32 v4, v5, v188
	;; [unrolled: 6-line block ×17, first 2 shown]
	v_mul_f32_e32 v5, v143, v162
	s_waitcnt vmcnt(4)
	v_fma_f32 v8, v140, v182, -v8
	v_mul_f32_e32 v206, v142, v162
	v_add_f32_e32 v2, v2, v4
	v_fmac_f32_e32 v205, v141, v182
	v_add_f32_e32 v3, v3, v204
	s_waitcnt lgkmcnt(0)
	v_mul_f32_e32 v4, v7, v163
	s_waitcnt vmcnt(3)
	v_fma_f32 v5, v142, v183, -v5
	v_add_f32_e32 v2, v2, v8
	v_mul_f32_e32 v207, v6, v163
	v_fmac_f32_e32 v206, v143, v183
	v_add_f32_e32 v3, v3, v205
	s_waitcnt vmcnt(2)
	v_fma_f32 v4, v6, v184, -v4
	v_add_f32_e32 v2, v2, v5
	v_fmac_f32_e32 v207, v7, v184
	v_add_f32_e32 v3, v3, v206
	v_add_f32_e32 v2, v2, v4
	v_add_f32_e32 v3, v3, v207
	s_waitcnt vmcnt(1)
	v_sub_f32_e32 v2, v185, v2
	s_waitcnt vmcnt(0)
	v_sub_f32_e32 v3, v186, v3
	buffer_store_dword v2, off, s[0:3], 0 offset:216
	buffer_store_dword v3, off, s[0:3], 0 offset:220
	v_cmpx_lt_u32_e32 26, v0
	s_cbranch_execz .LBB48_255
; %bb.254:
	s_clause 0x1
	buffer_load_dword v2, off, s[0:3], 0 offset:208
	buffer_load_dword v3, off, s[0:3], 0 offset:212
	buffer_store_dword v1, off, s[0:3], 0 offset:208
	buffer_store_dword v1, off, s[0:3], 0 offset:212
	s_waitcnt vmcnt(0)
	ds_write_b64 v107, v[2:3]
.LBB48_255:
	s_or_b32 exec_lo, exec_lo, s4
	s_waitcnt lgkmcnt(0)
	s_waitcnt_vscnt null, 0x0
	s_barrier
	buffer_gl0_inv
	s_clause 0x2d
	buffer_load_dword v6, off, s[0:3], 0 offset:220
	buffer_load_dword v7, off, s[0:3], 0 offset:228
	;; [unrolled: 1-line block ×46, first 2 shown]
	ds_read2_b64 v[2:5], v1 offset0:77 offset1:78
	ds_read2_b64 v[108:111], v1 offset0:79 offset1:80
	;; [unrolled: 1-line block ×11, first 2 shown]
	s_mov_b32 s4, exec_lo
	s_waitcnt vmcnt(45) lgkmcnt(10)
	v_mul_f32_e32 v1, v2, v6
	v_mul_f32_e32 v6, v3, v6
	s_waitcnt vmcnt(44)
	v_mul_f32_e32 v191, v4, v7
	v_mul_f32_e32 v7, v5, v7
	s_waitcnt vmcnt(43) lgkmcnt(9)
	v_mul_f32_e32 v192, v108, v8
	s_waitcnt vmcnt(42)
	v_mul_f32_e32 v193, v110, v148
	s_waitcnt vmcnt(41) lgkmcnt(8)
	v_mul_f32_e32 v194, v112, v149
	s_waitcnt vmcnt(40)
	;; [unrolled: 4-line block ×9, first 2 shown]
	v_mul_f32_e32 v209, v142, v164
	s_waitcnt vmcnt(23)
	v_fma_f32 v2, v2, v167, -v6
	v_fmac_f32_e32 v1, v3, v167
	v_mul_f32_e32 v3, v109, v8
	s_waitcnt vmcnt(22)
	v_fma_f32 v4, v4, v168, -v7
	v_fmac_f32_e32 v191, v5, v168
	v_add_f32_e32 v2, 0, v2
	v_add_f32_e32 v1, 0, v1
	v_mul_f32_e32 v5, v111, v148
	s_waitcnt vmcnt(21)
	v_fma_f32 v3, v108, v169, -v3
	v_fmac_f32_e32 v192, v109, v169
	v_add_f32_e32 v2, v2, v4
	v_add_f32_e32 v1, v1, v191
	;; [unrolled: 6-line block ×18, first 2 shown]
	s_waitcnt lgkmcnt(0)
	v_mul_f32_e32 v3, v145, v165
	s_waitcnt vmcnt(4)
	v_fma_f32 v4, v142, v186, -v4
	v_mul_f32_e32 v210, v144, v165
	v_add_f32_e32 v2, v2, v5
	v_fmac_f32_e32 v209, v143, v186
	v_add_f32_e32 v1, v1, v208
	v_mul_f32_e32 v5, v147, v166
	s_waitcnt vmcnt(3)
	v_fma_f32 v3, v144, v187, -v3
	v_add_f32_e32 v2, v2, v4
	v_mul_f32_e32 v211, v146, v166
	v_fmac_f32_e32 v210, v145, v187
	v_add_f32_e32 v1, v1, v209
	s_waitcnt vmcnt(2)
	v_fma_f32 v4, v146, v188, -v5
	v_add_f32_e32 v2, v2, v3
	v_fmac_f32_e32 v211, v147, v188
	v_add_f32_e32 v1, v1, v210
	v_add_f32_e32 v2, v2, v4
	;; [unrolled: 1-line block ×3, first 2 shown]
	s_waitcnt vmcnt(1)
	v_sub_f32_e32 v2, v189, v2
	s_waitcnt vmcnt(0)
	v_sub_f32_e32 v1, v190, v1
	buffer_store_dword v2, off, s[0:3], 0 offset:208
	buffer_store_dword v1, off, s[0:3], 0 offset:212
	v_cmpx_lt_u32_e32 25, v0
	s_cbranch_execz .LBB48_257
; %bb.256:
	s_clause 0x1
	buffer_load_dword v1, off, s[0:3], 0 offset:200
	buffer_load_dword v2, off, s[0:3], 0 offset:204
	v_mov_b32_e32 v3, 0
	buffer_store_dword v3, off, s[0:3], 0 offset:200
	buffer_store_dword v3, off, s[0:3], 0 offset:204
	s_waitcnt vmcnt(0)
	ds_write_b64 v107, v[1:2]
.LBB48_257:
	s_or_b32 exec_lo, exec_lo, s4
	s_waitcnt lgkmcnt(0)
	s_waitcnt_vscnt null, 0x0
	s_barrier
	buffer_gl0_inv
	s_clause 0x2f
	buffer_load_dword v8, off, s[0:3], 0 offset:212
	buffer_load_dword v148, off, s[0:3], 0 offset:220
	buffer_load_dword v149, off, s[0:3], 0 offset:228
	buffer_load_dword v150, off, s[0:3], 0 offset:236
	buffer_load_dword v151, off, s[0:3], 0 offset:244
	buffer_load_dword v152, off, s[0:3], 0 offset:252
	buffer_load_dword v153, off, s[0:3], 0 offset:260
	buffer_load_dword v154, off, s[0:3], 0 offset:268
	buffer_load_dword v155, off, s[0:3], 0 offset:276
	buffer_load_dword v156, off, s[0:3], 0 offset:284
	buffer_load_dword v157, off, s[0:3], 0 offset:292
	buffer_load_dword v158, off, s[0:3], 0 offset:300
	buffer_load_dword v159, off, s[0:3], 0 offset:308
	buffer_load_dword v160, off, s[0:3], 0 offset:316
	buffer_load_dword v161, off, s[0:3], 0 offset:324
	buffer_load_dword v162, off, s[0:3], 0 offset:332
	buffer_load_dword v163, off, s[0:3], 0 offset:340
	buffer_load_dword v164, off, s[0:3], 0 offset:348
	buffer_load_dword v165, off, s[0:3], 0 offset:356
	buffer_load_dword v166, off, s[0:3], 0 offset:364
	buffer_load_dword v167, off, s[0:3], 0 offset:372
	buffer_load_dword v168, off, s[0:3], 0 offset:380
	buffer_load_dword v169, off, s[0:3], 0 offset:388
	buffer_load_dword v170, off, s[0:3], 0 offset:208
	buffer_load_dword v171, off, s[0:3], 0 offset:216
	buffer_load_dword v172, off, s[0:3], 0 offset:224
	buffer_load_dword v173, off, s[0:3], 0 offset:232
	buffer_load_dword v174, off, s[0:3], 0 offset:240
	buffer_load_dword v175, off, s[0:3], 0 offset:248
	buffer_load_dword v176, off, s[0:3], 0 offset:256
	buffer_load_dword v177, off, s[0:3], 0 offset:264
	buffer_load_dword v178, off, s[0:3], 0 offset:272
	buffer_load_dword v179, off, s[0:3], 0 offset:280
	buffer_load_dword v180, off, s[0:3], 0 offset:288
	buffer_load_dword v181, off, s[0:3], 0 offset:296
	buffer_load_dword v182, off, s[0:3], 0 offset:304
	buffer_load_dword v183, off, s[0:3], 0 offset:312
	buffer_load_dword v184, off, s[0:3], 0 offset:320
	buffer_load_dword v185, off, s[0:3], 0 offset:328
	buffer_load_dword v186, off, s[0:3], 0 offset:336
	buffer_load_dword v187, off, s[0:3], 0 offset:344
	buffer_load_dword v188, off, s[0:3], 0 offset:352
	buffer_load_dword v189, off, s[0:3], 0 offset:360
	buffer_load_dword v190, off, s[0:3], 0 offset:368
	buffer_load_dword v191, off, s[0:3], 0 offset:376
	buffer_load_dword v192, off, s[0:3], 0 offset:384
	buffer_load_dword v193, off, s[0:3], 0 offset:200
	buffer_load_dword v194, off, s[0:3], 0 offset:204
	v_mov_b32_e32 v1, 0
	ds_read_b128 v[2:5], v1 offset:608
	ds_read_b128 v[108:111], v1 offset:624
	;; [unrolled: 1-line block ×11, first 2 shown]
	ds_read_b64 v[6:7], v1 offset:784
	s_mov_b32 s4, exec_lo
	s_waitcnt vmcnt(47) lgkmcnt(11)
	v_mul_f32_e32 v195, v2, v8
	v_mul_f32_e32 v8, v3, v8
	s_waitcnt vmcnt(46)
	v_mul_f32_e32 v196, v4, v148
	v_mul_f32_e32 v148, v5, v148
	s_waitcnt vmcnt(45) lgkmcnt(10)
	v_mul_f32_e32 v197, v108, v149
	s_waitcnt vmcnt(44)
	v_mul_f32_e32 v198, v110, v150
	s_waitcnt vmcnt(43) lgkmcnt(9)
	v_mul_f32_e32 v199, v112, v151
	s_waitcnt vmcnt(42)
	;; [unrolled: 4-line block ×10, first 2 shown]
	v_fma_f32 v2, v2, v170, -v8
	v_fmac_f32_e32 v195, v3, v170
	v_mul_f32_e32 v3, v109, v149
	s_waitcnt vmcnt(23)
	v_fma_f32 v4, v4, v171, -v148
	v_fmac_f32_e32 v196, v5, v171
	v_add_f32_e32 v2, 0, v2
	v_add_f32_e32 v5, 0, v195
	v_mul_f32_e32 v8, v111, v150
	s_waitcnt vmcnt(22)
	v_fma_f32 v3, v108, v172, -v3
	v_fmac_f32_e32 v197, v109, v172
	v_add_f32_e32 v2, v2, v4
	v_add_f32_e32 v4, v5, v196
	;; [unrolled: 6-line block ×19, first 2 shown]
	v_mul_f32_e32 v8, v147, v168
	s_waitcnt vmcnt(4)
	v_fma_f32 v4, v144, v190, -v4
	v_mul_f32_e32 v216, v146, v168
	v_add_f32_e32 v2, v2, v5
	v_fmac_f32_e32 v215, v145, v190
	v_add_f32_e32 v3, v3, v214
	s_waitcnt lgkmcnt(0)
	v_mul_f32_e32 v5, v7, v169
	s_waitcnt vmcnt(3)
	v_fma_f32 v8, v146, v191, -v8
	v_add_f32_e32 v2, v2, v4
	v_mul_f32_e32 v217, v6, v169
	v_fmac_f32_e32 v216, v147, v191
	v_add_f32_e32 v3, v3, v215
	s_waitcnt vmcnt(2)
	v_fma_f32 v4, v6, v192, -v5
	v_add_f32_e32 v2, v2, v8
	v_fmac_f32_e32 v217, v7, v192
	v_add_f32_e32 v3, v3, v216
	v_add_f32_e32 v2, v2, v4
	;; [unrolled: 1-line block ×3, first 2 shown]
	s_waitcnt vmcnt(1)
	v_sub_f32_e32 v2, v193, v2
	s_waitcnt vmcnt(0)
	v_sub_f32_e32 v3, v194, v3
	buffer_store_dword v2, off, s[0:3], 0 offset:200
	buffer_store_dword v3, off, s[0:3], 0 offset:204
	v_cmpx_lt_u32_e32 24, v0
	s_cbranch_execz .LBB48_259
; %bb.258:
	s_clause 0x1
	buffer_load_dword v2, off, s[0:3], 0 offset:192
	buffer_load_dword v3, off, s[0:3], 0 offset:196
	buffer_store_dword v1, off, s[0:3], 0 offset:192
	buffer_store_dword v1, off, s[0:3], 0 offset:196
	s_waitcnt vmcnt(0)
	ds_write_b64 v107, v[2:3]
.LBB48_259:
	s_or_b32 exec_lo, exec_lo, s4
	s_waitcnt lgkmcnt(0)
	s_waitcnt_vscnt null, 0x0
	s_barrier
	buffer_gl0_inv
	s_clause 0x31
	buffer_load_dword v6, off, s[0:3], 0 offset:204
	buffer_load_dword v7, off, s[0:3], 0 offset:212
	;; [unrolled: 1-line block ×50, first 2 shown]
	ds_read2_b64 v[2:5], v1 offset0:75 offset1:76
	ds_read2_b64 v[108:111], v1 offset0:77 offset1:78
	;; [unrolled: 1-line block ×12, first 2 shown]
	s_mov_b32 s4, exec_lo
	s_waitcnt vmcnt(49) lgkmcnt(11)
	v_mul_f32_e32 v1, v2, v6
	v_mul_f32_e32 v6, v3, v6
	s_waitcnt vmcnt(48)
	v_mul_f32_e32 v199, v4, v7
	v_mul_f32_e32 v7, v5, v7
	s_waitcnt vmcnt(47) lgkmcnt(10)
	v_mul_f32_e32 v200, v108, v8
	s_waitcnt vmcnt(46)
	v_mul_f32_e32 v201, v110, v152
	s_waitcnt vmcnt(45) lgkmcnt(9)
	v_mul_f32_e32 v202, v112, v153
	s_waitcnt vmcnt(44)
	;; [unrolled: 4-line block ×10, first 2 shown]
	v_mul_f32_e32 v219, v146, v170
	s_waitcnt vmcnt(25)
	v_fma_f32 v2, v2, v173, -v6
	v_fmac_f32_e32 v1, v3, v173
	v_mul_f32_e32 v3, v109, v8
	s_waitcnt vmcnt(24)
	v_fma_f32 v4, v4, v174, -v7
	v_fmac_f32_e32 v199, v5, v174
	v_add_f32_e32 v2, 0, v2
	v_add_f32_e32 v1, 0, v1
	v_mul_f32_e32 v5, v111, v152
	s_waitcnt vmcnt(23)
	v_fma_f32 v3, v108, v175, -v3
	v_fmac_f32_e32 v200, v109, v175
	v_add_f32_e32 v2, v2, v4
	v_add_f32_e32 v1, v1, v199
	v_mul_f32_e32 v4, v113, v153
	s_waitcnt vmcnt(22)
	v_fma_f32 v5, v110, v176, -v5
	v_fmac_f32_e32 v201, v111, v176
	v_add_f32_e32 v2, v2, v3
	v_add_f32_e32 v1, v1, v200
	v_mul_f32_e32 v3, v115, v154
	s_waitcnt vmcnt(21)
	v_fma_f32 v4, v112, v177, -v4
	v_fmac_f32_e32 v202, v113, v177
	v_add_f32_e32 v2, v2, v5
	v_add_f32_e32 v1, v1, v201
	v_mul_f32_e32 v5, v117, v155
	s_waitcnt vmcnt(20)
	v_fma_f32 v3, v114, v178, -v3
	v_fmac_f32_e32 v203, v115, v178
	v_add_f32_e32 v2, v2, v4
	v_add_f32_e32 v1, v1, v202
	v_mul_f32_e32 v4, v119, v156
	s_waitcnt vmcnt(19)
	v_fma_f32 v5, v116, v179, -v5
	v_fmac_f32_e32 v204, v117, v179
	v_add_f32_e32 v2, v2, v3
	v_add_f32_e32 v1, v1, v203
	v_mul_f32_e32 v3, v121, v157
	s_waitcnt vmcnt(18)
	v_fma_f32 v4, v118, v180, -v4
	v_fmac_f32_e32 v205, v119, v180
	v_add_f32_e32 v2, v2, v5
	v_add_f32_e32 v1, v1, v204
	v_mul_f32_e32 v5, v123, v158
	s_waitcnt vmcnt(17)
	v_fma_f32 v3, v120, v181, -v3
	v_fmac_f32_e32 v206, v121, v181
	v_add_f32_e32 v2, v2, v4
	v_add_f32_e32 v1, v1, v205
	v_mul_f32_e32 v4, v125, v159
	s_waitcnt vmcnt(16)
	v_fma_f32 v5, v122, v182, -v5
	v_fmac_f32_e32 v207, v123, v182
	v_add_f32_e32 v2, v2, v3
	v_add_f32_e32 v1, v1, v206
	v_mul_f32_e32 v3, v127, v160
	s_waitcnt vmcnt(15)
	v_fma_f32 v4, v124, v183, -v4
	v_fmac_f32_e32 v208, v125, v183
	v_add_f32_e32 v2, v2, v5
	v_add_f32_e32 v1, v1, v207
	v_mul_f32_e32 v5, v129, v161
	s_waitcnt vmcnt(14)
	v_fma_f32 v3, v126, v184, -v3
	v_fmac_f32_e32 v209, v127, v184
	v_add_f32_e32 v2, v2, v4
	v_add_f32_e32 v1, v1, v208
	v_mul_f32_e32 v4, v131, v162
	s_waitcnt vmcnt(13)
	v_fma_f32 v5, v128, v185, -v5
	v_fmac_f32_e32 v210, v129, v185
	v_add_f32_e32 v2, v2, v3
	v_add_f32_e32 v1, v1, v209
	v_mul_f32_e32 v3, v133, v163
	s_waitcnt vmcnt(12)
	v_fma_f32 v4, v130, v186, -v4
	v_fmac_f32_e32 v211, v131, v186
	v_add_f32_e32 v2, v2, v5
	v_add_f32_e32 v1, v1, v210
	v_mul_f32_e32 v5, v135, v164
	s_waitcnt vmcnt(11)
	v_fma_f32 v3, v132, v187, -v3
	v_fmac_f32_e32 v212, v133, v187
	v_add_f32_e32 v2, v2, v4
	v_add_f32_e32 v1, v1, v211
	v_mul_f32_e32 v4, v137, v165
	s_waitcnt vmcnt(10)
	v_fma_f32 v5, v134, v188, -v5
	v_fmac_f32_e32 v213, v135, v188
	v_add_f32_e32 v2, v2, v3
	v_add_f32_e32 v1, v1, v212
	v_mul_f32_e32 v3, v139, v166
	s_waitcnt vmcnt(9)
	v_fma_f32 v4, v136, v189, -v4
	v_fmac_f32_e32 v214, v137, v189
	v_add_f32_e32 v2, v2, v5
	v_add_f32_e32 v1, v1, v213
	v_mul_f32_e32 v5, v141, v167
	s_waitcnt vmcnt(8)
	v_fma_f32 v3, v138, v190, -v3
	v_fmac_f32_e32 v215, v139, v190
	v_add_f32_e32 v2, v2, v4
	v_add_f32_e32 v1, v1, v214
	v_mul_f32_e32 v4, v143, v168
	s_waitcnt vmcnt(7)
	v_fma_f32 v5, v140, v191, -v5
	v_fmac_f32_e32 v216, v141, v191
	v_add_f32_e32 v2, v2, v3
	v_add_f32_e32 v1, v1, v215
	v_mul_f32_e32 v3, v145, v169
	s_waitcnt vmcnt(6)
	v_fma_f32 v4, v142, v192, -v4
	v_fmac_f32_e32 v217, v143, v192
	v_add_f32_e32 v2, v2, v5
	v_add_f32_e32 v1, v1, v216
	v_mul_f32_e32 v5, v147, v170
	s_waitcnt vmcnt(5)
	v_fma_f32 v3, v144, v193, -v3
	v_fmac_f32_e32 v218, v145, v193
	v_add_f32_e32 v2, v2, v4
	v_add_f32_e32 v1, v1, v217
	s_waitcnt lgkmcnt(0)
	v_mul_f32_e32 v4, v149, v171
	s_waitcnt vmcnt(4)
	v_fma_f32 v5, v146, v194, -v5
	v_mul_f32_e32 v220, v148, v171
	v_add_f32_e32 v2, v2, v3
	v_fmac_f32_e32 v219, v147, v194
	v_add_f32_e32 v1, v1, v218
	v_mul_f32_e32 v3, v151, v172
	s_waitcnt vmcnt(3)
	v_fma_f32 v4, v148, v195, -v4
	v_add_f32_e32 v2, v2, v5
	v_mul_f32_e32 v221, v150, v172
	v_fmac_f32_e32 v220, v149, v195
	v_add_f32_e32 v1, v1, v219
	s_waitcnt vmcnt(2)
	v_fma_f32 v3, v150, v196, -v3
	v_add_f32_e32 v2, v2, v4
	v_fmac_f32_e32 v221, v151, v196
	v_add_f32_e32 v1, v1, v220
	v_add_f32_e32 v2, v2, v3
	;; [unrolled: 1-line block ×3, first 2 shown]
	s_waitcnt vmcnt(1)
	v_sub_f32_e32 v2, v197, v2
	s_waitcnt vmcnt(0)
	v_sub_f32_e32 v1, v198, v1
	buffer_store_dword v2, off, s[0:3], 0 offset:192
	buffer_store_dword v1, off, s[0:3], 0 offset:196
	v_cmpx_lt_u32_e32 23, v0
	s_cbranch_execz .LBB48_261
; %bb.260:
	s_clause 0x1
	buffer_load_dword v1, off, s[0:3], 0 offset:184
	buffer_load_dword v2, off, s[0:3], 0 offset:188
	v_mov_b32_e32 v3, 0
	buffer_store_dword v3, off, s[0:3], 0 offset:184
	buffer_store_dword v3, off, s[0:3], 0 offset:188
	s_waitcnt vmcnt(0)
	ds_write_b64 v107, v[1:2]
.LBB48_261:
	s_or_b32 exec_lo, exec_lo, s4
	s_waitcnt lgkmcnt(0)
	s_waitcnt_vscnt null, 0x0
	s_barrier
	buffer_gl0_inv
	s_clause 0x33
	buffer_load_dword v8, off, s[0:3], 0 offset:196
	buffer_load_dword v152, off, s[0:3], 0 offset:204
	;; [unrolled: 1-line block ×52, first 2 shown]
	v_mov_b32_e32 v1, 0
	ds_read_b128 v[2:5], v1 offset:592
	ds_read_b128 v[108:111], v1 offset:608
	;; [unrolled: 1-line block ×12, first 2 shown]
	ds_read_b64 v[6:7], v1 offset:784
	s_mov_b32 s4, exec_lo
	s_waitcnt vmcnt(51) lgkmcnt(12)
	v_mul_f32_e32 v203, v2, v8
	v_mul_f32_e32 v8, v3, v8
	s_waitcnt vmcnt(50)
	v_mul_f32_e32 v204, v4, v152
	v_mul_f32_e32 v152, v5, v152
	s_waitcnt vmcnt(49) lgkmcnt(11)
	v_mul_f32_e32 v205, v108, v153
	s_waitcnt vmcnt(48)
	v_mul_f32_e32 v206, v110, v154
	s_waitcnt vmcnt(47) lgkmcnt(10)
	v_mul_f32_e32 v207, v112, v155
	s_waitcnt vmcnt(46)
	;; [unrolled: 4-line block ×11, first 2 shown]
	v_fma_f32 v2, v2, v176, -v8
	v_fmac_f32_e32 v203, v3, v176
	v_mul_f32_e32 v3, v109, v153
	s_waitcnt vmcnt(25)
	v_fma_f32 v4, v4, v177, -v152
	v_fmac_f32_e32 v204, v5, v177
	v_add_f32_e32 v2, 0, v2
	v_add_f32_e32 v5, 0, v203
	v_mul_f32_e32 v8, v111, v154
	s_waitcnt vmcnt(24)
	v_fma_f32 v3, v108, v178, -v3
	v_fmac_f32_e32 v205, v109, v178
	v_add_f32_e32 v2, v2, v4
	v_add_f32_e32 v4, v5, v204
	;; [unrolled: 6-line block ×21, first 2 shown]
	v_mul_f32_e32 v4, v151, v174
	s_waitcnt vmcnt(4)
	v_fma_f32 v5, v148, v198, -v5
	v_mul_f32_e32 v226, v150, v174
	v_add_f32_e32 v2, v2, v8
	v_fmac_f32_e32 v225, v149, v198
	v_add_f32_e32 v3, v3, v224
	s_waitcnt lgkmcnt(0)
	v_mul_f32_e32 v8, v7, v175
	s_waitcnt vmcnt(3)
	v_fma_f32 v4, v150, v199, -v4
	v_add_f32_e32 v2, v2, v5
	v_mul_f32_e32 v227, v6, v175
	v_fmac_f32_e32 v226, v151, v199
	v_add_f32_e32 v3, v3, v225
	s_waitcnt vmcnt(2)
	v_fma_f32 v5, v6, v200, -v8
	v_add_f32_e32 v2, v2, v4
	v_fmac_f32_e32 v227, v7, v200
	v_add_f32_e32 v3, v3, v226
	v_add_f32_e32 v2, v2, v5
	;; [unrolled: 1-line block ×3, first 2 shown]
	s_waitcnt vmcnt(1)
	v_sub_f32_e32 v2, v201, v2
	s_waitcnt vmcnt(0)
	v_sub_f32_e32 v3, v202, v3
	buffer_store_dword v2, off, s[0:3], 0 offset:184
	buffer_store_dword v3, off, s[0:3], 0 offset:188
	v_cmpx_lt_u32_e32 22, v0
	s_cbranch_execz .LBB48_263
; %bb.262:
	s_clause 0x1
	buffer_load_dword v2, off, s[0:3], 0 offset:176
	buffer_load_dword v3, off, s[0:3], 0 offset:180
	buffer_store_dword v1, off, s[0:3], 0 offset:176
	buffer_store_dword v1, off, s[0:3], 0 offset:180
	s_waitcnt vmcnt(0)
	ds_write_b64 v107, v[2:3]
.LBB48_263:
	s_or_b32 exec_lo, exec_lo, s4
	s_waitcnt lgkmcnt(0)
	s_waitcnt_vscnt null, 0x0
	s_barrier
	buffer_gl0_inv
	s_clause 0x35
	buffer_load_dword v6, off, s[0:3], 0 offset:188
	buffer_load_dword v7, off, s[0:3], 0 offset:196
	;; [unrolled: 1-line block ×54, first 2 shown]
	ds_read2_b64 v[2:5], v1 offset0:73 offset1:74
	ds_read2_b64 v[108:111], v1 offset0:75 offset1:76
	;; [unrolled: 1-line block ×13, first 2 shown]
	s_mov_b32 s4, exec_lo
	s_waitcnt vmcnt(53) lgkmcnt(12)
	v_mul_f32_e32 v1, v2, v6
	v_mul_f32_e32 v6, v3, v6
	s_waitcnt vmcnt(52)
	v_mul_f32_e32 v207, v4, v7
	v_mul_f32_e32 v7, v5, v7
	s_waitcnt vmcnt(51) lgkmcnt(11)
	v_mul_f32_e32 v208, v108, v8
	s_waitcnt vmcnt(50)
	v_mul_f32_e32 v209, v110, v156
	s_waitcnt vmcnt(49) lgkmcnt(10)
	v_mul_f32_e32 v210, v112, v157
	s_waitcnt vmcnt(48)
	;; [unrolled: 4-line block ×11, first 2 shown]
	v_mul_f32_e32 v229, v150, v176
	s_waitcnt vmcnt(27)
	v_fma_f32 v2, v2, v179, -v6
	v_fmac_f32_e32 v1, v3, v179
	v_mul_f32_e32 v3, v109, v8
	s_waitcnt vmcnt(26)
	v_fma_f32 v4, v4, v180, -v7
	v_fmac_f32_e32 v207, v5, v180
	v_add_f32_e32 v2, 0, v2
	v_add_f32_e32 v1, 0, v1
	v_mul_f32_e32 v5, v111, v156
	s_waitcnt vmcnt(25)
	v_fma_f32 v3, v108, v181, -v3
	v_fmac_f32_e32 v208, v109, v181
	v_add_f32_e32 v2, v2, v4
	v_add_f32_e32 v1, v1, v207
	;; [unrolled: 6-line block ×22, first 2 shown]
	s_waitcnt lgkmcnt(0)
	v_mul_f32_e32 v5, v153, v177
	s_waitcnt vmcnt(4)
	v_fma_f32 v3, v150, v202, -v3
	v_mul_f32_e32 v230, v152, v177
	v_add_f32_e32 v2, v2, v4
	v_fmac_f32_e32 v229, v151, v202
	v_add_f32_e32 v1, v1, v228
	v_mul_f32_e32 v4, v155, v178
	s_waitcnt vmcnt(3)
	v_fma_f32 v5, v152, v203, -v5
	v_add_f32_e32 v2, v2, v3
	v_mul_f32_e32 v231, v154, v178
	v_fmac_f32_e32 v230, v153, v203
	v_add_f32_e32 v1, v1, v229
	s_waitcnt vmcnt(2)
	v_fma_f32 v3, v154, v204, -v4
	v_add_f32_e32 v2, v2, v5
	v_fmac_f32_e32 v231, v155, v204
	v_add_f32_e32 v1, v1, v230
	v_add_f32_e32 v2, v2, v3
	;; [unrolled: 1-line block ×3, first 2 shown]
	s_waitcnt vmcnt(1)
	v_sub_f32_e32 v2, v205, v2
	s_waitcnt vmcnt(0)
	v_sub_f32_e32 v1, v206, v1
	buffer_store_dword v2, off, s[0:3], 0 offset:176
	buffer_store_dword v1, off, s[0:3], 0 offset:180
	v_cmpx_lt_u32_e32 21, v0
	s_cbranch_execz .LBB48_265
; %bb.264:
	s_clause 0x1
	buffer_load_dword v1, off, s[0:3], 0 offset:168
	buffer_load_dword v2, off, s[0:3], 0 offset:172
	v_mov_b32_e32 v3, 0
	buffer_store_dword v3, off, s[0:3], 0 offset:168
	buffer_store_dword v3, off, s[0:3], 0 offset:172
	s_waitcnt vmcnt(0)
	ds_write_b64 v107, v[1:2]
.LBB48_265:
	s_or_b32 exec_lo, exec_lo, s4
	s_waitcnt lgkmcnt(0)
	s_waitcnt_vscnt null, 0x0
	s_barrier
	buffer_gl0_inv
	s_clause 0x37
	buffer_load_dword v8, off, s[0:3], 0 offset:180
	buffer_load_dword v156, off, s[0:3], 0 offset:188
	;; [unrolled: 1-line block ×56, first 2 shown]
	v_mov_b32_e32 v1, 0
	ds_read_b128 v[2:5], v1 offset:576
	ds_read_b128 v[108:111], v1 offset:592
	;; [unrolled: 1-line block ×13, first 2 shown]
	ds_read_b64 v[6:7], v1 offset:784
	s_mov_b32 s4, exec_lo
	s_waitcnt vmcnt(55) lgkmcnt(13)
	v_mul_f32_e32 v211, v2, v8
	v_mul_f32_e32 v8, v3, v8
	s_waitcnt vmcnt(54)
	v_mul_f32_e32 v212, v4, v156
	v_mul_f32_e32 v156, v5, v156
	s_waitcnt vmcnt(53) lgkmcnt(12)
	v_mul_f32_e32 v213, v108, v157
	s_waitcnt vmcnt(52)
	v_mul_f32_e32 v214, v110, v158
	s_waitcnt vmcnt(51) lgkmcnt(11)
	v_mul_f32_e32 v215, v112, v159
	s_waitcnt vmcnt(50)
	v_mul_f32_e32 v216, v114, v160
	s_waitcnt vmcnt(49) lgkmcnt(10)
	v_mul_f32_e32 v217, v116, v161
	s_waitcnt vmcnt(48)
	v_mul_f32_e32 v218, v118, v162
	s_waitcnt vmcnt(47) lgkmcnt(9)
	v_mul_f32_e32 v219, v120, v163
	s_waitcnt vmcnt(46)
	v_mul_f32_e32 v220, v122, v164
	s_waitcnt vmcnt(45) lgkmcnt(8)
	v_mul_f32_e32 v221, v124, v165
	s_waitcnt vmcnt(44)
	v_mul_f32_e32 v222, v126, v166
	s_waitcnt vmcnt(43) lgkmcnt(7)
	v_mul_f32_e32 v223, v128, v167
	s_waitcnt vmcnt(42)
	v_mul_f32_e32 v224, v130, v168
	s_waitcnt vmcnt(41) lgkmcnt(6)
	v_mul_f32_e32 v225, v132, v169
	s_waitcnt vmcnt(40)
	v_mul_f32_e32 v226, v134, v170
	s_waitcnt vmcnt(39) lgkmcnt(5)
	v_mul_f32_e32 v227, v136, v171
	s_waitcnt vmcnt(38)
	v_mul_f32_e32 v228, v138, v172
	s_waitcnt vmcnt(37) lgkmcnt(4)
	v_mul_f32_e32 v229, v140, v173
	s_waitcnt vmcnt(36)
	v_mul_f32_e32 v230, v142, v174
	s_waitcnt vmcnt(35) lgkmcnt(3)
	v_mul_f32_e32 v231, v144, v175
	s_waitcnt vmcnt(34)
	v_mul_f32_e32 v232, v146, v176
	s_waitcnt vmcnt(33) lgkmcnt(2)
	v_mul_f32_e32 v233, v148, v177
	s_waitcnt vmcnt(32)
	v_mul_f32_e32 v234, v150, v178
	s_waitcnt vmcnt(31) lgkmcnt(1)
	v_mul_f32_e32 v235, v152, v179
	s_waitcnt vmcnt(28)
	v_fma_f32 v2, v2, v182, -v8
	v_fmac_f32_e32 v211, v3, v182
	v_mul_f32_e32 v3, v109, v157
	s_waitcnt vmcnt(27)
	v_fma_f32 v4, v4, v183, -v156
	v_fmac_f32_e32 v212, v5, v183
	v_add_f32_e32 v2, 0, v2
	v_add_f32_e32 v5, 0, v211
	v_mul_f32_e32 v8, v111, v158
	s_waitcnt vmcnt(26)
	v_fma_f32 v3, v108, v184, -v3
	v_fmac_f32_e32 v213, v109, v184
	v_add_f32_e32 v2, v2, v4
	v_add_f32_e32 v4, v5, v212
	;; [unrolled: 6-line block ×23, first 2 shown]
	v_mul_f32_e32 v5, v155, v180
	s_waitcnt vmcnt(4)
	v_fma_f32 v8, v152, v206, -v8
	v_mul_f32_e32 v236, v154, v180
	v_add_f32_e32 v2, v2, v4
	v_fmac_f32_e32 v235, v153, v206
	v_add_f32_e32 v3, v3, v234
	s_waitcnt lgkmcnt(0)
	v_mul_f32_e32 v4, v7, v181
	s_waitcnt vmcnt(3)
	v_fma_f32 v5, v154, v207, -v5
	v_add_f32_e32 v2, v2, v8
	v_mul_f32_e32 v237, v6, v181
	v_fmac_f32_e32 v236, v155, v207
	v_add_f32_e32 v3, v3, v235
	s_waitcnt vmcnt(2)
	v_fma_f32 v4, v6, v208, -v4
	v_add_f32_e32 v2, v2, v5
	v_fmac_f32_e32 v237, v7, v208
	v_add_f32_e32 v3, v3, v236
	v_add_f32_e32 v2, v2, v4
	;; [unrolled: 1-line block ×3, first 2 shown]
	s_waitcnt vmcnt(1)
	v_sub_f32_e32 v2, v209, v2
	s_waitcnt vmcnt(0)
	v_sub_f32_e32 v3, v210, v3
	buffer_store_dword v2, off, s[0:3], 0 offset:168
	buffer_store_dword v3, off, s[0:3], 0 offset:172
	v_cmpx_lt_u32_e32 20, v0
	s_cbranch_execz .LBB48_267
; %bb.266:
	s_clause 0x1
	buffer_load_dword v2, off, s[0:3], 0 offset:160
	buffer_load_dword v3, off, s[0:3], 0 offset:164
	buffer_store_dword v1, off, s[0:3], 0 offset:160
	buffer_store_dword v1, off, s[0:3], 0 offset:164
	s_waitcnt vmcnt(0)
	ds_write_b64 v107, v[2:3]
.LBB48_267:
	s_or_b32 exec_lo, exec_lo, s4
	s_waitcnt lgkmcnt(0)
	s_waitcnt_vscnt null, 0x0
	s_barrier
	buffer_gl0_inv
	s_clause 0x39
	buffer_load_dword v6, off, s[0:3], 0 offset:172
	buffer_load_dword v7, off, s[0:3], 0 offset:180
	;; [unrolled: 1-line block ×58, first 2 shown]
	ds_read2_b64 v[2:5], v1 offset0:71 offset1:72
	ds_read2_b64 v[108:111], v1 offset0:73 offset1:74
	;; [unrolled: 1-line block ×14, first 2 shown]
	s_mov_b32 s4, exec_lo
	s_waitcnt vmcnt(57) lgkmcnt(13)
	v_mul_f32_e32 v1, v2, v6
	v_mul_f32_e32 v6, v3, v6
	s_waitcnt vmcnt(56)
	v_mul_f32_e32 v215, v4, v7
	v_mul_f32_e32 v7, v5, v7
	s_waitcnt vmcnt(55) lgkmcnt(12)
	v_mul_f32_e32 v216, v108, v8
	s_waitcnt vmcnt(54)
	v_mul_f32_e32 v217, v110, v160
	s_waitcnt vmcnt(53) lgkmcnt(11)
	v_mul_f32_e32 v218, v112, v161
	s_waitcnt vmcnt(52)
	;; [unrolled: 4-line block ×12, first 2 shown]
	v_mul_f32_e32 v239, v154, v182
	s_waitcnt vmcnt(29)
	v_fma_f32 v2, v2, v185, -v6
	v_fmac_f32_e32 v1, v3, v185
	v_mul_f32_e32 v3, v109, v8
	s_waitcnt vmcnt(28)
	v_fma_f32 v4, v4, v186, -v7
	v_fmac_f32_e32 v215, v5, v186
	v_add_f32_e32 v2, 0, v2
	v_add_f32_e32 v1, 0, v1
	v_mul_f32_e32 v5, v111, v160
	s_waitcnt vmcnt(27)
	v_fma_f32 v3, v108, v187, -v3
	v_fmac_f32_e32 v216, v109, v187
	v_add_f32_e32 v2, v2, v4
	v_add_f32_e32 v1, v1, v215
	;; [unrolled: 6-line block ×24, first 2 shown]
	s_waitcnt lgkmcnt(0)
	v_mul_f32_e32 v3, v157, v183
	s_waitcnt vmcnt(4)
	v_fma_f32 v4, v154, v210, -v4
	v_mul_f32_e32 v240, v156, v183
	v_add_f32_e32 v2, v2, v5
	v_fmac_f32_e32 v239, v155, v210
	v_add_f32_e32 v1, v1, v238
	v_mul_f32_e32 v5, v159, v184
	s_waitcnt vmcnt(3)
	v_fma_f32 v3, v156, v211, -v3
	v_add_f32_e32 v2, v2, v4
	v_mul_f32_e32 v241, v158, v184
	v_fmac_f32_e32 v240, v157, v211
	v_add_f32_e32 v1, v1, v239
	s_waitcnt vmcnt(2)
	v_fma_f32 v4, v158, v212, -v5
	v_add_f32_e32 v2, v2, v3
	v_fmac_f32_e32 v241, v159, v212
	v_add_f32_e32 v1, v1, v240
	v_add_f32_e32 v2, v2, v4
	;; [unrolled: 1-line block ×3, first 2 shown]
	s_waitcnt vmcnt(1)
	v_sub_f32_e32 v2, v213, v2
	s_waitcnt vmcnt(0)
	v_sub_f32_e32 v1, v214, v1
	buffer_store_dword v2, off, s[0:3], 0 offset:160
	buffer_store_dword v1, off, s[0:3], 0 offset:164
	v_cmpx_lt_u32_e32 19, v0
	s_cbranch_execz .LBB48_269
; %bb.268:
	s_clause 0x1
	buffer_load_dword v1, off, s[0:3], 0 offset:152
	buffer_load_dword v2, off, s[0:3], 0 offset:156
	v_mov_b32_e32 v3, 0
	buffer_store_dword v3, off, s[0:3], 0 offset:152
	buffer_store_dword v3, off, s[0:3], 0 offset:156
	s_waitcnt vmcnt(0)
	ds_write_b64 v107, v[1:2]
.LBB48_269:
	s_or_b32 exec_lo, exec_lo, s4
	s_waitcnt lgkmcnt(0)
	s_waitcnt_vscnt null, 0x0
	s_barrier
	buffer_gl0_inv
	s_clause 0x3b
	buffer_load_dword v8, off, s[0:3], 0 offset:164
	buffer_load_dword v160, off, s[0:3], 0 offset:172
	;; [unrolled: 1-line block ×60, first 2 shown]
	v_mov_b32_e32 v1, 0
	ds_read_b128 v[2:5], v1 offset:560
	ds_read_b128 v[108:111], v1 offset:576
	;; [unrolled: 1-line block ×14, first 2 shown]
	ds_read_b64 v[6:7], v1 offset:784
	s_mov_b32 s4, exec_lo
	s_waitcnt vmcnt(59) lgkmcnt(14)
	v_mul_f32_e32 v219, v2, v8
	v_mul_f32_e32 v8, v3, v8
	s_waitcnt vmcnt(58)
	v_mul_f32_e32 v220, v4, v160
	v_mul_f32_e32 v160, v5, v160
	s_waitcnt vmcnt(57) lgkmcnt(13)
	v_mul_f32_e32 v221, v108, v161
	s_waitcnt vmcnt(56)
	v_mul_f32_e32 v222, v110, v162
	s_waitcnt vmcnt(55) lgkmcnt(12)
	v_mul_f32_e32 v223, v112, v163
	s_waitcnt vmcnt(54)
	v_mul_f32_e32 v224, v114, v164
	s_waitcnt vmcnt(53) lgkmcnt(11)
	v_mul_f32_e32 v225, v116, v165
	s_waitcnt vmcnt(52)
	v_mul_f32_e32 v226, v118, v166
	s_waitcnt vmcnt(51) lgkmcnt(10)
	v_mul_f32_e32 v227, v120, v167
	s_waitcnt vmcnt(50)
	v_mul_f32_e32 v228, v122, v168
	s_waitcnt vmcnt(49) lgkmcnt(9)
	v_mul_f32_e32 v229, v124, v169
	s_waitcnt vmcnt(48)
	v_mul_f32_e32 v230, v126, v170
	s_waitcnt vmcnt(47) lgkmcnt(8)
	v_mul_f32_e32 v231, v128, v171
	s_waitcnt vmcnt(46)
	v_mul_f32_e32 v232, v130, v172
	s_waitcnt vmcnt(45) lgkmcnt(7)
	v_mul_f32_e32 v233, v132, v173
	s_waitcnt vmcnt(44)
	v_mul_f32_e32 v234, v134, v174
	s_waitcnt vmcnt(43) lgkmcnt(6)
	v_mul_f32_e32 v235, v136, v175
	s_waitcnt vmcnt(42)
	v_mul_f32_e32 v236, v138, v176
	s_waitcnt vmcnt(41) lgkmcnt(5)
	v_mul_f32_e32 v237, v140, v177
	s_waitcnt vmcnt(40)
	v_mul_f32_e32 v238, v142, v178
	s_waitcnt vmcnt(39) lgkmcnt(4)
	v_mul_f32_e32 v239, v144, v179
	s_waitcnt vmcnt(38)
	v_mul_f32_e32 v240, v146, v180
	s_waitcnt vmcnt(37) lgkmcnt(3)
	v_mul_f32_e32 v241, v148, v181
	s_waitcnt vmcnt(36)
	v_mul_f32_e32 v242, v150, v182
	s_waitcnt vmcnt(35) lgkmcnt(2)
	v_mul_f32_e32 v243, v152, v183
	s_waitcnt vmcnt(34)
	v_mul_f32_e32 v244, v154, v184
	s_waitcnt vmcnt(33) lgkmcnt(1)
	v_mul_f32_e32 v245, v156, v185
	s_waitcnt vmcnt(30)
	v_fma_f32 v2, v2, v188, -v8
	v_fmac_f32_e32 v219, v3, v188
	v_mul_f32_e32 v3, v109, v161
	s_waitcnt vmcnt(29)
	v_fma_f32 v4, v4, v189, -v160
	v_fmac_f32_e32 v220, v5, v189
	v_add_f32_e32 v2, 0, v2
	v_add_f32_e32 v5, 0, v219
	v_mul_f32_e32 v8, v111, v162
	s_waitcnt vmcnt(28)
	v_fma_f32 v3, v108, v190, -v3
	v_fmac_f32_e32 v221, v109, v190
	v_add_f32_e32 v2, v2, v4
	v_add_f32_e32 v4, v5, v220
	;; [unrolled: 6-line block ×25, first 2 shown]
	v_mul_f32_e32 v8, v159, v186
	s_waitcnt vmcnt(4)
	v_fma_f32 v4, v156, v214, -v4
	v_mul_f32_e32 v246, v158, v186
	v_add_f32_e32 v2, v2, v5
	v_fmac_f32_e32 v245, v157, v214
	v_add_f32_e32 v3, v3, v244
	s_waitcnt lgkmcnt(0)
	v_mul_f32_e32 v5, v7, v187
	s_waitcnt vmcnt(3)
	v_fma_f32 v8, v158, v215, -v8
	v_add_f32_e32 v2, v2, v4
	v_mul_f32_e32 v247, v6, v187
	v_fmac_f32_e32 v246, v159, v215
	v_add_f32_e32 v3, v3, v245
	s_waitcnt vmcnt(2)
	v_fma_f32 v4, v6, v216, -v5
	v_add_f32_e32 v2, v2, v8
	v_fmac_f32_e32 v247, v7, v216
	v_add_f32_e32 v3, v3, v246
	v_add_f32_e32 v2, v2, v4
	;; [unrolled: 1-line block ×3, first 2 shown]
	s_waitcnt vmcnt(1)
	v_sub_f32_e32 v2, v217, v2
	s_waitcnt vmcnt(0)
	v_sub_f32_e32 v3, v218, v3
	buffer_store_dword v2, off, s[0:3], 0 offset:152
	buffer_store_dword v3, off, s[0:3], 0 offset:156
	v_cmpx_lt_u32_e32 18, v0
	s_cbranch_execz .LBB48_271
; %bb.270:
	s_clause 0x1
	buffer_load_dword v2, off, s[0:3], 0 offset:144
	buffer_load_dword v3, off, s[0:3], 0 offset:148
	buffer_store_dword v1, off, s[0:3], 0 offset:144
	buffer_store_dword v1, off, s[0:3], 0 offset:148
	s_waitcnt vmcnt(0)
	ds_write_b64 v107, v[2:3]
.LBB48_271:
	s_or_b32 exec_lo, exec_lo, s4
	s_waitcnt lgkmcnt(0)
	s_waitcnt_vscnt null, 0x0
	s_barrier
	buffer_gl0_inv
	s_clause 0x3d
	buffer_load_dword v6, off, s[0:3], 0 offset:156
	buffer_load_dword v7, off, s[0:3], 0 offset:164
	;; [unrolled: 1-line block ×62, first 2 shown]
	ds_read2_b64 v[2:5], v1 offset0:69 offset1:70
	ds_read2_b64 v[108:111], v1 offset0:71 offset1:72
	ds_read2_b64 v[112:115], v1 offset0:73 offset1:74
	ds_read2_b64 v[116:119], v1 offset0:75 offset1:76
	ds_read2_b64 v[120:123], v1 offset0:77 offset1:78
	ds_read2_b64 v[124:127], v1 offset0:79 offset1:80
	ds_read2_b64 v[128:131], v1 offset0:81 offset1:82
	ds_read2_b64 v[132:135], v1 offset0:83 offset1:84
	ds_read2_b64 v[136:139], v1 offset0:85 offset1:86
	ds_read2_b64 v[140:143], v1 offset0:87 offset1:88
	ds_read2_b64 v[144:147], v1 offset0:89 offset1:90
	ds_read2_b64 v[148:151], v1 offset0:91 offset1:92
	ds_read2_b64 v[152:155], v1 offset0:93 offset1:94
	ds_read2_b64 v[156:159], v1 offset0:95 offset1:96
	ds_read2_b64 v[160:163], v1 offset0:97 offset1:98
	s_mov_b32 s4, exec_lo
	s_waitcnt vmcnt(61) lgkmcnt(14)
	v_mul_f32_e32 v1, v2, v6
	v_mul_f32_e32 v6, v3, v6
	s_waitcnt vmcnt(60)
	v_mul_f32_e32 v223, v4, v7
	v_mul_f32_e32 v7, v5, v7
	s_waitcnt vmcnt(59) lgkmcnt(13)
	v_mul_f32_e32 v224, v108, v8
	s_waitcnt vmcnt(58)
	v_mul_f32_e32 v225, v110, v164
	s_waitcnt vmcnt(57) lgkmcnt(12)
	v_mul_f32_e32 v226, v112, v165
	s_waitcnt vmcnt(56)
	;; [unrolled: 4-line block ×13, first 2 shown]
	v_mul_f32_e32 v249, v158, v188
	s_waitcnt vmcnt(31)
	v_fma_f32 v2, v2, v191, -v6
	v_fmac_f32_e32 v1, v3, v191
	v_mul_f32_e32 v3, v109, v8
	s_waitcnt vmcnt(30)
	v_fma_f32 v4, v4, v192, -v7
	v_fmac_f32_e32 v223, v5, v192
	v_add_f32_e32 v2, 0, v2
	v_add_f32_e32 v1, 0, v1
	v_mul_f32_e32 v5, v111, v164
	s_waitcnt vmcnt(29)
	v_fma_f32 v3, v108, v193, -v3
	v_fmac_f32_e32 v224, v109, v193
	v_add_f32_e32 v2, v2, v4
	v_add_f32_e32 v1, v1, v223
	;; [unrolled: 6-line block ×26, first 2 shown]
	s_waitcnt lgkmcnt(0)
	v_mul_f32_e32 v4, v161, v189
	s_waitcnt vmcnt(4)
	v_fma_f32 v5, v158, v218, -v5
	v_mul_f32_e32 v250, v160, v189
	v_add_f32_e32 v2, v2, v3
	v_fmac_f32_e32 v249, v159, v218
	v_add_f32_e32 v1, v1, v248
	v_mul_f32_e32 v3, v163, v190
	s_waitcnt vmcnt(3)
	v_fma_f32 v4, v160, v219, -v4
	v_add_f32_e32 v2, v2, v5
	v_mul_f32_e32 v251, v162, v190
	v_fmac_f32_e32 v250, v161, v219
	v_add_f32_e32 v1, v1, v249
	s_waitcnt vmcnt(2)
	v_fma_f32 v3, v162, v220, -v3
	v_add_f32_e32 v2, v2, v4
	v_fmac_f32_e32 v251, v163, v220
	v_add_f32_e32 v1, v1, v250
	v_add_f32_e32 v2, v2, v3
	;; [unrolled: 1-line block ×3, first 2 shown]
	s_waitcnt vmcnt(1)
	v_sub_f32_e32 v2, v221, v2
	s_waitcnt vmcnt(0)
	v_sub_f32_e32 v1, v222, v1
	buffer_store_dword v2, off, s[0:3], 0 offset:144
	buffer_store_dword v1, off, s[0:3], 0 offset:148
	v_cmpx_lt_u32_e32 17, v0
	s_cbranch_execz .LBB48_273
; %bb.272:
	s_clause 0x1
	buffer_load_dword v1, off, s[0:3], 0 offset:136
	buffer_load_dword v2, off, s[0:3], 0 offset:140
	v_mov_b32_e32 v3, 0
	buffer_store_dword v3, off, s[0:3], 0 offset:136
	buffer_store_dword v3, off, s[0:3], 0 offset:140
	s_waitcnt vmcnt(0)
	ds_write_b64 v107, v[1:2]
.LBB48_273:
	s_or_b32 exec_lo, exec_lo, s4
	s_waitcnt lgkmcnt(0)
	s_waitcnt_vscnt null, 0x0
	s_barrier
	buffer_gl0_inv
	s_clause 0x23
	buffer_load_dword v3, off, s[0:3], 0 offset:148
	buffer_load_dword v4, off, s[0:3], 0 offset:156
	;; [unrolled: 1-line block ×36, first 2 shown]
	v_mov_b32_e32 v1, 0
	ds_read_b128 v[132:135], v1 offset:544
	ds_read_b128 v[136:139], v1 offset:560
	;; [unrolled: 1-line block ×3, first 2 shown]
	s_clause 0x3
	buffer_load_dword v153, off, s[0:3], 0 offset:276
	buffer_load_dword v154, off, s[0:3], 0 offset:284
	;; [unrolled: 1-line block ×4, first 2 shown]
	ds_read_b128 v[144:147], v1 offset:592
	s_mov_b32 s4, exec_lo
	s_waitcnt vmcnt(39) lgkmcnt(3)
	v_mul_f32_e32 v157, v132, v3
	v_mul_f32_e32 v3, v133, v3
	s_waitcnt vmcnt(38)
	v_mul_f32_e32 v158, v134, v4
	v_mul_f32_e32 v4, v135, v4
	s_waitcnt vmcnt(35)
	v_fmac_f32_e32 v157, v133, v108
	v_fma_f32 v159, v132, v108, -v3
	s_waitcnt vmcnt(34) lgkmcnt(2)
	v_mul_f32_e32 v160, v136, v8
	v_mul_f32_e32 v3, v137, v8
	v_fmac_f32_e32 v158, v135, v5
	v_fma_f32 v8, v134, v5, -v4
	ds_read_b128 v[132:135], v1 offset:608
	s_waitcnt vmcnt(33)
	v_mul_f32_e32 v4, v139, v6
	v_mul_f32_e32 v161, v138, v6
	v_fmac_f32_e32 v160, v137, v2
	v_fma_f32 v6, v136, v2, -v3
	s_waitcnt vmcnt(32) lgkmcnt(2)
	v_mul_f32_e32 v136, v140, v7
	s_waitcnt vmcnt(28)
	v_fma_f32 v137, v138, v115, -v4
	ds_read_b128 v[2:5], v1 offset:624
	v_mul_f32_e32 v7, v141, v7
	s_waitcnt vmcnt(27)
	v_mul_f32_e32 v108, v143, v114
	v_mul_f32_e32 v138, v142, v114
	v_fmac_f32_e32 v161, v139, v115
	s_waitcnt vmcnt(26) lgkmcnt(2)
	v_mul_f32_e32 v139, v144, v111
	v_fma_f32 v7, v140, v113, -v7
	v_fma_f32 v140, v142, v110, -v108
	v_mul_f32_e32 v108, v145, v111
	v_fmac_f32_e32 v138, v143, v110
	v_fmac_f32_e32 v136, v141, v113
	s_waitcnt vmcnt(25)
	v_mul_f32_e32 v141, v146, v112
	v_mul_f32_e32 v110, v147, v112
	v_fma_f32 v143, v144, v109, -v108
	s_waitcnt vmcnt(19) lgkmcnt(1)
	v_mul_f32_e32 v144, v134, v122
	v_mul_f32_e32 v122, v135, v122
	;; [unrolled: 1-line block ×4, first 2 shown]
	v_fmac_f32_e32 v139, v145, v109
	v_fmac_f32_e32 v144, v135, v118
	v_fma_f32 v118, v134, v118, -v122
	s_waitcnt vmcnt(17) lgkmcnt(0)
	v_mul_f32_e32 v122, v4, v119
	v_mul_f32_e32 v119, v5, v119
	v_fmac_f32_e32 v141, v147, v123
	v_fma_f32 v123, v146, v123, -v110
	ds_read_b128 v[108:111], v1 offset:640
	ds_read_b128 v[112:115], v1 offset:656
	v_fmac_f32_e32 v142, v133, v120
	v_fma_f32 v116, v132, v120, -v116
	s_waitcnt vmcnt(13)
	v_fmac_f32_e32 v122, v5, v131
	v_fma_f32 v119, v4, v131, -v119
	s_clause 0x6
	buffer_load_dword v131, off, s[0:3], 0 offset:296
	buffer_load_dword v132, off, s[0:3], 0 offset:308
	;; [unrolled: 1-line block ×7, first 2 shown]
	v_mul_f32_e32 v120, v2, v121
	v_mul_f32_e32 v121, v3, v121
	v_fmac_f32_e32 v120, v3, v117
	v_fma_f32 v117, v2, v117, -v121
	s_waitcnt vmcnt(19) lgkmcnt(1)
	v_mul_f32_e32 v121, v108, v130
	v_mul_f32_e32 v2, v109, v130
	s_waitcnt vmcnt(16) lgkmcnt(0)
	v_mul_f32_e32 v164, v114, v128
	v_mul_f32_e32 v130, v110, v129
	;; [unrolled: 1-line block ×3, first 2 shown]
	v_fmac_f32_e32 v121, v109, v126
	v_fma_f32 v126, v108, v126, -v2
	v_mul_f32_e32 v2, v115, v128
	s_waitcnt vmcnt(11)
	v_fmac_f32_e32 v164, v115, v152
	v_mul_f32_e32 v129, v112, v127
	v_mul_f32_e32 v4, v113, v127
	s_clause 0x3
	buffer_load_dword v127, off, s[0:3], 0 offset:332
	buffer_load_dword v147, off, s[0:3], 0 offset:340
	buffer_load_dword v162, off, s[0:3], 0 offset:348
	buffer_load_dword v163, off, s[0:3], 0 offset:356
	v_fma_f32 v152, v114, v152, -v2
	v_add_f32_e32 v2, 0, v157
	s_clause 0x3
	buffer_load_dword v128, off, s[0:3], 0 offset:364
	buffer_load_dword v165, off, s[0:3], 0 offset:372
	;; [unrolled: 1-line block ×4, first 2 shown]
	v_fmac_f32_e32 v130, v111, v125
	v_fma_f32 v125, v110, v125, -v3
	v_add_f32_e32 v2, v2, v158
	s_clause 0x3
	buffer_load_dword v157, off, s[0:3], 0 offset:352
	buffer_load_dword v158, off, s[0:3], 0 offset:344
	buffer_load_dword v168, off, s[0:3], 0 offset:336
	buffer_load_dword v169, off, s[0:3], 0 offset:328
	v_add_f32_e32 v3, 0, v159
	v_fmac_f32_e32 v129, v113, v124
	v_fma_f32 v124, v112, v124, -v4
	v_add_f32_e32 v2, v2, v160
	v_add_f32_e32 v3, v3, v8
	;; [unrolled: 1-line block ×3, first 2 shown]
	s_clause 0x3
	buffer_load_dword v8, off, s[0:3], 0 offset:384
	buffer_load_dword v159, off, s[0:3], 0 offset:376
	;; [unrolled: 1-line block ×4, first 2 shown]
	v_add_f32_e32 v3, v3, v6
	ds_read_b128 v[108:111], v1 offset:688
	v_add_f32_e32 v2, v2, v136
	v_add_f32_e32 v3, v3, v137
	buffer_load_dword v137, off, s[0:3], 0 offset:136
	v_add_f32_e32 v6, v2, v138
	v_add_f32_e32 v3, v3, v7
	;; [unrolled: 1-line block ×4, first 2 shown]
	ds_read_b128 v[2:5], v1 offset:672
	v_add_f32_e32 v6, v6, v141
	v_add_f32_e32 v7, v7, v143
	s_waitcnt vmcnt(25) lgkmcnt(1)
	v_mul_f32_e32 v141, v110, v155
	v_add_f32_e32 v6, v6, v142
	v_add_f32_e32 v7, v7, v123
	;; [unrolled: 1-line block ×5, first 2 shown]
	v_mul_f32_e32 v120, v109, v149
	v_add_f32_e32 v7, v7, v118
	s_waitcnt lgkmcnt(0)
	v_mul_f32_e32 v136, v2, v153
	v_mul_f32_e32 v112, v3, v153
	v_add_f32_e32 v6, v6, v122
	v_mul_f32_e32 v138, v4, v154
	v_mul_f32_e32 v113, v5, v154
	v_fmac_f32_e32 v136, v3, v151
	v_add_f32_e32 v3, v7, v117
	v_add_f32_e32 v6, v6, v121
	v_fma_f32 v139, v2, v151, -v112
	v_fmac_f32_e32 v138, v5, v150
	v_fma_f32 v140, v4, v150, -v113
	v_add_f32_e32 v7, v3, v119
	v_add_f32_e32 v6, v6, v130
	ds_read_b128 v[2:5], v1 offset:704
	ds_read_b128 v[112:115], v1 offset:720
	v_fma_f32 v142, v108, v148, -v120
	ds_read_b128 v[116:119], v1 offset:736
	ds_read_b128 v[120:123], v1 offset:752
	v_add_f32_e32 v7, v7, v126
	v_mul_f32_e32 v126, v108, v149
	v_add_f32_e32 v7, v7, v125
	v_mul_f32_e32 v125, v111, v155
	v_fmac_f32_e32 v126, v109, v148
	v_add_f32_e32 v7, v7, v124
	s_waitcnt vmcnt(23)
	v_fma_f32 v124, v110, v131, -v125
	v_add_f32_e32 v125, v6, v129
	v_add_f32_e32 v129, v7, v152
	s_waitcnt vmcnt(22) lgkmcnt(3)
	v_mul_f32_e32 v130, v2, v132
	v_mul_f32_e32 v132, v3, v132
	v_fmac_f32_e32 v141, v111, v131
	v_add_f32_e32 v125, v125, v164
	v_add_f32_e32 v129, v129, v139
	s_waitcnt vmcnt(21)
	v_mul_f32_e32 v131, v4, v133
	v_mul_f32_e32 v133, v5, v133
	s_waitcnt vmcnt(17)
	v_fma_f32 v2, v2, v146, -v132
	v_add_f32_e32 v125, v125, v136
	v_add_f32_e32 v129, v129, v140
	v_fmac_f32_e32 v130, v3, v146
	s_waitcnt lgkmcnt(2)
	v_mul_f32_e32 v132, v113, v134
	v_fma_f32 v4, v4, v145, -v133
	v_add_f32_e32 v125, v125, v138
	v_add_f32_e32 v129, v129, v142
	v_mul_f32_e32 v136, v112, v134
	v_fmac_f32_e32 v131, v5, v145
	v_fma_f32 v112, v112, v135, -v132
	v_add_f32_e32 v125, v125, v126
	v_add_f32_e32 v124, v129, v124
	v_fmac_f32_e32 v136, v113, v135
	ds_read_b128 v[108:111], v1 offset:768
	ds_read_b64 v[6:7], v1 offset:784
	v_add_f32_e32 v125, v125, v141
	v_add_f32_e32 v2, v124, v2
	s_waitcnt vmcnt(16)
	v_mul_f32_e32 v124, v115, v127
	v_mul_f32_e32 v139, v114, v127
	s_waitcnt vmcnt(15) lgkmcnt(3)
	v_mul_f32_e32 v140, v116, v147
	v_add_f32_e32 v5, v125, v130
	v_add_f32_e32 v2, v2, v4
	s_waitcnt vmcnt(14)
	v_mul_f32_e32 v138, v118, v162
	s_waitcnt vmcnt(13) lgkmcnt(2)
	v_mul_f32_e32 v142, v120, v163
	s_waitcnt vmcnt(12)
	v_mul_f32_e32 v3, v122, v128
	v_add_f32_e32 v4, v5, v131
	v_mul_f32_e32 v5, v117, v147
	v_add_f32_e32 v2, v2, v112
	s_waitcnt vmcnt(5)
	v_fma_f32 v113, v114, v169, -v124
	v_fmac_f32_e32 v139, v115, v169
	v_add_f32_e32 v4, v4, v136
	v_mul_f32_e32 v112, v119, v162
	v_fma_f32 v5, v116, v168, -v5
	v_add_f32_e32 v2, v2, v113
	v_fmac_f32_e32 v140, v117, v168
	v_add_f32_e32 v4, v4, v139
	v_mul_f32_e32 v113, v121, v163
	v_fma_f32 v112, v118, v158, -v112
	v_add_f32_e32 v2, v2, v5
	;; [unrolled: 5-line block ×3, first 2 shown]
	v_fmac_f32_e32 v142, v121, v157
	v_add_f32_e32 v4, v4, v138
	s_waitcnt lgkmcnt(1)
	v_mul_f32_e32 v112, v109, v165
	s_waitcnt vmcnt(1)
	v_fma_f32 v5, v122, v161, -v5
	v_add_f32_e32 v2, v2, v113
	v_mul_f32_e32 v126, v108, v165
	v_fmac_f32_e32 v3, v123, v161
	v_add_f32_e32 v4, v4, v142
	v_mul_f32_e32 v113, v111, v166
	v_fma_f32 v108, v108, v160, -v112
	v_add_f32_e32 v2, v2, v5
	v_mul_f32_e32 v129, v110, v166
	v_fmac_f32_e32 v126, v109, v160
	v_add_f32_e32 v3, v4, v3
	s_waitcnt lgkmcnt(0)
	v_mul_f32_e32 v4, v7, v167
	v_fma_f32 v5, v110, v159, -v113
	v_add_f32_e32 v2, v2, v108
	v_mul_f32_e32 v134, v6, v167
	v_fmac_f32_e32 v129, v111, v159
	v_add_f32_e32 v3, v3, v126
	v_fma_f32 v4, v6, v8, -v4
	v_add_f32_e32 v2, v2, v5
	v_fmac_f32_e32 v134, v7, v8
	v_add_f32_e32 v3, v3, v129
	v_add_f32_e32 v2, v2, v4
	;; [unrolled: 1-line block ×3, first 2 shown]
	s_waitcnt vmcnt(0)
	v_sub_f32_e32 v2, v137, v2
	v_sub_f32_e32 v3, v156, v3
	buffer_store_dword v2, off, s[0:3], 0 offset:136
	buffer_store_dword v3, off, s[0:3], 0 offset:140
	v_cmpx_lt_u32_e32 16, v0
	s_cbranch_execz .LBB48_275
; %bb.274:
	s_clause 0x1
	buffer_load_dword v2, off, s[0:3], 0 offset:128
	buffer_load_dword v3, off, s[0:3], 0 offset:132
	buffer_store_dword v1, off, s[0:3], 0 offset:128
	buffer_store_dword v1, off, s[0:3], 0 offset:132
	s_waitcnt vmcnt(0)
	ds_write_b64 v107, v[2:3]
.LBB48_275:
	s_or_b32 exec_lo, exec_lo, s4
	s_waitcnt lgkmcnt(0)
	s_waitcnt_vscnt null, 0x0
	s_barrier
	buffer_gl0_inv
	s_clause 0x23
	buffer_load_dword v3, off, s[0:3], 0 offset:140
	buffer_load_dword v4, off, s[0:3], 0 offset:148
	;; [unrolled: 1-line block ×36, first 2 shown]
	ds_read2_b64 v[132:135], v1 offset0:67 offset1:68
	ds_read2_b64 v[136:139], v1 offset0:69 offset1:70
	s_clause 0x1
	buffer_load_dword v153, off, s[0:3], 0 offset:268
	buffer_load_dword v154, off, s[0:3], 0 offset:276
	ds_read2_b64 v[140:143], v1 offset0:71 offset1:72
	ds_read2_b64 v[144:147], v1 offset0:73 offset1:74
	buffer_load_dword v155, off, s[0:3], 0 offset:132
	s_mov_b32 s4, exec_lo
	s_waitcnt vmcnt(38) lgkmcnt(3)
	v_mul_f32_e32 v156, v132, v3
	v_mul_f32_e32 v3, v133, v3
	s_waitcnt vmcnt(37)
	v_mul_f32_e32 v157, v134, v4
	v_mul_f32_e32 v4, v135, v4
	s_waitcnt vmcnt(36) lgkmcnt(2)
	v_mul_f32_e32 v158, v136, v5
	s_waitcnt vmcnt(33)
	v_fmac_f32_e32 v156, v133, v8
	v_fma_f32 v8, v132, v8, -v3
	v_mul_f32_e32 v3, v137, v5
	s_waitcnt vmcnt(32)
	v_mul_f32_e32 v5, v139, v7
	v_mul_f32_e32 v159, v138, v7
	v_fmac_f32_e32 v157, v135, v6
	v_fma_f32 v6, v134, v6, -v4
	v_fmac_f32_e32 v158, v137, v2
	v_fma_f32 v7, v136, v2, -v3
	s_waitcnt vmcnt(28)
	v_fma_f32 v136, v138, v115, -v5
	ds_read2_b64 v[2:5], v1 offset0:75 offset1:76
	ds_read2_b64 v[132:135], v1 offset0:77 offset1:78
	s_waitcnt vmcnt(27) lgkmcnt(3)
	v_mul_f32_e32 v137, v140, v114
	v_mul_f32_e32 v114, v141, v114
	v_fmac_f32_e32 v159, v139, v115
	s_waitcnt vmcnt(26)
	v_mul_f32_e32 v138, v142, v113
	v_mul_f32_e32 v113, v143, v113
	s_waitcnt vmcnt(25) lgkmcnt(2)
	v_mul_f32_e32 v139, v144, v111
	v_fmac_f32_e32 v137, v141, v110
	v_fma_f32 v140, v140, v110, -v114
	s_waitcnt vmcnt(24)
	v_mul_f32_e32 v141, v146, v112
	v_mul_f32_e32 v110, v145, v111
	v_mul_f32_e32 v111, v147, v112
	v_fmac_f32_e32 v138, v143, v109
	v_fma_f32 v142, v142, v109, -v113
	v_fmac_f32_e32 v139, v145, v108
	s_waitcnt vmcnt(20)
	v_fmac_f32_e32 v141, v147, v123
	v_fma_f32 v143, v144, v108, -v110
	v_fma_f32 v123, v146, v123, -v111
	ds_read2_b64 v[108:111], v1 offset0:79 offset1:80
	ds_read2_b64 v[112:115], v1 offset0:81 offset1:82
	s_waitcnt vmcnt(19) lgkmcnt(3)
	v_mul_f32_e32 v144, v2, v121
	s_waitcnt vmcnt(18)
	v_mul_f32_e32 v145, v4, v122
	v_mul_f32_e32 v121, v3, v121
	;; [unrolled: 1-line block ×3, first 2 shown]
	buffer_load_dword v146, off, s[0:3], 0 offset:292
	v_fmac_f32_e32 v144, v3, v120
	v_fmac_f32_e32 v145, v5, v119
	v_fma_f32 v120, v2, v120, -v121
	v_fma_f32 v119, v4, v119, -v122
	s_clause 0x3
	buffer_load_dword v147, off, s[0:3], 0 offset:312
	buffer_load_dword v160, off, s[0:3], 0 offset:304
	buffer_load_dword v161, off, s[0:3], 0 offset:296
	buffer_load_dword v121, off, s[0:3], 0 offset:288
	s_waitcnt vmcnt(22) lgkmcnt(2)
	v_mul_f32_e32 v122, v132, v118
	v_mul_f32_e32 v2, v133, v118
	s_waitcnt vmcnt(21)
	v_mul_f32_e32 v3, v135, v117
	v_mul_f32_e32 v118, v134, v117
	v_fmac_f32_e32 v122, v133, v116
	v_fma_f32 v116, v132, v116, -v2
	buffer_load_dword v132, off, s[0:3], 0 offset:300
	s_waitcnt vmcnt(18)
	v_fma_f32 v117, v134, v131, -v3
	s_waitcnt vmcnt(17) lgkmcnt(1)
	v_mul_f32_e32 v134, v108, v129
	v_mul_f32_e32 v2, v109, v129
	v_fmac_f32_e32 v118, v135, v131
	s_clause 0x1
	buffer_load_dword v131, off, s[0:3], 0 offset:308
	buffer_load_dword v133, off, s[0:3], 0 offset:316
	s_waitcnt vmcnt(18)
	v_mul_f32_e32 v135, v110, v130
	v_mul_f32_e32 v3, v111, v130
	v_fmac_f32_e32 v134, v109, v127
	v_fma_f32 v127, v108, v127, -v2
	s_waitcnt vmcnt(16) lgkmcnt(0)
	v_mul_f32_e32 v2, v115, v126
	v_fmac_f32_e32 v135, v111, v125
	v_fma_f32 v125, v110, v125, -v3
	v_mul_f32_e32 v164, v114, v126
	v_add_f32_e32 v3, 0, v8
	s_waitcnt vmcnt(11)
	v_fma_f32 v126, v114, v152, -v2
	v_add_f32_e32 v2, 0, v156
	v_mul_f32_e32 v129, v112, v128
	v_mul_f32_e32 v4, v113, v128
	s_clause 0x5
	buffer_load_dword v128, off, s[0:3], 0 offset:324
	buffer_load_dword v130, off, s[0:3], 0 offset:332
	buffer_load_dword v162, off, s[0:3], 0 offset:340
	buffer_load_dword v163, off, s[0:3], 0 offset:348
	buffer_load_dword v165, off, s[0:3], 0 offset:356
	buffer_load_dword v166, off, s[0:3], 0 offset:364
	v_fmac_f32_e32 v164, v115, v152
	s_clause 0x2
	buffer_load_dword v152, off, s[0:3], 0 offset:372
	buffer_load_dword v167, off, s[0:3], 0 offset:380
	;; [unrolled: 1-line block ×3, first 2 shown]
	v_add_f32_e32 v2, v2, v157
	v_add_f32_e32 v3, v3, v6
	s_clause 0x3
	buffer_load_dword v6, off, s[0:3], 0 offset:344
	buffer_load_dword v156, off, s[0:3], 0 offset:336
	;; [unrolled: 1-line block ×4, first 2 shown]
	v_fmac_f32_e32 v129, v113, v124
	v_fma_f32 v124, v112, v124, -v4
	v_add_f32_e32 v2, v2, v158
	v_add_f32_e32 v3, v3, v7
	;; [unrolled: 1-line block ×4, first 2 shown]
	s_clause 0x3
	buffer_load_dword v7, off, s[0:3], 0 offset:376
	buffer_load_dword v136, off, s[0:3], 0 offset:368
	;; [unrolled: 1-line block ×4, first 2 shown]
	v_add_f32_e32 v2, v2, v137
	buffer_load_dword v137, off, s[0:3], 0 offset:384
	v_add_f32_e32 v3, v3, v140
	buffer_load_dword v140, off, s[0:3], 0 offset:128
	v_add_f32_e32 v2, v2, v138
	v_add_f32_e32 v3, v3, v142
	;; [unrolled: 1-line block ×4, first 2 shown]
	ds_read2_b64 v[2:5], v1 offset0:83 offset1:84
	v_add_f32_e32 v108, v108, v141
	v_add_f32_e32 v109, v109, v123
	;; [unrolled: 1-line block ×4, first 2 shown]
	ds_read2_b64 v[108:111], v1 offset0:85 offset1:86
	v_add_f32_e32 v112, v112, v145
	v_add_f32_e32 v113, v113, v119
	;; [unrolled: 1-line block ×4, first 2 shown]
	s_waitcnt vmcnt(29) lgkmcnt(1)
	v_mul_f32_e32 v138, v2, v153
	v_mul_f32_e32 v114, v3, v153
	s_waitcnt vmcnt(28)
	v_mul_f32_e32 v139, v4, v154
	v_mul_f32_e32 v115, v5, v154
	v_add_f32_e32 v118, v112, v118
	v_fmac_f32_e32 v138, v3, v151
	v_fma_f32 v141, v2, v151, -v114
	v_fmac_f32_e32 v139, v5, v150
	v_fma_f32 v142, v4, v150, -v115
	ds_read2_b64 v[2:5], v1 offset0:87 offset1:88
	ds_read2_b64 v[112:115], v1 offset0:89 offset1:90
	v_add_f32_e32 v116, v116, v117
	s_waitcnt lgkmcnt(2)
	v_mul_f32_e32 v143, v108, v149
	v_add_f32_e32 v117, v118, v134
	v_mul_f32_e32 v118, v109, v149
	v_add_f32_e32 v116, v116, v127
	v_fmac_f32_e32 v143, v109, v148
	v_add_f32_e32 v109, v117, v135
	v_fma_f32 v134, v108, v148, -v118
	v_add_f32_e32 v120, v116, v125
	v_add_f32_e32 v124, v120, v124
	s_waitcnt vmcnt(26)
	v_mul_f32_e32 v144, v110, v146
	v_mul_f32_e32 v119, v111, v146
	s_waitcnt vmcnt(22)
	v_fmac_f32_e32 v144, v111, v121
	v_fma_f32 v135, v110, v121, -v119
	v_add_f32_e32 v121, v109, v129
	ds_read2_b64 v[108:111], v1 offset0:91 offset1:92
	ds_read2_b64 v[116:119], v1 offset0:93 offset1:94
	v_add_f32_e32 v127, v121, v164
	s_waitcnt vmcnt(21) lgkmcnt(3)
	v_mul_f32_e32 v129, v2, v132
	v_mul_f32_e32 v125, v3, v132
	v_add_f32_e32 v132, v124, v126
	ds_read2_b64 v[120:123], v1 offset0:95 offset1:96
	v_fmac_f32_e32 v129, v3, v161
	v_fma_f32 v2, v2, v161, -v125
	v_add_f32_e32 v3, v127, v138
	ds_read2_b64 v[124:127], v1 offset0:97 offset1:98
	v_add_f32_e32 v1, v132, v141
	s_waitcnt vmcnt(20)
	v_mul_f32_e32 v132, v4, v131
	v_mul_f32_e32 v131, v5, v131
	v_add_f32_e32 v3, v3, v139
	s_waitcnt vmcnt(19) lgkmcnt(4)
	v_mul_f32_e32 v138, v112, v133
	v_add_f32_e32 v1, v1, v142
	v_mul_f32_e32 v133, v113, v133
	v_fma_f32 v4, v4, v160, -v131
	v_add_f32_e32 v3, v3, v143
	v_fmac_f32_e32 v132, v5, v160
	v_add_f32_e32 v1, v1, v134
	s_waitcnt vmcnt(18)
	v_mul_f32_e32 v139, v114, v128
	v_mul_f32_e32 v128, v115, v128
	v_add_f32_e32 v3, v3, v144
	v_fma_f32 v112, v112, v147, -v133
	v_add_f32_e32 v1, v1, v135
	v_fmac_f32_e32 v138, v113, v147
	s_waitcnt vmcnt(6)
	v_fma_f32 v113, v114, v168, -v128
	s_waitcnt lgkmcnt(3)
	v_mul_f32_e32 v5, v108, v130
	v_fmac_f32_e32 v139, v115, v168
	v_add_f32_e32 v1, v1, v2
	v_add_f32_e32 v2, v3, v129
	v_mul_f32_e32 v131, v110, v162
	v_fmac_f32_e32 v5, v109, v157
	s_waitcnt lgkmcnt(2)
	v_mul_f32_e32 v134, v116, v163
	v_add_f32_e32 v1, v1, v4
	v_add_f32_e32 v2, v2, v132
	v_mul_f32_e32 v4, v109, v130
	v_fmac_f32_e32 v131, v111, v156
	v_mul_f32_e32 v141, v118, v165
	v_add_f32_e32 v1, v1, v112
	v_add_f32_e32 v2, v2, v138
	v_mul_f32_e32 v112, v111, v162
	v_fma_f32 v4, v108, v157, -v4
	v_mul_f32_e32 v108, v117, v163
	v_add_f32_e32 v1, v1, v113
	v_add_f32_e32 v2, v2, v139
	v_fma_f32 v109, v110, v156, -v112
	v_fmac_f32_e32 v134, v117, v6
	s_waitcnt lgkmcnt(1)
	v_mul_f32_e32 v142, v120, v166
	v_add_f32_e32 v1, v1, v4
	v_add_f32_e32 v2, v2, v5
	v_mul_f32_e32 v4, v119, v165
	v_fma_f32 v5, v116, v6, -v108
	v_mul_f32_e32 v6, v121, v166
	v_add_f32_e32 v1, v1, v109
	v_add_f32_e32 v2, v2, v131
	s_waitcnt vmcnt(2)
	v_fma_f32 v4, v118, v159, -v4
	v_fmac_f32_e32 v141, v119, v159
	v_fma_f32 v6, v120, v158, -v6
	v_add_f32_e32 v1, v1, v5
	v_add_f32_e32 v2, v2, v134
	v_mul_f32_e32 v5, v123, v152
	v_mul_f32_e32 v135, v122, v152
	v_fmac_f32_e32 v142, v121, v158
	v_add_f32_e32 v1, v1, v4
	v_add_f32_e32 v2, v2, v141
	s_waitcnt lgkmcnt(0)
	v_mul_f32_e32 v4, v125, v167
	v_fma_f32 v5, v122, v136, -v5
	v_mul_f32_e32 v143, v124, v167
	v_add_f32_e32 v1, v1, v6
	v_fmac_f32_e32 v135, v123, v136
	v_add_f32_e32 v2, v2, v142
	v_mul_f32_e32 v6, v127, v8
	v_fma_f32 v4, v124, v7, -v4
	v_add_f32_e32 v1, v1, v5
	v_mul_f32_e32 v3, v126, v8
	v_fmac_f32_e32 v143, v125, v7
	v_add_f32_e32 v2, v2, v135
	s_waitcnt vmcnt(1)
	v_fma_f32 v5, v126, v137, -v6
	v_add_f32_e32 v1, v1, v4
	v_fmac_f32_e32 v3, v127, v137
	v_add_f32_e32 v2, v2, v143
	v_add_f32_e32 v1, v1, v5
	;; [unrolled: 1-line block ×3, first 2 shown]
	s_waitcnt vmcnt(0)
	v_sub_f32_e32 v1, v140, v1
	v_sub_f32_e32 v2, v155, v2
	buffer_store_dword v1, off, s[0:3], 0 offset:128
	buffer_store_dword v2, off, s[0:3], 0 offset:132
	v_cmpx_lt_u32_e32 15, v0
	s_cbranch_execz .LBB48_277
; %bb.276:
	s_clause 0x1
	buffer_load_dword v1, off, s[0:3], 0 offset:120
	buffer_load_dword v2, off, s[0:3], 0 offset:124
	v_mov_b32_e32 v3, 0
	buffer_store_dword v3, off, s[0:3], 0 offset:120
	buffer_store_dword v3, off, s[0:3], 0 offset:124
	s_waitcnt vmcnt(0)
	ds_write_b64 v107, v[1:2]
.LBB48_277:
	s_or_b32 exec_lo, exec_lo, s4
	s_waitcnt lgkmcnt(0)
	s_waitcnt_vscnt null, 0x0
	s_barrier
	buffer_gl0_inv
	s_clause 0x23
	buffer_load_dword v109, off, s[0:3], 0 offset:132
	buffer_load_dword v111, off, s[0:3], 0 offset:140
	;; [unrolled: 1-line block ×36, first 2 shown]
	v_mov_b32_e32 v108, 0
	ds_read_b128 v[5:8], v108 offset:528
	ds_read_b128 v[1:4], v108 offset:544
	buffer_load_dword v153, off, s[0:3], 0 offset:124
	ds_read_b128 v[145:148], v108 offset:560
	ds_read_b128 v[149:152], v108 offset:576
	s_mov_b32 s4, exec_lo
	s_waitcnt vmcnt(36) lgkmcnt(3)
	v_mul_f32_e32 v154, v5, v109
	s_waitcnt vmcnt(35)
	v_mul_f32_e32 v155, v7, v111
	v_mul_f32_e32 v109, v6, v109
	;; [unrolled: 1-line block ×3, first 2 shown]
	s_waitcnt vmcnt(34) lgkmcnt(2)
	v_mul_f32_e32 v156, v1, v112
	v_mul_f32_e32 v112, v2, v112
	s_waitcnt vmcnt(30)
	v_mul_f32_e32 v157, v3, v113
	v_mul_f32_e32 v113, v4, v113
	v_fmac_f32_e32 v154, v6, v115
	v_fmac_f32_e32 v155, v8, v114
	v_fma_f32 v115, v5, v115, -v109
	v_fma_f32 v114, v7, v114, -v111
	ds_read_b128 v[5:8], v108 offset:592
	v_fmac_f32_e32 v156, v2, v110
	v_fma_f32 v158, v1, v110, -v112
	ds_read_b128 v[109:112], v108 offset:608
	s_waitcnt vmcnt(26)
	v_fmac_f32_e32 v157, v4, v124
	v_fma_f32 v113, v3, v124, -v113
	s_waitcnt vmcnt(25) lgkmcnt(3)
	v_mul_f32_e32 v124, v145, v122
	s_waitcnt vmcnt(24)
	v_mul_f32_e32 v159, v147, v123
	v_mul_f32_e32 v1, v146, v122
	;; [unrolled: 1-line block ×3, first 2 shown]
	s_clause 0x1
	buffer_load_dword v122, off, s[0:3], 0 offset:268
	buffer_load_dword v123, off, s[0:3], 0 offset:276
	v_fmac_f32_e32 v124, v146, v119
	v_fmac_f32_e32 v159, v148, v117
	v_fma_f32 v119, v145, v119, -v1
	v_fma_f32 v117, v147, v117, -v2
	ds_read_b128 v[1:4], v108 offset:624
	s_waitcnt vmcnt(25) lgkmcnt(3)
	v_mul_f32_e32 v145, v149, v120
	v_mul_f32_e32 v120, v150, v120
	s_waitcnt vmcnt(24)
	v_mul_f32_e32 v146, v151, v118
	v_mul_f32_e32 v118, v152, v118
	s_waitcnt vmcnt(23) lgkmcnt(2)
	v_mul_f32_e32 v147, v5, v121
	v_fmac_f32_e32 v145, v150, v116
	v_fma_f32 v116, v149, v116, -v120
	s_waitcnt vmcnt(22)
	v_mul_f32_e32 v120, v7, v125
	v_mul_f32_e32 v121, v6, v121
	;; [unrolled: 1-line block ×3, first 2 shown]
	s_waitcnt vmcnt(18)
	v_fma_f32 v118, v151, v132, -v118
	v_fmac_f32_e32 v147, v6, v130
	v_fmac_f32_e32 v120, v8, v129
	v_fma_f32 v121, v5, v130, -v121
	v_fma_f32 v125, v7, v129, -v125
	s_clause 0x5
	buffer_load_dword v129, off, s[0:3], 0 offset:284
	buffer_load_dword v130, off, s[0:3], 0 offset:292
	;; [unrolled: 1-line block ×6, first 2 shown]
	v_fmac_f32_e32 v146, v152, v132
	s_waitcnt vmcnt(23) lgkmcnt(1)
	v_mul_f32_e32 v132, v109, v131
	v_mul_f32_e32 v131, v110, v131
	s_waitcnt vmcnt(22)
	v_mul_f32_e32 v152, v111, v127
	v_mul_f32_e32 v127, v112, v127
	ds_read_b128 v[5:8], v108 offset:640
	v_fmac_f32_e32 v132, v110, v126
	v_fma_f32 v109, v109, v126, -v131
	s_waitcnt vmcnt(18)
	v_fmac_f32_e32 v152, v112, v143
	v_fma_f32 v110, v111, v143, -v127
	s_waitcnt vmcnt(17) lgkmcnt(1)
	v_mul_f32_e32 v111, v1, v141
	v_mul_f32_e32 v112, v2, v141
	s_clause 0x1
	buffer_load_dword v131, off, s[0:3], 0 offset:300
	buffer_load_dword v141, off, s[0:3], 0 offset:308
	v_add_f32_e32 v115, 0, v115
	s_waitcnt vmcnt(18)
	v_mul_f32_e32 v126, v3, v142
	v_mul_f32_e32 v127, v4, v142
	v_fma_f32 v112, v1, v138, -v112
	v_add_f32_e32 v1, 0, v154
	v_add_f32_e32 v114, v115, v114
	v_fmac_f32_e32 v111, v2, v138
	v_fmac_f32_e32 v126, v4, v137
	v_fma_f32 v127, v3, v137, -v127
	v_add_f32_e32 v154, v1, v155
	s_clause 0x3
	buffer_load_dword v137, off, s[0:3], 0 offset:316
	buffer_load_dword v138, off, s[0:3], 0 offset:324
	;; [unrolled: 1-line block ×4, first 2 shown]
	ds_read_b128 v[1:4], v108 offset:656
	s_waitcnt vmcnt(21) lgkmcnt(1)
	v_mul_f32_e32 v155, v5, v136
	v_mul_f32_e32 v115, v6, v136
	v_add_f32_e32 v136, v154, v156
	s_waitcnt vmcnt(20)
	v_mul_f32_e32 v154, v7, v135
	v_mul_f32_e32 v135, v8, v135
	v_fmac_f32_e32 v155, v6, v133
	v_fma_f32 v133, v5, v133, -v115
	v_add_f32_e32 v5, v136, v157
	v_add_f32_e32 v114, v114, v158
	s_clause 0x3
	buffer_load_dword v136, off, s[0:3], 0 offset:348
	buffer_load_dword v156, off, s[0:3], 0 offset:356
	;; [unrolled: 1-line block ×4, first 2 shown]
	s_waitcnt vmcnt(20)
	v_fmac_f32_e32 v154, v8, v144
	v_fma_f32 v135, v7, v144, -v135
	v_add_f32_e32 v5, v5, v124
	s_clause 0x5
	buffer_load_dword v144, off, s[0:3], 0 offset:380
	buffer_load_dword v124, off, s[0:3], 0 offset:336
	;; [unrolled: 1-line block ×6, first 2 shown]
	v_add_f32_e32 v6, v114, v113
	v_add_f32_e32 v5, v5, v159
	s_waitcnt vmcnt(25) lgkmcnt(0)
	v_mul_f32_e32 v115, v2, v140
	v_add_f32_e32 v6, v6, v119
	v_add_f32_e32 v114, v5, v145
	v_mul_f32_e32 v145, v1, v140
	v_add_f32_e32 v113, v6, v117
	ds_read_b128 v[5:8], v108 offset:672
	v_add_f32_e32 v114, v114, v146
	v_fmac_f32_e32 v145, v2, v139
	v_fma_f32 v117, v1, v139, -v115
	v_add_f32_e32 v113, v113, v116
	v_add_f32_e32 v2, v114, v147
	s_clause 0x5
	buffer_load_dword v139, off, s[0:3], 0 offset:368
	buffer_load_dword v140, off, s[0:3], 0 offset:360
	buffer_load_dword v146, off, s[0:3], 0 offset:352
	buffer_load_dword v147, off, s[0:3], 0 offset:344
	buffer_load_dword v159, off, s[0:3], 0 offset:384
	buffer_load_dword v164, off, s[0:3], 0 offset:376
	v_add_f32_e32 v1, v113, v118
	v_add_f32_e32 v2, v2, v120
	;; [unrolled: 1-line block ×5, first 2 shown]
	buffer_load_dword v125, off, s[0:3], 0 offset:120
	v_add_f32_e32 v113, v113, v152
	v_add_f32_e32 v109, v1, v109
	;; [unrolled: 1-line block ×6, first 2 shown]
	ds_read_b128 v[109:112], v108 offset:704
	v_add_f32_e32 v119, v119, v155
	v_add_f32_e32 v118, v115, v127
	;; [unrolled: 1-line block ×4, first 2 shown]
	s_waitcnt vmcnt(30)
	v_mul_f32_e32 v132, v3, v122
	v_mul_f32_e32 v2, v4, v122
	s_waitcnt vmcnt(29) lgkmcnt(1)
	v_mul_f32_e32 v114, v6, v123
	v_fmac_f32_e32 v132, v4, v134
	v_fma_f32 v121, v3, v134, -v2
	ds_read_b128 v[1:4], v108 offset:688
	v_mul_f32_e32 v134, v5, v123
	v_fmac_f32_e32 v134, v6, v128
	v_fma_f32 v128, v5, v128, -v114
	s_waitcnt vmcnt(28)
	v_mul_f32_e32 v123, v7, v129
	v_mul_f32_e32 v116, v8, v129
	s_waitcnt vmcnt(23)
	v_fmac_f32_e32 v123, v8, v151
	v_fma_f32 v127, v7, v151, -v116
	ds_read_b128 v[5:8], v108 offset:720
	ds_read_b128 v[113:116], v108 offset:736
	s_waitcnt lgkmcnt(2)
	v_mul_f32_e32 v120, v2, v130
	v_mul_f32_e32 v126, v1, v130
	v_fma_f32 v130, v1, v150, -v120
	v_add_f32_e32 v1, v119, v154
	s_waitcnt vmcnt(22)
	v_mul_f32_e32 v129, v3, v131
	v_mul_f32_e32 v122, v4, v131
	v_add_f32_e32 v131, v118, v117
	v_fmac_f32_e32 v126, v2, v150
	v_add_f32_e32 v135, v1, v145
	v_fmac_f32_e32 v129, v4, v149
	v_fma_f32 v133, v3, v149, -v122
	v_add_f32_e32 v131, v131, v121
	s_waitcnt vmcnt(21)
	v_mul_f32_e32 v145, v109, v141
	v_add_f32_e32 v132, v135, v132
	s_waitcnt vmcnt(20)
	v_mul_f32_e32 v135, v111, v137
	v_mul_f32_e32 v137, v112, v137
	v_add_f32_e32 v128, v131, v128
	v_mul_f32_e32 v131, v110, v141
	v_add_f32_e32 v132, v132, v134
	v_fmac_f32_e32 v145, v110, v148
	ds_read_b128 v[117:120], v108 offset:752
	ds_read_b128 v[1:4], v108 offset:768
	v_add_f32_e32 v127, v128, v127
	v_add_f32_e32 v123, v132, v123
	v_fma_f32 v109, v109, v148, -v131
	s_waitcnt vmcnt(19) lgkmcnt(3)
	v_mul_f32_e32 v134, v5, v138
	s_waitcnt vmcnt(18)
	v_mul_f32_e32 v128, v7, v142
	v_add_f32_e32 v127, v127, v130
	v_add_f32_e32 v123, v123, v126
	s_waitcnt vmcnt(17) lgkmcnt(2)
	v_mul_f32_e32 v141, v113, v143
	s_waitcnt vmcnt(9)
	v_fmac_f32_e32 v134, v6, v161
	s_waitcnt vmcnt(8)
	v_fma_f32 v111, v111, v162, -v137
	v_add_f32_e32 v127, v127, v133
	v_add_f32_e32 v123, v123, v129
	v_mul_f32_e32 v133, v6, v138
	v_fmac_f32_e32 v135, v112, v162
	v_fmac_f32_e32 v128, v8, v160
	v_add_f32_e32 v109, v127, v109
	v_add_f32_e32 v112, v123, v145
	v_mul_f32_e32 v123, v8, v142
	v_fma_f32 v5, v5, v161, -v133
	v_mul_f32_e32 v8, v116, v136
	v_add_f32_e32 v6, v109, v111
	v_add_f32_e32 v109, v112, v135
	v_mul_f32_e32 v111, v114, v143
	v_fma_f32 v7, v7, v160, -v123
	v_mul_f32_e32 v132, v115, v136
	v_add_f32_e32 v5, v6, v5
	v_add_f32_e32 v6, v109, v134
	v_fma_f32 v109, v113, v124, -v111
	v_fmac_f32_e32 v141, v114, v124
	ds_read_b64 v[121:122], v108 offset:784
	v_add_f32_e32 v5, v5, v7
	v_add_f32_e32 v6, v6, v128
	s_waitcnt lgkmcnt(2)
	v_mul_f32_e32 v7, v118, v156
	s_waitcnt vmcnt(3)
	v_fma_f32 v8, v115, v147, -v8
	v_mul_f32_e32 v130, v117, v156
	v_add_f32_e32 v5, v5, v109
	v_fmac_f32_e32 v132, v116, v147
	v_add_f32_e32 v6, v6, v141
	v_mul_f32_e32 v109, v120, v157
	v_fma_f32 v7, v117, v146, -v7
	v_add_f32_e32 v5, v5, v8
	v_mul_f32_e32 v110, v119, v157
	v_fmac_f32_e32 v130, v118, v146
	v_add_f32_e32 v6, v6, v132
	s_waitcnt lgkmcnt(1)
	v_mul_f32_e32 v126, v1, v158
	v_mul_f32_e32 v8, v2, v158
	v_fma_f32 v109, v119, v140, -v109
	v_add_f32_e32 v5, v5, v7
	v_fmac_f32_e32 v110, v120, v140
	v_add_f32_e32 v6, v6, v130
	v_mul_f32_e32 v7, v4, v144
	v_fmac_f32_e32 v126, v2, v139
	v_fma_f32 v1, v1, v139, -v8
	v_add_f32_e32 v2, v5, v109
	v_mul_f32_e32 v131, v3, v144
	v_add_f32_e32 v5, v6, v110
	s_waitcnt lgkmcnt(0)
	v_mul_f32_e32 v6, v122, v163
	s_waitcnt vmcnt(1)
	v_fma_f32 v3, v3, v164, -v7
	v_add_f32_e32 v1, v2, v1
	v_mul_f32_e32 v129, v121, v163
	v_fmac_f32_e32 v131, v4, v164
	v_add_f32_e32 v2, v5, v126
	v_fma_f32 v4, v121, v159, -v6
	v_add_f32_e32 v1, v1, v3
	v_fmac_f32_e32 v129, v122, v159
	v_add_f32_e32 v2, v2, v131
	v_add_f32_e32 v1, v1, v4
	;; [unrolled: 1-line block ×3, first 2 shown]
	s_waitcnt vmcnt(0)
	v_sub_f32_e32 v1, v125, v1
	v_sub_f32_e32 v2, v153, v2
	buffer_store_dword v1, off, s[0:3], 0 offset:120
	buffer_store_dword v2, off, s[0:3], 0 offset:124
	v_cmpx_lt_u32_e32 14, v0
	s_cbranch_execz .LBB48_279
; %bb.278:
	s_clause 0x1
	buffer_load_dword v1, off, s[0:3], 0 offset:112
	buffer_load_dword v2, off, s[0:3], 0 offset:116
	buffer_store_dword v108, off, s[0:3], 0 offset:112
	buffer_store_dword v108, off, s[0:3], 0 offset:116
	s_waitcnt vmcnt(0)
	ds_write_b64 v107, v[1:2]
.LBB48_279:
	s_or_b32 exec_lo, exec_lo, s4
	s_waitcnt lgkmcnt(0)
	s_waitcnt_vscnt null, 0x0
	s_barrier
	buffer_gl0_inv
	s_clause 0x23
	buffer_load_dword v143, off, s[0:3], 0 offset:124
	buffer_load_dword v144, off, s[0:3], 0 offset:132
	;; [unrolled: 1-line block ×36, first 2 shown]
	ds_read2_b64 v[5:8], v108 offset0:65 offset1:66
	ds_read2_b64 v[1:4], v108 offset0:67 offset1:68
	;; [unrolled: 1-line block ×3, first 2 shown]
	s_clause 0x1
	buffer_load_dword v153, off, s[0:3], 0 offset:260
	buffer_load_dword v154, off, s[0:3], 0 offset:268
	ds_read2_b64 v[149:152], v108 offset0:71 offset1:72
	buffer_load_dword v157, off, s[0:3], 0 offset:116
	s_mov_b32 s4, exec_lo
	s_waitcnt vmcnt(38) lgkmcnt(3)
	v_mul_f32_e32 v155, v5, v143
	s_waitcnt vmcnt(37)
	v_mul_f32_e32 v156, v7, v144
	v_mul_f32_e32 v143, v6, v143
	;; [unrolled: 1-line block ×3, first 2 shown]
	s_waitcnt vmcnt(34)
	v_fmac_f32_e32 v155, v6, v115
	v_fmac_f32_e32 v156, v8, v114
	v_fma_f32 v115, v5, v115, -v143
	v_fma_f32 v114, v7, v114, -v144
	ds_read2_b64 v[5:8], v108 offset0:73 offset1:74
	s_waitcnt vmcnt(33) lgkmcnt(3)
	v_mul_f32_e32 v143, v1, v112
	v_mul_f32_e32 v112, v2, v112
	s_waitcnt vmcnt(32)
	v_mul_f32_e32 v144, v3, v111
	v_mul_f32_e32 v111, v4, v111
	s_waitcnt vmcnt(31) lgkmcnt(2)
	v_mul_f32_e32 v158, v145, v110
	v_fmac_f32_e32 v143, v2, v109
	v_fma_f32 v159, v1, v109, -v112
	s_waitcnt vmcnt(30)
	v_mul_f32_e32 v160, v147, v113
	v_mul_f32_e32 v109, v146, v110
	;; [unrolled: 1-line block ×3, first 2 shown]
	s_waitcnt vmcnt(26)
	v_fmac_f32_e32 v144, v4, v121
	v_fma_f32 v113, v3, v121, -v111
	ds_read2_b64 v[1:4], v108 offset0:75 offset1:76
	v_fmac_f32_e32 v158, v146, v120
	v_fma_f32 v120, v145, v120, -v109
	s_waitcnt vmcnt(25) lgkmcnt(2)
	v_mul_f32_e32 v121, v149, v117
	s_waitcnt vmcnt(24)
	v_mul_f32_e32 v145, v151, v118
	v_mul_f32_e32 v117, v150, v117
	;; [unrolled: 1-line block ×3, first 2 shown]
	v_fmac_f32_e32 v160, v148, v119
	v_fma_f32 v119, v147, v119, -v110
	ds_read2_b64 v[109:112], v108 offset0:77 offset1:78
	v_fmac_f32_e32 v121, v150, v116
	s_waitcnt vmcnt(19)
	v_fmac_f32_e32 v145, v152, v132
	v_fma_f32 v116, v149, v116, -v117
	v_fma_f32 v117, v151, v132, -v118
	s_clause 0x4
	buffer_load_dword v118, off, s[0:3], 0 offset:276
	buffer_load_dword v132, off, s[0:3], 0 offset:296
	;; [unrolled: 1-line block ×5, first 2 shown]
	s_waitcnt lgkmcnt(2)
	v_mul_f32_e32 v146, v5, v122
	v_mul_f32_e32 v122, v6, v122
	s_waitcnt vmcnt(23)
	v_mul_f32_e32 v150, v7, v128
	v_mul_f32_e32 v128, v8, v128
	v_fmac_f32_e32 v146, v6, v127
	v_fma_f32 v5, v5, v127, -v122
	s_waitcnt vmcnt(22) lgkmcnt(1)
	v_mul_f32_e32 v122, v1, v125
	v_fmac_f32_e32 v150, v8, v124
	v_fma_f32 v124, v7, v124, -v128
	s_waitcnt vmcnt(21)
	v_mul_f32_e32 v127, v3, v126
	v_mul_f32_e32 v6, v2, v125
	;; [unrolled: 1-line block ×3, first 2 shown]
	s_clause 0x2
	buffer_load_dword v125, off, s[0:3], 0 offset:284
	buffer_load_dword v126, off, s[0:3], 0 offset:292
	;; [unrolled: 1-line block ×3, first 2 shown]
	v_fmac_f32_e32 v122, v2, v123
	s_waitcnt vmcnt(20)
	v_fmac_f32_e32 v127, v4, v141
	v_fma_f32 v123, v1, v123, -v6
	v_fma_f32 v141, v3, v141, -v7
	ds_read2_b64 v[1:4], v108 offset0:79 offset1:80
	v_add_f32_e32 v6, 0, v155
	v_add_f32_e32 v7, 0, v115
	s_waitcnt vmcnt(19) lgkmcnt(1)
	v_mul_f32_e32 v151, v109, v138
	s_waitcnt vmcnt(18)
	v_mul_f32_e32 v152, v111, v139
	v_mul_f32_e32 v8, v110, v138
	v_add_f32_e32 v6, v6, v156
	v_mul_f32_e32 v115, v112, v139
	v_add_f32_e32 v7, v7, v114
	v_fmac_f32_e32 v151, v110, v136
	v_fmac_f32_e32 v152, v112, v135
	v_add_f32_e32 v6, v6, v143
	v_fma_f32 v109, v109, v136, -v8
	v_fma_f32 v114, v111, v135, -v115
	v_add_f32_e32 v7, v7, v159
	s_clause 0x7
	buffer_load_dword v135, off, s[0:3], 0 offset:308
	buffer_load_dword v136, off, s[0:3], 0 offset:316
	buffer_load_dword v138, off, s[0:3], 0 offset:324
	buffer_load_dword v139, off, s[0:3], 0 offset:332
	buffer_load_dword v143, off, s[0:3], 0 offset:328
	buffer_load_dword v155, off, s[0:3], 0 offset:320
	buffer_load_dword v156, off, s[0:3], 0 offset:312
	buffer_load_dword v159, off, s[0:3], 0 offset:304
	v_add_f32_e32 v6, v6, v144
	v_add_f32_e32 v7, v7, v113
	s_waitcnt vmcnt(25) lgkmcnt(0)
	v_mul_f32_e32 v8, v2, v133
	v_mul_f32_e32 v115, v1, v133
	s_clause 0x3
	buffer_load_dword v133, off, s[0:3], 0 offset:340
	buffer_load_dword v144, off, s[0:3], 0 offset:348
	;; [unrolled: 1-line block ×4, first 2 shown]
	v_fma_f32 v113, v1, v130, -v8
	v_add_f32_e32 v1, v6, v158
	v_fmac_f32_e32 v115, v2, v130
	v_add_f32_e32 v6, v7, v120
	s_waitcnt vmcnt(28)
	v_mul_f32_e32 v120, v3, v131
	v_mul_f32_e32 v2, v4, v131
	v_add_f32_e32 v7, v1, v160
	s_clause 0x2
	buffer_load_dword v130, off, s[0:3], 0 offset:372
	buffer_load_dword v158, off, s[0:3], 0 offset:380
	buffer_load_dword v131, off, s[0:3], 0 offset:388
	s_waitcnt vmcnt(27)
	v_fmac_f32_e32 v120, v4, v142
	v_fma_f32 v142, v3, v142, -v2
	ds_read2_b64 v[1:4], v108 offset0:81 offset1:82
	v_add_f32_e32 v7, v7, v121
	v_add_f32_e32 v6, v6, v119
	;; [unrolled: 1-line block ×3, first 2 shown]
	s_clause 0x3
	buffer_load_dword v145, off, s[0:3], 0 offset:360
	buffer_load_dword v160, off, s[0:3], 0 offset:352
	;; [unrolled: 1-line block ×4, first 2 shown]
	v_add_f32_e32 v6, v6, v116
	v_add_f32_e32 v110, v7, v146
	v_add_f32_e32 v6, v6, v117
	v_add_f32_e32 v110, v110, v150
	v_add_f32_e32 v111, v6, v5
	ds_read2_b64 v[5:8], v108 offset0:83 offset1:84
	s_waitcnt vmcnt(30) lgkmcnt(1)
	v_mul_f32_e32 v117, v1, v140
	v_mul_f32_e32 v112, v2, v140
	s_waitcnt vmcnt(29)
	v_mul_f32_e32 v121, v3, v153
	v_fmac_f32_e32 v117, v2, v137
	v_fma_f32 v119, v1, v137, -v112
	s_clause 0x3
	buffer_load_dword v137, off, s[0:3], 0 offset:384
	buffer_load_dword v140, off, s[0:3], 0 offset:376
	;; [unrolled: 1-line block ×4, first 2 shown]
	v_add_f32_e32 v1, v111, v124
	v_add_f32_e32 v2, v110, v122
	v_mul_f32_e32 v110, v4, v153
	v_fmac_f32_e32 v121, v4, v134
	v_add_f32_e32 v1, v1, v123
	v_add_f32_e32 v2, v2, v127
	v_fma_f32 v122, v3, v134, -v110
	v_add_f32_e32 v111, v1, v141
	v_add_f32_e32 v116, v2, v151
	ds_read2_b64 v[1:4], v108 offset0:85 offset1:86
	s_waitcnt vmcnt(32) lgkmcnt(1)
	v_mul_f32_e32 v124, v5, v154
	v_mul_f32_e32 v127, v6, v154
	v_add_f32_e32 v123, v111, v109
	ds_read2_b64 v[109:112], v108 offset0:87 offset1:88
	v_add_f32_e32 v116, v116, v152
	v_fmac_f32_e32 v124, v6, v129
	v_fma_f32 v127, v5, v129, -v127
	v_add_f32_e32 v114, v123, v114
	v_add_f32_e32 v123, v116, v115
	;; [unrolled: 1-line block ×5, first 2 shown]
	s_waitcnt vmcnt(30)
	v_mul_f32_e32 v134, v7, v118
	v_mul_f32_e32 v118, v8, v118
	s_waitcnt vmcnt(26)
	v_fmac_f32_e32 v134, v8, v149
	v_fma_f32 v129, v7, v149, -v118
	v_add_f32_e32 v118, v114, v113
	ds_read2_b64 v[5:8], v108 offset0:89 offset1:90
	ds_read2_b64 v[113:116], v108 offset0:91 offset1:92
	v_add_f32_e32 v118, v118, v142
	s_waitcnt vmcnt(25) lgkmcnt(3)
	v_mul_f32_e32 v141, v1, v125
	v_mul_f32_e32 v123, v2, v125
	s_waitcnt vmcnt(24)
	v_mul_f32_e32 v142, v3, v126
	v_mul_f32_e32 v125, v4, v126
	s_waitcnt vmcnt(23) lgkmcnt(2)
	v_mul_f32_e32 v126, v109, v128
	v_fmac_f32_e32 v141, v2, v148
	v_fma_f32 v148, v1, v148, -v123
	v_add_f32_e32 v123, v118, v119
	v_fmac_f32_e32 v142, v4, v147
	v_fma_f32 v125, v3, v147, -v125
	v_mul_f32_e32 v128, v110, v128
	ds_read2_b64 v[1:4], v108 offset0:93 offset1:94
	ds_read2_b64 v[117:120], v108 offset0:95 offset1:96
	v_add_f32_e32 v147, v123, v122
	v_fmac_f32_e32 v126, v110, v132
	v_add_f32_e32 v110, v121, v124
	ds_read2_b64 v[121:124], v108 offset0:97 offset1:98
	v_fma_f32 v109, v109, v132, -v128
	v_add_f32_e32 v108, v147, v127
	s_waitcnt vmcnt(22)
	v_mul_f32_e32 v128, v112, v135
	v_add_f32_e32 v110, v110, v134
	v_mul_f32_e32 v127, v111, v135
	s_waitcnt vmcnt(21) lgkmcnt(4)
	v_mul_f32_e32 v132, v5, v136
	v_add_f32_e32 v108, v108, v129
	v_mul_f32_e32 v134, v6, v136
	v_add_f32_e32 v110, v110, v141
	s_waitcnt vmcnt(15)
	v_fma_f32 v111, v111, v159, -v128
	v_fmac_f32_e32 v127, v112, v159
	v_add_f32_e32 v108, v108, v148
	v_fmac_f32_e32 v132, v6, v156
	v_add_f32_e32 v110, v110, v142
	v_fma_f32 v5, v5, v156, -v134
	v_mul_f32_e32 v129, v7, v138
	v_add_f32_e32 v108, v108, v125
	v_mul_f32_e32 v125, v8, v138
	s_waitcnt lgkmcnt(3)
	v_mul_f32_e32 v112, v113, v139
	s_waitcnt vmcnt(14)
	v_mul_f32_e32 v128, v115, v133
	v_fmac_f32_e32 v129, v8, v155
	v_add_f32_e32 v108, v108, v109
	v_add_f32_e32 v109, v110, v126
	v_fma_f32 v7, v7, v155, -v125
	v_mul_f32_e32 v8, v116, v133
	v_fmac_f32_e32 v112, v114, v143
	v_add_f32_e32 v6, v108, v111
	v_add_f32_e32 v108, v109, v127
	v_mul_f32_e32 v109, v114, v139
	s_waitcnt vmcnt(13) lgkmcnt(2)
	v_mul_f32_e32 v135, v1, v144
	s_waitcnt vmcnt(12)
	v_mul_f32_e32 v136, v3, v161
	v_add_f32_e32 v5, v6, v5
	v_add_f32_e32 v6, v108, v132
	v_fma_f32 v108, v113, v143, -v109
	s_waitcnt vmcnt(4)
	v_fma_f32 v8, v115, v164, -v8
	v_fmac_f32_e32 v128, v116, v164
	v_add_f32_e32 v5, v5, v7
	v_add_f32_e32 v6, v6, v129
	v_mul_f32_e32 v7, v2, v144
	v_fmac_f32_e32 v135, v2, v163
	s_waitcnt lgkmcnt(1)
	v_mul_f32_e32 v141, v117, v162
	v_add_f32_e32 v5, v5, v108
	v_add_f32_e32 v6, v6, v112
	v_mul_f32_e32 v108, v4, v161
	v_fma_f32 v1, v1, v163, -v7
	v_fmac_f32_e32 v136, v4, v160
	v_add_f32_e32 v2, v5, v8
	v_add_f32_e32 v5, v6, v128
	v_mul_f32_e32 v6, v118, v162
	v_fma_f32 v3, v3, v160, -v108
	v_mul_f32_e32 v4, v120, v130
	v_add_f32_e32 v1, v2, v1
	v_add_f32_e32 v2, v5, v135
	v_fma_f32 v5, v117, v145, -v6
	v_mul_f32_e32 v138, v119, v130
	v_fmac_f32_e32 v141, v118, v145
	v_add_f32_e32 v1, v1, v3
	v_add_f32_e32 v2, v2, v136
	s_waitcnt lgkmcnt(0)
	v_mul_f32_e32 v3, v122, v158
	s_waitcnt vmcnt(1)
	v_fma_f32 v4, v119, v146, -v4
	v_mul_f32_e32 v142, v121, v158
	v_add_f32_e32 v1, v1, v5
	v_fmac_f32_e32 v138, v120, v146
	v_add_f32_e32 v2, v2, v141
	v_mul_f32_e32 v5, v124, v131
	v_fma_f32 v3, v121, v140, -v3
	v_add_f32_e32 v1, v1, v4
	v_mul_f32_e32 v110, v123, v131
	v_fmac_f32_e32 v142, v122, v140
	v_add_f32_e32 v2, v2, v138
	v_fma_f32 v4, v123, v137, -v5
	v_add_f32_e32 v1, v1, v3
	v_fmac_f32_e32 v110, v124, v137
	v_add_f32_e32 v2, v2, v142
	v_add_f32_e32 v1, v1, v4
	;; [unrolled: 1-line block ×3, first 2 shown]
	s_waitcnt vmcnt(0)
	v_sub_f32_e32 v1, v150, v1
	v_sub_f32_e32 v2, v157, v2
	buffer_store_dword v1, off, s[0:3], 0 offset:112
	buffer_store_dword v2, off, s[0:3], 0 offset:116
	v_cmpx_lt_u32_e32 13, v0
	s_cbranch_execz .LBB48_281
; %bb.280:
	s_clause 0x1
	buffer_load_dword v1, off, s[0:3], 0 offset:104
	buffer_load_dword v2, off, s[0:3], 0 offset:108
	v_mov_b32_e32 v3, 0
	buffer_store_dword v3, off, s[0:3], 0 offset:104
	buffer_store_dword v3, off, s[0:3], 0 offset:108
	s_waitcnt vmcnt(0)
	ds_write_b64 v107, v[1:2]
.LBB48_281:
	s_or_b32 exec_lo, exec_lo, s4
	s_waitcnt lgkmcnt(0)
	s_waitcnt_vscnt null, 0x0
	s_barrier
	buffer_gl0_inv
	s_clause 0x2a
	buffer_load_dword v7, off, s[0:3], 0 offset:116
	buffer_load_dword v8, off, s[0:3], 0 offset:124
	;; [unrolled: 1-line block ×43, first 2 shown]
	v_mov_b32_e32 v1, 0
	ds_read_b128 v[140:143], v1 offset:512
	ds_read_b128 v[144:147], v1 offset:528
	;; [unrolled: 1-line block ×3, first 2 shown]
	buffer_load_dword v158, off, s[0:3], 0 offset:108
	s_mov_b32 s4, exec_lo
	s_waitcnt vmcnt(43) lgkmcnt(2)
	v_mul_f32_e32 v156, v140, v7
	s_waitcnt vmcnt(42)
	v_mul_f32_e32 v157, v142, v8
	v_mul_f32_e32 v7, v141, v7
	;; [unrolled: 1-line block ×3, first 2 shown]
	s_waitcnt vmcnt(39)
	v_fmac_f32_e32 v156, v141, v6
	v_fmac_f32_e32 v157, v143, v5
	v_fma_f32 v159, v140, v6, -v7
	v_fma_f32 v160, v142, v5, -v8
	ds_read_b128 v[5:8], v1 offset:560
	ds_read_b128 v[140:143], v1 offset:576
	s_waitcnt vmcnt(38) lgkmcnt(3)
	v_mul_f32_e32 v161, v144, v3
	v_mul_f32_e32 v3, v145, v3
	s_waitcnt vmcnt(37)
	v_mul_f32_e32 v162, v146, v4
	v_mul_f32_e32 v4, v147, v4
	s_waitcnt vmcnt(32) lgkmcnt(2)
	v_mul_f32_e32 v164, v148, v115
	v_fmac_f32_e32 v161, v145, v2
	v_fma_f32 v163, v144, v2, -v3
	v_mul_f32_e32 v2, v149, v115
	s_waitcnt vmcnt(31)
	v_mul_f32_e32 v165, v150, v114
	v_mul_f32_e32 v3, v151, v114
	v_fmac_f32_e32 v162, v147, v116
	v_fma_f32 v116, v146, v116, -v4
	v_fmac_f32_e32 v164, v149, v111
	v_fma_f32 v148, v148, v111, -v2
	;; [unrolled: 2-line block ×3, first 2 shown]
	ds_read_b128 v[144:147], v1 offset:592
	s_waitcnt vmcnt(30) lgkmcnt(2)
	v_mul_f32_e32 v149, v5, v112
	v_mul_f32_e32 v2, v6, v112
	s_waitcnt vmcnt(29)
	v_mul_f32_e32 v151, v7, v110
	v_mul_f32_e32 v3, v8, v110
	s_waitcnt vmcnt(28) lgkmcnt(1)
	v_mul_f32_e32 v166, v140, v113
	v_fmac_f32_e32 v149, v6, v108
	v_fma_f32 v6, v5, v108, -v2
	s_waitcnt vmcnt(24)
	v_fmac_f32_e32 v151, v8, v123
	v_fma_f32 v7, v7, v123, -v3
	s_waitcnt vmcnt(23)
	v_mul_f32_e32 v8, v142, v122
	v_mul_f32_e32 v108, v141, v113
	;; [unrolled: 1-line block ×3, first 2 shown]
	ds_read_b128 v[2:5], v1 offset:608
	v_fmac_f32_e32 v166, v141, v121
	v_fmac_f32_e32 v8, v143, v118
	v_fma_f32 v121, v140, v121, -v108
	v_fma_f32 v118, v142, v118, -v109
	ds_read_b128 v[108:111], v1 offset:624
	s_waitcnt vmcnt(22) lgkmcnt(2)
	v_mul_f32_e32 v122, v144, v120
	v_mul_f32_e32 v112, v145, v120
	s_waitcnt vmcnt(21)
	v_mul_f32_e32 v120, v146, v119
	v_mul_f32_e32 v113, v147, v119
	buffer_load_dword v119, off, s[0:3], 0 offset:276
	v_fmac_f32_e32 v122, v145, v117
	v_fma_f32 v117, v144, v117, -v112
	s_waitcnt vmcnt(18)
	v_fmac_f32_e32 v120, v147, v131
	v_fma_f32 v123, v146, v131, -v113
	s_waitcnt vmcnt(17) lgkmcnt(1)
	v_mul_f32_e32 v131, v2, v129
	s_waitcnt vmcnt(16)
	v_mul_f32_e32 v140, v4, v130
	v_mul_f32_e32 v112, v3, v129
	v_mul_f32_e32 v113, v5, v130
	v_fmac_f32_e32 v131, v3, v126
	v_fmac_f32_e32 v140, v5, v125
	v_fma_f32 v126, v2, v126, -v112
	v_fma_f32 v125, v4, v125, -v113
	ds_read_b128 v[2:5], v1 offset:640
	s_waitcnt vmcnt(15) lgkmcnt(1)
	v_mul_f32_e32 v129, v108, v128
	v_mul_f32_e32 v114, v109, v128
	s_waitcnt vmcnt(14)
	v_mul_f32_e32 v128, v110, v127
	v_mul_f32_e32 v127, v111, v127
	v_fmac_f32_e32 v129, v109, v124
	v_fma_f32 v124, v108, v124, -v114
	ds_read_b128 v[112:115], v1 offset:656
	s_waitcnt vmcnt(10)
	v_fmac_f32_e32 v128, v111, v139
	v_fma_f32 v127, v110, v139, -v127
	s_clause 0x1
	buffer_load_dword v130, off, s[0:3], 0 offset:284
	buffer_load_dword v139, off, s[0:3], 0 offset:292
	s_waitcnt vmcnt(11) lgkmcnt(1)
	v_mul_f32_e32 v141, v2, v138
	v_mul_f32_e32 v108, v3, v138
	s_waitcnt vmcnt(10)
	v_mul_f32_e32 v142, v4, v137
	v_mul_f32_e32 v109, v5, v137
	buffer_load_dword v138, off, s[0:3], 0 offset:300
	v_fmac_f32_e32 v141, v3, v135
	v_fma_f32 v135, v2, v135, -v108
	v_fmac_f32_e32 v142, v5, v133
	s_waitcnt vmcnt(10) lgkmcnt(0)
	v_mul_f32_e32 v137, v112, v136
	v_mul_f32_e32 v2, v113, v136
	s_waitcnt vmcnt(9)
	v_mul_f32_e32 v3, v115, v134
	s_clause 0x3
	buffer_load_dword v136, off, s[0:3], 0 offset:320
	buffer_load_dword v143, off, s[0:3], 0 offset:312
	;; [unrolled: 1-line block ×4, first 2 shown]
	v_mul_f32_e32 v146, v114, v134
	v_fmac_f32_e32 v137, v113, v132
	v_fma_f32 v132, v112, v132, -v2
	v_add_f32_e32 v2, 0, v156
	s_clause 0x1
	buffer_load_dword v134, off, s[0:3], 0 offset:308
	buffer_load_dword v156, off, s[0:3], 0 offset:324
	s_waitcnt vmcnt(11)
	v_fma_f32 v147, v114, v155, -v3
	v_add_f32_e32 v3, 0, v159
	v_add_f32_e32 v2, v2, v157
	v_fmac_f32_e32 v146, v115, v155
	s_clause 0x4
	buffer_load_dword v155, off, s[0:3], 0 offset:316
	buffer_load_dword v157, off, s[0:3], 0 offset:332
	;; [unrolled: 1-line block ×5, first 2 shown]
	v_add_f32_e32 v3, v3, v160
	v_add_f32_e32 v2, v2, v161
	s_clause 0x1
	buffer_load_dword v160, off, s[0:3], 0 offset:364
	buffer_load_dword v161, off, s[0:3], 0 offset:372
	v_fma_f32 v133, v4, v133, -v109
	v_add_f32_e32 v3, v3, v163
	v_add_f32_e32 v2, v2, v162
	s_clause 0x1
	buffer_load_dword v162, off, s[0:3], 0 offset:380
	buffer_load_dword v163, off, s[0:3], 0 offset:388
	v_add_f32_e32 v3, v3, v116
	v_add_f32_e32 v2, v2, v164
	v_add_f32_e32 v3, v3, v148
	v_add_f32_e32 v2, v2, v165
	s_clause 0x3
	buffer_load_dword v148, off, s[0:3], 0 offset:352
	buffer_load_dword v164, off, s[0:3], 0 offset:344
	;; [unrolled: 1-line block ×4, first 2 shown]
	v_add_f32_e32 v3, v3, v150
	v_add_f32_e32 v2, v2, v149
	;; [unrolled: 1-line block ×4, first 2 shown]
	s_clause 0x4
	buffer_load_dword v149, off, s[0:3], 0 offset:384
	buffer_load_dword v150, off, s[0:3], 0 offset:376
	;; [unrolled: 1-line block ×5, first 2 shown]
	ds_read_b128 v[108:111], v1 offset:688
	v_add_f32_e32 v3, v3, v7
	v_add_f32_e32 v2, v2, v166
	;; [unrolled: 1-line block ×5, first 2 shown]
	ds_read_b128 v[2:5], v1 offset:672
	v_add_f32_e32 v6, v6, v122
	v_add_f32_e32 v7, v7, v117
	;; [unrolled: 1-line block ×14, first 2 shown]
	s_waitcnt vmcnt(27) lgkmcnt(0)
	v_mul_f32_e32 v8, v2, v119
	v_mul_f32_e32 v112, v3, v119
	v_fmac_f32_e32 v8, v3, v154
	v_add_f32_e32 v3, v7, v124
	v_fma_f32 v124, v2, v154, -v112
	v_add_f32_e32 v8, v131, v8
	v_add_f32_e32 v7, v3, v127
	;; [unrolled: 1-line block ×5, first 2 shown]
	s_waitcnt vmcnt(26)
	v_mul_f32_e32 v125, v4, v130
	v_mul_f32_e32 v113, v5, v130
	v_add_f32_e32 v132, v7, v147
	s_waitcnt vmcnt(25)
	v_mul_f32_e32 v120, v109, v139
	v_mul_f32_e32 v127, v108, v139
	v_fmac_f32_e32 v125, v5, v153
	v_fma_f32 v126, v4, v153, -v113
	ds_read_b128 v[2:5], v1 offset:704
	ds_read_b128 v[112:115], v1 offset:720
	v_add_f32_e32 v124, v132, v124
	v_fma_f32 v130, v108, v152, -v120
	v_fmac_f32_e32 v127, v109, v152
	v_add_f32_e32 v8, v8, v125
	ds_read_b128 v[116:119], v1 offset:736
	ds_read_b128 v[120:123], v1 offset:752
	s_waitcnt vmcnt(24)
	v_mul_f32_e32 v129, v111, v138
	v_add_f32_e32 v124, v124, v126
	v_mul_f32_e32 v128, v110, v138
	v_add_f32_e32 v8, v8, v127
	v_add_f32_e32 v124, v124, v130
	s_waitcnt vmcnt(20)
	v_fma_f32 v129, v110, v145, -v129
	v_fmac_f32_e32 v128, v111, v145
	ds_read_b128 v[108:111], v1 offset:768
	ds_read_b64 v[6:7], v1 offset:784
	s_waitcnt vmcnt(19) lgkmcnt(5)
	v_mul_f32_e32 v132, v3, v134
	v_mul_f32_e32 v133, v2, v134
	v_add_f32_e32 v124, v124, v129
	v_add_f32_e32 v8, v8, v128
	s_waitcnt vmcnt(18) lgkmcnt(4)
	v_mul_f32_e32 v131, v112, v156
	v_fma_f32 v2, v2, v144, -v132
	s_waitcnt vmcnt(17)
	v_mul_f32_e32 v134, v5, v155
	v_mul_f32_e32 v135, v4, v155
	v_fmac_f32_e32 v133, v3, v144
	v_mul_f32_e32 v132, v113, v156
	v_add_f32_e32 v2, v124, v2
	v_fma_f32 v4, v4, v143, -v134
	v_fmac_f32_e32 v135, v5, v143
	v_add_f32_e32 v5, v8, v133
	s_waitcnt vmcnt(16)
	v_mul_f32_e32 v8, v115, v157
	v_fma_f32 v112, v112, v136, -v132
	v_add_f32_e32 v2, v2, v4
	v_mul_f32_e32 v126, v114, v157
	v_fmac_f32_e32 v131, v113, v136
	v_add_f32_e32 v4, v5, v135
	s_waitcnt vmcnt(15) lgkmcnt(3)
	v_mul_f32_e32 v5, v117, v159
	v_add_f32_e32 v2, v2, v112
	v_mul_f32_e32 v137, v116, v159
	s_waitcnt vmcnt(14)
	v_mul_f32_e32 v112, v119, v167
	v_add_f32_e32 v4, v4, v131
	s_waitcnt vmcnt(5)
	v_fma_f32 v8, v114, v169, -v8
	v_fmac_f32_e32 v126, v115, v169
	v_fma_f32 v5, v116, v165, -v5
	v_mul_f32_e32 v125, v118, v167
	v_fmac_f32_e32 v137, v117, v165
	v_add_f32_e32 v2, v2, v8
	v_add_f32_e32 v4, v4, v126
	s_waitcnt lgkmcnt(2)
	v_mul_f32_e32 v8, v121, v168
	v_fma_f32 v112, v118, v164, -v112
	v_mul_f32_e32 v130, v120, v168
	v_add_f32_e32 v2, v2, v5
	v_fmac_f32_e32 v125, v119, v164
	v_add_f32_e32 v4, v4, v137
	v_mul_f32_e32 v5, v123, v160
	v_fma_f32 v8, v120, v148, -v8
	v_add_f32_e32 v2, v2, v112
	v_mul_f32_e32 v3, v122, v160
	v_fmac_f32_e32 v130, v121, v148
	v_add_f32_e32 v4, v4, v125
	s_waitcnt lgkmcnt(1)
	v_mul_f32_e32 v112, v109, v161
	s_waitcnt vmcnt(1)
	v_fma_f32 v5, v122, v170, -v5
	v_add_f32_e32 v2, v2, v8
	v_mul_f32_e32 v127, v108, v161
	v_fmac_f32_e32 v3, v123, v170
	v_add_f32_e32 v4, v4, v130
	v_mul_f32_e32 v8, v111, v162
	v_fma_f32 v108, v108, v151, -v112
	v_add_f32_e32 v2, v2, v5
	v_mul_f32_e32 v129, v110, v162
	v_fmac_f32_e32 v127, v109, v151
	v_add_f32_e32 v3, v4, v3
	s_waitcnt lgkmcnt(0)
	v_mul_f32_e32 v4, v7, v163
	v_fma_f32 v5, v110, v150, -v8
	v_add_f32_e32 v2, v2, v108
	v_mul_f32_e32 v128, v6, v163
	v_fmac_f32_e32 v129, v111, v150
	v_add_f32_e32 v3, v3, v127
	v_fma_f32 v4, v6, v149, -v4
	v_add_f32_e32 v2, v2, v5
	v_fmac_f32_e32 v128, v7, v149
	v_add_f32_e32 v3, v3, v129
	v_add_f32_e32 v2, v2, v4
	;; [unrolled: 1-line block ×3, first 2 shown]
	s_waitcnt vmcnt(0)
	v_sub_f32_e32 v2, v171, v2
	v_sub_f32_e32 v3, v158, v3
	buffer_store_dword v2, off, s[0:3], 0 offset:104
	buffer_store_dword v3, off, s[0:3], 0 offset:108
	v_cmpx_lt_u32_e32 12, v0
	s_cbranch_execz .LBB48_283
; %bb.282:
	s_clause 0x1
	buffer_load_dword v2, off, s[0:3], 0 offset:96
	buffer_load_dword v3, off, s[0:3], 0 offset:100
	buffer_store_dword v1, off, s[0:3], 0 offset:96
	buffer_store_dword v1, off, s[0:3], 0 offset:100
	s_waitcnt vmcnt(0)
	ds_write_b64 v107, v[2:3]
.LBB48_283:
	s_or_b32 exec_lo, exec_lo, s4
	s_waitcnt lgkmcnt(0)
	s_waitcnt_vscnt null, 0x0
	s_barrier
	buffer_gl0_inv
	s_clause 0x2a
	buffer_load_dword v7, off, s[0:3], 0 offset:108
	buffer_load_dword v8, off, s[0:3], 0 offset:116
	;; [unrolled: 1-line block ×43, first 2 shown]
	ds_read2_b64 v[140:143], v1 offset0:63 offset1:64
	ds_read2_b64 v[144:147], v1 offset0:65 offset1:66
	;; [unrolled: 1-line block ×3, first 2 shown]
	buffer_load_dword v158, off, s[0:3], 0 offset:100
	s_mov_b32 s4, exec_lo
	s_waitcnt vmcnt(43) lgkmcnt(2)
	v_mul_f32_e32 v156, v140, v7
	s_waitcnt vmcnt(42)
	v_mul_f32_e32 v157, v142, v8
	v_mul_f32_e32 v7, v141, v7
	v_mul_f32_e32 v8, v143, v8
	s_waitcnt vmcnt(39)
	v_fmac_f32_e32 v156, v141, v6
	v_fmac_f32_e32 v157, v143, v5
	v_fma_f32 v159, v140, v6, -v7
	v_fma_f32 v160, v142, v5, -v8
	ds_read2_b64 v[5:8], v1 offset0:69 offset1:70
	ds_read2_b64 v[140:143], v1 offset0:71 offset1:72
	s_waitcnt vmcnt(38) lgkmcnt(3)
	v_mul_f32_e32 v161, v144, v3
	s_waitcnt vmcnt(37)
	v_mul_f32_e32 v162, v146, v4
	v_mul_f32_e32 v3, v145, v3
	v_mul_f32_e32 v4, v147, v4
	v_fmac_f32_e32 v161, v145, v2
	s_waitcnt vmcnt(33)
	v_fmac_f32_e32 v162, v147, v115
	v_fma_f32 v144, v144, v2, -v3
	v_fma_f32 v145, v146, v115, -v4
	s_waitcnt vmcnt(32) lgkmcnt(2)
	v_mul_f32_e32 v146, v148, v113
	v_mul_f32_e32 v2, v149, v113
	s_waitcnt vmcnt(31)
	v_mul_f32_e32 v3, v151, v114
	v_mul_f32_e32 v147, v150, v114
	v_fmac_f32_e32 v146, v149, v112
	v_fma_f32 v148, v148, v112, -v2
	v_fma_f32 v149, v150, v109, -v3
	ds_read2_b64 v[112:115], v1 offset0:73 offset1:74
	s_waitcnt vmcnt(30) lgkmcnt(2)
	v_mul_f32_e32 v150, v5, v110
	v_mul_f32_e32 v2, v6, v110
	s_waitcnt vmcnt(29)
	v_mul_f32_e32 v3, v8, v111
	v_fmac_f32_e32 v147, v151, v109
	v_mul_f32_e32 v151, v7, v111
	v_fmac_f32_e32 v150, v6, v108
	v_fma_f32 v6, v5, v108, -v2
	s_waitcnt vmcnt(25)
	v_fma_f32 v7, v7, v123, -v3
	ds_read2_b64 v[2:5], v1 offset0:75 offset1:76
	v_fmac_f32_e32 v151, v8, v123
	s_waitcnt vmcnt(24) lgkmcnt(2)
	v_mul_f32_e32 v8, v140, v121
	s_waitcnt vmcnt(23)
	v_mul_f32_e32 v123, v142, v122
	v_mul_f32_e32 v108, v141, v121
	;; [unrolled: 1-line block ×3, first 2 shown]
	v_fmac_f32_e32 v8, v141, v120
	v_fmac_f32_e32 v123, v143, v117
	v_fma_f32 v120, v140, v120, -v108
	v_fma_f32 v117, v142, v117, -v109
	ds_read2_b64 v[108:111], v1 offset0:77 offset1:78
	s_waitcnt vmcnt(22) lgkmcnt(2)
	v_mul_f32_e32 v121, v112, v118
	s_waitcnt vmcnt(21)
	v_mul_f32_e32 v122, v114, v119
	v_mul_f32_e32 v118, v113, v118
	;; [unrolled: 1-line block ×3, first 2 shown]
	v_fmac_f32_e32 v121, v113, v116
	s_waitcnt vmcnt(17)
	v_fmac_f32_e32 v122, v115, v131
	v_fma_f32 v116, v112, v116, -v118
	v_fma_f32 v118, v114, v131, -v119
	s_waitcnt vmcnt(16) lgkmcnt(1)
	v_mul_f32_e32 v119, v2, v129
	s_waitcnt vmcnt(15)
	v_mul_f32_e32 v131, v4, v130
	v_mul_f32_e32 v129, v3, v129
	;; [unrolled: 1-line block ×3, first 2 shown]
	ds_read2_b64 v[112:115], v1 offset0:79 offset1:80
	v_fmac_f32_e32 v119, v3, v128
	v_fmac_f32_e32 v131, v5, v125
	v_fma_f32 v128, v2, v128, -v129
	v_fma_f32 v125, v4, v125, -v130
	s_clause 0x1
	buffer_load_dword v129, off, s[0:3], 0 offset:268
	buffer_load_dword v130, off, s[0:3], 0 offset:276
	s_waitcnt vmcnt(16) lgkmcnt(1)
	v_mul_f32_e32 v140, v108, v126
	v_mul_f32_e32 v2, v109, v126
	s_waitcnt vmcnt(15)
	v_mul_f32_e32 v3, v111, v127
	v_mul_f32_e32 v141, v110, v127
	buffer_load_dword v127, off, s[0:3], 0 offset:284
	v_fmac_f32_e32 v140, v109, v124
	v_fma_f32 v124, v108, v124, -v2
	s_waitcnt vmcnt(12)
	v_fma_f32 v126, v110, v139, -v3
	ds_read2_b64 v[2:5], v1 offset0:81 offset1:82
	v_fmac_f32_e32 v141, v111, v139
	s_waitcnt vmcnt(11) lgkmcnt(1)
	v_mul_f32_e32 v139, v112, v137
	s_waitcnt vmcnt(10)
	v_mul_f32_e32 v142, v114, v138
	v_mul_f32_e32 v108, v113, v137
	;; [unrolled: 1-line block ×3, first 2 shown]
	s_clause 0x5
	buffer_load_dword v137, off, s[0:3], 0 offset:292
	buffer_load_dword v138, off, s[0:3], 0 offset:312
	;; [unrolled: 1-line block ×6, first 2 shown]
	v_fmac_f32_e32 v139, v113, v136
	v_fma_f32 v136, v112, v136, -v108
	v_fmac_f32_e32 v142, v115, v135
	v_fma_f32 v135, v114, v135, -v109
	s_waitcnt vmcnt(15) lgkmcnt(0)
	v_mul_f32_e32 v165, v2, v134
	v_mul_f32_e32 v108, v3, v134
	s_waitcnt vmcnt(14)
	v_mul_f32_e32 v134, v4, v133
	v_fmac_f32_e32 v165, v3, v132
	v_add_f32_e32 v3, 0, v156
	v_fma_f32 v132, v2, v132, -v108
	v_add_f32_e32 v2, 0, v159
	v_mul_f32_e32 v108, v5, v133
	s_clause 0x1
	buffer_load_dword v133, off, s[0:3], 0 offset:308
	buffer_load_dword v156, off, s[0:3], 0 offset:316
	v_add_f32_e32 v3, v3, v157
	v_add_f32_e32 v2, v2, v160
	buffer_load_dword v157, off, s[0:3], 0 offset:324
	s_waitcnt vmcnt(13)
	v_fmac_f32_e32 v134, v5, v155
	v_fma_f32 v155, v4, v155, -v108
	v_add_f32_e32 v3, v3, v161
	v_add_f32_e32 v2, v2, v144
	s_clause 0x2
	buffer_load_dword v144, off, s[0:3], 0 offset:332
	buffer_load_dword v159, off, s[0:3], 0 offset:340
	;; [unrolled: 1-line block ×3, first 2 shown]
	v_add_f32_e32 v3, v3, v162
	v_add_f32_e32 v2, v2, v145
	s_clause 0x3
	buffer_load_dword v145, off, s[0:3], 0 offset:356
	buffer_load_dword v161, off, s[0:3], 0 offset:364
	;; [unrolled: 1-line block ×4, first 2 shown]
	v_add_f32_e32 v3, v3, v146
	v_add_f32_e32 v2, v2, v148
	buffer_load_dword v146, off, s[0:3], 0 offset:388
	v_add_f32_e32 v3, v3, v147
	v_add_f32_e32 v2, v2, v149
	s_clause 0x3
	buffer_load_dword v147, off, s[0:3], 0 offset:344
	buffer_load_dword v148, off, s[0:3], 0 offset:336
	;; [unrolled: 1-line block ×4, first 2 shown]
	v_add_f32_e32 v3, v3, v150
	v_add_f32_e32 v2, v2, v6
	;; [unrolled: 1-line block ×4, first 2 shown]
	s_clause 0x4
	buffer_load_dword v6, off, s[0:3], 0 offset:376
	buffer_load_dword v7, off, s[0:3], 0 offset:368
	;; [unrolled: 1-line block ×5, first 2 shown]
	v_add_f32_e32 v3, v3, v8
	buffer_load_dword v8, off, s[0:3], 0 offset:384
	v_add_f32_e32 v2, v2, v120
	v_add_f32_e32 v3, v3, v123
	;; [unrolled: 1-line block ×5, first 2 shown]
	ds_read2_b64 v[2:5], v1 offset0:83 offset1:84
	v_add_f32_e32 v108, v108, v122
	v_add_f32_e32 v109, v109, v118
	;; [unrolled: 1-line block ×4, first 2 shown]
	ds_read2_b64 v[108:111], v1 offset0:85 offset1:86
	v_add_f32_e32 v112, v112, v131
	v_add_f32_e32 v113, v113, v125
	;; [unrolled: 1-line block ×10, first 2 shown]
	s_waitcnt vmcnt(29) lgkmcnt(1)
	v_mul_f32_e32 v128, v2, v129
	v_mul_f32_e32 v114, v3, v129
	s_waitcnt vmcnt(28)
	v_mul_f32_e32 v129, v4, v130
	v_mul_f32_e32 v115, v5, v130
	v_fmac_f32_e32 v128, v3, v154
	v_fma_f32 v130, v2, v154, -v114
	v_fmac_f32_e32 v129, v5, v153
	v_fma_f32 v131, v4, v153, -v115
	ds_read2_b64 v[2:5], v1 offset0:87 offset1:88
	ds_read2_b64 v[112:115], v1 offset0:89 offset1:90
	s_waitcnt vmcnt(27) lgkmcnt(2)
	v_mul_f32_e32 v140, v108, v127
	v_mul_f32_e32 v118, v109, v127
	v_fmac_f32_e32 v140, v109, v152
	v_add_f32_e32 v109, v117, v142
	v_fma_f32 v136, v108, v152, -v118
	s_waitcnt vmcnt(26)
	v_mul_f32_e32 v141, v110, v137
	v_mul_f32_e32 v119, v111, v137
	v_add_f32_e32 v121, v109, v165
	s_waitcnt vmcnt(22)
	v_fmac_f32_e32 v141, v111, v164
	v_fma_f32 v135, v110, v164, -v119
	v_add_f32_e32 v126, v121, v134
	v_add_f32_e32 v134, v124, v155
	s_waitcnt vmcnt(21) lgkmcnt(1)
	v_mul_f32_e32 v132, v2, v166
	v_mul_f32_e32 v125, v3, v166
	ds_read2_b64 v[108:111], v1 offset0:91 offset1:92
	ds_read2_b64 v[116:119], v1 offset0:93 offset1:94
	;; [unrolled: 1-line block ×3, first 2 shown]
	v_fmac_f32_e32 v132, v3, v163
	v_fma_f32 v2, v2, v163, -v125
	v_add_f32_e32 v3, v126, v128
	ds_read2_b64 v[124:127], v1 offset0:97 offset1:98
	v_add_f32_e32 v1, v134, v130
	s_waitcnt vmcnt(20)
	v_mul_f32_e32 v130, v5, v133
	v_add_f32_e32 v3, v3, v129
	v_mul_f32_e32 v128, v4, v133
	v_add_f32_e32 v1, v1, v131
	s_waitcnt vmcnt(19) lgkmcnt(4)
	v_mul_f32_e32 v133, v113, v156
	v_fma_f32 v4, v4, v143, -v130
	v_add_f32_e32 v3, v3, v140
	v_mul_f32_e32 v129, v112, v156
	v_add_f32_e32 v1, v1, v136
	v_fmac_f32_e32 v128, v5, v143
	v_fma_f32 v112, v112, v138, -v133
	v_add_f32_e32 v3, v3, v141
	s_waitcnt vmcnt(18)
	v_mul_f32_e32 v131, v114, v157
	v_add_f32_e32 v1, v1, v135
	v_mul_f32_e32 v135, v115, v157
	v_fmac_f32_e32 v129, v113, v138
	s_waitcnt vmcnt(17) lgkmcnt(3)
	v_mul_f32_e32 v5, v108, v144
	s_waitcnt vmcnt(16)
	v_mul_f32_e32 v130, v110, v159
	v_add_f32_e32 v1, v1, v2
	v_add_f32_e32 v2, v3, v132
	s_waitcnt vmcnt(15) lgkmcnt(2)
	v_mul_f32_e32 v134, v116, v160
	s_waitcnt vmcnt(14)
	v_mul_f32_e32 v136, v118, v145
	s_waitcnt vmcnt(8)
	v_fmac_f32_e32 v130, v111, v148
	v_add_f32_e32 v1, v1, v4
	v_add_f32_e32 v2, v2, v128
	v_mul_f32_e32 v4, v109, v144
	s_waitcnt vmcnt(6)
	v_fma_f32 v113, v114, v168, -v135
	v_fmac_f32_e32 v131, v115, v168
	v_add_f32_e32 v1, v1, v112
	v_add_f32_e32 v2, v2, v129
	v_mul_f32_e32 v112, v111, v159
	v_fma_f32 v4, v108, v149, -v4
	v_fmac_f32_e32 v5, v109, v149
	v_add_f32_e32 v1, v1, v113
	v_add_f32_e32 v2, v2, v131
	v_mul_f32_e32 v108, v117, v160
	;; [unrolled: 5-line block ×3, first 2 shown]
	v_fma_f32 v5, v116, v147, -v108
	s_waitcnt lgkmcnt(1)
	v_mul_f32_e32 v108, v121, v161
	v_add_f32_e32 v1, v1, v109
	v_add_f32_e32 v2, v2, v130
	s_waitcnt vmcnt(2)
	v_fma_f32 v4, v118, v151, -v4
	v_mul_f32_e32 v137, v120, v161
	v_fmac_f32_e32 v136, v119, v151
	v_add_f32_e32 v1, v1, v5
	v_add_f32_e32 v2, v2, v134
	v_mul_f32_e32 v5, v123, v162
	v_fma_f32 v108, v120, v150, -v108
	v_mul_f32_e32 v139, v122, v162
	v_add_f32_e32 v1, v1, v4
	v_fmac_f32_e32 v137, v121, v150
	v_add_f32_e32 v2, v2, v136
	s_waitcnt lgkmcnt(0)
	v_mul_f32_e32 v4, v125, v167
	v_fma_f32 v5, v122, v7, -v5
	v_add_f32_e32 v1, v1, v108
	v_mul_f32_e32 v140, v124, v167
	v_fmac_f32_e32 v139, v123, v7
	v_add_f32_e32 v2, v2, v137
	v_mul_f32_e32 v7, v127, v146
	v_fma_f32 v4, v124, v6, -v4
	v_add_f32_e32 v1, v1, v5
	v_mul_f32_e32 v3, v126, v146
	v_fmac_f32_e32 v140, v125, v6
	v_add_f32_e32 v2, v2, v139
	s_waitcnt vmcnt(0)
	v_fma_f32 v5, v126, v8, -v7
	v_add_f32_e32 v1, v1, v4
	v_fmac_f32_e32 v3, v127, v8
	v_add_f32_e32 v2, v2, v140
	v_add_f32_e32 v1, v1, v5
	v_add_f32_e32 v2, v2, v3
	v_sub_f32_e32 v1, v169, v1
	v_sub_f32_e32 v2, v158, v2
	buffer_store_dword v1, off, s[0:3], 0 offset:96
	buffer_store_dword v2, off, s[0:3], 0 offset:100
	v_cmpx_lt_u32_e32 11, v0
	s_cbranch_execz .LBB48_285
; %bb.284:
	s_clause 0x1
	buffer_load_dword v1, off, s[0:3], 0 offset:88
	buffer_load_dword v2, off, s[0:3], 0 offset:92
	v_mov_b32_e32 v3, 0
	buffer_store_dword v3, off, s[0:3], 0 offset:88
	buffer_store_dword v3, off, s[0:3], 0 offset:92
	s_waitcnt vmcnt(0)
	ds_write_b64 v107, v[1:2]
.LBB48_285:
	s_or_b32 exec_lo, exec_lo, s4
	s_waitcnt lgkmcnt(0)
	s_waitcnt_vscnt null, 0x0
	s_barrier
	buffer_gl0_inv
	s_clause 0x2b
	buffer_load_dword v139, off, s[0:3], 0 offset:100
	buffer_load_dword v2, off, s[0:3], 0 offset:112
	;; [unrolled: 1-line block ×44, first 2 shown]
	v_mov_b32_e32 v1, 0
	ds_read_b128 v[140:143], v1 offset:496
	ds_read_b128 v[144:147], v1 offset:512
	;; [unrolled: 1-line block ×3, first 2 shown]
	buffer_load_dword v158, off, s[0:3], 0 offset:92
	s_mov_b32 s4, exec_lo
	s_waitcnt vmcnt(44) lgkmcnt(2)
	v_mul_f32_e32 v157, v140, v139
	v_mul_f32_e32 v139, v141, v139
	s_waitcnt vmcnt(40)
	v_mul_f32_e32 v160, v142, v108
	v_mul_f32_e32 v108, v143, v108
	v_fmac_f32_e32 v157, v141, v109
	v_fma_f32 v159, v140, v109, -v139
	s_waitcnt vmcnt(39) lgkmcnt(1)
	v_mul_f32_e32 v162, v144, v7
	v_fmac_f32_e32 v160, v143, v5
	v_fma_f32 v161, v142, v5, -v108
	v_mul_f32_e32 v5, v145, v7
	ds_read_b128 v[139:142], v1 offset:544
	v_fmac_f32_e32 v162, v145, v2
	s_waitcnt vmcnt(38)
	v_mul_f32_e32 v164, v146, v4
	v_fma_f32 v163, v144, v2, -v5
	v_mul_f32_e32 v2, v147, v4
	s_waitcnt vmcnt(34)
	v_fmac_f32_e32 v164, v147, v113
	s_waitcnt vmcnt(33) lgkmcnt(1)
	v_mul_f32_e32 v147, v148, v112
	v_fma_f32 v113, v146, v113, -v2
	v_mul_f32_e32 v2, v149, v112
	ds_read_b128 v[143:146], v1 offset:560
	v_fmac_f32_e32 v147, v149, v110
	v_fma_f32 v112, v148, v110, -v2
	s_waitcnt vmcnt(32)
	v_mul_f32_e32 v148, v150, v111
	v_mul_f32_e32 v2, v151, v111
	ds_read_b128 v[108:111], v1 offset:592
	v_fmac_f32_e32 v148, v151, v6
	v_fma_f32 v149, v150, v6, -v2
	s_waitcnt vmcnt(31) lgkmcnt(2)
	v_mul_f32_e32 v2, v140, v8
	ds_read_b128 v[4:7], v1 offset:576
	v_mul_f32_e32 v150, v139, v8
	v_fma_f32 v8, v139, v3, -v2
	s_waitcnt vmcnt(30)
	v_mul_f32_e32 v2, v142, v114
	v_mul_f32_e32 v139, v141, v114
	v_fmac_f32_e32 v150, v140, v3
	s_waitcnt vmcnt(24) lgkmcnt(2)
	v_mul_f32_e32 v140, v145, v119
	v_fma_f32 v114, v141, v122, -v2
	v_mul_f32_e32 v2, v144, v121
	v_fmac_f32_e32 v139, v142, v122
	v_mul_f32_e32 v122, v143, v121
	v_fmac_f32_e32 v140, v146, v116
	v_fma_f32 v121, v143, v118, -v2
	v_mul_f32_e32 v2, v146, v119
	v_fmac_f32_e32 v122, v144, v118
	s_waitcnt vmcnt(23) lgkmcnt(0)
	v_mul_f32_e32 v142, v4, v117
	s_waitcnt vmcnt(22)
	v_mul_f32_e32 v143, v6, v120
	v_fma_f32 v141, v145, v116, -v2
	v_mul_f32_e32 v2, v5, v117
	ds_read_b128 v[116:119], v1 offset:608
	v_fmac_f32_e32 v142, v5, v115
	s_waitcnt vmcnt(18)
	v_fmac_f32_e32 v143, v7, v131
	v_fma_f32 v115, v4, v115, -v2
	v_mul_f32_e32 v2, v7, v120
	s_waitcnt vmcnt(17)
	v_mul_f32_e32 v7, v108, v130
	s_waitcnt vmcnt(16)
	v_mul_f32_e32 v120, v110, v129
	v_mul_f32_e32 v129, v111, v129
	v_fma_f32 v6, v6, v131, -v2
	v_mul_f32_e32 v2, v109, v130
	v_fmac_f32_e32 v7, v109, v127
	v_fmac_f32_e32 v120, v111, v124
	v_fma_f32 v124, v110, v124, -v129
	v_add_f32_e32 v110, 0, v157
	v_fma_f32 v127, v108, v127, -v2
	ds_read_b128 v[2:5], v1 offset:624
	s_clause 0x2
	buffer_load_dword v129, off, s[0:3], 0 offset:268
	buffer_load_dword v130, off, s[0:3], 0 offset:276
	;; [unrolled: 1-line block ×3, first 2 shown]
	s_waitcnt vmcnt(18) lgkmcnt(1)
	v_mul_f32_e32 v131, v116, v125
	v_mul_f32_e32 v108, v117, v125
	s_waitcnt vmcnt(17)
	v_mul_f32_e32 v125, v118, v128
	v_mul_f32_e32 v109, v119, v128
	v_fmac_f32_e32 v131, v117, v123
	v_fma_f32 v116, v116, v123, -v108
	s_waitcnt vmcnt(13)
	v_fmac_f32_e32 v125, v119, v138
	v_fma_f32 v117, v118, v138, -v109
	v_add_f32_e32 v119, v110, v160
	ds_read_b128 v[108:111], v1 offset:640
	v_add_f32_e32 v118, 0, v159
	v_add_f32_e32 v119, v119, v162
	;; [unrolled: 1-line block ×3, first 2 shown]
	s_waitcnt vmcnt(12) lgkmcnt(1)
	v_mul_f32_e32 v123, v2, v137
	v_mul_f32_e32 v128, v3, v137
	s_clause 0x3
	buffer_load_dword v137, off, s[0:3], 0 offset:304
	buffer_load_dword v138, off, s[0:3], 0 offset:296
	buffer_load_dword v145, off, s[0:3], 0 offset:288
	buffer_load_dword v146, off, s[0:3], 0 offset:280
	v_fmac_f32_e32 v123, v3, v136
	v_fma_f32 v128, v2, v136, -v128
	s_clause 0x1
	buffer_load_dword v136, off, s[0:3], 0 offset:292
	buffer_load_dword v151, off, s[0:3], 0 offset:300
	v_add_f32_e32 v2, v118, v163
	v_add_f32_e32 v3, v119, v164
	s_waitcnt vmcnt(17)
	v_mul_f32_e32 v118, v4, v135
	v_mul_f32_e32 v119, v5, v135
	buffer_load_dword v135, off, s[0:3], 0 offset:308
	v_add_f32_e32 v2, v2, v113
	v_add_f32_e32 v3, v3, v147
	v_fmac_f32_e32 v118, v5, v133
	v_fma_f32 v119, v4, v133, -v119
	s_clause 0x3
	buffer_load_dword v133, off, s[0:3], 0 offset:316
	buffer_load_dword v147, off, s[0:3], 0 offset:324
	;; [unrolled: 1-line block ×4, first 2 shown]
	v_add_f32_e32 v112, v2, v112
	v_add_f32_e32 v113, v3, v148
	ds_read_b128 v[2:5], v1 offset:656
	s_waitcnt vmcnt(21) lgkmcnt(1)
	v_mul_f32_e32 v148, v108, v132
	v_mul_f32_e32 v132, v109, v132
	v_add_f32_e32 v112, v112, v149
	v_add_f32_e32 v113, v113, v150
	s_waitcnt vmcnt(20)
	v_mul_f32_e32 v149, v110, v134
	v_fmac_f32_e32 v148, v109, v126
	v_fma_f32 v126, v108, v126, -v132
	v_add_f32_e32 v8, v112, v8
	v_add_f32_e32 v108, v113, v139
	v_mul_f32_e32 v112, v111, v134
	s_clause 0x4
	buffer_load_dword v132, off, s[0:3], 0 offset:348
	buffer_load_dword v134, off, s[0:3], 0 offset:356
	;; [unrolled: 1-line block ×5, first 2 shown]
	v_add_f32_e32 v8, v8, v114
	s_clause 0x4
	buffer_load_dword v161, off, s[0:3], 0 offset:336
	buffer_load_dword v162, off, s[0:3], 0 offset:328
	;; [unrolled: 1-line block ×5, first 2 shown]
	v_add_f32_e32 v108, v108, v122
	s_waitcnt vmcnt(26)
	v_fmac_f32_e32 v149, v111, v155
	v_fma_f32 v155, v110, v155, -v112
	v_add_f32_e32 v8, v8, v121
	v_add_f32_e32 v108, v108, v140
	s_waitcnt vmcnt(25) lgkmcnt(0)
	v_mul_f32_e32 v113, v3, v156
	v_mul_f32_e32 v140, v2, v156
	v_add_f32_e32 v8, v8, v141
	v_add_f32_e32 v112, v108, v142
	ds_read_b128 v[108:111], v1 offset:672
	v_fma_f32 v121, v2, v154, -v113
	v_add_f32_e32 v8, v8, v115
	v_fmac_f32_e32 v140, v3, v154
	v_add_f32_e32 v112, v112, v143
	v_add_f32_e32 v2, v8, v6
	s_clause 0x3
	buffer_load_dword v8, off, s[0:3], 0 offset:368
	buffer_load_dword v141, off, s[0:3], 0 offset:360
	;; [unrolled: 1-line block ×4, first 2 shown]
	v_add_f32_e32 v3, v112, v7
	v_add_f32_e32 v2, v2, v127
	s_clause 0x1
	buffer_load_dword v127, off, s[0:3], 0 offset:384
	buffer_load_dword v154, off, s[0:3], 0 offset:376
	v_add_f32_e32 v3, v3, v120
	ds_read_b128 v[112:115], v1 offset:704
	v_add_f32_e32 v2, v2, v124
	buffer_load_dword v124, off, s[0:3], 0 offset:88
	v_add_f32_e32 v6, v3, v131
	v_add_f32_e32 v7, v2, v116
	;; [unrolled: 1-line block ×11, first 2 shown]
	s_waitcnt vmcnt(30)
	v_mul_f32_e32 v131, v4, v129
	v_mul_f32_e32 v3, v5, v129
	s_waitcnt vmcnt(29) lgkmcnt(1)
	v_mul_f32_e32 v116, v109, v130
	v_mul_f32_e32 v125, v108, v130
	s_waitcnt vmcnt(28)
	v_mul_f32_e32 v117, v111, v144
	v_fmac_f32_e32 v131, v5, v153
	v_fma_f32 v129, v4, v153, -v3
	ds_read_b128 v[2:5], v1 offset:688
	v_fma_f32 v128, v108, v152, -v116
	v_mul_f32_e32 v130, v110, v144
	v_fmac_f32_e32 v125, v109, v152
	s_waitcnt vmcnt(24)
	v_fma_f32 v144, v110, v146, -v117
	v_fmac_f32_e32 v130, v111, v146
	ds_read_b128 v[108:111], v1 offset:720
	ds_read_b128 v[116:119], v1 offset:736
	s_waitcnt vmcnt(23) lgkmcnt(2)
	v_mul_f32_e32 v126, v2, v136
	v_mul_f32_e32 v120, v3, v136
	s_waitcnt vmcnt(22)
	v_mul_f32_e32 v136, v4, v151
	v_mul_f32_e32 v146, v5, v151
	v_fmac_f32_e32 v126, v3, v145
	v_fma_f32 v145, v2, v145, -v120
	v_add_f32_e32 v2, v6, v149
	v_add_f32_e32 v6, v7, v121
	v_fmac_f32_e32 v136, v5, v138
	v_fma_f32 v138, v4, v138, -v146
	s_waitcnt vmcnt(21)
	v_mul_f32_e32 v146, v112, v135
	v_add_f32_e32 v140, v2, v140
	v_add_f32_e32 v129, v6, v129
	ds_read_b128 v[120:123], v1 offset:752
	ds_read_b128 v[2:5], v1 offset:768
	v_fmac_f32_e32 v146, v113, v137
	v_add_f32_e32 v131, v140, v131
	v_add_f32_e32 v128, v129, v128
	v_mul_f32_e32 v129, v113, v135
	s_waitcnt vmcnt(20)
	v_mul_f32_e32 v140, v114, v133
	v_mul_f32_e32 v133, v115, v133
	v_add_f32_e32 v125, v131, v125
	v_add_f32_e32 v128, v128, v144
	v_fma_f32 v112, v112, v137, -v129
	s_waitcnt vmcnt(19) lgkmcnt(3)
	v_mul_f32_e32 v131, v108, v147
	v_mul_f32_e32 v137, v109, v147
	v_add_f32_e32 v125, v125, v130
	v_add_f32_e32 v128, v128, v145
	s_waitcnt vmcnt(8)
	v_fma_f32 v114, v114, v164, -v133
	v_fmac_f32_e32 v140, v115, v164
	v_fmac_f32_e32 v131, v109, v163
	v_add_f32_e32 v125, v125, v126
	v_add_f32_e32 v128, v128, v138
	v_fma_f32 v108, v108, v163, -v137
	v_mul_f32_e32 v135, v110, v157
	s_waitcnt lgkmcnt(2)
	v_mul_f32_e32 v144, v116, v159
	v_add_f32_e32 v125, v125, v136
	v_add_f32_e32 v112, v128, v112
	v_mul_f32_e32 v130, v118, v132
	v_fmac_f32_e32 v135, v111, v162
	v_fmac_f32_e32 v144, v117, v161
	v_add_f32_e32 v115, v125, v146
	v_mul_f32_e32 v125, v111, v157
	v_add_f32_e32 v109, v112, v114
	v_mul_f32_e32 v114, v117, v159
	v_mul_f32_e32 v111, v119, v132
	v_add_f32_e32 v112, v115, v140
	v_fma_f32 v110, v110, v162, -v125
	v_add_f32_e32 v108, v109, v108
	ds_read_b64 v[6:7], v1 offset:784
	s_waitcnt vmcnt(3)
	v_fma_f32 v111, v118, v143, -v111
	v_add_f32_e32 v109, v112, v131
	v_fma_f32 v112, v116, v161, -v114
	v_add_f32_e32 v108, v108, v110
	s_waitcnt lgkmcnt(2)
	v_mul_f32_e32 v110, v121, v134
	v_mul_f32_e32 v145, v120, v134
	v_add_f32_e32 v109, v109, v135
	v_fmac_f32_e32 v130, v119, v143
	v_add_f32_e32 v108, v108, v112
	v_mul_f32_e32 v112, v123, v139
	v_fma_f32 v110, v120, v142, -v110
	v_add_f32_e32 v109, v109, v144
	v_mul_f32_e32 v113, v122, v139
	v_add_f32_e32 v108, v108, v111
	v_fmac_f32_e32 v145, v121, v142
	s_waitcnt lgkmcnt(1)
	v_mul_f32_e32 v126, v2, v150
	v_add_f32_e32 v109, v109, v130
	v_mul_f32_e32 v111, v3, v150
	v_fma_f32 v112, v122, v141, -v112
	v_add_f32_e32 v108, v108, v110
	v_fmac_f32_e32 v113, v123, v141
	v_add_f32_e32 v109, v109, v145
	v_mul_f32_e32 v110, v5, v160
	v_fmac_f32_e32 v126, v3, v8
	v_fma_f32 v2, v2, v8, -v111
	v_add_f32_e32 v3, v108, v112
	v_mul_f32_e32 v129, v4, v160
	v_add_f32_e32 v8, v109, v113
	s_waitcnt lgkmcnt(0)
	v_mul_f32_e32 v108, v7, v165
	s_waitcnt vmcnt(1)
	v_fma_f32 v4, v4, v154, -v110
	v_add_f32_e32 v2, v3, v2
	v_mul_f32_e32 v136, v6, v165
	v_fmac_f32_e32 v129, v5, v154
	v_add_f32_e32 v3, v8, v126
	v_fma_f32 v5, v6, v127, -v108
	v_add_f32_e32 v2, v2, v4
	v_fmac_f32_e32 v136, v7, v127
	v_add_f32_e32 v3, v3, v129
	v_add_f32_e32 v2, v2, v5
	;; [unrolled: 1-line block ×3, first 2 shown]
	s_waitcnt vmcnt(0)
	v_sub_f32_e32 v2, v124, v2
	v_sub_f32_e32 v3, v158, v3
	buffer_store_dword v2, off, s[0:3], 0 offset:88
	buffer_store_dword v3, off, s[0:3], 0 offset:92
	v_cmpx_lt_u32_e32 10, v0
	s_cbranch_execz .LBB48_287
; %bb.286:
	s_clause 0x1
	buffer_load_dword v2, off, s[0:3], 0 offset:80
	buffer_load_dword v3, off, s[0:3], 0 offset:84
	buffer_store_dword v1, off, s[0:3], 0 offset:80
	buffer_store_dword v1, off, s[0:3], 0 offset:84
	s_waitcnt vmcnt(0)
	ds_write_b64 v107, v[2:3]
.LBB48_287:
	s_or_b32 exec_lo, exec_lo, s4
	s_waitcnt lgkmcnt(0)
	s_waitcnt_vscnt null, 0x0
	s_barrier
	buffer_gl0_inv
	s_clause 0x2b
	buffer_load_dword v6, off, s[0:3], 0 offset:92
	buffer_load_dword v7, off, s[0:3], 0 offset:104
	;; [unrolled: 1-line block ×44, first 2 shown]
	ds_read2_b64 v[2:5], v1 offset0:61 offset1:62
	ds_read2_b64 v[108:111], v1 offset0:63 offset1:64
	;; [unrolled: 1-line block ×3, first 2 shown]
	buffer_load_dword v158, off, s[0:3], 0 offset:84
	s_mov_b32 s4, exec_lo
	s_waitcnt vmcnt(44) lgkmcnt(2)
	v_mul_f32_e32 v157, v3, v6
	v_mul_f32_e32 v6, v2, v6
	s_waitcnt vmcnt(41)
	v_fma_f32 v157, v2, v116, -v157
	v_fmac_f32_e32 v6, v3, v116
	s_waitcnt vmcnt(40)
	v_mul_f32_e32 v116, v4, v117
	v_mul_f32_e32 v2, v5, v117
	s_waitcnt vmcnt(39) lgkmcnt(1)
	v_mul_f32_e32 v117, v108, v118
	v_mul_f32_e32 v118, v109, v118
	v_add_f32_e32 v6, 0, v6
	v_fmac_f32_e32 v116, v5, v8
	v_fma_f32 v8, v4, v8, -v2
	ds_read2_b64 v[2:5], v1 offset0:67 offset1:68
	v_fmac_f32_e32 v117, v109, v7
	v_fma_f32 v7, v108, v7, -v118
	s_waitcnt vmcnt(38)
	v_mul_f32_e32 v118, v110, v119
	v_mul_f32_e32 v108, v111, v119
	v_add_f32_e32 v6, v6, v116
	s_waitcnt vmcnt(34)
	v_fmac_f32_e32 v118, v111, v123
	v_fma_f32 v119, v110, v123, -v108
	s_waitcnt vmcnt(33) lgkmcnt(1)
	v_mul_f32_e32 v123, v112, v124
	v_mul_f32_e32 v124, v113, v124
	ds_read2_b64 v[108:111], v1 offset0:69 offset1:70
	v_add_f32_e32 v6, v6, v117
	v_fmac_f32_e32 v123, v113, v122
	v_fma_f32 v122, v112, v122, -v124
	s_waitcnt vmcnt(32)
	v_mul_f32_e32 v124, v114, v125
	v_mul_f32_e32 v112, v115, v125
	v_add_f32_e32 v6, v6, v118
	s_waitcnt vmcnt(31) lgkmcnt(1)
	v_mul_f32_e32 v125, v2, v126
	v_mul_f32_e32 v126, v3, v126
	v_fmac_f32_e32 v124, v115, v121
	v_fma_f32 v121, v114, v121, -v112
	ds_read2_b64 v[112:115], v1 offset0:71 offset1:72
	v_fmac_f32_e32 v125, v3, v120
	v_fma_f32 v120, v2, v120, -v126
	s_waitcnt vmcnt(30)
	v_mul_f32_e32 v126, v4, v127
	v_mul_f32_e32 v2, v5, v127
	v_add_f32_e32 v6, v6, v123
	s_waitcnt vmcnt(26)
	v_fmac_f32_e32 v126, v5, v131
	v_fma_f32 v127, v4, v131, -v2
	s_waitcnt vmcnt(25) lgkmcnt(1)
	v_mul_f32_e32 v131, v108, v132
	v_mul_f32_e32 v2, v109, v132
	s_waitcnt vmcnt(24)
	v_mul_f32_e32 v132, v110, v133
	v_mul_f32_e32 v133, v111, v133
	v_add_f32_e32 v6, v6, v124
	v_fmac_f32_e32 v131, v109, v130
	v_fma_f32 v130, v108, v130, -v2
	ds_read2_b64 v[2:5], v1 offset0:73 offset1:74
	v_fmac_f32_e32 v132, v111, v129
	v_fma_f32 v129, v110, v129, -v133
	ds_read2_b64 v[108:111], v1 offset0:75 offset1:76
	s_waitcnt vmcnt(23) lgkmcnt(2)
	v_mul_f32_e32 v133, v112, v134
	v_mul_f32_e32 v134, v113, v134
	v_fmac_f32_e32 v133, v113, v128
	v_fma_f32 v112, v112, v128, -v134
	s_waitcnt vmcnt(22)
	v_mul_f32_e32 v113, v114, v135
	v_mul_f32_e32 v128, v115, v135
	s_waitcnt vmcnt(18)
	v_fmac_f32_e32 v113, v115, v139
	v_fma_f32 v114, v114, v139, -v128
	s_clause 0x1
	buffer_load_dword v115, off, s[0:3], 0 offset:260
	buffer_load_dword v128, off, s[0:3], 0 offset:268
	s_waitcnt vmcnt(19) lgkmcnt(1)
	v_mul_f32_e32 v134, v2, v140
	v_mul_f32_e32 v135, v3, v140
	s_waitcnt vmcnt(18)
	v_mul_f32_e32 v139, v4, v141
	v_mul_f32_e32 v140, v5, v141
	s_waitcnt vmcnt(17) lgkmcnt(0)
	v_mul_f32_e32 v141, v108, v142
	v_mul_f32_e32 v142, v109, v142
	v_fmac_f32_e32 v134, v3, v138
	v_fma_f32 v135, v2, v138, -v135
	v_fmac_f32_e32 v139, v5, v137
	v_fmac_f32_e32 v141, v109, v136
	v_fma_f32 v136, v108, v136, -v142
	v_add_f32_e32 v108, 0, v157
	v_fma_f32 v137, v4, v137, -v140
	ds_read2_b64 v[2:5], v1 offset0:77 offset1:78
	s_waitcnt vmcnt(16)
	v_mul_f32_e32 v138, v110, v143
	v_mul_f32_e32 v143, v111, v143
	v_add_f32_e32 v8, v108, v8
	s_waitcnt vmcnt(12)
	v_fmac_f32_e32 v138, v111, v147
	v_fma_f32 v140, v110, v147, -v143
	s_clause 0x4
	buffer_load_dword v142, off, s[0:3], 0 offset:276
	buffer_load_dword v143, off, s[0:3], 0 offset:296
	;; [unrolled: 1-line block ×5, first 2 shown]
	v_add_f32_e32 v7, v8, v7
	s_clause 0x2
	buffer_load_dword v8, off, s[0:3], 0 offset:284
	buffer_load_dword v160, off, s[0:3], 0 offset:292
	;; [unrolled: 1-line block ×3, first 2 shown]
	ds_read2_b64 v[108:111], v1 offset0:79 offset1:80
	v_add_f32_e32 v7, v7, v119
	v_add_f32_e32 v7, v7, v122
	s_waitcnt vmcnt(19) lgkmcnt(1)
	v_mul_f32_e32 v116, v2, v148
	v_mul_f32_e32 v117, v3, v148
	s_waitcnt vmcnt(18)
	v_mul_f32_e32 v118, v4, v149
	v_mul_f32_e32 v119, v5, v149
	v_fmac_f32_e32 v116, v3, v146
	v_add_f32_e32 v3, v7, v121
	v_fma_f32 v7, v2, v146, -v117
	v_fmac_f32_e32 v118, v5, v145
	v_fma_f32 v117, v4, v145, -v119
	v_add_f32_e32 v2, v3, v120
	v_add_f32_e32 v3, v6, v125
	s_clause 0x7
	buffer_load_dword v6, off, s[0:3], 0 offset:308
	buffer_load_dword v145, off, s[0:3], 0 offset:316
	buffer_load_dword v146, off, s[0:3], 0 offset:324
	buffer_load_dword v148, off, s[0:3], 0 offset:332
	buffer_load_dword v149, off, s[0:3], 0 offset:328
	buffer_load_dword v162, off, s[0:3], 0 offset:320
	buffer_load_dword v163, off, s[0:3], 0 offset:312
	buffer_load_dword v164, off, s[0:3], 0 offset:304
	s_waitcnt vmcnt(25) lgkmcnt(0)
	v_mul_f32_e32 v4, v109, v150
	v_mul_f32_e32 v119, v108, v150
	v_add_f32_e32 v2, v2, v127
	v_add_f32_e32 v3, v3, v126
	s_clause 0x3
	buffer_load_dword v150, off, s[0:3], 0 offset:340
	buffer_load_dword v165, off, s[0:3], 0 offset:348
	;; [unrolled: 1-line block ×4, first 2 shown]
	v_fma_f32 v120, v108, v144, -v4
	v_fmac_f32_e32 v119, v109, v144
	v_add_f32_e32 v2, v2, v130
	v_add_f32_e32 v108, v3, v131
	s_waitcnt vmcnt(28)
	v_mul_f32_e32 v3, v111, v151
	s_clause 0x1
	buffer_load_dword v130, off, s[0:3], 0 offset:372
	buffer_load_dword v144, off, s[0:3], 0 offset:380
	v_mul_f32_e32 v121, v110, v151
	v_add_f32_e32 v109, v2, v129
	v_add_f32_e32 v108, v108, v132
	s_waitcnt vmcnt(26)
	v_fma_f32 v122, v110, v155, -v3
	ds_read2_b64 v[2:5], v1 offset0:81 offset1:82
	buffer_load_dword v129, off, s[0:3], 0 offset:388
	v_add_f32_e32 v109, v109, v112
	v_add_f32_e32 v108, v108, v133
	s_clause 0x3
	buffer_load_dword v131, off, s[0:3], 0 offset:360
	buffer_load_dword v132, off, s[0:3], 0 offset:352
	;; [unrolled: 1-line block ×4, first 2 shown]
	v_fmac_f32_e32 v121, v111, v155
	v_add_f32_e32 v109, v109, v114
	v_add_f32_e32 v108, v108, v113
	;; [unrolled: 1-line block ×4, first 2 shown]
	ds_read2_b64 v[108:111], v1 offset0:83 offset1:84
	v_add_f32_e32 v112, v112, v137
	s_waitcnt vmcnt(30) lgkmcnt(1)
	v_mul_f32_e32 v123, v2, v156
	v_mul_f32_e32 v114, v3, v156
	v_fmac_f32_e32 v123, v3, v154
	v_add_f32_e32 v3, v112, v136
	s_clause 0x3
	buffer_load_dword v134, off, s[0:3], 0 offset:384
	buffer_load_dword v135, off, s[0:3], 0 offset:376
	;; [unrolled: 1-line block ×4, first 2 shown]
	v_fma_f32 v124, v2, v154, -v114
	v_add_f32_e32 v2, v113, v139
	v_add_f32_e32 v3, v3, v140
	;; [unrolled: 1-line block ×13, first 2 shown]
	s_waitcnt vmcnt(32)
	v_mul_f32_e32 v125, v4, v115
	v_mul_f32_e32 v112, v5, v115
	s_waitcnt vmcnt(31) lgkmcnt(0)
	v_mul_f32_e32 v138, v108, v128
	v_mul_f32_e32 v117, v109, v128
	v_fmac_f32_e32 v125, v5, v153
	v_fma_f32 v126, v4, v153, -v112
	ds_read2_b64 v[2:5], v1 offset0:85 offset1:86
	ds_read2_b64 v[112:115], v1 offset0:87 offset1:88
	v_fmac_f32_e32 v138, v109, v152
	v_fma_f32 v127, v108, v152, -v117
	v_add_f32_e32 v152, v120, v123
	v_add_f32_e32 v7, v7, v126
	;; [unrolled: 1-line block ×4, first 2 shown]
	s_waitcnt vmcnt(30)
	v_mul_f32_e32 v118, v111, v142
	v_mul_f32_e32 v128, v110, v142
	s_waitcnt vmcnt(26)
	v_fma_f32 v139, v110, v159, -v118
	v_fmac_f32_e32 v128, v111, v159
	s_waitcnt vmcnt(25) lgkmcnt(1)
	v_mul_f32_e32 v140, v2, v8
	v_mul_f32_e32 v8, v3, v8
	s_waitcnt vmcnt(24)
	v_mul_f32_e32 v141, v4, v160
	v_mul_f32_e32 v121, v5, v160
	s_waitcnt vmcnt(23) lgkmcnt(0)
	v_mul_f32_e32 v124, v113, v161
	ds_read2_b64 v[108:111], v1 offset0:89 offset1:90
	ds_read2_b64 v[116:119], v1 offset0:91 offset1:92
	v_mul_f32_e32 v142, v112, v161
	v_fmac_f32_e32 v140, v3, v157
	v_fma_f32 v8, v2, v157, -v8
	v_fmac_f32_e32 v141, v5, v147
	v_fma_f32 v147, v4, v147, -v121
	ds_read2_b64 v[2:5], v1 offset0:93 offset1:94
	ds_read2_b64 v[120:123], v1 offset0:95 offset1:96
	v_fma_f32 v112, v112, v143, -v124
	ds_read2_b64 v[124:127], v1 offset0:97 offset1:98
	v_add_f32_e32 v1, v152, v138
	v_add_f32_e32 v7, v7, v139
	v_fmac_f32_e32 v142, v113, v143
	s_waitcnt vmcnt(22)
	v_mul_f32_e32 v113, v114, v6
	v_mul_f32_e32 v6, v115, v6
	v_add_f32_e32 v1, v1, v128
	v_add_f32_e32 v7, v7, v8
	s_waitcnt vmcnt(15)
	v_fmac_f32_e32 v113, v115, v164
	v_fma_f32 v6, v114, v164, -v6
	v_add_f32_e32 v1, v1, v140
	v_add_f32_e32 v7, v7, v147
	s_waitcnt lgkmcnt(4)
	v_mul_f32_e32 v139, v109, v145
	v_mul_f32_e32 v138, v108, v145
	;; [unrolled: 1-line block ×3, first 2 shown]
	v_add_f32_e32 v1, v1, v141
	v_add_f32_e32 v7, v7, v112
	v_mul_f32_e32 v141, v111, v146
	v_fma_f32 v108, v108, v163, -v139
	v_fmac_f32_e32 v138, v109, v163
	v_add_f32_e32 v1, v1, v142
	v_add_f32_e32 v6, v7, v6
	s_waitcnt lgkmcnt(3)
	v_mul_f32_e32 v7, v117, v148
	v_fma_f32 v109, v110, v162, -v141
	v_mul_f32_e32 v114, v116, v148
	v_add_f32_e32 v1, v1, v113
	v_add_f32_e32 v6, v6, v108
	v_fmac_f32_e32 v128, v111, v162
	s_waitcnt vmcnt(14)
	v_mul_f32_e32 v108, v119, v150
	v_fma_f32 v7, v116, v149, -v7
	v_add_f32_e32 v1, v1, v138
	v_add_f32_e32 v6, v6, v109
	v_mul_f32_e32 v115, v118, v150
	v_fmac_f32_e32 v114, v117, v149
	s_waitcnt vmcnt(13) lgkmcnt(2)
	v_mul_f32_e32 v8, v2, v165
	v_add_f32_e32 v1, v1, v128
	v_mul_f32_e32 v109, v3, v165
	s_waitcnt vmcnt(4)
	v_fma_f32 v108, v118, v151, -v108
	v_add_f32_e32 v6, v6, v7
	v_fmac_f32_e32 v115, v119, v151
	v_add_f32_e32 v1, v1, v114
	v_mul_f32_e32 v7, v5, v166
	v_fmac_f32_e32 v8, v3, v133
	v_fma_f32 v2, v2, v133, -v109
	v_add_f32_e32 v3, v6, v108
	v_mul_f32_e32 v140, v4, v166
	v_add_f32_e32 v1, v1, v115
	s_waitcnt lgkmcnt(1)
	v_mul_f32_e32 v6, v121, v167
	v_fma_f32 v4, v4, v132, -v7
	v_add_f32_e32 v2, v3, v2
	v_mul_f32_e32 v143, v120, v167
	v_fmac_f32_e32 v140, v5, v132
	v_add_f32_e32 v1, v1, v8
	v_mul_f32_e32 v3, v123, v130
	v_fma_f32 v5, v120, v131, -v6
	v_add_f32_e32 v2, v2, v4
	v_mul_f32_e32 v145, v122, v130
	v_fmac_f32_e32 v143, v121, v131
	v_add_f32_e32 v1, v1, v140
	s_waitcnt lgkmcnt(0)
	v_mul_f32_e32 v4, v125, v144
	s_waitcnt vmcnt(1)
	v_fma_f32 v3, v122, v136, -v3
	v_add_f32_e32 v2, v2, v5
	v_mul_f32_e32 v146, v124, v144
	v_fmac_f32_e32 v145, v123, v136
	v_add_f32_e32 v1, v1, v143
	v_mul_f32_e32 v5, v127, v129
	v_fma_f32 v4, v124, v135, -v4
	v_add_f32_e32 v2, v2, v3
	v_mul_f32_e32 v112, v126, v129
	v_fmac_f32_e32 v146, v125, v135
	v_add_f32_e32 v1, v1, v145
	v_fma_f32 v3, v126, v134, -v5
	v_add_f32_e32 v2, v2, v4
	v_fmac_f32_e32 v112, v127, v134
	v_add_f32_e32 v1, v1, v146
	v_add_f32_e32 v2, v2, v3
	v_add_f32_e32 v1, v1, v112
	s_waitcnt vmcnt(0)
	v_sub_f32_e32 v2, v137, v2
	v_sub_f32_e32 v1, v158, v1
	buffer_store_dword v2, off, s[0:3], 0 offset:80
	buffer_store_dword v1, off, s[0:3], 0 offset:84
	v_cmpx_lt_u32_e32 9, v0
	s_cbranch_execz .LBB48_289
; %bb.288:
	s_clause 0x1
	buffer_load_dword v1, off, s[0:3], 0 offset:72
	buffer_load_dword v2, off, s[0:3], 0 offset:76
	v_mov_b32_e32 v3, 0
	buffer_store_dword v3, off, s[0:3], 0 offset:72
	buffer_store_dword v3, off, s[0:3], 0 offset:76
	s_waitcnt vmcnt(0)
	ds_write_b64 v107, v[1:2]
.LBB48_289:
	s_or_b32 exec_lo, exec_lo, s4
	s_waitcnt lgkmcnt(0)
	s_waitcnt_vscnt null, 0x0
	s_barrier
	buffer_gl0_inv
	s_clause 0x2c
	buffer_load_dword v6, off, s[0:3], 0 offset:84
	buffer_load_dword v7, off, s[0:3], 0 offset:92
	buffer_load_dword v8, off, s[0:3], 0 offset:96
	buffer_load_dword v112, off, s[0:3], 0 offset:88
	buffer_load_dword v113, off, s[0:3], 0 offset:80
	buffer_load_dword v114, off, s[0:3], 0 offset:100
	buffer_load_dword v115, off, s[0:3], 0 offset:108
	buffer_load_dword v116, off, s[0:3], 0 offset:128
	buffer_load_dword v117, off, s[0:3], 0 offset:120
	buffer_load_dword v118, off, s[0:3], 0 offset:112
	buffer_load_dword v119, off, s[0:3], 0 offset:104
	buffer_load_dword v120, off, s[0:3], 0 offset:116
	buffer_load_dword v121, off, s[0:3], 0 offset:124
	buffer_load_dword v122, off, s[0:3], 0 offset:132
	buffer_load_dword v123, off, s[0:3], 0 offset:140
	buffer_load_dword v124, off, s[0:3], 0 offset:160
	buffer_load_dword v125, off, s[0:3], 0 offset:152
	buffer_load_dword v126, off, s[0:3], 0 offset:144
	buffer_load_dword v127, off, s[0:3], 0 offset:136
	buffer_load_dword v128, off, s[0:3], 0 offset:148
	buffer_load_dword v129, off, s[0:3], 0 offset:156
	buffer_load_dword v130, off, s[0:3], 0 offset:164
	buffer_load_dword v131, off, s[0:3], 0 offset:172
	buffer_load_dword v132, off, s[0:3], 0 offset:192
	buffer_load_dword v133, off, s[0:3], 0 offset:184
	buffer_load_dword v134, off, s[0:3], 0 offset:176
	buffer_load_dword v135, off, s[0:3], 0 offset:168
	buffer_load_dword v136, off, s[0:3], 0 offset:180
	buffer_load_dword v137, off, s[0:3], 0 offset:188
	buffer_load_dword v138, off, s[0:3], 0 offset:196
	buffer_load_dword v139, off, s[0:3], 0 offset:204
	buffer_load_dword v140, off, s[0:3], 0 offset:224
	buffer_load_dword v141, off, s[0:3], 0 offset:216
	buffer_load_dword v142, off, s[0:3], 0 offset:208
	buffer_load_dword v143, off, s[0:3], 0 offset:200
	buffer_load_dword v144, off, s[0:3], 0 offset:212
	buffer_load_dword v145, off, s[0:3], 0 offset:220
	buffer_load_dword v146, off, s[0:3], 0 offset:228
	buffer_load_dword v147, off, s[0:3], 0 offset:236
	buffer_load_dword v148, off, s[0:3], 0 offset:256
	buffer_load_dword v149, off, s[0:3], 0 offset:248
	buffer_load_dword v150, off, s[0:3], 0 offset:240
	buffer_load_dword v151, off, s[0:3], 0 offset:232
	buffer_load_dword v152, off, s[0:3], 0 offset:244
	buffer_load_dword v153, off, s[0:3], 0 offset:252
	v_mov_b32_e32 v1, 0
	ds_read_b128 v[2:5], v1 offset:480
	ds_read_b128 v[108:111], v1 offset:496
	s_clause 0x2
	buffer_load_dword v156, off, s[0:3], 0 offset:76
	buffer_load_dword v157, off, s[0:3], 0 offset:260
	;; [unrolled: 1-line block ×3, first 2 shown]
	s_mov_b32 s4, exec_lo
	s_waitcnt vmcnt(47) lgkmcnt(1)
	v_mul_f32_e32 v154, v3, v6
	v_mul_f32_e32 v6, v2, v6
	s_waitcnt vmcnt(46)
	v_mul_f32_e32 v155, v4, v7
	v_mul_f32_e32 v7, v5, v7
	s_waitcnt vmcnt(43)
	v_fma_f32 v154, v2, v113, -v154
	v_fmac_f32_e32 v6, v3, v113
	v_fmac_f32_e32 v155, v5, v112
	v_fma_f32 v7, v4, v112, -v7
	ds_read_b128 v[2:5], v1 offset:512
	s_waitcnt vmcnt(42) lgkmcnt(1)
	v_mul_f32_e32 v112, v108, v114
	v_mul_f32_e32 v113, v109, v114
	s_waitcnt vmcnt(41)
	v_mul_f32_e32 v114, v110, v115
	v_mul_f32_e32 v115, v111, v115
	v_fmac_f32_e32 v112, v109, v8
	v_fma_f32 v8, v108, v8, -v113
	s_waitcnt vmcnt(37)
	v_fmac_f32_e32 v114, v111, v119
	v_fma_f32 v113, v110, v119, -v115
	ds_read_b128 v[108:111], v1 offset:528
	s_waitcnt vmcnt(36) lgkmcnt(1)
	v_mul_f32_e32 v115, v2, v120
	v_mul_f32_e32 v119, v3, v120
	s_waitcnt vmcnt(35)
	v_mul_f32_e32 v120, v4, v121
	v_mul_f32_e32 v121, v5, v121
	v_fmac_f32_e32 v115, v3, v118
	v_fma_f32 v118, v2, v118, -v119
	v_fmac_f32_e32 v120, v5, v117
	v_fma_f32 v117, v4, v117, -v121
	ds_read_b128 v[2:5], v1 offset:544
	s_waitcnt vmcnt(34) lgkmcnt(1)
	v_mul_f32_e32 v119, v108, v122
	v_mul_f32_e32 v121, v109, v122
	s_waitcnt vmcnt(33)
	v_mul_f32_e32 v122, v110, v123
	v_mul_f32_e32 v123, v111, v123
	v_fmac_f32_e32 v119, v109, v116
	v_fma_f32 v116, v108, v116, -v121
	s_waitcnt vmcnt(29)
	v_fmac_f32_e32 v122, v111, v127
	v_fma_f32 v121, v110, v127, -v123
	ds_read_b128 v[108:111], v1 offset:560
	s_waitcnt vmcnt(28) lgkmcnt(1)
	v_mul_f32_e32 v123, v2, v128
	v_mul_f32_e32 v127, v3, v128
	s_waitcnt vmcnt(27)
	v_mul_f32_e32 v128, v4, v129
	v_mul_f32_e32 v129, v5, v129
	v_fmac_f32_e32 v123, v3, v126
	v_fma_f32 v126, v2, v126, -v127
	;; [unrolled: 23-line block ×5, first 2 shown]
	v_fmac_f32_e32 v152, v5, v149
	v_fma_f32 v149, v4, v149, -v153
	s_clause 0x3
	buffer_load_dword v151, off, s[0:3], 0 offset:288
	buffer_load_dword v153, off, s[0:3], 0 offset:280
	;; [unrolled: 1-line block ×4, first 2 shown]
	s_waitcnt vmcnt(5) lgkmcnt(0)
	v_mul_f32_e32 v160, v108, v157
	v_mul_f32_e32 v3, v109, v157
	s_waitcnt vmcnt(4)
	v_mul_f32_e32 v157, v110, v158
	v_mul_f32_e32 v4, v111, v158
	s_clause 0x1
	buffer_load_dword v158, off, s[0:3], 0 offset:276
	buffer_load_dword v162, off, s[0:3], 0 offset:284
	v_fmac_f32_e32 v160, v109, v148
	v_fma_f32 v148, v108, v148, -v3
	v_add_f32_e32 v3, 0, v6
	buffer_load_dword v6, off, s[0:3], 0 offset:300
	v_add_f32_e32 v3, v3, v155
	v_add_f32_e32 v3, v3, v112
	;; [unrolled: 1-line block ×17, first 2 shown]
	s_waitcnt vmcnt(3)
	v_fmac_f32_e32 v157, v111, v2
	v_fma_f32 v161, v110, v2, -v4
	v_add_f32_e32 v2, 0, v154
	buffer_load_dword v154, off, s[0:3], 0 offset:292
	v_add_f32_e32 v2, v2, v7
	v_add_f32_e32 v2, v2, v8
	s_clause 0xa
	buffer_load_dword v8, off, s[0:3], 0 offset:320
	buffer_load_dword v155, off, s[0:3], 0 offset:312
	;; [unrolled: 1-line block ×11, first 2 shown]
	v_add_f32_e32 v2, v2, v113
	s_clause 0x3
	buffer_load_dword v171, off, s[0:3], 0 offset:364
	buffer_load_dword v172, off, s[0:3], 0 offset:372
	;; [unrolled: 1-line block ×4, first 2 shown]
	v_add_f32_e32 v2, v2, v118
	v_add_f32_e32 v2, v2, v117
	v_add_f32_e32 v2, v2, v116
	v_add_f32_e32 v116, v112, v143
	v_add_f32_e32 v2, v2, v121
	v_add_f32_e32 v121, v116, v146
	v_add_f32_e32 v2, v2, v126
	v_add_f32_e32 v121, v121, v147
	v_add_f32_e32 v2, v2, v125
	s_clause 0x3
	buffer_load_dword v125, off, s[0:3], 0 offset:352
	buffer_load_dword v126, off, s[0:3], 0 offset:344
	;; [unrolled: 1-line block ×4, first 2 shown]
	v_add_f32_e32 v2, v2, v124
	v_add_f32_e32 v2, v2, v129
	s_clause 0x4
	buffer_load_dword v124, off, s[0:3], 0 offset:384
	buffer_load_dword v127, off, s[0:3], 0 offset:376
	;; [unrolled: 1-line block ×5, first 2 shown]
	v_add_f32_e32 v2, v2, v134
	v_add_f32_e32 v108, v2, v133
	ds_read_b128 v[2:5], v1 offset:672
	v_add_f32_e32 v108, v108, v132
	v_add_f32_e32 v108, v108, v137
	;; [unrolled: 1-line block ×3, first 2 shown]
	ds_read_b128 v[108:111], v1 offset:688
	v_add_f32_e32 v113, v113, v141
	s_waitcnt vmcnt(27) lgkmcnt(1)
	v_mul_f32_e32 v131, v2, v158
	v_mul_f32_e32 v114, v3, v158
	s_waitcnt vmcnt(26)
	v_mul_f32_e32 v132, v4, v162
	v_mul_f32_e32 v115, v5, v162
	v_fmac_f32_e32 v131, v3, v159
	v_add_f32_e32 v3, v113, v140
	v_fma_f32 v133, v2, v159, -v114
	v_fmac_f32_e32 v132, v5, v153
	v_fma_f32 v134, v4, v153, -v115
	v_add_f32_e32 v120, v3, v145
	ds_read_b128 v[2:5], v1 offset:704
	ds_read_b128 v[112:115], v1 offset:720
	;; [unrolled: 1-line block ×3, first 2 shown]
	s_waitcnt vmcnt(25) lgkmcnt(3)
	v_mul_f32_e32 v136, v110, v6
	v_add_f32_e32 v120, v120, v150
	v_mul_f32_e32 v6, v111, v6
	v_add_f32_e32 v120, v120, v149
	s_waitcnt vmcnt(24)
	v_mul_f32_e32 v122, v109, v154
	v_mul_f32_e32 v135, v108, v154
	v_fma_f32 v137, v108, v151, -v122
	v_add_f32_e32 v108, v121, v152
	v_fmac_f32_e32 v135, v109, v151
	v_add_f32_e32 v109, v120, v148
	ds_read_b128 v[120:123], v1 offset:752
	s_waitcnt vmcnt(20)
	v_fma_f32 v138, v110, v7, -v6
	v_add_f32_e32 v139, v108, v160
	v_fmac_f32_e32 v136, v111, v7
	v_add_f32_e32 v140, v109, v161
	s_waitcnt vmcnt(19) lgkmcnt(3)
	v_mul_f32_e32 v141, v2, v164
	s_waitcnt vmcnt(18)
	v_mul_f32_e32 v143, v5, v165
	v_add_f32_e32 v139, v139, v157
	v_mul_f32_e32 v142, v4, v165
	v_add_f32_e32 v133, v140, v133
	v_mul_f32_e32 v140, v3, v164
	v_fmac_f32_e32 v141, v3, v163
	v_add_f32_e32 v131, v139, v131
	s_waitcnt vmcnt(17) lgkmcnt(2)
	v_mul_f32_e32 v139, v112, v166
	v_add_f32_e32 v133, v133, v134
	v_fma_f32 v2, v2, v163, -v140
	v_mul_f32_e32 v140, v113, v166
	v_add_f32_e32 v131, v131, v132
	v_fma_f32 v4, v4, v155, -v143
	v_add_f32_e32 v133, v133, v137
	v_fmac_f32_e32 v142, v5, v155
	v_fmac_f32_e32 v139, v113, v8
	v_add_f32_e32 v131, v131, v135
	v_fma_f32 v8, v112, v8, -v140
	v_add_f32_e32 v133, v133, v138
	s_waitcnt vmcnt(16)
	v_mul_f32_e32 v134, v114, v167
	ds_read_b128 v[108:111], v1 offset:768
	ds_read_b64 v[6:7], v1 offset:784
	v_add_f32_e32 v131, v131, v136
	s_waitcnt vmcnt(15) lgkmcnt(3)
	v_mul_f32_e32 v144, v116, v168
	v_add_f32_e32 v2, v133, v2
	s_waitcnt vmcnt(14)
	v_mul_f32_e32 v132, v118, v169
	s_waitcnt vmcnt(13) lgkmcnt(2)
	v_mul_f32_e32 v137, v120, v170
	v_add_f32_e32 v5, v131, v141
	v_mul_f32_e32 v131, v115, v167
	v_add_f32_e32 v2, v2, v4
	s_waitcnt vmcnt(6)
	v_fmac_f32_e32 v144, v117, v175
	s_waitcnt vmcnt(5)
	v_fmac_f32_e32 v134, v115, v176
	v_add_f32_e32 v4, v5, v142
	v_mul_f32_e32 v5, v117, v168
	v_fma_f32 v112, v114, v176, -v131
	v_add_f32_e32 v2, v2, v8
	v_mul_f32_e32 v8, v119, v169
	v_add_f32_e32 v4, v4, v139
	v_fma_f32 v5, v116, v175, -v5
	v_fmac_f32_e32 v132, v119, v126
	v_add_f32_e32 v2, v2, v112
	v_mul_f32_e32 v112, v121, v170
	v_add_f32_e32 v4, v4, v134
	v_fma_f32 v8, v118, v126, -v8
	v_mul_f32_e32 v3, v122, v171
	v_add_f32_e32 v2, v2, v5
	v_mul_f32_e32 v5, v123, v171
	v_add_f32_e32 v4, v4, v144
	v_fma_f32 v112, v120, v125, -v112
	v_fmac_f32_e32 v137, v121, v125
	v_add_f32_e32 v2, v2, v8
	s_waitcnt lgkmcnt(1)
	v_mul_f32_e32 v8, v109, v172
	v_add_f32_e32 v4, v4, v132
	s_waitcnt vmcnt(1)
	v_fma_f32 v5, v122, v129, -v5
	v_mul_f32_e32 v135, v108, v172
	v_add_f32_e32 v2, v2, v112
	v_fmac_f32_e32 v3, v123, v129
	v_add_f32_e32 v4, v4, v137
	v_mul_f32_e32 v112, v111, v173
	v_fma_f32 v8, v108, v128, -v8
	v_add_f32_e32 v2, v2, v5
	v_mul_f32_e32 v138, v110, v173
	v_fmac_f32_e32 v135, v109, v128
	v_add_f32_e32 v3, v4, v3
	s_waitcnt lgkmcnt(0)
	v_mul_f32_e32 v4, v7, v174
	v_fma_f32 v5, v110, v127, -v112
	v_add_f32_e32 v2, v2, v8
	v_mul_f32_e32 v136, v6, v174
	v_fmac_f32_e32 v138, v111, v127
	v_add_f32_e32 v3, v3, v135
	v_fma_f32 v4, v6, v124, -v4
	v_add_f32_e32 v2, v2, v5
	v_fmac_f32_e32 v136, v7, v124
	v_add_f32_e32 v3, v3, v138
	v_add_f32_e32 v2, v2, v4
	;; [unrolled: 1-line block ×3, first 2 shown]
	s_waitcnt vmcnt(0)
	v_sub_f32_e32 v2, v130, v2
	v_sub_f32_e32 v3, v156, v3
	buffer_store_dword v2, off, s[0:3], 0 offset:72
	buffer_store_dword v3, off, s[0:3], 0 offset:76
	v_cmpx_lt_u32_e32 8, v0
	s_cbranch_execz .LBB48_291
; %bb.290:
	s_clause 0x1
	buffer_load_dword v2, off, s[0:3], 0 offset:64
	buffer_load_dword v3, off, s[0:3], 0 offset:68
	buffer_store_dword v1, off, s[0:3], 0 offset:64
	buffer_store_dword v1, off, s[0:3], 0 offset:68
	s_waitcnt vmcnt(0)
	ds_write_b64 v107, v[2:3]
.LBB48_291:
	s_or_b32 exec_lo, exec_lo, s4
	s_waitcnt lgkmcnt(0)
	s_waitcnt_vscnt null, 0x0
	s_barrier
	buffer_gl0_inv
	s_clause 0x2c
	buffer_load_dword v6, off, s[0:3], 0 offset:76
	buffer_load_dword v7, off, s[0:3], 0 offset:84
	;; [unrolled: 1-line block ×45, first 2 shown]
	ds_read2_b64 v[2:5], v1 offset0:59 offset1:60
	ds_read2_b64 v[108:111], v1 offset0:61 offset1:62
	s_clause 0x2
	buffer_load_dword v156, off, s[0:3], 0 offset:68
	buffer_load_dword v157, off, s[0:3], 0 offset:252
	;; [unrolled: 1-line block ×3, first 2 shown]
	s_mov_b32 s4, exec_lo
	s_waitcnt vmcnt(47) lgkmcnt(1)
	v_mul_f32_e32 v154, v3, v6
	v_mul_f32_e32 v6, v2, v6
	s_waitcnt vmcnt(46)
	v_mul_f32_e32 v155, v4, v7
	v_mul_f32_e32 v7, v5, v7
	s_waitcnt vmcnt(43)
	v_fma_f32 v154, v2, v113, -v154
	v_fmac_f32_e32 v6, v3, v113
	v_fmac_f32_e32 v155, v5, v112
	v_fma_f32 v7, v4, v112, -v7
	ds_read2_b64 v[2:5], v1 offset0:63 offset1:64
	s_waitcnt vmcnt(42) lgkmcnt(1)
	v_mul_f32_e32 v112, v108, v114
	v_mul_f32_e32 v113, v109, v114
	s_waitcnt vmcnt(41)
	v_mul_f32_e32 v114, v110, v115
	v_mul_f32_e32 v115, v111, v115
	v_fmac_f32_e32 v112, v109, v8
	v_fma_f32 v8, v108, v8, -v113
	s_waitcnt vmcnt(37)
	v_fmac_f32_e32 v114, v111, v119
	v_fma_f32 v113, v110, v119, -v115
	ds_read2_b64 v[108:111], v1 offset0:65 offset1:66
	s_waitcnt vmcnt(36) lgkmcnt(1)
	v_mul_f32_e32 v115, v2, v120
	v_mul_f32_e32 v119, v3, v120
	s_waitcnt vmcnt(35)
	v_mul_f32_e32 v120, v4, v121
	v_mul_f32_e32 v121, v5, v121
	v_fmac_f32_e32 v115, v3, v118
	v_fma_f32 v118, v2, v118, -v119
	v_fmac_f32_e32 v120, v5, v117
	v_fma_f32 v117, v4, v117, -v121
	ds_read2_b64 v[2:5], v1 offset0:67 offset1:68
	s_waitcnt vmcnt(34) lgkmcnt(1)
	v_mul_f32_e32 v119, v108, v122
	v_mul_f32_e32 v121, v109, v122
	s_waitcnt vmcnt(33)
	v_mul_f32_e32 v122, v110, v123
	v_mul_f32_e32 v123, v111, v123
	v_fmac_f32_e32 v119, v109, v116
	v_fma_f32 v116, v108, v116, -v121
	s_waitcnt vmcnt(29)
	v_fmac_f32_e32 v122, v111, v127
	v_fma_f32 v121, v110, v127, -v123
	ds_read2_b64 v[108:111], v1 offset0:69 offset1:70
	s_waitcnt vmcnt(28) lgkmcnt(1)
	v_mul_f32_e32 v123, v2, v128
	v_mul_f32_e32 v127, v3, v128
	s_waitcnt vmcnt(27)
	v_mul_f32_e32 v128, v4, v129
	v_mul_f32_e32 v129, v5, v129
	v_fmac_f32_e32 v123, v3, v126
	v_fma_f32 v126, v2, v126, -v127
	;; [unrolled: 23-line block ×5, first 2 shown]
	v_fmac_f32_e32 v152, v5, v149
	v_fma_f32 v149, v4, v149, -v153
	s_clause 0x5
	buffer_load_dword v151, off, s[0:3], 0 offset:280
	buffer_load_dword v153, off, s[0:3], 0 offset:272
	;; [unrolled: 1-line block ×6, first 2 shown]
	v_add_f32_e32 v4, 0, v6
	buffer_load_dword v6, off, s[0:3], 0 offset:284
	v_add_f32_e32 v3, 0, v154
	s_waitcnt vmcnt(8) lgkmcnt(0)
	v_mul_f32_e32 v5, v109, v157
	s_waitcnt vmcnt(7)
	v_mul_f32_e32 v164, v110, v158
	v_add_f32_e32 v4, v4, v155
	v_add_f32_e32 v3, v3, v7
	v_mul_f32_e32 v7, v108, v157
	v_add_f32_e32 v4, v4, v112
	v_add_f32_e32 v3, v3, v8
	s_clause 0x7
	buffer_load_dword v8, off, s[0:3], 0 offset:292
	buffer_load_dword v154, off, s[0:3], 0 offset:312
	;; [unrolled: 1-line block ×8, first 2 shown]
	v_add_f32_e32 v3, v3, v113
	v_add_f32_e32 v4, v4, v114
	v_fmac_f32_e32 v7, v109, v148
	v_fma_f32 v148, v108, v148, -v5
	v_mul_f32_e32 v5, v111, v158
	v_add_f32_e32 v3, v3, v118
	v_add_f32_e32 v4, v4, v115
	s_clause 0x7
	buffer_load_dword v158, off, s[0:3], 0 offset:308
	buffer_load_dword v167, off, s[0:3], 0 offset:332
	;; [unrolled: 1-line block ×8, first 2 shown]
	v_add_f32_e32 v3, v3, v117
	v_add_f32_e32 v4, v4, v120
	buffer_load_dword v174, off, s[0:3], 0 offset:388
	s_waitcnt vmcnt(20)
	v_fmac_f32_e32 v164, v111, v2
	v_fma_f32 v120, v110, v2, -v5
	v_add_f32_e32 v2, v3, v116
	v_add_f32_e32 v3, v4, v119
	;; [unrolled: 1-line block ×8, first 2 shown]
	s_clause 0x3
	buffer_load_dword v128, off, s[0:3], 0 offset:344
	buffer_load_dword v175, off, s[0:3], 0 offset:336
	;; [unrolled: 1-line block ×4, first 2 shown]
	v_add_f32_e32 v2, v2, v124
	v_add_f32_e32 v3, v3, v127
	;; [unrolled: 1-line block ×4, first 2 shown]
	s_clause 0x3
	buffer_load_dword v129, off, s[0:3], 0 offset:376
	buffer_load_dword v130, off, s[0:3], 0 offset:368
	buffer_load_dword v178, off, s[0:3], 0 offset:360
	buffer_load_dword v179, off, s[0:3], 0 offset:352
	v_add_f32_e32 v2, v2, v134
	buffer_load_dword v134, off, s[0:3], 0 offset:384
	v_add_f32_e32 v3, v3, v131
	buffer_load_dword v131, off, s[0:3], 0 offset:64
	v_add_f32_e32 v2, v2, v133
	v_add_f32_e32 v3, v3, v136
	;; [unrolled: 1-line block ×4, first 2 shown]
	ds_read2_b64 v[2:5], v1 offset0:83 offset1:84
	v_add_f32_e32 v108, v108, v137
	v_add_f32_e32 v109, v109, v138
	v_add_f32_e32 v112, v108, v142
	v_add_f32_e32 v113, v109, v139
	ds_read2_b64 v[108:111], v1 offset0:85 offset1:86
	v_add_f32_e32 v112, v112, v141
	v_add_f32_e32 v113, v113, v144
	v_add_f32_e32 v112, v112, v140
	v_add_f32_e32 v116, v113, v143
	s_waitcnt vmcnt(29) lgkmcnt(1)
	v_mul_f32_e32 v132, v2, v160
	v_mul_f32_e32 v114, v3, v160
	s_waitcnt vmcnt(28)
	v_mul_f32_e32 v133, v4, v161
	v_mul_f32_e32 v115, v5, v161
	v_add_f32_e32 v117, v112, v145
	v_fmac_f32_e32 v132, v3, v159
	v_fma_f32 v124, v2, v159, -v114
	v_fmac_f32_e32 v133, v5, v153
	v_fma_f32 v135, v4, v153, -v115
	ds_read2_b64 v[2:5], v1 offset0:87 offset1:88
	ds_read2_b64 v[112:115], v1 offset0:89 offset1:90
	v_add_f32_e32 v116, v116, v146
	s_waitcnt vmcnt(27) lgkmcnt(2)
	v_mul_f32_e32 v136, v108, v6
	v_add_f32_e32 v117, v117, v150
	v_mul_f32_e32 v6, v109, v6
	s_waitcnt vmcnt(26)
	v_mul_f32_e32 v137, v110, v8
	v_add_f32_e32 v116, v116, v147
	v_fmac_f32_e32 v136, v109, v151
	v_add_f32_e32 v109, v117, v149
	v_mul_f32_e32 v8, v111, v8
	v_fma_f32 v6, v108, v151, -v6
	v_add_f32_e32 v121, v116, v152
	s_waitcnt vmcnt(22)
	v_fmac_f32_e32 v137, v111, v162
	v_add_f32_e32 v122, v109, v148
	v_fma_f32 v8, v110, v162, -v8
	ds_read2_b64 v[108:111], v1 offset0:91 offset1:92
	ds_read2_b64 v[116:119], v1 offset0:93 offset1:94
	v_add_f32_e32 v7, v121, v7
	v_add_f32_e32 v126, v122, v120
	s_waitcnt vmcnt(21) lgkmcnt(3)
	v_mul_f32_e32 v138, v2, v163
	v_mul_f32_e32 v125, v3, v163
	v_add_f32_e32 v7, v7, v164
	ds_read2_b64 v[120:123], v1 offset0:95 offset1:96
	s_waitcnt vmcnt(20) lgkmcnt(3)
	v_mul_f32_e32 v139, v113, v165
	v_fmac_f32_e32 v138, v3, v157
	v_add_f32_e32 v3, v126, v124
	v_fma_f32 v2, v2, v157, -v125
	ds_read2_b64 v[124:127], v1 offset0:97 offset1:98
	v_add_f32_e32 v1, v7, v132
	s_waitcnt vmcnt(18)
	v_mul_f32_e32 v132, v5, v158
	v_add_f32_e32 v3, v3, v135
	v_mul_f32_e32 v7, v4, v158
	v_mul_f32_e32 v135, v112, v165
	v_add_f32_e32 v1, v1, v133
	v_fma_f32 v4, v4, v155, -v132
	v_add_f32_e32 v3, v3, v6
	v_fmac_f32_e32 v7, v5, v155
	v_fma_f32 v112, v112, v154, -v139
	v_add_f32_e32 v1, v1, v136
	v_mul_f32_e32 v133, v114, v166
	v_add_f32_e32 v3, v3, v8
	v_mul_f32_e32 v8, v115, v166
	v_fmac_f32_e32 v135, v113, v154
	v_add_f32_e32 v1, v1, v137
	s_waitcnt vmcnt(17) lgkmcnt(3)
	v_mul_f32_e32 v5, v108, v167
	v_add_f32_e32 v2, v3, v2
	s_waitcnt vmcnt(16)
	v_mul_f32_e32 v132, v110, v168
	s_waitcnt vmcnt(15) lgkmcnt(2)
	v_mul_f32_e32 v6, v116, v169
	v_add_f32_e32 v1, v1, v138
	s_waitcnt vmcnt(14)
	v_mul_f32_e32 v136, v118, v170
	v_add_f32_e32 v2, v2, v4
	v_mul_f32_e32 v4, v109, v167
	s_waitcnt vmcnt(13) lgkmcnt(1)
	v_mul_f32_e32 v140, v120, v171
	v_add_f32_e32 v1, v1, v7
	s_waitcnt vmcnt(12)
	v_mul_f32_e32 v137, v122, v172
	v_add_f32_e32 v2, v2, v112
	s_waitcnt vmcnt(11) lgkmcnt(0)
	v_mul_f32_e32 v141, v124, v173
	s_waitcnt vmcnt(10)
	v_mul_f32_e32 v3, v126, v174
	v_add_f32_e32 v1, v1, v135
	s_waitcnt vmcnt(9)
	v_fmac_f32_e32 v6, v117, v128
	s_waitcnt vmcnt(8)
	v_fmac_f32_e32 v132, v111, v175
	s_waitcnt vmcnt(7)
	v_fma_f32 v4, v108, v176, -v4
	s_waitcnt vmcnt(6)
	v_fma_f32 v7, v114, v177, -v8
	v_fmac_f32_e32 v133, v115, v177
	v_mul_f32_e32 v8, v111, v168
	v_fmac_f32_e32 v5, v109, v176
	v_add_f32_e32 v2, v2, v7
	v_add_f32_e32 v1, v1, v133
	v_mul_f32_e32 v7, v117, v169
	v_fma_f32 v8, v110, v175, -v8
	s_waitcnt vmcnt(3)
	v_fmac_f32_e32 v140, v121, v178
	v_add_f32_e32 v2, v2, v4
	v_add_f32_e32 v1, v1, v5
	v_mul_f32_e32 v4, v119, v170
	v_fma_f32 v5, v116, v128, -v7
	v_mul_f32_e32 v7, v121, v171
	v_add_f32_e32 v2, v2, v8
	v_add_f32_e32 v1, v1, v132
	s_waitcnt vmcnt(2)
	v_fma_f32 v4, v118, v179, -v4
	v_fmac_f32_e32 v136, v119, v179
	v_fmac_f32_e32 v137, v123, v130
	v_add_f32_e32 v2, v2, v5
	v_add_f32_e32 v1, v1, v6
	v_mul_f32_e32 v5, v123, v172
	v_fma_f32 v6, v120, v178, -v7
	v_fmac_f32_e32 v141, v125, v129
	v_add_f32_e32 v2, v2, v4
	v_add_f32_e32 v1, v1, v136
	v_mul_f32_e32 v4, v125, v173
	v_fma_f32 v5, v122, v130, -v5
	s_waitcnt vmcnt(1)
	v_fmac_f32_e32 v3, v127, v134
	v_add_f32_e32 v2, v2, v6
	v_add_f32_e32 v1, v1, v140
	v_mul_f32_e32 v6, v127, v174
	v_fma_f32 v4, v124, v129, -v4
	v_add_f32_e32 v2, v2, v5
	v_add_f32_e32 v1, v1, v137
	v_fma_f32 v5, v126, v134, -v6
	v_add_f32_e32 v2, v2, v4
	v_add_f32_e32 v1, v1, v141
	;; [unrolled: 1-line block ×4, first 2 shown]
	s_waitcnt vmcnt(0)
	v_sub_f32_e32 v2, v131, v2
	v_sub_f32_e32 v1, v156, v1
	buffer_store_dword v2, off, s[0:3], 0 offset:64
	buffer_store_dword v1, off, s[0:3], 0 offset:68
	v_cmpx_lt_u32_e32 7, v0
	s_cbranch_execz .LBB48_293
; %bb.292:
	s_clause 0x1
	buffer_load_dword v1, off, s[0:3], 0 offset:56
	buffer_load_dword v2, off, s[0:3], 0 offset:60
	v_mov_b32_e32 v3, 0
	buffer_store_dword v3, off, s[0:3], 0 offset:56
	buffer_store_dword v3, off, s[0:3], 0 offset:60
	s_waitcnt vmcnt(0)
	ds_write_b64 v107, v[1:2]
.LBB48_293:
	s_or_b32 exec_lo, exec_lo, s4
	s_waitcnt lgkmcnt(0)
	s_waitcnt_vscnt null, 0x0
	s_barrier
	buffer_gl0_inv
	s_clause 0x24
	buffer_load_dword v2, off, s[0:3], 0 offset:68
	buffer_load_dword v3, off, s[0:3], 0 offset:76
	;; [unrolled: 1-line block ×37, first 2 shown]
	v_mov_b32_e32 v1, 0
	ds_read_b128 v[116:119], v1 offset:464
	ds_read_b128 v[120:123], v1 offset:480
	;; [unrolled: 1-line block ×3, first 2 shown]
	s_clause 0x1
	buffer_load_dword v154, off, s[0:3], 0 offset:212
	buffer_load_dword v155, off, s[0:3], 0 offset:60
	ds_read_b128 v[128:131], v1 offset:512
	s_mov_b32 s4, exec_lo
	s_waitcnt vmcnt(38) lgkmcnt(3)
	v_mul_f32_e32 v156, v117, v2
	v_mul_f32_e32 v2, v116, v2
	s_waitcnt vmcnt(37)
	v_mul_f32_e32 v157, v118, v3
	v_mul_f32_e32 v3, v119, v3
	s_waitcnt vmcnt(34)
	v_fma_f32 v156, v116, v134, -v156
	v_fmac_f32_e32 v2, v117, v134
	v_fmac_f32_e32 v157, v119, v133
	v_fma_f32 v3, v118, v133, -v3
	ds_read_b128 v[116:119], v1 offset:528
	s_waitcnt vmcnt(33) lgkmcnt(3)
	v_mul_f32_e32 v133, v120, v135
	v_mul_f32_e32 v134, v121, v135
	s_waitcnt vmcnt(32)
	v_mul_f32_e32 v135, v122, v136
	v_mul_f32_e32 v136, v123, v136
	s_waitcnt vmcnt(31) lgkmcnt(2)
	v_mul_f32_e32 v158, v124, v137
	v_fmac_f32_e32 v133, v121, v132
	v_fma_f32 v132, v120, v132, -v134
	s_waitcnt vmcnt(26)
	v_fmac_f32_e32 v135, v123, v142
	v_fma_f32 v136, v122, v142, -v136
	ds_read_b128 v[120:123], v1 offset:544
	v_mul_f32_e32 v137, v125, v137
	v_mul_f32_e32 v134, v126, v138
	;; [unrolled: 1-line block ×3, first 2 shown]
	v_fmac_f32_e32 v158, v125, v141
	s_waitcnt vmcnt(24) lgkmcnt(2)
	v_mul_f32_e32 v142, v130, v144
	v_fma_f32 v137, v124, v141, -v137
	v_fmac_f32_e32 v134, v127, v140
	v_fma_f32 v138, v126, v140, -v138
	v_mul_f32_e32 v140, v128, v143
	v_mul_f32_e32 v141, v129, v143
	v_mul_f32_e32 v143, v131, v144
	ds_read_b128 v[124:127], v1 offset:560
	s_waitcnt vmcnt(19)
	v_fmac_f32_e32 v142, v131, v147
	v_fmac_f32_e32 v140, v129, v139
	v_fma_f32 v128, v128, v139, -v141
	v_fma_f32 v129, v130, v147, -v143
	s_clause 0x4
	buffer_load_dword v130, off, s[0:3], 0 offset:220
	buffer_load_dword v131, off, s[0:3], 0 offset:240
	;; [unrolled: 1-line block ×5, first 2 shown]
	s_waitcnt lgkmcnt(2)
	v_mul_f32_e32 v144, v116, v145
	v_mul_f32_e32 v145, v117, v145
	s_waitcnt vmcnt(23)
	v_mul_f32_e32 v147, v118, v148
	v_mul_f32_e32 v148, v119, v148
	s_waitcnt vmcnt(21) lgkmcnt(1)
	v_mul_f32_e32 v159, v122, v150
	v_fmac_f32_e32 v144, v117, v146
	v_fma_f32 v145, v116, v146, -v145
	v_mul_f32_e32 v146, v120, v149
	v_mul_f32_e32 v116, v121, v149
	buffer_load_dword v149, off, s[0:3], 0 offset:228
	v_fmac_f32_e32 v147, v119, v113
	v_fma_f32 v148, v118, v113, -v148
	v_mul_f32_e32 v113, v123, v150
	v_fmac_f32_e32 v146, v121, v8
	v_fma_f32 v8, v120, v8, -v116
	ds_read_b128 v[116:119], v1 offset:576
	s_waitcnt vmcnt(18)
	v_fmac_f32_e32 v159, v123, v151
	v_fma_f32 v150, v122, v151, -v113
	ds_read_b128 v[120:123], v1 offset:592
	s_waitcnt vmcnt(17) lgkmcnt(2)
	v_mul_f32_e32 v151, v124, v152
	v_mul_f32_e32 v113, v125, v152
	s_waitcnt vmcnt(16)
	v_mul_f32_e32 v152, v126, v153
	v_mul_f32_e32 v153, v127, v153
	v_add_f32_e32 v2, 0, v2
	v_fmac_f32_e32 v151, v125, v114
	v_fma_f32 v124, v124, v114, -v113
	v_fmac_f32_e32 v152, v127, v108
	v_fma_f32 v125, v126, v108, -v153
	s_clause 0x2
	buffer_load_dword v126, off, s[0:3], 0 offset:236
	buffer_load_dword v127, off, s[0:3], 0 offset:244
	;; [unrolled: 1-line block ×3, first 2 shown]
	s_waitcnt vmcnt(18) lgkmcnt(1)
	v_mul_f32_e32 v153, v116, v110
	v_mul_f32_e32 v108, v117, v110
	s_waitcnt vmcnt(17)
	v_mul_f32_e32 v160, v118, v109
	v_mul_f32_e32 v109, v119, v109
	v_fmac_f32_e32 v153, v117, v5
	v_fma_f32 v117, v116, v5, -v108
	s_waitcnt vmcnt(13)
	v_fmac_f32_e32 v160, v119, v115
	s_waitcnt vmcnt(12) lgkmcnt(0)
	v_mul_f32_e32 v119, v120, v112
	v_mul_f32_e32 v5, v121, v112
	s_waitcnt vmcnt(11)
	v_mul_f32_e32 v112, v122, v111
	v_mul_f32_e32 v108, v123, v111
	v_fma_f32 v118, v118, v115, -v109
	ds_read_b128 v[113:116], v1 offset:608
	v_fmac_f32_e32 v119, v121, v7
	v_fma_f32 v7, v120, v7, -v5
	v_fmac_f32_e32 v112, v123, v6
	v_fma_f32 v6, v122, v6, -v108
	s_clause 0x4
	buffer_load_dword v120, off, s[0:3], 0 offset:272
	buffer_load_dword v121, off, s[0:3], 0 offset:264
	;; [unrolled: 1-line block ×5, first 2 shown]
	v_add_f32_e32 v5, 0, v156
	v_add_f32_e32 v3, v5, v3
	;; [unrolled: 1-line block ×3, first 2 shown]
	s_waitcnt vmcnt(15) lgkmcnt(0)
	v_mul_f32_e32 v156, v113, v154
	v_mul_f32_e32 v108, v114, v154
	v_add_f32_e32 v109, v109, v136
	v_fmac_f32_e32 v156, v114, v4
	buffer_load_dword v114, off, s[0:3], 0 offset:268
	v_fma_f32 v113, v113, v4, -v108
	v_add_f32_e32 v108, v2, v157
	ds_read_b128 v[2:5], v1 offset:624
	v_add_f32_e32 v109, v109, v137
	v_add_f32_e32 v108, v108, v133
	buffer_load_dword v133, off, s[0:3], 0 offset:284
	v_add_f32_e32 v108, v108, v135
	v_add_f32_e32 v135, v109, v138
	;; [unrolled: 1-line block ×3, first 2 shown]
	s_waitcnt vmcnt(15)
	v_mul_f32_e32 v132, v115, v130
	v_mul_f32_e32 v110, v116, v130
	buffer_load_dword v130, off, s[0:3], 0 offset:276
	s_waitcnt vmcnt(12)
	v_fmac_f32_e32 v132, v116, v143
	v_add_f32_e32 v116, v108, v158
	v_fma_f32 v115, v115, v143, -v110
	ds_read_b128 v[108:111], v1 offset:640
	v_add_f32_e32 v116, v116, v134
	s_clause 0x3
	buffer_load_dword v134, off, s[0:3], 0 offset:304
	buffer_load_dword v135, off, s[0:3], 0 offset:296
	;; [unrolled: 1-line block ×4, first 2 shown]
	s_waitcnt vmcnt(15) lgkmcnt(1)
	v_mul_f32_e32 v136, v2, v149
	v_mul_f32_e32 v137, v3, v149
	v_fmac_f32_e32 v136, v3, v141
	v_fma_f32 v137, v2, v141, -v137
	v_add_f32_e32 v2, v116, v140
	s_clause 0x1
	buffer_load_dword v140, off, s[0:3], 0 offset:292
	buffer_load_dword v141, off, s[0:3], 0 offset:300
	v_add_f32_e32 v3, v128, v129
	buffer_load_dword v128, off, s[0:3], 0 offset:308
	v_add_f32_e32 v2, v2, v142
	v_add_f32_e32 v3, v3, v145
	;; [unrolled: 1-line block ×3, first 2 shown]
	s_waitcnt vmcnt(17)
	v_mul_f32_e32 v116, v4, v126
	v_add_f32_e32 v148, v3, v148
	v_mul_f32_e32 v126, v5, v126
	v_add_f32_e32 v129, v129, v147
	s_waitcnt vmcnt(16) lgkmcnt(0)
	v_mul_f32_e32 v147, v108, v127
	v_add_f32_e32 v8, v148, v8
	v_mul_f32_e32 v127, v109, v127
	v_fmac_f32_e32 v116, v5, v139
	v_add_f32_e32 v129, v129, v146
	v_fma_f32 v126, v4, v139, -v126
	s_clause 0x3
	buffer_load_dword v139, off, s[0:3], 0 offset:316
	buffer_load_dword v142, off, s[0:3], 0 offset:324
	;; [unrolled: 1-line block ×4, first 2 shown]
	ds_read_b128 v[2:5], v1 offset:656
	v_add_f32_e32 v8, v8, v150
	s_waitcnt vmcnt(19)
	v_mul_f32_e32 v148, v110, v161
	v_mul_f32_e32 v146, v111, v161
	v_fma_f32 v127, v108, v131, -v127
	v_add_f32_e32 v108, v129, v159
	v_add_f32_e32 v8, v8, v124
	v_fmac_f32_e32 v147, v109, v131
	s_clause 0x3
	buffer_load_dword v129, off, s[0:3], 0 offset:348
	buffer_load_dword v131, off, s[0:3], 0 offset:356
	;; [unrolled: 1-line block ×4, first 2 shown]
	v_add_f32_e32 v108, v108, v151
	v_add_f32_e32 v8, v8, v125
	s_waitcnt vmcnt(19)
	v_fmac_f32_e32 v148, v111, v123
	v_fma_f32 v123, v110, v123, -v146
	s_clause 0x5
	buffer_load_dword v146, off, s[0:3], 0 offset:380
	buffer_load_dword v124, off, s[0:3], 0 offset:336
	;; [unrolled: 1-line block ×6, first 2 shown]
	v_add_f32_e32 v125, v108, v152
	v_add_f32_e32 v8, v8, v117
	ds_read_b128 v[108:111], v1 offset:672
	s_waitcnt vmcnt(24) lgkmcnt(1)
	v_mul_f32_e32 v152, v3, v162
	v_add_f32_e32 v117, v125, v153
	v_mul_f32_e32 v125, v2, v162
	v_add_f32_e32 v8, v8, v118
	v_fmac_f32_e32 v125, v3, v122
	v_fma_f32 v122, v2, v122, -v152
	v_add_f32_e32 v3, v8, v7
	s_clause 0x3
	buffer_load_dword v8, off, s[0:3], 0 offset:368
	buffer_load_dword v152, off, s[0:3], 0 offset:360
	;; [unrolled: 1-line block ×4, first 2 shown]
	v_add_f32_e32 v2, v117, v160
	s_clause 0x2
	buffer_load_dword v160, off, s[0:3], 0 offset:384
	buffer_load_dword v161, off, s[0:3], 0 offset:376
	;; [unrolled: 1-line block ×3, first 2 shown]
	v_add_f32_e32 v3, v3, v6
	s_waitcnt vmcnt(30)
	v_mul_f32_e32 v163, v4, v114
	v_add_f32_e32 v2, v2, v119
	v_add_f32_e32 v6, v3, v113
	v_mul_f32_e32 v3, v5, v114
	v_add_f32_e32 v2, v2, v112
	v_fmac_f32_e32 v163, v5, v121
	s_waitcnt vmcnt(29) lgkmcnt(0)
	v_mul_f32_e32 v118, v111, v133
	v_add_f32_e32 v6, v6, v115
	ds_read_b128 v[112:115], v1 offset:704
	v_add_f32_e32 v7, v2, v156
	v_fma_f32 v156, v4, v121, -v3
	ds_read_b128 v[2:5], v1 offset:688
	v_add_f32_e32 v6, v6, v137
	v_add_f32_e32 v7, v7, v132
	;; [unrolled: 1-line block ×9, first 2 shown]
	s_waitcnt vmcnt(28)
	v_mul_f32_e32 v132, v108, v130
	v_mul_f32_e32 v117, v109, v130
	;; [unrolled: 1-line block ×3, first 2 shown]
	v_fmac_f32_e32 v132, v109, v120
	v_fma_f32 v133, v108, v120, -v117
	s_waitcnt vmcnt(24)
	v_fma_f32 v126, v110, v143, -v118
	v_fmac_f32_e32 v130, v111, v143
	ds_read_b128 v[108:111], v1 offset:720
	ds_read_b128 v[116:119], v1 offset:736
	s_waitcnt vmcnt(23) lgkmcnt(2)
	v_mul_f32_e32 v127, v2, v140
	v_mul_f32_e32 v120, v3, v140
	s_waitcnt vmcnt(22)
	v_mul_f32_e32 v136, v4, v141
	v_mul_f32_e32 v137, v5, v141
	s_waitcnt vmcnt(21)
	v_mul_f32_e32 v140, v112, v128
	v_fmac_f32_e32 v127, v3, v138
	v_fma_f32 v138, v2, v138, -v120
	v_add_f32_e32 v2, v7, v148
	v_fmac_f32_e32 v136, v5, v135
	v_fma_f32 v135, v4, v135, -v137
	v_add_f32_e32 v137, v6, v156
	v_mul_f32_e32 v128, v113, v128
	v_add_f32_e32 v125, v2, v125
	v_fmac_f32_e32 v140, v113, v134
	ds_read_b128 v[120:123], v1 offset:752
	ds_read_b128 v[2:5], v1 offset:768
	v_add_f32_e32 v133, v137, v133
	v_add_f32_e32 v125, v125, v163
	v_fma_f32 v112, v112, v134, -v128
	s_waitcnt vmcnt(20)
	v_mul_f32_e32 v137, v115, v139
	v_mul_f32_e32 v141, v114, v139
	v_add_f32_e32 v126, v133, v126
	v_add_f32_e32 v125, v125, v132
	s_waitcnt vmcnt(19) lgkmcnt(3)
	v_mul_f32_e32 v132, v108, v142
	v_mul_f32_e32 v134, v109, v142
	s_waitcnt vmcnt(18)
	v_mul_f32_e32 v133, v110, v144
	v_add_f32_e32 v126, v126, v138
	v_add_f32_e32 v125, v125, v130
	s_waitcnt vmcnt(17) lgkmcnt(2)
	v_mul_f32_e32 v139, v116, v145
	s_waitcnt vmcnt(16)
	v_mul_f32_e32 v130, v118, v129
	ds_read_b64 v[6:7], v1 offset:784
	v_add_f32_e32 v126, v126, v135
	v_add_f32_e32 v125, v125, v127
	s_waitcnt vmcnt(15) lgkmcnt(2)
	v_mul_f32_e32 v138, v120, v131
	s_waitcnt vmcnt(11)
	v_fmac_f32_e32 v139, v117, v124
	v_add_f32_e32 v112, v126, v112
	v_add_f32_e32 v125, v125, v136
	s_waitcnt vmcnt(8)
	v_fma_f32 v114, v114, v157, -v137
	v_fmac_f32_e32 v141, v115, v157
	v_fmac_f32_e32 v132, v109, v154
	v_fma_f32 v108, v108, v154, -v134
	v_add_f32_e32 v115, v125, v140
	v_mul_f32_e32 v125, v111, v144
	v_add_f32_e32 v109, v112, v114
	v_mul_f32_e32 v114, v117, v145
	v_fmac_f32_e32 v133, v111, v151
	v_add_f32_e32 v112, v115, v141
	v_fma_f32 v110, v110, v151, -v125
	v_add_f32_e32 v108, v109, v108
	v_mul_f32_e32 v111, v119, v129
	v_mul_f32_e32 v113, v122, v149
	v_add_f32_e32 v109, v112, v132
	v_fma_f32 v112, v116, v124, -v114
	v_add_f32_e32 v108, v108, v110
	v_mul_f32_e32 v110, v121, v131
	s_waitcnt vmcnt(3)
	v_fma_f32 v111, v118, v159, -v111
	v_add_f32_e32 v109, v109, v133
	v_fmac_f32_e32 v130, v119, v159
	v_add_f32_e32 v108, v108, v112
	v_mul_f32_e32 v112, v123, v149
	v_fma_f32 v110, v120, v153, -v110
	v_add_f32_e32 v109, v109, v139
	v_fmac_f32_e32 v138, v121, v153
	v_add_f32_e32 v108, v108, v111
	s_waitcnt lgkmcnt(1)
	v_mul_f32_e32 v127, v2, v150
	v_mul_f32_e32 v111, v3, v150
	v_add_f32_e32 v109, v109, v130
	v_fma_f32 v112, v122, v152, -v112
	v_add_f32_e32 v108, v108, v110
	v_fmac_f32_e32 v113, v123, v152
	v_mul_f32_e32 v110, v5, v146
	v_add_f32_e32 v109, v109, v138
	v_fmac_f32_e32 v127, v3, v8
	v_fma_f32 v2, v2, v8, -v111
	v_add_f32_e32 v3, v108, v112
	v_mul_f32_e32 v128, v4, v146
	v_add_f32_e32 v8, v109, v113
	s_waitcnt lgkmcnt(0)
	v_mul_f32_e32 v108, v7, v158
	s_waitcnt vmcnt(1)
	v_fma_f32 v4, v4, v161, -v110
	v_add_f32_e32 v2, v3, v2
	v_mul_f32_e32 v135, v6, v158
	v_fmac_f32_e32 v128, v5, v161
	v_add_f32_e32 v3, v8, v127
	v_fma_f32 v5, v6, v160, -v108
	v_add_f32_e32 v2, v2, v4
	v_fmac_f32_e32 v135, v7, v160
	v_add_f32_e32 v3, v3, v128
	v_add_f32_e32 v2, v2, v5
	;; [unrolled: 1-line block ×3, first 2 shown]
	s_waitcnt vmcnt(0)
	v_sub_f32_e32 v2, v162, v2
	v_sub_f32_e32 v3, v155, v3
	buffer_store_dword v2, off, s[0:3], 0 offset:56
	buffer_store_dword v3, off, s[0:3], 0 offset:60
	v_cmpx_lt_u32_e32 6, v0
	s_cbranch_execz .LBB48_295
; %bb.294:
	s_clause 0x1
	buffer_load_dword v2, off, s[0:3], 0 offset:48
	buffer_load_dword v3, off, s[0:3], 0 offset:52
	buffer_store_dword v1, off, s[0:3], 0 offset:48
	buffer_store_dword v1, off, s[0:3], 0 offset:52
	s_waitcnt vmcnt(0)
	ds_write_b64 v107, v[2:3]
.LBB48_295:
	s_or_b32 exec_lo, exec_lo, s4
	s_waitcnt lgkmcnt(0)
	s_waitcnt_vscnt null, 0x0
	s_barrier
	buffer_gl0_inv
	s_clause 0x24
	buffer_load_dword v136, off, s[0:3], 0 offset:60
	buffer_load_dword v2, off, s[0:3], 0 offset:68
	;; [unrolled: 1-line block ×37, first 2 shown]
	ds_read2_b64 v[120:123], v1 offset0:57 offset1:58
	ds_read2_b64 v[124:127], v1 offset0:59 offset1:60
	;; [unrolled: 1-line block ×3, first 2 shown]
	s_clause 0x1
	buffer_load_dword v154, off, s[0:3], 0 offset:204
	buffer_load_dword v155, off, s[0:3], 0 offset:212
	ds_read2_b64 v[132:135], v1 offset0:63 offset1:64
	buffer_load_dword v157, off, s[0:3], 0 offset:52
	s_mov_b32 s4, exec_lo
	s_waitcnt vmcnt(39) lgkmcnt(3)
	v_mul_f32_e32 v156, v121, v136
	v_mul_f32_e32 v136, v120, v136
	s_waitcnt vmcnt(38)
	v_mul_f32_e32 v158, v122, v2
	v_mul_f32_e32 v2, v123, v2
	s_waitcnt vmcnt(35)
	v_fma_f32 v156, v120, v139, -v156
	v_fmac_f32_e32 v136, v121, v139
	v_fmac_f32_e32 v158, v123, v138
	v_fma_f32 v2, v122, v138, -v2
	s_waitcnt vmcnt(33) lgkmcnt(2)
	v_mul_f32_e32 v138, v126, v141
	v_mul_f32_e32 v121, v127, v141
	;; [unrolled: 1-line block ×4, first 2 shown]
	s_waitcnt vmcnt(32) lgkmcnt(1)
	v_mul_f32_e32 v140, v128, v142
	v_mul_f32_e32 v141, v129, v142
	s_waitcnt vmcnt(28)
	v_fmac_f32_e32 v138, v127, v145
	v_fma_f32 v142, v126, v145, -v121
	s_waitcnt vmcnt(27)
	v_mul_f32_e32 v145, v130, v146
	v_mul_f32_e32 v146, v131, v146
	v_fmac_f32_e32 v139, v125, v137
	v_fma_f32 v137, v124, v137, -v120
	ds_read2_b64 v[120:123], v1 offset0:65 offset1:66
	ds_read2_b64 v[124:127], v1 offset0:67 offset1:68
	v_fmac_f32_e32 v140, v129, v144
	v_fma_f32 v141, v128, v144, -v141
	s_waitcnt vmcnt(26) lgkmcnt(2)
	v_mul_f32_e32 v144, v132, v147
	v_mul_f32_e32 v128, v133, v147
	v_fmac_f32_e32 v145, v131, v143
	v_fma_f32 v143, v130, v143, -v146
	s_waitcnt vmcnt(25)
	v_mul_f32_e32 v146, v134, v148
	v_mul_f32_e32 v129, v135, v148
	s_clause 0x3
	buffer_load_dword v147, off, s[0:3], 0 offset:232
	buffer_load_dword v148, off, s[0:3], 0 offset:224
	;; [unrolled: 1-line block ×4, first 2 shown]
	v_fmac_f32_e32 v144, v133, v110
	v_fma_f32 v132, v132, v110, -v128
	s_waitcnt vmcnt(25)
	v_fmac_f32_e32 v146, v135, v149
	v_fma_f32 v133, v134, v149, -v129
	ds_read2_b64 v[128:131], v1 offset0:69 offset1:70
	s_clause 0x1
	buffer_load_dword v161, off, s[0:3], 0 offset:220
	buffer_load_dword v162, off, s[0:3], 0 offset:228
	s_waitcnt vmcnt(26) lgkmcnt(2)
	v_mul_f32_e32 v134, v120, v150
	v_mul_f32_e32 v110, v121, v150
	s_waitcnt vmcnt(25)
	v_mul_f32_e32 v135, v122, v151
	v_mul_f32_e32 v149, v123, v151
	s_waitcnt vmcnt(24) lgkmcnt(1)
	v_mul_f32_e32 v151, v124, v152
	v_fmac_f32_e32 v134, v121, v117
	v_fma_f32 v150, v120, v117, -v110
	v_fmac_f32_e32 v135, v123, v111
	v_fma_f32 v149, v122, v111, -v149
	ds_read2_b64 v[120:123], v1 offset0:71 offset1:72
	v_mul_f32_e32 v110, v125, v152
	s_waitcnt vmcnt(23)
	v_mul_f32_e32 v111, v127, v116
	v_mul_f32_e32 v152, v126, v116
	v_fmac_f32_e32 v151, v125, v6
	v_fma_f32 v6, v124, v6, -v110
	s_waitcnt vmcnt(19)
	v_fma_f32 v124, v126, v153, -v111
	s_waitcnt vmcnt(18) lgkmcnt(1)
	v_mul_f32_e32 v125, v128, v119
	v_mul_f32_e32 v110, v129, v119
	s_waitcnt vmcnt(17)
	v_mul_f32_e32 v126, v130, v118
	v_mul_f32_e32 v111, v131, v118
	ds_read2_b64 v[116:119], v1 offset0:73 offset1:74
	v_fmac_f32_e32 v152, v127, v153
	v_fmac_f32_e32 v125, v129, v112
	buffer_load_dword v127, off, s[0:3], 0 offset:236
	v_fma_f32 v112, v128, v112, -v110
	v_fmac_f32_e32 v126, v131, v8
	v_fma_f32 v8, v130, v8, -v111
	s_waitcnt vmcnt(16) lgkmcnt(1)
	v_mul_f32_e32 v129, v122, v108
	v_mul_f32_e32 v108, v123, v108
	;; [unrolled: 1-line block ×4, first 2 shown]
	s_waitcnt vmcnt(12)
	v_fmac_f32_e32 v129, v123, v115
	v_fma_f32 v115, v122, v115, -v108
	buffer_load_dword v122, off, s[0:3], 0 offset:244
	v_fmac_f32_e32 v128, v121, v4
	v_fma_f32 v120, v120, v4, -v109
	ds_read2_b64 v[108:111], v1 offset0:75 offset1:76
	s_waitcnt vmcnt(12) lgkmcnt(1)
	v_mul_f32_e32 v121, v116, v114
	v_mul_f32_e32 v4, v117, v114
	s_waitcnt vmcnt(11)
	v_mul_f32_e32 v114, v118, v113
	v_mul_f32_e32 v113, v119, v113
	v_fmac_f32_e32 v121, v117, v7
	v_fma_f32 v7, v116, v7, -v4
	v_fmac_f32_e32 v114, v119, v5
	v_fma_f32 v113, v118, v5, -v113
	s_clause 0x4
	buffer_load_dword v116, off, s[0:3], 0 offset:264
	buffer_load_dword v117, off, s[0:3], 0 offset:256
	;; [unrolled: 1-line block ×5, first 2 shown]
	v_add_f32_e32 v4, 0, v156
	v_add_f32_e32 v5, 0, v136
	s_clause 0x1
	buffer_load_dword v130, off, s[0:3], 0 offset:260
	buffer_load_dword v131, off, s[0:3], 0 offset:268
	v_add_f32_e32 v2, v4, v2
	v_add_f32_e32 v4, v5, v158
	s_waitcnt vmcnt(17) lgkmcnt(0)
	v_mul_f32_e32 v136, v108, v154
	v_mul_f32_e32 v5, v109, v154
	v_add_f32_e32 v2, v2, v137
	v_add_f32_e32 v4, v4, v139
	s_waitcnt vmcnt(16)
	v_mul_f32_e32 v139, v111, v155
	v_fmac_f32_e32 v136, v109, v3
	v_fma_f32 v153, v108, v3, -v5
	v_add_f32_e32 v108, v2, v142
	v_add_f32_e32 v109, v4, v138
	ds_read2_b64 v[2:5], v1 offset0:77 offset1:78
	v_mul_f32_e32 v137, v110, v155
	v_add_f32_e32 v108, v108, v141
	v_add_f32_e32 v109, v109, v140
	;; [unrolled: 1-line block ×10, first 2 shown]
	s_waitcnt vmcnt(11)
	v_fma_f32 v138, v110, v160, -v139
	s_clause 0x7
	buffer_load_dword v139, off, s[0:3], 0 offset:276
	buffer_load_dword v140, off, s[0:3], 0 offset:296
	;; [unrolled: 1-line block ×8, first 2 shown]
	v_fmac_f32_e32 v137, v111, v160
	ds_read2_b64 v[108:111], v1 offset0:79 offset1:80
	s_waitcnt vmcnt(18) lgkmcnt(1)
	v_mul_f32_e32 v146, v2, v161
	v_mul_f32_e32 v155, v3, v161
	s_waitcnt vmcnt(17)
	v_mul_f32_e32 v145, v4, v162
	v_mul_f32_e32 v150, v5, v162
	v_fmac_f32_e32 v146, v3, v159
	v_add_f32_e32 v3, v133, v149
	v_add_f32_e32 v133, v134, v135
	v_fma_f32 v134, v2, v159, -v155
	v_fmac_f32_e32 v145, v5, v148
	v_fma_f32 v135, v4, v148, -v150
	v_add_f32_e32 v2, v3, v6
	v_add_f32_e32 v3, v133, v151
	s_clause 0x7
	buffer_load_dword v6, off, s[0:3], 0 offset:308
	buffer_load_dword v133, off, s[0:3], 0 offset:316
	;; [unrolled: 1-line block ×8, first 2 shown]
	v_add_f32_e32 v2, v2, v124
	v_add_f32_e32 v3, v3, v152
	s_clause 0x3
	buffer_load_dword v152, off, s[0:3], 0 offset:340
	buffer_load_dword v159, off, s[0:3], 0 offset:348
	;; [unrolled: 1-line block ×4, first 2 shown]
	v_add_f32_e32 v2, v2, v112
	v_add_f32_e32 v8, v2, v8
	s_waitcnt vmcnt(28) lgkmcnt(0)
	v_mul_f32_e32 v4, v109, v127
	v_mul_f32_e32 v158, v108, v127
	v_add_f32_e32 v8, v8, v120
	v_fma_f32 v124, v108, v147, -v4
	v_add_f32_e32 v108, v3, v125
	v_fmac_f32_e32 v158, v109, v147
	s_clause 0x2
	buffer_load_dword v147, off, s[0:3], 0 offset:372
	buffer_load_dword v162, off, s[0:3], 0 offset:380
	buffer_load_dword v163, off, s[0:3], 0 offset:388
	v_add_f32_e32 v8, v8, v115
	v_add_f32_e32 v108, v108, v126
	s_waitcnt vmcnt(30)
	v_mul_f32_e32 v3, v111, v122
	v_mul_f32_e32 v125, v110, v122
	v_add_f32_e32 v7, v8, v7
	v_add_f32_e32 v108, v108, v128
	;; [unrolled: 1-line block ×4, first 2 shown]
	s_waitcnt vmcnt(26)
	v_fma_f32 v122, v110, v119, -v3
	ds_read2_b64 v[2:5], v1 offset0:81 offset1:82
	s_clause 0x3
	buffer_load_dword v128, off, s[0:3], 0 offset:360
	buffer_load_dword v164, off, s[0:3], 0 offset:352
	;; [unrolled: 1-line block ×4, first 2 shown]
	v_add_f32_e32 v8, v108, v121
	v_fmac_f32_e32 v125, v111, v119
	ds_read2_b64 v[108:111], v1 offset0:83 offset1:84
	s_waitcnt vmcnt(29) lgkmcnt(1)
	v_mul_f32_e32 v120, v2, v123
	v_mul_f32_e32 v112, v3, v123
	s_waitcnt vmcnt(28)
	v_mul_f32_e32 v126, v4, v130
	s_waitcnt vmcnt(27) lgkmcnt(0)
	v_mul_f32_e32 v119, v109, v131
	v_fmac_f32_e32 v120, v3, v118
	v_fma_f32 v121, v2, v118, -v112
	v_add_f32_e32 v2, v8, v114
	v_add_f32_e32 v3, v7, v153
	s_clause 0x2
	buffer_load_dword v7, off, s[0:3], 0 offset:384
	buffer_load_dword v8, off, s[0:3], 0 offset:376
	;; [unrolled: 1-line block ×3, first 2 shown]
	v_mul_f32_e32 v112, v5, v130
	v_fmac_f32_e32 v126, v5, v117
	v_add_f32_e32 v2, v2, v136
	buffer_load_dword v136, off, s[0:3], 0 offset:48
	v_add_f32_e32 v3, v3, v138
	v_fma_f32 v123, v4, v117, -v112
	v_mul_f32_e32 v130, v108, v131
	v_add_f32_e32 v113, v2, v137
	v_add_f32_e32 v117, v3, v134
	ds_read2_b64 v[2:5], v1 offset0:85 offset1:86
	v_fma_f32 v134, v108, v116, -v119
	v_add_f32_e32 v118, v113, v146
	ds_read2_b64 v[112:115], v1 offset0:87 offset1:88
	v_add_f32_e32 v117, v117, v135
	v_fmac_f32_e32 v130, v109, v116
	v_add_f32_e32 v118, v118, v145
	v_add_f32_e32 v124, v117, v124
	;; [unrolled: 1-line block ×4, first 2 shown]
	s_waitcnt vmcnt(30)
	v_mul_f32_e32 v127, v111, v139
	v_mul_f32_e32 v131, v110, v139
	s_waitcnt vmcnt(25) lgkmcnt(1)
	v_mul_f32_e32 v137, v2, v132
	v_mul_f32_e32 v124, v3, v132
	v_fma_f32 v135, v110, v154, -v127
	v_add_f32_e32 v127, v118, v158
	s_waitcnt vmcnt(23) lgkmcnt(0)
	v_mul_f32_e32 v138, v112, v144
	v_fmac_f32_e32 v137, v3, v142
	v_fma_f32 v142, v2, v142, -v124
	v_mul_f32_e32 v132, v4, v143
	v_add_f32_e32 v125, v127, v125
	v_mul_f32_e32 v127, v5, v143
	v_mul_f32_e32 v139, v113, v144
	v_fmac_f32_e32 v138, v113, v140
	v_fmac_f32_e32 v131, v111, v154
	v_add_f32_e32 v124, v125, v120
	v_add_f32_e32 v125, v121, v123
	ds_read2_b64 v[108:111], v1 offset0:89 offset1:90
	ds_read2_b64 v[116:119], v1 offset0:91 offset1:92
	v_fmac_f32_e32 v132, v5, v141
	v_fma_f32 v141, v4, v141, -v127
	v_add_f32_e32 v143, v124, v126
	v_add_f32_e32 v113, v125, v134
	ds_read2_b64 v[2:5], v1 offset0:93 offset1:94
	ds_read2_b64 v[120:123], v1 offset0:95 offset1:96
	;; [unrolled: 1-line block ×3, first 2 shown]
	v_fma_f32 v112, v112, v140, -v139
	v_add_f32_e32 v1, v143, v130
	v_add_f32_e32 v113, v113, v135
	s_waitcnt vmcnt(22)
	v_mul_f32_e32 v130, v114, v6
	v_mul_f32_e32 v6, v115, v6
	v_add_f32_e32 v1, v1, v131
	v_add_f32_e32 v113, v113, v142
	s_waitcnt vmcnt(15)
	v_fmac_f32_e32 v130, v115, v156
	v_fma_f32 v6, v114, v156, -v6
	v_add_f32_e32 v1, v1, v137
	v_add_f32_e32 v113, v113, v141
	s_waitcnt lgkmcnt(4)
	v_mul_f32_e32 v134, v108, v133
	v_mul_f32_e32 v133, v109, v133
	v_mul_f32_e32 v131, v110, v148
	v_add_f32_e32 v1, v1, v132
	v_add_f32_e32 v112, v113, v112
	v_mul_f32_e32 v132, v111, v148
	v_fma_f32 v108, v108, v155, -v133
	v_fmac_f32_e32 v134, v109, v155
	v_add_f32_e32 v1, v1, v138
	v_add_f32_e32 v6, v112, v6
	s_waitcnt lgkmcnt(3)
	v_mul_f32_e32 v109, v117, v149
	v_fma_f32 v110, v110, v151, -v132
	v_mul_f32_e32 v114, v116, v149
	v_add_f32_e32 v1, v1, v130
	v_add_f32_e32 v6, v6, v108
	v_fmac_f32_e32 v131, v111, v151
	s_waitcnt vmcnt(14)
	v_mul_f32_e32 v108, v119, v152
	v_fma_f32 v109, v116, v150, -v109
	v_add_f32_e32 v1, v1, v134
	v_add_f32_e32 v6, v6, v110
	v_mul_f32_e32 v115, v118, v152
	v_fmac_f32_e32 v114, v117, v150
	s_waitcnt vmcnt(13) lgkmcnt(2)
	v_mul_f32_e32 v135, v2, v159
	v_add_f32_e32 v1, v1, v131
	v_mul_f32_e32 v110, v3, v159
	v_add_f32_e32 v6, v6, v109
	s_waitcnt vmcnt(4)
	v_fma_f32 v108, v118, v166, -v108
	v_fmac_f32_e32 v115, v119, v166
	v_add_f32_e32 v1, v1, v114
	v_mul_f32_e32 v109, v5, v160
	v_fmac_f32_e32 v135, v3, v165
	v_fma_f32 v2, v2, v165, -v110
	v_add_f32_e32 v3, v6, v108
	v_mul_f32_e32 v137, v4, v160
	v_add_f32_e32 v1, v1, v115
	s_waitcnt lgkmcnt(1)
	v_mul_f32_e32 v6, v121, v161
	v_fma_f32 v4, v4, v164, -v109
	v_add_f32_e32 v2, v3, v2
	v_mul_f32_e32 v139, v120, v161
	v_fmac_f32_e32 v137, v5, v164
	v_add_f32_e32 v1, v1, v135
	v_mul_f32_e32 v3, v123, v147
	v_fma_f32 v5, v120, v128, -v6
	v_add_f32_e32 v2, v2, v4
	v_mul_f32_e32 v140, v122, v147
	v_fmac_f32_e32 v139, v121, v128
	v_add_f32_e32 v1, v1, v137
	s_waitcnt lgkmcnt(0)
	v_mul_f32_e32 v4, v125, v162
	v_add_f32_e32 v2, v2, v5
	v_mul_f32_e32 v141, v124, v162
	v_mul_f32_e32 v5, v127, v163
	v_add_f32_e32 v1, v1, v139
	v_mul_f32_e32 v113, v126, v163
	s_waitcnt vmcnt(2)
	v_fma_f32 v4, v124, v8, -v4
	s_waitcnt vmcnt(1)
	v_fma_f32 v3, v122, v129, -v3
	v_fmac_f32_e32 v140, v123, v129
	v_fmac_f32_e32 v141, v125, v8
	;; [unrolled: 1-line block ×3, first 2 shown]
	v_add_f32_e32 v2, v2, v3
	v_add_f32_e32 v1, v1, v140
	v_fma_f32 v3, v126, v7, -v5
	v_add_f32_e32 v2, v2, v4
	v_add_f32_e32 v1, v1, v141
	;; [unrolled: 1-line block ×4, first 2 shown]
	s_waitcnt vmcnt(0)
	v_sub_f32_e32 v2, v136, v2
	v_sub_f32_e32 v1, v157, v1
	buffer_store_dword v2, off, s[0:3], 0 offset:48
	buffer_store_dword v1, off, s[0:3], 0 offset:52
	v_cmpx_lt_u32_e32 5, v0
	s_cbranch_execz .LBB48_297
; %bb.296:
	s_clause 0x1
	buffer_load_dword v1, off, s[0:3], 0 offset:40
	buffer_load_dword v2, off, s[0:3], 0 offset:44
	v_mov_b32_e32 v3, 0
	buffer_store_dword v3, off, s[0:3], 0 offset:40
	buffer_store_dword v3, off, s[0:3], 0 offset:44
	s_waitcnt vmcnt(0)
	ds_write_b64 v107, v[1:2]
.LBB48_297:
	s_or_b32 exec_lo, exec_lo, s4
	s_waitcnt lgkmcnt(0)
	s_waitcnt_vscnt null, 0x0
	s_barrier
	buffer_gl0_inv
	s_clause 0x2c
	buffer_load_dword v146, off, s[0:3], 0 offset:52
	buffer_load_dword v147, off, s[0:3], 0 offset:60
	;; [unrolled: 1-line block ×45, first 2 shown]
	v_mov_b32_e32 v1, 0
	ds_read_b128 v[138:141], v1 offset:448
	ds_read_b128 v[142:145], v1 offset:464
	buffer_load_dword v156, off, s[0:3], 0 offset:44
	s_mov_b32 s4, exec_lo
	s_waitcnt vmcnt(45) lgkmcnt(1)
	v_mul_f32_e32 v154, v139, v146
	v_mul_f32_e32 v146, v138, v146
	s_waitcnt vmcnt(44)
	v_mul_f32_e32 v155, v140, v147
	v_mul_f32_e32 v147, v141, v147
	s_waitcnt vmcnt(41)
	v_fma_f32 v154, v138, v135, -v154
	v_fmac_f32_e32 v146, v139, v135
	v_fmac_f32_e32 v155, v141, v131
	v_fma_f32 v147, v140, v131, -v147
	ds_read_b128 v[138:141], v1 offset:480
	s_waitcnt vmcnt(40) lgkmcnt(1)
	v_mul_f32_e32 v157, v142, v130
	v_mul_f32_e32 v130, v143, v130
	s_waitcnt vmcnt(39)
	v_mul_f32_e32 v158, v144, v128
	v_mul_f32_e32 v128, v145, v128
	v_fmac_f32_e32 v157, v143, v117
	v_fma_f32 v117, v142, v117, -v130
	s_waitcnt vmcnt(35)
	v_fmac_f32_e32 v158, v145, v136
	v_fma_f32 v159, v144, v136, -v128
	ds_read_b128 v[142:145], v1 offset:496
	s_waitcnt vmcnt(34) lgkmcnt(1)
	v_mul_f32_e32 v160, v138, v134
	v_mul_f32_e32 v128, v139, v134
	s_waitcnt vmcnt(33)
	v_mul_f32_e32 v161, v140, v133
	v_mul_f32_e32 v130, v141, v133
	ds_read_b128 v[133:136], v1 offset:512
	v_fmac_f32_e32 v160, v139, v125
	v_fma_f32 v125, v138, v125, -v128
	v_fmac_f32_e32 v161, v141, v120
	v_fma_f32 v162, v140, v120, -v130
	ds_read_b128 v[138:141], v1 offset:528
	s_waitcnt vmcnt(32) lgkmcnt(2)
	v_mul_f32_e32 v163, v142, v124
	v_mul_f32_e32 v120, v143, v124
	s_waitcnt vmcnt(31)
	v_mul_f32_e32 v124, v144, v122
	v_mul_f32_e32 v122, v145, v122
	v_fmac_f32_e32 v163, v143, v8
	v_fma_f32 v8, v142, v8, -v120
	s_waitcnt vmcnt(27)
	v_fmac_f32_e32 v124, v145, v132
	v_fma_f32 v142, v144, v132, -v122
	s_waitcnt vmcnt(26) lgkmcnt(1)
	v_mul_f32_e32 v143, v133, v129
	v_mul_f32_e32 v120, v134, v129
	s_waitcnt vmcnt(25)
	v_mul_f32_e32 v144, v135, v127
	v_mul_f32_e32 v122, v136, v127
	ds_read_b128 v[127:130], v1 offset:544
	v_fmac_f32_e32 v143, v134, v118
	v_fma_f32 v118, v133, v118, -v120
	ds_read_b128 v[131:134], v1 offset:560
	v_fmac_f32_e32 v144, v136, v112
	v_fma_f32 v135, v135, v112, -v122
	s_waitcnt vmcnt(24) lgkmcnt(2)
	v_mul_f32_e32 v136, v138, v116
	v_mul_f32_e32 v112, v139, v116
	s_waitcnt vmcnt(23)
	v_mul_f32_e32 v116, v140, v114
	v_mul_f32_e32 v114, v141, v114
	v_fmac_f32_e32 v136, v139, v4
	v_fma_f32 v138, v138, v4, -v112
	s_waitcnt vmcnt(19)
	v_fmac_f32_e32 v116, v141, v126
	v_fma_f32 v126, v140, v126, -v114
	s_waitcnt vmcnt(18) lgkmcnt(1)
	v_mul_f32_e32 v139, v127, v123
	v_mul_f32_e32 v4, v128, v123
	s_waitcnt vmcnt(17)
	v_mul_f32_e32 v140, v129, v121
	v_mul_f32_e32 v112, v130, v121
	ds_read_b128 v[120:123], v1 offset:576
	v_fmac_f32_e32 v139, v128, v111
	v_fma_f32 v127, v127, v111, -v4
	v_fmac_f32_e32 v140, v130, v108
	v_fma_f32 v128, v129, v108, -v112
	s_waitcnt vmcnt(15) lgkmcnt(1)
	v_mul_f32_e32 v130, v133, v109
	v_mul_f32_e32 v108, v134, v109
	;; [unrolled: 1-line block ×4, first 2 shown]
	s_waitcnt vmcnt(11)
	v_fmac_f32_e32 v130, v134, v119
	v_fma_f32 v119, v133, v119, -v108
	ds_read_b128 v[108:111], v1 offset:592
	v_fmac_f32_e32 v129, v132, v3
	v_fma_f32 v131, v131, v3, -v4
	s_waitcnt vmcnt(10) lgkmcnt(1)
	v_mul_f32_e32 v132, v120, v115
	v_mul_f32_e32 v3, v121, v115
	s_waitcnt vmcnt(9)
	v_mul_f32_e32 v133, v122, v113
	v_mul_f32_e32 v4, v123, v113
	ds_read_b128 v[112:115], v1 offset:608
	v_fmac_f32_e32 v132, v121, v7
	v_fma_f32 v7, v120, v7, -v3
	v_fmac_f32_e32 v133, v123, v5
	v_fma_f32 v120, v122, v5, -v4
	buffer_load_dword v122, off, s[0:3], 0 offset:228
	s_waitcnt vmcnt(8) lgkmcnt(1)
	v_mul_f32_e32 v4, v111, v137
	v_mul_f32_e32 v121, v108, v6
	;; [unrolled: 1-line block ×4, first 2 shown]
	s_waitcnt vmcnt(4)
	v_fma_f32 v134, v110, v151, -v4
	buffer_load_dword v110, off, s[0:3], 0 offset:236
	v_fmac_f32_e32 v121, v109, v2
	v_fma_f32 v123, v108, v2, -v3
	ds_read_b128 v[2:5], v1 offset:624
	v_fmac_f32_e32 v6, v111, v151
	s_waitcnt vmcnt(4) lgkmcnt(1)
	v_mul_f32_e32 v137, v112, v152
	v_mul_f32_e32 v108, v113, v152
	s_waitcnt vmcnt(3)
	v_mul_f32_e32 v141, v114, v153
	v_mul_f32_e32 v109, v115, v153
	v_fmac_f32_e32 v137, v113, v150
	v_fma_f32 v112, v112, v150, -v108
	v_fmac_f32_e32 v141, v115, v149
	v_fma_f32 v113, v114, v149, -v109
	s_clause 0x4
	buffer_load_dword v114, off, s[0:3], 0 offset:256
	buffer_load_dword v115, off, s[0:3], 0 offset:248
	;; [unrolled: 1-line block ×5, first 2 shown]
	s_waitcnt vmcnt(6) lgkmcnt(0)
	v_mul_f32_e32 v150, v2, v122
	v_mul_f32_e32 v109, v3, v122
	v_fmac_f32_e32 v150, v3, v148
	v_fma_f32 v122, v2, v148, -v109
	s_waitcnt vmcnt(5)
	v_mul_f32_e32 v148, v4, v110
	v_mul_f32_e32 v2, v5, v110
	s_waitcnt vmcnt(1)
	v_fmac_f32_e32 v148, v5, v108
	v_fma_f32 v151, v4, v108, -v2
	ds_read_b128 v[2:5], v1 offset:640
	ds_read_b128 v[108:111], v1 offset:656
	s_waitcnt vmcnt(0) lgkmcnt(1)
	v_mul_f32_e32 v152, v2, v149
	v_mul_f32_e32 v149, v3, v149
	v_fmac_f32_e32 v152, v3, v145
	v_fma_f32 v145, v2, v145, -v149
	buffer_load_dword v2, off, s[0:3], 0 offset:252
	s_waitcnt vmcnt(0)
	v_mul_f32_e32 v149, v4, v2
	v_mul_f32_e32 v2, v5, v2
	v_fmac_f32_e32 v149, v5, v115
	v_fma_f32 v153, v4, v115, -v2
	buffer_load_dword v2, off, s[0:3], 0 offset:260
	s_waitcnt vmcnt(0) lgkmcnt(0)
	v_mul_f32_e32 v164, v108, v2
	v_mul_f32_e32 v2, v109, v2
	v_fmac_f32_e32 v164, v109, v114
	v_fma_f32 v165, v108, v114, -v2
	s_clause 0x4
	buffer_load_dword v2, off, s[0:3], 0 offset:268
	buffer_load_dword v166, off, s[0:3], 0 offset:288
	;; [unrolled: 1-line block ×5, first 2 shown]
	s_waitcnt vmcnt(4)
	v_mul_f32_e32 v167, v110, v2
	v_mul_f32_e32 v2, v111, v2
	s_waitcnt vmcnt(0)
	v_fmac_f32_e32 v167, v111, v3
	v_fma_f32 v168, v110, v3, -v2
	v_add_f32_e32 v2, 0, v154
	v_add_f32_e32 v3, 0, v146
	buffer_load_dword v146, off, s[0:3], 0 offset:284
	v_add_f32_e32 v2, v2, v147
	v_add_f32_e32 v3, v3, v155
	buffer_load_dword v147, off, s[0:3], 0 offset:300
	v_add_f32_e32 v2, v2, v117
	buffer_load_dword v117, off, s[0:3], 0 offset:276
	v_add_f32_e32 v3, v3, v157
	v_add_f32_e32 v2, v2, v159
	v_add_f32_e32 v3, v3, v158
	v_add_f32_e32 v2, v2, v125
	buffer_load_dword v125, off, s[0:3], 0 offset:292
	v_add_f32_e32 v3, v3, v160
	v_add_f32_e32 v2, v2, v162
	;; [unrolled: 1-line block ×4, first 2 shown]
	s_clause 0x3
	buffer_load_dword v8, off, s[0:3], 0 offset:320
	buffer_load_dword v154, off, s[0:3], 0 offset:312
	;; [unrolled: 1-line block ×4, first 2 shown]
	v_add_f32_e32 v3, v3, v163
	v_add_f32_e32 v2, v2, v142
	s_clause 0x1
	buffer_load_dword v142, off, s[0:3], 0 offset:308
	buffer_load_dword v158, off, s[0:3], 0 offset:316
	v_add_f32_e32 v3, v3, v124
	buffer_load_dword v124, off, s[0:3], 0 offset:324
	v_add_f32_e32 v2, v2, v118
	v_add_f32_e32 v3, v3, v143
	;; [unrolled: 1-line block ×3, first 2 shown]
	s_clause 0x3
	buffer_load_dword v135, off, s[0:3], 0 offset:332
	buffer_load_dword v143, off, s[0:3], 0 offset:340
	;; [unrolled: 1-line block ×4, first 2 shown]
	v_add_f32_e32 v3, v3, v144
	v_add_f32_e32 v2, v2, v138
	s_clause 0x1
	buffer_load_dword v138, off, s[0:3], 0 offset:364
	buffer_load_dword v144, off, s[0:3], 0 offset:372
	v_add_f32_e32 v3, v3, v136
	v_add_f32_e32 v2, v2, v126
	s_clause 0x1
	buffer_load_dword v126, off, s[0:3], 0 offset:380
	buffer_load_dword v136, off, s[0:3], 0 offset:388
	v_add_f32_e32 v3, v3, v116
	v_add_f32_e32 v2, v2, v127
	;; [unrolled: 1-line block ×4, first 2 shown]
	s_clause 0x3
	buffer_load_dword v127, off, s[0:3], 0 offset:352
	buffer_load_dword v128, off, s[0:3], 0 offset:344
	buffer_load_dword v139, off, s[0:3], 0 offset:336
	buffer_load_dword v161, off, s[0:3], 0 offset:328
	v_add_f32_e32 v3, v3, v140
	v_add_f32_e32 v2, v2, v131
	;; [unrolled: 1-line block ×3, first 2 shown]
	s_clause 0x3
	buffer_load_dword v129, off, s[0:3], 0 offset:384
	buffer_load_dword v131, off, s[0:3], 0 offset:376
	;; [unrolled: 1-line block ×4, first 2 shown]
	v_add_f32_e32 v2, v2, v119
	v_add_f32_e32 v3, v3, v130
	buffer_load_dword v130, off, s[0:3], 0 offset:40
	v_add_f32_e32 v2, v2, v7
	v_add_f32_e32 v3, v3, v132
	;; [unrolled: 1-line block ×4, first 2 shown]
	ds_read_b128 v[2:5], v1 offset:672
	v_add_f32_e32 v7, v7, v123
	v_add_f32_e32 v108, v108, v121
	;; [unrolled: 1-line block ×4, first 2 shown]
	ds_read_b128 v[108:111], v1 offset:688
	v_add_f32_e32 v7, v7, v112
	v_add_f32_e32 v6, v6, v137
	;; [unrolled: 1-line block ×8, first 2 shown]
	s_waitcnt vmcnt(27) lgkmcnt(1)
	v_mul_f32_e32 v133, v4, v146
	v_mul_f32_e32 v113, v5, v146
	v_fmac_f32_e32 v133, v5, v114
	v_fma_f32 v137, v4, v114, -v113
	s_waitcnt vmcnt(25)
	v_mul_f32_e32 v132, v2, v117
	v_mul_f32_e32 v112, v3, v117
	v_fmac_f32_e32 v132, v3, v115
	v_add_f32_e32 v3, v7, v122
	v_fma_f32 v134, v2, v115, -v112
	s_waitcnt vmcnt(24) lgkmcnt(0)
	v_mul_f32_e32 v141, v108, v125
	v_add_f32_e32 v7, v3, v151
	ds_read_b128 v[2:5], v1 offset:704
	ds_read_b128 v[112:115], v1 offset:720
	v_mul_f32_e32 v120, v109, v125
	v_mul_f32_e32 v125, v110, v147
	v_fmac_f32_e32 v141, v109, v166
	v_add_f32_e32 v7, v7, v145
	v_mul_f32_e32 v145, v111, v147
	v_add_f32_e32 v147, v6, v164
	v_fma_f32 v146, v108, v166, -v120
	ds_read_b128 v[116:119], v1 offset:736
	ds_read_b128 v[120:123], v1 offset:752
	v_add_f32_e32 v7, v7, v153
	v_add_f32_e32 v147, v147, v167
	s_waitcnt vmcnt(20)
	v_fma_f32 v145, v110, v157, -v145
	v_fmac_f32_e32 v125, v111, v157
	v_add_f32_e32 v7, v7, v165
	v_add_f32_e32 v132, v147, v132
	s_waitcnt vmcnt(19) lgkmcnt(3)
	v_mul_f32_e32 v149, v2, v142
	v_add_f32_e32 v148, v7, v168
	v_add_f32_e32 v132, v132, v133
	v_mul_f32_e32 v142, v3, v142
	s_waitcnt vmcnt(18)
	v_mul_f32_e32 v150, v4, v158
	v_fmac_f32_e32 v149, v3, v155
	v_add_f32_e32 v134, v148, v134
	v_add_f32_e32 v132, v132, v141
	v_mul_f32_e32 v148, v5, v158
	v_fma_f32 v2, v2, v155, -v142
	s_waitcnt vmcnt(17) lgkmcnt(2)
	v_mul_f32_e32 v147, v112, v124
	v_add_f32_e32 v134, v134, v137
	v_add_f32_e32 v125, v132, v125
	v_mul_f32_e32 v124, v113, v124
	v_fma_f32 v4, v4, v154, -v148
	v_fmac_f32_e32 v150, v5, v154
	v_add_f32_e32 v134, v134, v146
	v_add_f32_e32 v5, v125, v149
	s_waitcnt vmcnt(16)
	v_mul_f32_e32 v125, v115, v135
	v_fmac_f32_e32 v147, v113, v8
	v_fma_f32 v8, v112, v8, -v124
	v_add_f32_e32 v134, v134, v145
	v_mul_f32_e32 v137, v114, v135
	ds_read_b128 v[108:111], v1 offset:768
	ds_read_b64 v[6:7], v1 offset:784
	s_waitcnt vmcnt(5)
	v_fma_f32 v112, v114, v161, -v125
	s_waitcnt lgkmcnt(3)
	v_mul_f32_e32 v151, v116, v143
	v_add_f32_e32 v2, v134, v2
	v_fmac_f32_e32 v137, v115, v161
	v_mul_f32_e32 v133, v118, v159
	s_waitcnt lgkmcnt(2)
	v_mul_f32_e32 v146, v120, v160
	v_fmac_f32_e32 v151, v117, v139
	v_add_f32_e32 v2, v2, v4
	v_add_f32_e32 v4, v5, v150
	v_mul_f32_e32 v5, v117, v143
	v_fmac_f32_e32 v133, v119, v128
	v_mul_f32_e32 v3, v122, v138
	v_add_f32_e32 v2, v2, v8
	v_add_f32_e32 v4, v4, v147
	v_mul_f32_e32 v8, v119, v159
	v_fma_f32 v5, v116, v139, -v5
	v_fmac_f32_e32 v146, v121, v127
	v_add_f32_e32 v2, v2, v112
	v_add_f32_e32 v4, v4, v137
	v_mul_f32_e32 v112, v121, v160
	v_fma_f32 v8, v118, v128, -v8
	s_waitcnt lgkmcnt(1)
	v_mul_f32_e32 v141, v108, v144
	v_add_f32_e32 v2, v2, v5
	v_add_f32_e32 v4, v4, v151
	v_mul_f32_e32 v5, v123, v138
	v_fma_f32 v112, v120, v127, -v112
	s_waitcnt vmcnt(1)
	v_fmac_f32_e32 v3, v123, v162
	v_add_f32_e32 v2, v2, v8
	v_add_f32_e32 v4, v4, v133
	v_mul_f32_e32 v8, v109, v144
	v_fma_f32 v5, v122, v162, -v5
	v_mul_f32_e32 v142, v110, v126
	v_add_f32_e32 v2, v2, v112
	v_add_f32_e32 v4, v4, v146
	v_mul_f32_e32 v112, v111, v126
	v_fma_f32 v8, v108, v140, -v8
	v_fmac_f32_e32 v141, v109, v140
	v_add_f32_e32 v2, v2, v5
	v_add_f32_e32 v3, v4, v3
	s_waitcnt lgkmcnt(0)
	v_mul_f32_e32 v4, v7, v136
	v_fma_f32 v5, v110, v131, -v112
	v_mul_f32_e32 v132, v6, v136
	v_add_f32_e32 v2, v2, v8
	v_fmac_f32_e32 v142, v111, v131
	v_add_f32_e32 v3, v3, v141
	v_fma_f32 v4, v6, v129, -v4
	v_fmac_f32_e32 v132, v7, v129
	v_add_f32_e32 v2, v2, v5
	v_add_f32_e32 v3, v3, v142
	;; [unrolled: 1-line block ×4, first 2 shown]
	s_waitcnt vmcnt(0)
	v_sub_f32_e32 v2, v130, v2
	v_sub_f32_e32 v3, v156, v3
	buffer_store_dword v2, off, s[0:3], 0 offset:40
	buffer_store_dword v3, off, s[0:3], 0 offset:44
	v_cmpx_lt_u32_e32 4, v0
	s_cbranch_execz .LBB48_299
; %bb.298:
	s_clause 0x1
	buffer_load_dword v2, off, s[0:3], 0 offset:32
	buffer_load_dword v3, off, s[0:3], 0 offset:36
	buffer_store_dword v1, off, s[0:3], 0 offset:32
	buffer_store_dword v1, off, s[0:3], 0 offset:36
	s_waitcnt vmcnt(0)
	ds_write_b64 v107, v[2:3]
.LBB48_299:
	s_or_b32 exec_lo, exec_lo, s4
	s_waitcnt lgkmcnt(0)
	s_waitcnt_vscnt null, 0x0
	s_barrier
	buffer_gl0_inv
	s_clause 0x2c
	buffer_load_dword v146, off, s[0:3], 0 offset:44
	buffer_load_dword v147, off, s[0:3], 0 offset:52
	;; [unrolled: 1-line block ×45, first 2 shown]
	ds_read2_b64 v[138:141], v1 offset0:55 offset1:56
	ds_read2_b64 v[142:145], v1 offset0:57 offset1:58
	buffer_load_dword v156, off, s[0:3], 0 offset:36
	s_mov_b32 s4, exec_lo
	s_waitcnt vmcnt(45) lgkmcnt(1)
	v_mul_f32_e32 v154, v139, v146
	v_mul_f32_e32 v146, v138, v146
	s_waitcnt vmcnt(44)
	v_mul_f32_e32 v155, v140, v147
	v_mul_f32_e32 v147, v141, v147
	s_waitcnt vmcnt(41)
	v_fma_f32 v154, v138, v136, -v154
	v_fmac_f32_e32 v146, v139, v136
	v_fmac_f32_e32 v155, v141, v132
	v_fma_f32 v147, v140, v132, -v147
	ds_read2_b64 v[138:141], v1 offset0:59 offset1:60
	s_waitcnt vmcnt(40) lgkmcnt(1)
	v_mul_f32_e32 v157, v142, v131
	v_mul_f32_e32 v131, v143, v131
	s_waitcnt vmcnt(39)
	v_mul_f32_e32 v158, v144, v129
	v_mul_f32_e32 v129, v145, v129
	v_fmac_f32_e32 v157, v143, v118
	v_fma_f32 v118, v142, v118, -v131
	s_waitcnt vmcnt(35)
	v_fmac_f32_e32 v158, v145, v137
	v_fma_f32 v159, v144, v137, -v129
	ds_read2_b64 v[142:145], v1 offset0:61 offset1:62
	s_waitcnt vmcnt(34) lgkmcnt(1)
	v_mul_f32_e32 v160, v138, v135
	v_mul_f32_e32 v129, v139, v135
	s_waitcnt vmcnt(33)
	v_mul_f32_e32 v161, v140, v134
	v_mul_f32_e32 v131, v141, v134
	ds_read2_b64 v[134:137], v1 offset0:63 offset1:64
	v_fmac_f32_e32 v160, v139, v126
	v_fma_f32 v126, v138, v126, -v129
	v_fmac_f32_e32 v161, v141, v121
	v_fma_f32 v162, v140, v121, -v131
	ds_read2_b64 v[138:141], v1 offset0:65 offset1:66
	s_waitcnt vmcnt(32) lgkmcnt(2)
	v_mul_f32_e32 v163, v142, v125
	v_mul_f32_e32 v121, v143, v125
	s_waitcnt vmcnt(31)
	v_mul_f32_e32 v125, v144, v123
	v_mul_f32_e32 v123, v145, v123
	v_fmac_f32_e32 v163, v143, v108
	v_fma_f32 v142, v142, v108, -v121
	s_waitcnt vmcnt(27)
	v_fmac_f32_e32 v125, v145, v133
	v_fma_f32 v143, v144, v133, -v123
	s_waitcnt vmcnt(26) lgkmcnt(1)
	v_mul_f32_e32 v144, v134, v130
	v_mul_f32_e32 v108, v135, v130
	s_waitcnt vmcnt(25)
	v_mul_f32_e32 v145, v136, v128
	v_mul_f32_e32 v121, v137, v128
	ds_read2_b64 v[128:131], v1 offset0:67 offset1:68
	v_fmac_f32_e32 v144, v135, v119
	v_fma_f32 v119, v134, v119, -v108
	ds_read2_b64 v[132:135], v1 offset0:69 offset1:70
	v_fmac_f32_e32 v145, v137, v113
	v_fma_f32 v136, v136, v113, -v121
	s_waitcnt vmcnt(24) lgkmcnt(2)
	v_mul_f32_e32 v137, v138, v117
	v_mul_f32_e32 v108, v139, v117
	s_waitcnt vmcnt(23)
	v_mul_f32_e32 v117, v140, v115
	v_mul_f32_e32 v113, v141, v115
	v_fmac_f32_e32 v137, v139, v4
	v_fma_f32 v138, v138, v4, -v108
	s_waitcnt vmcnt(19)
	v_fmac_f32_e32 v117, v141, v127
	v_fma_f32 v127, v140, v127, -v113
	s_waitcnt vmcnt(18) lgkmcnt(1)
	v_mul_f32_e32 v139, v128, v124
	v_mul_f32_e32 v4, v129, v124
	s_waitcnt vmcnt(17)
	v_mul_f32_e32 v140, v130, v122
	v_mul_f32_e32 v108, v131, v122
	ds_read2_b64 v[121:124], v1 offset0:71 offset1:72
	v_fmac_f32_e32 v139, v129, v112
	v_fma_f32 v128, v128, v112, -v4
	v_fmac_f32_e32 v140, v131, v109
	v_fma_f32 v129, v130, v109, -v108
	s_waitcnt vmcnt(15) lgkmcnt(1)
	v_mul_f32_e32 v131, v134, v110
	v_mul_f32_e32 v108, v135, v110
	;; [unrolled: 1-line block ×4, first 2 shown]
	s_waitcnt vmcnt(11)
	v_fmac_f32_e32 v131, v135, v120
	v_fma_f32 v120, v134, v120, -v108
	ds_read2_b64 v[108:111], v1 offset0:73 offset1:74
	v_fmac_f32_e32 v130, v133, v3
	v_fma_f32 v132, v132, v3, -v4
	s_waitcnt vmcnt(10) lgkmcnt(1)
	v_mul_f32_e32 v133, v121, v116
	v_mul_f32_e32 v3, v122, v116
	s_waitcnt vmcnt(9)
	v_mul_f32_e32 v116, v123, v114
	v_mul_f32_e32 v4, v124, v114
	ds_read2_b64 v[112:115], v1 offset0:75 offset1:76
	v_fmac_f32_e32 v133, v122, v8
	v_fma_f32 v8, v121, v8, -v3
	v_fmac_f32_e32 v116, v124, v5
	v_fma_f32 v121, v123, v5, -v4
	s_waitcnt vmcnt(8) lgkmcnt(1)
	v_mul_f32_e32 v122, v108, v7
	v_mul_f32_e32 v3, v109, v7
	s_waitcnt vmcnt(7)
	v_mul_f32_e32 v7, v110, v6
	v_mul_f32_e32 v4, v111, v6
	buffer_load_dword v6, off, s[0:3], 0 offset:220
	v_fmac_f32_e32 v122, v109, v2
	v_fma_f32 v123, v108, v2, -v3
	s_waitcnt vmcnt(4)
	v_fmac_f32_e32 v7, v111, v151
	v_fma_f32 v124, v110, v151, -v4
	buffer_load_dword v110, off, s[0:3], 0 offset:228
	ds_read2_b64 v[2:5], v1 offset0:77 offset1:78
	s_waitcnt vmcnt(4) lgkmcnt(1)
	v_mul_f32_e32 v134, v112, v152
	v_mul_f32_e32 v108, v113, v152
	s_waitcnt vmcnt(3)
	v_mul_f32_e32 v135, v114, v153
	v_mul_f32_e32 v109, v115, v153
	v_fmac_f32_e32 v134, v113, v150
	v_fma_f32 v112, v112, v150, -v108
	v_fmac_f32_e32 v135, v115, v149
	v_fma_f32 v113, v114, v149, -v109
	s_clause 0x4
	buffer_load_dword v114, off, s[0:3], 0 offset:248
	buffer_load_dword v115, off, s[0:3], 0 offset:240
	;; [unrolled: 1-line block ×5, first 2 shown]
	s_waitcnt vmcnt(6) lgkmcnt(0)
	v_mul_f32_e32 v150, v2, v6
	v_mul_f32_e32 v6, v3, v6
	v_fmac_f32_e32 v150, v3, v148
	v_fma_f32 v6, v2, v148, -v6
	s_waitcnt vmcnt(5)
	v_mul_f32_e32 v148, v4, v110
	v_mul_f32_e32 v2, v5, v110
	s_waitcnt vmcnt(1)
	v_fmac_f32_e32 v148, v5, v108
	v_fma_f32 v151, v4, v108, -v2
	ds_read2_b64 v[2:5], v1 offset0:79 offset1:80
	ds_read2_b64 v[108:111], v1 offset0:81 offset1:82
	s_waitcnt vmcnt(0) lgkmcnt(1)
	v_mul_f32_e32 v152, v2, v149
	v_mul_f32_e32 v149, v3, v149
	v_fmac_f32_e32 v152, v3, v141
	v_fma_f32 v141, v2, v141, -v149
	s_clause 0x1
	buffer_load_dword v2, off, s[0:3], 0 offset:244
	buffer_load_dword v3, off, s[0:3], 0 offset:252
	s_waitcnt vmcnt(1)
	v_mul_f32_e32 v149, v4, v2
	v_mul_f32_e32 v2, v5, v2
	v_fmac_f32_e32 v149, v5, v115
	v_fma_f32 v153, v4, v115, -v2
	v_add_f32_e32 v2, 0, v154
	buffer_load_dword v5, off, s[0:3], 0 offset:260
	v_add_f32_e32 v4, 0, v146
	v_add_f32_e32 v2, v2, v147
	;; [unrolled: 1-line block ×4, first 2 shown]
	s_clause 0x3
	buffer_load_dword v118, off, s[0:3], 0 offset:280
	buffer_load_dword v115, off, s[0:3], 0 offset:272
	;; [unrolled: 1-line block ×4, first 2 shown]
	v_add_f32_e32 v4, v4, v157
	s_clause 0x1
	buffer_load_dword v154, off, s[0:3], 0 offset:276
	buffer_load_dword v155, off, s[0:3], 0 offset:284
	v_add_f32_e32 v2, v2, v159
	s_waitcnt vmcnt(7) lgkmcnt(0)
	v_mul_f32_e32 v157, v108, v3
	v_add_f32_e32 v4, v4, v158
	v_mul_f32_e32 v3, v109, v3
	v_add_f32_e32 v2, v2, v126
	buffer_load_dword v126, off, s[0:3], 0 offset:268
	v_add_f32_e32 v4, v4, v160
	v_fma_f32 v158, v108, v114, -v3
	v_fmac_f32_e32 v157, v109, v114
	v_add_f32_e32 v2, v2, v162
	v_add_f32_e32 v4, v4, v161
	;; [unrolled: 1-line block ×3, first 2 shown]
	buffer_load_dword v142, off, s[0:3], 0 offset:292
	v_add_f32_e32 v4, v4, v163
	v_add_f32_e32 v2, v2, v143
	;; [unrolled: 1-line block ×3, first 2 shown]
	s_clause 0x5
	buffer_load_dword v143, off, s[0:3], 0 offset:312
	buffer_load_dword v159, off, s[0:3], 0 offset:304
	;; [unrolled: 1-line block ×6, first 2 shown]
	v_add_f32_e32 v2, v2, v119
	v_add_f32_e32 v3, v3, v144
	;; [unrolled: 1-line block ×4, first 2 shown]
	s_clause 0x1
	buffer_load_dword v136, off, s[0:3], 0 offset:308
	buffer_load_dword v145, off, s[0:3], 0 offset:316
	v_add_f32_e32 v2, v2, v138
	v_add_f32_e32 v3, v3, v137
	s_clause 0x6
	buffer_load_dword v137, off, s[0:3], 0 offset:332
	buffer_load_dword v138, off, s[0:3], 0 offset:340
	;; [unrolled: 1-line block ×7, first 2 shown]
	v_add_f32_e32 v2, v2, v127
	v_add_f32_e32 v3, v3, v117
	;; [unrolled: 1-line block ×4, first 2 shown]
	buffer_load_dword v128, off, s[0:3], 0 offset:388
	v_add_f32_e32 v2, v2, v129
	v_add_f32_e32 v3, v3, v140
	s_clause 0x3
	buffer_load_dword v129, off, s[0:3], 0 offset:344
	buffer_load_dword v139, off, s[0:3], 0 offset:336
	;; [unrolled: 1-line block ×4, first 2 shown]
	v_add_f32_e32 v2, v2, v132
	v_add_f32_e32 v3, v3, v130
	v_add_f32_e32 v2, v2, v120
	v_add_f32_e32 v3, v3, v131
	s_clause 0x3
	buffer_load_dword v130, off, s[0:3], 0 offset:376
	buffer_load_dword v131, off, s[0:3], 0 offset:368
	;; [unrolled: 1-line block ×4, first 2 shown]
	v_add_f32_e32 v2, v2, v8
	buffer_load_dword v8, off, s[0:3], 0 offset:384
	v_add_f32_e32 v3, v3, v133
	buffer_load_dword v133, off, s[0:3], 0 offset:32
	v_add_f32_e32 v2, v2, v121
	v_add_f32_e32 v3, v3, v116
	;; [unrolled: 1-line block ×20, first 2 shown]
	s_waitcnt vmcnt(34)
	v_mul_f32_e32 v144, v110, v5
	v_mul_f32_e32 v4, v111, v5
	s_waitcnt vmcnt(30)
	v_fmac_f32_e32 v144, v111, v147
	v_fma_f32 v147, v110, v147, -v4
	ds_read2_b64 v[2:5], v1 offset0:83 offset1:84
	ds_read2_b64 v[108:111], v1 offset0:85 offset1:86
	v_add_f32_e32 v7, v7, v144
	v_add_f32_e32 v6, v6, v147
	s_waitcnt vmcnt(27) lgkmcnt(1)
	v_mul_f32_e32 v134, v2, v126
	v_mul_f32_e32 v113, v3, v126
	;; [unrolled: 1-line block ×4, first 2 shown]
	s_waitcnt lgkmcnt(0)
	v_mul_f32_e32 v150, v108, v155
	v_fmac_f32_e32 v134, v3, v146
	v_fma_f32 v124, v2, v146, -v113
	v_fmac_f32_e32 v135, v5, v115
	v_fma_f32 v146, v4, v115, -v114
	ds_read2_b64 v[2:5], v1 offset0:87 offset1:88
	ds_read2_b64 v[112:115], v1 offset0:89 offset1:90
	v_mul_f32_e32 v116, v109, v155
	s_waitcnt vmcnt(26)
	v_mul_f32_e32 v141, v110, v142
	v_mul_f32_e32 v117, v111, v142
	v_fmac_f32_e32 v150, v109, v118
	v_fma_f32 v142, v108, v118, -v116
	s_waitcnt vmcnt(22)
	v_fmac_f32_e32 v141, v111, v160
	v_fma_f32 v148, v110, v160, -v117
	ds_read2_b64 v[108:111], v1 offset0:91 offset1:92
	ds_read2_b64 v[116:119], v1 offset0:93 offset1:94
	;; [unrolled: 1-line block ×3, first 2 shown]
	s_waitcnt vmcnt(21) lgkmcnt(4)
	v_mul_f32_e32 v149, v2, v161
	v_mul_f32_e32 v126, v3, v161
	v_fmac_f32_e32 v149, v3, v125
	v_add_f32_e32 v3, v6, v124
	v_fma_f32 v2, v2, v125, -v126
	ds_read2_b64 v[124:127], v1 offset0:97 offset1:98
	v_add_f32_e32 v1, v7, v134
	s_waitcnt vmcnt(19)
	v_mul_f32_e32 v7, v5, v136
	v_add_f32_e32 v3, v3, v146
	v_mul_f32_e32 v6, v4, v136
	s_waitcnt vmcnt(18) lgkmcnt(4)
	v_mul_f32_e32 v136, v113, v145
	v_add_f32_e32 v1, v1, v135
	v_fma_f32 v4, v4, v159, -v7
	v_add_f32_e32 v3, v3, v142
	v_mul_f32_e32 v134, v112, v145
	v_fmac_f32_e32 v6, v5, v159
	v_add_f32_e32 v1, v1, v150
	v_fma_f32 v112, v112, v143, -v136
	v_add_f32_e32 v3, v3, v148
	v_mul_f32_e32 v135, v114, v162
	v_fmac_f32_e32 v134, v113, v143
	v_add_f32_e32 v1, v1, v141
	v_mul_f32_e32 v141, v115, v162
	v_add_f32_e32 v2, v3, v2
	s_waitcnt vmcnt(17) lgkmcnt(3)
	v_mul_f32_e32 v5, v108, v137
	s_waitcnt vmcnt(6)
	v_fmac_f32_e32 v135, v115, v168
	v_add_f32_e32 v1, v1, v149
	v_mul_f32_e32 v7, v110, v138
	v_add_f32_e32 v2, v2, v4
	v_mul_f32_e32 v4, v109, v137
	v_fmac_f32_e32 v5, v109, v140
	v_add_f32_e32 v1, v1, v6
	v_fma_f32 v6, v114, v168, -v141
	v_add_f32_e32 v2, v2, v112
	v_mul_f32_e32 v112, v111, v138
	v_fma_f32 v4, v108, v140, -v4
	v_add_f32_e32 v1, v1, v134
	s_waitcnt lgkmcnt(2)
	v_mul_f32_e32 v142, v116, v163
	v_add_f32_e32 v2, v2, v6
	v_mul_f32_e32 v6, v117, v163
	v_fma_f32 v108, v110, v139, -v112
	v_add_f32_e32 v1, v1, v135
	v_fmac_f32_e32 v7, v111, v139
	v_add_f32_e32 v2, v2, v4
	v_mul_f32_e32 v4, v119, v164
	v_mul_f32_e32 v144, v118, v164
	v_add_f32_e32 v1, v1, v5
	v_fma_f32 v5, v116, v129, -v6
	v_add_f32_e32 v2, v2, v108
	v_fmac_f32_e32 v142, v117, v129
	s_waitcnt lgkmcnt(1)
	v_mul_f32_e32 v6, v121, v165
	v_add_f32_e32 v1, v1, v7
	s_waitcnt vmcnt(2)
	v_fma_f32 v4, v118, v169, -v4
	v_add_f32_e32 v2, v2, v5
	v_mul_f32_e32 v145, v120, v165
	v_fmac_f32_e32 v144, v119, v169
	v_add_f32_e32 v1, v1, v142
	v_mul_f32_e32 v5, v123, v166
	v_fma_f32 v6, v120, v132, -v6
	v_add_f32_e32 v2, v2, v4
	v_mul_f32_e32 v146, v122, v166
	v_fmac_f32_e32 v145, v121, v132
	v_add_f32_e32 v1, v1, v144
	s_waitcnt lgkmcnt(0)
	v_mul_f32_e32 v4, v125, v167
	v_fma_f32 v5, v122, v131, -v5
	v_add_f32_e32 v2, v2, v6
	v_mul_f32_e32 v147, v124, v167
	v_fmac_f32_e32 v146, v123, v131
	v_add_f32_e32 v1, v1, v145
	v_mul_f32_e32 v6, v127, v128
	v_fma_f32 v4, v124, v130, -v4
	v_add_f32_e32 v2, v2, v5
	v_mul_f32_e32 v3, v126, v128
	v_fmac_f32_e32 v147, v125, v130
	v_add_f32_e32 v1, v1, v146
	s_waitcnt vmcnt(1)
	v_fma_f32 v5, v126, v8, -v6
	v_add_f32_e32 v2, v2, v4
	v_fmac_f32_e32 v3, v127, v8
	v_add_f32_e32 v1, v1, v147
	v_add_f32_e32 v2, v2, v5
	;; [unrolled: 1-line block ×3, first 2 shown]
	s_waitcnt vmcnt(0)
	v_sub_f32_e32 v2, v133, v2
	v_sub_f32_e32 v1, v156, v1
	buffer_store_dword v2, off, s[0:3], 0 offset:32
	buffer_store_dword v1, off, s[0:3], 0 offset:36
	v_cmpx_lt_u32_e32 3, v0
	s_cbranch_execz .LBB48_301
; %bb.300:
	s_clause 0x1
	buffer_load_dword v1, off, s[0:3], 0 offset:24
	buffer_load_dword v2, off, s[0:3], 0 offset:28
	v_mov_b32_e32 v3, 0
	buffer_store_dword v3, off, s[0:3], 0 offset:24
	buffer_store_dword v3, off, s[0:3], 0 offset:28
	s_waitcnt vmcnt(0)
	ds_write_b64 v107, v[1:2]
.LBB48_301:
	s_or_b32 exec_lo, exec_lo, s4
	s_waitcnt lgkmcnt(0)
	s_waitcnt_vscnt null, 0x0
	s_barrier
	buffer_gl0_inv
	s_clause 0x2c
	buffer_load_dword v146, off, s[0:3], 0 offset:36
	buffer_load_dword v147, off, s[0:3], 0 offset:44
	;; [unrolled: 1-line block ×45, first 2 shown]
	v_mov_b32_e32 v1, 0
	ds_read_b128 v[138:141], v1 offset:432
	ds_read_b128 v[142:145], v1 offset:448
	buffer_load_dword v156, off, s[0:3], 0 offset:28
	s_mov_b32 s4, exec_lo
	s_waitcnt vmcnt(45) lgkmcnt(1)
	v_mul_f32_e32 v154, v139, v146
	v_mul_f32_e32 v146, v138, v146
	s_waitcnt vmcnt(44)
	v_mul_f32_e32 v155, v140, v147
	v_mul_f32_e32 v147, v141, v147
	s_waitcnt vmcnt(41)
	v_fma_f32 v154, v138, v135, -v154
	v_fmac_f32_e32 v146, v139, v135
	v_fmac_f32_e32 v155, v141, v131
	v_fma_f32 v147, v140, v131, -v147
	ds_read_b128 v[138:141], v1 offset:464
	s_waitcnt vmcnt(40) lgkmcnt(1)
	v_mul_f32_e32 v157, v142, v130
	v_mul_f32_e32 v130, v143, v130
	s_waitcnt vmcnt(39)
	v_mul_f32_e32 v158, v144, v128
	v_mul_f32_e32 v128, v145, v128
	v_fmac_f32_e32 v157, v143, v117
	v_fma_f32 v117, v142, v117, -v130
	s_waitcnt vmcnt(35)
	v_fmac_f32_e32 v158, v145, v136
	v_fma_f32 v159, v144, v136, -v128
	ds_read_b128 v[142:145], v1 offset:480
	s_waitcnt vmcnt(34) lgkmcnt(1)
	v_mul_f32_e32 v160, v138, v134
	v_mul_f32_e32 v128, v139, v134
	s_waitcnt vmcnt(33)
	v_mul_f32_e32 v161, v140, v133
	v_mul_f32_e32 v130, v141, v133
	ds_read_b128 v[133:136], v1 offset:496
	v_fmac_f32_e32 v160, v139, v125
	v_fma_f32 v125, v138, v125, -v128
	v_fmac_f32_e32 v161, v141, v120
	v_fma_f32 v162, v140, v120, -v130
	ds_read_b128 v[138:141], v1 offset:512
	s_waitcnt vmcnt(32) lgkmcnt(2)
	v_mul_f32_e32 v163, v142, v124
	v_mul_f32_e32 v120, v143, v124
	s_waitcnt vmcnt(31)
	v_mul_f32_e32 v124, v144, v122
	v_mul_f32_e32 v122, v145, v122
	v_fmac_f32_e32 v163, v143, v8
	v_fma_f32 v8, v142, v8, -v120
	s_waitcnt vmcnt(27)
	v_fmac_f32_e32 v124, v145, v132
	v_fma_f32 v142, v144, v132, -v122
	buffer_load_dword v145, off, s[0:3], 0 offset:220
	s_waitcnt vmcnt(27) lgkmcnt(1)
	v_mul_f32_e32 v143, v133, v129
	v_mul_f32_e32 v120, v134, v129
	s_waitcnt vmcnt(26)
	v_mul_f32_e32 v144, v135, v127
	v_mul_f32_e32 v122, v136, v127
	ds_read_b128 v[127:130], v1 offset:528
	v_fmac_f32_e32 v143, v134, v118
	v_fma_f32 v118, v133, v118, -v120
	v_fmac_f32_e32 v144, v136, v112
	v_fma_f32 v135, v135, v112, -v122
	s_waitcnt vmcnt(25) lgkmcnt(1)
	v_mul_f32_e32 v136, v138, v116
	v_mul_f32_e32 v112, v139, v116
	s_waitcnt vmcnt(24)
	v_mul_f32_e32 v116, v140, v114
	v_mul_f32_e32 v114, v141, v114
	ds_read_b128 v[131:134], v1 offset:544
	v_fmac_f32_e32 v136, v139, v4
	v_fma_f32 v138, v138, v4, -v112
	s_waitcnt vmcnt(20)
	v_fmac_f32_e32 v116, v141, v126
	v_fma_f32 v126, v140, v126, -v114
	s_waitcnt vmcnt(19) lgkmcnt(1)
	v_mul_f32_e32 v139, v127, v123
	v_mul_f32_e32 v4, v128, v123
	s_waitcnt vmcnt(18)
	v_mul_f32_e32 v140, v129, v121
	v_mul_f32_e32 v112, v130, v121
	ds_read_b128 v[120:123], v1 offset:560
	v_fmac_f32_e32 v139, v128, v111
	v_fma_f32 v127, v127, v111, -v4
	v_fmac_f32_e32 v140, v130, v108
	v_fma_f32 v128, v129, v108, -v112
	s_waitcnt vmcnt(17) lgkmcnt(1)
	v_mul_f32_e32 v129, v131, v110
	s_waitcnt vmcnt(16)
	v_mul_f32_e32 v130, v133, v109
	v_mul_f32_e32 v108, v134, v109
	;; [unrolled: 1-line block ×3, first 2 shown]
	v_fmac_f32_e32 v129, v132, v3
	s_waitcnt vmcnt(12)
	v_fmac_f32_e32 v130, v134, v119
	v_fma_f32 v119, v133, v119, -v108
	ds_read_b128 v[108:111], v1 offset:576
	v_fma_f32 v131, v131, v3, -v4
	s_waitcnt vmcnt(11) lgkmcnt(1)
	v_mul_f32_e32 v132, v120, v115
	v_mul_f32_e32 v3, v121, v115
	s_waitcnt vmcnt(10)
	v_mul_f32_e32 v133, v122, v113
	v_mul_f32_e32 v4, v123, v113
	ds_read_b128 v[112:115], v1 offset:592
	v_fmac_f32_e32 v132, v121, v7
	buffer_load_dword v121, off, s[0:3], 0 offset:212
	v_fma_f32 v7, v120, v7, -v3
	v_fma_f32 v120, v122, v5, -v4
	v_fmac_f32_e32 v133, v123, v5
	s_waitcnt vmcnt(10) lgkmcnt(1)
	v_mul_f32_e32 v122, v108, v6
	v_mul_f32_e32 v3, v109, v6
	s_waitcnt vmcnt(9)
	v_mul_f32_e32 v4, v111, v137
	v_mul_f32_e32 v6, v110, v137
	v_fmac_f32_e32 v122, v109, v2
	v_fma_f32 v123, v108, v2, -v3
	s_waitcnt vmcnt(5)
	v_fma_f32 v134, v110, v151, -v4
	ds_read_b128 v[2:5], v1 offset:608
	v_fmac_f32_e32 v6, v111, v151
	s_waitcnt vmcnt(4) lgkmcnt(1)
	v_mul_f32_e32 v137, v112, v152
	v_mul_f32_e32 v108, v113, v152
	s_waitcnt vmcnt(3)
	v_mul_f32_e32 v141, v114, v153
	v_mul_f32_e32 v109, v115, v153
	v_fmac_f32_e32 v137, v113, v150
	v_fma_f32 v112, v112, v150, -v108
	v_fmac_f32_e32 v141, v115, v149
	v_fma_f32 v113, v114, v149, -v109
	s_clause 0x5
	buffer_load_dword v114, off, s[0:3], 0 offset:240
	buffer_load_dword v115, off, s[0:3], 0 offset:232
	buffer_load_dword v149, off, s[0:3], 0 offset:224
	buffer_load_dword v150, off, s[0:3], 0 offset:216
	buffer_load_dword v151, off, s[0:3], 0 offset:228
	buffer_load_dword v152, off, s[0:3], 0 offset:236
	v_add_f32_e32 v108, 0, v154
	v_add_f32_e32 v109, 0, v146
	buffer_load_dword v146, off, s[0:3], 0 offset:244
	v_add_f32_e32 v108, v108, v147
	buffer_load_dword v147, off, s[0:3], 0 offset:252
	v_add_f32_e32 v109, v109, v155
	v_add_f32_e32 v108, v108, v117
	s_clause 0x3
	buffer_load_dword v117, off, s[0:3], 0 offset:272
	buffer_load_dword v153, off, s[0:3], 0 offset:264
	;; [unrolled: 1-line block ×4, first 2 shown]
	v_add_f32_e32 v109, v109, v157
	v_add_f32_e32 v108, v108, v159
	;; [unrolled: 1-line block ×4, first 2 shown]
	buffer_load_dword v125, off, s[0:3], 0 offset:260
	v_add_f32_e32 v109, v109, v160
	v_add_f32_e32 v108, v108, v162
	s_waitcnt vmcnt(13) lgkmcnt(0)
	v_mul_f32_e32 v157, v2, v121
	v_mul_f32_e32 v110, v3, v121
	v_fmac_f32_e32 v157, v3, v148
	v_fma_f32 v121, v2, v148, -v110
	v_add_f32_e32 v2, v109, v161
	v_add_f32_e32 v3, v108, v8
	ds_read_b128 v[108:111], v1 offset:624
	buffer_load_dword v8, off, s[0:3], 0 offset:268
	v_add_f32_e32 v2, v2, v163
	v_add_f32_e32 v3, v3, v142
	v_mul_f32_e32 v142, v4, v145
	v_mul_f32_e32 v145, v5, v145
	v_add_f32_e32 v2, v2, v124
	v_add_f32_e32 v3, v3, v118
	s_clause 0x1
	buffer_load_dword v124, off, s[0:3], 0 offset:276
	buffer_load_dword v118, off, s[0:3], 0 offset:284
	v_add_f32_e32 v143, v2, v143
	v_add_f32_e32 v135, v3, v135
	s_waitcnt vmcnt(12)
	v_fmac_f32_e32 v142, v5, v150
	v_fma_f32 v145, v4, v150, -v145
	ds_read_b128 v[2:5], v1 offset:640
	v_add_f32_e32 v143, v143, v144
	s_waitcnt vmcnt(11) lgkmcnt(1)
	v_mul_f32_e32 v148, v108, v151
	v_mul_f32_e32 v150, v109, v151
	v_add_f32_e32 v135, v135, v138
	s_clause 0x3
	buffer_load_dword v138, off, s[0:3], 0 offset:304
	buffer_load_dword v144, off, s[0:3], 0 offset:296
	;; [unrolled: 1-line block ×4, first 2 shown]
	v_fmac_f32_e32 v148, v109, v149
	v_fma_f32 v149, v108, v149, -v150
	v_add_f32_e32 v108, v143, v136
	v_add_f32_e32 v109, v135, v126
	s_waitcnt vmcnt(14)
	v_mul_f32_e32 v126, v110, v152
	v_mul_f32_e32 v135, v111, v152
	s_clause 0x1
	buffer_load_dword v136, off, s[0:3], 0 offset:292
	buffer_load_dword v143, off, s[0:3], 0 offset:300
	v_add_f32_e32 v108, v108, v116
	v_add_f32_e32 v109, v109, v127
	v_fmac_f32_e32 v126, v111, v115
	v_fma_f32 v116, v110, v115, -v135
	buffer_load_dword v150, off, s[0:3], 0 offset:308
	v_add_f32_e32 v115, v108, v139
	v_add_f32_e32 v128, v109, v128
	s_clause 0x3
	buffer_load_dword v127, off, s[0:3], 0 offset:316
	buffer_load_dword v135, off, s[0:3], 0 offset:324
	;; [unrolled: 1-line block ×4, first 2 shown]
	ds_read_b128 v[108:111], v1 offset:656
	v_add_f32_e32 v115, v115, v140
	s_waitcnt vmcnt(20) lgkmcnt(1)
	v_mul_f32_e32 v140, v2, v146
	v_mul_f32_e32 v146, v3, v146
	v_add_f32_e32 v128, v128, v131
	s_waitcnt vmcnt(19)
	v_mul_f32_e32 v131, v4, v147
	v_add_f32_e32 v115, v115, v129
	v_mul_f32_e32 v129, v5, v147
	v_fmac_f32_e32 v140, v3, v114
	v_fma_f32 v146, v2, v114, -v146
	v_add_f32_e32 v2, v128, v119
	v_add_f32_e32 v3, v115, v130
	s_clause 0x3
	buffer_load_dword v128, off, s[0:3], 0 offset:348
	buffer_load_dword v130, off, s[0:3], 0 offset:356
	;; [unrolled: 1-line block ×4, first 2 shown]
	s_waitcnt vmcnt(19)
	v_fmac_f32_e32 v131, v5, v155
	v_fma_f32 v129, v4, v155, -v129
	buffer_load_dword v155, off, s[0:3], 0 offset:380
	v_add_f32_e32 v3, v3, v132
	s_clause 0x4
	buffer_load_dword v132, off, s[0:3], 0 offset:336
	buffer_load_dword v160, off, s[0:3], 0 offset:328
	;; [unrolled: 1-line block ×5, first 2 shown]
	v_add_f32_e32 v2, v2, v7
	s_waitcnt vmcnt(24) lgkmcnt(0)
	v_mul_f32_e32 v115, v109, v125
	v_add_f32_e32 v7, v3, v133
	v_mul_f32_e32 v133, v108, v125
	v_add_f32_e32 v2, v2, v120
	v_fma_f32 v120, v108, v154, -v115
	v_add_f32_e32 v7, v7, v122
	v_fmac_f32_e32 v133, v109, v154
	v_add_f32_e32 v114, v2, v123
	ds_read_b128 v[2:5], v1 offset:672
	v_add_f32_e32 v6, v7, v6
	v_add_f32_e32 v114, v114, v134
	s_clause 0x3
	buffer_load_dword v125, off, s[0:3], 0 offset:368
	buffer_load_dword v134, off, s[0:3], 0 offset:360
	;; [unrolled: 1-line block ×4, first 2 shown]
	v_add_f32_e32 v6, v6, v137
	s_clause 0x1
	buffer_load_dword v137, off, s[0:3], 0 offset:384
	buffer_load_dword v165, off, s[0:3], 0 offset:376
	v_add_f32_e32 v7, v114, v112
	v_add_f32_e32 v6, v6, v141
	buffer_load_dword v141, off, s[0:3], 0 offset:24
	v_add_f32_e32 v7, v7, v113
	ds_read_b128 v[112:115], v1 offset:704
	v_add_f32_e32 v6, v6, v157
	v_add_f32_e32 v7, v7, v121
	v_add_f32_e32 v6, v6, v142
	v_add_f32_e32 v7, v7, v145
	v_add_f32_e32 v6, v6, v148
	v_add_f32_e32 v7, v7, v149
	v_add_f32_e32 v6, v6, v126
	v_add_f32_e32 v7, v7, v116
	v_add_f32_e32 v6, v6, v140
	v_add_f32_e32 v7, v7, v146
	v_add_f32_e32 v6, v6, v131
	v_add_f32_e32 v7, v7, v129
	v_add_f32_e32 v131, v6, v133
	v_add_f32_e32 v7, v7, v120
	s_waitcnt vmcnt(30)
	v_mul_f32_e32 v166, v110, v8
	v_mul_f32_e32 v8, v111, v8
	v_fmac_f32_e32 v166, v111, v153
	v_fma_f32 v8, v110, v153, -v8
	ds_read_b128 v[108:111], v1 offset:688
	s_waitcnt vmcnt(29) lgkmcnt(2)
	v_mul_f32_e32 v119, v3, v124
	v_mul_f32_e32 v142, v2, v124
	s_waitcnt vmcnt(28)
	v_mul_f32_e32 v124, v4, v118
	v_mul_f32_e32 v118, v5, v118
	v_add_f32_e32 v8, v7, v8
	v_fma_f32 v145, v2, v117, -v119
	v_fmac_f32_e32 v142, v3, v117
	v_add_f32_e32 v131, v131, v166
	v_add_f32_e32 v8, v8, v145
	;; [unrolled: 1-line block ×3, first 2 shown]
	s_waitcnt vmcnt(24)
	v_fma_f32 v148, v4, v158, -v118
	v_fmac_f32_e32 v124, v5, v158
	ds_read_b128 v[2:5], v1 offset:720
	ds_read_b128 v[116:119], v1 offset:736
	ds_read_b64 v[6:7], v1 offset:784
	v_add_f32_e32 v8, v8, v148
	v_add_f32_e32 v124, v131, v124
	s_waitcnt vmcnt(23) lgkmcnt(3)
	v_mul_f32_e32 v121, v109, v136
	v_mul_f32_e32 v126, v108, v136
	s_waitcnt vmcnt(22)
	v_mul_f32_e32 v136, v110, v143
	v_mul_f32_e32 v129, v111, v143
	v_fma_f32 v140, v108, v151, -v121
	v_fmac_f32_e32 v126, v109, v151
	v_fmac_f32_e32 v136, v111, v144
	v_fma_f32 v129, v110, v144, -v129
	s_waitcnt vmcnt(21)
	v_mul_f32_e32 v144, v113, v150
	v_add_f32_e32 v8, v8, v140
	v_mul_f32_e32 v133, v112, v150
	v_add_f32_e32 v124, v124, v126
	s_waitcnt vmcnt(20)
	v_mul_f32_e32 v143, v114, v127
	v_mul_f32_e32 v127, v115, v127
	v_fma_f32 v112, v112, v138, -v144
	v_add_f32_e32 v8, v8, v129
	v_fmac_f32_e32 v133, v113, v138
	v_add_f32_e32 v124, v124, v136
	ds_read_b128 v[120:123], v1 offset:752
	ds_read_b128 v[108:111], v1 offset:768
	s_waitcnt vmcnt(19) lgkmcnt(4)
	v_mul_f32_e32 v142, v2, v135
	v_mul_f32_e32 v135, v3, v135
	v_add_f32_e32 v8, v8, v112
	v_add_f32_e32 v112, v124, v133
	s_waitcnt vmcnt(18)
	v_mul_f32_e32 v145, v4, v139
	s_waitcnt vmcnt(9)
	v_fmac_f32_e32 v142, v3, v161
	s_waitcnt vmcnt(8)
	v_fma_f32 v114, v114, v162, -v127
	v_fmac_f32_e32 v143, v115, v162
	v_mul_f32_e32 v115, v5, v139
	v_fma_f32 v2, v2, v161, -v135
	s_waitcnt lgkmcnt(3)
	v_mul_f32_e32 v146, v116, v152
	v_add_f32_e32 v3, v8, v114
	v_add_f32_e32 v8, v112, v143
	v_mul_f32_e32 v112, v117, v152
	v_fma_f32 v4, v4, v160, -v115
	v_fmac_f32_e32 v145, v5, v160
	v_add_f32_e32 v2, v3, v2
	v_add_f32_e32 v3, v8, v142
	v_mul_f32_e32 v5, v119, v128
	v_fma_f32 v8, v116, v132, -v112
	v_mul_f32_e32 v131, v118, v128
	v_add_f32_e32 v2, v2, v4
	v_fmac_f32_e32 v146, v117, v132
	v_add_f32_e32 v3, v3, v145
	s_waitcnt lgkmcnt(1)
	v_mul_f32_e32 v4, v121, v130
	s_waitcnt vmcnt(3)
	v_fma_f32 v5, v118, v164, -v5
	v_add_f32_e32 v2, v2, v8
	v_mul_f32_e32 v140, v120, v130
	v_fmac_f32_e32 v131, v119, v164
	v_add_f32_e32 v3, v3, v146
	v_mul_f32_e32 v8, v123, v147
	v_fma_f32 v4, v120, v154, -v4
	v_add_f32_e32 v2, v2, v5
	v_mul_f32_e32 v113, v122, v147
	v_fmac_f32_e32 v140, v121, v154
	v_add_f32_e32 v3, v3, v131
	s_waitcnt lgkmcnt(0)
	v_mul_f32_e32 v5, v109, v159
	v_fma_f32 v8, v122, v134, -v8
	v_add_f32_e32 v2, v2, v4
	v_mul_f32_e32 v126, v108, v159
	v_fmac_f32_e32 v113, v123, v134
	v_add_f32_e32 v3, v3, v140
	v_mul_f32_e32 v4, v111, v155
	v_fma_f32 v5, v108, v125, -v5
	v_add_f32_e32 v2, v2, v8
	v_mul_f32_e32 v129, v110, v155
	v_fmac_f32_e32 v126, v109, v125
	v_add_f32_e32 v3, v3, v113
	v_mul_f32_e32 v8, v7, v163
	s_waitcnt vmcnt(1)
	v_fma_f32 v4, v110, v165, -v4
	v_add_f32_e32 v2, v2, v5
	v_mul_f32_e32 v136, v6, v163
	v_fmac_f32_e32 v129, v111, v165
	v_add_f32_e32 v3, v3, v126
	v_fma_f32 v5, v6, v137, -v8
	v_add_f32_e32 v2, v2, v4
	v_fmac_f32_e32 v136, v7, v137
	v_add_f32_e32 v3, v3, v129
	v_add_f32_e32 v2, v2, v5
	v_add_f32_e32 v3, v3, v136
	s_waitcnt vmcnt(0)
	v_sub_f32_e32 v2, v141, v2
	v_sub_f32_e32 v3, v156, v3
	buffer_store_dword v2, off, s[0:3], 0 offset:24
	buffer_store_dword v3, off, s[0:3], 0 offset:28
	v_cmpx_lt_u32_e32 2, v0
	s_cbranch_execz .LBB48_303
; %bb.302:
	s_clause 0x1
	buffer_load_dword v2, off, s[0:3], 0 offset:16
	buffer_load_dword v3, off, s[0:3], 0 offset:20
	buffer_store_dword v1, off, s[0:3], 0 offset:16
	buffer_store_dword v1, off, s[0:3], 0 offset:20
	s_waitcnt vmcnt(0)
	ds_write_b64 v107, v[2:3]
.LBB48_303:
	s_or_b32 exec_lo, exec_lo, s4
	s_waitcnt lgkmcnt(0)
	s_waitcnt_vscnt null, 0x0
	s_barrier
	buffer_gl0_inv
	s_clause 0x2c
	buffer_load_dword v146, off, s[0:3], 0 offset:28
	buffer_load_dword v147, off, s[0:3], 0 offset:36
	;; [unrolled: 1-line block ×45, first 2 shown]
	ds_read2_b64 v[138:141], v1 offset0:53 offset1:54
	ds_read2_b64 v[142:145], v1 offset0:55 offset1:56
	buffer_load_dword v156, off, s[0:3], 0 offset:20
	s_mov_b32 s4, exec_lo
	s_waitcnt vmcnt(45) lgkmcnt(1)
	v_mul_f32_e32 v154, v139, v146
	v_mul_f32_e32 v146, v138, v146
	s_waitcnt vmcnt(44)
	v_mul_f32_e32 v155, v140, v147
	v_mul_f32_e32 v147, v141, v147
	s_waitcnt vmcnt(41)
	v_fma_f32 v154, v138, v136, -v154
	v_fmac_f32_e32 v146, v139, v136
	v_fmac_f32_e32 v155, v141, v132
	v_fma_f32 v147, v140, v132, -v147
	ds_read2_b64 v[138:141], v1 offset0:57 offset1:58
	s_waitcnt vmcnt(40) lgkmcnt(1)
	v_mul_f32_e32 v157, v142, v131
	v_mul_f32_e32 v131, v143, v131
	s_waitcnt vmcnt(39)
	v_mul_f32_e32 v158, v144, v129
	v_mul_f32_e32 v129, v145, v129
	v_fmac_f32_e32 v157, v143, v118
	v_fma_f32 v118, v142, v118, -v131
	s_waitcnt vmcnt(35)
	v_fmac_f32_e32 v158, v145, v137
	v_fma_f32 v159, v144, v137, -v129
	ds_read2_b64 v[142:145], v1 offset0:59 offset1:60
	s_waitcnt vmcnt(34) lgkmcnt(1)
	v_mul_f32_e32 v160, v138, v135
	v_mul_f32_e32 v129, v139, v135
	s_waitcnt vmcnt(33)
	v_mul_f32_e32 v161, v140, v134
	v_mul_f32_e32 v131, v141, v134
	ds_read2_b64 v[134:137], v1 offset0:61 offset1:62
	v_fmac_f32_e32 v160, v139, v126
	v_fma_f32 v126, v138, v126, -v129
	v_fmac_f32_e32 v161, v141, v121
	v_fma_f32 v162, v140, v121, -v131
	ds_read2_b64 v[138:141], v1 offset0:63 offset1:64
	s_waitcnt vmcnt(32) lgkmcnt(2)
	v_mul_f32_e32 v163, v142, v125
	v_mul_f32_e32 v121, v143, v125
	s_waitcnt vmcnt(31)
	v_mul_f32_e32 v125, v144, v123
	v_mul_f32_e32 v123, v145, v123
	v_fmac_f32_e32 v163, v143, v108
	v_fma_f32 v142, v142, v108, -v121
	s_waitcnt vmcnt(27)
	v_fmac_f32_e32 v125, v145, v133
	v_fma_f32 v143, v144, v133, -v123
	s_waitcnt vmcnt(26) lgkmcnt(1)
	v_mul_f32_e32 v144, v134, v130
	v_mul_f32_e32 v108, v135, v130
	s_waitcnt vmcnt(25)
	v_mul_f32_e32 v145, v136, v128
	v_mul_f32_e32 v121, v137, v128
	ds_read2_b64 v[128:131], v1 offset0:65 offset1:66
	v_fmac_f32_e32 v144, v135, v119
	v_fma_f32 v119, v134, v119, -v108
	ds_read2_b64 v[132:135], v1 offset0:67 offset1:68
	v_fmac_f32_e32 v145, v137, v113
	v_fma_f32 v136, v136, v113, -v121
	s_waitcnt vmcnt(24) lgkmcnt(2)
	v_mul_f32_e32 v137, v138, v117
	v_mul_f32_e32 v108, v139, v117
	s_waitcnt vmcnt(23)
	v_mul_f32_e32 v117, v140, v115
	v_mul_f32_e32 v113, v141, v115
	v_fmac_f32_e32 v137, v139, v4
	v_fma_f32 v138, v138, v4, -v108
	s_waitcnt vmcnt(19)
	v_fmac_f32_e32 v117, v141, v127
	v_fma_f32 v127, v140, v127, -v113
	s_waitcnt vmcnt(18) lgkmcnt(1)
	v_mul_f32_e32 v139, v128, v124
	s_waitcnt vmcnt(17)
	v_mul_f32_e32 v140, v130, v122
	v_mul_f32_e32 v108, v131, v122
	;; [unrolled: 1-line block ×3, first 2 shown]
	ds_read2_b64 v[121:124], v1 offset0:69 offset1:70
	v_fmac_f32_e32 v139, v129, v112
	v_fmac_f32_e32 v140, v131, v109
	v_fma_f32 v129, v130, v109, -v108
	s_waitcnt vmcnt(15) lgkmcnt(1)
	v_mul_f32_e32 v131, v134, v110
	v_mul_f32_e32 v108, v135, v110
	v_fma_f32 v128, v128, v112, -v4
	v_mul_f32_e32 v130, v132, v111
	v_mul_f32_e32 v4, v133, v111
	s_waitcnt vmcnt(11)
	v_fmac_f32_e32 v131, v135, v120
	v_fma_f32 v120, v134, v120, -v108
	ds_read2_b64 v[108:111], v1 offset0:71 offset1:72
	v_fmac_f32_e32 v130, v133, v3
	v_fma_f32 v132, v132, v3, -v4
	s_waitcnt vmcnt(10) lgkmcnt(1)
	v_mul_f32_e32 v133, v121, v116
	v_mul_f32_e32 v3, v122, v116
	s_waitcnt vmcnt(9)
	v_mul_f32_e32 v4, v124, v114
	v_mul_f32_e32 v116, v123, v114
	ds_read2_b64 v[112:115], v1 offset0:73 offset1:74
	v_fmac_f32_e32 v133, v122, v8
	v_fma_f32 v8, v121, v8, -v3
	v_fma_f32 v121, v123, v5, -v4
	v_fmac_f32_e32 v116, v124, v5
	s_waitcnt vmcnt(8) lgkmcnt(1)
	v_mul_f32_e32 v122, v108, v7
	v_mul_f32_e32 v3, v109, v7
	s_waitcnt vmcnt(7)
	v_mul_f32_e32 v7, v110, v6
	v_mul_f32_e32 v4, v111, v6
	buffer_load_dword v6, off, s[0:3], 0 offset:204
	v_fmac_f32_e32 v122, v109, v2
	v_fma_f32 v123, v108, v2, -v3
	s_waitcnt vmcnt(4)
	v_fmac_f32_e32 v7, v111, v151
	v_fma_f32 v124, v110, v151, -v4
	buffer_load_dword v110, off, s[0:3], 0 offset:212
	ds_read2_b64 v[2:5], v1 offset0:75 offset1:76
	s_waitcnt vmcnt(4) lgkmcnt(1)
	v_mul_f32_e32 v134, v112, v152
	v_mul_f32_e32 v108, v113, v152
	s_waitcnt vmcnt(3)
	v_mul_f32_e32 v135, v114, v153
	v_mul_f32_e32 v109, v115, v153
	v_fmac_f32_e32 v134, v113, v150
	v_fma_f32 v112, v112, v150, -v108
	v_fmac_f32_e32 v135, v115, v149
	v_fma_f32 v113, v114, v149, -v109
	s_clause 0x5
	buffer_load_dword v114, off, s[0:3], 0 offset:232
	buffer_load_dword v115, off, s[0:3], 0 offset:224
	;; [unrolled: 1-line block ×6, first 2 shown]
	v_add_f32_e32 v108, 0, v154
	v_add_f32_e32 v109, 0, v146
	;; [unrolled: 1-line block ×3, first 2 shown]
	buffer_load_dword v147, off, s[0:3], 0 offset:236
	v_add_f32_e32 v109, v109, v155
	v_add_f32_e32 v108, v108, v118
	s_clause 0x4
	buffer_load_dword v118, off, s[0:3], 0 offset:244
	buffer_load_dword v146, off, s[0:3], 0 offset:264
	;; [unrolled: 1-line block ×5, first 2 shown]
	v_add_f32_e32 v109, v109, v157
	v_add_f32_e32 v108, v108, v159
	;; [unrolled: 1-line block ×4, first 2 shown]
	s_clause 0x2
	buffer_load_dword v126, off, s[0:3], 0 offset:252
	buffer_load_dword v155, off, s[0:3], 0 offset:260
	;; [unrolled: 1-line block ×3, first 2 shown]
	v_add_f32_e32 v109, v109, v160
	v_add_f32_e32 v108, v108, v162
	;; [unrolled: 1-line block ×5, first 2 shown]
	s_waitcnt vmcnt(16) lgkmcnt(0)
	v_mul_f32_e32 v158, v2, v6
	v_mul_f32_e32 v6, v3, v6
	v_fmac_f32_e32 v158, v3, v148
	v_fma_f32 v6, v2, v148, -v6
	v_add_f32_e32 v2, v108, v143
	v_add_f32_e32 v3, v109, v125
	s_waitcnt vmcnt(15)
	v_mul_f32_e32 v142, v4, v110
	v_mul_f32_e32 v159, v5, v110
	ds_read2_b64 v[108:111], v1 offset0:77 offset1:78
	v_add_f32_e32 v2, v2, v119
	v_add_f32_e32 v3, v3, v144
	s_waitcnt vmcnt(11)
	v_fmac_f32_e32 v142, v5, v149
	v_add_f32_e32 v2, v2, v136
	v_add_f32_e32 v3, v3, v145
	v_fma_f32 v125, v4, v149, -v159
	s_clause 0x4
	buffer_load_dword v119, off, s[0:3], 0 offset:276
	buffer_load_dword v143, off, s[0:3], 0 offset:296
	;; [unrolled: 1-line block ×5, first 2 shown]
	v_add_f32_e32 v2, v2, v138
	v_add_f32_e32 v3, v3, v137
	s_clause 0x2
	buffer_load_dword v136, off, s[0:3], 0 offset:284
	buffer_load_dword v137, off, s[0:3], 0 offset:292
	;; [unrolled: 1-line block ×3, first 2 shown]
	v_add_f32_e32 v127, v2, v127
	v_add_f32_e32 v117, v3, v117
	ds_read2_b64 v[2:5], v1 offset0:79 offset1:80
	s_waitcnt vmcnt(18) lgkmcnt(1)
	v_mul_f32_e32 v145, v108, v150
	v_add_f32_e32 v127, v127, v128
	v_add_f32_e32 v117, v117, v139
	v_mul_f32_e32 v150, v109, v150
	s_waitcnt vmcnt(17)
	v_mul_f32_e32 v139, v111, v151
	v_fmac_f32_e32 v145, v109, v141
	v_add_f32_e32 v109, v127, v129
	v_add_f32_e32 v117, v117, v140
	v_mul_f32_e32 v128, v110, v151
	v_fma_f32 v127, v108, v141, -v150
	v_fma_f32 v129, v110, v115, -v139
	v_add_f32_e32 v108, v109, v132
	v_add_f32_e32 v109, v117, v130
	s_clause 0x7
	buffer_load_dword v130, off, s[0:3], 0 offset:308
	buffer_load_dword v132, off, s[0:3], 0 offset:316
	;; [unrolled: 1-line block ×8, first 2 shown]
	v_fmac_f32_e32 v128, v111, v115
	v_add_f32_e32 v108, v108, v120
	v_add_f32_e32 v109, v109, v131
	s_waitcnt vmcnt(24) lgkmcnt(0)
	v_mul_f32_e32 v117, v2, v147
	v_mul_f32_e32 v110, v3, v147
	s_clause 0x3
	buffer_load_dword v131, off, s[0:3], 0 offset:340
	buffer_load_dword v147, off, s[0:3], 0 offset:348
	;; [unrolled: 1-line block ×4, first 2 shown]
	v_fmac_f32_e32 v117, v3, v114
	v_fma_f32 v120, v2, v114, -v110
	v_add_f32_e32 v2, v108, v8
	v_add_f32_e32 v108, v109, v133
	s_waitcnt vmcnt(27)
	v_mul_f32_e32 v133, v4, v118
	v_mul_f32_e32 v3, v5, v118
	s_clause 0x1
	buffer_load_dword v8, off, s[0:3], 0 offset:372
	buffer_load_dword v162, off, s[0:3], 0 offset:380
	v_add_f32_e32 v109, v2, v121
	buffer_load_dword v163, off, s[0:3], 0 offset:388
	s_waitcnt vmcnt(26)
	v_fmac_f32_e32 v133, v5, v154
	v_fma_f32 v121, v4, v154, -v3
	ds_read2_b64 v[2:5], v1 offset0:81 offset1:82
	v_add_f32_e32 v108, v108, v116
	v_add_f32_e32 v109, v109, v123
	s_clause 0x3
	buffer_load_dword v154, off, s[0:3], 0 offset:360
	buffer_load_dword v164, off, s[0:3], 0 offset:352
	;; [unrolled: 1-line block ×4, first 2 shown]
	v_add_f32_e32 v108, v108, v122
	v_add_f32_e32 v109, v109, v124
	;; [unrolled: 1-line block ×4, first 2 shown]
	ds_read2_b64 v[108:111], v1 offset0:83 offset1:84
	v_add_f32_e32 v7, v7, v134
	v_add_f32_e32 v112, v112, v113
	s_waitcnt vmcnt(29) lgkmcnt(1)
	v_mul_f32_e32 v122, v2, v126
	v_mul_f32_e32 v113, v3, v126
	s_waitcnt vmcnt(28)
	v_mul_f32_e32 v124, v4, v155
	v_fmac_f32_e32 v122, v3, v153
	v_fma_f32 v123, v2, v153, -v113
	v_add_f32_e32 v2, v7, v135
	v_add_f32_e32 v3, v112, v6
	s_clause 0x3
	buffer_load_dword v6, off, s[0:3], 0 offset:384
	buffer_load_dword v7, off, s[0:3], 0 offset:376
	buffer_load_dword v134, off, s[0:3], 0 offset:368
	buffer_load_dword v135, off, s[0:3], 0 offset:16
	v_mul_f32_e32 v112, v5, v155
	v_add_f32_e32 v2, v2, v158
	v_add_f32_e32 v3, v3, v125
	v_fmac_f32_e32 v124, v5, v152
	s_waitcnt vmcnt(31) lgkmcnt(0)
	v_mul_f32_e32 v126, v109, v157
	v_fma_f32 v125, v4, v152, -v112
	v_add_f32_e32 v113, v2, v142
	v_add_f32_e32 v116, v3, v127
	ds_read2_b64 v[2:5], v1 offset0:85 offset1:86
	v_fma_f32 v126, v108, v146, -v126
	v_add_f32_e32 v118, v113, v145
	ds_read2_b64 v[112:115], v1 offset0:87 offset1:88
	v_add_f32_e32 v116, v116, v129
	v_mul_f32_e32 v129, v108, v157
	v_add_f32_e32 v118, v118, v128
	v_add_f32_e32 v120, v116, v120
	v_fmac_f32_e32 v129, v109, v146
	v_add_f32_e32 v127, v118, v117
	v_add_f32_e32 v120, v120, v121
	;; [unrolled: 1-line block ×6, first 2 shown]
	s_waitcnt vmcnt(30)
	v_mul_f32_e32 v128, v110, v119
	v_mul_f32_e32 v119, v111, v119
	s_waitcnt vmcnt(26)
	v_fmac_f32_e32 v128, v111, v149
	s_waitcnt vmcnt(25) lgkmcnt(1)
	v_mul_f32_e32 v145, v2, v136
	v_mul_f32_e32 v121, v3, v136
	s_waitcnt vmcnt(24)
	v_mul_f32_e32 v133, v4, v137
	v_mul_f32_e32 v136, v5, v137
	s_waitcnt vmcnt(23) lgkmcnt(0)
	v_mul_f32_e32 v137, v112, v138
	v_fma_f32 v142, v110, v149, -v119
	v_mul_f32_e32 v138, v113, v138
	v_fmac_f32_e32 v133, v5, v144
	v_fma_f32 v136, v4, v144, -v136
	v_add_f32_e32 v144, v127, v124
	v_fmac_f32_e32 v137, v113, v143
	v_add_f32_e32 v113, v125, v126
	ds_read2_b64 v[108:111], v1 offset0:89 offset1:90
	ds_read2_b64 v[116:119], v1 offset0:91 offset1:92
	v_fmac_f32_e32 v145, v3, v148
	v_fma_f32 v146, v2, v148, -v121
	ds_read2_b64 v[2:5], v1 offset0:93 offset1:94
	ds_read2_b64 v[120:123], v1 offset0:95 offset1:96
	;; [unrolled: 1-line block ×3, first 2 shown]
	v_add_f32_e32 v1, v144, v129
	v_add_f32_e32 v113, v113, v142
	v_fma_f32 v112, v112, v143, -v138
	s_waitcnt vmcnt(22)
	v_mul_f32_e32 v129, v114, v130
	v_mul_f32_e32 v130, v115, v130
	v_add_f32_e32 v1, v1, v128
	v_add_f32_e32 v113, v113, v146
	s_waitcnt vmcnt(15)
	v_fmac_f32_e32 v129, v115, v159
	v_fma_f32 v114, v114, v159, -v130
	v_add_f32_e32 v1, v1, v145
	v_add_f32_e32 v113, v113, v136
	s_waitcnt lgkmcnt(4)
	v_mul_f32_e32 v138, v108, v132
	v_add_f32_e32 v1, v1, v133
	v_mul_f32_e32 v132, v109, v132
	v_add_f32_e32 v112, v113, v112
	v_mul_f32_e32 v133, v111, v139
	v_fmac_f32_e32 v138, v109, v151
	v_add_f32_e32 v1, v1, v137
	v_fma_f32 v108, v108, v151, -v132
	v_add_f32_e32 v109, v112, v114
	v_mul_f32_e32 v128, v110, v139
	s_waitcnt lgkmcnt(3)
	v_mul_f32_e32 v112, v117, v140
	v_add_f32_e32 v1, v1, v129
	v_fma_f32 v110, v110, v150, -v133
	v_add_f32_e32 v108, v109, v108
	v_mul_f32_e32 v115, v116, v140
	v_fmac_f32_e32 v128, v111, v150
	v_add_f32_e32 v1, v1, v138
	s_waitcnt vmcnt(14)
	v_mul_f32_e32 v109, v119, v131
	v_fma_f32 v111, v116, v141, -v112
	v_add_f32_e32 v108, v108, v110
	v_mul_f32_e32 v130, v118, v131
	v_fmac_f32_e32 v115, v117, v141
	v_add_f32_e32 v1, v1, v128
	s_waitcnt vmcnt(13) lgkmcnt(2)
	v_mul_f32_e32 v142, v2, v147
	v_mul_f32_e32 v110, v3, v147
	s_waitcnt vmcnt(4)
	v_fma_f32 v109, v118, v166, -v109
	v_add_f32_e32 v108, v108, v111
	v_fmac_f32_e32 v130, v119, v166
	v_add_f32_e32 v1, v1, v115
	v_mul_f32_e32 v111, v5, v160
	v_fmac_f32_e32 v142, v3, v165
	v_fma_f32 v2, v2, v165, -v110
	v_add_f32_e32 v3, v108, v109
	v_mul_f32_e32 v143, v4, v160
	v_add_f32_e32 v1, v1, v130
	s_waitcnt lgkmcnt(1)
	v_mul_f32_e32 v108, v121, v161
	v_fma_f32 v4, v4, v164, -v111
	v_add_f32_e32 v2, v3, v2
	v_mul_f32_e32 v144, v120, v161
	v_fmac_f32_e32 v143, v5, v164
	v_add_f32_e32 v1, v1, v142
	v_mul_f32_e32 v3, v123, v8
	v_fma_f32 v5, v120, v154, -v108
	v_add_f32_e32 v2, v2, v4
	v_mul_f32_e32 v136, v122, v8
	v_fmac_f32_e32 v144, v121, v154
	v_add_f32_e32 v1, v1, v143
	s_waitcnt lgkmcnt(0)
	v_mul_f32_e32 v4, v125, v162
	s_waitcnt vmcnt(1)
	v_fma_f32 v3, v122, v134, -v3
	v_add_f32_e32 v2, v2, v5
	v_mul_f32_e32 v139, v124, v162
	v_fmac_f32_e32 v136, v123, v134
	v_add_f32_e32 v1, v1, v144
	v_mul_f32_e32 v5, v127, v163
	v_fma_f32 v4, v124, v7, -v4
	v_add_f32_e32 v2, v2, v3
	v_mul_f32_e32 v113, v126, v163
	v_fmac_f32_e32 v139, v125, v7
	v_add_f32_e32 v1, v1, v136
	v_fma_f32 v3, v126, v6, -v5
	v_add_f32_e32 v2, v2, v4
	v_fmac_f32_e32 v113, v127, v6
	v_add_f32_e32 v1, v1, v139
	v_add_f32_e32 v2, v2, v3
	;; [unrolled: 1-line block ×3, first 2 shown]
	s_waitcnt vmcnt(0)
	v_sub_f32_e32 v2, v135, v2
	v_sub_f32_e32 v1, v156, v1
	buffer_store_dword v2, off, s[0:3], 0 offset:16
	buffer_store_dword v1, off, s[0:3], 0 offset:20
	v_cmpx_lt_u32_e32 1, v0
	s_cbranch_execz .LBB48_305
; %bb.304:
	s_clause 0x1
	buffer_load_dword v1, off, s[0:3], 0 offset:8
	buffer_load_dword v2, off, s[0:3], 0 offset:12
	v_mov_b32_e32 v3, 0
	buffer_store_dword v3, off, s[0:3], 0 offset:8
	buffer_store_dword v3, off, s[0:3], 0 offset:12
	s_waitcnt vmcnt(0)
	ds_write_b64 v107, v[1:2]
.LBB48_305:
	s_or_b32 exec_lo, exec_lo, s4
	s_waitcnt lgkmcnt(0)
	s_waitcnt_vscnt null, 0x0
	s_barrier
	buffer_gl0_inv
	s_clause 0x2c
	buffer_load_dword v138, off, s[0:3], 0 offset:20
	buffer_load_dword v139, off, s[0:3], 0 offset:28
	;; [unrolled: 1-line block ×45, first 2 shown]
	v_mov_b32_e32 v1, 0
	ds_read_b128 v[147:150], v1 offset:416
	ds_read_b128 v[151:154], v1 offset:432
	buffer_load_dword v156, off, s[0:3], 0 offset:12
	s_mov_b32 s4, exec_lo
	s_waitcnt vmcnt(45) lgkmcnt(1)
	v_mul_f32_e32 v140, v147, v138
	v_mul_f32_e32 v155, v148, v138
	s_waitcnt vmcnt(44)
	v_mul_f32_e32 v138, v149, v139
	v_mul_f32_e32 v139, v150, v139
	s_waitcnt vmcnt(41)
	v_fmac_f32_e32 v140, v148, v109
	v_fma_f32 v155, v147, v109, -v155
	v_fmac_f32_e32 v138, v150, v7
	v_fma_f32 v139, v149, v7, -v139
	ds_read_b128 v[147:150], v1 offset:448
	s_waitcnt vmcnt(40) lgkmcnt(1)
	v_mul_f32_e32 v157, v151, v4
	s_waitcnt vmcnt(39)
	v_mul_f32_e32 v158, v153, v5
	v_mul_f32_e32 v4, v152, v4
	;; [unrolled: 1-line block ×3, first 2 shown]
	v_fmac_f32_e32 v157, v152, v2
	s_waitcnt vmcnt(35)
	v_fmac_f32_e32 v158, v154, v112
	v_fma_f32 v159, v151, v2, -v4
	v_fma_f32 v112, v153, v112, -v5
	ds_read_b128 v[151:154], v1 offset:464
	s_waitcnt vmcnt(34) lgkmcnt(1)
	v_mul_f32_e32 v160, v147, v111
	s_waitcnt vmcnt(33)
	v_mul_f32_e32 v161, v149, v110
	v_mul_f32_e32 v4, v150, v110
	;; [unrolled: 1-line block ×3, first 2 shown]
	v_fmac_f32_e32 v160, v148, v108
	v_fmac_f32_e32 v161, v150, v6
	v_fma_f32 v148, v149, v6, -v4
	ds_read_b128 v[4:7], v1 offset:480
	v_fma_f32 v147, v147, v108, -v2
	s_waitcnt vmcnt(32) lgkmcnt(1)
	v_mul_f32_e32 v149, v151, v8
	v_mul_f32_e32 v2, v152, v8
	s_waitcnt vmcnt(31)
	v_mul_f32_e32 v8, v153, v113
	v_mul_f32_e32 v108, v154, v113
	v_fmac_f32_e32 v149, v152, v3
	v_fma_f32 v113, v151, v3, -v2
	s_waitcnt vmcnt(27)
	v_fmac_f32_e32 v8, v154, v121
	v_fma_f32 v121, v153, v121, -v108
	ds_read_b128 v[108:111], v1 offset:496
	buffer_load_dword v151, off, s[0:3], 0 offset:204
	s_waitcnt vmcnt(27) lgkmcnt(1)
	v_mul_f32_e32 v150, v4, v119
	v_mul_f32_e32 v2, v5, v119
	s_waitcnt vmcnt(26)
	v_mul_f32_e32 v3, v7, v118
	v_mul_f32_e32 v119, v6, v118
	v_fmac_f32_e32 v150, v5, v117
	v_fma_f32 v117, v4, v117, -v2
	v_fma_f32 v6, v6, v115, -v3
	ds_read_b128 v[2:5], v1 offset:512
	v_fmac_f32_e32 v119, v7, v115
	s_waitcnt vmcnt(25) lgkmcnt(1)
	v_mul_f32_e32 v7, v108, v116
	v_mul_f32_e32 v115, v109, v116
	s_waitcnt vmcnt(24)
	v_mul_f32_e32 v116, v110, v120
	v_mul_f32_e32 v118, v111, v120
	v_fmac_f32_e32 v7, v109, v114
	v_fma_f32 v114, v108, v114, -v115
	s_waitcnt vmcnt(20)
	v_fmac_f32_e32 v116, v111, v129
	v_fma_f32 v115, v110, v129, -v118
	ds_read_b128 v[108:111], v1 offset:528
	s_waitcnt vmcnt(19) lgkmcnt(1)
	v_mul_f32_e32 v118, v2, v127
	v_mul_f32_e32 v120, v3, v127
	s_waitcnt vmcnt(18)
	v_mul_f32_e32 v127, v4, v126
	v_mul_f32_e32 v126, v5, v126
	v_fmac_f32_e32 v118, v3, v125
	v_fma_f32 v120, v2, v125, -v120
	v_fmac_f32_e32 v127, v5, v123
	v_fma_f32 v123, v4, v123, -v126
	ds_read_b128 v[2:5], v1 offset:544
	s_waitcnt vmcnt(17) lgkmcnt(1)
	v_mul_f32_e32 v125, v108, v124
	v_mul_f32_e32 v124, v109, v124
	s_waitcnt vmcnt(16)
	v_mul_f32_e32 v126, v110, v128
	v_mul_f32_e32 v128, v111, v128
	v_fmac_f32_e32 v125, v109, v122
	v_fma_f32 v122, v108, v122, -v124
	s_waitcnt vmcnt(12)
	v_fmac_f32_e32 v126, v111, v136
	v_fma_f32 v124, v110, v136, -v128
	ds_read_b128 v[108:111], v1 offset:560
	s_waitcnt vmcnt(11) lgkmcnt(1)
	v_mul_f32_e32 v128, v2, v135
	v_mul_f32_e32 v129, v3, v135
	s_waitcnt vmcnt(10)
	v_mul_f32_e32 v135, v4, v134
	v_mul_f32_e32 v134, v5, v134
	v_fmac_f32_e32 v128, v3, v133
	v_fma_f32 v129, v2, v133, -v129
	v_fmac_f32_e32 v135, v5, v131
	v_fma_f32 v131, v4, v131, -v134
	ds_read_b128 v[2:5], v1 offset:576
	s_waitcnt vmcnt(8) lgkmcnt(1)
	v_mul_f32_e32 v134, v110, v137
	v_mul_f32_e32 v136, v111, v137
	buffer_load_dword v137, off, s[0:3], 0 offset:196
	v_mul_f32_e32 v133, v108, v132
	v_mul_f32_e32 v132, v109, v132
	s_waitcnt vmcnt(5)
	v_fmac_f32_e32 v134, v111, v146
	v_fmac_f32_e32 v133, v109, v130
	v_fma_f32 v130, v108, v130, -v132
	v_fma_f32 v132, v110, v146, -v136
	ds_read_b128 v[108:111], v1 offset:592
	s_waitcnt vmcnt(4) lgkmcnt(1)
	v_mul_f32_e32 v136, v2, v145
	v_mul_f32_e32 v145, v3, v145
	s_waitcnt vmcnt(3)
	v_mul_f32_e32 v146, v4, v144
	v_mul_f32_e32 v144, v5, v144
	v_fmac_f32_e32 v136, v3, v143
	v_fma_f32 v143, v2, v143, -v145
	v_fmac_f32_e32 v146, v5, v142
	v_fma_f32 v142, v4, v142, -v144
	s_clause 0x4
	buffer_load_dword v144, off, s[0:3], 0 offset:224
	buffer_load_dword v145, off, s[0:3], 0 offset:216
	buffer_load_dword v152, off, s[0:3], 0 offset:208
	buffer_load_dword v2, off, s[0:3], 0 offset:200
	buffer_load_dword v153, off, s[0:3], 0 offset:212
	s_waitcnt vmcnt(5) lgkmcnt(0)
	v_mul_f32_e32 v154, v108, v137
	v_mul_f32_e32 v3, v109, v137
	v_fmac_f32_e32 v154, v109, v141
	v_fma_f32 v137, v108, v141, -v3
	v_mul_f32_e32 v141, v110, v151
	v_mul_f32_e32 v3, v111, v151
	s_waitcnt vmcnt(1)
	v_fmac_f32_e32 v141, v111, v2
	v_fma_f32 v151, v110, v2, -v3
	ds_read_b128 v[2:5], v1 offset:608
	ds_read_b128 v[108:111], v1 offset:624
	s_waitcnt vmcnt(0) lgkmcnt(1)
	v_mul_f32_e32 v162, v2, v153
	v_mul_f32_e32 v153, v3, v153
	v_fmac_f32_e32 v162, v3, v152
	v_fma_f32 v152, v2, v152, -v153
	buffer_load_dword v2, off, s[0:3], 0 offset:220
	s_waitcnt vmcnt(0)
	v_mul_f32_e32 v153, v4, v2
	v_mul_f32_e32 v2, v5, v2
	v_fmac_f32_e32 v153, v5, v145
	v_fma_f32 v145, v4, v145, -v2
	buffer_load_dword v2, off, s[0:3], 0 offset:228
	s_waitcnt vmcnt(0) lgkmcnt(0)
	v_mul_f32_e32 v163, v108, v2
	v_mul_f32_e32 v2, v109, v2
	v_fmac_f32_e32 v163, v109, v144
	v_fma_f32 v144, v108, v144, -v2
	s_clause 0x5
	buffer_load_dword v2, off, s[0:3], 0 offset:236
	buffer_load_dword v164, off, s[0:3], 0 offset:256
	;; [unrolled: 1-line block ×6, first 2 shown]
	s_waitcnt vmcnt(5)
	v_mul_f32_e32 v167, v110, v2
	v_mul_f32_e32 v2, v111, v2
	s_waitcnt vmcnt(1)
	v_fmac_f32_e32 v167, v111, v3
	v_fma_f32 v168, v110, v3, -v2
	ds_read_b128 v[2:5], v1 offset:640
	ds_read_b128 v[108:111], v1 offset:656
	s_waitcnt vmcnt(0) lgkmcnt(1)
	v_mul_f32_e32 v170, v2, v169
	v_mul_f32_e32 v169, v3, v169
	v_fmac_f32_e32 v170, v3, v166
	v_fma_f32 v166, v2, v166, -v169
	buffer_load_dword v2, off, s[0:3], 0 offset:252
	s_waitcnt vmcnt(0)
	v_mul_f32_e32 v169, v4, v2
	v_mul_f32_e32 v2, v5, v2
	v_fmac_f32_e32 v169, v5, v165
	v_fma_f32 v165, v4, v165, -v2
	buffer_load_dword v2, off, s[0:3], 0 offset:260
	s_waitcnt vmcnt(0) lgkmcnt(0)
	v_mul_f32_e32 v171, v108, v2
	v_mul_f32_e32 v2, v109, v2
	v_fmac_f32_e32 v171, v109, v164
	v_fma_f32 v164, v108, v164, -v2
	s_clause 0x4
	buffer_load_dword v2, off, s[0:3], 0 offset:268
	buffer_load_dword v172, off, s[0:3], 0 offset:288
	;; [unrolled: 1-line block ×5, first 2 shown]
	s_waitcnt vmcnt(4)
	v_mul_f32_e32 v175, v110, v2
	v_mul_f32_e32 v2, v111, v2
	s_waitcnt vmcnt(0)
	v_fmac_f32_e32 v175, v111, v3
	v_fma_f32 v176, v110, v3, -v2
	v_add_f32_e32 v2, 0, v140
	v_add_f32_e32 v3, 0, v155
	;; [unrolled: 1-line block ×8, first 2 shown]
	buffer_load_dword v112, off, s[0:3], 0 offset:276
	v_add_f32_e32 v2, v2, v160
	v_add_f32_e32 v3, v3, v147
	;; [unrolled: 1-line block ×6, first 2 shown]
	buffer_load_dword v113, off, s[0:3], 0 offset:284
	v_add_f32_e32 v2, v2, v8
	v_add_f32_e32 v3, v3, v121
	s_clause 0x1
	buffer_load_dword v8, off, s[0:3], 0 offset:292
	buffer_load_dword v121, off, s[0:3], 0 offset:300
	v_add_f32_e32 v2, v2, v150
	v_add_f32_e32 v3, v3, v117
	;; [unrolled: 1-line block ×4, first 2 shown]
	s_clause 0x6
	buffer_load_dword v138, off, s[0:3], 0 offset:320
	buffer_load_dword v139, off, s[0:3], 0 offset:312
	;; [unrolled: 1-line block ×7, first 2 shown]
	v_add_f32_e32 v2, v2, v7
	v_add_f32_e32 v3, v3, v114
	;; [unrolled: 1-line block ×8, first 2 shown]
	s_clause 0x3
	buffer_load_dword v127, off, s[0:3], 0 offset:332
	buffer_load_dword v150, off, s[0:3], 0 offset:340
	;; [unrolled: 1-line block ×4, first 2 shown]
	v_add_f32_e32 v2, v2, v125
	v_add_f32_e32 v3, v3, v122
	s_clause 0x1
	buffer_load_dword v125, off, s[0:3], 0 offset:364
	buffer_load_dword v158, off, s[0:3], 0 offset:372
	v_add_f32_e32 v2, v2, v126
	v_add_f32_e32 v3, v3, v124
	s_clause 0x1
	buffer_load_dword v126, off, s[0:3], 0 offset:380
	buffer_load_dword v159, off, s[0:3], 0 offset:388
	v_add_f32_e32 v2, v2, v128
	v_add_f32_e32 v3, v3, v129
	;; [unrolled: 1-line block ×3, first 2 shown]
	s_clause 0x3
	buffer_load_dword v124, off, s[0:3], 0 offset:352
	buffer_load_dword v128, off, s[0:3], 0 offset:344
	;; [unrolled: 1-line block ×4, first 2 shown]
	v_add_f32_e32 v3, v3, v131
	v_add_f32_e32 v2, v2, v133
	;; [unrolled: 1-line block ×4, first 2 shown]
	s_clause 0x3
	buffer_load_dword v130, off, s[0:3], 0 offset:384
	buffer_load_dword v131, off, s[0:3], 0 offset:376
	buffer_load_dword v133, off, s[0:3], 0 offset:368
	buffer_load_dword v134, off, s[0:3], 0 offset:360
	v_add_f32_e32 v3, v3, v132
	buffer_load_dword v132, off, s[0:3], 0 offset:8
	v_add_f32_e32 v2, v2, v136
	v_add_f32_e32 v3, v3, v143
	;; [unrolled: 1-line block ×4, first 2 shown]
	ds_read_b128 v[2:5], v1 offset:672
	v_add_f32_e32 v7, v7, v154
	v_add_f32_e32 v108, v108, v137
	;; [unrolled: 1-line block ×6, first 2 shown]
	ds_read_b128 v[108:111], v1 offset:688
	v_add_f32_e32 v7, v7, v153
	v_add_f32_e32 v114, v114, v145
	;; [unrolled: 1-line block ×8, first 2 shown]
	s_waitcnt vmcnt(27) lgkmcnt(1)
	v_mul_f32_e32 v136, v2, v112
	v_mul_f32_e32 v112, v3, v112
	v_fmac_f32_e32 v136, v3, v174
	v_add_f32_e32 v3, v114, v144
	v_fma_f32 v141, v2, v174, -v112
	v_add_f32_e32 v136, v146, v136
	v_add_f32_e32 v120, v3, v168
	s_waitcnt vmcnt(26)
	v_mul_f32_e32 v137, v4, v113
	v_add_f32_e32 v120, v120, v166
	v_mul_f32_e32 v113, v5, v113
	s_waitcnt vmcnt(25) lgkmcnt(0)
	v_mul_f32_e32 v143, v108, v8
	v_mul_f32_e32 v8, v109, v8
	v_add_f32_e32 v120, v120, v165
	v_fmac_f32_e32 v137, v5, v173
	v_fma_f32 v142, v4, v173, -v113
	ds_read_b128 v[2:5], v1 offset:704
	ds_read_b128 v[112:115], v1 offset:720
	v_fma_f32 v8, v108, v172, -v8
	v_add_f32_e32 v108, v120, v164
	s_waitcnt vmcnt(24)
	v_mul_f32_e32 v145, v111, v121
	v_mul_f32_e32 v144, v110, v121
	v_fmac_f32_e32 v143, v109, v172
	v_add_f32_e32 v136, v136, v137
	v_add_f32_e32 v151, v108, v176
	ds_read_b128 v[116:119], v1 offset:736
	ds_read_b128 v[120:123], v1 offset:752
	s_waitcnt vmcnt(20)
	v_fma_f32 v145, v110, v6, -v145
	v_fmac_f32_e32 v144, v111, v6
	v_add_f32_e32 v141, v151, v141
	v_add_f32_e32 v136, v136, v143
	ds_read_b128 v[108:111], v1 offset:768
	ds_read_b64 v[6:7], v1 offset:784
	v_add_f32_e32 v141, v141, v142
	v_add_f32_e32 v136, v136, v144
	s_waitcnt vmcnt(19) lgkmcnt(5)
	v_mul_f32_e32 v152, v2, v147
	v_mul_f32_e32 v147, v3, v147
	s_waitcnt vmcnt(18)
	v_mul_f32_e32 v153, v4, v148
	v_add_f32_e32 v8, v141, v8
	v_mul_f32_e32 v148, v5, v148
	v_fmac_f32_e32 v152, v3, v140
	v_fma_f32 v2, v2, v140, -v147
	s_waitcnt vmcnt(17) lgkmcnt(4)
	v_mul_f32_e32 v146, v112, v149
	v_add_f32_e32 v8, v8, v145
	v_mul_f32_e32 v145, v113, v149
	v_fma_f32 v4, v4, v139, -v148
	v_fmac_f32_e32 v153, v5, v139
	v_add_f32_e32 v5, v136, v152
	v_add_f32_e32 v2, v8, v2
	s_waitcnt vmcnt(16)
	v_mul_f32_e32 v8, v115, v127
	v_fma_f32 v112, v112, v138, -v145
	v_mul_f32_e32 v142, v114, v127
	v_fmac_f32_e32 v146, v113, v138
	v_add_f32_e32 v2, v2, v4
	v_add_f32_e32 v4, v5, v153
	s_waitcnt vmcnt(15) lgkmcnt(3)
	v_mul_f32_e32 v5, v117, v150
	v_mul_f32_e32 v151, v116, v150
	s_waitcnt vmcnt(14)
	v_mul_f32_e32 v137, v118, v155
	v_add_f32_e32 v2, v2, v112
	v_add_f32_e32 v4, v4, v146
	s_waitcnt vmcnt(5)
	v_fma_f32 v8, v114, v135, -v8
	v_fmac_f32_e32 v142, v115, v135
	v_mul_f32_e32 v112, v119, v155
	v_fma_f32 v5, v116, v129, -v5
	v_fmac_f32_e32 v151, v117, v129
	v_add_f32_e32 v2, v2, v8
	v_add_f32_e32 v4, v4, v142
	s_waitcnt lgkmcnt(2)
	v_mul_f32_e32 v8, v121, v157
	v_fma_f32 v112, v118, v128, -v112
	v_mul_f32_e32 v141, v120, v157
	v_add_f32_e32 v2, v2, v5
	v_fmac_f32_e32 v137, v119, v128
	v_add_f32_e32 v4, v4, v151
	v_mul_f32_e32 v5, v123, v125
	v_fma_f32 v8, v120, v124, -v8
	v_add_f32_e32 v2, v2, v112
	v_mul_f32_e32 v3, v122, v125
	v_fmac_f32_e32 v141, v121, v124
	v_add_f32_e32 v4, v4, v137
	s_waitcnt lgkmcnt(1)
	v_mul_f32_e32 v112, v109, v158
	s_waitcnt vmcnt(1)
	v_fma_f32 v5, v122, v134, -v5
	v_add_f32_e32 v2, v2, v8
	v_mul_f32_e32 v140, v108, v158
	v_fmac_f32_e32 v3, v123, v134
	v_add_f32_e32 v4, v4, v141
	v_mul_f32_e32 v8, v111, v126
	v_fma_f32 v108, v108, v133, -v112
	v_add_f32_e32 v2, v2, v5
	v_mul_f32_e32 v143, v110, v126
	v_fmac_f32_e32 v140, v109, v133
	v_add_f32_e32 v3, v4, v3
	s_waitcnt lgkmcnt(0)
	v_mul_f32_e32 v4, v7, v159
	v_fma_f32 v5, v110, v131, -v8
	v_add_f32_e32 v2, v2, v108
	v_mul_f32_e32 v144, v6, v159
	v_fmac_f32_e32 v143, v111, v131
	v_add_f32_e32 v3, v3, v140
	v_fma_f32 v4, v6, v130, -v4
	v_add_f32_e32 v2, v2, v5
	v_fmac_f32_e32 v144, v7, v130
	v_add_f32_e32 v3, v3, v143
	v_add_f32_e32 v2, v2, v4
	;; [unrolled: 1-line block ×3, first 2 shown]
	s_waitcnt vmcnt(0)
	v_sub_f32_e32 v2, v132, v2
	v_sub_f32_e32 v3, v156, v3
	buffer_store_dword v2, off, s[0:3], 0 offset:8
	buffer_store_dword v3, off, s[0:3], 0 offset:12
	v_cmpx_ne_u32_e32 0, v0
	s_cbranch_execz .LBB48_307
; %bb.306:
	s_clause 0x1
	buffer_load_dword v2, off, s[0:3], 0
	buffer_load_dword v3, off, s[0:3], 0 offset:4
	buffer_store_dword v1, off, s[0:3], 0
	buffer_store_dword v1, off, s[0:3], 0 offset:4
	s_waitcnt vmcnt(0)
	ds_write_b64 v107, v[2:3]
.LBB48_307:
	s_or_b32 exec_lo, exec_lo, s4
	s_waitcnt lgkmcnt(0)
	s_waitcnt_vscnt null, 0x0
	s_barrier
	buffer_gl0_inv
	s_clause 0x2c
	buffer_load_dword v137, off, s[0:3], 0 offset:12
	buffer_load_dword v0, off, s[0:3], 0 offset:24
	;; [unrolled: 1-line block ×45, first 2 shown]
	ds_read2_b64 v[145:148], v1 offset0:51 offset1:52
	ds_read2_b64 v[149:152], v1 offset0:53 offset1:54
	;; [unrolled: 1-line block ×3, first 2 shown]
	s_and_b32 vcc_lo, exec_lo, s22
	s_waitcnt vmcnt(44) lgkmcnt(2)
	v_mul_f32_e32 v139, v145, v137
	v_mul_f32_e32 v157, v146, v137
	buffer_load_dword v137, off, s[0:3], 0 offset:4
	s_waitcnt vmcnt(41)
	v_mul_f32_e32 v158, v147, v8
	v_mul_f32_e32 v8, v148, v8
	v_fmac_f32_e32 v139, v146, v107
	v_fma_f32 v157, v145, v107, -v157
	s_waitcnt vmcnt(40) lgkmcnt(1)
	v_mul_f32_e32 v159, v149, v6
	v_fmac_f32_e32 v158, v148, v4
	v_fma_f32 v8, v147, v4, -v8
	ds_read2_b64 v[145:148], v1 offset0:57 offset1:58
	v_mul_f32_e32 v4, v150, v6
	s_waitcnt vmcnt(39)
	v_mul_f32_e32 v160, v151, v3
	v_mul_f32_e32 v3, v152, v3
	v_fmac_f32_e32 v159, v150, v0
	s_waitcnt vmcnt(34) lgkmcnt(1)
	v_mul_f32_e32 v162, v153, v110
	v_fma_f32 v0, v149, v0, -v4
	v_fmac_f32_e32 v160, v152, v111
	v_fma_f32 v161, v151, v111, -v3
	v_mul_f32_e32 v3, v154, v110
	ds_read2_b64 v[149:152], v1 offset0:59 offset1:60
	v_fmac_f32_e32 v162, v154, v108
	s_waitcnt vmcnt(33)
	v_mul_f32_e32 v154, v155, v109
	v_fma_f32 v153, v153, v108, -v3
	v_mul_f32_e32 v3, v156, v109
	ds_read2_b64 v[107:110], v1 offset0:63 offset1:64
	v_fmac_f32_e32 v154, v156, v5
	v_fma_f32 v155, v155, v5, -v3
	s_waitcnt vmcnt(32) lgkmcnt(2)
	v_mul_f32_e32 v156, v145, v7
	v_mul_f32_e32 v7, v146, v7
	ds_read2_b64 v[3:6], v1 offset0:61 offset1:62
	v_fmac_f32_e32 v156, v146, v2
	v_fma_f32 v7, v145, v2, -v7
	s_waitcnt vmcnt(31)
	v_mul_f32_e32 v145, v147, v112
	v_mul_f32_e32 v2, v148, v112
	s_waitcnt vmcnt(26) lgkmcnt(2)
	v_mul_f32_e32 v146, v149, v119
	v_fmac_f32_e32 v145, v148, v120
	v_fma_f32 v120, v147, v120, -v2
	v_mul_f32_e32 v2, v150, v119
	s_waitcnt vmcnt(25)
	v_mul_f32_e32 v147, v151, v117
	v_fmac_f32_e32 v146, v150, v116
	v_fma_f32 v119, v149, v116, -v2
	v_mul_f32_e32 v2, v152, v117
	v_fmac_f32_e32 v147, v152, v114
	s_waitcnt vmcnt(24) lgkmcnt(0)
	v_mul_f32_e32 v149, v3, v115
	v_fma_f32 v148, v151, v114, -v2
	v_mul_f32_e32 v2, v4, v115
	ds_read2_b64 v[114:117], v1 offset0:65 offset1:66
	s_waitcnt vmcnt(23)
	v_mul_f32_e32 v151, v5, v118
	s_waitcnt vmcnt(18)
	v_mul_f32_e32 v111, v108, v127
	v_fmac_f32_e32 v149, v4, v113
	v_fma_f32 v150, v3, v113, -v2
	v_mul_f32_e32 v2, v6, v118
	v_mul_f32_e32 v118, v107, v127
	v_fmac_f32_e32 v151, v6, v128
	s_waitcnt vmcnt(17)
	v_mul_f32_e32 v127, v109, v125
	v_fma_f32 v6, v5, v128, -v2
	ds_read2_b64 v[2:5], v1 offset0:67 offset1:68
	v_fmac_f32_e32 v118, v108, v124
	v_fma_f32 v124, v107, v124, -v111
	v_mul_f32_e32 v107, v110, v125
	v_fmac_f32_e32 v127, v110, v122
	v_fma_f32 v122, v109, v122, -v107
	s_waitcnt vmcnt(16) lgkmcnt(1)
	v_mul_f32_e32 v125, v114, v123
	v_mul_f32_e32 v111, v115, v123
	ds_read2_b64 v[107:110], v1 offset0:69 offset1:70
	v_fmac_f32_e32 v125, v115, v121
	v_fma_f32 v115, v114, v121, -v111
	s_waitcnt vmcnt(15)
	v_mul_f32_e32 v111, v117, v126
	v_mul_f32_e32 v121, v116, v126
	s_waitcnt vmcnt(10) lgkmcnt(1)
	v_mul_f32_e32 v123, v3, v134
	v_fma_f32 v116, v116, v135, -v111
	ds_read2_b64 v[111:114], v1 offset0:71 offset1:72
	v_fmac_f32_e32 v121, v117, v135
	v_mul_f32_e32 v117, v2, v134
	v_fma_f32 v123, v2, v132, -v123
	s_waitcnt vmcnt(9)
	v_mul_f32_e32 v126, v4, v133
	v_mul_f32_e32 v2, v5, v133
	v_fmac_f32_e32 v117, v3, v132
	buffer_load_dword v132, off, s[0:3], 0 offset:188
	s_waitcnt vmcnt(8) lgkmcnt(1)
	v_mul_f32_e32 v3, v110, v136
	v_fmac_f32_e32 v126, v5, v130
	v_fma_f32 v128, v4, v130, -v2
	v_mul_f32_e32 v130, v107, v131
	v_mul_f32_e32 v2, v108, v131
	;; [unrolled: 1-line block ×3, first 2 shown]
	s_waitcnt vmcnt(4)
	v_fma_f32 v133, v109, v144, -v3
	buffer_load_dword v109, off, s[0:3], 0 offset:196
	v_fmac_f32_e32 v130, v108, v129
	v_fma_f32 v129, v107, v129, -v2
	ds_read2_b64 v[2:5], v1 offset0:73 offset1:74
	s_waitcnt vmcnt(4) lgkmcnt(1)
	v_mul_f32_e32 v134, v111, v143
	v_mul_f32_e32 v107, v112, v143
	s_waitcnt vmcnt(3)
	v_mul_f32_e32 v135, v113, v142
	v_mul_f32_e32 v108, v114, v142
	v_fmac_f32_e32 v131, v110, v144
	v_fmac_f32_e32 v134, v112, v141
	v_fma_f32 v111, v111, v141, -v107
	v_fmac_f32_e32 v135, v114, v140
	v_fma_f32 v112, v113, v140, -v108
	s_clause 0x7
	buffer_load_dword v113, off, s[0:3], 0 offset:216
	buffer_load_dword v114, off, s[0:3], 0 offset:208
	buffer_load_dword v136, off, s[0:3], 0 offset:200
	buffer_load_dword v107, off, s[0:3], 0 offset:192
	buffer_load_dword v140, off, s[0:3], 0 offset:204
	buffer_load_dword v141, off, s[0:3], 0 offset:212
	buffer_load_dword v144, off, s[0:3], 0 offset:220
	buffer_load_dword v152, off, s[0:3], 0 offset:228
	s_waitcnt vmcnt(9) lgkmcnt(0)
	v_mul_f32_e32 v108, v3, v132
	v_mul_f32_e32 v142, v2, v132
	v_fma_f32 v132, v2, v138, -v108
	v_fmac_f32_e32 v142, v3, v138
	v_add_f32_e32 v3, 0, v157
	s_waitcnt vmcnt(8)
	v_mul_f32_e32 v2, v5, v109
	v_mul_f32_e32 v138, v4, v109
	v_add_f32_e32 v3, v3, v8
	v_add_f32_e32 v0, v3, v0
	s_waitcnt vmcnt(4)
	v_fma_f32 v143, v4, v107, -v2
	v_add_f32_e32 v2, 0, v139
	v_fmac_f32_e32 v138, v5, v107
	v_add_f32_e32 v0, v0, v161
	v_add_f32_e32 v2, v2, v158
	s_clause 0x4
	buffer_load_dword v139, off, s[0:3], 0 offset:248
	buffer_load_dword v157, off, s[0:3], 0 offset:240
	;; [unrolled: 1-line block ×5, first 2 shown]
	v_add_f32_e32 v0, v0, v153
	v_add_f32_e32 v2, v2, v159
	buffer_load_dword v159, off, s[0:3], 0 offset:244
	v_add_f32_e32 v0, v0, v155
	v_add_f32_e32 v2, v2, v160
	v_add_f32_e32 v0, v0, v7
	v_add_f32_e32 v107, v2, v162
	ds_read2_b64 v[2:5], v1 offset0:75 offset1:76
	v_add_f32_e32 v0, v0, v120
	v_add_f32_e32 v107, v107, v154
	buffer_load_dword v154, off, s[0:3], 0 offset:252
	v_add_f32_e32 v0, v0, v119
	v_add_f32_e32 v153, v107, v156
	ds_read2_b64 v[107:110], v1 offset0:77 offset1:78
	v_add_f32_e32 v0, v0, v148
	v_add_f32_e32 v7, v153, v145
	;; [unrolled: 1-line block ×4, first 2 shown]
	s_waitcnt vmcnt(10) lgkmcnt(1)
	v_mul_f32_e32 v145, v2, v140
	v_mul_f32_e32 v140, v3, v140
	s_waitcnt vmcnt(9)
	v_mul_f32_e32 v120, v4, v141
	v_mul_f32_e32 v141, v5, v141
	v_add_f32_e32 v7, v7, v147
	v_fmac_f32_e32 v145, v3, v136
	v_fma_f32 v136, v2, v136, -v140
	v_fmac_f32_e32 v120, v5, v114
	v_fma_f32 v114, v4, v114, -v141
	ds_read2_b64 v[2:5], v1 offset0:79 offset1:80
	s_clause 0x5
	buffer_load_dword v119, off, s[0:3], 0 offset:260
	buffer_load_dword v140, off, s[0:3], 0 offset:268
	;; [unrolled: 1-line block ×6, first 2 shown]
	v_add_f32_e32 v7, v7, v149
	v_add_f32_e32 v0, v0, v6
	s_waitcnt vmcnt(14) lgkmcnt(1)
	v_mul_f32_e32 v149, v107, v144
	v_mul_f32_e32 v144, v108, v144
	s_waitcnt vmcnt(13)
	v_mul_f32_e32 v150, v109, v152
	v_add_f32_e32 v7, v7, v151
	s_clause 0x1
	buffer_load_dword v151, off, s[0:3], 0 offset:276
	buffer_load_dword v153, off, s[0:3], 0 offset:284
	v_mul_f32_e32 v152, v110, v152
	buffer_load_dword v6, off, s[0:3], 0 offset:292
	v_add_f32_e32 v0, v0, v124
	v_add_f32_e32 v7, v7, v118
	v_fmac_f32_e32 v149, v108, v113
	v_fma_f32 v144, v107, v113, -v144
	v_add_f32_e32 v0, v0, v122
	v_add_f32_e32 v7, v7, v127
	;; [unrolled: 1-line block ×15, first 2 shown]
	s_waitcnt vmcnt(12)
	v_fmac_f32_e32 v150, v110, v163
	s_waitcnt vmcnt(11) lgkmcnt(0)
	v_mul_f32_e32 v118, v2, v8
	v_mul_f32_e32 v8, v3, v8
	v_fma_f32 v152, v109, v163, -v152
	ds_read2_b64 v[107:110], v1 offset0:81 offset1:82
	s_clause 0x3
	buffer_load_dword v127, off, s[0:3], 0 offset:312
	buffer_load_dword v155, off, s[0:3], 0 offset:304
	;; [unrolled: 1-line block ×4, first 2 shown]
	v_fmac_f32_e32 v118, v3, v158
	v_fma_f32 v8, v2, v158, -v8
	v_add_f32_e32 v2, v7, v125
	s_clause 0x1
	buffer_load_dword v7, off, s[0:3], 0 offset:300
	buffer_load_dword v158, off, s[0:3], 0 offset:308
	s_waitcnt vmcnt(16)
	v_mul_f32_e32 v122, v4, v159
	v_mul_f32_e32 v3, v5, v159
	buffer_load_dword v159, off, s[0:3], 0 offset:316
	v_add_f32_e32 v2, v2, v121
	v_add_f32_e32 v0, v0, v152
	v_fmac_f32_e32 v122, v5, v157
	v_fma_f32 v121, v4, v157, -v3
	s_clause 0x1
	buffer_load_dword v157, off, s[0:3], 0 offset:324
	buffer_load_dword v160, off, s[0:3], 0 offset:332
	v_add_f32_e32 v2, v2, v117
	s_clause 0x6
	buffer_load_dword v161, off, s[0:3], 0 offset:340
	buffer_load_dword v162, off, s[0:3], 0 offset:348
	;; [unrolled: 1-line block ×7, first 2 shown]
	v_add_f32_e32 v0, v0, v8
	v_add_f32_e32 v2, v2, v126
	s_waitcnt vmcnt(25) lgkmcnt(0)
	v_mul_f32_e32 v112, v108, v154
	v_mul_f32_e32 v123, v107, v154
	v_add_f32_e32 v0, v0, v121
	v_add_f32_e32 v2, v2, v130
	v_fmac_f32_e32 v123, v108, v139
	v_add_f32_e32 v2, v2, v131
	s_clause 0x3
	buffer_load_dword v129, off, s[0:3], 0 offset:344
	buffer_load_dword v130, off, s[0:3], 0 offset:336
	;; [unrolled: 1-line block ×4, first 2 shown]
	v_add_f32_e32 v2, v2, v134
	s_waitcnt vmcnt(28)
	v_mul_f32_e32 v108, v110, v119
	v_mul_f32_e32 v125, v109, v119
	v_add_f32_e32 v2, v2, v135
	s_clause 0x4
	buffer_load_dword v133, off, s[0:3], 0 offset:376
	buffer_load_dword v134, off, s[0:3], 0 offset:368
	;; [unrolled: 1-line block ×5, first 2 shown]
	s_waitcnt vmcnt(28)
	v_fma_f32 v126, v109, v148, -v108
	v_fmac_f32_e32 v125, v110, v148
	v_add_f32_e32 v2, v2, v142
	buffer_load_dword v142, off, s[0:3], 0
	v_add_f32_e32 v2, v2, v138
	v_add_f32_e32 v111, v2, v145
	ds_read2_b64 v[2:5], v1 offset0:83 offset1:84
	v_add_f32_e32 v111, v111, v120
	v_fma_f32 v120, v107, v139, -v112
	v_add_f32_e32 v107, v111, v149
	ds_read2_b64 v[111:114], v1 offset0:85 offset1:86
	v_add_f32_e32 v0, v0, v120
	v_add_f32_e32 v107, v107, v150
	;; [unrolled: 1-line block ×3, first 2 shown]
	s_waitcnt lgkmcnt(1)
	v_mul_f32_e32 v115, v3, v140
	v_mul_f32_e32 v132, v2, v140
	s_waitcnt vmcnt(28)
	v_mul_f32_e32 v8, v4, v151
	v_fma_f32 v136, v2, v147, -v115
	v_add_f32_e32 v2, v107, v118
	ds_read2_b64 v[107:110], v1 offset0:87 offset1:88
	ds_read2_b64 v[115:118], v1 offset0:89 offset1:90
	v_fmac_f32_e32 v132, v3, v147
	v_mul_f32_e32 v3, v5, v151
	s_waitcnt vmcnt(27) lgkmcnt(2)
	v_mul_f32_e32 v138, v111, v153
	v_add_f32_e32 v2, v2, v122
	v_mul_f32_e32 v119, v112, v153
	s_waitcnt vmcnt(26)
	v_mul_f32_e32 v139, v113, v6
	v_mul_f32_e32 v6, v114, v6
	v_fmac_f32_e32 v138, v112, v141
	v_fma_f32 v140, v4, v146, -v3
	v_fma_f32 v141, v111, v141, -v119
	v_add_f32_e32 v111, v2, v123
	v_add_f32_e32 v0, v0, v136
	v_fmac_f32_e32 v8, v5, v146
	ds_read2_b64 v[2:5], v1 offset0:91 offset1:92
	ds_read2_b64 v[119:122], v1 offset0:93 offset1:94
	v_add_f32_e32 v143, v111, v125
	v_add_f32_e32 v0, v0, v140
	;; [unrolled: 1-line block ×3, first 2 shown]
	s_waitcnt vmcnt(22)
	v_fmac_f32_e32 v139, v114, v124
	v_fma_f32 v6, v113, v124, -v6
	ds_read2_b64 v[111:114], v1 offset0:95 offset1:96
	ds_read2_b64 v[123:126], v1 offset0:97 offset1:98
	v_add_f32_e32 v1, v143, v132
	s_waitcnt vmcnt(21) lgkmcnt(5)
	v_mul_f32_e32 v132, v107, v7
	v_mul_f32_e32 v7, v108, v7
	s_waitcnt vmcnt(20)
	v_mul_f32_e32 v143, v110, v158
	v_add_f32_e32 v0, v0, v6
	v_add_f32_e32 v1, v1, v8
	v_mul_f32_e32 v136, v109, v158
	v_fma_f32 v7, v107, v156, -v7
	v_fmac_f32_e32 v132, v108, v156
	s_waitcnt vmcnt(19) lgkmcnt(4)
	v_mul_f32_e32 v140, v116, v159
	v_add_f32_e32 v1, v1, v138
	v_fma_f32 v109, v109, v155, -v143
	v_add_f32_e32 v0, v0, v7
	v_mul_f32_e32 v8, v115, v159
	v_fmac_f32_e32 v136, v110, v155
	v_add_f32_e32 v1, v1, v139
	s_waitcnt vmcnt(18)
	v_mul_f32_e32 v144, v118, v157
	v_fma_f32 v115, v115, v127, -v140
	v_add_f32_e32 v0, v0, v109
	v_mul_f32_e32 v107, v117, v157
	v_add_f32_e32 v1, v1, v132
	v_fmac_f32_e32 v8, v116, v127
	s_waitcnt vmcnt(17) lgkmcnt(3)
	v_mul_f32_e32 v109, v3, v160
	v_add_f32_e32 v0, v0, v115
	v_mul_f32_e32 v108, v2, v160
	v_add_f32_e32 v1, v1, v136
	s_waitcnt vmcnt(6)
	v_fma_f32 v116, v117, v167, -v144
	v_fmac_f32_e32 v107, v118, v167
	v_fma_f32 v2, v2, v131, -v109
	v_mul_f32_e32 v138, v4, v161
	v_add_f32_e32 v1, v1, v8
	v_mul_f32_e32 v8, v5, v161
	v_add_f32_e32 v0, v0, v116
	v_fmac_f32_e32 v108, v3, v131
	s_waitcnt lgkmcnt(2)
	v_mul_f32_e32 v3, v120, v162
	v_add_f32_e32 v1, v1, v107
	v_fma_f32 v4, v4, v130, -v8
	v_add_f32_e32 v0, v0, v2
	v_mul_f32_e32 v141, v119, v162
	v_fmac_f32_e32 v138, v5, v130
	v_add_f32_e32 v1, v1, v108
	v_mul_f32_e32 v2, v122, v163
	v_fma_f32 v3, v119, v129, -v3
	v_add_f32_e32 v0, v0, v4
	v_mul_f32_e32 v110, v121, v163
	v_fmac_f32_e32 v141, v120, v129
	v_add_f32_e32 v1, v1, v138
	s_waitcnt lgkmcnt(1)
	v_mul_f32_e32 v4, v112, v164
	s_waitcnt vmcnt(2)
	v_fma_f32 v2, v121, v168, -v2
	v_add_f32_e32 v0, v0, v3
	v_mul_f32_e32 v143, v111, v164
	v_fmac_f32_e32 v110, v122, v168
	v_add_f32_e32 v1, v1, v141
	v_mul_f32_e32 v3, v114, v165
	v_fma_f32 v4, v111, v135, -v4
	v_add_f32_e32 v0, v0, v2
	v_mul_f32_e32 v6, v113, v165
	v_fmac_f32_e32 v143, v112, v135
	v_add_f32_e32 v1, v1, v110
	s_waitcnt lgkmcnt(0)
	v_mul_f32_e32 v2, v124, v166
	v_fma_f32 v3, v113, v134, -v3
	v_add_f32_e32 v0, v0, v4
	v_mul_f32_e32 v139, v123, v166
	v_fmac_f32_e32 v6, v114, v134
	v_add_f32_e32 v1, v1, v143
	v_mul_f32_e32 v4, v126, v128
	v_fma_f32 v2, v123, v133, -v2
	v_add_f32_e32 v0, v0, v3
	v_mul_f32_e32 v7, v125, v128
	v_fmac_f32_e32 v139, v124, v133
	v_add_f32_e32 v1, v1, v6
	s_waitcnt vmcnt(1)
	v_fma_f32 v3, v125, v169, -v4
	v_add_f32_e32 v0, v0, v2
	v_fmac_f32_e32 v7, v126, v169
	v_add_f32_e32 v1, v1, v139
	v_add_f32_e32 v0, v0, v3
	;; [unrolled: 1-line block ×3, first 2 shown]
	s_waitcnt vmcnt(0)
	v_sub_f32_e32 v0, v142, v0
	v_sub_f32_e32 v1, v137, v1
	buffer_store_dword v0, off, s[0:3], 0
	buffer_store_dword v1, off, s[0:3], 0 offset:4
	s_cbranch_vccz .LBB48_404
; %bb.308:
	v_mov_b32_e32 v0, 0
	global_load_dword v1, v0, s[20:21] offset:188
	s_waitcnt vmcnt(0)
	v_add_nc_u32_e32 v1, -1, v1
	v_cmp_ne_u32_e32 vcc_lo, 47, v1
	s_cbranch_vccz .LBB48_310
; %bb.309:
	v_lshlrev_b32_e32 v1, 3, v1
	s_clause 0x3
	buffer_load_dword v2, v1, s[0:3], 0 offen
	buffer_load_dword v3, v1, s[0:3], 0 offen offset:4
	buffer_load_dword v4, off, s[0:3], 0 offset:376
	buffer_load_dword v5, off, s[0:3], 0 offset:380
	s_waitcnt vmcnt(3)
	buffer_store_dword v2, off, s[0:3], 0 offset:376
	s_waitcnt vmcnt(2)
	buffer_store_dword v3, off, s[0:3], 0 offset:380
	s_waitcnt vmcnt(1)
	buffer_store_dword v4, v1, s[0:3], 0 offen
	s_waitcnt vmcnt(0)
	buffer_store_dword v5, v1, s[0:3], 0 offen offset:4
.LBB48_310:
	global_load_dword v0, v0, s[20:21] offset:184
	s_waitcnt vmcnt(0)
	v_add_nc_u32_e32 v0, -1, v0
	v_cmp_eq_u32_e32 vcc_lo, 46, v0
	s_cbranch_vccnz .LBB48_312
; %bb.311:
	v_lshlrev_b32_e32 v0, 3, v0
	s_clause 0x3
	buffer_load_dword v1, v0, s[0:3], 0 offen
	buffer_load_dword v2, v0, s[0:3], 0 offen offset:4
	buffer_load_dword v3, off, s[0:3], 0 offset:372
	buffer_load_dword v4, off, s[0:3], 0 offset:368
	s_waitcnt vmcnt(3)
	buffer_store_dword v1, off, s[0:3], 0 offset:368
	s_waitcnt vmcnt(2)
	buffer_store_dword v2, off, s[0:3], 0 offset:372
	s_waitcnt vmcnt(1)
	buffer_store_dword v3, v0, s[0:3], 0 offen offset:4
	s_waitcnt vmcnt(0)
	buffer_store_dword v4, v0, s[0:3], 0 offen
.LBB48_312:
	v_mov_b32_e32 v0, 0
	global_load_dword v1, v0, s[20:21] offset:180
	s_waitcnt vmcnt(0)
	v_add_nc_u32_e32 v1, -1, v1
	v_cmp_eq_u32_e32 vcc_lo, 45, v1
	s_cbranch_vccnz .LBB48_314
; %bb.313:
	v_lshlrev_b32_e32 v1, 3, v1
	s_clause 0x3
	buffer_load_dword v2, v1, s[0:3], 0 offen
	buffer_load_dword v3, v1, s[0:3], 0 offen offset:4
	buffer_load_dword v4, off, s[0:3], 0 offset:360
	buffer_load_dword v5, off, s[0:3], 0 offset:364
	s_waitcnt vmcnt(3)
	buffer_store_dword v2, off, s[0:3], 0 offset:360
	s_waitcnt vmcnt(2)
	buffer_store_dword v3, off, s[0:3], 0 offset:364
	s_waitcnt vmcnt(1)
	buffer_store_dword v4, v1, s[0:3], 0 offen
	s_waitcnt vmcnt(0)
	buffer_store_dword v5, v1, s[0:3], 0 offen offset:4
.LBB48_314:
	global_load_dword v0, v0, s[20:21] offset:176
	s_waitcnt vmcnt(0)
	v_add_nc_u32_e32 v0, -1, v0
	v_cmp_eq_u32_e32 vcc_lo, 44, v0
	s_cbranch_vccnz .LBB48_316
; %bb.315:
	v_lshlrev_b32_e32 v0, 3, v0
	s_clause 0x3
	buffer_load_dword v1, v0, s[0:3], 0 offen
	buffer_load_dword v2, v0, s[0:3], 0 offen offset:4
	buffer_load_dword v3, off, s[0:3], 0 offset:356
	buffer_load_dword v4, off, s[0:3], 0 offset:352
	s_waitcnt vmcnt(3)
	buffer_store_dword v1, off, s[0:3], 0 offset:352
	s_waitcnt vmcnt(2)
	buffer_store_dword v2, off, s[0:3], 0 offset:356
	s_waitcnt vmcnt(1)
	buffer_store_dword v3, v0, s[0:3], 0 offen offset:4
	s_waitcnt vmcnt(0)
	buffer_store_dword v4, v0, s[0:3], 0 offen
.LBB48_316:
	v_mov_b32_e32 v0, 0
	global_load_dword v1, v0, s[20:21] offset:172
	s_waitcnt vmcnt(0)
	v_add_nc_u32_e32 v1, -1, v1
	v_cmp_eq_u32_e32 vcc_lo, 43, v1
	s_cbranch_vccnz .LBB48_318
; %bb.317:
	v_lshlrev_b32_e32 v1, 3, v1
	s_clause 0x3
	buffer_load_dword v2, v1, s[0:3], 0 offen
	buffer_load_dword v3, v1, s[0:3], 0 offen offset:4
	buffer_load_dword v4, off, s[0:3], 0 offset:344
	buffer_load_dword v5, off, s[0:3], 0 offset:348
	s_waitcnt vmcnt(3)
	buffer_store_dword v2, off, s[0:3], 0 offset:344
	s_waitcnt vmcnt(2)
	buffer_store_dword v3, off, s[0:3], 0 offset:348
	s_waitcnt vmcnt(1)
	buffer_store_dword v4, v1, s[0:3], 0 offen
	s_waitcnt vmcnt(0)
	buffer_store_dword v5, v1, s[0:3], 0 offen offset:4
.LBB48_318:
	;; [unrolled: 43-line block ×23, first 2 shown]
	global_load_dword v0, v0, s[20:21]
	s_waitcnt vmcnt(0)
	v_add_nc_u32_e32 v0, -1, v0
	v_cmp_eq_u32_e32 vcc_lo, 0, v0
	s_cbranch_vccnz .LBB48_404
; %bb.403:
	v_lshlrev_b32_e32 v0, 3, v0
	s_clause 0x3
	buffer_load_dword v1, v0, s[0:3], 0 offen
	buffer_load_dword v2, v0, s[0:3], 0 offen offset:4
	buffer_load_dword v3, off, s[0:3], 0 offset:4
	buffer_load_dword v4, off, s[0:3], 0
	s_waitcnt vmcnt(3)
	buffer_store_dword v1, off, s[0:3], 0
	s_waitcnt vmcnt(2)
	buffer_store_dword v2, off, s[0:3], 0 offset:4
	s_waitcnt vmcnt(1)
	buffer_store_dword v3, v0, s[0:3], 0 offen offset:4
	s_waitcnt vmcnt(0)
	buffer_store_dword v4, v0, s[0:3], 0 offen
.LBB48_404:
	s_clause 0x3e
	buffer_load_dword v0, off, s[0:3], 0
	buffer_load_dword v1, off, s[0:3], 0 offset:4
	buffer_load_dword v2, off, s[0:3], 0 offset:8
	;; [unrolled: 1-line block ×62, first 2 shown]
	s_clause 0x22
	buffer_load_dword v162, off, s[0:3], 0 offset:252
	buffer_load_dword v163, off, s[0:3], 0 offset:256
	;; [unrolled: 1-line block ×35, first 2 shown]
	s_waitcnt vmcnt(62)
	global_store_dwordx2 v[91:92], v[0:1], off
	global_store_dwordx2 v[93:94], v[2:3], off
	global_store_dwordx2 v[9:10], v[4:5], off
	global_store_dwordx2 v[11:12], v[6:7], off
	global_store_dwordx2 v[13:14], v[107:108], off
	global_store_dwordx2 v[15:16], v[109:110], off
	global_store_dwordx2 v[17:18], v[111:112], off
	global_store_dwordx2 v[19:20], v[113:114], off
	global_store_dwordx2 v[21:22], v[115:116], off
	global_store_dwordx2 v[23:24], v[117:118], off
	global_store_dwordx2 v[25:26], v[119:120], off
	global_store_dwordx2 v[27:28], v[121:122], off
	global_store_dwordx2 v[29:30], v[123:124], off
	global_store_dwordx2 v[31:32], v[125:126], off
	global_store_dwordx2 v[33:34], v[127:128], off
	global_store_dwordx2 v[35:36], v[129:130], off
	global_store_dwordx2 v[37:38], v[131:132], off
	global_store_dwordx2 v[39:40], v[133:134], off
	s_waitcnt vmcnt(60)
	global_store_dwordx2 v[41:42], v[135:136], off
	s_waitcnt vmcnt(58)
	global_store_dwordx2 v[43:44], v[137:138], off
	;; [unrolled: 2-line block ×31, first 2 shown]
	s_endpgm
	.section	.rodata,"a",@progbits
	.p2align	6, 0x0
	.amdhsa_kernel _ZN9rocsolver6v33100L18getri_kernel_smallILi49E19rocblas_complex_numIfEPS3_EEvT1_iilPiilS6_bb
		.amdhsa_group_segment_fixed_size 792
		.amdhsa_private_segment_fixed_size 400
		.amdhsa_kernarg_size 60
		.amdhsa_user_sgpr_count 6
		.amdhsa_user_sgpr_private_segment_buffer 1
		.amdhsa_user_sgpr_dispatch_ptr 0
		.amdhsa_user_sgpr_queue_ptr 0
		.amdhsa_user_sgpr_kernarg_segment_ptr 1
		.amdhsa_user_sgpr_dispatch_id 0
		.amdhsa_user_sgpr_flat_scratch_init 0
		.amdhsa_user_sgpr_private_segment_size 0
		.amdhsa_wavefront_size32 1
		.amdhsa_uses_dynamic_stack 0
		.amdhsa_system_sgpr_private_segment_wavefront_offset 1
		.amdhsa_system_sgpr_workgroup_id_x 1
		.amdhsa_system_sgpr_workgroup_id_y 0
		.amdhsa_system_sgpr_workgroup_id_z 0
		.amdhsa_system_sgpr_workgroup_info 0
		.amdhsa_system_vgpr_workitem_id 0
		.amdhsa_next_free_vgpr 252
		.amdhsa_next_free_sgpr 23
		.amdhsa_reserve_vcc 1
		.amdhsa_reserve_flat_scratch 0
		.amdhsa_float_round_mode_32 0
		.amdhsa_float_round_mode_16_64 0
		.amdhsa_float_denorm_mode_32 3
		.amdhsa_float_denorm_mode_16_64 3
		.amdhsa_dx10_clamp 1
		.amdhsa_ieee_mode 1
		.amdhsa_fp16_overflow 0
		.amdhsa_workgroup_processor_mode 1
		.amdhsa_memory_ordered 1
		.amdhsa_forward_progress 1
		.amdhsa_shared_vgpr_count 0
		.amdhsa_exception_fp_ieee_invalid_op 0
		.amdhsa_exception_fp_denorm_src 0
		.amdhsa_exception_fp_ieee_div_zero 0
		.amdhsa_exception_fp_ieee_overflow 0
		.amdhsa_exception_fp_ieee_underflow 0
		.amdhsa_exception_fp_ieee_inexact 0
		.amdhsa_exception_int_div_zero 0
	.end_amdhsa_kernel
	.section	.text._ZN9rocsolver6v33100L18getri_kernel_smallILi49E19rocblas_complex_numIfEPS3_EEvT1_iilPiilS6_bb,"axG",@progbits,_ZN9rocsolver6v33100L18getri_kernel_smallILi49E19rocblas_complex_numIfEPS3_EEvT1_iilPiilS6_bb,comdat
.Lfunc_end48:
	.size	_ZN9rocsolver6v33100L18getri_kernel_smallILi49E19rocblas_complex_numIfEPS3_EEvT1_iilPiilS6_bb, .Lfunc_end48-_ZN9rocsolver6v33100L18getri_kernel_smallILi49E19rocblas_complex_numIfEPS3_EEvT1_iilPiilS6_bb
                                        ; -- End function
	.set _ZN9rocsolver6v33100L18getri_kernel_smallILi49E19rocblas_complex_numIfEPS3_EEvT1_iilPiilS6_bb.num_vgpr, 252
	.set _ZN9rocsolver6v33100L18getri_kernel_smallILi49E19rocblas_complex_numIfEPS3_EEvT1_iilPiilS6_bb.num_agpr, 0
	.set _ZN9rocsolver6v33100L18getri_kernel_smallILi49E19rocblas_complex_numIfEPS3_EEvT1_iilPiilS6_bb.numbered_sgpr, 23
	.set _ZN9rocsolver6v33100L18getri_kernel_smallILi49E19rocblas_complex_numIfEPS3_EEvT1_iilPiilS6_bb.num_named_barrier, 0
	.set _ZN9rocsolver6v33100L18getri_kernel_smallILi49E19rocblas_complex_numIfEPS3_EEvT1_iilPiilS6_bb.private_seg_size, 400
	.set _ZN9rocsolver6v33100L18getri_kernel_smallILi49E19rocblas_complex_numIfEPS3_EEvT1_iilPiilS6_bb.uses_vcc, 1
	.set _ZN9rocsolver6v33100L18getri_kernel_smallILi49E19rocblas_complex_numIfEPS3_EEvT1_iilPiilS6_bb.uses_flat_scratch, 0
	.set _ZN9rocsolver6v33100L18getri_kernel_smallILi49E19rocblas_complex_numIfEPS3_EEvT1_iilPiilS6_bb.has_dyn_sized_stack, 0
	.set _ZN9rocsolver6v33100L18getri_kernel_smallILi49E19rocblas_complex_numIfEPS3_EEvT1_iilPiilS6_bb.has_recursion, 0
	.set _ZN9rocsolver6v33100L18getri_kernel_smallILi49E19rocblas_complex_numIfEPS3_EEvT1_iilPiilS6_bb.has_indirect_call, 0
	.section	.AMDGPU.csdata,"",@progbits
; Kernel info:
; codeLenInByte = 93724
; TotalNumSgprs: 25
; NumVgprs: 252
; ScratchSize: 400
; MemoryBound: 0
; FloatMode: 240
; IeeeMode: 1
; LDSByteSize: 792 bytes/workgroup (compile time only)
; SGPRBlocks: 0
; VGPRBlocks: 31
; NumSGPRsForWavesPerEU: 25
; NumVGPRsForWavesPerEU: 252
; Occupancy: 4
; WaveLimiterHint : 1
; COMPUTE_PGM_RSRC2:SCRATCH_EN: 1
; COMPUTE_PGM_RSRC2:USER_SGPR: 6
; COMPUTE_PGM_RSRC2:TRAP_HANDLER: 0
; COMPUTE_PGM_RSRC2:TGID_X_EN: 1
; COMPUTE_PGM_RSRC2:TGID_Y_EN: 0
; COMPUTE_PGM_RSRC2:TGID_Z_EN: 0
; COMPUTE_PGM_RSRC2:TIDIG_COMP_CNT: 0
	.section	.text._ZN9rocsolver6v33100L18getri_kernel_smallILi50E19rocblas_complex_numIfEPS3_EEvT1_iilPiilS6_bb,"axG",@progbits,_ZN9rocsolver6v33100L18getri_kernel_smallILi50E19rocblas_complex_numIfEPS3_EEvT1_iilPiilS6_bb,comdat
	.globl	_ZN9rocsolver6v33100L18getri_kernel_smallILi50E19rocblas_complex_numIfEPS3_EEvT1_iilPiilS6_bb ; -- Begin function _ZN9rocsolver6v33100L18getri_kernel_smallILi50E19rocblas_complex_numIfEPS3_EEvT1_iilPiilS6_bb
	.p2align	8
	.type	_ZN9rocsolver6v33100L18getri_kernel_smallILi50E19rocblas_complex_numIfEPS3_EEvT1_iilPiilS6_bb,@function
_ZN9rocsolver6v33100L18getri_kernel_smallILi50E19rocblas_complex_numIfEPS3_EEvT1_iilPiilS6_bb: ; @_ZN9rocsolver6v33100L18getri_kernel_smallILi50E19rocblas_complex_numIfEPS3_EEvT1_iilPiilS6_bb
; %bb.0:
	s_add_u32 s0, s0, s7
	s_addc_u32 s1, s1, 0
	s_mov_b32 s7, exec_lo
	v_cmpx_gt_u32_e32 50, v0
	s_cbranch_execz .LBB49_214
; %bb.1:
	s_clause 0x2
	s_load_dword s7, s[4:5], 0x38
	s_load_dwordx4 s[16:19], s[4:5], 0x10
	s_load_dwordx4 s[8:11], s[4:5], 0x28
                                        ; implicit-def: $sgpr20_sgpr21
	s_waitcnt lgkmcnt(0)
	s_bitcmp1_b32 s7, 8
	s_cselect_b32 s22, -1, 0
	s_bfe_u32 s12, s7, 0x10008
	s_ashr_i32 s7, s6, 31
	s_cmp_eq_u32 s12, 0
	s_cbranch_scc1 .LBB49_3
; %bb.2:
	s_load_dword s12, s[4:5], 0x20
	s_mul_i32 s13, s8, s7
	s_mul_hi_u32 s14, s8, s6
	s_mul_i32 s9, s9, s6
	s_add_i32 s13, s14, s13
	s_mul_i32 s8, s8, s6
	s_add_i32 s9, s13, s9
	s_lshl_b64 s[8:9], s[8:9], 2
	s_waitcnt lgkmcnt(0)
	s_ashr_i32 s13, s12, 31
	s_add_u32 s14, s18, s8
	s_addc_u32 s15, s19, s9
	s_lshl_b64 s[8:9], s[12:13], 2
	s_add_u32 s20, s14, s8
	s_addc_u32 s21, s15, s9
.LBB49_3:
	s_clause 0x1
	s_load_dwordx4 s[12:15], s[4:5], 0x0
	s_load_dword s8, s[4:5], 0x38
	s_mul_i32 s4, s16, s7
	s_mul_hi_u32 s5, s16, s6
	s_mul_i32 s9, s17, s6
	s_add_i32 s5, s5, s4
	s_mul_i32 s4, s16, s6
	s_add_i32 s5, s5, s9
	s_lshl_b64 s[4:5], s[4:5], 3
	s_waitcnt lgkmcnt(0)
	v_add3_u32 v1, s15, s15, v0
	s_ashr_i32 s17, s14, 31
	s_mov_b32 s16, s14
	s_add_u32 s9, s12, s4
	s_addc_u32 s12, s13, s5
	v_add_nc_u32_e32 v3, s15, v1
	v_ashrrev_i32_e32 v2, 31, v1
	s_lshl_b64 s[4:5], s[16:17], 3
	s_add_u32 s4, s9, s4
	v_add_nc_u32_e32 v5, s15, v3
	v_ashrrev_i32_e32 v4, 31, v3
	v_lshlrev_b64 v[1:2], 3, v[1:2]
	s_addc_u32 s5, s12, s5
	s_ashr_i32 s13, s15, 31
	v_ashrrev_i32_e32 v6, 31, v5
	v_add_nc_u32_e32 v7, s15, v5
	v_lshlrev_b64 v[3:4], 3, v[3:4]
	v_add_co_u32 v9, vcc_lo, s4, v1
	v_add_co_ci_u32_e64 v10, null, s5, v2, vcc_lo
	v_lshlrev_b64 v[1:2], 3, v[5:6]
	v_ashrrev_i32_e32 v8, 31, v7
	v_add_nc_u32_e32 v5, s15, v7
	v_add_co_u32 v11, vcc_lo, s4, v3
	v_add_co_ci_u32_e64 v12, null, s5, v4, vcc_lo
	v_lshlrev_b64 v[3:4], 3, v[7:8]
	v_ashrrev_i32_e32 v6, 31, v5
	v_add_nc_u32_e32 v7, s15, v5
	;; [unrolled: 5-line block ×35, first 2 shown]
	v_add_co_u32 v79, vcc_lo, s4, v3
	v_add_co_ci_u32_e64 v80, null, s5, v4, vcc_lo
	v_lshlrev_b64 v[3:4], 3, v[7:8]
	v_add_nc_u32_e32 v7, s15, v5
	v_ashrrev_i32_e32 v6, 31, v5
	v_add_co_u32 v81, vcc_lo, s4, v1
	v_add_co_ci_u32_e64 v82, null, s5, v2, vcc_lo
	v_ashrrev_i32_e32 v8, 31, v7
	v_lshlrev_b64 v[1:2], 3, v[5:6]
	v_add_co_u32 v83, vcc_lo, s4, v3
	v_add_nc_u32_e32 v6, s15, v7
	v_add_co_ci_u32_e64 v84, null, s5, v4, vcc_lo
	v_lshlrev_b64 v[4:5], 3, v[7:8]
	v_add_co_u32 v85, vcc_lo, s4, v1
	v_ashrrev_i32_e32 v7, 31, v6
	v_add_nc_u32_e32 v1, s15, v6
	v_add_co_ci_u32_e64 v86, null, s5, v2, vcc_lo
	v_add_co_u32 v87, vcc_lo, s4, v4
	v_add_co_ci_u32_e64 v88, null, s5, v5, vcc_lo
	v_lshlrev_b64 v[4:5], 3, v[6:7]
	v_add_nc_u32_e32 v6, s15, v1
	v_lshlrev_b32_e32 v3, 3, v0
	v_ashrrev_i32_e32 v2, 31, v1
	s_mov_b32 s12, s15
	s_clause 0x2
	global_load_dwordx2 v[111:112], v[9:10], off
	global_load_dwordx2 v[113:114], v[11:12], off
	global_load_dwordx2 v[109:110], v3, s[4:5]
	v_add_nc_u32_e32 v99, s15, v6
	v_add_co_u32 v93, s9, s4, v3
	v_ashrrev_i32_e32 v7, 31, v6
	v_add_co_ci_u32_e64 v94, null, s5, 0, s9
	v_add_nc_u32_e32 v101, s15, v99
	v_ashrrev_i32_e32 v100, 31, v99
	s_lshl_b64 s[12:13], s[12:13], 3
	v_lshlrev_b64 v[1:2], 3, v[1:2]
	v_add_co_u32 v95, vcc_lo, v93, s12
	v_add_nc_u32_e32 v103, s15, v101
	v_ashrrev_i32_e32 v102, 31, v101
	v_lshlrev_b64 v[6:7], 3, v[6:7]
	v_add_co_ci_u32_e64 v96, null, s13, v94, vcc_lo
	v_add_nc_u32_e32 v105, s15, v103
	v_ashrrev_i32_e32 v104, 31, v103
	v_add_co_u32 v89, vcc_lo, s4, v4
	v_lshlrev_b64 v[99:100], 3, v[99:100]
	v_add_nc_u32_e32 v107, s15, v105
	v_ashrrev_i32_e32 v106, 31, v105
	v_add_co_ci_u32_e64 v90, null, s5, v5, vcc_lo
	v_add_co_u32 v91, vcc_lo, s4, v1
	v_lshlrev_b64 v[101:102], 3, v[101:102]
	v_ashrrev_i32_e32 v108, 31, v107
	v_add_co_ci_u32_e64 v92, null, s5, v2, vcc_lo
	v_add_co_u32 v97, vcc_lo, s4, v6
	v_lshlrev_b64 v[103:104], 3, v[103:104]
	v_add_co_ci_u32_e64 v98, null, s5, v7, vcc_lo
	v_add_co_u32 v99, vcc_lo, s4, v99
	v_lshlrev_b64 v[105:106], 3, v[105:106]
	;; [unrolled: 3-line block ×3, first 2 shown]
	v_add_co_ci_u32_e64 v102, null, s5, v102, vcc_lo
	v_add_co_u32 v103, vcc_lo, s4, v103
	v_add_co_ci_u32_e64 v104, null, s5, v104, vcc_lo
	v_add_co_u32 v105, vcc_lo, s4, v105
	;; [unrolled: 2-line block ×3, first 2 shown]
	v_add_co_ci_u32_e64 v108, null, s5, v108, vcc_lo
	s_clause 0x2e
	global_load_dwordx2 v[4:5], v[95:96], off
	global_load_dwordx2 v[115:116], v[13:14], off
	;; [unrolled: 1-line block ×47, first 2 shown]
	s_mov_b32 s5, -1
	s_bitcmp0_b32 s8, 0
	s_waitcnt vmcnt(47)
	buffer_store_dword v110, off, s[0:3], 0 offset:4
	buffer_store_dword v109, off, s[0:3], 0
	s_waitcnt vmcnt(46)
	buffer_store_dword v5, off, s[0:3], 0 offset:12
	buffer_store_dword v4, off, s[0:3], 0 offset:8
	;; [unrolled: 1-line block ×6, first 2 shown]
	s_waitcnt vmcnt(45)
	buffer_store_dword v116, off, s[0:3], 0 offset:36
	buffer_store_dword v115, off, s[0:3], 0 offset:32
	s_waitcnt vmcnt(44)
	buffer_store_dword v118, off, s[0:3], 0 offset:44
	buffer_store_dword v117, off, s[0:3], 0 offset:40
	;; [unrolled: 3-line block ×46, first 2 shown]
	s_cbranch_scc1 .LBB49_212
; %bb.4:
	v_cmp_eq_u32_e64 s4, 0, v0
	s_and_saveexec_b32 s5, s4
; %bb.5:
	v_mov_b32_e32 v1, 0
	ds_write_b32 v1, v1 offset:800
; %bb.6:
	s_or_b32 exec_lo, exec_lo, s5
	v_lshl_add_u32 v5, v0, 3, 0
	s_waitcnt lgkmcnt(0)
	s_waitcnt_vscnt null, 0x0
	s_barrier
	buffer_gl0_inv
	s_clause 0x1
	buffer_load_dword v1, v5, s[0:3], 0 offen
	buffer_load_dword v2, v5, s[0:3], 0 offen offset:4
	s_waitcnt vmcnt(1)
	v_cmp_eq_f32_e32 vcc_lo, 0, v1
	s_waitcnt vmcnt(0)
	v_cmp_eq_f32_e64 s5, 0, v2
	s_and_b32 s5, vcc_lo, s5
	s_and_saveexec_b32 s8, s5
	s_cbranch_execz .LBB49_10
; %bb.7:
	v_mov_b32_e32 v1, 0
	s_mov_b32 s9, 0
	ds_read_b32 v2, v1 offset:800
	s_waitcnt lgkmcnt(0)
	v_readfirstlane_b32 s5, v2
	v_add_nc_u32_e32 v2, 1, v0
	s_cmp_eq_u32 s5, 0
	v_cmp_gt_i32_e32 vcc_lo, s5, v2
	s_cselect_b32 s12, -1, 0
	s_or_b32 s12, s12, vcc_lo
	s_and_b32 exec_lo, exec_lo, s12
	s_cbranch_execz .LBB49_10
; %bb.8:
	v_mov_b32_e32 v4, s5
.LBB49_9:                               ; =>This Inner Loop Header: Depth=1
	ds_cmpst_rtn_b32 v4, v1, v4, v2 offset:800
	s_waitcnt lgkmcnt(0)
	v_cmp_ne_u32_e32 vcc_lo, 0, v4
	v_cmp_le_i32_e64 s5, v4, v2
	s_and_b32 s5, vcc_lo, s5
	s_and_b32 s5, exec_lo, s5
	s_or_b32 s9, s5, s9
	s_andn2_b32 exec_lo, exec_lo, s9
	s_cbranch_execnz .LBB49_9
.LBB49_10:
	s_or_b32 exec_lo, exec_lo, s8
	v_mov_b32_e32 v1, 0
	s_barrier
	buffer_gl0_inv
	ds_read_b32 v2, v1 offset:800
	s_and_saveexec_b32 s5, s4
	s_cbranch_execz .LBB49_12
; %bb.11:
	s_lshl_b64 s[8:9], s[6:7], 2
	s_add_u32 s8, s10, s8
	s_addc_u32 s9, s11, s9
	s_waitcnt lgkmcnt(0)
	global_store_dword v1, v2, s[8:9]
.LBB49_12:
	s_or_b32 exec_lo, exec_lo, s5
	s_waitcnt lgkmcnt(0)
	v_cmp_ne_u32_e32 vcc_lo, 0, v2
	s_mov_b32 s5, 0
	s_cbranch_vccnz .LBB49_212
; %bb.13:
	s_clause 0x1
	buffer_load_dword v2, v5, s[0:3], 0 offen
	buffer_load_dword v4, v5, s[0:3], 0 offen offset:4
                                        ; implicit-def: $vgpr7
                                        ; implicit-def: $vgpr6
                                        ; implicit-def: $vgpr1
	s_waitcnt vmcnt(0)
	v_cmp_ngt_f32_e64 s5, |v2|, |v4|
	s_and_saveexec_b32 s8, s5
	s_xor_b32 s5, exec_lo, s8
	s_cbranch_execz .LBB49_15
; %bb.14:
	v_div_scale_f32 v1, null, v4, v4, v2
	v_div_scale_f32 v8, vcc_lo, v2, v4, v2
	v_rcp_f32_e32 v6, v1
	v_fma_f32 v7, -v1, v6, 1.0
	v_fmac_f32_e32 v6, v7, v6
	v_mul_f32_e32 v7, v8, v6
	v_fma_f32 v109, -v1, v7, v8
	v_fmac_f32_e32 v7, v109, v6
	v_fma_f32 v1, -v1, v7, v8
	v_div_fmas_f32 v1, v1, v6, v7
	v_div_fixup_f32 v1, v1, v4, v2
	v_fmac_f32_e32 v4, v2, v1
	v_div_scale_f32 v2, null, v4, v4, 1.0
	v_rcp_f32_e32 v6, v2
	v_fma_f32 v7, -v2, v6, 1.0
	v_fmac_f32_e32 v6, v7, v6
	v_div_scale_f32 v7, vcc_lo, 1.0, v4, 1.0
	v_mul_f32_e32 v8, v7, v6
	v_fma_f32 v109, -v2, v8, v7
	v_fmac_f32_e32 v8, v109, v6
	v_fma_f32 v2, -v2, v8, v7
	v_div_fmas_f32 v2, v2, v6, v8
	v_div_fixup_f32 v2, v2, v4, 1.0
                                        ; implicit-def: $vgpr4
	v_mul_f32_e32 v7, v1, v2
	v_xor_b32_e32 v6, 0x80000000, v2
                                        ; implicit-def: $vgpr2
	v_xor_b32_e32 v1, 0x80000000, v7
.LBB49_15:
	s_andn2_saveexec_b32 s5, s5
	s_cbranch_execz .LBB49_17
; %bb.16:
	v_div_scale_f32 v1, null, v2, v2, v4
	v_div_scale_f32 v8, vcc_lo, v4, v2, v4
	v_rcp_f32_e32 v6, v1
	v_fma_f32 v7, -v1, v6, 1.0
	v_fmac_f32_e32 v6, v7, v6
	v_mul_f32_e32 v7, v8, v6
	v_fma_f32 v109, -v1, v7, v8
	v_fmac_f32_e32 v7, v109, v6
	v_fma_f32 v1, -v1, v7, v8
	v_div_fmas_f32 v1, v1, v6, v7
	v_div_fixup_f32 v6, v1, v2, v4
	v_fmac_f32_e32 v2, v4, v6
	v_div_scale_f32 v1, null, v2, v2, 1.0
	v_div_scale_f32 v8, vcc_lo, 1.0, v2, 1.0
	v_rcp_f32_e32 v4, v1
	v_fma_f32 v7, -v1, v4, 1.0
	v_fmac_f32_e32 v4, v7, v4
	v_mul_f32_e32 v7, v8, v4
	v_fma_f32 v109, -v1, v7, v8
	v_fmac_f32_e32 v7, v109, v4
	v_fma_f32 v1, -v1, v7, v8
	v_div_fmas_f32 v1, v1, v4, v7
	v_div_fixup_f32 v7, v1, v2, 1.0
	v_xor_b32_e32 v1, 0x80000000, v7
	v_mul_f32_e64 v6, v6, -v7
.LBB49_17:
	s_or_b32 exec_lo, exec_lo, s5
	buffer_store_dword v7, v5, s[0:3], 0 offen
	buffer_store_dword v6, v5, s[0:3], 0 offen offset:4
	s_clause 0x1
	buffer_load_dword v8, off, s[0:3], 0 offset:12
	buffer_load_dword v7, off, s[0:3], 0 offset:8
	v_xor_b32_e32 v2, 0x80000000, v6
	v_add_nc_u32_e32 v4, 0x190, v3
	s_waitcnt vmcnt(0)
	ds_write2_b64 v3, v[1:2], v[7:8] offset1:50
	s_waitcnt lgkmcnt(0)
	s_waitcnt_vscnt null, 0x0
	s_barrier
	buffer_gl0_inv
	s_and_saveexec_b32 s5, s4
	s_cbranch_execz .LBB49_19
; %bb.18:
	s_clause 0x1
	buffer_load_dword v8, v5, s[0:3], 0 offen offset:4
	buffer_load_dword v109, v5, s[0:3], 0 offen
	ds_read_b64 v[1:2], v4
	v_mov_b32_e32 v6, 0
	ds_read_b64 v[6:7], v6 offset:8
	s_waitcnt vmcnt(1) lgkmcnt(1)
	v_mul_f32_e32 v110, v1, v8
	v_mul_f32_e32 v8, v2, v8
	s_waitcnt vmcnt(0)
	v_fmac_f32_e32 v110, v2, v109
	v_fma_f32 v1, v1, v109, -v8
	v_add_f32_e32 v2, 0, v110
	v_add_f32_e32 v1, 0, v1
	s_waitcnt lgkmcnt(0)
	v_mul_f32_e32 v8, v2, v7
	v_mul_f32_e32 v7, v1, v7
	v_fma_f32 v1, v1, v6, -v8
	v_fmac_f32_e32 v7, v2, v6
	buffer_store_dword v1, off, s[0:3], 0 offset:8
	buffer_store_dword v7, off, s[0:3], 0 offset:12
.LBB49_19:
	s_or_b32 exec_lo, exec_lo, s5
	s_waitcnt_vscnt null, 0x0
	s_barrier
	buffer_gl0_inv
	s_clause 0x1
	buffer_load_dword v1, off, s[0:3], 0 offset:16
	buffer_load_dword v2, off, s[0:3], 0 offset:20
	s_mov_b32 s5, exec_lo
	s_waitcnt vmcnt(0)
	ds_write_b64 v4, v[1:2]
	s_waitcnt lgkmcnt(0)
	s_barrier
	buffer_gl0_inv
	v_cmpx_gt_u32_e32 2, v0
	s_cbranch_execz .LBB49_23
; %bb.20:
	s_clause 0x1
	buffer_load_dword v6, v5, s[0:3], 0 offen offset:4
	buffer_load_dword v5, v5, s[0:3], 0 offen
	ds_read_b64 v[1:2], v4
	s_waitcnt vmcnt(1) lgkmcnt(0)
	v_mul_f32_e32 v7, v2, v6
	v_mul_f32_e32 v6, v1, v6
	s_waitcnt vmcnt(0)
	v_fma_f32 v1, v1, v5, -v7
	v_fmac_f32_e32 v6, v2, v5
	v_add_f32_e32 v2, 0, v1
	v_add_f32_e32 v1, 0, v6
	s_and_saveexec_b32 s8, s4
	s_cbranch_execz .LBB49_22
; %bb.21:
	s_clause 0x1
	buffer_load_dword v7, off, s[0:3], 0 offset:12
	buffer_load_dword v8, off, s[0:3], 0 offset:8
	v_mov_b32_e32 v5, 0
	ds_read_b64 v[5:6], v5 offset:408
	s_waitcnt vmcnt(1) lgkmcnt(0)
	v_mul_f32_e32 v109, v5, v7
	v_mul_f32_e32 v7, v6, v7
	s_waitcnt vmcnt(0)
	v_fmac_f32_e32 v109, v6, v8
	v_fma_f32 v5, v5, v8, -v7
	v_add_f32_e32 v1, v1, v109
	v_add_f32_e32 v2, v2, v5
.LBB49_22:
	s_or_b32 exec_lo, exec_lo, s8
	v_mov_b32_e32 v5, 0
	ds_read_b64 v[5:6], v5 offset:16
	s_waitcnt lgkmcnt(0)
	v_mul_f32_e32 v7, v1, v6
	v_mul_f32_e32 v6, v2, v6
	v_fma_f32 v2, v2, v5, -v7
	v_fmac_f32_e32 v6, v1, v5
	buffer_store_dword v2, off, s[0:3], 0 offset:16
	buffer_store_dword v6, off, s[0:3], 0 offset:20
.LBB49_23:
	s_or_b32 exec_lo, exec_lo, s5
	s_waitcnt_vscnt null, 0x0
	s_barrier
	buffer_gl0_inv
	s_clause 0x1
	buffer_load_dword v5, off, s[0:3], 0 offset:24
	buffer_load_dword v6, off, s[0:3], 0 offset:28
	v_add_nc_u32_e32 v1, -1, v0
	s_mov_b32 s4, exec_lo
	s_waitcnt vmcnt(0)
	ds_write_b64 v4, v[5:6]
	s_waitcnt lgkmcnt(0)
	s_barrier
	buffer_gl0_inv
	v_cmpx_gt_u32_e32 3, v0
	s_cbranch_execz .LBB49_27
; %bb.24:
	v_add_nc_u32_e32 v5, -1, v0
	v_add_nc_u32_e32 v6, 0x190, v3
	v_mov_b32_e32 v7, v3
	v_mov_b32_e32 v2, 0
	;; [unrolled: 1-line block ×3, first 2 shown]
	s_mov_b32 s5, 0
	.p2align	6
.LBB49_25:                              ; =>This Inner Loop Header: Depth=1
	s_clause 0x1
	buffer_load_dword v111, v7, s[0:3], 0 offen offset:4
	buffer_load_dword v112, v7, s[0:3], 0 offen
	ds_read_b64 v[109:110], v6
	v_add_nc_u32_e32 v5, 1, v5
	v_add_nc_u32_e32 v6, 8, v6
	;; [unrolled: 1-line block ×3, first 2 shown]
	v_cmp_lt_u32_e32 vcc_lo, 1, v5
	s_or_b32 s5, vcc_lo, s5
	s_waitcnt vmcnt(1) lgkmcnt(0)
	v_mul_f32_e32 v113, v110, v111
	v_mul_f32_e32 v111, v109, v111
	s_waitcnt vmcnt(0)
	v_fma_f32 v109, v109, v112, -v113
	v_fmac_f32_e32 v111, v110, v112
	v_add_f32_e32 v8, v8, v109
	v_add_f32_e32 v2, v2, v111
	s_andn2_b32 exec_lo, exec_lo, s5
	s_cbranch_execnz .LBB49_25
; %bb.26:
	s_or_b32 exec_lo, exec_lo, s5
	v_mov_b32_e32 v5, 0
	ds_read_b64 v[5:6], v5 offset:24
	s_waitcnt lgkmcnt(0)
	v_mul_f32_e32 v7, v2, v6
	v_mul_f32_e32 v6, v8, v6
	v_fma_f32 v7, v8, v5, -v7
	v_fmac_f32_e32 v6, v2, v5
	buffer_store_dword v7, off, s[0:3], 0 offset:24
	buffer_store_dword v6, off, s[0:3], 0 offset:28
.LBB49_27:
	s_or_b32 exec_lo, exec_lo, s4
	s_waitcnt_vscnt null, 0x0
	s_barrier
	buffer_gl0_inv
	s_clause 0x1
	buffer_load_dword v5, off, s[0:3], 0 offset:32
	buffer_load_dword v6, off, s[0:3], 0 offset:36
	s_mov_b32 s4, exec_lo
	s_waitcnt vmcnt(0)
	ds_write_b64 v4, v[5:6]
	s_waitcnt lgkmcnt(0)
	s_barrier
	buffer_gl0_inv
	v_cmpx_gt_u32_e32 4, v0
	s_cbranch_execz .LBB49_31
; %bb.28:
	v_add_nc_u32_e32 v5, -1, v0
	v_add_nc_u32_e32 v6, 0x190, v3
	v_mov_b32_e32 v7, v3
	v_mov_b32_e32 v2, 0
	;; [unrolled: 1-line block ×3, first 2 shown]
	s_mov_b32 s5, 0
	.p2align	6
.LBB49_29:                              ; =>This Inner Loop Header: Depth=1
	s_clause 0x1
	buffer_load_dword v111, v7, s[0:3], 0 offen offset:4
	buffer_load_dword v112, v7, s[0:3], 0 offen
	ds_read_b64 v[109:110], v6
	v_add_nc_u32_e32 v5, 1, v5
	v_add_nc_u32_e32 v6, 8, v6
	;; [unrolled: 1-line block ×3, first 2 shown]
	v_cmp_lt_u32_e32 vcc_lo, 2, v5
	s_or_b32 s5, vcc_lo, s5
	s_waitcnt vmcnt(1) lgkmcnt(0)
	v_mul_f32_e32 v113, v110, v111
	v_mul_f32_e32 v111, v109, v111
	s_waitcnt vmcnt(0)
	v_fma_f32 v109, v109, v112, -v113
	v_fmac_f32_e32 v111, v110, v112
	v_add_f32_e32 v8, v8, v109
	v_add_f32_e32 v2, v2, v111
	s_andn2_b32 exec_lo, exec_lo, s5
	s_cbranch_execnz .LBB49_29
; %bb.30:
	s_or_b32 exec_lo, exec_lo, s5
	v_mov_b32_e32 v5, 0
	ds_read_b64 v[5:6], v5 offset:32
	s_waitcnt lgkmcnt(0)
	v_mul_f32_e32 v7, v2, v6
	v_mul_f32_e32 v6, v8, v6
	v_fma_f32 v7, v8, v5, -v7
	v_fmac_f32_e32 v6, v2, v5
	buffer_store_dword v7, off, s[0:3], 0 offset:32
	buffer_store_dword v6, off, s[0:3], 0 offset:36
.LBB49_31:
	s_or_b32 exec_lo, exec_lo, s4
	s_waitcnt_vscnt null, 0x0
	s_barrier
	buffer_gl0_inv
	s_clause 0x1
	buffer_load_dword v5, off, s[0:3], 0 offset:40
	buffer_load_dword v6, off, s[0:3], 0 offset:44
	s_mov_b32 s4, exec_lo
	s_waitcnt vmcnt(0)
	ds_write_b64 v4, v[5:6]
	s_waitcnt lgkmcnt(0)
	s_barrier
	buffer_gl0_inv
	v_cmpx_gt_u32_e32 5, v0
	s_cbranch_execz .LBB49_35
; %bb.32:
	v_add_nc_u32_e32 v5, -1, v0
	v_add_nc_u32_e32 v6, 0x190, v3
	v_mov_b32_e32 v7, v3
	v_mov_b32_e32 v2, 0
	;; [unrolled: 1-line block ×3, first 2 shown]
	s_mov_b32 s5, 0
	.p2align	6
.LBB49_33:                              ; =>This Inner Loop Header: Depth=1
	s_clause 0x1
	buffer_load_dword v111, v7, s[0:3], 0 offen offset:4
	buffer_load_dword v112, v7, s[0:3], 0 offen
	ds_read_b64 v[109:110], v6
	v_add_nc_u32_e32 v5, 1, v5
	v_add_nc_u32_e32 v6, 8, v6
	v_add_nc_u32_e32 v7, 8, v7
	v_cmp_lt_u32_e32 vcc_lo, 3, v5
	s_or_b32 s5, vcc_lo, s5
	s_waitcnt vmcnt(1) lgkmcnt(0)
	v_mul_f32_e32 v113, v110, v111
	v_mul_f32_e32 v111, v109, v111
	s_waitcnt vmcnt(0)
	v_fma_f32 v109, v109, v112, -v113
	v_fmac_f32_e32 v111, v110, v112
	v_add_f32_e32 v8, v8, v109
	v_add_f32_e32 v2, v2, v111
	s_andn2_b32 exec_lo, exec_lo, s5
	s_cbranch_execnz .LBB49_33
; %bb.34:
	s_or_b32 exec_lo, exec_lo, s5
	v_mov_b32_e32 v5, 0
	ds_read_b64 v[5:6], v5 offset:40
	s_waitcnt lgkmcnt(0)
	v_mul_f32_e32 v7, v2, v6
	v_mul_f32_e32 v6, v8, v6
	v_fma_f32 v7, v8, v5, -v7
	v_fmac_f32_e32 v6, v2, v5
	buffer_store_dword v7, off, s[0:3], 0 offset:40
	buffer_store_dword v6, off, s[0:3], 0 offset:44
.LBB49_35:
	s_or_b32 exec_lo, exec_lo, s4
	s_waitcnt_vscnt null, 0x0
	s_barrier
	buffer_gl0_inv
	s_clause 0x1
	buffer_load_dword v5, off, s[0:3], 0 offset:48
	buffer_load_dword v6, off, s[0:3], 0 offset:52
	s_mov_b32 s4, exec_lo
	s_waitcnt vmcnt(0)
	ds_write_b64 v4, v[5:6]
	s_waitcnt lgkmcnt(0)
	s_barrier
	buffer_gl0_inv
	v_cmpx_gt_u32_e32 6, v0
	s_cbranch_execz .LBB49_39
; %bb.36:
	v_add_nc_u32_e32 v5, -1, v0
	v_add_nc_u32_e32 v6, 0x190, v3
	v_mov_b32_e32 v7, v3
	v_mov_b32_e32 v2, 0
	v_mov_b32_e32 v8, 0
	s_mov_b32 s5, 0
	.p2align	6
.LBB49_37:                              ; =>This Inner Loop Header: Depth=1
	s_clause 0x1
	buffer_load_dword v111, v7, s[0:3], 0 offen offset:4
	buffer_load_dword v112, v7, s[0:3], 0 offen
	ds_read_b64 v[109:110], v6
	v_add_nc_u32_e32 v5, 1, v5
	v_add_nc_u32_e32 v6, 8, v6
	;; [unrolled: 1-line block ×3, first 2 shown]
	v_cmp_lt_u32_e32 vcc_lo, 4, v5
	s_or_b32 s5, vcc_lo, s5
	s_waitcnt vmcnt(1) lgkmcnt(0)
	v_mul_f32_e32 v113, v110, v111
	v_mul_f32_e32 v111, v109, v111
	s_waitcnt vmcnt(0)
	v_fma_f32 v109, v109, v112, -v113
	v_fmac_f32_e32 v111, v110, v112
	v_add_f32_e32 v8, v8, v109
	v_add_f32_e32 v2, v2, v111
	s_andn2_b32 exec_lo, exec_lo, s5
	s_cbranch_execnz .LBB49_37
; %bb.38:
	s_or_b32 exec_lo, exec_lo, s5
	v_mov_b32_e32 v5, 0
	ds_read_b64 v[5:6], v5 offset:48
	s_waitcnt lgkmcnt(0)
	v_mul_f32_e32 v7, v2, v6
	v_mul_f32_e32 v6, v8, v6
	v_fma_f32 v7, v8, v5, -v7
	v_fmac_f32_e32 v6, v2, v5
	buffer_store_dword v7, off, s[0:3], 0 offset:48
	buffer_store_dword v6, off, s[0:3], 0 offset:52
.LBB49_39:
	s_or_b32 exec_lo, exec_lo, s4
	s_waitcnt_vscnt null, 0x0
	s_barrier
	buffer_gl0_inv
	s_clause 0x1
	buffer_load_dword v5, off, s[0:3], 0 offset:56
	buffer_load_dword v6, off, s[0:3], 0 offset:60
	s_mov_b32 s4, exec_lo
	s_waitcnt vmcnt(0)
	ds_write_b64 v4, v[5:6]
	s_waitcnt lgkmcnt(0)
	s_barrier
	buffer_gl0_inv
	v_cmpx_gt_u32_e32 7, v0
	s_cbranch_execz .LBB49_43
; %bb.40:
	v_add_nc_u32_e32 v5, -1, v0
	v_add_nc_u32_e32 v6, 0x190, v3
	v_mov_b32_e32 v7, v3
	v_mov_b32_e32 v2, 0
	;; [unrolled: 1-line block ×3, first 2 shown]
	s_mov_b32 s5, 0
	.p2align	6
.LBB49_41:                              ; =>This Inner Loop Header: Depth=1
	s_clause 0x1
	buffer_load_dword v111, v7, s[0:3], 0 offen offset:4
	buffer_load_dword v112, v7, s[0:3], 0 offen
	ds_read_b64 v[109:110], v6
	v_add_nc_u32_e32 v5, 1, v5
	v_add_nc_u32_e32 v6, 8, v6
	;; [unrolled: 1-line block ×3, first 2 shown]
	v_cmp_lt_u32_e32 vcc_lo, 5, v5
	s_or_b32 s5, vcc_lo, s5
	s_waitcnt vmcnt(1) lgkmcnt(0)
	v_mul_f32_e32 v113, v110, v111
	v_mul_f32_e32 v111, v109, v111
	s_waitcnt vmcnt(0)
	v_fma_f32 v109, v109, v112, -v113
	v_fmac_f32_e32 v111, v110, v112
	v_add_f32_e32 v8, v8, v109
	v_add_f32_e32 v2, v2, v111
	s_andn2_b32 exec_lo, exec_lo, s5
	s_cbranch_execnz .LBB49_41
; %bb.42:
	s_or_b32 exec_lo, exec_lo, s5
	v_mov_b32_e32 v5, 0
	ds_read_b64 v[5:6], v5 offset:56
	s_waitcnt lgkmcnt(0)
	v_mul_f32_e32 v7, v2, v6
	v_mul_f32_e32 v6, v8, v6
	v_fma_f32 v7, v8, v5, -v7
	v_fmac_f32_e32 v6, v2, v5
	buffer_store_dword v7, off, s[0:3], 0 offset:56
	buffer_store_dword v6, off, s[0:3], 0 offset:60
.LBB49_43:
	s_or_b32 exec_lo, exec_lo, s4
	s_waitcnt_vscnt null, 0x0
	s_barrier
	buffer_gl0_inv
	s_clause 0x1
	buffer_load_dword v5, off, s[0:3], 0 offset:64
	buffer_load_dword v6, off, s[0:3], 0 offset:68
	s_mov_b32 s4, exec_lo
	s_waitcnt vmcnt(0)
	ds_write_b64 v4, v[5:6]
	s_waitcnt lgkmcnt(0)
	s_barrier
	buffer_gl0_inv
	v_cmpx_gt_u32_e32 8, v0
	s_cbranch_execz .LBB49_47
; %bb.44:
	v_add_nc_u32_e32 v5, -1, v0
	v_add_nc_u32_e32 v6, 0x190, v3
	v_mov_b32_e32 v7, v3
	v_mov_b32_e32 v2, 0
	;; [unrolled: 1-line block ×3, first 2 shown]
	s_mov_b32 s5, 0
	.p2align	6
.LBB49_45:                              ; =>This Inner Loop Header: Depth=1
	s_clause 0x1
	buffer_load_dword v111, v7, s[0:3], 0 offen offset:4
	buffer_load_dword v112, v7, s[0:3], 0 offen
	ds_read_b64 v[109:110], v6
	v_add_nc_u32_e32 v5, 1, v5
	v_add_nc_u32_e32 v6, 8, v6
	;; [unrolled: 1-line block ×3, first 2 shown]
	v_cmp_lt_u32_e32 vcc_lo, 6, v5
	s_or_b32 s5, vcc_lo, s5
	s_waitcnt vmcnt(1) lgkmcnt(0)
	v_mul_f32_e32 v113, v110, v111
	v_mul_f32_e32 v111, v109, v111
	s_waitcnt vmcnt(0)
	v_fma_f32 v109, v109, v112, -v113
	v_fmac_f32_e32 v111, v110, v112
	v_add_f32_e32 v8, v8, v109
	v_add_f32_e32 v2, v2, v111
	s_andn2_b32 exec_lo, exec_lo, s5
	s_cbranch_execnz .LBB49_45
; %bb.46:
	s_or_b32 exec_lo, exec_lo, s5
	v_mov_b32_e32 v5, 0
	ds_read_b64 v[5:6], v5 offset:64
	s_waitcnt lgkmcnt(0)
	v_mul_f32_e32 v7, v2, v6
	v_mul_f32_e32 v6, v8, v6
	v_fma_f32 v7, v8, v5, -v7
	v_fmac_f32_e32 v6, v2, v5
	buffer_store_dword v7, off, s[0:3], 0 offset:64
	buffer_store_dword v6, off, s[0:3], 0 offset:68
.LBB49_47:
	s_or_b32 exec_lo, exec_lo, s4
	s_waitcnt_vscnt null, 0x0
	s_barrier
	buffer_gl0_inv
	s_clause 0x1
	buffer_load_dword v5, off, s[0:3], 0 offset:72
	buffer_load_dword v6, off, s[0:3], 0 offset:76
	s_mov_b32 s4, exec_lo
	s_waitcnt vmcnt(0)
	ds_write_b64 v4, v[5:6]
	s_waitcnt lgkmcnt(0)
	s_barrier
	buffer_gl0_inv
	v_cmpx_gt_u32_e32 9, v0
	s_cbranch_execz .LBB49_51
; %bb.48:
	v_add_nc_u32_e32 v5, -1, v0
	v_add_nc_u32_e32 v6, 0x190, v3
	v_mov_b32_e32 v7, v3
	v_mov_b32_e32 v2, 0
	;; [unrolled: 1-line block ×3, first 2 shown]
	s_mov_b32 s5, 0
	.p2align	6
.LBB49_49:                              ; =>This Inner Loop Header: Depth=1
	s_clause 0x1
	buffer_load_dword v111, v7, s[0:3], 0 offen offset:4
	buffer_load_dword v112, v7, s[0:3], 0 offen
	ds_read_b64 v[109:110], v6
	v_add_nc_u32_e32 v5, 1, v5
	v_add_nc_u32_e32 v6, 8, v6
	;; [unrolled: 1-line block ×3, first 2 shown]
	v_cmp_lt_u32_e32 vcc_lo, 7, v5
	s_or_b32 s5, vcc_lo, s5
	s_waitcnt vmcnt(1) lgkmcnt(0)
	v_mul_f32_e32 v113, v110, v111
	v_mul_f32_e32 v111, v109, v111
	s_waitcnt vmcnt(0)
	v_fma_f32 v109, v109, v112, -v113
	v_fmac_f32_e32 v111, v110, v112
	v_add_f32_e32 v8, v8, v109
	v_add_f32_e32 v2, v2, v111
	s_andn2_b32 exec_lo, exec_lo, s5
	s_cbranch_execnz .LBB49_49
; %bb.50:
	s_or_b32 exec_lo, exec_lo, s5
	v_mov_b32_e32 v5, 0
	ds_read_b64 v[5:6], v5 offset:72
	s_waitcnt lgkmcnt(0)
	v_mul_f32_e32 v7, v2, v6
	v_mul_f32_e32 v6, v8, v6
	v_fma_f32 v7, v8, v5, -v7
	v_fmac_f32_e32 v6, v2, v5
	buffer_store_dword v7, off, s[0:3], 0 offset:72
	buffer_store_dword v6, off, s[0:3], 0 offset:76
.LBB49_51:
	s_or_b32 exec_lo, exec_lo, s4
	s_waitcnt_vscnt null, 0x0
	s_barrier
	buffer_gl0_inv
	s_clause 0x1
	buffer_load_dword v5, off, s[0:3], 0 offset:80
	buffer_load_dword v6, off, s[0:3], 0 offset:84
	s_mov_b32 s4, exec_lo
	s_waitcnt vmcnt(0)
	ds_write_b64 v4, v[5:6]
	s_waitcnt lgkmcnt(0)
	s_barrier
	buffer_gl0_inv
	v_cmpx_gt_u32_e32 10, v0
	s_cbranch_execz .LBB49_55
; %bb.52:
	v_add_nc_u32_e32 v5, -1, v0
	v_add_nc_u32_e32 v6, 0x190, v3
	v_mov_b32_e32 v7, v3
	v_mov_b32_e32 v2, 0
	;; [unrolled: 1-line block ×3, first 2 shown]
	s_mov_b32 s5, 0
	.p2align	6
.LBB49_53:                              ; =>This Inner Loop Header: Depth=1
	s_clause 0x1
	buffer_load_dword v111, v7, s[0:3], 0 offen offset:4
	buffer_load_dword v112, v7, s[0:3], 0 offen
	ds_read_b64 v[109:110], v6
	v_add_nc_u32_e32 v5, 1, v5
	v_add_nc_u32_e32 v6, 8, v6
	;; [unrolled: 1-line block ×3, first 2 shown]
	v_cmp_lt_u32_e32 vcc_lo, 8, v5
	s_or_b32 s5, vcc_lo, s5
	s_waitcnt vmcnt(1) lgkmcnt(0)
	v_mul_f32_e32 v113, v110, v111
	v_mul_f32_e32 v111, v109, v111
	s_waitcnt vmcnt(0)
	v_fma_f32 v109, v109, v112, -v113
	v_fmac_f32_e32 v111, v110, v112
	v_add_f32_e32 v8, v8, v109
	v_add_f32_e32 v2, v2, v111
	s_andn2_b32 exec_lo, exec_lo, s5
	s_cbranch_execnz .LBB49_53
; %bb.54:
	s_or_b32 exec_lo, exec_lo, s5
	v_mov_b32_e32 v5, 0
	ds_read_b64 v[5:6], v5 offset:80
	s_waitcnt lgkmcnt(0)
	v_mul_f32_e32 v7, v2, v6
	v_mul_f32_e32 v6, v8, v6
	v_fma_f32 v7, v8, v5, -v7
	v_fmac_f32_e32 v6, v2, v5
	buffer_store_dword v7, off, s[0:3], 0 offset:80
	buffer_store_dword v6, off, s[0:3], 0 offset:84
.LBB49_55:
	s_or_b32 exec_lo, exec_lo, s4
	s_waitcnt_vscnt null, 0x0
	s_barrier
	buffer_gl0_inv
	s_clause 0x1
	buffer_load_dword v5, off, s[0:3], 0 offset:88
	buffer_load_dword v6, off, s[0:3], 0 offset:92
	s_mov_b32 s4, exec_lo
	s_waitcnt vmcnt(0)
	ds_write_b64 v4, v[5:6]
	s_waitcnt lgkmcnt(0)
	s_barrier
	buffer_gl0_inv
	v_cmpx_gt_u32_e32 11, v0
	s_cbranch_execz .LBB49_59
; %bb.56:
	v_add_nc_u32_e32 v5, -1, v0
	v_add_nc_u32_e32 v6, 0x190, v3
	v_mov_b32_e32 v7, v3
	v_mov_b32_e32 v2, 0
	;; [unrolled: 1-line block ×3, first 2 shown]
	s_mov_b32 s5, 0
	.p2align	6
.LBB49_57:                              ; =>This Inner Loop Header: Depth=1
	s_clause 0x1
	buffer_load_dword v111, v7, s[0:3], 0 offen offset:4
	buffer_load_dword v112, v7, s[0:3], 0 offen
	ds_read_b64 v[109:110], v6
	v_add_nc_u32_e32 v5, 1, v5
	v_add_nc_u32_e32 v6, 8, v6
	;; [unrolled: 1-line block ×3, first 2 shown]
	v_cmp_lt_u32_e32 vcc_lo, 9, v5
	s_or_b32 s5, vcc_lo, s5
	s_waitcnt vmcnt(1) lgkmcnt(0)
	v_mul_f32_e32 v113, v110, v111
	v_mul_f32_e32 v111, v109, v111
	s_waitcnt vmcnt(0)
	v_fma_f32 v109, v109, v112, -v113
	v_fmac_f32_e32 v111, v110, v112
	v_add_f32_e32 v8, v8, v109
	v_add_f32_e32 v2, v2, v111
	s_andn2_b32 exec_lo, exec_lo, s5
	s_cbranch_execnz .LBB49_57
; %bb.58:
	s_or_b32 exec_lo, exec_lo, s5
	v_mov_b32_e32 v5, 0
	ds_read_b64 v[5:6], v5 offset:88
	s_waitcnt lgkmcnt(0)
	v_mul_f32_e32 v7, v2, v6
	v_mul_f32_e32 v6, v8, v6
	v_fma_f32 v7, v8, v5, -v7
	v_fmac_f32_e32 v6, v2, v5
	buffer_store_dword v7, off, s[0:3], 0 offset:88
	buffer_store_dword v6, off, s[0:3], 0 offset:92
.LBB49_59:
	s_or_b32 exec_lo, exec_lo, s4
	s_waitcnt_vscnt null, 0x0
	s_barrier
	buffer_gl0_inv
	s_clause 0x1
	buffer_load_dword v5, off, s[0:3], 0 offset:96
	buffer_load_dword v6, off, s[0:3], 0 offset:100
	s_mov_b32 s4, exec_lo
	s_waitcnt vmcnt(0)
	ds_write_b64 v4, v[5:6]
	s_waitcnt lgkmcnt(0)
	s_barrier
	buffer_gl0_inv
	v_cmpx_gt_u32_e32 12, v0
	s_cbranch_execz .LBB49_63
; %bb.60:
	v_add_nc_u32_e32 v5, -1, v0
	v_add_nc_u32_e32 v6, 0x190, v3
	v_mov_b32_e32 v7, v3
	v_mov_b32_e32 v2, 0
	;; [unrolled: 1-line block ×3, first 2 shown]
	s_mov_b32 s5, 0
	.p2align	6
.LBB49_61:                              ; =>This Inner Loop Header: Depth=1
	s_clause 0x1
	buffer_load_dword v111, v7, s[0:3], 0 offen offset:4
	buffer_load_dword v112, v7, s[0:3], 0 offen
	ds_read_b64 v[109:110], v6
	v_add_nc_u32_e32 v5, 1, v5
	v_add_nc_u32_e32 v6, 8, v6
	;; [unrolled: 1-line block ×3, first 2 shown]
	v_cmp_lt_u32_e32 vcc_lo, 10, v5
	s_or_b32 s5, vcc_lo, s5
	s_waitcnt vmcnt(1) lgkmcnt(0)
	v_mul_f32_e32 v113, v110, v111
	v_mul_f32_e32 v111, v109, v111
	s_waitcnt vmcnt(0)
	v_fma_f32 v109, v109, v112, -v113
	v_fmac_f32_e32 v111, v110, v112
	v_add_f32_e32 v8, v8, v109
	v_add_f32_e32 v2, v2, v111
	s_andn2_b32 exec_lo, exec_lo, s5
	s_cbranch_execnz .LBB49_61
; %bb.62:
	s_or_b32 exec_lo, exec_lo, s5
	v_mov_b32_e32 v5, 0
	ds_read_b64 v[5:6], v5 offset:96
	s_waitcnt lgkmcnt(0)
	v_mul_f32_e32 v7, v2, v6
	v_mul_f32_e32 v6, v8, v6
	v_fma_f32 v7, v8, v5, -v7
	v_fmac_f32_e32 v6, v2, v5
	buffer_store_dword v7, off, s[0:3], 0 offset:96
	buffer_store_dword v6, off, s[0:3], 0 offset:100
.LBB49_63:
	s_or_b32 exec_lo, exec_lo, s4
	s_waitcnt_vscnt null, 0x0
	s_barrier
	buffer_gl0_inv
	s_clause 0x1
	buffer_load_dword v5, off, s[0:3], 0 offset:104
	buffer_load_dword v6, off, s[0:3], 0 offset:108
	s_mov_b32 s4, exec_lo
	s_waitcnt vmcnt(0)
	ds_write_b64 v4, v[5:6]
	s_waitcnt lgkmcnt(0)
	s_barrier
	buffer_gl0_inv
	v_cmpx_gt_u32_e32 13, v0
	s_cbranch_execz .LBB49_67
; %bb.64:
	v_add_nc_u32_e32 v5, -1, v0
	v_add_nc_u32_e32 v6, 0x190, v3
	v_mov_b32_e32 v7, v3
	v_mov_b32_e32 v2, 0
	;; [unrolled: 1-line block ×3, first 2 shown]
	s_mov_b32 s5, 0
	.p2align	6
.LBB49_65:                              ; =>This Inner Loop Header: Depth=1
	s_clause 0x1
	buffer_load_dword v111, v7, s[0:3], 0 offen offset:4
	buffer_load_dword v112, v7, s[0:3], 0 offen
	ds_read_b64 v[109:110], v6
	v_add_nc_u32_e32 v5, 1, v5
	v_add_nc_u32_e32 v6, 8, v6
	;; [unrolled: 1-line block ×3, first 2 shown]
	v_cmp_lt_u32_e32 vcc_lo, 11, v5
	s_or_b32 s5, vcc_lo, s5
	s_waitcnt vmcnt(1) lgkmcnt(0)
	v_mul_f32_e32 v113, v110, v111
	v_mul_f32_e32 v111, v109, v111
	s_waitcnt vmcnt(0)
	v_fma_f32 v109, v109, v112, -v113
	v_fmac_f32_e32 v111, v110, v112
	v_add_f32_e32 v8, v8, v109
	v_add_f32_e32 v2, v2, v111
	s_andn2_b32 exec_lo, exec_lo, s5
	s_cbranch_execnz .LBB49_65
; %bb.66:
	s_or_b32 exec_lo, exec_lo, s5
	v_mov_b32_e32 v5, 0
	ds_read_b64 v[5:6], v5 offset:104
	s_waitcnt lgkmcnt(0)
	v_mul_f32_e32 v7, v2, v6
	v_mul_f32_e32 v6, v8, v6
	v_fma_f32 v7, v8, v5, -v7
	v_fmac_f32_e32 v6, v2, v5
	buffer_store_dword v7, off, s[0:3], 0 offset:104
	buffer_store_dword v6, off, s[0:3], 0 offset:108
.LBB49_67:
	s_or_b32 exec_lo, exec_lo, s4
	s_waitcnt_vscnt null, 0x0
	s_barrier
	buffer_gl0_inv
	s_clause 0x1
	buffer_load_dword v5, off, s[0:3], 0 offset:112
	buffer_load_dword v6, off, s[0:3], 0 offset:116
	s_mov_b32 s4, exec_lo
	s_waitcnt vmcnt(0)
	ds_write_b64 v4, v[5:6]
	s_waitcnt lgkmcnt(0)
	s_barrier
	buffer_gl0_inv
	v_cmpx_gt_u32_e32 14, v0
	s_cbranch_execz .LBB49_71
; %bb.68:
	v_add_nc_u32_e32 v5, -1, v0
	v_add_nc_u32_e32 v6, 0x190, v3
	v_mov_b32_e32 v7, v3
	v_mov_b32_e32 v2, 0
	;; [unrolled: 1-line block ×3, first 2 shown]
	s_mov_b32 s5, 0
	.p2align	6
.LBB49_69:                              ; =>This Inner Loop Header: Depth=1
	s_clause 0x1
	buffer_load_dword v111, v7, s[0:3], 0 offen offset:4
	buffer_load_dword v112, v7, s[0:3], 0 offen
	ds_read_b64 v[109:110], v6
	v_add_nc_u32_e32 v5, 1, v5
	v_add_nc_u32_e32 v6, 8, v6
	;; [unrolled: 1-line block ×3, first 2 shown]
	v_cmp_lt_u32_e32 vcc_lo, 12, v5
	s_or_b32 s5, vcc_lo, s5
	s_waitcnt vmcnt(1) lgkmcnt(0)
	v_mul_f32_e32 v113, v110, v111
	v_mul_f32_e32 v111, v109, v111
	s_waitcnt vmcnt(0)
	v_fma_f32 v109, v109, v112, -v113
	v_fmac_f32_e32 v111, v110, v112
	v_add_f32_e32 v8, v8, v109
	v_add_f32_e32 v2, v2, v111
	s_andn2_b32 exec_lo, exec_lo, s5
	s_cbranch_execnz .LBB49_69
; %bb.70:
	s_or_b32 exec_lo, exec_lo, s5
	v_mov_b32_e32 v5, 0
	ds_read_b64 v[5:6], v5 offset:112
	s_waitcnt lgkmcnt(0)
	v_mul_f32_e32 v7, v2, v6
	v_mul_f32_e32 v6, v8, v6
	v_fma_f32 v7, v8, v5, -v7
	v_fmac_f32_e32 v6, v2, v5
	buffer_store_dword v7, off, s[0:3], 0 offset:112
	buffer_store_dword v6, off, s[0:3], 0 offset:116
.LBB49_71:
	s_or_b32 exec_lo, exec_lo, s4
	s_waitcnt_vscnt null, 0x0
	s_barrier
	buffer_gl0_inv
	s_clause 0x1
	buffer_load_dword v5, off, s[0:3], 0 offset:120
	buffer_load_dword v6, off, s[0:3], 0 offset:124
	s_mov_b32 s4, exec_lo
	s_waitcnt vmcnt(0)
	ds_write_b64 v4, v[5:6]
	s_waitcnt lgkmcnt(0)
	s_barrier
	buffer_gl0_inv
	v_cmpx_gt_u32_e32 15, v0
	s_cbranch_execz .LBB49_75
; %bb.72:
	v_add_nc_u32_e32 v5, -1, v0
	v_add_nc_u32_e32 v6, 0x190, v3
	v_mov_b32_e32 v7, v3
	v_mov_b32_e32 v2, 0
	;; [unrolled: 1-line block ×3, first 2 shown]
	s_mov_b32 s5, 0
	.p2align	6
.LBB49_73:                              ; =>This Inner Loop Header: Depth=1
	s_clause 0x1
	buffer_load_dword v111, v7, s[0:3], 0 offen offset:4
	buffer_load_dword v112, v7, s[0:3], 0 offen
	ds_read_b64 v[109:110], v6
	v_add_nc_u32_e32 v5, 1, v5
	v_add_nc_u32_e32 v6, 8, v6
	;; [unrolled: 1-line block ×3, first 2 shown]
	v_cmp_lt_u32_e32 vcc_lo, 13, v5
	s_or_b32 s5, vcc_lo, s5
	s_waitcnt vmcnt(1) lgkmcnt(0)
	v_mul_f32_e32 v113, v110, v111
	v_mul_f32_e32 v111, v109, v111
	s_waitcnt vmcnt(0)
	v_fma_f32 v109, v109, v112, -v113
	v_fmac_f32_e32 v111, v110, v112
	v_add_f32_e32 v8, v8, v109
	v_add_f32_e32 v2, v2, v111
	s_andn2_b32 exec_lo, exec_lo, s5
	s_cbranch_execnz .LBB49_73
; %bb.74:
	s_or_b32 exec_lo, exec_lo, s5
	v_mov_b32_e32 v5, 0
	ds_read_b64 v[5:6], v5 offset:120
	s_waitcnt lgkmcnt(0)
	v_mul_f32_e32 v7, v2, v6
	v_mul_f32_e32 v6, v8, v6
	v_fma_f32 v7, v8, v5, -v7
	v_fmac_f32_e32 v6, v2, v5
	buffer_store_dword v7, off, s[0:3], 0 offset:120
	buffer_store_dword v6, off, s[0:3], 0 offset:124
.LBB49_75:
	s_or_b32 exec_lo, exec_lo, s4
	s_waitcnt_vscnt null, 0x0
	s_barrier
	buffer_gl0_inv
	s_clause 0x1
	buffer_load_dword v5, off, s[0:3], 0 offset:128
	buffer_load_dword v6, off, s[0:3], 0 offset:132
	s_mov_b32 s4, exec_lo
	s_waitcnt vmcnt(0)
	ds_write_b64 v4, v[5:6]
	s_waitcnt lgkmcnt(0)
	s_barrier
	buffer_gl0_inv
	v_cmpx_gt_u32_e32 16, v0
	s_cbranch_execz .LBB49_79
; %bb.76:
	v_add_nc_u32_e32 v5, -1, v0
	v_add_nc_u32_e32 v6, 0x190, v3
	v_mov_b32_e32 v7, v3
	v_mov_b32_e32 v2, 0
	;; [unrolled: 1-line block ×3, first 2 shown]
	s_mov_b32 s5, 0
	.p2align	6
.LBB49_77:                              ; =>This Inner Loop Header: Depth=1
	s_clause 0x1
	buffer_load_dword v111, v7, s[0:3], 0 offen offset:4
	buffer_load_dword v112, v7, s[0:3], 0 offen
	ds_read_b64 v[109:110], v6
	v_add_nc_u32_e32 v5, 1, v5
	v_add_nc_u32_e32 v6, 8, v6
	;; [unrolled: 1-line block ×3, first 2 shown]
	v_cmp_lt_u32_e32 vcc_lo, 14, v5
	s_or_b32 s5, vcc_lo, s5
	s_waitcnt vmcnt(1) lgkmcnt(0)
	v_mul_f32_e32 v113, v110, v111
	v_mul_f32_e32 v111, v109, v111
	s_waitcnt vmcnt(0)
	v_fma_f32 v109, v109, v112, -v113
	v_fmac_f32_e32 v111, v110, v112
	v_add_f32_e32 v8, v8, v109
	v_add_f32_e32 v2, v2, v111
	s_andn2_b32 exec_lo, exec_lo, s5
	s_cbranch_execnz .LBB49_77
; %bb.78:
	s_or_b32 exec_lo, exec_lo, s5
	v_mov_b32_e32 v5, 0
	ds_read_b64 v[5:6], v5 offset:128
	s_waitcnt lgkmcnt(0)
	v_mul_f32_e32 v7, v2, v6
	v_mul_f32_e32 v6, v8, v6
	v_fma_f32 v7, v8, v5, -v7
	v_fmac_f32_e32 v6, v2, v5
	buffer_store_dword v7, off, s[0:3], 0 offset:128
	buffer_store_dword v6, off, s[0:3], 0 offset:132
.LBB49_79:
	s_or_b32 exec_lo, exec_lo, s4
	s_waitcnt_vscnt null, 0x0
	s_barrier
	buffer_gl0_inv
	s_clause 0x1
	buffer_load_dword v5, off, s[0:3], 0 offset:136
	buffer_load_dword v6, off, s[0:3], 0 offset:140
	s_mov_b32 s4, exec_lo
	s_waitcnt vmcnt(0)
	ds_write_b64 v4, v[5:6]
	s_waitcnt lgkmcnt(0)
	s_barrier
	buffer_gl0_inv
	v_cmpx_gt_u32_e32 17, v0
	s_cbranch_execz .LBB49_83
; %bb.80:
	v_add_nc_u32_e32 v5, -1, v0
	v_add_nc_u32_e32 v6, 0x190, v3
	v_mov_b32_e32 v7, v3
	v_mov_b32_e32 v2, 0
	;; [unrolled: 1-line block ×3, first 2 shown]
	s_mov_b32 s5, 0
	.p2align	6
.LBB49_81:                              ; =>This Inner Loop Header: Depth=1
	s_clause 0x1
	buffer_load_dword v111, v7, s[0:3], 0 offen offset:4
	buffer_load_dword v112, v7, s[0:3], 0 offen
	ds_read_b64 v[109:110], v6
	v_add_nc_u32_e32 v5, 1, v5
	v_add_nc_u32_e32 v6, 8, v6
	;; [unrolled: 1-line block ×3, first 2 shown]
	v_cmp_lt_u32_e32 vcc_lo, 15, v5
	s_or_b32 s5, vcc_lo, s5
	s_waitcnt vmcnt(1) lgkmcnt(0)
	v_mul_f32_e32 v113, v110, v111
	v_mul_f32_e32 v111, v109, v111
	s_waitcnt vmcnt(0)
	v_fma_f32 v109, v109, v112, -v113
	v_fmac_f32_e32 v111, v110, v112
	v_add_f32_e32 v8, v8, v109
	v_add_f32_e32 v2, v2, v111
	s_andn2_b32 exec_lo, exec_lo, s5
	s_cbranch_execnz .LBB49_81
; %bb.82:
	s_or_b32 exec_lo, exec_lo, s5
	v_mov_b32_e32 v5, 0
	ds_read_b64 v[5:6], v5 offset:136
	s_waitcnt lgkmcnt(0)
	v_mul_f32_e32 v7, v2, v6
	v_mul_f32_e32 v6, v8, v6
	v_fma_f32 v7, v8, v5, -v7
	v_fmac_f32_e32 v6, v2, v5
	buffer_store_dword v7, off, s[0:3], 0 offset:136
	buffer_store_dword v6, off, s[0:3], 0 offset:140
.LBB49_83:
	s_or_b32 exec_lo, exec_lo, s4
	s_waitcnt_vscnt null, 0x0
	s_barrier
	buffer_gl0_inv
	s_clause 0x1
	buffer_load_dword v5, off, s[0:3], 0 offset:144
	buffer_load_dword v6, off, s[0:3], 0 offset:148
	s_mov_b32 s4, exec_lo
	s_waitcnt vmcnt(0)
	ds_write_b64 v4, v[5:6]
	s_waitcnt lgkmcnt(0)
	s_barrier
	buffer_gl0_inv
	v_cmpx_gt_u32_e32 18, v0
	s_cbranch_execz .LBB49_87
; %bb.84:
	v_add_nc_u32_e32 v5, -1, v0
	v_add_nc_u32_e32 v6, 0x190, v3
	v_mov_b32_e32 v7, v3
	v_mov_b32_e32 v2, 0
	;; [unrolled: 1-line block ×3, first 2 shown]
	s_mov_b32 s5, 0
	.p2align	6
.LBB49_85:                              ; =>This Inner Loop Header: Depth=1
	s_clause 0x1
	buffer_load_dword v111, v7, s[0:3], 0 offen offset:4
	buffer_load_dword v112, v7, s[0:3], 0 offen
	ds_read_b64 v[109:110], v6
	v_add_nc_u32_e32 v5, 1, v5
	v_add_nc_u32_e32 v6, 8, v6
	;; [unrolled: 1-line block ×3, first 2 shown]
	v_cmp_lt_u32_e32 vcc_lo, 16, v5
	s_or_b32 s5, vcc_lo, s5
	s_waitcnt vmcnt(1) lgkmcnt(0)
	v_mul_f32_e32 v113, v110, v111
	v_mul_f32_e32 v111, v109, v111
	s_waitcnt vmcnt(0)
	v_fma_f32 v109, v109, v112, -v113
	v_fmac_f32_e32 v111, v110, v112
	v_add_f32_e32 v8, v8, v109
	v_add_f32_e32 v2, v2, v111
	s_andn2_b32 exec_lo, exec_lo, s5
	s_cbranch_execnz .LBB49_85
; %bb.86:
	s_or_b32 exec_lo, exec_lo, s5
	v_mov_b32_e32 v5, 0
	ds_read_b64 v[5:6], v5 offset:144
	s_waitcnt lgkmcnt(0)
	v_mul_f32_e32 v7, v2, v6
	v_mul_f32_e32 v6, v8, v6
	v_fma_f32 v7, v8, v5, -v7
	v_fmac_f32_e32 v6, v2, v5
	buffer_store_dword v7, off, s[0:3], 0 offset:144
	buffer_store_dword v6, off, s[0:3], 0 offset:148
.LBB49_87:
	s_or_b32 exec_lo, exec_lo, s4
	s_waitcnt_vscnt null, 0x0
	s_barrier
	buffer_gl0_inv
	s_clause 0x1
	buffer_load_dword v5, off, s[0:3], 0 offset:152
	buffer_load_dword v6, off, s[0:3], 0 offset:156
	s_mov_b32 s4, exec_lo
	s_waitcnt vmcnt(0)
	ds_write_b64 v4, v[5:6]
	s_waitcnt lgkmcnt(0)
	s_barrier
	buffer_gl0_inv
	v_cmpx_gt_u32_e32 19, v0
	s_cbranch_execz .LBB49_91
; %bb.88:
	v_add_nc_u32_e32 v5, -1, v0
	v_add_nc_u32_e32 v6, 0x190, v3
	v_mov_b32_e32 v7, v3
	v_mov_b32_e32 v2, 0
	;; [unrolled: 1-line block ×3, first 2 shown]
	s_mov_b32 s5, 0
	.p2align	6
.LBB49_89:                              ; =>This Inner Loop Header: Depth=1
	s_clause 0x1
	buffer_load_dword v111, v7, s[0:3], 0 offen offset:4
	buffer_load_dword v112, v7, s[0:3], 0 offen
	ds_read_b64 v[109:110], v6
	v_add_nc_u32_e32 v5, 1, v5
	v_add_nc_u32_e32 v6, 8, v6
	;; [unrolled: 1-line block ×3, first 2 shown]
	v_cmp_lt_u32_e32 vcc_lo, 17, v5
	s_or_b32 s5, vcc_lo, s5
	s_waitcnt vmcnt(1) lgkmcnt(0)
	v_mul_f32_e32 v113, v110, v111
	v_mul_f32_e32 v111, v109, v111
	s_waitcnt vmcnt(0)
	v_fma_f32 v109, v109, v112, -v113
	v_fmac_f32_e32 v111, v110, v112
	v_add_f32_e32 v8, v8, v109
	v_add_f32_e32 v2, v2, v111
	s_andn2_b32 exec_lo, exec_lo, s5
	s_cbranch_execnz .LBB49_89
; %bb.90:
	s_or_b32 exec_lo, exec_lo, s5
	v_mov_b32_e32 v5, 0
	ds_read_b64 v[5:6], v5 offset:152
	s_waitcnt lgkmcnt(0)
	v_mul_f32_e32 v7, v2, v6
	v_mul_f32_e32 v6, v8, v6
	v_fma_f32 v7, v8, v5, -v7
	v_fmac_f32_e32 v6, v2, v5
	buffer_store_dword v7, off, s[0:3], 0 offset:152
	buffer_store_dword v6, off, s[0:3], 0 offset:156
.LBB49_91:
	s_or_b32 exec_lo, exec_lo, s4
	s_waitcnt_vscnt null, 0x0
	s_barrier
	buffer_gl0_inv
	s_clause 0x1
	buffer_load_dword v5, off, s[0:3], 0 offset:160
	buffer_load_dword v6, off, s[0:3], 0 offset:164
	s_mov_b32 s4, exec_lo
	s_waitcnt vmcnt(0)
	ds_write_b64 v4, v[5:6]
	s_waitcnt lgkmcnt(0)
	s_barrier
	buffer_gl0_inv
	v_cmpx_gt_u32_e32 20, v0
	s_cbranch_execz .LBB49_95
; %bb.92:
	v_add_nc_u32_e32 v5, -1, v0
	v_add_nc_u32_e32 v6, 0x190, v3
	v_mov_b32_e32 v7, v3
	v_mov_b32_e32 v2, 0
	;; [unrolled: 1-line block ×3, first 2 shown]
	s_mov_b32 s5, 0
	.p2align	6
.LBB49_93:                              ; =>This Inner Loop Header: Depth=1
	s_clause 0x1
	buffer_load_dword v111, v7, s[0:3], 0 offen offset:4
	buffer_load_dword v112, v7, s[0:3], 0 offen
	ds_read_b64 v[109:110], v6
	v_add_nc_u32_e32 v5, 1, v5
	v_add_nc_u32_e32 v6, 8, v6
	;; [unrolled: 1-line block ×3, first 2 shown]
	v_cmp_lt_u32_e32 vcc_lo, 18, v5
	s_or_b32 s5, vcc_lo, s5
	s_waitcnt vmcnt(1) lgkmcnt(0)
	v_mul_f32_e32 v113, v110, v111
	v_mul_f32_e32 v111, v109, v111
	s_waitcnt vmcnt(0)
	v_fma_f32 v109, v109, v112, -v113
	v_fmac_f32_e32 v111, v110, v112
	v_add_f32_e32 v8, v8, v109
	v_add_f32_e32 v2, v2, v111
	s_andn2_b32 exec_lo, exec_lo, s5
	s_cbranch_execnz .LBB49_93
; %bb.94:
	s_or_b32 exec_lo, exec_lo, s5
	v_mov_b32_e32 v5, 0
	ds_read_b64 v[5:6], v5 offset:160
	s_waitcnt lgkmcnt(0)
	v_mul_f32_e32 v7, v2, v6
	v_mul_f32_e32 v6, v8, v6
	v_fma_f32 v7, v8, v5, -v7
	v_fmac_f32_e32 v6, v2, v5
	buffer_store_dword v7, off, s[0:3], 0 offset:160
	buffer_store_dword v6, off, s[0:3], 0 offset:164
.LBB49_95:
	s_or_b32 exec_lo, exec_lo, s4
	s_waitcnt_vscnt null, 0x0
	s_barrier
	buffer_gl0_inv
	s_clause 0x1
	buffer_load_dword v5, off, s[0:3], 0 offset:168
	buffer_load_dword v6, off, s[0:3], 0 offset:172
	s_mov_b32 s4, exec_lo
	s_waitcnt vmcnt(0)
	ds_write_b64 v4, v[5:6]
	s_waitcnt lgkmcnt(0)
	s_barrier
	buffer_gl0_inv
	v_cmpx_gt_u32_e32 21, v0
	s_cbranch_execz .LBB49_99
; %bb.96:
	v_add_nc_u32_e32 v5, -1, v0
	v_add_nc_u32_e32 v6, 0x190, v3
	v_mov_b32_e32 v7, v3
	v_mov_b32_e32 v2, 0
	;; [unrolled: 1-line block ×3, first 2 shown]
	s_mov_b32 s5, 0
	.p2align	6
.LBB49_97:                              ; =>This Inner Loop Header: Depth=1
	s_clause 0x1
	buffer_load_dword v111, v7, s[0:3], 0 offen offset:4
	buffer_load_dword v112, v7, s[0:3], 0 offen
	ds_read_b64 v[109:110], v6
	v_add_nc_u32_e32 v5, 1, v5
	v_add_nc_u32_e32 v6, 8, v6
	;; [unrolled: 1-line block ×3, first 2 shown]
	v_cmp_lt_u32_e32 vcc_lo, 19, v5
	s_or_b32 s5, vcc_lo, s5
	s_waitcnt vmcnt(1) lgkmcnt(0)
	v_mul_f32_e32 v113, v110, v111
	v_mul_f32_e32 v111, v109, v111
	s_waitcnt vmcnt(0)
	v_fma_f32 v109, v109, v112, -v113
	v_fmac_f32_e32 v111, v110, v112
	v_add_f32_e32 v8, v8, v109
	v_add_f32_e32 v2, v2, v111
	s_andn2_b32 exec_lo, exec_lo, s5
	s_cbranch_execnz .LBB49_97
; %bb.98:
	s_or_b32 exec_lo, exec_lo, s5
	v_mov_b32_e32 v5, 0
	ds_read_b64 v[5:6], v5 offset:168
	s_waitcnt lgkmcnt(0)
	v_mul_f32_e32 v7, v2, v6
	v_mul_f32_e32 v6, v8, v6
	v_fma_f32 v7, v8, v5, -v7
	v_fmac_f32_e32 v6, v2, v5
	buffer_store_dword v7, off, s[0:3], 0 offset:168
	buffer_store_dword v6, off, s[0:3], 0 offset:172
.LBB49_99:
	s_or_b32 exec_lo, exec_lo, s4
	s_waitcnt_vscnt null, 0x0
	s_barrier
	buffer_gl0_inv
	s_clause 0x1
	buffer_load_dword v5, off, s[0:3], 0 offset:176
	buffer_load_dword v6, off, s[0:3], 0 offset:180
	s_mov_b32 s4, exec_lo
	s_waitcnt vmcnt(0)
	ds_write_b64 v4, v[5:6]
	s_waitcnt lgkmcnt(0)
	s_barrier
	buffer_gl0_inv
	v_cmpx_gt_u32_e32 22, v0
	s_cbranch_execz .LBB49_103
; %bb.100:
	v_add_nc_u32_e32 v5, -1, v0
	v_add_nc_u32_e32 v6, 0x190, v3
	v_mov_b32_e32 v7, v3
	v_mov_b32_e32 v2, 0
	;; [unrolled: 1-line block ×3, first 2 shown]
	s_mov_b32 s5, 0
	.p2align	6
.LBB49_101:                             ; =>This Inner Loop Header: Depth=1
	s_clause 0x1
	buffer_load_dword v111, v7, s[0:3], 0 offen offset:4
	buffer_load_dword v112, v7, s[0:3], 0 offen
	ds_read_b64 v[109:110], v6
	v_add_nc_u32_e32 v5, 1, v5
	v_add_nc_u32_e32 v6, 8, v6
	;; [unrolled: 1-line block ×3, first 2 shown]
	v_cmp_lt_u32_e32 vcc_lo, 20, v5
	s_or_b32 s5, vcc_lo, s5
	s_waitcnt vmcnt(1) lgkmcnt(0)
	v_mul_f32_e32 v113, v110, v111
	v_mul_f32_e32 v111, v109, v111
	s_waitcnt vmcnt(0)
	v_fma_f32 v109, v109, v112, -v113
	v_fmac_f32_e32 v111, v110, v112
	v_add_f32_e32 v8, v8, v109
	v_add_f32_e32 v2, v2, v111
	s_andn2_b32 exec_lo, exec_lo, s5
	s_cbranch_execnz .LBB49_101
; %bb.102:
	s_or_b32 exec_lo, exec_lo, s5
	v_mov_b32_e32 v5, 0
	ds_read_b64 v[5:6], v5 offset:176
	s_waitcnt lgkmcnt(0)
	v_mul_f32_e32 v7, v2, v6
	v_mul_f32_e32 v6, v8, v6
	v_fma_f32 v7, v8, v5, -v7
	v_fmac_f32_e32 v6, v2, v5
	buffer_store_dword v7, off, s[0:3], 0 offset:176
	buffer_store_dword v6, off, s[0:3], 0 offset:180
.LBB49_103:
	s_or_b32 exec_lo, exec_lo, s4
	s_waitcnt_vscnt null, 0x0
	s_barrier
	buffer_gl0_inv
	s_clause 0x1
	buffer_load_dword v5, off, s[0:3], 0 offset:184
	buffer_load_dword v6, off, s[0:3], 0 offset:188
	s_mov_b32 s4, exec_lo
	s_waitcnt vmcnt(0)
	ds_write_b64 v4, v[5:6]
	s_waitcnt lgkmcnt(0)
	s_barrier
	buffer_gl0_inv
	v_cmpx_gt_u32_e32 23, v0
	s_cbranch_execz .LBB49_107
; %bb.104:
	v_add_nc_u32_e32 v5, -1, v0
	v_add_nc_u32_e32 v6, 0x190, v3
	v_mov_b32_e32 v7, v3
	v_mov_b32_e32 v2, 0
	;; [unrolled: 1-line block ×3, first 2 shown]
	s_mov_b32 s5, 0
	.p2align	6
.LBB49_105:                             ; =>This Inner Loop Header: Depth=1
	s_clause 0x1
	buffer_load_dword v111, v7, s[0:3], 0 offen offset:4
	buffer_load_dword v112, v7, s[0:3], 0 offen
	ds_read_b64 v[109:110], v6
	v_add_nc_u32_e32 v5, 1, v5
	v_add_nc_u32_e32 v6, 8, v6
	;; [unrolled: 1-line block ×3, first 2 shown]
	v_cmp_lt_u32_e32 vcc_lo, 21, v5
	s_or_b32 s5, vcc_lo, s5
	s_waitcnt vmcnt(1) lgkmcnt(0)
	v_mul_f32_e32 v113, v110, v111
	v_mul_f32_e32 v111, v109, v111
	s_waitcnt vmcnt(0)
	v_fma_f32 v109, v109, v112, -v113
	v_fmac_f32_e32 v111, v110, v112
	v_add_f32_e32 v8, v8, v109
	v_add_f32_e32 v2, v2, v111
	s_andn2_b32 exec_lo, exec_lo, s5
	s_cbranch_execnz .LBB49_105
; %bb.106:
	s_or_b32 exec_lo, exec_lo, s5
	v_mov_b32_e32 v5, 0
	ds_read_b64 v[5:6], v5 offset:184
	s_waitcnt lgkmcnt(0)
	v_mul_f32_e32 v7, v2, v6
	v_mul_f32_e32 v6, v8, v6
	v_fma_f32 v7, v8, v5, -v7
	v_fmac_f32_e32 v6, v2, v5
	buffer_store_dword v7, off, s[0:3], 0 offset:184
	buffer_store_dword v6, off, s[0:3], 0 offset:188
.LBB49_107:
	s_or_b32 exec_lo, exec_lo, s4
	s_waitcnt_vscnt null, 0x0
	s_barrier
	buffer_gl0_inv
	s_clause 0x1
	buffer_load_dword v5, off, s[0:3], 0 offset:192
	buffer_load_dword v6, off, s[0:3], 0 offset:196
	s_mov_b32 s4, exec_lo
	s_waitcnt vmcnt(0)
	ds_write_b64 v4, v[5:6]
	s_waitcnt lgkmcnt(0)
	s_barrier
	buffer_gl0_inv
	v_cmpx_gt_u32_e32 24, v0
	s_cbranch_execz .LBB49_111
; %bb.108:
	v_add_nc_u32_e32 v5, -1, v0
	v_add_nc_u32_e32 v6, 0x190, v3
	v_mov_b32_e32 v7, v3
	v_mov_b32_e32 v2, 0
	;; [unrolled: 1-line block ×3, first 2 shown]
	s_mov_b32 s5, 0
	.p2align	6
.LBB49_109:                             ; =>This Inner Loop Header: Depth=1
	s_clause 0x1
	buffer_load_dword v111, v7, s[0:3], 0 offen offset:4
	buffer_load_dword v112, v7, s[0:3], 0 offen
	ds_read_b64 v[109:110], v6
	v_add_nc_u32_e32 v5, 1, v5
	v_add_nc_u32_e32 v6, 8, v6
	;; [unrolled: 1-line block ×3, first 2 shown]
	v_cmp_lt_u32_e32 vcc_lo, 22, v5
	s_or_b32 s5, vcc_lo, s5
	s_waitcnt vmcnt(1) lgkmcnt(0)
	v_mul_f32_e32 v113, v110, v111
	v_mul_f32_e32 v111, v109, v111
	s_waitcnt vmcnt(0)
	v_fma_f32 v109, v109, v112, -v113
	v_fmac_f32_e32 v111, v110, v112
	v_add_f32_e32 v8, v8, v109
	v_add_f32_e32 v2, v2, v111
	s_andn2_b32 exec_lo, exec_lo, s5
	s_cbranch_execnz .LBB49_109
; %bb.110:
	s_or_b32 exec_lo, exec_lo, s5
	v_mov_b32_e32 v5, 0
	ds_read_b64 v[5:6], v5 offset:192
	s_waitcnt lgkmcnt(0)
	v_mul_f32_e32 v7, v2, v6
	v_mul_f32_e32 v6, v8, v6
	v_fma_f32 v7, v8, v5, -v7
	v_fmac_f32_e32 v6, v2, v5
	buffer_store_dword v7, off, s[0:3], 0 offset:192
	buffer_store_dword v6, off, s[0:3], 0 offset:196
.LBB49_111:
	s_or_b32 exec_lo, exec_lo, s4
	s_waitcnt_vscnt null, 0x0
	s_barrier
	buffer_gl0_inv
	s_clause 0x1
	buffer_load_dword v5, off, s[0:3], 0 offset:200
	buffer_load_dword v6, off, s[0:3], 0 offset:204
	s_mov_b32 s4, exec_lo
	s_waitcnt vmcnt(0)
	ds_write_b64 v4, v[5:6]
	s_waitcnt lgkmcnt(0)
	s_barrier
	buffer_gl0_inv
	v_cmpx_gt_u32_e32 25, v0
	s_cbranch_execz .LBB49_115
; %bb.112:
	v_add_nc_u32_e32 v5, -1, v0
	v_add_nc_u32_e32 v6, 0x190, v3
	v_mov_b32_e32 v7, v3
	v_mov_b32_e32 v2, 0
	;; [unrolled: 1-line block ×3, first 2 shown]
	s_mov_b32 s5, 0
	.p2align	6
.LBB49_113:                             ; =>This Inner Loop Header: Depth=1
	s_clause 0x1
	buffer_load_dword v111, v7, s[0:3], 0 offen offset:4
	buffer_load_dword v112, v7, s[0:3], 0 offen
	ds_read_b64 v[109:110], v6
	v_add_nc_u32_e32 v5, 1, v5
	v_add_nc_u32_e32 v6, 8, v6
	;; [unrolled: 1-line block ×3, first 2 shown]
	v_cmp_lt_u32_e32 vcc_lo, 23, v5
	s_or_b32 s5, vcc_lo, s5
	s_waitcnt vmcnt(1) lgkmcnt(0)
	v_mul_f32_e32 v113, v110, v111
	v_mul_f32_e32 v111, v109, v111
	s_waitcnt vmcnt(0)
	v_fma_f32 v109, v109, v112, -v113
	v_fmac_f32_e32 v111, v110, v112
	v_add_f32_e32 v8, v8, v109
	v_add_f32_e32 v2, v2, v111
	s_andn2_b32 exec_lo, exec_lo, s5
	s_cbranch_execnz .LBB49_113
; %bb.114:
	s_or_b32 exec_lo, exec_lo, s5
	v_mov_b32_e32 v5, 0
	ds_read_b64 v[5:6], v5 offset:200
	s_waitcnt lgkmcnt(0)
	v_mul_f32_e32 v7, v2, v6
	v_mul_f32_e32 v6, v8, v6
	v_fma_f32 v7, v8, v5, -v7
	v_fmac_f32_e32 v6, v2, v5
	buffer_store_dword v7, off, s[0:3], 0 offset:200
	buffer_store_dword v6, off, s[0:3], 0 offset:204
.LBB49_115:
	s_or_b32 exec_lo, exec_lo, s4
	s_waitcnt_vscnt null, 0x0
	s_barrier
	buffer_gl0_inv
	s_clause 0x1
	buffer_load_dword v5, off, s[0:3], 0 offset:208
	buffer_load_dword v6, off, s[0:3], 0 offset:212
	s_mov_b32 s4, exec_lo
	s_waitcnt vmcnt(0)
	ds_write_b64 v4, v[5:6]
	s_waitcnt lgkmcnt(0)
	s_barrier
	buffer_gl0_inv
	v_cmpx_gt_u32_e32 26, v0
	s_cbranch_execz .LBB49_119
; %bb.116:
	v_add_nc_u32_e32 v5, -1, v0
	v_add_nc_u32_e32 v6, 0x190, v3
	v_mov_b32_e32 v7, v3
	v_mov_b32_e32 v2, 0
	;; [unrolled: 1-line block ×3, first 2 shown]
	s_mov_b32 s5, 0
	.p2align	6
.LBB49_117:                             ; =>This Inner Loop Header: Depth=1
	s_clause 0x1
	buffer_load_dword v111, v7, s[0:3], 0 offen offset:4
	buffer_load_dword v112, v7, s[0:3], 0 offen
	ds_read_b64 v[109:110], v6
	v_add_nc_u32_e32 v5, 1, v5
	v_add_nc_u32_e32 v6, 8, v6
	;; [unrolled: 1-line block ×3, first 2 shown]
	v_cmp_lt_u32_e32 vcc_lo, 24, v5
	s_or_b32 s5, vcc_lo, s5
	s_waitcnt vmcnt(1) lgkmcnt(0)
	v_mul_f32_e32 v113, v110, v111
	v_mul_f32_e32 v111, v109, v111
	s_waitcnt vmcnt(0)
	v_fma_f32 v109, v109, v112, -v113
	v_fmac_f32_e32 v111, v110, v112
	v_add_f32_e32 v8, v8, v109
	v_add_f32_e32 v2, v2, v111
	s_andn2_b32 exec_lo, exec_lo, s5
	s_cbranch_execnz .LBB49_117
; %bb.118:
	s_or_b32 exec_lo, exec_lo, s5
	v_mov_b32_e32 v5, 0
	ds_read_b64 v[5:6], v5 offset:208
	s_waitcnt lgkmcnt(0)
	v_mul_f32_e32 v7, v2, v6
	v_mul_f32_e32 v6, v8, v6
	v_fma_f32 v7, v8, v5, -v7
	v_fmac_f32_e32 v6, v2, v5
	buffer_store_dword v7, off, s[0:3], 0 offset:208
	buffer_store_dword v6, off, s[0:3], 0 offset:212
.LBB49_119:
	s_or_b32 exec_lo, exec_lo, s4
	s_waitcnt_vscnt null, 0x0
	s_barrier
	buffer_gl0_inv
	s_clause 0x1
	buffer_load_dword v5, off, s[0:3], 0 offset:216
	buffer_load_dword v6, off, s[0:3], 0 offset:220
	s_mov_b32 s4, exec_lo
	s_waitcnt vmcnt(0)
	ds_write_b64 v4, v[5:6]
	s_waitcnt lgkmcnt(0)
	s_barrier
	buffer_gl0_inv
	v_cmpx_gt_u32_e32 27, v0
	s_cbranch_execz .LBB49_123
; %bb.120:
	v_add_nc_u32_e32 v5, -1, v0
	v_add_nc_u32_e32 v6, 0x190, v3
	v_mov_b32_e32 v7, v3
	v_mov_b32_e32 v2, 0
	;; [unrolled: 1-line block ×3, first 2 shown]
	s_mov_b32 s5, 0
	.p2align	6
.LBB49_121:                             ; =>This Inner Loop Header: Depth=1
	s_clause 0x1
	buffer_load_dword v111, v7, s[0:3], 0 offen offset:4
	buffer_load_dword v112, v7, s[0:3], 0 offen
	ds_read_b64 v[109:110], v6
	v_add_nc_u32_e32 v5, 1, v5
	v_add_nc_u32_e32 v6, 8, v6
	;; [unrolled: 1-line block ×3, first 2 shown]
	v_cmp_lt_u32_e32 vcc_lo, 25, v5
	s_or_b32 s5, vcc_lo, s5
	s_waitcnt vmcnt(1) lgkmcnt(0)
	v_mul_f32_e32 v113, v110, v111
	v_mul_f32_e32 v111, v109, v111
	s_waitcnt vmcnt(0)
	v_fma_f32 v109, v109, v112, -v113
	v_fmac_f32_e32 v111, v110, v112
	v_add_f32_e32 v8, v8, v109
	v_add_f32_e32 v2, v2, v111
	s_andn2_b32 exec_lo, exec_lo, s5
	s_cbranch_execnz .LBB49_121
; %bb.122:
	s_or_b32 exec_lo, exec_lo, s5
	v_mov_b32_e32 v5, 0
	ds_read_b64 v[5:6], v5 offset:216
	s_waitcnt lgkmcnt(0)
	v_mul_f32_e32 v7, v2, v6
	v_mul_f32_e32 v6, v8, v6
	v_fma_f32 v7, v8, v5, -v7
	v_fmac_f32_e32 v6, v2, v5
	buffer_store_dword v7, off, s[0:3], 0 offset:216
	buffer_store_dword v6, off, s[0:3], 0 offset:220
.LBB49_123:
	s_or_b32 exec_lo, exec_lo, s4
	s_waitcnt_vscnt null, 0x0
	s_barrier
	buffer_gl0_inv
	s_clause 0x1
	buffer_load_dword v5, off, s[0:3], 0 offset:224
	buffer_load_dword v6, off, s[0:3], 0 offset:228
	s_mov_b32 s4, exec_lo
	s_waitcnt vmcnt(0)
	ds_write_b64 v4, v[5:6]
	s_waitcnt lgkmcnt(0)
	s_barrier
	buffer_gl0_inv
	v_cmpx_gt_u32_e32 28, v0
	s_cbranch_execz .LBB49_127
; %bb.124:
	v_add_nc_u32_e32 v5, -1, v0
	v_add_nc_u32_e32 v6, 0x190, v3
	v_mov_b32_e32 v7, v3
	v_mov_b32_e32 v2, 0
	;; [unrolled: 1-line block ×3, first 2 shown]
	s_mov_b32 s5, 0
	.p2align	6
.LBB49_125:                             ; =>This Inner Loop Header: Depth=1
	s_clause 0x1
	buffer_load_dword v111, v7, s[0:3], 0 offen offset:4
	buffer_load_dword v112, v7, s[0:3], 0 offen
	ds_read_b64 v[109:110], v6
	v_add_nc_u32_e32 v5, 1, v5
	v_add_nc_u32_e32 v6, 8, v6
	;; [unrolled: 1-line block ×3, first 2 shown]
	v_cmp_lt_u32_e32 vcc_lo, 26, v5
	s_or_b32 s5, vcc_lo, s5
	s_waitcnt vmcnt(1) lgkmcnt(0)
	v_mul_f32_e32 v113, v110, v111
	v_mul_f32_e32 v111, v109, v111
	s_waitcnt vmcnt(0)
	v_fma_f32 v109, v109, v112, -v113
	v_fmac_f32_e32 v111, v110, v112
	v_add_f32_e32 v8, v8, v109
	v_add_f32_e32 v2, v2, v111
	s_andn2_b32 exec_lo, exec_lo, s5
	s_cbranch_execnz .LBB49_125
; %bb.126:
	s_or_b32 exec_lo, exec_lo, s5
	v_mov_b32_e32 v5, 0
	ds_read_b64 v[5:6], v5 offset:224
	s_waitcnt lgkmcnt(0)
	v_mul_f32_e32 v7, v2, v6
	v_mul_f32_e32 v6, v8, v6
	v_fma_f32 v7, v8, v5, -v7
	v_fmac_f32_e32 v6, v2, v5
	buffer_store_dword v7, off, s[0:3], 0 offset:224
	buffer_store_dword v6, off, s[0:3], 0 offset:228
.LBB49_127:
	s_or_b32 exec_lo, exec_lo, s4
	s_waitcnt_vscnt null, 0x0
	s_barrier
	buffer_gl0_inv
	s_clause 0x1
	buffer_load_dword v5, off, s[0:3], 0 offset:232
	buffer_load_dword v6, off, s[0:3], 0 offset:236
	s_mov_b32 s4, exec_lo
	s_waitcnt vmcnt(0)
	ds_write_b64 v4, v[5:6]
	s_waitcnt lgkmcnt(0)
	s_barrier
	buffer_gl0_inv
	v_cmpx_gt_u32_e32 29, v0
	s_cbranch_execz .LBB49_131
; %bb.128:
	v_add_nc_u32_e32 v5, -1, v0
	v_add_nc_u32_e32 v6, 0x190, v3
	v_mov_b32_e32 v7, v3
	v_mov_b32_e32 v2, 0
	;; [unrolled: 1-line block ×3, first 2 shown]
	s_mov_b32 s5, 0
	.p2align	6
.LBB49_129:                             ; =>This Inner Loop Header: Depth=1
	s_clause 0x1
	buffer_load_dword v111, v7, s[0:3], 0 offen offset:4
	buffer_load_dword v112, v7, s[0:3], 0 offen
	ds_read_b64 v[109:110], v6
	v_add_nc_u32_e32 v5, 1, v5
	v_add_nc_u32_e32 v6, 8, v6
	;; [unrolled: 1-line block ×3, first 2 shown]
	v_cmp_lt_u32_e32 vcc_lo, 27, v5
	s_or_b32 s5, vcc_lo, s5
	s_waitcnt vmcnt(1) lgkmcnt(0)
	v_mul_f32_e32 v113, v110, v111
	v_mul_f32_e32 v111, v109, v111
	s_waitcnt vmcnt(0)
	v_fma_f32 v109, v109, v112, -v113
	v_fmac_f32_e32 v111, v110, v112
	v_add_f32_e32 v8, v8, v109
	v_add_f32_e32 v2, v2, v111
	s_andn2_b32 exec_lo, exec_lo, s5
	s_cbranch_execnz .LBB49_129
; %bb.130:
	s_or_b32 exec_lo, exec_lo, s5
	v_mov_b32_e32 v5, 0
	ds_read_b64 v[5:6], v5 offset:232
	s_waitcnt lgkmcnt(0)
	v_mul_f32_e32 v7, v2, v6
	v_mul_f32_e32 v6, v8, v6
	v_fma_f32 v7, v8, v5, -v7
	v_fmac_f32_e32 v6, v2, v5
	buffer_store_dword v7, off, s[0:3], 0 offset:232
	buffer_store_dword v6, off, s[0:3], 0 offset:236
.LBB49_131:
	s_or_b32 exec_lo, exec_lo, s4
	s_waitcnt_vscnt null, 0x0
	s_barrier
	buffer_gl0_inv
	s_clause 0x1
	buffer_load_dword v5, off, s[0:3], 0 offset:240
	buffer_load_dword v6, off, s[0:3], 0 offset:244
	s_mov_b32 s4, exec_lo
	s_waitcnt vmcnt(0)
	ds_write_b64 v4, v[5:6]
	s_waitcnt lgkmcnt(0)
	s_barrier
	buffer_gl0_inv
	v_cmpx_gt_u32_e32 30, v0
	s_cbranch_execz .LBB49_135
; %bb.132:
	v_add_nc_u32_e32 v5, -1, v0
	v_add_nc_u32_e32 v6, 0x190, v3
	v_mov_b32_e32 v7, v3
	v_mov_b32_e32 v2, 0
	;; [unrolled: 1-line block ×3, first 2 shown]
	s_mov_b32 s5, 0
	.p2align	6
.LBB49_133:                             ; =>This Inner Loop Header: Depth=1
	s_clause 0x1
	buffer_load_dword v111, v7, s[0:3], 0 offen offset:4
	buffer_load_dword v112, v7, s[0:3], 0 offen
	ds_read_b64 v[109:110], v6
	v_add_nc_u32_e32 v5, 1, v5
	v_add_nc_u32_e32 v6, 8, v6
	;; [unrolled: 1-line block ×3, first 2 shown]
	v_cmp_lt_u32_e32 vcc_lo, 28, v5
	s_or_b32 s5, vcc_lo, s5
	s_waitcnt vmcnt(1) lgkmcnt(0)
	v_mul_f32_e32 v113, v110, v111
	v_mul_f32_e32 v111, v109, v111
	s_waitcnt vmcnt(0)
	v_fma_f32 v109, v109, v112, -v113
	v_fmac_f32_e32 v111, v110, v112
	v_add_f32_e32 v8, v8, v109
	v_add_f32_e32 v2, v2, v111
	s_andn2_b32 exec_lo, exec_lo, s5
	s_cbranch_execnz .LBB49_133
; %bb.134:
	s_or_b32 exec_lo, exec_lo, s5
	v_mov_b32_e32 v5, 0
	ds_read_b64 v[5:6], v5 offset:240
	s_waitcnt lgkmcnt(0)
	v_mul_f32_e32 v7, v2, v6
	v_mul_f32_e32 v6, v8, v6
	v_fma_f32 v7, v8, v5, -v7
	v_fmac_f32_e32 v6, v2, v5
	buffer_store_dword v7, off, s[0:3], 0 offset:240
	buffer_store_dword v6, off, s[0:3], 0 offset:244
.LBB49_135:
	s_or_b32 exec_lo, exec_lo, s4
	s_waitcnt_vscnt null, 0x0
	s_barrier
	buffer_gl0_inv
	s_clause 0x1
	buffer_load_dword v5, off, s[0:3], 0 offset:248
	buffer_load_dword v6, off, s[0:3], 0 offset:252
	s_mov_b32 s4, exec_lo
	s_waitcnt vmcnt(0)
	ds_write_b64 v4, v[5:6]
	s_waitcnt lgkmcnt(0)
	s_barrier
	buffer_gl0_inv
	v_cmpx_gt_u32_e32 31, v0
	s_cbranch_execz .LBB49_139
; %bb.136:
	v_add_nc_u32_e32 v5, -1, v0
	v_add_nc_u32_e32 v6, 0x190, v3
	v_mov_b32_e32 v7, v3
	v_mov_b32_e32 v2, 0
	v_mov_b32_e32 v8, 0
	s_mov_b32 s5, 0
	.p2align	6
.LBB49_137:                             ; =>This Inner Loop Header: Depth=1
	s_clause 0x1
	buffer_load_dword v111, v7, s[0:3], 0 offen offset:4
	buffer_load_dword v112, v7, s[0:3], 0 offen
	ds_read_b64 v[109:110], v6
	v_add_nc_u32_e32 v5, 1, v5
	v_add_nc_u32_e32 v6, 8, v6
	;; [unrolled: 1-line block ×3, first 2 shown]
	v_cmp_lt_u32_e32 vcc_lo, 29, v5
	s_or_b32 s5, vcc_lo, s5
	s_waitcnt vmcnt(1) lgkmcnt(0)
	v_mul_f32_e32 v113, v110, v111
	v_mul_f32_e32 v111, v109, v111
	s_waitcnt vmcnt(0)
	v_fma_f32 v109, v109, v112, -v113
	v_fmac_f32_e32 v111, v110, v112
	v_add_f32_e32 v8, v8, v109
	v_add_f32_e32 v2, v2, v111
	s_andn2_b32 exec_lo, exec_lo, s5
	s_cbranch_execnz .LBB49_137
; %bb.138:
	s_or_b32 exec_lo, exec_lo, s5
	v_mov_b32_e32 v5, 0
	ds_read_b64 v[5:6], v5 offset:248
	s_waitcnt lgkmcnt(0)
	v_mul_f32_e32 v7, v2, v6
	v_mul_f32_e32 v6, v8, v6
	v_fma_f32 v7, v8, v5, -v7
	v_fmac_f32_e32 v6, v2, v5
	buffer_store_dword v7, off, s[0:3], 0 offset:248
	buffer_store_dword v6, off, s[0:3], 0 offset:252
.LBB49_139:
	s_or_b32 exec_lo, exec_lo, s4
	s_waitcnt_vscnt null, 0x0
	s_barrier
	buffer_gl0_inv
	s_clause 0x1
	buffer_load_dword v5, off, s[0:3], 0 offset:256
	buffer_load_dword v6, off, s[0:3], 0 offset:260
	s_mov_b32 s4, exec_lo
	s_waitcnt vmcnt(0)
	ds_write_b64 v4, v[5:6]
	s_waitcnt lgkmcnt(0)
	s_barrier
	buffer_gl0_inv
	v_cmpx_gt_u32_e32 32, v0
	s_cbranch_execz .LBB49_143
; %bb.140:
	v_add_nc_u32_e32 v5, -1, v0
	v_add_nc_u32_e32 v6, 0x190, v3
	v_mov_b32_e32 v7, v3
	v_mov_b32_e32 v2, 0
	;; [unrolled: 1-line block ×3, first 2 shown]
	s_mov_b32 s5, 0
	.p2align	6
.LBB49_141:                             ; =>This Inner Loop Header: Depth=1
	s_clause 0x1
	buffer_load_dword v111, v7, s[0:3], 0 offen offset:4
	buffer_load_dword v112, v7, s[0:3], 0 offen
	ds_read_b64 v[109:110], v6
	v_add_nc_u32_e32 v5, 1, v5
	v_add_nc_u32_e32 v6, 8, v6
	;; [unrolled: 1-line block ×3, first 2 shown]
	v_cmp_lt_u32_e32 vcc_lo, 30, v5
	s_or_b32 s5, vcc_lo, s5
	s_waitcnt vmcnt(1) lgkmcnt(0)
	v_mul_f32_e32 v113, v110, v111
	v_mul_f32_e32 v111, v109, v111
	s_waitcnt vmcnt(0)
	v_fma_f32 v109, v109, v112, -v113
	v_fmac_f32_e32 v111, v110, v112
	v_add_f32_e32 v8, v8, v109
	v_add_f32_e32 v2, v2, v111
	s_andn2_b32 exec_lo, exec_lo, s5
	s_cbranch_execnz .LBB49_141
; %bb.142:
	s_or_b32 exec_lo, exec_lo, s5
	v_mov_b32_e32 v5, 0
	ds_read_b64 v[5:6], v5 offset:256
	s_waitcnt lgkmcnt(0)
	v_mul_f32_e32 v7, v2, v6
	v_mul_f32_e32 v6, v8, v6
	v_fma_f32 v7, v8, v5, -v7
	v_fmac_f32_e32 v6, v2, v5
	buffer_store_dword v7, off, s[0:3], 0 offset:256
	buffer_store_dword v6, off, s[0:3], 0 offset:260
.LBB49_143:
	s_or_b32 exec_lo, exec_lo, s4
	s_waitcnt_vscnt null, 0x0
	s_barrier
	buffer_gl0_inv
	s_clause 0x1
	buffer_load_dword v5, off, s[0:3], 0 offset:264
	buffer_load_dword v6, off, s[0:3], 0 offset:268
	s_mov_b32 s4, exec_lo
	s_waitcnt vmcnt(0)
	ds_write_b64 v4, v[5:6]
	s_waitcnt lgkmcnt(0)
	s_barrier
	buffer_gl0_inv
	v_cmpx_gt_u32_e32 33, v0
	s_cbranch_execz .LBB49_147
; %bb.144:
	v_add_nc_u32_e32 v5, -1, v0
	v_add_nc_u32_e32 v6, 0x190, v3
	v_mov_b32_e32 v7, v3
	v_mov_b32_e32 v2, 0
	;; [unrolled: 1-line block ×3, first 2 shown]
	s_mov_b32 s5, 0
	.p2align	6
.LBB49_145:                             ; =>This Inner Loop Header: Depth=1
	s_clause 0x1
	buffer_load_dword v111, v7, s[0:3], 0 offen offset:4
	buffer_load_dword v112, v7, s[0:3], 0 offen
	ds_read_b64 v[109:110], v6
	v_add_nc_u32_e32 v5, 1, v5
	v_add_nc_u32_e32 v6, 8, v6
	;; [unrolled: 1-line block ×3, first 2 shown]
	v_cmp_lt_u32_e32 vcc_lo, 31, v5
	s_or_b32 s5, vcc_lo, s5
	s_waitcnt vmcnt(1) lgkmcnt(0)
	v_mul_f32_e32 v113, v110, v111
	v_mul_f32_e32 v111, v109, v111
	s_waitcnt vmcnt(0)
	v_fma_f32 v109, v109, v112, -v113
	v_fmac_f32_e32 v111, v110, v112
	v_add_f32_e32 v8, v8, v109
	v_add_f32_e32 v2, v2, v111
	s_andn2_b32 exec_lo, exec_lo, s5
	s_cbranch_execnz .LBB49_145
; %bb.146:
	s_or_b32 exec_lo, exec_lo, s5
	v_mov_b32_e32 v5, 0
	ds_read_b64 v[5:6], v5 offset:264
	s_waitcnt lgkmcnt(0)
	v_mul_f32_e32 v7, v2, v6
	v_mul_f32_e32 v6, v8, v6
	v_fma_f32 v7, v8, v5, -v7
	v_fmac_f32_e32 v6, v2, v5
	buffer_store_dword v7, off, s[0:3], 0 offset:264
	buffer_store_dword v6, off, s[0:3], 0 offset:268
.LBB49_147:
	s_or_b32 exec_lo, exec_lo, s4
	s_waitcnt_vscnt null, 0x0
	s_barrier
	buffer_gl0_inv
	s_clause 0x1
	buffer_load_dword v5, off, s[0:3], 0 offset:272
	buffer_load_dword v6, off, s[0:3], 0 offset:276
	s_mov_b32 s4, exec_lo
	s_waitcnt vmcnt(0)
	ds_write_b64 v4, v[5:6]
	s_waitcnt lgkmcnt(0)
	s_barrier
	buffer_gl0_inv
	v_cmpx_gt_u32_e32 34, v0
	s_cbranch_execz .LBB49_151
; %bb.148:
	v_add_nc_u32_e32 v5, -1, v0
	v_add_nc_u32_e32 v6, 0x190, v3
	v_mov_b32_e32 v7, v3
	v_mov_b32_e32 v2, 0
	;; [unrolled: 1-line block ×3, first 2 shown]
	s_mov_b32 s5, 0
	.p2align	6
.LBB49_149:                             ; =>This Inner Loop Header: Depth=1
	s_clause 0x1
	buffer_load_dword v111, v7, s[0:3], 0 offen offset:4
	buffer_load_dword v112, v7, s[0:3], 0 offen
	ds_read_b64 v[109:110], v6
	v_add_nc_u32_e32 v5, 1, v5
	v_add_nc_u32_e32 v6, 8, v6
	;; [unrolled: 1-line block ×3, first 2 shown]
	v_cmp_lt_u32_e32 vcc_lo, 32, v5
	s_or_b32 s5, vcc_lo, s5
	s_waitcnt vmcnt(1) lgkmcnt(0)
	v_mul_f32_e32 v113, v110, v111
	v_mul_f32_e32 v111, v109, v111
	s_waitcnt vmcnt(0)
	v_fma_f32 v109, v109, v112, -v113
	v_fmac_f32_e32 v111, v110, v112
	v_add_f32_e32 v8, v8, v109
	v_add_f32_e32 v2, v2, v111
	s_andn2_b32 exec_lo, exec_lo, s5
	s_cbranch_execnz .LBB49_149
; %bb.150:
	s_or_b32 exec_lo, exec_lo, s5
	v_mov_b32_e32 v5, 0
	ds_read_b64 v[5:6], v5 offset:272
	s_waitcnt lgkmcnt(0)
	v_mul_f32_e32 v7, v2, v6
	v_mul_f32_e32 v6, v8, v6
	v_fma_f32 v7, v8, v5, -v7
	v_fmac_f32_e32 v6, v2, v5
	buffer_store_dword v7, off, s[0:3], 0 offset:272
	buffer_store_dword v6, off, s[0:3], 0 offset:276
.LBB49_151:
	s_or_b32 exec_lo, exec_lo, s4
	s_waitcnt_vscnt null, 0x0
	s_barrier
	buffer_gl0_inv
	s_clause 0x1
	buffer_load_dword v5, off, s[0:3], 0 offset:280
	buffer_load_dword v6, off, s[0:3], 0 offset:284
	s_mov_b32 s4, exec_lo
	s_waitcnt vmcnt(0)
	ds_write_b64 v4, v[5:6]
	s_waitcnt lgkmcnt(0)
	s_barrier
	buffer_gl0_inv
	v_cmpx_gt_u32_e32 35, v0
	s_cbranch_execz .LBB49_155
; %bb.152:
	v_add_nc_u32_e32 v5, -1, v0
	v_add_nc_u32_e32 v6, 0x190, v3
	v_mov_b32_e32 v7, v3
	v_mov_b32_e32 v2, 0
	v_mov_b32_e32 v8, 0
	s_mov_b32 s5, 0
	.p2align	6
.LBB49_153:                             ; =>This Inner Loop Header: Depth=1
	s_clause 0x1
	buffer_load_dword v111, v7, s[0:3], 0 offen offset:4
	buffer_load_dword v112, v7, s[0:3], 0 offen
	ds_read_b64 v[109:110], v6
	v_add_nc_u32_e32 v5, 1, v5
	v_add_nc_u32_e32 v6, 8, v6
	;; [unrolled: 1-line block ×3, first 2 shown]
	v_cmp_lt_u32_e32 vcc_lo, 33, v5
	s_or_b32 s5, vcc_lo, s5
	s_waitcnt vmcnt(1) lgkmcnt(0)
	v_mul_f32_e32 v113, v110, v111
	v_mul_f32_e32 v111, v109, v111
	s_waitcnt vmcnt(0)
	v_fma_f32 v109, v109, v112, -v113
	v_fmac_f32_e32 v111, v110, v112
	v_add_f32_e32 v8, v8, v109
	v_add_f32_e32 v2, v2, v111
	s_andn2_b32 exec_lo, exec_lo, s5
	s_cbranch_execnz .LBB49_153
; %bb.154:
	s_or_b32 exec_lo, exec_lo, s5
	v_mov_b32_e32 v5, 0
	ds_read_b64 v[5:6], v5 offset:280
	s_waitcnt lgkmcnt(0)
	v_mul_f32_e32 v7, v2, v6
	v_mul_f32_e32 v6, v8, v6
	v_fma_f32 v7, v8, v5, -v7
	v_fmac_f32_e32 v6, v2, v5
	buffer_store_dword v7, off, s[0:3], 0 offset:280
	buffer_store_dword v6, off, s[0:3], 0 offset:284
.LBB49_155:
	s_or_b32 exec_lo, exec_lo, s4
	s_waitcnt_vscnt null, 0x0
	s_barrier
	buffer_gl0_inv
	s_clause 0x1
	buffer_load_dword v5, off, s[0:3], 0 offset:288
	buffer_load_dword v6, off, s[0:3], 0 offset:292
	s_mov_b32 s4, exec_lo
	s_waitcnt vmcnt(0)
	ds_write_b64 v4, v[5:6]
	s_waitcnt lgkmcnt(0)
	s_barrier
	buffer_gl0_inv
	v_cmpx_gt_u32_e32 36, v0
	s_cbranch_execz .LBB49_159
; %bb.156:
	v_add_nc_u32_e32 v5, -1, v0
	v_add_nc_u32_e32 v6, 0x190, v3
	v_mov_b32_e32 v7, v3
	v_mov_b32_e32 v2, 0
	v_mov_b32_e32 v8, 0
	s_mov_b32 s5, 0
	.p2align	6
.LBB49_157:                             ; =>This Inner Loop Header: Depth=1
	s_clause 0x1
	buffer_load_dword v111, v7, s[0:3], 0 offen offset:4
	buffer_load_dword v112, v7, s[0:3], 0 offen
	ds_read_b64 v[109:110], v6
	v_add_nc_u32_e32 v5, 1, v5
	v_add_nc_u32_e32 v6, 8, v6
	;; [unrolled: 1-line block ×3, first 2 shown]
	v_cmp_lt_u32_e32 vcc_lo, 34, v5
	s_or_b32 s5, vcc_lo, s5
	s_waitcnt vmcnt(1) lgkmcnt(0)
	v_mul_f32_e32 v113, v110, v111
	v_mul_f32_e32 v111, v109, v111
	s_waitcnt vmcnt(0)
	v_fma_f32 v109, v109, v112, -v113
	v_fmac_f32_e32 v111, v110, v112
	v_add_f32_e32 v8, v8, v109
	v_add_f32_e32 v2, v2, v111
	s_andn2_b32 exec_lo, exec_lo, s5
	s_cbranch_execnz .LBB49_157
; %bb.158:
	s_or_b32 exec_lo, exec_lo, s5
	v_mov_b32_e32 v5, 0
	ds_read_b64 v[5:6], v5 offset:288
	s_waitcnt lgkmcnt(0)
	v_mul_f32_e32 v7, v2, v6
	v_mul_f32_e32 v6, v8, v6
	v_fma_f32 v7, v8, v5, -v7
	v_fmac_f32_e32 v6, v2, v5
	buffer_store_dword v7, off, s[0:3], 0 offset:288
	buffer_store_dword v6, off, s[0:3], 0 offset:292
.LBB49_159:
	s_or_b32 exec_lo, exec_lo, s4
	s_waitcnt_vscnt null, 0x0
	s_barrier
	buffer_gl0_inv
	s_clause 0x1
	buffer_load_dword v5, off, s[0:3], 0 offset:296
	buffer_load_dword v6, off, s[0:3], 0 offset:300
	s_mov_b32 s4, exec_lo
	s_waitcnt vmcnt(0)
	ds_write_b64 v4, v[5:6]
	s_waitcnt lgkmcnt(0)
	s_barrier
	buffer_gl0_inv
	v_cmpx_gt_u32_e32 37, v0
	s_cbranch_execz .LBB49_163
; %bb.160:
	v_add_nc_u32_e32 v5, -1, v0
	v_add_nc_u32_e32 v6, 0x190, v3
	v_mov_b32_e32 v7, v3
	v_mov_b32_e32 v2, 0
	;; [unrolled: 1-line block ×3, first 2 shown]
	s_mov_b32 s5, 0
	.p2align	6
.LBB49_161:                             ; =>This Inner Loop Header: Depth=1
	s_clause 0x1
	buffer_load_dword v111, v7, s[0:3], 0 offen offset:4
	buffer_load_dword v112, v7, s[0:3], 0 offen
	ds_read_b64 v[109:110], v6
	v_add_nc_u32_e32 v5, 1, v5
	v_add_nc_u32_e32 v6, 8, v6
	;; [unrolled: 1-line block ×3, first 2 shown]
	v_cmp_lt_u32_e32 vcc_lo, 35, v5
	s_or_b32 s5, vcc_lo, s5
	s_waitcnt vmcnt(1) lgkmcnt(0)
	v_mul_f32_e32 v113, v110, v111
	v_mul_f32_e32 v111, v109, v111
	s_waitcnt vmcnt(0)
	v_fma_f32 v109, v109, v112, -v113
	v_fmac_f32_e32 v111, v110, v112
	v_add_f32_e32 v8, v8, v109
	v_add_f32_e32 v2, v2, v111
	s_andn2_b32 exec_lo, exec_lo, s5
	s_cbranch_execnz .LBB49_161
; %bb.162:
	s_or_b32 exec_lo, exec_lo, s5
	v_mov_b32_e32 v5, 0
	ds_read_b64 v[5:6], v5 offset:296
	s_waitcnt lgkmcnt(0)
	v_mul_f32_e32 v7, v2, v6
	v_mul_f32_e32 v6, v8, v6
	v_fma_f32 v7, v8, v5, -v7
	v_fmac_f32_e32 v6, v2, v5
	buffer_store_dword v7, off, s[0:3], 0 offset:296
	buffer_store_dword v6, off, s[0:3], 0 offset:300
.LBB49_163:
	s_or_b32 exec_lo, exec_lo, s4
	s_waitcnt_vscnt null, 0x0
	s_barrier
	buffer_gl0_inv
	s_clause 0x1
	buffer_load_dword v5, off, s[0:3], 0 offset:304
	buffer_load_dword v6, off, s[0:3], 0 offset:308
	s_mov_b32 s4, exec_lo
	s_waitcnt vmcnt(0)
	ds_write_b64 v4, v[5:6]
	s_waitcnt lgkmcnt(0)
	s_barrier
	buffer_gl0_inv
	v_cmpx_gt_u32_e32 38, v0
	s_cbranch_execz .LBB49_167
; %bb.164:
	v_add_nc_u32_e32 v5, -1, v0
	v_add_nc_u32_e32 v6, 0x190, v3
	v_mov_b32_e32 v7, v3
	v_mov_b32_e32 v2, 0
	;; [unrolled: 1-line block ×3, first 2 shown]
	s_mov_b32 s5, 0
	.p2align	6
.LBB49_165:                             ; =>This Inner Loop Header: Depth=1
	s_clause 0x1
	buffer_load_dword v111, v7, s[0:3], 0 offen offset:4
	buffer_load_dword v112, v7, s[0:3], 0 offen
	ds_read_b64 v[109:110], v6
	v_add_nc_u32_e32 v5, 1, v5
	v_add_nc_u32_e32 v6, 8, v6
	;; [unrolled: 1-line block ×3, first 2 shown]
	v_cmp_lt_u32_e32 vcc_lo, 36, v5
	s_or_b32 s5, vcc_lo, s5
	s_waitcnt vmcnt(1) lgkmcnt(0)
	v_mul_f32_e32 v113, v110, v111
	v_mul_f32_e32 v111, v109, v111
	s_waitcnt vmcnt(0)
	v_fma_f32 v109, v109, v112, -v113
	v_fmac_f32_e32 v111, v110, v112
	v_add_f32_e32 v8, v8, v109
	v_add_f32_e32 v2, v2, v111
	s_andn2_b32 exec_lo, exec_lo, s5
	s_cbranch_execnz .LBB49_165
; %bb.166:
	s_or_b32 exec_lo, exec_lo, s5
	v_mov_b32_e32 v5, 0
	ds_read_b64 v[5:6], v5 offset:304
	s_waitcnt lgkmcnt(0)
	v_mul_f32_e32 v7, v2, v6
	v_mul_f32_e32 v6, v8, v6
	v_fma_f32 v7, v8, v5, -v7
	v_fmac_f32_e32 v6, v2, v5
	buffer_store_dword v7, off, s[0:3], 0 offset:304
	buffer_store_dword v6, off, s[0:3], 0 offset:308
.LBB49_167:
	s_or_b32 exec_lo, exec_lo, s4
	s_waitcnt_vscnt null, 0x0
	s_barrier
	buffer_gl0_inv
	s_clause 0x1
	buffer_load_dword v5, off, s[0:3], 0 offset:312
	buffer_load_dword v6, off, s[0:3], 0 offset:316
	s_mov_b32 s4, exec_lo
	s_waitcnt vmcnt(0)
	ds_write_b64 v4, v[5:6]
	s_waitcnt lgkmcnt(0)
	s_barrier
	buffer_gl0_inv
	v_cmpx_gt_u32_e32 39, v0
	s_cbranch_execz .LBB49_171
; %bb.168:
	v_add_nc_u32_e32 v5, -1, v0
	v_add_nc_u32_e32 v6, 0x190, v3
	v_mov_b32_e32 v7, v3
	v_mov_b32_e32 v2, 0
	v_mov_b32_e32 v8, 0
	s_mov_b32 s5, 0
	.p2align	6
.LBB49_169:                             ; =>This Inner Loop Header: Depth=1
	s_clause 0x1
	buffer_load_dword v111, v7, s[0:3], 0 offen offset:4
	buffer_load_dword v112, v7, s[0:3], 0 offen
	ds_read_b64 v[109:110], v6
	v_add_nc_u32_e32 v5, 1, v5
	v_add_nc_u32_e32 v6, 8, v6
	;; [unrolled: 1-line block ×3, first 2 shown]
	v_cmp_lt_u32_e32 vcc_lo, 37, v5
	s_or_b32 s5, vcc_lo, s5
	s_waitcnt vmcnt(1) lgkmcnt(0)
	v_mul_f32_e32 v113, v110, v111
	v_mul_f32_e32 v111, v109, v111
	s_waitcnt vmcnt(0)
	v_fma_f32 v109, v109, v112, -v113
	v_fmac_f32_e32 v111, v110, v112
	v_add_f32_e32 v8, v8, v109
	v_add_f32_e32 v2, v2, v111
	s_andn2_b32 exec_lo, exec_lo, s5
	s_cbranch_execnz .LBB49_169
; %bb.170:
	s_or_b32 exec_lo, exec_lo, s5
	v_mov_b32_e32 v5, 0
	ds_read_b64 v[5:6], v5 offset:312
	s_waitcnt lgkmcnt(0)
	v_mul_f32_e32 v7, v2, v6
	v_mul_f32_e32 v6, v8, v6
	v_fma_f32 v7, v8, v5, -v7
	v_fmac_f32_e32 v6, v2, v5
	buffer_store_dword v7, off, s[0:3], 0 offset:312
	buffer_store_dword v6, off, s[0:3], 0 offset:316
.LBB49_171:
	s_or_b32 exec_lo, exec_lo, s4
	s_waitcnt_vscnt null, 0x0
	s_barrier
	buffer_gl0_inv
	s_clause 0x1
	buffer_load_dword v5, off, s[0:3], 0 offset:320
	buffer_load_dword v6, off, s[0:3], 0 offset:324
	s_mov_b32 s4, exec_lo
	s_waitcnt vmcnt(0)
	ds_write_b64 v4, v[5:6]
	s_waitcnt lgkmcnt(0)
	s_barrier
	buffer_gl0_inv
	v_cmpx_gt_u32_e32 40, v0
	s_cbranch_execz .LBB49_175
; %bb.172:
	v_add_nc_u32_e32 v5, -1, v0
	v_add_nc_u32_e32 v6, 0x190, v3
	v_mov_b32_e32 v7, v3
	v_mov_b32_e32 v2, 0
	;; [unrolled: 1-line block ×3, first 2 shown]
	s_mov_b32 s5, 0
	.p2align	6
.LBB49_173:                             ; =>This Inner Loop Header: Depth=1
	s_clause 0x1
	buffer_load_dword v111, v7, s[0:3], 0 offen offset:4
	buffer_load_dword v112, v7, s[0:3], 0 offen
	ds_read_b64 v[109:110], v6
	v_add_nc_u32_e32 v5, 1, v5
	v_add_nc_u32_e32 v6, 8, v6
	;; [unrolled: 1-line block ×3, first 2 shown]
	v_cmp_lt_u32_e32 vcc_lo, 38, v5
	s_or_b32 s5, vcc_lo, s5
	s_waitcnt vmcnt(1) lgkmcnt(0)
	v_mul_f32_e32 v113, v110, v111
	v_mul_f32_e32 v111, v109, v111
	s_waitcnt vmcnt(0)
	v_fma_f32 v109, v109, v112, -v113
	v_fmac_f32_e32 v111, v110, v112
	v_add_f32_e32 v8, v8, v109
	v_add_f32_e32 v2, v2, v111
	s_andn2_b32 exec_lo, exec_lo, s5
	s_cbranch_execnz .LBB49_173
; %bb.174:
	s_or_b32 exec_lo, exec_lo, s5
	v_mov_b32_e32 v5, 0
	ds_read_b64 v[5:6], v5 offset:320
	s_waitcnt lgkmcnt(0)
	v_mul_f32_e32 v7, v2, v6
	v_mul_f32_e32 v6, v8, v6
	v_fma_f32 v7, v8, v5, -v7
	v_fmac_f32_e32 v6, v2, v5
	buffer_store_dword v7, off, s[0:3], 0 offset:320
	buffer_store_dword v6, off, s[0:3], 0 offset:324
.LBB49_175:
	s_or_b32 exec_lo, exec_lo, s4
	s_waitcnt_vscnt null, 0x0
	s_barrier
	buffer_gl0_inv
	s_clause 0x1
	buffer_load_dword v5, off, s[0:3], 0 offset:328
	buffer_load_dword v6, off, s[0:3], 0 offset:332
	s_mov_b32 s4, exec_lo
	s_waitcnt vmcnt(0)
	ds_write_b64 v4, v[5:6]
	s_waitcnt lgkmcnt(0)
	s_barrier
	buffer_gl0_inv
	v_cmpx_gt_u32_e32 41, v0
	s_cbranch_execz .LBB49_179
; %bb.176:
	v_add_nc_u32_e32 v5, -1, v0
	v_add_nc_u32_e32 v6, 0x190, v3
	v_mov_b32_e32 v7, v3
	v_mov_b32_e32 v2, 0
	;; [unrolled: 1-line block ×3, first 2 shown]
	s_mov_b32 s5, 0
	.p2align	6
.LBB49_177:                             ; =>This Inner Loop Header: Depth=1
	s_clause 0x1
	buffer_load_dword v111, v7, s[0:3], 0 offen offset:4
	buffer_load_dword v112, v7, s[0:3], 0 offen
	ds_read_b64 v[109:110], v6
	v_add_nc_u32_e32 v5, 1, v5
	v_add_nc_u32_e32 v6, 8, v6
	;; [unrolled: 1-line block ×3, first 2 shown]
	v_cmp_lt_u32_e32 vcc_lo, 39, v5
	s_or_b32 s5, vcc_lo, s5
	s_waitcnt vmcnt(1) lgkmcnt(0)
	v_mul_f32_e32 v113, v110, v111
	v_mul_f32_e32 v111, v109, v111
	s_waitcnt vmcnt(0)
	v_fma_f32 v109, v109, v112, -v113
	v_fmac_f32_e32 v111, v110, v112
	v_add_f32_e32 v8, v8, v109
	v_add_f32_e32 v2, v2, v111
	s_andn2_b32 exec_lo, exec_lo, s5
	s_cbranch_execnz .LBB49_177
; %bb.178:
	s_or_b32 exec_lo, exec_lo, s5
	v_mov_b32_e32 v5, 0
	ds_read_b64 v[5:6], v5 offset:328
	s_waitcnt lgkmcnt(0)
	v_mul_f32_e32 v7, v2, v6
	v_mul_f32_e32 v6, v8, v6
	v_fma_f32 v7, v8, v5, -v7
	v_fmac_f32_e32 v6, v2, v5
	buffer_store_dword v7, off, s[0:3], 0 offset:328
	buffer_store_dword v6, off, s[0:3], 0 offset:332
.LBB49_179:
	s_or_b32 exec_lo, exec_lo, s4
	s_waitcnt_vscnt null, 0x0
	s_barrier
	buffer_gl0_inv
	s_clause 0x1
	buffer_load_dword v5, off, s[0:3], 0 offset:336
	buffer_load_dword v6, off, s[0:3], 0 offset:340
	s_mov_b32 s4, exec_lo
	s_waitcnt vmcnt(0)
	ds_write_b64 v4, v[5:6]
	s_waitcnt lgkmcnt(0)
	s_barrier
	buffer_gl0_inv
	v_cmpx_gt_u32_e32 42, v0
	s_cbranch_execz .LBB49_183
; %bb.180:
	v_add_nc_u32_e32 v5, -1, v0
	v_add_nc_u32_e32 v6, 0x190, v3
	v_mov_b32_e32 v7, v3
	v_mov_b32_e32 v2, 0
	;; [unrolled: 1-line block ×3, first 2 shown]
	s_mov_b32 s5, 0
	.p2align	6
.LBB49_181:                             ; =>This Inner Loop Header: Depth=1
	s_clause 0x1
	buffer_load_dword v111, v7, s[0:3], 0 offen offset:4
	buffer_load_dword v112, v7, s[0:3], 0 offen
	ds_read_b64 v[109:110], v6
	v_add_nc_u32_e32 v5, 1, v5
	v_add_nc_u32_e32 v6, 8, v6
	;; [unrolled: 1-line block ×3, first 2 shown]
	v_cmp_lt_u32_e32 vcc_lo, 40, v5
	s_or_b32 s5, vcc_lo, s5
	s_waitcnt vmcnt(1) lgkmcnt(0)
	v_mul_f32_e32 v113, v110, v111
	v_mul_f32_e32 v111, v109, v111
	s_waitcnt vmcnt(0)
	v_fma_f32 v109, v109, v112, -v113
	v_fmac_f32_e32 v111, v110, v112
	v_add_f32_e32 v8, v8, v109
	v_add_f32_e32 v2, v2, v111
	s_andn2_b32 exec_lo, exec_lo, s5
	s_cbranch_execnz .LBB49_181
; %bb.182:
	s_or_b32 exec_lo, exec_lo, s5
	v_mov_b32_e32 v5, 0
	ds_read_b64 v[5:6], v5 offset:336
	s_waitcnt lgkmcnt(0)
	v_mul_f32_e32 v7, v2, v6
	v_mul_f32_e32 v6, v8, v6
	v_fma_f32 v7, v8, v5, -v7
	v_fmac_f32_e32 v6, v2, v5
	buffer_store_dword v7, off, s[0:3], 0 offset:336
	buffer_store_dword v6, off, s[0:3], 0 offset:340
.LBB49_183:
	s_or_b32 exec_lo, exec_lo, s4
	s_waitcnt_vscnt null, 0x0
	s_barrier
	buffer_gl0_inv
	s_clause 0x1
	buffer_load_dword v5, off, s[0:3], 0 offset:344
	buffer_load_dword v6, off, s[0:3], 0 offset:348
	s_mov_b32 s4, exec_lo
	s_waitcnt vmcnt(0)
	ds_write_b64 v4, v[5:6]
	s_waitcnt lgkmcnt(0)
	s_barrier
	buffer_gl0_inv
	v_cmpx_gt_u32_e32 43, v0
	s_cbranch_execz .LBB49_187
; %bb.184:
	v_add_nc_u32_e32 v5, -1, v0
	v_add_nc_u32_e32 v6, 0x190, v3
	v_mov_b32_e32 v7, v3
	v_mov_b32_e32 v2, 0
	;; [unrolled: 1-line block ×3, first 2 shown]
	s_mov_b32 s5, 0
	.p2align	6
.LBB49_185:                             ; =>This Inner Loop Header: Depth=1
	s_clause 0x1
	buffer_load_dword v111, v7, s[0:3], 0 offen offset:4
	buffer_load_dword v112, v7, s[0:3], 0 offen
	ds_read_b64 v[109:110], v6
	v_add_nc_u32_e32 v5, 1, v5
	v_add_nc_u32_e32 v6, 8, v6
	;; [unrolled: 1-line block ×3, first 2 shown]
	v_cmp_lt_u32_e32 vcc_lo, 41, v5
	s_or_b32 s5, vcc_lo, s5
	s_waitcnt vmcnt(1) lgkmcnt(0)
	v_mul_f32_e32 v113, v110, v111
	v_mul_f32_e32 v111, v109, v111
	s_waitcnt vmcnt(0)
	v_fma_f32 v109, v109, v112, -v113
	v_fmac_f32_e32 v111, v110, v112
	v_add_f32_e32 v8, v8, v109
	v_add_f32_e32 v2, v2, v111
	s_andn2_b32 exec_lo, exec_lo, s5
	s_cbranch_execnz .LBB49_185
; %bb.186:
	s_or_b32 exec_lo, exec_lo, s5
	v_mov_b32_e32 v5, 0
	ds_read_b64 v[5:6], v5 offset:344
	s_waitcnt lgkmcnt(0)
	v_mul_f32_e32 v7, v2, v6
	v_mul_f32_e32 v6, v8, v6
	v_fma_f32 v7, v8, v5, -v7
	v_fmac_f32_e32 v6, v2, v5
	buffer_store_dword v7, off, s[0:3], 0 offset:344
	buffer_store_dword v6, off, s[0:3], 0 offset:348
.LBB49_187:
	s_or_b32 exec_lo, exec_lo, s4
	s_waitcnt_vscnt null, 0x0
	s_barrier
	buffer_gl0_inv
	s_clause 0x1
	buffer_load_dword v5, off, s[0:3], 0 offset:352
	buffer_load_dword v6, off, s[0:3], 0 offset:356
	s_mov_b32 s4, exec_lo
	s_waitcnt vmcnt(0)
	ds_write_b64 v4, v[5:6]
	s_waitcnt lgkmcnt(0)
	s_barrier
	buffer_gl0_inv
	v_cmpx_gt_u32_e32 44, v0
	s_cbranch_execz .LBB49_191
; %bb.188:
	v_add_nc_u32_e32 v5, -1, v0
	v_add_nc_u32_e32 v6, 0x190, v3
	v_mov_b32_e32 v7, v3
	v_mov_b32_e32 v2, 0
	v_mov_b32_e32 v8, 0
	s_mov_b32 s5, 0
	.p2align	6
.LBB49_189:                             ; =>This Inner Loop Header: Depth=1
	s_clause 0x1
	buffer_load_dword v111, v7, s[0:3], 0 offen offset:4
	buffer_load_dword v112, v7, s[0:3], 0 offen
	ds_read_b64 v[109:110], v6
	v_add_nc_u32_e32 v5, 1, v5
	v_add_nc_u32_e32 v6, 8, v6
	;; [unrolled: 1-line block ×3, first 2 shown]
	v_cmp_lt_u32_e32 vcc_lo, 42, v5
	s_or_b32 s5, vcc_lo, s5
	s_waitcnt vmcnt(1) lgkmcnt(0)
	v_mul_f32_e32 v113, v110, v111
	v_mul_f32_e32 v111, v109, v111
	s_waitcnt vmcnt(0)
	v_fma_f32 v109, v109, v112, -v113
	v_fmac_f32_e32 v111, v110, v112
	v_add_f32_e32 v8, v8, v109
	v_add_f32_e32 v2, v2, v111
	s_andn2_b32 exec_lo, exec_lo, s5
	s_cbranch_execnz .LBB49_189
; %bb.190:
	s_or_b32 exec_lo, exec_lo, s5
	v_mov_b32_e32 v5, 0
	ds_read_b64 v[5:6], v5 offset:352
	s_waitcnt lgkmcnt(0)
	v_mul_f32_e32 v7, v2, v6
	v_mul_f32_e32 v6, v8, v6
	v_fma_f32 v7, v8, v5, -v7
	v_fmac_f32_e32 v6, v2, v5
	buffer_store_dword v7, off, s[0:3], 0 offset:352
	buffer_store_dword v6, off, s[0:3], 0 offset:356
.LBB49_191:
	s_or_b32 exec_lo, exec_lo, s4
	s_waitcnt_vscnt null, 0x0
	s_barrier
	buffer_gl0_inv
	s_clause 0x1
	buffer_load_dword v5, off, s[0:3], 0 offset:360
	buffer_load_dword v6, off, s[0:3], 0 offset:364
	s_mov_b32 s4, exec_lo
	s_waitcnt vmcnt(0)
	ds_write_b64 v4, v[5:6]
	s_waitcnt lgkmcnt(0)
	s_barrier
	buffer_gl0_inv
	v_cmpx_gt_u32_e32 45, v0
	s_cbranch_execz .LBB49_195
; %bb.192:
	v_add_nc_u32_e32 v5, -1, v0
	v_add_nc_u32_e32 v6, 0x190, v3
	v_mov_b32_e32 v7, v3
	v_mov_b32_e32 v2, 0
	;; [unrolled: 1-line block ×3, first 2 shown]
	s_mov_b32 s5, 0
	.p2align	6
.LBB49_193:                             ; =>This Inner Loop Header: Depth=1
	s_clause 0x1
	buffer_load_dword v111, v7, s[0:3], 0 offen offset:4
	buffer_load_dword v112, v7, s[0:3], 0 offen
	ds_read_b64 v[109:110], v6
	v_add_nc_u32_e32 v5, 1, v5
	v_add_nc_u32_e32 v6, 8, v6
	;; [unrolled: 1-line block ×3, first 2 shown]
	v_cmp_lt_u32_e32 vcc_lo, 43, v5
	s_or_b32 s5, vcc_lo, s5
	s_waitcnt vmcnt(1) lgkmcnt(0)
	v_mul_f32_e32 v113, v110, v111
	v_mul_f32_e32 v111, v109, v111
	s_waitcnt vmcnt(0)
	v_fma_f32 v109, v109, v112, -v113
	v_fmac_f32_e32 v111, v110, v112
	v_add_f32_e32 v8, v8, v109
	v_add_f32_e32 v2, v2, v111
	s_andn2_b32 exec_lo, exec_lo, s5
	s_cbranch_execnz .LBB49_193
; %bb.194:
	s_or_b32 exec_lo, exec_lo, s5
	v_mov_b32_e32 v5, 0
	ds_read_b64 v[5:6], v5 offset:360
	s_waitcnt lgkmcnt(0)
	v_mul_f32_e32 v7, v2, v6
	v_mul_f32_e32 v6, v8, v6
	v_fma_f32 v7, v8, v5, -v7
	v_fmac_f32_e32 v6, v2, v5
	buffer_store_dword v7, off, s[0:3], 0 offset:360
	buffer_store_dword v6, off, s[0:3], 0 offset:364
.LBB49_195:
	s_or_b32 exec_lo, exec_lo, s4
	s_waitcnt_vscnt null, 0x0
	s_barrier
	buffer_gl0_inv
	s_clause 0x1
	buffer_load_dword v5, off, s[0:3], 0 offset:368
	buffer_load_dword v6, off, s[0:3], 0 offset:372
	s_mov_b32 s4, exec_lo
	s_waitcnt vmcnt(0)
	ds_write_b64 v4, v[5:6]
	s_waitcnt lgkmcnt(0)
	s_barrier
	buffer_gl0_inv
	v_cmpx_gt_u32_e32 46, v0
	s_cbranch_execz .LBB49_199
; %bb.196:
	v_add_nc_u32_e32 v5, -1, v0
	v_add_nc_u32_e32 v6, 0x190, v3
	v_mov_b32_e32 v7, v3
	v_mov_b32_e32 v2, 0
	;; [unrolled: 1-line block ×3, first 2 shown]
	s_mov_b32 s5, 0
	.p2align	6
.LBB49_197:                             ; =>This Inner Loop Header: Depth=1
	s_clause 0x1
	buffer_load_dword v111, v7, s[0:3], 0 offen offset:4
	buffer_load_dword v112, v7, s[0:3], 0 offen
	ds_read_b64 v[109:110], v6
	v_add_nc_u32_e32 v5, 1, v5
	v_add_nc_u32_e32 v6, 8, v6
	;; [unrolled: 1-line block ×3, first 2 shown]
	v_cmp_lt_u32_e32 vcc_lo, 44, v5
	s_or_b32 s5, vcc_lo, s5
	s_waitcnt vmcnt(1) lgkmcnt(0)
	v_mul_f32_e32 v113, v110, v111
	v_mul_f32_e32 v111, v109, v111
	s_waitcnt vmcnt(0)
	v_fma_f32 v109, v109, v112, -v113
	v_fmac_f32_e32 v111, v110, v112
	v_add_f32_e32 v8, v8, v109
	v_add_f32_e32 v2, v2, v111
	s_andn2_b32 exec_lo, exec_lo, s5
	s_cbranch_execnz .LBB49_197
; %bb.198:
	s_or_b32 exec_lo, exec_lo, s5
	v_mov_b32_e32 v5, 0
	ds_read_b64 v[5:6], v5 offset:368
	s_waitcnt lgkmcnt(0)
	v_mul_f32_e32 v7, v2, v6
	v_mul_f32_e32 v6, v8, v6
	v_fma_f32 v7, v8, v5, -v7
	v_fmac_f32_e32 v6, v2, v5
	buffer_store_dword v7, off, s[0:3], 0 offset:368
	buffer_store_dword v6, off, s[0:3], 0 offset:372
.LBB49_199:
	s_or_b32 exec_lo, exec_lo, s4
	s_waitcnt_vscnt null, 0x0
	s_barrier
	buffer_gl0_inv
	s_clause 0x1
	buffer_load_dword v5, off, s[0:3], 0 offset:376
	buffer_load_dword v6, off, s[0:3], 0 offset:380
	s_mov_b32 s4, exec_lo
	s_waitcnt vmcnt(0)
	ds_write_b64 v4, v[5:6]
	s_waitcnt lgkmcnt(0)
	s_barrier
	buffer_gl0_inv
	v_cmpx_gt_u32_e32 47, v0
	s_cbranch_execz .LBB49_203
; %bb.200:
	v_add_nc_u32_e32 v5, -1, v0
	v_add_nc_u32_e32 v6, 0x190, v3
	v_mov_b32_e32 v7, v3
	v_mov_b32_e32 v2, 0
	;; [unrolled: 1-line block ×3, first 2 shown]
	s_mov_b32 s5, 0
	.p2align	6
.LBB49_201:                             ; =>This Inner Loop Header: Depth=1
	s_clause 0x1
	buffer_load_dword v111, v7, s[0:3], 0 offen offset:4
	buffer_load_dword v112, v7, s[0:3], 0 offen
	ds_read_b64 v[109:110], v6
	v_add_nc_u32_e32 v5, 1, v5
	v_add_nc_u32_e32 v6, 8, v6
	;; [unrolled: 1-line block ×3, first 2 shown]
	v_cmp_lt_u32_e32 vcc_lo, 45, v5
	s_or_b32 s5, vcc_lo, s5
	s_waitcnt vmcnt(1) lgkmcnt(0)
	v_mul_f32_e32 v113, v110, v111
	v_mul_f32_e32 v111, v109, v111
	s_waitcnt vmcnt(0)
	v_fma_f32 v109, v109, v112, -v113
	v_fmac_f32_e32 v111, v110, v112
	v_add_f32_e32 v8, v8, v109
	v_add_f32_e32 v2, v2, v111
	s_andn2_b32 exec_lo, exec_lo, s5
	s_cbranch_execnz .LBB49_201
; %bb.202:
	s_or_b32 exec_lo, exec_lo, s5
	v_mov_b32_e32 v5, 0
	ds_read_b64 v[5:6], v5 offset:376
	s_waitcnt lgkmcnt(0)
	v_mul_f32_e32 v7, v2, v6
	v_mul_f32_e32 v6, v8, v6
	v_fma_f32 v7, v8, v5, -v7
	v_fmac_f32_e32 v6, v2, v5
	buffer_store_dword v7, off, s[0:3], 0 offset:376
	buffer_store_dword v6, off, s[0:3], 0 offset:380
.LBB49_203:
	s_or_b32 exec_lo, exec_lo, s4
	s_waitcnt_vscnt null, 0x0
	s_barrier
	buffer_gl0_inv
	s_clause 0x1
	buffer_load_dword v5, off, s[0:3], 0 offset:384
	buffer_load_dword v6, off, s[0:3], 0 offset:388
	s_mov_b32 s4, exec_lo
	s_waitcnt vmcnt(0)
	ds_write_b64 v4, v[5:6]
	s_waitcnt lgkmcnt(0)
	s_barrier
	buffer_gl0_inv
	v_cmpx_gt_u32_e32 48, v0
	s_cbranch_execz .LBB49_207
; %bb.204:
	v_add_nc_u32_e32 v5, -1, v0
	v_add_nc_u32_e32 v6, 0x190, v3
	v_mov_b32_e32 v7, v3
	v_mov_b32_e32 v2, 0
	;; [unrolled: 1-line block ×3, first 2 shown]
	s_mov_b32 s5, 0
	.p2align	6
.LBB49_205:                             ; =>This Inner Loop Header: Depth=1
	s_clause 0x1
	buffer_load_dword v111, v7, s[0:3], 0 offen offset:4
	buffer_load_dword v112, v7, s[0:3], 0 offen
	ds_read_b64 v[109:110], v6
	v_add_nc_u32_e32 v5, 1, v5
	v_add_nc_u32_e32 v6, 8, v6
	;; [unrolled: 1-line block ×3, first 2 shown]
	v_cmp_lt_u32_e32 vcc_lo, 46, v5
	s_or_b32 s5, vcc_lo, s5
	s_waitcnt vmcnt(1) lgkmcnt(0)
	v_mul_f32_e32 v113, v110, v111
	v_mul_f32_e32 v111, v109, v111
	s_waitcnt vmcnt(0)
	v_fma_f32 v109, v109, v112, -v113
	v_fmac_f32_e32 v111, v110, v112
	v_add_f32_e32 v8, v8, v109
	v_add_f32_e32 v2, v2, v111
	s_andn2_b32 exec_lo, exec_lo, s5
	s_cbranch_execnz .LBB49_205
; %bb.206:
	s_or_b32 exec_lo, exec_lo, s5
	v_mov_b32_e32 v5, 0
	ds_read_b64 v[5:6], v5 offset:384
	s_waitcnt lgkmcnt(0)
	v_mul_f32_e32 v7, v2, v6
	v_mul_f32_e32 v6, v8, v6
	v_fma_f32 v7, v8, v5, -v7
	v_fmac_f32_e32 v6, v2, v5
	buffer_store_dword v7, off, s[0:3], 0 offset:384
	buffer_store_dword v6, off, s[0:3], 0 offset:388
.LBB49_207:
	s_or_b32 exec_lo, exec_lo, s4
	s_waitcnt_vscnt null, 0x0
	s_barrier
	buffer_gl0_inv
	s_clause 0x1
	buffer_load_dword v5, off, s[0:3], 0 offset:392
	buffer_load_dword v6, off, s[0:3], 0 offset:396
	s_mov_b32 s4, exec_lo
	s_waitcnt vmcnt(0)
	ds_write_b64 v4, v[5:6]
	s_waitcnt lgkmcnt(0)
	s_barrier
	buffer_gl0_inv
	v_cmpx_ne_u32_e32 49, v0
	s_cbranch_execz .LBB49_211
; %bb.208:
	v_mov_b32_e32 v2, 0
	v_mov_b32_e32 v5, 0
	s_mov_b32 s5, 0
	.p2align	6
.LBB49_209:                             ; =>This Inner Loop Header: Depth=1
	s_clause 0x1
	buffer_load_dword v8, v3, s[0:3], 0 offen offset:4
	buffer_load_dword v109, v3, s[0:3], 0 offen
	ds_read_b64 v[6:7], v4
	v_add_nc_u32_e32 v1, 1, v1
	v_add_nc_u32_e32 v4, 8, v4
	;; [unrolled: 1-line block ×3, first 2 shown]
	v_cmp_lt_u32_e32 vcc_lo, 47, v1
	s_or_b32 s5, vcc_lo, s5
	s_waitcnt vmcnt(1) lgkmcnt(0)
	v_mul_f32_e32 v110, v7, v8
	v_mul_f32_e32 v8, v6, v8
	s_waitcnt vmcnt(0)
	v_fma_f32 v6, v6, v109, -v110
	v_fmac_f32_e32 v8, v7, v109
	v_add_f32_e32 v5, v5, v6
	v_add_f32_e32 v2, v2, v8
	s_andn2_b32 exec_lo, exec_lo, s5
	s_cbranch_execnz .LBB49_209
; %bb.210:
	s_or_b32 exec_lo, exec_lo, s5
	v_mov_b32_e32 v1, 0
	ds_read_b64 v[3:4], v1 offset:392
	s_waitcnt lgkmcnt(0)
	v_mul_f32_e32 v1, v2, v4
	v_mul_f32_e32 v4, v5, v4
	v_fma_f32 v1, v5, v3, -v1
	v_fmac_f32_e32 v4, v2, v3
	buffer_store_dword v1, off, s[0:3], 0 offset:392
	buffer_store_dword v4, off, s[0:3], 0 offset:396
.LBB49_211:
	s_or_b32 exec_lo, exec_lo, s4
	s_mov_b32 s5, -1
	s_waitcnt_vscnt null, 0x0
	s_barrier
	buffer_gl0_inv
.LBB49_212:
	s_and_b32 vcc_lo, exec_lo, s5
	s_cbranch_vccz .LBB49_214
; %bb.213:
	s_lshl_b64 s[4:5], s[6:7], 2
	v_mov_b32_e32 v1, 0
	s_add_u32 s4, s10, s4
	s_addc_u32 s5, s11, s5
	global_load_dword v1, v1, s[4:5]
	s_waitcnt vmcnt(0)
	v_cmp_ne_u32_e32 vcc_lo, 0, v1
	s_cbranch_vccz .LBB49_215
.LBB49_214:
	s_endpgm
.LBB49_215:
	v_lshl_add_u32 v109, v0, 3, 0x190
	s_mov_b32 s4, exec_lo
	v_cmpx_eq_u32_e32 49, v0
	s_cbranch_execz .LBB49_217
; %bb.216:
	s_clause 0x1
	buffer_load_dword v1, off, s[0:3], 0 offset:384
	buffer_load_dword v2, off, s[0:3], 0 offset:388
	v_mov_b32_e32 v3, 0
	buffer_store_dword v3, off, s[0:3], 0 offset:384
	buffer_store_dword v3, off, s[0:3], 0 offset:388
	s_waitcnt vmcnt(0)
	ds_write_b64 v109, v[1:2]
.LBB49_217:
	s_or_b32 exec_lo, exec_lo, s4
	s_waitcnt lgkmcnt(0)
	s_waitcnt_vscnt null, 0x0
	s_barrier
	buffer_gl0_inv
	s_clause 0x3
	buffer_load_dword v4, off, s[0:3], 0 offset:396
	buffer_load_dword v5, off, s[0:3], 0 offset:392
	;; [unrolled: 1-line block ×4, first 2 shown]
	v_mov_b32_e32 v1, 0
	s_mov_b32 s4, exec_lo
	ds_read_b64 v[2:3], v1 offset:792
	s_waitcnt vmcnt(3) lgkmcnt(0)
	v_mul_f32_e32 v8, v3, v4
	v_mul_f32_e32 v4, v2, v4
	s_waitcnt vmcnt(2)
	v_fma_f32 v2, v2, v5, -v8
	v_fmac_f32_e32 v4, v3, v5
	v_add_f32_e32 v2, 0, v2
	v_add_f32_e32 v3, 0, v4
	s_waitcnt vmcnt(1)
	v_sub_f32_e32 v2, v6, v2
	s_waitcnt vmcnt(0)
	v_sub_f32_e32 v3, v7, v3
	buffer_store_dword v2, off, s[0:3], 0 offset:384
	buffer_store_dword v3, off, s[0:3], 0 offset:388
	v_cmpx_lt_u32_e32 47, v0
	s_cbranch_execz .LBB49_219
; %bb.218:
	s_clause 0x1
	buffer_load_dword v2, off, s[0:3], 0 offset:376
	buffer_load_dword v3, off, s[0:3], 0 offset:380
	buffer_store_dword v1, off, s[0:3], 0 offset:376
	buffer_store_dword v1, off, s[0:3], 0 offset:380
	s_waitcnt vmcnt(0)
	ds_write_b64 v109, v[2:3]
.LBB49_219:
	s_or_b32 exec_lo, exec_lo, s4
	s_waitcnt lgkmcnt(0)
	s_waitcnt_vscnt null, 0x0
	s_barrier
	buffer_gl0_inv
	s_clause 0x5
	buffer_load_dword v5, off, s[0:3], 0 offset:388
	buffer_load_dword v6, off, s[0:3], 0 offset:396
	;; [unrolled: 1-line block ×6, first 2 shown]
	ds_read_b128 v[1:4], v1 offset:784
	s_mov_b32 s4, exec_lo
	s_waitcnt vmcnt(5) lgkmcnt(0)
	v_mul_f32_e32 v112, v2, v5
	v_mul_f32_e32 v5, v1, v5
	s_waitcnt vmcnt(4)
	v_mul_f32_e32 v113, v3, v6
	v_mul_f32_e32 v6, v4, v6
	s_waitcnt vmcnt(3)
	v_fma_f32 v1, v1, v7, -v112
	v_fmac_f32_e32 v5, v2, v7
	s_waitcnt vmcnt(2)
	v_fmac_f32_e32 v113, v4, v8
	v_fma_f32 v2, v3, v8, -v6
	v_add_f32_e32 v1, 0, v1
	v_add_f32_e32 v3, 0, v5
	;; [unrolled: 1-line block ×4, first 2 shown]
	s_waitcnt vmcnt(1)
	v_sub_f32_e32 v1, v110, v1
	s_waitcnt vmcnt(0)
	v_sub_f32_e32 v2, v111, v2
	buffer_store_dword v1, off, s[0:3], 0 offset:376
	buffer_store_dword v2, off, s[0:3], 0 offset:380
	v_cmpx_lt_u32_e32 46, v0
	s_cbranch_execz .LBB49_221
; %bb.220:
	s_clause 0x1
	buffer_load_dword v1, off, s[0:3], 0 offset:368
	buffer_load_dword v2, off, s[0:3], 0 offset:372
	v_mov_b32_e32 v3, 0
	buffer_store_dword v3, off, s[0:3], 0 offset:368
	buffer_store_dword v3, off, s[0:3], 0 offset:372
	s_waitcnt vmcnt(0)
	ds_write_b64 v109, v[1:2]
.LBB49_221:
	s_or_b32 exec_lo, exec_lo, s4
	s_waitcnt lgkmcnt(0)
	s_waitcnt_vscnt null, 0x0
	s_barrier
	buffer_gl0_inv
	s_clause 0x7
	buffer_load_dword v8, off, s[0:3], 0 offset:380
	buffer_load_dword v110, off, s[0:3], 0 offset:388
	buffer_load_dword v111, off, s[0:3], 0 offset:396
	buffer_load_dword v112, off, s[0:3], 0 offset:376
	buffer_load_dword v113, off, s[0:3], 0 offset:384
	buffer_load_dword v114, off, s[0:3], 0 offset:392
	buffer_load_dword v115, off, s[0:3], 0 offset:368
	buffer_load_dword v116, off, s[0:3], 0 offset:372
	v_mov_b32_e32 v1, 0
	ds_read2_b64 v[2:5], v1 offset0:97 offset1:98
	ds_read_b64 v[6:7], v1 offset:792
	s_mov_b32 s4, exec_lo
	s_waitcnt vmcnt(7) lgkmcnt(1)
	v_mul_f32_e32 v117, v3, v8
	v_mul_f32_e32 v8, v2, v8
	s_waitcnt vmcnt(6)
	v_mul_f32_e32 v118, v4, v110
	v_mul_f32_e32 v110, v5, v110
	s_waitcnt vmcnt(5) lgkmcnt(0)
	v_mul_f32_e32 v119, v6, v111
	s_waitcnt vmcnt(4)
	v_fma_f32 v2, v2, v112, -v117
	v_fmac_f32_e32 v8, v3, v112
	v_mul_f32_e32 v3, v7, v111
	s_waitcnt vmcnt(3)
	v_fma_f32 v4, v4, v113, -v110
	v_fmac_f32_e32 v118, v5, v113
	v_add_f32_e32 v2, 0, v2
	v_add_f32_e32 v5, 0, v8
	s_waitcnt vmcnt(2)
	v_fma_f32 v3, v6, v114, -v3
	v_fmac_f32_e32 v119, v7, v114
	v_add_f32_e32 v2, v2, v4
	v_add_f32_e32 v4, v5, v118
	;; [unrolled: 1-line block ×4, first 2 shown]
	s_waitcnt vmcnt(1)
	v_sub_f32_e32 v2, v115, v2
	s_waitcnt vmcnt(0)
	v_sub_f32_e32 v3, v116, v3
	buffer_store_dword v2, off, s[0:3], 0 offset:368
	buffer_store_dword v3, off, s[0:3], 0 offset:372
	v_cmpx_lt_u32_e32 45, v0
	s_cbranch_execz .LBB49_223
; %bb.222:
	s_clause 0x1
	buffer_load_dword v2, off, s[0:3], 0 offset:360
	buffer_load_dword v3, off, s[0:3], 0 offset:364
	buffer_store_dword v1, off, s[0:3], 0 offset:360
	buffer_store_dword v1, off, s[0:3], 0 offset:364
	s_waitcnt vmcnt(0)
	ds_write_b64 v109, v[2:3]
.LBB49_223:
	s_or_b32 exec_lo, exec_lo, s4
	s_waitcnt lgkmcnt(0)
	s_waitcnt_vscnt null, 0x0
	s_barrier
	buffer_gl0_inv
	s_clause 0x9
	buffer_load_dword v6, off, s[0:3], 0 offset:372
	buffer_load_dword v7, off, s[0:3], 0 offset:380
	;; [unrolled: 1-line block ×10, first 2 shown]
	ds_read_b128 v[2:5], v1 offset:768
	ds_read_b128 v[110:113], v1 offset:784
	s_mov_b32 s4, exec_lo
	s_waitcnt vmcnt(9) lgkmcnt(1)
	v_mul_f32_e32 v1, v2, v6
	v_mul_f32_e32 v6, v3, v6
	s_waitcnt vmcnt(8)
	v_mul_f32_e32 v121, v4, v7
	v_mul_f32_e32 v7, v5, v7
	s_waitcnt vmcnt(7) lgkmcnt(0)
	v_mul_f32_e32 v122, v110, v8
	s_waitcnt vmcnt(5)
	v_fmac_f32_e32 v1, v3, v115
	v_fma_f32 v2, v2, v115, -v6
	v_mul_f32_e32 v3, v111, v8
	s_waitcnt vmcnt(4)
	v_fma_f32 v4, v4, v116, -v7
	v_fmac_f32_e32 v121, v5, v116
	v_add_f32_e32 v1, 0, v1
	v_add_f32_e32 v2, 0, v2
	v_mul_f32_e32 v5, v113, v114
	s_waitcnt vmcnt(3)
	v_fma_f32 v3, v110, v117, -v3
	v_mul_f32_e32 v123, v112, v114
	v_fmac_f32_e32 v122, v111, v117
	v_add_f32_e32 v2, v2, v4
	v_add_f32_e32 v1, v1, v121
	s_waitcnt vmcnt(2)
	v_fma_f32 v4, v112, v118, -v5
	v_fmac_f32_e32 v123, v113, v118
	v_add_f32_e32 v2, v2, v3
	v_add_f32_e32 v1, v1, v122
	;; [unrolled: 1-line block ×4, first 2 shown]
	s_waitcnt vmcnt(1)
	v_sub_f32_e32 v2, v119, v2
	s_waitcnt vmcnt(0)
	v_sub_f32_e32 v1, v120, v1
	buffer_store_dword v2, off, s[0:3], 0 offset:360
	buffer_store_dword v1, off, s[0:3], 0 offset:364
	v_cmpx_lt_u32_e32 44, v0
	s_cbranch_execz .LBB49_225
; %bb.224:
	s_clause 0x1
	buffer_load_dword v1, off, s[0:3], 0 offset:352
	buffer_load_dword v2, off, s[0:3], 0 offset:356
	v_mov_b32_e32 v3, 0
	buffer_store_dword v3, off, s[0:3], 0 offset:352
	buffer_store_dword v3, off, s[0:3], 0 offset:356
	s_waitcnt vmcnt(0)
	ds_write_b64 v109, v[1:2]
.LBB49_225:
	s_or_b32 exec_lo, exec_lo, s4
	s_waitcnt lgkmcnt(0)
	s_waitcnt_vscnt null, 0x0
	s_barrier
	buffer_gl0_inv
	s_clause 0xb
	buffer_load_dword v8, off, s[0:3], 0 offset:364
	buffer_load_dword v114, off, s[0:3], 0 offset:372
	buffer_load_dword v115, off, s[0:3], 0 offset:380
	buffer_load_dword v116, off, s[0:3], 0 offset:388
	buffer_load_dword v117, off, s[0:3], 0 offset:396
	buffer_load_dword v118, off, s[0:3], 0 offset:360
	buffer_load_dword v119, off, s[0:3], 0 offset:368
	buffer_load_dword v120, off, s[0:3], 0 offset:376
	buffer_load_dword v121, off, s[0:3], 0 offset:384
	buffer_load_dword v122, off, s[0:3], 0 offset:392
	buffer_load_dword v123, off, s[0:3], 0 offset:352
	buffer_load_dword v124, off, s[0:3], 0 offset:356
	v_mov_b32_e32 v1, 0
	ds_read2_b64 v[2:5], v1 offset0:95 offset1:96
	ds_read2_b64 v[110:113], v1 offset0:97 offset1:98
	ds_read_b64 v[6:7], v1 offset:792
	s_mov_b32 s4, exec_lo
	s_waitcnt vmcnt(11) lgkmcnt(2)
	v_mul_f32_e32 v125, v2, v8
	v_mul_f32_e32 v8, v3, v8
	s_waitcnt vmcnt(10)
	v_mul_f32_e32 v126, v4, v114
	v_mul_f32_e32 v114, v5, v114
	s_waitcnt vmcnt(9) lgkmcnt(1)
	v_mul_f32_e32 v127, v110, v115
	s_waitcnt vmcnt(6)
	v_fmac_f32_e32 v125, v3, v118
	v_fma_f32 v2, v2, v118, -v8
	v_mul_f32_e32 v3, v111, v115
	s_waitcnt vmcnt(5)
	v_fma_f32 v4, v4, v119, -v114
	v_fmac_f32_e32 v126, v5, v119
	v_add_f32_e32 v5, 0, v125
	v_add_f32_e32 v2, 0, v2
	v_mul_f32_e32 v8, v113, v116
	s_waitcnt vmcnt(4)
	v_fma_f32 v3, v110, v120, -v3
	v_mul_f32_e32 v128, v112, v116
	v_fmac_f32_e32 v127, v111, v120
	v_add_f32_e32 v2, v2, v4
	v_add_f32_e32 v4, v5, v126
	s_waitcnt lgkmcnt(0)
	v_mul_f32_e32 v5, v7, v117
	s_waitcnt vmcnt(3)
	v_fma_f32 v8, v112, v121, -v8
	v_mul_f32_e32 v129, v6, v117
	v_add_f32_e32 v2, v2, v3
	v_fmac_f32_e32 v128, v113, v121
	v_add_f32_e32 v3, v4, v127
	s_waitcnt vmcnt(2)
	v_fma_f32 v4, v6, v122, -v5
	v_fmac_f32_e32 v129, v7, v122
	v_add_f32_e32 v2, v2, v8
	v_add_f32_e32 v3, v3, v128
	;; [unrolled: 1-line block ×4, first 2 shown]
	s_waitcnt vmcnt(1)
	v_sub_f32_e32 v2, v123, v2
	s_waitcnt vmcnt(0)
	v_sub_f32_e32 v3, v124, v3
	buffer_store_dword v2, off, s[0:3], 0 offset:352
	buffer_store_dword v3, off, s[0:3], 0 offset:356
	v_cmpx_lt_u32_e32 43, v0
	s_cbranch_execz .LBB49_227
; %bb.226:
	s_clause 0x1
	buffer_load_dword v2, off, s[0:3], 0 offset:344
	buffer_load_dword v3, off, s[0:3], 0 offset:348
	buffer_store_dword v1, off, s[0:3], 0 offset:344
	buffer_store_dword v1, off, s[0:3], 0 offset:348
	s_waitcnt vmcnt(0)
	ds_write_b64 v109, v[2:3]
.LBB49_227:
	s_or_b32 exec_lo, exec_lo, s4
	s_waitcnt lgkmcnt(0)
	s_waitcnt_vscnt null, 0x0
	s_barrier
	buffer_gl0_inv
	s_clause 0xd
	buffer_load_dword v6, off, s[0:3], 0 offset:356
	buffer_load_dword v7, off, s[0:3], 0 offset:364
	;; [unrolled: 1-line block ×14, first 2 shown]
	ds_read_b128 v[2:5], v1 offset:752
	ds_read_b128 v[110:113], v1 offset:768
	;; [unrolled: 1-line block ×3, first 2 shown]
	s_mov_b32 s4, exec_lo
	s_waitcnt vmcnt(13) lgkmcnt(2)
	v_mul_f32_e32 v1, v2, v6
	v_mul_f32_e32 v6, v3, v6
	s_waitcnt vmcnt(12)
	v_mul_f32_e32 v129, v4, v7
	v_mul_f32_e32 v7, v5, v7
	s_waitcnt vmcnt(11) lgkmcnt(1)
	v_mul_f32_e32 v130, v110, v8
	s_waitcnt vmcnt(10)
	v_mul_f32_e32 v131, v112, v118
	s_waitcnt vmcnt(7)
	v_fma_f32 v2, v2, v121, -v6
	v_fmac_f32_e32 v1, v3, v121
	v_mul_f32_e32 v3, v111, v8
	s_waitcnt vmcnt(6)
	v_fma_f32 v4, v4, v122, -v7
	v_fmac_f32_e32 v129, v5, v122
	v_add_f32_e32 v2, 0, v2
	v_add_f32_e32 v1, 0, v1
	v_mul_f32_e32 v5, v113, v118
	s_waitcnt vmcnt(5)
	v_fma_f32 v3, v110, v123, -v3
	v_fmac_f32_e32 v130, v111, v123
	v_add_f32_e32 v2, v2, v4
	v_add_f32_e32 v1, v1, v129
	s_waitcnt lgkmcnt(0)
	v_mul_f32_e32 v4, v115, v119
	s_waitcnt vmcnt(4)
	v_fma_f32 v5, v112, v124, -v5
	v_mul_f32_e32 v132, v114, v119
	v_add_f32_e32 v2, v2, v3
	v_fmac_f32_e32 v131, v113, v124
	v_add_f32_e32 v1, v1, v130
	v_mul_f32_e32 v3, v117, v120
	s_waitcnt vmcnt(3)
	v_fma_f32 v4, v114, v125, -v4
	v_add_f32_e32 v2, v2, v5
	v_mul_f32_e32 v133, v116, v120
	v_fmac_f32_e32 v132, v115, v125
	v_add_f32_e32 v1, v1, v131
	s_waitcnt vmcnt(2)
	v_fma_f32 v3, v116, v126, -v3
	v_add_f32_e32 v2, v2, v4
	v_fmac_f32_e32 v133, v117, v126
	v_add_f32_e32 v1, v1, v132
	v_add_f32_e32 v2, v2, v3
	;; [unrolled: 1-line block ×3, first 2 shown]
	s_waitcnt vmcnt(1)
	v_sub_f32_e32 v2, v127, v2
	s_waitcnt vmcnt(0)
	v_sub_f32_e32 v1, v128, v1
	buffer_store_dword v2, off, s[0:3], 0 offset:344
	buffer_store_dword v1, off, s[0:3], 0 offset:348
	v_cmpx_lt_u32_e32 42, v0
	s_cbranch_execz .LBB49_229
; %bb.228:
	s_clause 0x1
	buffer_load_dword v1, off, s[0:3], 0 offset:336
	buffer_load_dword v2, off, s[0:3], 0 offset:340
	v_mov_b32_e32 v3, 0
	buffer_store_dword v3, off, s[0:3], 0 offset:336
	buffer_store_dword v3, off, s[0:3], 0 offset:340
	s_waitcnt vmcnt(0)
	ds_write_b64 v109, v[1:2]
.LBB49_229:
	s_or_b32 exec_lo, exec_lo, s4
	s_waitcnt lgkmcnt(0)
	s_waitcnt_vscnt null, 0x0
	s_barrier
	buffer_gl0_inv
	s_clause 0xf
	buffer_load_dword v8, off, s[0:3], 0 offset:348
	buffer_load_dword v118, off, s[0:3], 0 offset:356
	;; [unrolled: 1-line block ×16, first 2 shown]
	v_mov_b32_e32 v1, 0
	ds_read2_b64 v[2:5], v1 offset0:93 offset1:94
	ds_read2_b64 v[110:113], v1 offset0:95 offset1:96
	;; [unrolled: 1-line block ×3, first 2 shown]
	ds_read_b64 v[6:7], v1 offset:792
	s_mov_b32 s4, exec_lo
	s_waitcnt vmcnt(15) lgkmcnt(3)
	v_mul_f32_e32 v133, v2, v8
	v_mul_f32_e32 v8, v3, v8
	s_waitcnt vmcnt(14)
	v_mul_f32_e32 v134, v4, v118
	v_mul_f32_e32 v118, v5, v118
	s_waitcnt vmcnt(13) lgkmcnt(2)
	v_mul_f32_e32 v135, v110, v119
	s_waitcnt vmcnt(12)
	v_mul_f32_e32 v136, v112, v120
	s_waitcnt vmcnt(11) lgkmcnt(1)
	v_mul_f32_e32 v137, v114, v121
	s_waitcnt vmcnt(8)
	v_fma_f32 v2, v2, v124, -v8
	v_fmac_f32_e32 v133, v3, v124
	v_mul_f32_e32 v3, v111, v119
	s_waitcnt vmcnt(7)
	v_fma_f32 v4, v4, v125, -v118
	v_fmac_f32_e32 v134, v5, v125
	v_add_f32_e32 v2, 0, v2
	v_add_f32_e32 v5, 0, v133
	v_mul_f32_e32 v8, v113, v120
	s_waitcnt vmcnt(6)
	v_fma_f32 v3, v110, v126, -v3
	v_fmac_f32_e32 v135, v111, v126
	v_add_f32_e32 v2, v2, v4
	v_add_f32_e32 v4, v5, v134
	;; [unrolled: 6-line block ×3, first 2 shown]
	v_mul_f32_e32 v4, v117, v122
	s_waitcnt vmcnt(4)
	v_fma_f32 v5, v114, v128, -v5
	v_mul_f32_e32 v138, v116, v122
	v_add_f32_e32 v2, v2, v8
	v_fmac_f32_e32 v137, v115, v128
	v_add_f32_e32 v3, v3, v136
	s_waitcnt lgkmcnt(0)
	v_mul_f32_e32 v8, v7, v123
	s_waitcnt vmcnt(3)
	v_fma_f32 v4, v116, v129, -v4
	v_add_f32_e32 v2, v2, v5
	v_mul_f32_e32 v139, v6, v123
	v_fmac_f32_e32 v138, v117, v129
	v_add_f32_e32 v3, v3, v137
	s_waitcnt vmcnt(2)
	v_fma_f32 v5, v6, v130, -v8
	v_add_f32_e32 v2, v2, v4
	v_fmac_f32_e32 v139, v7, v130
	v_add_f32_e32 v3, v3, v138
	v_add_f32_e32 v2, v2, v5
	;; [unrolled: 1-line block ×3, first 2 shown]
	s_waitcnt vmcnt(1)
	v_sub_f32_e32 v2, v131, v2
	s_waitcnt vmcnt(0)
	v_sub_f32_e32 v3, v132, v3
	buffer_store_dword v2, off, s[0:3], 0 offset:336
	buffer_store_dword v3, off, s[0:3], 0 offset:340
	v_cmpx_lt_u32_e32 41, v0
	s_cbranch_execz .LBB49_231
; %bb.230:
	s_clause 0x1
	buffer_load_dword v2, off, s[0:3], 0 offset:328
	buffer_load_dword v3, off, s[0:3], 0 offset:332
	buffer_store_dword v1, off, s[0:3], 0 offset:328
	buffer_store_dword v1, off, s[0:3], 0 offset:332
	s_waitcnt vmcnt(0)
	ds_write_b64 v109, v[2:3]
.LBB49_231:
	s_or_b32 exec_lo, exec_lo, s4
	s_waitcnt lgkmcnt(0)
	s_waitcnt_vscnt null, 0x0
	s_barrier
	buffer_gl0_inv
	s_clause 0x11
	buffer_load_dword v6, off, s[0:3], 0 offset:340
	buffer_load_dword v7, off, s[0:3], 0 offset:348
	;; [unrolled: 1-line block ×18, first 2 shown]
	ds_read_b128 v[2:5], v1 offset:736
	ds_read_b128 v[110:113], v1 offset:752
	;; [unrolled: 1-line block ×4, first 2 shown]
	s_mov_b32 s4, exec_lo
	s_waitcnt vmcnt(17) lgkmcnt(3)
	v_mul_f32_e32 v1, v2, v6
	v_mul_f32_e32 v6, v3, v6
	s_waitcnt vmcnt(16)
	v_mul_f32_e32 v137, v4, v7
	v_mul_f32_e32 v7, v5, v7
	s_waitcnt vmcnt(15) lgkmcnt(2)
	v_mul_f32_e32 v138, v110, v8
	s_waitcnt vmcnt(14)
	v_mul_f32_e32 v139, v112, v122
	s_waitcnt vmcnt(13) lgkmcnt(1)
	v_mul_f32_e32 v140, v114, v123
	s_waitcnt vmcnt(12)
	v_mul_f32_e32 v141, v116, v124
	s_waitcnt vmcnt(9)
	v_fma_f32 v2, v2, v127, -v6
	v_fmac_f32_e32 v1, v3, v127
	v_mul_f32_e32 v3, v111, v8
	s_waitcnt vmcnt(8)
	v_fma_f32 v4, v4, v128, -v7
	v_fmac_f32_e32 v137, v5, v128
	v_add_f32_e32 v2, 0, v2
	v_add_f32_e32 v1, 0, v1
	v_mul_f32_e32 v5, v113, v122
	s_waitcnt vmcnt(7)
	v_fma_f32 v3, v110, v129, -v3
	v_fmac_f32_e32 v138, v111, v129
	v_add_f32_e32 v2, v2, v4
	v_add_f32_e32 v1, v1, v137
	;; [unrolled: 6-line block ×4, first 2 shown]
	s_waitcnt lgkmcnt(0)
	v_mul_f32_e32 v5, v119, v125
	s_waitcnt vmcnt(4)
	v_fma_f32 v3, v116, v132, -v3
	v_mul_f32_e32 v142, v118, v125
	v_add_f32_e32 v2, v2, v4
	v_fmac_f32_e32 v141, v117, v132
	v_add_f32_e32 v1, v1, v140
	v_mul_f32_e32 v4, v121, v126
	s_waitcnt vmcnt(3)
	v_fma_f32 v5, v118, v133, -v5
	v_add_f32_e32 v2, v2, v3
	v_mul_f32_e32 v143, v120, v126
	v_fmac_f32_e32 v142, v119, v133
	v_add_f32_e32 v1, v1, v141
	s_waitcnt vmcnt(2)
	v_fma_f32 v3, v120, v134, -v4
	v_add_f32_e32 v2, v2, v5
	v_fmac_f32_e32 v143, v121, v134
	v_add_f32_e32 v1, v1, v142
	v_add_f32_e32 v2, v2, v3
	;; [unrolled: 1-line block ×3, first 2 shown]
	s_waitcnt vmcnt(1)
	v_sub_f32_e32 v2, v135, v2
	s_waitcnt vmcnt(0)
	v_sub_f32_e32 v1, v136, v1
	buffer_store_dword v2, off, s[0:3], 0 offset:328
	buffer_store_dword v1, off, s[0:3], 0 offset:332
	v_cmpx_lt_u32_e32 40, v0
	s_cbranch_execz .LBB49_233
; %bb.232:
	s_clause 0x1
	buffer_load_dword v1, off, s[0:3], 0 offset:320
	buffer_load_dword v2, off, s[0:3], 0 offset:324
	v_mov_b32_e32 v3, 0
	buffer_store_dword v3, off, s[0:3], 0 offset:320
	buffer_store_dword v3, off, s[0:3], 0 offset:324
	s_waitcnt vmcnt(0)
	ds_write_b64 v109, v[1:2]
.LBB49_233:
	s_or_b32 exec_lo, exec_lo, s4
	s_waitcnt lgkmcnt(0)
	s_waitcnt_vscnt null, 0x0
	s_barrier
	buffer_gl0_inv
	s_clause 0x13
	buffer_load_dword v8, off, s[0:3], 0 offset:332
	buffer_load_dword v122, off, s[0:3], 0 offset:340
	;; [unrolled: 1-line block ×20, first 2 shown]
	v_mov_b32_e32 v1, 0
	ds_read2_b64 v[2:5], v1 offset0:91 offset1:92
	ds_read2_b64 v[110:113], v1 offset0:93 offset1:94
	;; [unrolled: 1-line block ×4, first 2 shown]
	ds_read_b64 v[6:7], v1 offset:792
	s_mov_b32 s4, exec_lo
	s_waitcnt vmcnt(19) lgkmcnt(4)
	v_mul_f32_e32 v141, v2, v8
	v_mul_f32_e32 v8, v3, v8
	s_waitcnt vmcnt(18)
	v_mul_f32_e32 v142, v4, v122
	v_mul_f32_e32 v122, v5, v122
	s_waitcnt vmcnt(17) lgkmcnt(3)
	v_mul_f32_e32 v143, v110, v123
	s_waitcnt vmcnt(16)
	v_mul_f32_e32 v144, v112, v124
	s_waitcnt vmcnt(15) lgkmcnt(2)
	v_mul_f32_e32 v145, v114, v125
	s_waitcnt vmcnt(14)
	;; [unrolled: 4-line block ×3, first 2 shown]
	v_fma_f32 v2, v2, v130, -v8
	v_fmac_f32_e32 v141, v3, v130
	v_mul_f32_e32 v3, v111, v123
	s_waitcnt vmcnt(9)
	v_fma_f32 v4, v4, v131, -v122
	v_fmac_f32_e32 v142, v5, v131
	v_add_f32_e32 v2, 0, v2
	v_add_f32_e32 v5, 0, v141
	v_mul_f32_e32 v8, v113, v124
	s_waitcnt vmcnt(8)
	v_fma_f32 v3, v110, v132, -v3
	v_fmac_f32_e32 v143, v111, v132
	v_add_f32_e32 v2, v2, v4
	v_add_f32_e32 v4, v5, v142
	;; [unrolled: 6-line block ×5, first 2 shown]
	v_mul_f32_e32 v5, v121, v128
	s_waitcnt vmcnt(4)
	v_fma_f32 v8, v118, v136, -v8
	v_mul_f32_e32 v148, v120, v128
	v_add_f32_e32 v2, v2, v4
	v_fmac_f32_e32 v147, v119, v136
	v_add_f32_e32 v3, v3, v146
	s_waitcnt lgkmcnt(0)
	v_mul_f32_e32 v4, v7, v129
	s_waitcnt vmcnt(3)
	v_fma_f32 v5, v120, v137, -v5
	v_add_f32_e32 v2, v2, v8
	v_mul_f32_e32 v149, v6, v129
	v_fmac_f32_e32 v148, v121, v137
	v_add_f32_e32 v3, v3, v147
	s_waitcnt vmcnt(2)
	v_fma_f32 v4, v6, v138, -v4
	v_add_f32_e32 v2, v2, v5
	v_fmac_f32_e32 v149, v7, v138
	v_add_f32_e32 v3, v3, v148
	v_add_f32_e32 v2, v2, v4
	;; [unrolled: 1-line block ×3, first 2 shown]
	s_waitcnt vmcnt(1)
	v_sub_f32_e32 v2, v139, v2
	s_waitcnt vmcnt(0)
	v_sub_f32_e32 v3, v140, v3
	buffer_store_dword v2, off, s[0:3], 0 offset:320
	buffer_store_dword v3, off, s[0:3], 0 offset:324
	v_cmpx_lt_u32_e32 39, v0
	s_cbranch_execz .LBB49_235
; %bb.234:
	s_clause 0x1
	buffer_load_dword v2, off, s[0:3], 0 offset:312
	buffer_load_dword v3, off, s[0:3], 0 offset:316
	buffer_store_dword v1, off, s[0:3], 0 offset:312
	buffer_store_dword v1, off, s[0:3], 0 offset:316
	s_waitcnt vmcnt(0)
	ds_write_b64 v109, v[2:3]
.LBB49_235:
	s_or_b32 exec_lo, exec_lo, s4
	s_waitcnt lgkmcnt(0)
	s_waitcnt_vscnt null, 0x0
	s_barrier
	buffer_gl0_inv
	s_clause 0x15
	buffer_load_dword v6, off, s[0:3], 0 offset:324
	buffer_load_dword v7, off, s[0:3], 0 offset:332
	;; [unrolled: 1-line block ×22, first 2 shown]
	ds_read_b128 v[2:5], v1 offset:720
	ds_read_b128 v[110:113], v1 offset:736
	;; [unrolled: 1-line block ×5, first 2 shown]
	s_mov_b32 s4, exec_lo
	s_waitcnt vmcnt(21) lgkmcnt(4)
	v_mul_f32_e32 v1, v2, v6
	v_mul_f32_e32 v6, v3, v6
	s_waitcnt vmcnt(20)
	v_mul_f32_e32 v145, v4, v7
	v_mul_f32_e32 v7, v5, v7
	s_waitcnt vmcnt(19) lgkmcnt(3)
	v_mul_f32_e32 v146, v110, v8
	s_waitcnt vmcnt(18)
	v_mul_f32_e32 v147, v112, v126
	s_waitcnt vmcnt(17) lgkmcnt(2)
	v_mul_f32_e32 v148, v114, v127
	s_waitcnt vmcnt(16)
	;; [unrolled: 4-line block ×3, first 2 shown]
	v_mul_f32_e32 v151, v120, v130
	s_waitcnt vmcnt(11)
	v_fma_f32 v2, v2, v133, -v6
	v_fmac_f32_e32 v1, v3, v133
	v_mul_f32_e32 v3, v111, v8
	s_waitcnt vmcnt(10)
	v_fma_f32 v4, v4, v134, -v7
	v_fmac_f32_e32 v145, v5, v134
	v_add_f32_e32 v2, 0, v2
	v_add_f32_e32 v1, 0, v1
	v_mul_f32_e32 v5, v113, v126
	s_waitcnt vmcnt(9)
	v_fma_f32 v3, v110, v135, -v3
	v_fmac_f32_e32 v146, v111, v135
	v_add_f32_e32 v2, v2, v4
	v_add_f32_e32 v1, v1, v145
	;; [unrolled: 6-line block ×6, first 2 shown]
	s_waitcnt lgkmcnt(0)
	v_mul_f32_e32 v3, v123, v131
	s_waitcnt vmcnt(4)
	v_fma_f32 v4, v120, v140, -v4
	v_mul_f32_e32 v152, v122, v131
	v_add_f32_e32 v2, v2, v5
	v_fmac_f32_e32 v151, v121, v140
	v_add_f32_e32 v1, v1, v150
	v_mul_f32_e32 v5, v125, v132
	s_waitcnt vmcnt(3)
	v_fma_f32 v3, v122, v141, -v3
	v_add_f32_e32 v2, v2, v4
	v_mul_f32_e32 v153, v124, v132
	v_fmac_f32_e32 v152, v123, v141
	v_add_f32_e32 v1, v1, v151
	s_waitcnt vmcnt(2)
	v_fma_f32 v4, v124, v142, -v5
	v_add_f32_e32 v2, v2, v3
	v_fmac_f32_e32 v153, v125, v142
	v_add_f32_e32 v1, v1, v152
	v_add_f32_e32 v2, v2, v4
	;; [unrolled: 1-line block ×3, first 2 shown]
	s_waitcnt vmcnt(1)
	v_sub_f32_e32 v2, v143, v2
	s_waitcnt vmcnt(0)
	v_sub_f32_e32 v1, v144, v1
	buffer_store_dword v2, off, s[0:3], 0 offset:312
	buffer_store_dword v1, off, s[0:3], 0 offset:316
	v_cmpx_lt_u32_e32 38, v0
	s_cbranch_execz .LBB49_237
; %bb.236:
	s_clause 0x1
	buffer_load_dword v1, off, s[0:3], 0 offset:304
	buffer_load_dword v2, off, s[0:3], 0 offset:308
	v_mov_b32_e32 v3, 0
	buffer_store_dword v3, off, s[0:3], 0 offset:304
	buffer_store_dword v3, off, s[0:3], 0 offset:308
	s_waitcnt vmcnt(0)
	ds_write_b64 v109, v[1:2]
.LBB49_237:
	s_or_b32 exec_lo, exec_lo, s4
	s_waitcnt lgkmcnt(0)
	s_waitcnt_vscnt null, 0x0
	s_barrier
	buffer_gl0_inv
	s_clause 0x17
	buffer_load_dword v8, off, s[0:3], 0 offset:316
	buffer_load_dword v126, off, s[0:3], 0 offset:324
	;; [unrolled: 1-line block ×24, first 2 shown]
	v_mov_b32_e32 v1, 0
	ds_read2_b64 v[2:5], v1 offset0:89 offset1:90
	ds_read2_b64 v[110:113], v1 offset0:91 offset1:92
	;; [unrolled: 1-line block ×5, first 2 shown]
	ds_read_b64 v[6:7], v1 offset:792
	s_mov_b32 s4, exec_lo
	s_waitcnt vmcnt(23) lgkmcnt(5)
	v_mul_f32_e32 v149, v2, v8
	v_mul_f32_e32 v8, v3, v8
	s_waitcnt vmcnt(22)
	v_mul_f32_e32 v150, v4, v126
	v_mul_f32_e32 v126, v5, v126
	s_waitcnt vmcnt(21) lgkmcnt(4)
	v_mul_f32_e32 v151, v110, v127
	s_waitcnt vmcnt(20)
	v_mul_f32_e32 v152, v112, v128
	s_waitcnt vmcnt(19) lgkmcnt(3)
	v_mul_f32_e32 v153, v114, v129
	s_waitcnt vmcnt(18)
	;; [unrolled: 4-line block ×4, first 2 shown]
	v_fma_f32 v2, v2, v136, -v8
	v_fmac_f32_e32 v149, v3, v136
	v_mul_f32_e32 v3, v111, v127
	s_waitcnt vmcnt(11)
	v_fma_f32 v4, v4, v137, -v126
	v_fmac_f32_e32 v150, v5, v137
	v_add_f32_e32 v2, 0, v2
	v_add_f32_e32 v5, 0, v149
	v_mul_f32_e32 v8, v113, v128
	s_waitcnt vmcnt(10)
	v_fma_f32 v3, v110, v138, -v3
	v_fmac_f32_e32 v151, v111, v138
	v_add_f32_e32 v2, v2, v4
	v_add_f32_e32 v4, v5, v150
	;; [unrolled: 6-line block ×7, first 2 shown]
	v_mul_f32_e32 v8, v125, v134
	s_waitcnt vmcnt(4)
	v_fma_f32 v4, v122, v144, -v4
	v_mul_f32_e32 v158, v124, v134
	v_add_f32_e32 v2, v2, v5
	v_fmac_f32_e32 v157, v123, v144
	v_add_f32_e32 v3, v3, v156
	s_waitcnt lgkmcnt(0)
	v_mul_f32_e32 v5, v7, v135
	s_waitcnt vmcnt(3)
	v_fma_f32 v8, v124, v145, -v8
	v_add_f32_e32 v2, v2, v4
	v_mul_f32_e32 v159, v6, v135
	v_fmac_f32_e32 v158, v125, v145
	v_add_f32_e32 v3, v3, v157
	s_waitcnt vmcnt(2)
	v_fma_f32 v4, v6, v146, -v5
	v_add_f32_e32 v2, v2, v8
	v_fmac_f32_e32 v159, v7, v146
	v_add_f32_e32 v3, v3, v158
	v_add_f32_e32 v2, v2, v4
	;; [unrolled: 1-line block ×3, first 2 shown]
	s_waitcnt vmcnt(1)
	v_sub_f32_e32 v2, v147, v2
	s_waitcnt vmcnt(0)
	v_sub_f32_e32 v3, v148, v3
	buffer_store_dword v2, off, s[0:3], 0 offset:304
	buffer_store_dword v3, off, s[0:3], 0 offset:308
	v_cmpx_lt_u32_e32 37, v0
	s_cbranch_execz .LBB49_239
; %bb.238:
	s_clause 0x1
	buffer_load_dword v2, off, s[0:3], 0 offset:296
	buffer_load_dword v3, off, s[0:3], 0 offset:300
	buffer_store_dword v1, off, s[0:3], 0 offset:296
	buffer_store_dword v1, off, s[0:3], 0 offset:300
	s_waitcnt vmcnt(0)
	ds_write_b64 v109, v[2:3]
.LBB49_239:
	s_or_b32 exec_lo, exec_lo, s4
	s_waitcnt lgkmcnt(0)
	s_waitcnt_vscnt null, 0x0
	s_barrier
	buffer_gl0_inv
	s_clause 0x19
	buffer_load_dword v6, off, s[0:3], 0 offset:308
	buffer_load_dword v7, off, s[0:3], 0 offset:316
	buffer_load_dword v8, off, s[0:3], 0 offset:324
	buffer_load_dword v130, off, s[0:3], 0 offset:332
	buffer_load_dword v131, off, s[0:3], 0 offset:340
	buffer_load_dword v132, off, s[0:3], 0 offset:348
	buffer_load_dword v133, off, s[0:3], 0 offset:356
	buffer_load_dword v134, off, s[0:3], 0 offset:364
	buffer_load_dword v135, off, s[0:3], 0 offset:372
	buffer_load_dword v136, off, s[0:3], 0 offset:380
	buffer_load_dword v137, off, s[0:3], 0 offset:388
	buffer_load_dword v138, off, s[0:3], 0 offset:396
	buffer_load_dword v139, off, s[0:3], 0 offset:304
	buffer_load_dword v140, off, s[0:3], 0 offset:312
	buffer_load_dword v141, off, s[0:3], 0 offset:320
	buffer_load_dword v142, off, s[0:3], 0 offset:328
	buffer_load_dword v143, off, s[0:3], 0 offset:336
	buffer_load_dword v144, off, s[0:3], 0 offset:344
	buffer_load_dword v145, off, s[0:3], 0 offset:352
	buffer_load_dword v146, off, s[0:3], 0 offset:360
	buffer_load_dword v147, off, s[0:3], 0 offset:368
	buffer_load_dword v148, off, s[0:3], 0 offset:376
	buffer_load_dword v149, off, s[0:3], 0 offset:384
	buffer_load_dword v150, off, s[0:3], 0 offset:392
	buffer_load_dword v151, off, s[0:3], 0 offset:296
	buffer_load_dword v152, off, s[0:3], 0 offset:300
	ds_read_b128 v[2:5], v1 offset:704
	ds_read_b128 v[110:113], v1 offset:720
	;; [unrolled: 1-line block ×6, first 2 shown]
	s_mov_b32 s4, exec_lo
	s_waitcnt vmcnt(25) lgkmcnt(5)
	v_mul_f32_e32 v1, v2, v6
	v_mul_f32_e32 v6, v3, v6
	s_waitcnt vmcnt(24)
	v_mul_f32_e32 v153, v4, v7
	v_mul_f32_e32 v7, v5, v7
	s_waitcnt vmcnt(23) lgkmcnt(4)
	v_mul_f32_e32 v154, v110, v8
	s_waitcnt vmcnt(22)
	v_mul_f32_e32 v155, v112, v130
	s_waitcnt vmcnt(21) lgkmcnt(3)
	v_mul_f32_e32 v156, v114, v131
	s_waitcnt vmcnt(20)
	;; [unrolled: 4-line block ×4, first 2 shown]
	v_mul_f32_e32 v161, v124, v136
	s_waitcnt vmcnt(13)
	v_fma_f32 v2, v2, v139, -v6
	v_fmac_f32_e32 v1, v3, v139
	v_mul_f32_e32 v3, v111, v8
	s_waitcnt vmcnt(12)
	v_fma_f32 v4, v4, v140, -v7
	v_fmac_f32_e32 v153, v5, v140
	v_add_f32_e32 v2, 0, v2
	v_add_f32_e32 v1, 0, v1
	v_mul_f32_e32 v5, v113, v130
	s_waitcnt vmcnt(11)
	v_fma_f32 v3, v110, v141, -v3
	v_fmac_f32_e32 v154, v111, v141
	v_add_f32_e32 v2, v2, v4
	v_add_f32_e32 v1, v1, v153
	;; [unrolled: 6-line block ×8, first 2 shown]
	s_waitcnt lgkmcnt(0)
	v_mul_f32_e32 v4, v127, v137
	s_waitcnt vmcnt(4)
	v_fma_f32 v5, v124, v148, -v5
	v_mul_f32_e32 v162, v126, v137
	v_add_f32_e32 v2, v2, v3
	v_fmac_f32_e32 v161, v125, v148
	v_add_f32_e32 v1, v1, v160
	v_mul_f32_e32 v3, v129, v138
	s_waitcnt vmcnt(3)
	v_fma_f32 v4, v126, v149, -v4
	v_add_f32_e32 v2, v2, v5
	v_mul_f32_e32 v163, v128, v138
	v_fmac_f32_e32 v162, v127, v149
	v_add_f32_e32 v1, v1, v161
	s_waitcnt vmcnt(2)
	v_fma_f32 v3, v128, v150, -v3
	v_add_f32_e32 v2, v2, v4
	v_fmac_f32_e32 v163, v129, v150
	v_add_f32_e32 v1, v1, v162
	v_add_f32_e32 v2, v2, v3
	v_add_f32_e32 v1, v1, v163
	s_waitcnt vmcnt(1)
	v_sub_f32_e32 v2, v151, v2
	s_waitcnt vmcnt(0)
	v_sub_f32_e32 v1, v152, v1
	buffer_store_dword v2, off, s[0:3], 0 offset:296
	buffer_store_dword v1, off, s[0:3], 0 offset:300
	v_cmpx_lt_u32_e32 36, v0
	s_cbranch_execz .LBB49_241
; %bb.240:
	s_clause 0x1
	buffer_load_dword v1, off, s[0:3], 0 offset:288
	buffer_load_dword v2, off, s[0:3], 0 offset:292
	v_mov_b32_e32 v3, 0
	buffer_store_dword v3, off, s[0:3], 0 offset:288
	buffer_store_dword v3, off, s[0:3], 0 offset:292
	s_waitcnt vmcnt(0)
	ds_write_b64 v109, v[1:2]
.LBB49_241:
	s_or_b32 exec_lo, exec_lo, s4
	s_waitcnt lgkmcnt(0)
	s_waitcnt_vscnt null, 0x0
	s_barrier
	buffer_gl0_inv
	s_clause 0x1b
	buffer_load_dword v8, off, s[0:3], 0 offset:300
	buffer_load_dword v130, off, s[0:3], 0 offset:308
	;; [unrolled: 1-line block ×28, first 2 shown]
	v_mov_b32_e32 v1, 0
	ds_read2_b64 v[2:5], v1 offset0:87 offset1:88
	ds_read2_b64 v[110:113], v1 offset0:89 offset1:90
	;; [unrolled: 1-line block ×6, first 2 shown]
	ds_read_b64 v[6:7], v1 offset:792
	s_mov_b32 s4, exec_lo
	s_waitcnt vmcnt(27) lgkmcnt(6)
	v_mul_f32_e32 v157, v2, v8
	v_mul_f32_e32 v8, v3, v8
	s_waitcnt vmcnt(26)
	v_mul_f32_e32 v158, v4, v130
	v_mul_f32_e32 v130, v5, v130
	s_waitcnt vmcnt(25) lgkmcnt(5)
	v_mul_f32_e32 v159, v110, v131
	s_waitcnt vmcnt(24)
	v_mul_f32_e32 v160, v112, v132
	s_waitcnt vmcnt(23) lgkmcnt(4)
	v_mul_f32_e32 v161, v114, v133
	s_waitcnt vmcnt(22)
	;; [unrolled: 4-line block ×5, first 2 shown]
	v_fma_f32 v2, v2, v142, -v8
	v_fmac_f32_e32 v157, v3, v142
	v_mul_f32_e32 v3, v111, v131
	s_waitcnt vmcnt(13)
	v_fma_f32 v4, v4, v143, -v130
	v_fmac_f32_e32 v158, v5, v143
	v_add_f32_e32 v2, 0, v2
	v_add_f32_e32 v5, 0, v157
	v_mul_f32_e32 v8, v113, v132
	s_waitcnt vmcnt(12)
	v_fma_f32 v3, v110, v144, -v3
	v_fmac_f32_e32 v159, v111, v144
	v_add_f32_e32 v2, v2, v4
	v_add_f32_e32 v4, v5, v158
	;; [unrolled: 6-line block ×9, first 2 shown]
	v_mul_f32_e32 v4, v129, v140
	s_waitcnt vmcnt(4)
	v_fma_f32 v5, v126, v152, -v5
	v_mul_f32_e32 v168, v128, v140
	v_add_f32_e32 v2, v2, v8
	v_fmac_f32_e32 v167, v127, v152
	v_add_f32_e32 v3, v3, v166
	s_waitcnt lgkmcnt(0)
	v_mul_f32_e32 v8, v7, v141
	s_waitcnt vmcnt(3)
	v_fma_f32 v4, v128, v153, -v4
	v_add_f32_e32 v2, v2, v5
	v_mul_f32_e32 v169, v6, v141
	v_fmac_f32_e32 v168, v129, v153
	v_add_f32_e32 v3, v3, v167
	s_waitcnt vmcnt(2)
	v_fma_f32 v5, v6, v154, -v8
	v_add_f32_e32 v2, v2, v4
	v_fmac_f32_e32 v169, v7, v154
	v_add_f32_e32 v3, v3, v168
	v_add_f32_e32 v2, v2, v5
	;; [unrolled: 1-line block ×3, first 2 shown]
	s_waitcnt vmcnt(1)
	v_sub_f32_e32 v2, v155, v2
	s_waitcnt vmcnt(0)
	v_sub_f32_e32 v3, v156, v3
	buffer_store_dword v2, off, s[0:3], 0 offset:288
	buffer_store_dword v3, off, s[0:3], 0 offset:292
	v_cmpx_lt_u32_e32 35, v0
	s_cbranch_execz .LBB49_243
; %bb.242:
	s_clause 0x1
	buffer_load_dword v2, off, s[0:3], 0 offset:280
	buffer_load_dword v3, off, s[0:3], 0 offset:284
	buffer_store_dword v1, off, s[0:3], 0 offset:280
	buffer_store_dword v1, off, s[0:3], 0 offset:284
	s_waitcnt vmcnt(0)
	ds_write_b64 v109, v[2:3]
.LBB49_243:
	s_or_b32 exec_lo, exec_lo, s4
	s_waitcnt lgkmcnt(0)
	s_waitcnt_vscnt null, 0x0
	s_barrier
	buffer_gl0_inv
	s_clause 0x1d
	buffer_load_dword v6, off, s[0:3], 0 offset:292
	buffer_load_dword v7, off, s[0:3], 0 offset:300
	;; [unrolled: 1-line block ×30, first 2 shown]
	ds_read_b128 v[2:5], v1 offset:688
	ds_read_b128 v[110:113], v1 offset:704
	;; [unrolled: 1-line block ×7, first 2 shown]
	s_mov_b32 s4, exec_lo
	s_waitcnt vmcnt(29) lgkmcnt(6)
	v_mul_f32_e32 v1, v2, v6
	v_mul_f32_e32 v6, v3, v6
	s_waitcnt vmcnt(28)
	v_mul_f32_e32 v161, v4, v7
	v_mul_f32_e32 v7, v5, v7
	s_waitcnt vmcnt(27) lgkmcnt(5)
	v_mul_f32_e32 v162, v110, v8
	s_waitcnt vmcnt(26)
	v_mul_f32_e32 v163, v112, v134
	s_waitcnt vmcnt(25) lgkmcnt(4)
	v_mul_f32_e32 v164, v114, v135
	s_waitcnt vmcnt(24)
	v_mul_f32_e32 v165, v116, v136
	s_waitcnt vmcnt(23) lgkmcnt(3)
	v_mul_f32_e32 v166, v118, v137
	s_waitcnt vmcnt(22)
	v_mul_f32_e32 v167, v120, v138
	s_waitcnt vmcnt(21) lgkmcnt(2)
	v_mul_f32_e32 v168, v122, v139
	s_waitcnt vmcnt(20)
	v_mul_f32_e32 v169, v124, v140
	s_waitcnt vmcnt(19) lgkmcnt(1)
	v_mul_f32_e32 v170, v126, v141
	s_waitcnt vmcnt(18)
	v_mul_f32_e32 v171, v128, v142
	s_waitcnt vmcnt(15)
	v_fma_f32 v2, v2, v145, -v6
	v_fmac_f32_e32 v1, v3, v145
	v_mul_f32_e32 v3, v111, v8
	s_waitcnt vmcnt(14)
	v_fma_f32 v4, v4, v146, -v7
	v_fmac_f32_e32 v161, v5, v146
	v_add_f32_e32 v2, 0, v2
	v_add_f32_e32 v1, 0, v1
	v_mul_f32_e32 v5, v113, v134
	s_waitcnt vmcnt(13)
	v_fma_f32 v3, v110, v147, -v3
	v_fmac_f32_e32 v162, v111, v147
	v_add_f32_e32 v2, v2, v4
	v_add_f32_e32 v1, v1, v161
	;; [unrolled: 6-line block ×10, first 2 shown]
	s_waitcnt lgkmcnt(0)
	v_mul_f32_e32 v5, v131, v143
	s_waitcnt vmcnt(4)
	v_fma_f32 v3, v128, v156, -v3
	v_mul_f32_e32 v172, v130, v143
	v_add_f32_e32 v2, v2, v4
	v_fmac_f32_e32 v171, v129, v156
	v_add_f32_e32 v1, v1, v170
	v_mul_f32_e32 v4, v133, v144
	s_waitcnt vmcnt(3)
	v_fma_f32 v5, v130, v157, -v5
	v_add_f32_e32 v2, v2, v3
	v_mul_f32_e32 v173, v132, v144
	v_fmac_f32_e32 v172, v131, v157
	v_add_f32_e32 v1, v1, v171
	s_waitcnt vmcnt(2)
	v_fma_f32 v3, v132, v158, -v4
	v_add_f32_e32 v2, v2, v5
	v_fmac_f32_e32 v173, v133, v158
	v_add_f32_e32 v1, v1, v172
	v_add_f32_e32 v2, v2, v3
	;; [unrolled: 1-line block ×3, first 2 shown]
	s_waitcnt vmcnt(1)
	v_sub_f32_e32 v2, v159, v2
	s_waitcnt vmcnt(0)
	v_sub_f32_e32 v1, v160, v1
	buffer_store_dword v2, off, s[0:3], 0 offset:280
	buffer_store_dword v1, off, s[0:3], 0 offset:284
	v_cmpx_lt_u32_e32 34, v0
	s_cbranch_execz .LBB49_245
; %bb.244:
	s_clause 0x1
	buffer_load_dword v1, off, s[0:3], 0 offset:272
	buffer_load_dword v2, off, s[0:3], 0 offset:276
	v_mov_b32_e32 v3, 0
	buffer_store_dword v3, off, s[0:3], 0 offset:272
	buffer_store_dword v3, off, s[0:3], 0 offset:276
	s_waitcnt vmcnt(0)
	ds_write_b64 v109, v[1:2]
.LBB49_245:
	s_or_b32 exec_lo, exec_lo, s4
	s_waitcnt lgkmcnt(0)
	s_waitcnt_vscnt null, 0x0
	s_barrier
	buffer_gl0_inv
	s_clause 0x1f
	buffer_load_dword v8, off, s[0:3], 0 offset:284
	buffer_load_dword v134, off, s[0:3], 0 offset:292
	;; [unrolled: 1-line block ×32, first 2 shown]
	v_mov_b32_e32 v1, 0
	ds_read2_b64 v[2:5], v1 offset0:85 offset1:86
	ds_read2_b64 v[110:113], v1 offset0:87 offset1:88
	;; [unrolled: 1-line block ×7, first 2 shown]
	ds_read_b64 v[6:7], v1 offset:792
	s_mov_b32 s4, exec_lo
	s_waitcnt vmcnt(31) lgkmcnt(7)
	v_mul_f32_e32 v165, v2, v8
	v_mul_f32_e32 v8, v3, v8
	s_waitcnt vmcnt(30)
	v_mul_f32_e32 v166, v4, v134
	v_mul_f32_e32 v134, v5, v134
	s_waitcnt vmcnt(29) lgkmcnt(6)
	v_mul_f32_e32 v167, v110, v135
	s_waitcnt vmcnt(28)
	v_mul_f32_e32 v168, v112, v136
	s_waitcnt vmcnt(27) lgkmcnt(5)
	v_mul_f32_e32 v169, v114, v137
	s_waitcnt vmcnt(26)
	;; [unrolled: 4-line block ×6, first 2 shown]
	v_fma_f32 v2, v2, v148, -v8
	v_fmac_f32_e32 v165, v3, v148
	v_mul_f32_e32 v3, v111, v135
	s_waitcnt vmcnt(15)
	v_fma_f32 v4, v4, v149, -v134
	v_fmac_f32_e32 v166, v5, v149
	v_add_f32_e32 v2, 0, v2
	v_add_f32_e32 v5, 0, v165
	v_mul_f32_e32 v8, v113, v136
	s_waitcnt vmcnt(14)
	v_fma_f32 v3, v110, v150, -v3
	v_fmac_f32_e32 v167, v111, v150
	v_add_f32_e32 v2, v2, v4
	v_add_f32_e32 v4, v5, v166
	;; [unrolled: 6-line block ×11, first 2 shown]
	v_mul_f32_e32 v5, v133, v146
	s_waitcnt vmcnt(4)
	v_fma_f32 v8, v130, v160, -v8
	v_mul_f32_e32 v178, v132, v146
	v_add_f32_e32 v2, v2, v4
	v_fmac_f32_e32 v177, v131, v160
	v_add_f32_e32 v3, v3, v176
	s_waitcnt lgkmcnt(0)
	v_mul_f32_e32 v4, v7, v147
	s_waitcnt vmcnt(3)
	v_fma_f32 v5, v132, v161, -v5
	v_add_f32_e32 v2, v2, v8
	v_mul_f32_e32 v179, v6, v147
	v_fmac_f32_e32 v178, v133, v161
	v_add_f32_e32 v3, v3, v177
	s_waitcnt vmcnt(2)
	v_fma_f32 v4, v6, v162, -v4
	v_add_f32_e32 v2, v2, v5
	v_fmac_f32_e32 v179, v7, v162
	v_add_f32_e32 v3, v3, v178
	v_add_f32_e32 v2, v2, v4
	;; [unrolled: 1-line block ×3, first 2 shown]
	s_waitcnt vmcnt(1)
	v_sub_f32_e32 v2, v163, v2
	s_waitcnt vmcnt(0)
	v_sub_f32_e32 v3, v164, v3
	buffer_store_dword v2, off, s[0:3], 0 offset:272
	buffer_store_dword v3, off, s[0:3], 0 offset:276
	v_cmpx_lt_u32_e32 33, v0
	s_cbranch_execz .LBB49_247
; %bb.246:
	s_clause 0x1
	buffer_load_dword v2, off, s[0:3], 0 offset:264
	buffer_load_dword v3, off, s[0:3], 0 offset:268
	buffer_store_dword v1, off, s[0:3], 0 offset:264
	buffer_store_dword v1, off, s[0:3], 0 offset:268
	s_waitcnt vmcnt(0)
	ds_write_b64 v109, v[2:3]
.LBB49_247:
	s_or_b32 exec_lo, exec_lo, s4
	s_waitcnt lgkmcnt(0)
	s_waitcnt_vscnt null, 0x0
	s_barrier
	buffer_gl0_inv
	s_clause 0x21
	buffer_load_dword v6, off, s[0:3], 0 offset:276
	buffer_load_dword v7, off, s[0:3], 0 offset:284
	;; [unrolled: 1-line block ×34, first 2 shown]
	ds_read_b128 v[2:5], v1 offset:672
	ds_read_b128 v[110:113], v1 offset:688
	ds_read_b128 v[114:117], v1 offset:704
	ds_read_b128 v[118:121], v1 offset:720
	ds_read_b128 v[122:125], v1 offset:736
	ds_read_b128 v[126:129], v1 offset:752
	ds_read_b128 v[130:133], v1 offset:768
	ds_read_b128 v[134:137], v1 offset:784
	s_mov_b32 s4, exec_lo
	s_waitcnt vmcnt(33) lgkmcnt(7)
	v_mul_f32_e32 v1, v2, v6
	v_mul_f32_e32 v6, v3, v6
	s_waitcnt vmcnt(32)
	v_mul_f32_e32 v169, v4, v7
	v_mul_f32_e32 v7, v5, v7
	s_waitcnt vmcnt(31) lgkmcnt(6)
	v_mul_f32_e32 v170, v110, v8
	s_waitcnt vmcnt(30)
	v_mul_f32_e32 v171, v112, v138
	s_waitcnt vmcnt(29) lgkmcnt(5)
	v_mul_f32_e32 v172, v114, v139
	s_waitcnt vmcnt(28)
	;; [unrolled: 4-line block ×6, first 2 shown]
	v_mul_f32_e32 v181, v132, v148
	s_waitcnt vmcnt(17)
	v_fma_f32 v2, v2, v151, -v6
	v_fmac_f32_e32 v1, v3, v151
	v_mul_f32_e32 v3, v111, v8
	s_waitcnt vmcnt(16)
	v_fma_f32 v4, v4, v152, -v7
	v_fmac_f32_e32 v169, v5, v152
	v_add_f32_e32 v2, 0, v2
	v_add_f32_e32 v1, 0, v1
	v_mul_f32_e32 v5, v113, v138
	s_waitcnt vmcnt(15)
	v_fma_f32 v3, v110, v153, -v3
	v_fmac_f32_e32 v170, v111, v153
	v_add_f32_e32 v2, v2, v4
	v_add_f32_e32 v1, v1, v169
	;; [unrolled: 6-line block ×12, first 2 shown]
	s_waitcnt lgkmcnt(0)
	v_mul_f32_e32 v3, v135, v149
	s_waitcnt vmcnt(4)
	v_fma_f32 v4, v132, v164, -v4
	v_mul_f32_e32 v182, v134, v149
	v_add_f32_e32 v2, v2, v5
	v_fmac_f32_e32 v181, v133, v164
	v_add_f32_e32 v1, v1, v180
	v_mul_f32_e32 v5, v137, v150
	s_waitcnt vmcnt(3)
	v_fma_f32 v3, v134, v165, -v3
	v_add_f32_e32 v2, v2, v4
	v_mul_f32_e32 v183, v136, v150
	v_fmac_f32_e32 v182, v135, v165
	v_add_f32_e32 v1, v1, v181
	s_waitcnt vmcnt(2)
	v_fma_f32 v4, v136, v166, -v5
	v_add_f32_e32 v2, v2, v3
	v_fmac_f32_e32 v183, v137, v166
	v_add_f32_e32 v1, v1, v182
	v_add_f32_e32 v2, v2, v4
	;; [unrolled: 1-line block ×3, first 2 shown]
	s_waitcnt vmcnt(1)
	v_sub_f32_e32 v2, v167, v2
	s_waitcnt vmcnt(0)
	v_sub_f32_e32 v1, v168, v1
	buffer_store_dword v2, off, s[0:3], 0 offset:264
	buffer_store_dword v1, off, s[0:3], 0 offset:268
	v_cmpx_lt_u32_e32 32, v0
	s_cbranch_execz .LBB49_249
; %bb.248:
	s_clause 0x1
	buffer_load_dword v1, off, s[0:3], 0 offset:256
	buffer_load_dword v2, off, s[0:3], 0 offset:260
	v_mov_b32_e32 v3, 0
	buffer_store_dword v3, off, s[0:3], 0 offset:256
	buffer_store_dword v3, off, s[0:3], 0 offset:260
	s_waitcnt vmcnt(0)
	ds_write_b64 v109, v[1:2]
.LBB49_249:
	s_or_b32 exec_lo, exec_lo, s4
	s_waitcnt lgkmcnt(0)
	s_waitcnt_vscnt null, 0x0
	s_barrier
	buffer_gl0_inv
	s_clause 0x23
	buffer_load_dword v8, off, s[0:3], 0 offset:268
	buffer_load_dword v138, off, s[0:3], 0 offset:276
	;; [unrolled: 1-line block ×36, first 2 shown]
	v_mov_b32_e32 v1, 0
	ds_read2_b64 v[2:5], v1 offset0:83 offset1:84
	ds_read2_b64 v[110:113], v1 offset0:85 offset1:86
	;; [unrolled: 1-line block ×8, first 2 shown]
	ds_read_b64 v[6:7], v1 offset:792
	s_mov_b32 s4, exec_lo
	s_waitcnt vmcnt(35) lgkmcnt(8)
	v_mul_f32_e32 v173, v2, v8
	v_mul_f32_e32 v8, v3, v8
	s_waitcnt vmcnt(34)
	v_mul_f32_e32 v174, v4, v138
	v_mul_f32_e32 v138, v5, v138
	s_waitcnt vmcnt(33) lgkmcnt(7)
	v_mul_f32_e32 v175, v110, v139
	s_waitcnt vmcnt(32)
	v_mul_f32_e32 v176, v112, v140
	s_waitcnt vmcnt(31) lgkmcnt(6)
	v_mul_f32_e32 v177, v114, v141
	s_waitcnt vmcnt(30)
	;; [unrolled: 4-line block ×7, first 2 shown]
	v_fma_f32 v2, v2, v154, -v8
	v_fmac_f32_e32 v173, v3, v154
	v_mul_f32_e32 v3, v111, v139
	s_waitcnt vmcnt(17)
	v_fma_f32 v4, v4, v155, -v138
	v_fmac_f32_e32 v174, v5, v155
	v_add_f32_e32 v2, 0, v2
	v_add_f32_e32 v5, 0, v173
	v_mul_f32_e32 v8, v113, v140
	s_waitcnt vmcnt(16)
	v_fma_f32 v3, v110, v156, -v3
	v_fmac_f32_e32 v175, v111, v156
	v_add_f32_e32 v2, v2, v4
	v_add_f32_e32 v4, v5, v174
	;; [unrolled: 6-line block ×13, first 2 shown]
	v_mul_f32_e32 v8, v137, v152
	s_waitcnt vmcnt(4)
	v_fma_f32 v4, v134, v168, -v4
	v_mul_f32_e32 v188, v136, v152
	v_add_f32_e32 v2, v2, v5
	v_fmac_f32_e32 v187, v135, v168
	v_add_f32_e32 v3, v3, v186
	s_waitcnt lgkmcnt(0)
	v_mul_f32_e32 v5, v7, v153
	s_waitcnt vmcnt(3)
	v_fma_f32 v8, v136, v169, -v8
	v_add_f32_e32 v2, v2, v4
	v_mul_f32_e32 v189, v6, v153
	v_fmac_f32_e32 v188, v137, v169
	v_add_f32_e32 v3, v3, v187
	s_waitcnt vmcnt(2)
	v_fma_f32 v4, v6, v170, -v5
	v_add_f32_e32 v2, v2, v8
	v_fmac_f32_e32 v189, v7, v170
	v_add_f32_e32 v3, v3, v188
	v_add_f32_e32 v2, v2, v4
	;; [unrolled: 1-line block ×3, first 2 shown]
	s_waitcnt vmcnt(1)
	v_sub_f32_e32 v2, v171, v2
	s_waitcnt vmcnt(0)
	v_sub_f32_e32 v3, v172, v3
	buffer_store_dword v2, off, s[0:3], 0 offset:256
	buffer_store_dword v3, off, s[0:3], 0 offset:260
	v_cmpx_lt_u32_e32 31, v0
	s_cbranch_execz .LBB49_251
; %bb.250:
	s_clause 0x1
	buffer_load_dword v2, off, s[0:3], 0 offset:248
	buffer_load_dword v3, off, s[0:3], 0 offset:252
	buffer_store_dword v1, off, s[0:3], 0 offset:248
	buffer_store_dword v1, off, s[0:3], 0 offset:252
	s_waitcnt vmcnt(0)
	ds_write_b64 v109, v[2:3]
.LBB49_251:
	s_or_b32 exec_lo, exec_lo, s4
	s_waitcnt lgkmcnt(0)
	s_waitcnt_vscnt null, 0x0
	s_barrier
	buffer_gl0_inv
	s_clause 0x25
	buffer_load_dword v6, off, s[0:3], 0 offset:260
	buffer_load_dword v7, off, s[0:3], 0 offset:268
	;; [unrolled: 1-line block ×38, first 2 shown]
	ds_read_b128 v[2:5], v1 offset:656
	ds_read_b128 v[110:113], v1 offset:672
	ds_read_b128 v[114:117], v1 offset:688
	ds_read_b128 v[118:121], v1 offset:704
	ds_read_b128 v[122:125], v1 offset:720
	ds_read_b128 v[126:129], v1 offset:736
	ds_read_b128 v[130:133], v1 offset:752
	ds_read_b128 v[134:137], v1 offset:768
	ds_read_b128 v[138:141], v1 offset:784
	s_mov_b32 s4, exec_lo
	s_waitcnt vmcnt(37) lgkmcnt(8)
	v_mul_f32_e32 v1, v2, v6
	v_mul_f32_e32 v6, v3, v6
	s_waitcnt vmcnt(36)
	v_mul_f32_e32 v177, v4, v7
	v_mul_f32_e32 v7, v5, v7
	s_waitcnt vmcnt(35) lgkmcnt(7)
	v_mul_f32_e32 v178, v110, v8
	s_waitcnt vmcnt(34)
	v_mul_f32_e32 v179, v112, v142
	s_waitcnt vmcnt(33) lgkmcnt(6)
	v_mul_f32_e32 v180, v114, v143
	s_waitcnt vmcnt(32)
	;; [unrolled: 4-line block ×7, first 2 shown]
	v_mul_f32_e32 v191, v136, v154
	s_waitcnt vmcnt(19)
	v_fma_f32 v2, v2, v157, -v6
	v_fmac_f32_e32 v1, v3, v157
	v_mul_f32_e32 v3, v111, v8
	s_waitcnt vmcnt(18)
	v_fma_f32 v4, v4, v158, -v7
	v_fmac_f32_e32 v177, v5, v158
	v_add_f32_e32 v2, 0, v2
	v_add_f32_e32 v1, 0, v1
	v_mul_f32_e32 v5, v113, v142
	s_waitcnt vmcnt(17)
	v_fma_f32 v3, v110, v159, -v3
	v_fmac_f32_e32 v178, v111, v159
	v_add_f32_e32 v2, v2, v4
	v_add_f32_e32 v1, v1, v177
	;; [unrolled: 6-line block ×14, first 2 shown]
	s_waitcnt lgkmcnt(0)
	v_mul_f32_e32 v4, v139, v155
	s_waitcnt vmcnt(4)
	v_fma_f32 v5, v136, v172, -v5
	v_mul_f32_e32 v192, v138, v155
	v_add_f32_e32 v2, v2, v3
	v_fmac_f32_e32 v191, v137, v172
	v_add_f32_e32 v1, v1, v190
	v_mul_f32_e32 v3, v141, v156
	s_waitcnt vmcnt(3)
	v_fma_f32 v4, v138, v173, -v4
	v_add_f32_e32 v2, v2, v5
	v_mul_f32_e32 v193, v140, v156
	v_fmac_f32_e32 v192, v139, v173
	v_add_f32_e32 v1, v1, v191
	s_waitcnt vmcnt(2)
	v_fma_f32 v3, v140, v174, -v3
	v_add_f32_e32 v2, v2, v4
	v_fmac_f32_e32 v193, v141, v174
	v_add_f32_e32 v1, v1, v192
	v_add_f32_e32 v2, v2, v3
	;; [unrolled: 1-line block ×3, first 2 shown]
	s_waitcnt vmcnt(1)
	v_sub_f32_e32 v2, v175, v2
	s_waitcnt vmcnt(0)
	v_sub_f32_e32 v1, v176, v1
	buffer_store_dword v2, off, s[0:3], 0 offset:248
	buffer_store_dword v1, off, s[0:3], 0 offset:252
	v_cmpx_lt_u32_e32 30, v0
	s_cbranch_execz .LBB49_253
; %bb.252:
	s_clause 0x1
	buffer_load_dword v1, off, s[0:3], 0 offset:240
	buffer_load_dword v2, off, s[0:3], 0 offset:244
	v_mov_b32_e32 v3, 0
	buffer_store_dword v3, off, s[0:3], 0 offset:240
	buffer_store_dword v3, off, s[0:3], 0 offset:244
	s_waitcnt vmcnt(0)
	ds_write_b64 v109, v[1:2]
.LBB49_253:
	s_or_b32 exec_lo, exec_lo, s4
	s_waitcnt lgkmcnt(0)
	s_waitcnt_vscnt null, 0x0
	s_barrier
	buffer_gl0_inv
	s_clause 0x27
	buffer_load_dword v8, off, s[0:3], 0 offset:252
	buffer_load_dword v142, off, s[0:3], 0 offset:260
	;; [unrolled: 1-line block ×40, first 2 shown]
	v_mov_b32_e32 v1, 0
	ds_read2_b64 v[2:5], v1 offset0:81 offset1:82
	ds_read2_b64 v[110:113], v1 offset0:83 offset1:84
	;; [unrolled: 1-line block ×9, first 2 shown]
	ds_read_b64 v[6:7], v1 offset:792
	s_mov_b32 s4, exec_lo
	s_waitcnt vmcnt(39) lgkmcnt(9)
	v_mul_f32_e32 v181, v2, v8
	v_mul_f32_e32 v8, v3, v8
	s_waitcnt vmcnt(38)
	v_mul_f32_e32 v182, v4, v142
	v_mul_f32_e32 v142, v5, v142
	s_waitcnt vmcnt(37) lgkmcnt(8)
	v_mul_f32_e32 v183, v110, v143
	s_waitcnt vmcnt(36)
	v_mul_f32_e32 v184, v112, v144
	s_waitcnt vmcnt(35) lgkmcnt(7)
	v_mul_f32_e32 v185, v114, v145
	s_waitcnt vmcnt(34)
	;; [unrolled: 4-line block ×8, first 2 shown]
	v_fma_f32 v2, v2, v160, -v8
	v_fmac_f32_e32 v181, v3, v160
	v_mul_f32_e32 v3, v111, v143
	s_waitcnt vmcnt(19)
	v_fma_f32 v4, v4, v161, -v142
	v_fmac_f32_e32 v182, v5, v161
	v_add_f32_e32 v2, 0, v2
	v_add_f32_e32 v5, 0, v181
	v_mul_f32_e32 v8, v113, v144
	s_waitcnt vmcnt(18)
	v_fma_f32 v3, v110, v162, -v3
	v_fmac_f32_e32 v183, v111, v162
	v_add_f32_e32 v2, v2, v4
	v_add_f32_e32 v4, v5, v182
	;; [unrolled: 6-line block ×15, first 2 shown]
	v_mul_f32_e32 v4, v141, v158
	s_waitcnt vmcnt(4)
	v_fma_f32 v5, v138, v176, -v5
	v_mul_f32_e32 v198, v140, v158
	v_add_f32_e32 v2, v2, v8
	v_fmac_f32_e32 v197, v139, v176
	v_add_f32_e32 v3, v3, v196
	s_waitcnt lgkmcnt(0)
	v_mul_f32_e32 v8, v7, v159
	s_waitcnt vmcnt(3)
	v_fma_f32 v4, v140, v177, -v4
	v_add_f32_e32 v2, v2, v5
	v_mul_f32_e32 v199, v6, v159
	v_fmac_f32_e32 v198, v141, v177
	v_add_f32_e32 v3, v3, v197
	s_waitcnt vmcnt(2)
	v_fma_f32 v5, v6, v178, -v8
	v_add_f32_e32 v2, v2, v4
	v_fmac_f32_e32 v199, v7, v178
	v_add_f32_e32 v3, v3, v198
	v_add_f32_e32 v2, v2, v5
	;; [unrolled: 1-line block ×3, first 2 shown]
	s_waitcnt vmcnt(1)
	v_sub_f32_e32 v2, v179, v2
	s_waitcnt vmcnt(0)
	v_sub_f32_e32 v3, v180, v3
	buffer_store_dword v2, off, s[0:3], 0 offset:240
	buffer_store_dword v3, off, s[0:3], 0 offset:244
	v_cmpx_lt_u32_e32 29, v0
	s_cbranch_execz .LBB49_255
; %bb.254:
	s_clause 0x1
	buffer_load_dword v2, off, s[0:3], 0 offset:232
	buffer_load_dword v3, off, s[0:3], 0 offset:236
	buffer_store_dword v1, off, s[0:3], 0 offset:232
	buffer_store_dword v1, off, s[0:3], 0 offset:236
	s_waitcnt vmcnt(0)
	ds_write_b64 v109, v[2:3]
.LBB49_255:
	s_or_b32 exec_lo, exec_lo, s4
	s_waitcnt lgkmcnt(0)
	s_waitcnt_vscnt null, 0x0
	s_barrier
	buffer_gl0_inv
	s_clause 0x29
	buffer_load_dword v6, off, s[0:3], 0 offset:244
	buffer_load_dword v7, off, s[0:3], 0 offset:252
	;; [unrolled: 1-line block ×42, first 2 shown]
	ds_read_b128 v[2:5], v1 offset:640
	ds_read_b128 v[110:113], v1 offset:656
	;; [unrolled: 1-line block ×10, first 2 shown]
	s_mov_b32 s4, exec_lo
	s_waitcnt vmcnt(41) lgkmcnt(9)
	v_mul_f32_e32 v1, v2, v6
	v_mul_f32_e32 v6, v3, v6
	s_waitcnt vmcnt(40)
	v_mul_f32_e32 v185, v4, v7
	v_mul_f32_e32 v7, v5, v7
	s_waitcnt vmcnt(39) lgkmcnt(8)
	v_mul_f32_e32 v186, v110, v8
	s_waitcnt vmcnt(38)
	v_mul_f32_e32 v187, v112, v146
	s_waitcnt vmcnt(37) lgkmcnt(7)
	v_mul_f32_e32 v188, v114, v147
	s_waitcnt vmcnt(36)
	;; [unrolled: 4-line block ×8, first 2 shown]
	v_mul_f32_e32 v201, v140, v160
	s_waitcnt vmcnt(21)
	v_fma_f32 v2, v2, v163, -v6
	v_fmac_f32_e32 v1, v3, v163
	v_mul_f32_e32 v3, v111, v8
	s_waitcnt vmcnt(20)
	v_fma_f32 v4, v4, v164, -v7
	v_fmac_f32_e32 v185, v5, v164
	v_add_f32_e32 v2, 0, v2
	v_add_f32_e32 v1, 0, v1
	v_mul_f32_e32 v5, v113, v146
	s_waitcnt vmcnt(19)
	v_fma_f32 v3, v110, v165, -v3
	v_fmac_f32_e32 v186, v111, v165
	v_add_f32_e32 v2, v2, v4
	v_add_f32_e32 v1, v1, v185
	;; [unrolled: 6-line block ×16, first 2 shown]
	s_waitcnt lgkmcnt(0)
	v_mul_f32_e32 v5, v143, v161
	s_waitcnt vmcnt(4)
	v_fma_f32 v3, v140, v180, -v3
	v_mul_f32_e32 v202, v142, v161
	v_add_f32_e32 v2, v2, v4
	v_fmac_f32_e32 v201, v141, v180
	v_add_f32_e32 v1, v1, v200
	v_mul_f32_e32 v4, v145, v162
	s_waitcnt vmcnt(3)
	v_fma_f32 v5, v142, v181, -v5
	v_add_f32_e32 v2, v2, v3
	v_mul_f32_e32 v203, v144, v162
	v_fmac_f32_e32 v202, v143, v181
	v_add_f32_e32 v1, v1, v201
	s_waitcnt vmcnt(2)
	v_fma_f32 v3, v144, v182, -v4
	v_add_f32_e32 v2, v2, v5
	v_fmac_f32_e32 v203, v145, v182
	v_add_f32_e32 v1, v1, v202
	v_add_f32_e32 v2, v2, v3
	;; [unrolled: 1-line block ×3, first 2 shown]
	s_waitcnt vmcnt(1)
	v_sub_f32_e32 v2, v183, v2
	s_waitcnt vmcnt(0)
	v_sub_f32_e32 v1, v184, v1
	buffer_store_dword v2, off, s[0:3], 0 offset:232
	buffer_store_dword v1, off, s[0:3], 0 offset:236
	v_cmpx_lt_u32_e32 28, v0
	s_cbranch_execz .LBB49_257
; %bb.256:
	s_clause 0x1
	buffer_load_dword v1, off, s[0:3], 0 offset:224
	buffer_load_dword v2, off, s[0:3], 0 offset:228
	v_mov_b32_e32 v3, 0
	buffer_store_dword v3, off, s[0:3], 0 offset:224
	buffer_store_dword v3, off, s[0:3], 0 offset:228
	s_waitcnt vmcnt(0)
	ds_write_b64 v109, v[1:2]
.LBB49_257:
	s_or_b32 exec_lo, exec_lo, s4
	s_waitcnt lgkmcnt(0)
	s_waitcnt_vscnt null, 0x0
	s_barrier
	buffer_gl0_inv
	s_clause 0x2b
	buffer_load_dword v8, off, s[0:3], 0 offset:236
	buffer_load_dword v146, off, s[0:3], 0 offset:244
	;; [unrolled: 1-line block ×44, first 2 shown]
	v_mov_b32_e32 v1, 0
	ds_read2_b64 v[2:5], v1 offset0:79 offset1:80
	ds_read2_b64 v[110:113], v1 offset0:81 offset1:82
	;; [unrolled: 1-line block ×10, first 2 shown]
	ds_read_b64 v[6:7], v1 offset:792
	s_mov_b32 s4, exec_lo
	s_waitcnt vmcnt(43) lgkmcnt(10)
	v_mul_f32_e32 v189, v2, v8
	v_mul_f32_e32 v8, v3, v8
	s_waitcnt vmcnt(42)
	v_mul_f32_e32 v190, v4, v146
	v_mul_f32_e32 v146, v5, v146
	s_waitcnt vmcnt(41) lgkmcnt(9)
	v_mul_f32_e32 v191, v110, v147
	s_waitcnt vmcnt(40)
	v_mul_f32_e32 v192, v112, v148
	s_waitcnt vmcnt(39) lgkmcnt(8)
	v_mul_f32_e32 v193, v114, v149
	s_waitcnt vmcnt(38)
	;; [unrolled: 4-line block ×9, first 2 shown]
	v_fma_f32 v2, v2, v166, -v8
	v_fmac_f32_e32 v189, v3, v166
	v_mul_f32_e32 v3, v111, v147
	s_waitcnt vmcnt(21)
	v_fma_f32 v4, v4, v167, -v146
	v_fmac_f32_e32 v190, v5, v167
	v_add_f32_e32 v2, 0, v2
	v_add_f32_e32 v5, 0, v189
	v_mul_f32_e32 v8, v113, v148
	s_waitcnt vmcnt(20)
	v_fma_f32 v3, v110, v168, -v3
	v_fmac_f32_e32 v191, v111, v168
	v_add_f32_e32 v2, v2, v4
	v_add_f32_e32 v4, v5, v190
	;; [unrolled: 6-line block ×17, first 2 shown]
	v_mul_f32_e32 v5, v145, v164
	s_waitcnt vmcnt(4)
	v_fma_f32 v8, v142, v184, -v8
	v_mul_f32_e32 v208, v144, v164
	v_add_f32_e32 v2, v2, v4
	v_fmac_f32_e32 v207, v143, v184
	v_add_f32_e32 v3, v3, v206
	s_waitcnt lgkmcnt(0)
	v_mul_f32_e32 v4, v7, v165
	s_waitcnt vmcnt(3)
	v_fma_f32 v5, v144, v185, -v5
	v_add_f32_e32 v2, v2, v8
	v_mul_f32_e32 v209, v6, v165
	v_fmac_f32_e32 v208, v145, v185
	v_add_f32_e32 v3, v3, v207
	s_waitcnt vmcnt(2)
	v_fma_f32 v4, v6, v186, -v4
	v_add_f32_e32 v2, v2, v5
	v_fmac_f32_e32 v209, v7, v186
	v_add_f32_e32 v3, v3, v208
	v_add_f32_e32 v2, v2, v4
	;; [unrolled: 1-line block ×3, first 2 shown]
	s_waitcnt vmcnt(1)
	v_sub_f32_e32 v2, v187, v2
	s_waitcnt vmcnt(0)
	v_sub_f32_e32 v3, v188, v3
	buffer_store_dword v2, off, s[0:3], 0 offset:224
	buffer_store_dword v3, off, s[0:3], 0 offset:228
	v_cmpx_lt_u32_e32 27, v0
	s_cbranch_execz .LBB49_259
; %bb.258:
	s_clause 0x1
	buffer_load_dword v2, off, s[0:3], 0 offset:216
	buffer_load_dword v3, off, s[0:3], 0 offset:220
	buffer_store_dword v1, off, s[0:3], 0 offset:216
	buffer_store_dword v1, off, s[0:3], 0 offset:220
	s_waitcnt vmcnt(0)
	ds_write_b64 v109, v[2:3]
.LBB49_259:
	s_or_b32 exec_lo, exec_lo, s4
	s_waitcnt lgkmcnt(0)
	s_waitcnt_vscnt null, 0x0
	s_barrier
	buffer_gl0_inv
	s_clause 0x2d
	buffer_load_dword v6, off, s[0:3], 0 offset:228
	buffer_load_dword v7, off, s[0:3], 0 offset:236
	;; [unrolled: 1-line block ×46, first 2 shown]
	ds_read_b128 v[2:5], v1 offset:624
	ds_read_b128 v[110:113], v1 offset:640
	;; [unrolled: 1-line block ×11, first 2 shown]
	s_mov_b32 s4, exec_lo
	s_waitcnt vmcnt(45) lgkmcnt(10)
	v_mul_f32_e32 v1, v2, v6
	v_mul_f32_e32 v6, v3, v6
	s_waitcnt vmcnt(44)
	v_mul_f32_e32 v193, v4, v7
	v_mul_f32_e32 v7, v5, v7
	s_waitcnt vmcnt(43) lgkmcnt(9)
	v_mul_f32_e32 v194, v110, v8
	s_waitcnt vmcnt(42)
	v_mul_f32_e32 v195, v112, v150
	s_waitcnt vmcnt(41) lgkmcnt(8)
	v_mul_f32_e32 v196, v114, v151
	s_waitcnt vmcnt(40)
	;; [unrolled: 4-line block ×9, first 2 shown]
	v_mul_f32_e32 v211, v144, v166
	s_waitcnt vmcnt(23)
	v_fma_f32 v2, v2, v169, -v6
	v_fmac_f32_e32 v1, v3, v169
	v_mul_f32_e32 v3, v111, v8
	s_waitcnt vmcnt(22)
	v_fma_f32 v4, v4, v170, -v7
	v_fmac_f32_e32 v193, v5, v170
	v_add_f32_e32 v2, 0, v2
	v_add_f32_e32 v1, 0, v1
	v_mul_f32_e32 v5, v113, v150
	s_waitcnt vmcnt(21)
	v_fma_f32 v3, v110, v171, -v3
	v_fmac_f32_e32 v194, v111, v171
	v_add_f32_e32 v2, v2, v4
	v_add_f32_e32 v1, v1, v193
	v_mul_f32_e32 v4, v115, v151
	s_waitcnt vmcnt(20)
	v_fma_f32 v5, v112, v172, -v5
	v_fmac_f32_e32 v195, v113, v172
	v_add_f32_e32 v2, v2, v3
	v_add_f32_e32 v1, v1, v194
	v_mul_f32_e32 v3, v117, v152
	s_waitcnt vmcnt(19)
	v_fma_f32 v4, v114, v173, -v4
	v_fmac_f32_e32 v196, v115, v173
	v_add_f32_e32 v2, v2, v5
	v_add_f32_e32 v1, v1, v195
	v_mul_f32_e32 v5, v119, v153
	s_waitcnt vmcnt(18)
	v_fma_f32 v3, v116, v174, -v3
	v_fmac_f32_e32 v197, v117, v174
	v_add_f32_e32 v2, v2, v4
	v_add_f32_e32 v1, v1, v196
	v_mul_f32_e32 v4, v121, v154
	s_waitcnt vmcnt(17)
	v_fma_f32 v5, v118, v175, -v5
	v_fmac_f32_e32 v198, v119, v175
	v_add_f32_e32 v2, v2, v3
	v_add_f32_e32 v1, v1, v197
	v_mul_f32_e32 v3, v123, v155
	s_waitcnt vmcnt(16)
	v_fma_f32 v4, v120, v176, -v4
	v_fmac_f32_e32 v199, v121, v176
	v_add_f32_e32 v2, v2, v5
	v_add_f32_e32 v1, v1, v198
	v_mul_f32_e32 v5, v125, v156
	s_waitcnt vmcnt(15)
	v_fma_f32 v3, v122, v177, -v3
	v_fmac_f32_e32 v200, v123, v177
	v_add_f32_e32 v2, v2, v4
	v_add_f32_e32 v1, v1, v199
	v_mul_f32_e32 v4, v127, v157
	s_waitcnt vmcnt(14)
	v_fma_f32 v5, v124, v178, -v5
	v_fmac_f32_e32 v201, v125, v178
	v_add_f32_e32 v2, v2, v3
	v_add_f32_e32 v1, v1, v200
	v_mul_f32_e32 v3, v129, v158
	s_waitcnt vmcnt(13)
	v_fma_f32 v4, v126, v179, -v4
	v_fmac_f32_e32 v202, v127, v179
	v_add_f32_e32 v2, v2, v5
	v_add_f32_e32 v1, v1, v201
	v_mul_f32_e32 v5, v131, v159
	s_waitcnt vmcnt(12)
	v_fma_f32 v3, v128, v180, -v3
	v_fmac_f32_e32 v203, v129, v180
	v_add_f32_e32 v2, v2, v4
	v_add_f32_e32 v1, v1, v202
	v_mul_f32_e32 v4, v133, v160
	s_waitcnt vmcnt(11)
	v_fma_f32 v5, v130, v181, -v5
	v_fmac_f32_e32 v204, v131, v181
	v_add_f32_e32 v2, v2, v3
	v_add_f32_e32 v1, v1, v203
	v_mul_f32_e32 v3, v135, v161
	s_waitcnt vmcnt(10)
	v_fma_f32 v4, v132, v182, -v4
	v_fmac_f32_e32 v205, v133, v182
	v_add_f32_e32 v2, v2, v5
	v_add_f32_e32 v1, v1, v204
	v_mul_f32_e32 v5, v137, v162
	s_waitcnt vmcnt(9)
	v_fma_f32 v3, v134, v183, -v3
	v_fmac_f32_e32 v206, v135, v183
	v_add_f32_e32 v2, v2, v4
	v_add_f32_e32 v1, v1, v205
	v_mul_f32_e32 v4, v139, v163
	s_waitcnt vmcnt(8)
	v_fma_f32 v5, v136, v184, -v5
	v_fmac_f32_e32 v207, v137, v184
	v_add_f32_e32 v2, v2, v3
	v_add_f32_e32 v1, v1, v206
	v_mul_f32_e32 v3, v141, v164
	s_waitcnt vmcnt(7)
	v_fma_f32 v4, v138, v185, -v4
	v_fmac_f32_e32 v208, v139, v185
	v_add_f32_e32 v2, v2, v5
	v_add_f32_e32 v1, v1, v207
	v_mul_f32_e32 v5, v143, v165
	s_waitcnt vmcnt(6)
	v_fma_f32 v3, v140, v186, -v3
	v_fmac_f32_e32 v209, v141, v186
	v_add_f32_e32 v2, v2, v4
	v_add_f32_e32 v1, v1, v208
	v_mul_f32_e32 v4, v145, v166
	s_waitcnt vmcnt(5)
	v_fma_f32 v5, v142, v187, -v5
	v_fmac_f32_e32 v210, v143, v187
	v_add_f32_e32 v2, v2, v3
	v_add_f32_e32 v1, v1, v209
	s_waitcnt lgkmcnt(0)
	v_mul_f32_e32 v3, v147, v167
	s_waitcnt vmcnt(4)
	v_fma_f32 v4, v144, v188, -v4
	v_mul_f32_e32 v212, v146, v167
	v_add_f32_e32 v2, v2, v5
	v_fmac_f32_e32 v211, v145, v188
	v_add_f32_e32 v1, v1, v210
	v_mul_f32_e32 v5, v149, v168
	s_waitcnt vmcnt(3)
	v_fma_f32 v3, v146, v189, -v3
	v_add_f32_e32 v2, v2, v4
	v_mul_f32_e32 v213, v148, v168
	v_fmac_f32_e32 v212, v147, v189
	v_add_f32_e32 v1, v1, v211
	s_waitcnt vmcnt(2)
	v_fma_f32 v4, v148, v190, -v5
	v_add_f32_e32 v2, v2, v3
	v_fmac_f32_e32 v213, v149, v190
	v_add_f32_e32 v1, v1, v212
	v_add_f32_e32 v2, v2, v4
	;; [unrolled: 1-line block ×3, first 2 shown]
	s_waitcnt vmcnt(1)
	v_sub_f32_e32 v2, v191, v2
	s_waitcnt vmcnt(0)
	v_sub_f32_e32 v1, v192, v1
	buffer_store_dword v2, off, s[0:3], 0 offset:216
	buffer_store_dword v1, off, s[0:3], 0 offset:220
	v_cmpx_lt_u32_e32 26, v0
	s_cbranch_execz .LBB49_261
; %bb.260:
	s_clause 0x1
	buffer_load_dword v1, off, s[0:3], 0 offset:208
	buffer_load_dword v2, off, s[0:3], 0 offset:212
	v_mov_b32_e32 v3, 0
	buffer_store_dword v3, off, s[0:3], 0 offset:208
	buffer_store_dword v3, off, s[0:3], 0 offset:212
	s_waitcnt vmcnt(0)
	ds_write_b64 v109, v[1:2]
.LBB49_261:
	s_or_b32 exec_lo, exec_lo, s4
	s_waitcnt lgkmcnt(0)
	s_waitcnt_vscnt null, 0x0
	s_barrier
	buffer_gl0_inv
	s_clause 0x2f
	buffer_load_dword v8, off, s[0:3], 0 offset:220
	buffer_load_dword v150, off, s[0:3], 0 offset:228
	;; [unrolled: 1-line block ×48, first 2 shown]
	v_mov_b32_e32 v1, 0
	ds_read2_b64 v[2:5], v1 offset0:77 offset1:78
	ds_read2_b64 v[110:113], v1 offset0:79 offset1:80
	;; [unrolled: 1-line block ×11, first 2 shown]
	ds_read_b64 v[6:7], v1 offset:792
	s_mov_b32 s4, exec_lo
	s_waitcnt vmcnt(47) lgkmcnt(11)
	v_mul_f32_e32 v197, v2, v8
	v_mul_f32_e32 v8, v3, v8
	s_waitcnt vmcnt(46)
	v_mul_f32_e32 v198, v4, v150
	v_mul_f32_e32 v150, v5, v150
	s_waitcnt vmcnt(45) lgkmcnt(10)
	v_mul_f32_e32 v199, v110, v151
	s_waitcnt vmcnt(44)
	v_mul_f32_e32 v200, v112, v152
	s_waitcnt vmcnt(43) lgkmcnt(9)
	v_mul_f32_e32 v201, v114, v153
	s_waitcnt vmcnt(42)
	;; [unrolled: 4-line block ×10, first 2 shown]
	v_fma_f32 v2, v2, v172, -v8
	v_fmac_f32_e32 v197, v3, v172
	v_mul_f32_e32 v3, v111, v151
	s_waitcnt vmcnt(23)
	v_fma_f32 v4, v4, v173, -v150
	v_fmac_f32_e32 v198, v5, v173
	v_add_f32_e32 v2, 0, v2
	v_add_f32_e32 v5, 0, v197
	v_mul_f32_e32 v8, v113, v152
	s_waitcnt vmcnt(22)
	v_fma_f32 v3, v110, v174, -v3
	v_fmac_f32_e32 v199, v111, v174
	v_add_f32_e32 v2, v2, v4
	v_add_f32_e32 v4, v5, v198
	;; [unrolled: 6-line block ×19, first 2 shown]
	v_mul_f32_e32 v8, v149, v170
	s_waitcnt vmcnt(4)
	v_fma_f32 v4, v146, v192, -v4
	v_mul_f32_e32 v218, v148, v170
	v_add_f32_e32 v2, v2, v5
	v_fmac_f32_e32 v217, v147, v192
	v_add_f32_e32 v3, v3, v216
	s_waitcnt lgkmcnt(0)
	v_mul_f32_e32 v5, v7, v171
	s_waitcnt vmcnt(3)
	v_fma_f32 v8, v148, v193, -v8
	v_add_f32_e32 v2, v2, v4
	v_mul_f32_e32 v219, v6, v171
	v_fmac_f32_e32 v218, v149, v193
	v_add_f32_e32 v3, v3, v217
	s_waitcnt vmcnt(2)
	v_fma_f32 v4, v6, v194, -v5
	v_add_f32_e32 v2, v2, v8
	v_fmac_f32_e32 v219, v7, v194
	v_add_f32_e32 v3, v3, v218
	v_add_f32_e32 v2, v2, v4
	;; [unrolled: 1-line block ×3, first 2 shown]
	s_waitcnt vmcnt(1)
	v_sub_f32_e32 v2, v195, v2
	s_waitcnt vmcnt(0)
	v_sub_f32_e32 v3, v196, v3
	buffer_store_dword v2, off, s[0:3], 0 offset:208
	buffer_store_dword v3, off, s[0:3], 0 offset:212
	v_cmpx_lt_u32_e32 25, v0
	s_cbranch_execz .LBB49_263
; %bb.262:
	s_clause 0x1
	buffer_load_dword v2, off, s[0:3], 0 offset:200
	buffer_load_dword v3, off, s[0:3], 0 offset:204
	buffer_store_dword v1, off, s[0:3], 0 offset:200
	buffer_store_dword v1, off, s[0:3], 0 offset:204
	s_waitcnt vmcnt(0)
	ds_write_b64 v109, v[2:3]
.LBB49_263:
	s_or_b32 exec_lo, exec_lo, s4
	s_waitcnt lgkmcnt(0)
	s_waitcnt_vscnt null, 0x0
	s_barrier
	buffer_gl0_inv
	s_clause 0x31
	buffer_load_dword v6, off, s[0:3], 0 offset:212
	buffer_load_dword v7, off, s[0:3], 0 offset:220
	;; [unrolled: 1-line block ×50, first 2 shown]
	ds_read_b128 v[2:5], v1 offset:608
	ds_read_b128 v[110:113], v1 offset:624
	;; [unrolled: 1-line block ×12, first 2 shown]
	s_mov_b32 s4, exec_lo
	s_waitcnt vmcnt(49) lgkmcnt(11)
	v_mul_f32_e32 v1, v2, v6
	v_mul_f32_e32 v6, v3, v6
	s_waitcnt vmcnt(48)
	v_mul_f32_e32 v201, v4, v7
	v_mul_f32_e32 v7, v5, v7
	s_waitcnt vmcnt(47) lgkmcnt(10)
	v_mul_f32_e32 v202, v110, v8
	s_waitcnt vmcnt(46)
	v_mul_f32_e32 v203, v112, v154
	s_waitcnt vmcnt(45) lgkmcnt(9)
	v_mul_f32_e32 v204, v114, v155
	s_waitcnt vmcnt(44)
	;; [unrolled: 4-line block ×10, first 2 shown]
	v_mul_f32_e32 v221, v148, v172
	s_waitcnt vmcnt(25)
	v_fma_f32 v2, v2, v175, -v6
	v_fmac_f32_e32 v1, v3, v175
	v_mul_f32_e32 v3, v111, v8
	s_waitcnt vmcnt(24)
	v_fma_f32 v4, v4, v176, -v7
	v_fmac_f32_e32 v201, v5, v176
	v_add_f32_e32 v2, 0, v2
	v_add_f32_e32 v1, 0, v1
	v_mul_f32_e32 v5, v113, v154
	s_waitcnt vmcnt(23)
	v_fma_f32 v3, v110, v177, -v3
	v_fmac_f32_e32 v202, v111, v177
	v_add_f32_e32 v2, v2, v4
	v_add_f32_e32 v1, v1, v201
	;; [unrolled: 6-line block ×20, first 2 shown]
	s_waitcnt lgkmcnt(0)
	v_mul_f32_e32 v4, v151, v173
	s_waitcnt vmcnt(4)
	v_fma_f32 v5, v148, v196, -v5
	v_mul_f32_e32 v222, v150, v173
	v_add_f32_e32 v2, v2, v3
	v_fmac_f32_e32 v221, v149, v196
	v_add_f32_e32 v1, v1, v220
	v_mul_f32_e32 v3, v153, v174
	s_waitcnt vmcnt(3)
	v_fma_f32 v4, v150, v197, -v4
	v_add_f32_e32 v2, v2, v5
	v_mul_f32_e32 v223, v152, v174
	v_fmac_f32_e32 v222, v151, v197
	v_add_f32_e32 v1, v1, v221
	s_waitcnt vmcnt(2)
	v_fma_f32 v3, v152, v198, -v3
	v_add_f32_e32 v2, v2, v4
	v_fmac_f32_e32 v223, v153, v198
	v_add_f32_e32 v1, v1, v222
	v_add_f32_e32 v2, v2, v3
	;; [unrolled: 1-line block ×3, first 2 shown]
	s_waitcnt vmcnt(1)
	v_sub_f32_e32 v2, v199, v2
	s_waitcnt vmcnt(0)
	v_sub_f32_e32 v1, v200, v1
	buffer_store_dword v2, off, s[0:3], 0 offset:200
	buffer_store_dword v1, off, s[0:3], 0 offset:204
	v_cmpx_lt_u32_e32 24, v0
	s_cbranch_execz .LBB49_265
; %bb.264:
	s_clause 0x1
	buffer_load_dword v1, off, s[0:3], 0 offset:192
	buffer_load_dword v2, off, s[0:3], 0 offset:196
	v_mov_b32_e32 v3, 0
	buffer_store_dword v3, off, s[0:3], 0 offset:192
	buffer_store_dword v3, off, s[0:3], 0 offset:196
	s_waitcnt vmcnt(0)
	ds_write_b64 v109, v[1:2]
.LBB49_265:
	s_or_b32 exec_lo, exec_lo, s4
	s_waitcnt lgkmcnt(0)
	s_waitcnt_vscnt null, 0x0
	s_barrier
	buffer_gl0_inv
	s_clause 0x33
	buffer_load_dword v8, off, s[0:3], 0 offset:204
	buffer_load_dword v154, off, s[0:3], 0 offset:212
	buffer_load_dword v155, off, s[0:3], 0 offset:220
	buffer_load_dword v156, off, s[0:3], 0 offset:228
	buffer_load_dword v157, off, s[0:3], 0 offset:236
	buffer_load_dword v158, off, s[0:3], 0 offset:244
	buffer_load_dword v159, off, s[0:3], 0 offset:252
	buffer_load_dword v160, off, s[0:3], 0 offset:260
	buffer_load_dword v161, off, s[0:3], 0 offset:268
	buffer_load_dword v162, off, s[0:3], 0 offset:276
	buffer_load_dword v163, off, s[0:3], 0 offset:284
	buffer_load_dword v164, off, s[0:3], 0 offset:292
	buffer_load_dword v165, off, s[0:3], 0 offset:300
	buffer_load_dword v166, off, s[0:3], 0 offset:308
	buffer_load_dword v167, off, s[0:3], 0 offset:316
	buffer_load_dword v168, off, s[0:3], 0 offset:324
	buffer_load_dword v169, off, s[0:3], 0 offset:332
	buffer_load_dword v170, off, s[0:3], 0 offset:340
	buffer_load_dword v171, off, s[0:3], 0 offset:348
	buffer_load_dword v172, off, s[0:3], 0 offset:356
	buffer_load_dword v173, off, s[0:3], 0 offset:364
	buffer_load_dword v174, off, s[0:3], 0 offset:372
	buffer_load_dword v175, off, s[0:3], 0 offset:380
	buffer_load_dword v176, off, s[0:3], 0 offset:388
	buffer_load_dword v177, off, s[0:3], 0 offset:396
	buffer_load_dword v178, off, s[0:3], 0 offset:200
	buffer_load_dword v179, off, s[0:3], 0 offset:208
	buffer_load_dword v180, off, s[0:3], 0 offset:216
	buffer_load_dword v181, off, s[0:3], 0 offset:224
	buffer_load_dword v182, off, s[0:3], 0 offset:232
	buffer_load_dword v183, off, s[0:3], 0 offset:240
	buffer_load_dword v184, off, s[0:3], 0 offset:248
	buffer_load_dword v185, off, s[0:3], 0 offset:256
	buffer_load_dword v186, off, s[0:3], 0 offset:264
	buffer_load_dword v187, off, s[0:3], 0 offset:272
	buffer_load_dword v188, off, s[0:3], 0 offset:280
	buffer_load_dword v189, off, s[0:3], 0 offset:288
	buffer_load_dword v190, off, s[0:3], 0 offset:296
	buffer_load_dword v191, off, s[0:3], 0 offset:304
	buffer_load_dword v192, off, s[0:3], 0 offset:312
	buffer_load_dword v193, off, s[0:3], 0 offset:320
	buffer_load_dword v194, off, s[0:3], 0 offset:328
	buffer_load_dword v195, off, s[0:3], 0 offset:336
	buffer_load_dword v196, off, s[0:3], 0 offset:344
	buffer_load_dword v197, off, s[0:3], 0 offset:352
	buffer_load_dword v198, off, s[0:3], 0 offset:360
	buffer_load_dword v199, off, s[0:3], 0 offset:368
	buffer_load_dword v200, off, s[0:3], 0 offset:376
	buffer_load_dword v201, off, s[0:3], 0 offset:384
	buffer_load_dword v202, off, s[0:3], 0 offset:392
	buffer_load_dword v203, off, s[0:3], 0 offset:192
	buffer_load_dword v204, off, s[0:3], 0 offset:196
	v_mov_b32_e32 v1, 0
	ds_read2_b64 v[2:5], v1 offset0:75 offset1:76
	ds_read2_b64 v[110:113], v1 offset0:77 offset1:78
	;; [unrolled: 1-line block ×12, first 2 shown]
	ds_read_b64 v[6:7], v1 offset:792
	s_mov_b32 s4, exec_lo
	s_waitcnt vmcnt(51) lgkmcnt(12)
	v_mul_f32_e32 v205, v2, v8
	v_mul_f32_e32 v8, v3, v8
	s_waitcnt vmcnt(50)
	v_mul_f32_e32 v206, v4, v154
	v_mul_f32_e32 v154, v5, v154
	s_waitcnt vmcnt(49) lgkmcnt(11)
	v_mul_f32_e32 v207, v110, v155
	s_waitcnt vmcnt(48)
	v_mul_f32_e32 v208, v112, v156
	s_waitcnt vmcnt(47) lgkmcnt(10)
	v_mul_f32_e32 v209, v114, v157
	s_waitcnt vmcnt(46)
	v_mul_f32_e32 v210, v116, v158
	s_waitcnt vmcnt(45) lgkmcnt(9)
	v_mul_f32_e32 v211, v118, v159
	s_waitcnt vmcnt(44)
	v_mul_f32_e32 v212, v120, v160
	s_waitcnt vmcnt(43) lgkmcnt(8)
	v_mul_f32_e32 v213, v122, v161
	s_waitcnt vmcnt(42)
	v_mul_f32_e32 v214, v124, v162
	s_waitcnt vmcnt(41) lgkmcnt(7)
	v_mul_f32_e32 v215, v126, v163
	s_waitcnt vmcnt(40)
	v_mul_f32_e32 v216, v128, v164
	s_waitcnt vmcnt(39) lgkmcnt(6)
	v_mul_f32_e32 v217, v130, v165
	s_waitcnt vmcnt(38)
	v_mul_f32_e32 v218, v132, v166
	s_waitcnt vmcnt(37) lgkmcnt(5)
	v_mul_f32_e32 v219, v134, v167
	s_waitcnt vmcnt(36)
	v_mul_f32_e32 v220, v136, v168
	s_waitcnt vmcnt(35) lgkmcnt(4)
	v_mul_f32_e32 v221, v138, v169
	s_waitcnt vmcnt(34)
	v_mul_f32_e32 v222, v140, v170
	s_waitcnt vmcnt(33) lgkmcnt(3)
	v_mul_f32_e32 v223, v142, v171
	s_waitcnt vmcnt(32)
	v_mul_f32_e32 v224, v144, v172
	s_waitcnt vmcnt(31) lgkmcnt(2)
	v_mul_f32_e32 v225, v146, v173
	s_waitcnt vmcnt(30)
	v_mul_f32_e32 v226, v148, v174
	s_waitcnt vmcnt(29) lgkmcnt(1)
	v_mul_f32_e32 v227, v150, v175
	s_waitcnt vmcnt(26)
	v_fma_f32 v2, v2, v178, -v8
	v_fmac_f32_e32 v205, v3, v178
	v_mul_f32_e32 v3, v111, v155
	s_waitcnt vmcnt(25)
	v_fma_f32 v4, v4, v179, -v154
	v_fmac_f32_e32 v206, v5, v179
	v_add_f32_e32 v2, 0, v2
	v_add_f32_e32 v5, 0, v205
	v_mul_f32_e32 v8, v113, v156
	s_waitcnt vmcnt(24)
	v_fma_f32 v3, v110, v180, -v3
	v_fmac_f32_e32 v207, v111, v180
	v_add_f32_e32 v2, v2, v4
	v_add_f32_e32 v4, v5, v206
	;; [unrolled: 6-line block ×21, first 2 shown]
	v_mul_f32_e32 v4, v153, v176
	s_waitcnt vmcnt(4)
	v_fma_f32 v5, v150, v200, -v5
	v_mul_f32_e32 v228, v152, v176
	v_add_f32_e32 v2, v2, v8
	v_fmac_f32_e32 v227, v151, v200
	v_add_f32_e32 v3, v3, v226
	s_waitcnt lgkmcnt(0)
	v_mul_f32_e32 v8, v7, v177
	s_waitcnt vmcnt(3)
	v_fma_f32 v4, v152, v201, -v4
	v_add_f32_e32 v2, v2, v5
	v_mul_f32_e32 v229, v6, v177
	v_fmac_f32_e32 v228, v153, v201
	v_add_f32_e32 v3, v3, v227
	s_waitcnt vmcnt(2)
	v_fma_f32 v5, v6, v202, -v8
	v_add_f32_e32 v2, v2, v4
	v_fmac_f32_e32 v229, v7, v202
	v_add_f32_e32 v3, v3, v228
	v_add_f32_e32 v2, v2, v5
	;; [unrolled: 1-line block ×3, first 2 shown]
	s_waitcnt vmcnt(1)
	v_sub_f32_e32 v2, v203, v2
	s_waitcnt vmcnt(0)
	v_sub_f32_e32 v3, v204, v3
	buffer_store_dword v2, off, s[0:3], 0 offset:192
	buffer_store_dword v3, off, s[0:3], 0 offset:196
	v_cmpx_lt_u32_e32 23, v0
	s_cbranch_execz .LBB49_267
; %bb.266:
	s_clause 0x1
	buffer_load_dword v2, off, s[0:3], 0 offset:184
	buffer_load_dword v3, off, s[0:3], 0 offset:188
	buffer_store_dword v1, off, s[0:3], 0 offset:184
	buffer_store_dword v1, off, s[0:3], 0 offset:188
	s_waitcnt vmcnt(0)
	ds_write_b64 v109, v[2:3]
.LBB49_267:
	s_or_b32 exec_lo, exec_lo, s4
	s_waitcnt lgkmcnt(0)
	s_waitcnt_vscnt null, 0x0
	s_barrier
	buffer_gl0_inv
	s_clause 0x35
	buffer_load_dword v6, off, s[0:3], 0 offset:196
	buffer_load_dword v7, off, s[0:3], 0 offset:204
	;; [unrolled: 1-line block ×54, first 2 shown]
	ds_read_b128 v[2:5], v1 offset:592
	ds_read_b128 v[110:113], v1 offset:608
	;; [unrolled: 1-line block ×13, first 2 shown]
	s_mov_b32 s4, exec_lo
	s_waitcnt vmcnt(53) lgkmcnt(12)
	v_mul_f32_e32 v1, v2, v6
	v_mul_f32_e32 v6, v3, v6
	s_waitcnt vmcnt(52)
	v_mul_f32_e32 v209, v4, v7
	v_mul_f32_e32 v7, v5, v7
	s_waitcnt vmcnt(51) lgkmcnt(11)
	v_mul_f32_e32 v210, v110, v8
	s_waitcnt vmcnt(50)
	v_mul_f32_e32 v211, v112, v158
	s_waitcnt vmcnt(49) lgkmcnt(10)
	v_mul_f32_e32 v212, v114, v159
	s_waitcnt vmcnt(48)
	;; [unrolled: 4-line block ×11, first 2 shown]
	v_mul_f32_e32 v231, v152, v178
	s_waitcnt vmcnt(27)
	v_fma_f32 v2, v2, v181, -v6
	v_fmac_f32_e32 v1, v3, v181
	v_mul_f32_e32 v3, v111, v8
	s_waitcnt vmcnt(26)
	v_fma_f32 v4, v4, v182, -v7
	v_fmac_f32_e32 v209, v5, v182
	v_add_f32_e32 v2, 0, v2
	v_add_f32_e32 v1, 0, v1
	v_mul_f32_e32 v5, v113, v158
	s_waitcnt vmcnt(25)
	v_fma_f32 v3, v110, v183, -v3
	v_fmac_f32_e32 v210, v111, v183
	v_add_f32_e32 v2, v2, v4
	v_add_f32_e32 v1, v1, v209
	;; [unrolled: 6-line block ×22, first 2 shown]
	s_waitcnt lgkmcnt(0)
	v_mul_f32_e32 v5, v155, v179
	s_waitcnt vmcnt(4)
	v_fma_f32 v3, v152, v204, -v3
	v_mul_f32_e32 v232, v154, v179
	v_add_f32_e32 v2, v2, v4
	v_fmac_f32_e32 v231, v153, v204
	v_add_f32_e32 v1, v1, v230
	v_mul_f32_e32 v4, v157, v180
	s_waitcnt vmcnt(3)
	v_fma_f32 v5, v154, v205, -v5
	v_add_f32_e32 v2, v2, v3
	v_mul_f32_e32 v233, v156, v180
	v_fmac_f32_e32 v232, v155, v205
	v_add_f32_e32 v1, v1, v231
	s_waitcnt vmcnt(2)
	v_fma_f32 v3, v156, v206, -v4
	v_add_f32_e32 v2, v2, v5
	v_fmac_f32_e32 v233, v157, v206
	v_add_f32_e32 v1, v1, v232
	v_add_f32_e32 v2, v2, v3
	;; [unrolled: 1-line block ×3, first 2 shown]
	s_waitcnt vmcnt(1)
	v_sub_f32_e32 v2, v207, v2
	s_waitcnt vmcnt(0)
	v_sub_f32_e32 v1, v208, v1
	buffer_store_dword v2, off, s[0:3], 0 offset:184
	buffer_store_dword v1, off, s[0:3], 0 offset:188
	v_cmpx_lt_u32_e32 22, v0
	s_cbranch_execz .LBB49_269
; %bb.268:
	s_clause 0x1
	buffer_load_dword v1, off, s[0:3], 0 offset:176
	buffer_load_dword v2, off, s[0:3], 0 offset:180
	v_mov_b32_e32 v3, 0
	buffer_store_dword v3, off, s[0:3], 0 offset:176
	buffer_store_dword v3, off, s[0:3], 0 offset:180
	s_waitcnt vmcnt(0)
	ds_write_b64 v109, v[1:2]
.LBB49_269:
	s_or_b32 exec_lo, exec_lo, s4
	s_waitcnt lgkmcnt(0)
	s_waitcnt_vscnt null, 0x0
	s_barrier
	buffer_gl0_inv
	s_clause 0x37
	buffer_load_dword v8, off, s[0:3], 0 offset:188
	buffer_load_dword v158, off, s[0:3], 0 offset:196
	;; [unrolled: 1-line block ×56, first 2 shown]
	v_mov_b32_e32 v1, 0
	ds_read2_b64 v[2:5], v1 offset0:73 offset1:74
	ds_read2_b64 v[110:113], v1 offset0:75 offset1:76
	;; [unrolled: 1-line block ×13, first 2 shown]
	ds_read_b64 v[6:7], v1 offset:792
	s_mov_b32 s4, exec_lo
	s_waitcnt vmcnt(55) lgkmcnt(13)
	v_mul_f32_e32 v213, v2, v8
	v_mul_f32_e32 v8, v3, v8
	s_waitcnt vmcnt(54)
	v_mul_f32_e32 v214, v4, v158
	v_mul_f32_e32 v158, v5, v158
	s_waitcnt vmcnt(53) lgkmcnt(12)
	v_mul_f32_e32 v215, v110, v159
	s_waitcnt vmcnt(52)
	v_mul_f32_e32 v216, v112, v160
	s_waitcnt vmcnt(51) lgkmcnt(11)
	v_mul_f32_e32 v217, v114, v161
	s_waitcnt vmcnt(50)
	;; [unrolled: 4-line block ×12, first 2 shown]
	v_fma_f32 v2, v2, v184, -v8
	v_fmac_f32_e32 v213, v3, v184
	v_mul_f32_e32 v3, v111, v159
	s_waitcnt vmcnt(27)
	v_fma_f32 v4, v4, v185, -v158
	v_fmac_f32_e32 v214, v5, v185
	v_add_f32_e32 v2, 0, v2
	v_add_f32_e32 v5, 0, v213
	v_mul_f32_e32 v8, v113, v160
	s_waitcnt vmcnt(26)
	v_fma_f32 v3, v110, v186, -v3
	v_fmac_f32_e32 v215, v111, v186
	v_add_f32_e32 v2, v2, v4
	v_add_f32_e32 v4, v5, v214
	;; [unrolled: 6-line block ×23, first 2 shown]
	v_mul_f32_e32 v5, v157, v182
	s_waitcnt vmcnt(4)
	v_fma_f32 v8, v154, v208, -v8
	v_mul_f32_e32 v238, v156, v182
	v_add_f32_e32 v2, v2, v4
	v_fmac_f32_e32 v237, v155, v208
	v_add_f32_e32 v3, v3, v236
	s_waitcnt lgkmcnt(0)
	v_mul_f32_e32 v4, v7, v183
	s_waitcnt vmcnt(3)
	v_fma_f32 v5, v156, v209, -v5
	v_add_f32_e32 v2, v2, v8
	v_mul_f32_e32 v239, v6, v183
	v_fmac_f32_e32 v238, v157, v209
	v_add_f32_e32 v3, v3, v237
	s_waitcnt vmcnt(2)
	v_fma_f32 v4, v6, v210, -v4
	v_add_f32_e32 v2, v2, v5
	v_fmac_f32_e32 v239, v7, v210
	v_add_f32_e32 v3, v3, v238
	v_add_f32_e32 v2, v2, v4
	;; [unrolled: 1-line block ×3, first 2 shown]
	s_waitcnt vmcnt(1)
	v_sub_f32_e32 v2, v211, v2
	s_waitcnt vmcnt(0)
	v_sub_f32_e32 v3, v212, v3
	buffer_store_dword v2, off, s[0:3], 0 offset:176
	buffer_store_dword v3, off, s[0:3], 0 offset:180
	v_cmpx_lt_u32_e32 21, v0
	s_cbranch_execz .LBB49_271
; %bb.270:
	s_clause 0x1
	buffer_load_dword v2, off, s[0:3], 0 offset:168
	buffer_load_dword v3, off, s[0:3], 0 offset:172
	buffer_store_dword v1, off, s[0:3], 0 offset:168
	buffer_store_dword v1, off, s[0:3], 0 offset:172
	s_waitcnt vmcnt(0)
	ds_write_b64 v109, v[2:3]
.LBB49_271:
	s_or_b32 exec_lo, exec_lo, s4
	s_waitcnt lgkmcnt(0)
	s_waitcnt_vscnt null, 0x0
	s_barrier
	buffer_gl0_inv
	s_clause 0x39
	buffer_load_dword v6, off, s[0:3], 0 offset:180
	buffer_load_dword v7, off, s[0:3], 0 offset:188
	;; [unrolled: 1-line block ×58, first 2 shown]
	ds_read_b128 v[2:5], v1 offset:576
	ds_read_b128 v[110:113], v1 offset:592
	ds_read_b128 v[114:117], v1 offset:608
	ds_read_b128 v[118:121], v1 offset:624
	ds_read_b128 v[122:125], v1 offset:640
	ds_read_b128 v[126:129], v1 offset:656
	ds_read_b128 v[130:133], v1 offset:672
	ds_read_b128 v[134:137], v1 offset:688
	ds_read_b128 v[138:141], v1 offset:704
	ds_read_b128 v[142:145], v1 offset:720
	ds_read_b128 v[146:149], v1 offset:736
	ds_read_b128 v[150:153], v1 offset:752
	ds_read_b128 v[154:157], v1 offset:768
	ds_read_b128 v[158:161], v1 offset:784
	s_mov_b32 s4, exec_lo
	s_waitcnt vmcnt(57) lgkmcnt(13)
	v_mul_f32_e32 v1, v2, v6
	v_mul_f32_e32 v6, v3, v6
	s_waitcnt vmcnt(56)
	v_mul_f32_e32 v217, v4, v7
	v_mul_f32_e32 v7, v5, v7
	s_waitcnt vmcnt(55) lgkmcnt(12)
	v_mul_f32_e32 v218, v110, v8
	s_waitcnt vmcnt(54)
	v_mul_f32_e32 v219, v112, v162
	s_waitcnt vmcnt(53) lgkmcnt(11)
	v_mul_f32_e32 v220, v114, v163
	s_waitcnt vmcnt(52)
	;; [unrolled: 4-line block ×12, first 2 shown]
	v_mul_f32_e32 v241, v156, v184
	s_waitcnt vmcnt(29)
	v_fma_f32 v2, v2, v187, -v6
	v_fmac_f32_e32 v1, v3, v187
	v_mul_f32_e32 v3, v111, v8
	s_waitcnt vmcnt(28)
	v_fma_f32 v4, v4, v188, -v7
	v_fmac_f32_e32 v217, v5, v188
	v_add_f32_e32 v2, 0, v2
	v_add_f32_e32 v1, 0, v1
	v_mul_f32_e32 v5, v113, v162
	s_waitcnt vmcnt(27)
	v_fma_f32 v3, v110, v189, -v3
	v_fmac_f32_e32 v218, v111, v189
	v_add_f32_e32 v2, v2, v4
	v_add_f32_e32 v1, v1, v217
	;; [unrolled: 6-line block ×24, first 2 shown]
	s_waitcnt lgkmcnt(0)
	v_mul_f32_e32 v3, v159, v185
	s_waitcnt vmcnt(4)
	v_fma_f32 v4, v156, v212, -v4
	v_mul_f32_e32 v242, v158, v185
	v_add_f32_e32 v2, v2, v5
	v_fmac_f32_e32 v241, v157, v212
	v_add_f32_e32 v1, v1, v240
	v_mul_f32_e32 v5, v161, v186
	s_waitcnt vmcnt(3)
	v_fma_f32 v3, v158, v213, -v3
	v_add_f32_e32 v2, v2, v4
	v_mul_f32_e32 v243, v160, v186
	v_fmac_f32_e32 v242, v159, v213
	v_add_f32_e32 v1, v1, v241
	s_waitcnt vmcnt(2)
	v_fma_f32 v4, v160, v214, -v5
	v_add_f32_e32 v2, v2, v3
	v_fmac_f32_e32 v243, v161, v214
	v_add_f32_e32 v1, v1, v242
	v_add_f32_e32 v2, v2, v4
	;; [unrolled: 1-line block ×3, first 2 shown]
	s_waitcnt vmcnt(1)
	v_sub_f32_e32 v2, v215, v2
	s_waitcnt vmcnt(0)
	v_sub_f32_e32 v1, v216, v1
	buffer_store_dword v2, off, s[0:3], 0 offset:168
	buffer_store_dword v1, off, s[0:3], 0 offset:172
	v_cmpx_lt_u32_e32 20, v0
	s_cbranch_execz .LBB49_273
; %bb.272:
	s_clause 0x1
	buffer_load_dword v1, off, s[0:3], 0 offset:160
	buffer_load_dword v2, off, s[0:3], 0 offset:164
	v_mov_b32_e32 v3, 0
	buffer_store_dword v3, off, s[0:3], 0 offset:160
	buffer_store_dword v3, off, s[0:3], 0 offset:164
	s_waitcnt vmcnt(0)
	ds_write_b64 v109, v[1:2]
.LBB49_273:
	s_or_b32 exec_lo, exec_lo, s4
	s_waitcnt lgkmcnt(0)
	s_waitcnt_vscnt null, 0x0
	s_barrier
	buffer_gl0_inv
	s_clause 0x3b
	buffer_load_dword v8, off, s[0:3], 0 offset:172
	buffer_load_dword v162, off, s[0:3], 0 offset:180
	;; [unrolled: 1-line block ×60, first 2 shown]
	v_mov_b32_e32 v1, 0
	ds_read2_b64 v[2:5], v1 offset0:71 offset1:72
	ds_read2_b64 v[110:113], v1 offset0:73 offset1:74
	;; [unrolled: 1-line block ×14, first 2 shown]
	ds_read_b64 v[6:7], v1 offset:792
	s_mov_b32 s4, exec_lo
	s_waitcnt vmcnt(59) lgkmcnt(14)
	v_mul_f32_e32 v221, v2, v8
	v_mul_f32_e32 v8, v3, v8
	s_waitcnt vmcnt(58)
	v_mul_f32_e32 v222, v4, v162
	v_mul_f32_e32 v162, v5, v162
	s_waitcnt vmcnt(57) lgkmcnt(13)
	v_mul_f32_e32 v223, v110, v163
	s_waitcnt vmcnt(56)
	v_mul_f32_e32 v224, v112, v164
	s_waitcnt vmcnt(55) lgkmcnt(12)
	v_mul_f32_e32 v225, v114, v165
	s_waitcnt vmcnt(54)
	;; [unrolled: 4-line block ×13, first 2 shown]
	v_fma_f32 v2, v2, v190, -v8
	v_fmac_f32_e32 v221, v3, v190
	v_mul_f32_e32 v3, v111, v163
	s_waitcnt vmcnt(29)
	v_fma_f32 v4, v4, v191, -v162
	v_fmac_f32_e32 v222, v5, v191
	v_add_f32_e32 v2, 0, v2
	v_add_f32_e32 v5, 0, v221
	v_mul_f32_e32 v8, v113, v164
	s_waitcnt vmcnt(28)
	v_fma_f32 v3, v110, v192, -v3
	v_fmac_f32_e32 v223, v111, v192
	v_add_f32_e32 v2, v2, v4
	v_add_f32_e32 v4, v5, v222
	;; [unrolled: 6-line block ×25, first 2 shown]
	v_mul_f32_e32 v8, v161, v188
	s_waitcnt vmcnt(4)
	v_fma_f32 v4, v158, v216, -v4
	v_mul_f32_e32 v248, v160, v188
	v_add_f32_e32 v2, v2, v5
	v_fmac_f32_e32 v247, v159, v216
	v_add_f32_e32 v3, v3, v246
	s_waitcnt lgkmcnt(0)
	v_mul_f32_e32 v5, v7, v189
	s_waitcnt vmcnt(3)
	v_fma_f32 v8, v160, v217, -v8
	v_add_f32_e32 v2, v2, v4
	v_mul_f32_e32 v249, v6, v189
	v_fmac_f32_e32 v248, v161, v217
	v_add_f32_e32 v3, v3, v247
	s_waitcnt vmcnt(2)
	v_fma_f32 v4, v6, v218, -v5
	v_add_f32_e32 v2, v2, v8
	v_fmac_f32_e32 v249, v7, v218
	v_add_f32_e32 v3, v3, v248
	v_add_f32_e32 v2, v2, v4
	;; [unrolled: 1-line block ×3, first 2 shown]
	s_waitcnt vmcnt(1)
	v_sub_f32_e32 v2, v219, v2
	s_waitcnt vmcnt(0)
	v_sub_f32_e32 v3, v220, v3
	buffer_store_dword v2, off, s[0:3], 0 offset:160
	buffer_store_dword v3, off, s[0:3], 0 offset:164
	v_cmpx_lt_u32_e32 19, v0
	s_cbranch_execz .LBB49_275
; %bb.274:
	s_clause 0x1
	buffer_load_dword v2, off, s[0:3], 0 offset:152
	buffer_load_dword v3, off, s[0:3], 0 offset:156
	buffer_store_dword v1, off, s[0:3], 0 offset:152
	buffer_store_dword v1, off, s[0:3], 0 offset:156
	s_waitcnt vmcnt(0)
	ds_write_b64 v109, v[2:3]
.LBB49_275:
	s_or_b32 exec_lo, exec_lo, s4
	s_waitcnt lgkmcnt(0)
	s_waitcnt_vscnt null, 0x0
	s_barrier
	buffer_gl0_inv
	s_clause 0x3d
	buffer_load_dword v6, off, s[0:3], 0 offset:164
	buffer_load_dword v7, off, s[0:3], 0 offset:172
	;; [unrolled: 1-line block ×62, first 2 shown]
	ds_read_b128 v[2:5], v1 offset:560
	ds_read_b128 v[110:113], v1 offset:576
	;; [unrolled: 1-line block ×15, first 2 shown]
	s_mov_b32 s4, exec_lo
	s_waitcnt vmcnt(61) lgkmcnt(14)
	v_mul_f32_e32 v1, v2, v6
	v_mul_f32_e32 v6, v3, v6
	s_waitcnt vmcnt(60)
	v_mul_f32_e32 v225, v4, v7
	v_mul_f32_e32 v7, v5, v7
	s_waitcnt vmcnt(59) lgkmcnt(13)
	v_mul_f32_e32 v226, v110, v8
	s_waitcnt vmcnt(58)
	v_mul_f32_e32 v227, v112, v166
	s_waitcnt vmcnt(57) lgkmcnt(12)
	v_mul_f32_e32 v228, v114, v167
	s_waitcnt vmcnt(56)
	;; [unrolled: 4-line block ×13, first 2 shown]
	v_mul_f32_e32 v251, v160, v190
	s_waitcnt vmcnt(31)
	v_fma_f32 v2, v2, v193, -v6
	v_fmac_f32_e32 v1, v3, v193
	v_mul_f32_e32 v3, v111, v8
	s_waitcnt vmcnt(30)
	v_fma_f32 v4, v4, v194, -v7
	v_fmac_f32_e32 v225, v5, v194
	v_add_f32_e32 v2, 0, v2
	v_add_f32_e32 v1, 0, v1
	v_mul_f32_e32 v5, v113, v166
	s_waitcnt vmcnt(29)
	v_fma_f32 v3, v110, v195, -v3
	v_fmac_f32_e32 v226, v111, v195
	v_add_f32_e32 v2, v2, v4
	v_add_f32_e32 v1, v1, v225
	;; [unrolled: 6-line block ×26, first 2 shown]
	s_waitcnt lgkmcnt(0)
	v_mul_f32_e32 v4, v163, v191
	s_waitcnt vmcnt(4)
	v_fma_f32 v5, v160, v220, -v5
	v_mul_f32_e32 v252, v162, v191
	v_add_f32_e32 v2, v2, v3
	v_fmac_f32_e32 v251, v161, v220
	v_add_f32_e32 v1, v1, v250
	v_mul_f32_e32 v3, v165, v192
	s_waitcnt vmcnt(3)
	v_fma_f32 v4, v162, v221, -v4
	v_add_f32_e32 v2, v2, v5
	v_mul_f32_e32 v253, v164, v192
	v_fmac_f32_e32 v252, v163, v221
	v_add_f32_e32 v1, v1, v251
	s_waitcnt vmcnt(2)
	v_fma_f32 v3, v164, v222, -v3
	v_add_f32_e32 v2, v2, v4
	v_fmac_f32_e32 v253, v165, v222
	v_add_f32_e32 v1, v1, v252
	v_add_f32_e32 v2, v2, v3
	;; [unrolled: 1-line block ×3, first 2 shown]
	s_waitcnt vmcnt(1)
	v_sub_f32_e32 v2, v223, v2
	s_waitcnt vmcnt(0)
	v_sub_f32_e32 v1, v224, v1
	buffer_store_dword v2, off, s[0:3], 0 offset:152
	buffer_store_dword v1, off, s[0:3], 0 offset:156
	v_cmpx_lt_u32_e32 18, v0
	s_cbranch_execz .LBB49_277
; %bb.276:
	s_clause 0x1
	buffer_load_dword v1, off, s[0:3], 0 offset:144
	buffer_load_dword v2, off, s[0:3], 0 offset:148
	v_mov_b32_e32 v3, 0
	buffer_store_dword v3, off, s[0:3], 0 offset:144
	buffer_store_dword v3, off, s[0:3], 0 offset:148
	s_waitcnt vmcnt(0)
	ds_write_b64 v109, v[1:2]
.LBB49_277:
	s_or_b32 exec_lo, exec_lo, s4
	s_waitcnt lgkmcnt(0)
	s_waitcnt_vscnt null, 0x0
	s_barrier
	buffer_gl0_inv
	s_clause 0x23
	buffer_load_dword v3, off, s[0:3], 0 offset:156
	buffer_load_dword v4, off, s[0:3], 0 offset:164
	;; [unrolled: 1-line block ×36, first 2 shown]
	v_mov_b32_e32 v1, 0
	ds_read2_b64 v[134:137], v1 offset0:69 offset1:70
	ds_read2_b64 v[138:141], v1 offset0:71 offset1:72
	ds_read2_b64 v[142:145], v1 offset0:73 offset1:74
	s_clause 0x3
	buffer_load_dword v155, off, s[0:3], 0 offset:284
	buffer_load_dword v156, off, s[0:3], 0 offset:292
	;; [unrolled: 1-line block ×4, first 2 shown]
	ds_read2_b64 v[146:149], v1 offset0:75 offset1:76
	s_mov_b32 s4, exec_lo
	s_waitcnt vmcnt(39) lgkmcnt(3)
	v_mul_f32_e32 v159, v134, v3
	v_mul_f32_e32 v3, v135, v3
	s_waitcnt vmcnt(38)
	v_mul_f32_e32 v160, v136, v4
	v_mul_f32_e32 v4, v137, v4
	s_waitcnt vmcnt(35)
	v_fmac_f32_e32 v159, v135, v110
	v_fma_f32 v161, v134, v110, -v3
	s_waitcnt vmcnt(34) lgkmcnt(2)
	v_mul_f32_e32 v162, v138, v8
	v_mul_f32_e32 v3, v139, v8
	v_fmac_f32_e32 v160, v137, v5
	v_fma_f32 v8, v136, v5, -v4
	ds_read2_b64 v[134:137], v1 offset0:77 offset1:78
	s_waitcnt vmcnt(33)
	v_mul_f32_e32 v4, v141, v6
	v_mul_f32_e32 v163, v140, v6
	v_fmac_f32_e32 v162, v139, v2
	v_fma_f32 v6, v138, v2, -v3
	s_waitcnt vmcnt(32) lgkmcnt(2)
	v_mul_f32_e32 v138, v142, v7
	s_waitcnt vmcnt(28)
	v_fma_f32 v139, v140, v117, -v4
	ds_read2_b64 v[2:5], v1 offset0:79 offset1:80
	v_mul_f32_e32 v7, v143, v7
	s_waitcnt vmcnt(27)
	v_mul_f32_e32 v110, v145, v116
	v_mul_f32_e32 v140, v144, v116
	v_fmac_f32_e32 v163, v141, v117
	s_waitcnt vmcnt(26) lgkmcnt(2)
	v_mul_f32_e32 v141, v146, v113
	v_fma_f32 v7, v142, v115, -v7
	v_fma_f32 v142, v144, v112, -v110
	v_mul_f32_e32 v110, v147, v113
	v_fmac_f32_e32 v140, v145, v112
	v_fmac_f32_e32 v138, v143, v115
	s_waitcnt vmcnt(25)
	v_mul_f32_e32 v143, v148, v114
	v_mul_f32_e32 v112, v149, v114
	v_fma_f32 v145, v146, v111, -v110
	s_waitcnt vmcnt(19) lgkmcnt(1)
	v_mul_f32_e32 v146, v136, v124
	v_mul_f32_e32 v124, v137, v124
	;; [unrolled: 1-line block ×4, first 2 shown]
	v_fmac_f32_e32 v141, v147, v111
	v_fmac_f32_e32 v146, v137, v120
	v_fma_f32 v120, v136, v120, -v124
	s_waitcnt vmcnt(17) lgkmcnt(0)
	v_mul_f32_e32 v124, v4, v121
	v_mul_f32_e32 v121, v5, v121
	v_fmac_f32_e32 v143, v149, v125
	v_fma_f32 v125, v148, v125, -v112
	ds_read2_b64 v[110:113], v1 offset0:81 offset1:82
	ds_read2_b64 v[114:117], v1 offset0:83 offset1:84
	v_fmac_f32_e32 v144, v135, v122
	v_fma_f32 v118, v134, v122, -v118
	s_waitcnt vmcnt(13)
	v_fmac_f32_e32 v124, v5, v133
	v_fma_f32 v121, v4, v133, -v121
	s_clause 0x6
	buffer_load_dword v133, off, s[0:3], 0 offset:304
	buffer_load_dword v134, off, s[0:3], 0 offset:316
	buffer_load_dword v135, off, s[0:3], 0 offset:324
	buffer_load_dword v136, off, s[0:3], 0 offset:332
	buffer_load_dword v137, off, s[0:3], 0 offset:328
	buffer_load_dword v147, off, s[0:3], 0 offset:320
	buffer_load_dword v148, off, s[0:3], 0 offset:312
	v_mul_f32_e32 v122, v2, v123
	v_mul_f32_e32 v123, v3, v123
	v_fmac_f32_e32 v122, v3, v119
	v_fma_f32 v119, v2, v119, -v123
	s_waitcnt vmcnt(19) lgkmcnt(1)
	v_mul_f32_e32 v123, v110, v132
	v_mul_f32_e32 v2, v111, v132
	s_waitcnt vmcnt(16) lgkmcnt(0)
	v_mul_f32_e32 v166, v116, v130
	v_mul_f32_e32 v132, v112, v131
	;; [unrolled: 1-line block ×3, first 2 shown]
	v_fmac_f32_e32 v123, v111, v128
	v_fma_f32 v128, v110, v128, -v2
	v_mul_f32_e32 v2, v117, v130
	s_waitcnt vmcnt(11)
	v_fmac_f32_e32 v166, v117, v154
	v_mul_f32_e32 v131, v114, v129
	v_mul_f32_e32 v4, v115, v129
	s_clause 0x3
	buffer_load_dword v129, off, s[0:3], 0 offset:340
	buffer_load_dword v149, off, s[0:3], 0 offset:348
	;; [unrolled: 1-line block ×4, first 2 shown]
	v_fma_f32 v154, v116, v154, -v2
	v_add_f32_e32 v2, 0, v159
	s_clause 0x3
	buffer_load_dword v130, off, s[0:3], 0 offset:372
	buffer_load_dword v167, off, s[0:3], 0 offset:380
	;; [unrolled: 1-line block ×4, first 2 shown]
	v_fmac_f32_e32 v132, v113, v127
	v_fma_f32 v127, v112, v127, -v3
	v_add_f32_e32 v2, v2, v160
	s_clause 0x3
	buffer_load_dword v159, off, s[0:3], 0 offset:360
	buffer_load_dword v160, off, s[0:3], 0 offset:352
	;; [unrolled: 1-line block ×4, first 2 shown]
	v_add_f32_e32 v3, 0, v161
	v_fmac_f32_e32 v131, v115, v126
	v_fma_f32 v126, v114, v126, -v4
	v_add_f32_e32 v2, v2, v162
	v_add_f32_e32 v3, v3, v8
	;; [unrolled: 1-line block ×3, first 2 shown]
	s_clause 0x3
	buffer_load_dword v8, off, s[0:3], 0 offset:392
	buffer_load_dword v161, off, s[0:3], 0 offset:384
	;; [unrolled: 1-line block ×4, first 2 shown]
	v_add_f32_e32 v3, v3, v6
	ds_read2_b64 v[110:113], v1 offset0:87 offset1:88
	v_add_f32_e32 v2, v2, v138
	v_add_f32_e32 v3, v3, v139
	buffer_load_dword v139, off, s[0:3], 0 offset:144
	v_add_f32_e32 v6, v2, v140
	v_add_f32_e32 v3, v3, v7
	v_add_f32_e32 v6, v6, v141
	v_add_f32_e32 v7, v3, v142
	ds_read2_b64 v[2:5], v1 offset0:85 offset1:86
	v_add_f32_e32 v6, v6, v143
	v_add_f32_e32 v7, v7, v145
	s_waitcnt vmcnt(25) lgkmcnt(1)
	v_mul_f32_e32 v143, v112, v157
	v_add_f32_e32 v6, v6, v144
	v_add_f32_e32 v7, v7, v125
	;; [unrolled: 1-line block ×5, first 2 shown]
	v_mul_f32_e32 v122, v111, v151
	v_add_f32_e32 v7, v7, v120
	s_waitcnt lgkmcnt(0)
	v_mul_f32_e32 v138, v2, v155
	v_mul_f32_e32 v114, v3, v155
	v_add_f32_e32 v6, v6, v124
	v_mul_f32_e32 v140, v4, v156
	v_mul_f32_e32 v115, v5, v156
	v_fmac_f32_e32 v138, v3, v153
	v_add_f32_e32 v3, v7, v119
	v_add_f32_e32 v6, v6, v123
	v_fma_f32 v141, v2, v153, -v114
	v_fmac_f32_e32 v140, v5, v152
	v_fma_f32 v142, v4, v152, -v115
	v_add_f32_e32 v7, v3, v121
	v_add_f32_e32 v6, v6, v132
	ds_read2_b64 v[2:5], v1 offset0:89 offset1:90
	ds_read2_b64 v[114:117], v1 offset0:91 offset1:92
	v_fma_f32 v144, v110, v150, -v122
	ds_read2_b64 v[118:121], v1 offset0:93 offset1:94
	ds_read2_b64 v[122:125], v1 offset0:95 offset1:96
	v_add_f32_e32 v7, v7, v128
	v_mul_f32_e32 v128, v110, v151
	v_add_f32_e32 v7, v7, v127
	v_mul_f32_e32 v127, v113, v157
	v_fmac_f32_e32 v128, v111, v150
	v_add_f32_e32 v7, v7, v126
	s_waitcnt vmcnt(23)
	v_fma_f32 v126, v112, v133, -v127
	v_add_f32_e32 v127, v6, v131
	v_add_f32_e32 v131, v7, v154
	s_waitcnt vmcnt(22) lgkmcnt(3)
	v_mul_f32_e32 v132, v2, v134
	v_mul_f32_e32 v134, v3, v134
	v_fmac_f32_e32 v143, v113, v133
	v_add_f32_e32 v127, v127, v166
	v_add_f32_e32 v131, v131, v141
	s_waitcnt vmcnt(21)
	v_mul_f32_e32 v133, v4, v135
	v_mul_f32_e32 v135, v5, v135
	s_waitcnt vmcnt(17)
	v_fma_f32 v2, v2, v148, -v134
	v_add_f32_e32 v127, v127, v138
	v_add_f32_e32 v131, v131, v142
	v_fmac_f32_e32 v132, v3, v148
	s_waitcnt lgkmcnt(2)
	v_mul_f32_e32 v134, v115, v136
	v_fma_f32 v4, v4, v147, -v135
	v_add_f32_e32 v127, v127, v140
	v_add_f32_e32 v131, v131, v144
	v_mul_f32_e32 v138, v114, v136
	v_fmac_f32_e32 v133, v5, v147
	v_fma_f32 v114, v114, v137, -v134
	v_add_f32_e32 v127, v127, v128
	v_add_f32_e32 v126, v131, v126
	v_fmac_f32_e32 v138, v115, v137
	ds_read2_b64 v[110:113], v1 offset0:97 offset1:98
	ds_read_b64 v[6:7], v1 offset:792
	v_add_f32_e32 v127, v127, v143
	v_add_f32_e32 v2, v126, v2
	s_waitcnt vmcnt(16)
	v_mul_f32_e32 v126, v117, v129
	v_mul_f32_e32 v141, v116, v129
	s_waitcnt vmcnt(15) lgkmcnt(3)
	v_mul_f32_e32 v142, v118, v149
	v_add_f32_e32 v5, v127, v132
	v_add_f32_e32 v2, v2, v4
	s_waitcnt vmcnt(14)
	v_mul_f32_e32 v140, v120, v164
	s_waitcnt vmcnt(13) lgkmcnt(2)
	v_mul_f32_e32 v144, v122, v165
	s_waitcnt vmcnt(12)
	v_mul_f32_e32 v3, v124, v130
	v_add_f32_e32 v4, v5, v133
	v_mul_f32_e32 v5, v119, v149
	v_add_f32_e32 v2, v2, v114
	s_waitcnt vmcnt(5)
	v_fma_f32 v115, v116, v171, -v126
	v_fmac_f32_e32 v141, v117, v171
	v_add_f32_e32 v4, v4, v138
	v_mul_f32_e32 v114, v121, v164
	v_fma_f32 v5, v118, v170, -v5
	v_add_f32_e32 v2, v2, v115
	v_fmac_f32_e32 v142, v119, v170
	v_add_f32_e32 v4, v4, v141
	v_mul_f32_e32 v115, v123, v165
	v_fma_f32 v114, v120, v160, -v114
	v_add_f32_e32 v2, v2, v5
	;; [unrolled: 5-line block ×3, first 2 shown]
	v_fmac_f32_e32 v144, v123, v159
	v_add_f32_e32 v4, v4, v140
	s_waitcnt lgkmcnt(1)
	v_mul_f32_e32 v114, v111, v167
	s_waitcnt vmcnt(1)
	v_fma_f32 v5, v124, v163, -v5
	v_add_f32_e32 v2, v2, v115
	v_mul_f32_e32 v128, v110, v167
	v_fmac_f32_e32 v3, v125, v163
	v_add_f32_e32 v4, v4, v144
	v_mul_f32_e32 v115, v113, v168
	v_fma_f32 v110, v110, v162, -v114
	v_add_f32_e32 v2, v2, v5
	v_mul_f32_e32 v131, v112, v168
	v_fmac_f32_e32 v128, v111, v162
	v_add_f32_e32 v3, v4, v3
	s_waitcnt lgkmcnt(0)
	v_mul_f32_e32 v4, v7, v169
	v_fma_f32 v5, v112, v161, -v115
	v_add_f32_e32 v2, v2, v110
	v_mul_f32_e32 v136, v6, v169
	v_fmac_f32_e32 v131, v113, v161
	v_add_f32_e32 v3, v3, v128
	v_fma_f32 v4, v6, v8, -v4
	v_add_f32_e32 v2, v2, v5
	v_fmac_f32_e32 v136, v7, v8
	v_add_f32_e32 v3, v3, v131
	v_add_f32_e32 v2, v2, v4
	;; [unrolled: 1-line block ×3, first 2 shown]
	s_waitcnt vmcnt(0)
	v_sub_f32_e32 v2, v139, v2
	v_sub_f32_e32 v3, v158, v3
	buffer_store_dword v2, off, s[0:3], 0 offset:144
	buffer_store_dword v3, off, s[0:3], 0 offset:148
	v_cmpx_lt_u32_e32 17, v0
	s_cbranch_execz .LBB49_279
; %bb.278:
	s_clause 0x1
	buffer_load_dword v2, off, s[0:3], 0 offset:136
	buffer_load_dword v3, off, s[0:3], 0 offset:140
	buffer_store_dword v1, off, s[0:3], 0 offset:136
	buffer_store_dword v1, off, s[0:3], 0 offset:140
	s_waitcnt vmcnt(0)
	ds_write_b64 v109, v[2:3]
.LBB49_279:
	s_or_b32 exec_lo, exec_lo, s4
	s_waitcnt lgkmcnt(0)
	s_waitcnt_vscnt null, 0x0
	s_barrier
	buffer_gl0_inv
	s_clause 0x23
	buffer_load_dword v3, off, s[0:3], 0 offset:148
	buffer_load_dword v4, off, s[0:3], 0 offset:156
	;; [unrolled: 1-line block ×36, first 2 shown]
	ds_read_b128 v[134:137], v1 offset:544
	ds_read_b128 v[138:141], v1 offset:560
	s_clause 0x1
	buffer_load_dword v155, off, s[0:3], 0 offset:276
	buffer_load_dword v156, off, s[0:3], 0 offset:284
	ds_read_b128 v[142:145], v1 offset:576
	ds_read_b128 v[146:149], v1 offset:592
	buffer_load_dword v157, off, s[0:3], 0 offset:140
	s_mov_b32 s4, exec_lo
	s_waitcnt vmcnt(38) lgkmcnt(3)
	v_mul_f32_e32 v158, v134, v3
	v_mul_f32_e32 v3, v135, v3
	s_waitcnt vmcnt(37)
	v_mul_f32_e32 v159, v136, v4
	v_mul_f32_e32 v4, v137, v4
	s_waitcnt vmcnt(36) lgkmcnt(2)
	v_mul_f32_e32 v160, v138, v5
	s_waitcnt vmcnt(33)
	v_fmac_f32_e32 v158, v135, v8
	v_fma_f32 v8, v134, v8, -v3
	v_mul_f32_e32 v3, v139, v5
	s_waitcnt vmcnt(32)
	v_mul_f32_e32 v5, v141, v7
	v_mul_f32_e32 v161, v140, v7
	v_fmac_f32_e32 v159, v137, v6
	v_fma_f32 v6, v136, v6, -v4
	v_fmac_f32_e32 v160, v139, v2
	v_fma_f32 v7, v138, v2, -v3
	s_waitcnt vmcnt(28)
	v_fma_f32 v138, v140, v117, -v5
	ds_read_b128 v[2:5], v1 offset:608
	ds_read_b128 v[134:137], v1 offset:624
	s_waitcnt vmcnt(27) lgkmcnt(3)
	v_mul_f32_e32 v139, v142, v116
	v_mul_f32_e32 v116, v143, v116
	v_fmac_f32_e32 v161, v141, v117
	s_waitcnt vmcnt(26)
	v_mul_f32_e32 v140, v144, v115
	v_mul_f32_e32 v115, v145, v115
	s_waitcnt vmcnt(25) lgkmcnt(2)
	v_mul_f32_e32 v141, v146, v113
	v_fmac_f32_e32 v139, v143, v112
	v_fma_f32 v142, v142, v112, -v116
	s_waitcnt vmcnt(24)
	v_mul_f32_e32 v143, v148, v114
	v_mul_f32_e32 v112, v147, v113
	;; [unrolled: 1-line block ×3, first 2 shown]
	v_fmac_f32_e32 v140, v145, v111
	v_fma_f32 v144, v144, v111, -v115
	v_fmac_f32_e32 v141, v147, v110
	s_waitcnt vmcnt(20)
	v_fmac_f32_e32 v143, v149, v125
	v_fma_f32 v145, v146, v110, -v112
	v_fma_f32 v125, v148, v125, -v113
	ds_read_b128 v[110:113], v1 offset:640
	ds_read_b128 v[114:117], v1 offset:656
	s_waitcnt vmcnt(19) lgkmcnt(3)
	v_mul_f32_e32 v146, v2, v123
	s_waitcnt vmcnt(18)
	v_mul_f32_e32 v147, v4, v124
	v_mul_f32_e32 v123, v3, v123
	;; [unrolled: 1-line block ×3, first 2 shown]
	buffer_load_dword v148, off, s[0:3], 0 offset:300
	v_fmac_f32_e32 v146, v3, v122
	v_fmac_f32_e32 v147, v5, v121
	v_fma_f32 v122, v2, v122, -v123
	v_fma_f32 v121, v4, v121, -v124
	s_clause 0x3
	buffer_load_dword v149, off, s[0:3], 0 offset:320
	buffer_load_dword v162, off, s[0:3], 0 offset:312
	;; [unrolled: 1-line block ×4, first 2 shown]
	s_waitcnt vmcnt(22) lgkmcnt(2)
	v_mul_f32_e32 v124, v134, v120
	v_mul_f32_e32 v2, v135, v120
	s_waitcnt vmcnt(21)
	v_mul_f32_e32 v3, v137, v119
	v_mul_f32_e32 v120, v136, v119
	v_fmac_f32_e32 v124, v135, v118
	v_fma_f32 v118, v134, v118, -v2
	buffer_load_dword v134, off, s[0:3], 0 offset:308
	s_waitcnt vmcnt(18)
	v_fma_f32 v119, v136, v133, -v3
	s_waitcnt vmcnt(17) lgkmcnt(1)
	v_mul_f32_e32 v136, v110, v131
	v_mul_f32_e32 v2, v111, v131
	v_fmac_f32_e32 v120, v137, v133
	s_clause 0x1
	buffer_load_dword v133, off, s[0:3], 0 offset:316
	buffer_load_dword v135, off, s[0:3], 0 offset:324
	s_waitcnt vmcnt(18)
	v_mul_f32_e32 v137, v112, v132
	v_mul_f32_e32 v3, v113, v132
	v_fmac_f32_e32 v136, v111, v129
	v_fma_f32 v129, v110, v129, -v2
	s_waitcnt vmcnt(16) lgkmcnt(0)
	v_mul_f32_e32 v2, v117, v128
	v_fmac_f32_e32 v137, v113, v127
	v_fma_f32 v127, v112, v127, -v3
	v_mul_f32_e32 v166, v116, v128
	v_add_f32_e32 v3, 0, v8
	s_waitcnt vmcnt(11)
	v_fma_f32 v128, v116, v154, -v2
	v_add_f32_e32 v2, 0, v158
	v_mul_f32_e32 v131, v114, v130
	v_mul_f32_e32 v4, v115, v130
	s_clause 0x5
	buffer_load_dword v130, off, s[0:3], 0 offset:332
	buffer_load_dword v132, off, s[0:3], 0 offset:340
	buffer_load_dword v164, off, s[0:3], 0 offset:348
	buffer_load_dword v165, off, s[0:3], 0 offset:356
	buffer_load_dword v167, off, s[0:3], 0 offset:364
	buffer_load_dword v168, off, s[0:3], 0 offset:372
	v_fmac_f32_e32 v166, v117, v154
	s_clause 0x2
	buffer_load_dword v154, off, s[0:3], 0 offset:380
	buffer_load_dword v169, off, s[0:3], 0 offset:388
	;; [unrolled: 1-line block ×3, first 2 shown]
	v_add_f32_e32 v2, v2, v159
	v_add_f32_e32 v3, v3, v6
	s_clause 0x3
	buffer_load_dword v6, off, s[0:3], 0 offset:352
	buffer_load_dword v158, off, s[0:3], 0 offset:344
	;; [unrolled: 1-line block ×4, first 2 shown]
	v_fmac_f32_e32 v131, v115, v126
	v_fma_f32 v126, v114, v126, -v4
	v_add_f32_e32 v2, v2, v160
	v_add_f32_e32 v3, v3, v7
	;; [unrolled: 1-line block ×4, first 2 shown]
	s_clause 0x3
	buffer_load_dword v7, off, s[0:3], 0 offset:384
	buffer_load_dword v138, off, s[0:3], 0 offset:376
	;; [unrolled: 1-line block ×4, first 2 shown]
	v_add_f32_e32 v2, v2, v139
	buffer_load_dword v139, off, s[0:3], 0 offset:392
	v_add_f32_e32 v3, v3, v142
	buffer_load_dword v142, off, s[0:3], 0 offset:136
	v_add_f32_e32 v2, v2, v140
	v_add_f32_e32 v3, v3, v144
	;; [unrolled: 1-line block ×4, first 2 shown]
	ds_read_b128 v[2:5], v1 offset:672
	v_add_f32_e32 v110, v110, v143
	v_add_f32_e32 v111, v111, v125
	;; [unrolled: 1-line block ×4, first 2 shown]
	ds_read_b128 v[110:113], v1 offset:688
	v_add_f32_e32 v114, v114, v147
	v_add_f32_e32 v115, v115, v121
	;; [unrolled: 1-line block ×4, first 2 shown]
	s_waitcnt vmcnt(29) lgkmcnt(1)
	v_mul_f32_e32 v140, v2, v155
	v_mul_f32_e32 v116, v3, v155
	s_waitcnt vmcnt(28)
	v_mul_f32_e32 v141, v4, v156
	v_mul_f32_e32 v117, v5, v156
	v_add_f32_e32 v120, v114, v120
	v_fmac_f32_e32 v140, v3, v153
	v_fma_f32 v143, v2, v153, -v116
	v_fmac_f32_e32 v141, v5, v152
	v_fma_f32 v144, v4, v152, -v117
	ds_read_b128 v[2:5], v1 offset:704
	ds_read_b128 v[114:117], v1 offset:720
	v_add_f32_e32 v118, v118, v119
	s_waitcnt lgkmcnt(2)
	v_mul_f32_e32 v145, v110, v151
	v_add_f32_e32 v119, v120, v136
	v_mul_f32_e32 v120, v111, v151
	v_add_f32_e32 v118, v118, v129
	v_fmac_f32_e32 v145, v111, v150
	v_add_f32_e32 v111, v119, v137
	v_fma_f32 v136, v110, v150, -v120
	v_add_f32_e32 v122, v118, v127
	v_add_f32_e32 v126, v122, v126
	s_waitcnt vmcnt(26)
	v_mul_f32_e32 v146, v112, v148
	v_mul_f32_e32 v121, v113, v148
	s_waitcnt vmcnt(22)
	v_fmac_f32_e32 v146, v113, v123
	v_fma_f32 v137, v112, v123, -v121
	v_add_f32_e32 v123, v111, v131
	ds_read_b128 v[110:113], v1 offset:736
	ds_read_b128 v[118:121], v1 offset:752
	v_add_f32_e32 v129, v123, v166
	s_waitcnt vmcnt(21) lgkmcnt(3)
	v_mul_f32_e32 v131, v2, v134
	v_mul_f32_e32 v127, v3, v134
	v_add_f32_e32 v134, v126, v128
	ds_read_b128 v[122:125], v1 offset:768
	v_fmac_f32_e32 v131, v3, v163
	v_fma_f32 v2, v2, v163, -v127
	v_add_f32_e32 v3, v129, v140
	ds_read_b128 v[126:129], v1 offset:784
	v_add_f32_e32 v1, v134, v143
	s_waitcnt vmcnt(20)
	v_mul_f32_e32 v134, v4, v133
	v_mul_f32_e32 v133, v5, v133
	v_add_f32_e32 v3, v3, v141
	s_waitcnt vmcnt(19) lgkmcnt(4)
	v_mul_f32_e32 v140, v114, v135
	v_add_f32_e32 v1, v1, v144
	v_mul_f32_e32 v135, v115, v135
	v_fma_f32 v4, v4, v162, -v133
	v_add_f32_e32 v3, v3, v145
	v_fmac_f32_e32 v134, v5, v162
	v_add_f32_e32 v1, v1, v136
	s_waitcnt vmcnt(18)
	v_mul_f32_e32 v141, v116, v130
	v_mul_f32_e32 v130, v117, v130
	v_add_f32_e32 v3, v3, v146
	v_fma_f32 v114, v114, v149, -v135
	v_add_f32_e32 v1, v1, v137
	v_fmac_f32_e32 v140, v115, v149
	s_waitcnt vmcnt(6)
	v_fma_f32 v115, v116, v170, -v130
	s_waitcnt lgkmcnt(3)
	v_mul_f32_e32 v5, v110, v132
	v_fmac_f32_e32 v141, v117, v170
	v_add_f32_e32 v1, v1, v2
	v_add_f32_e32 v2, v3, v131
	v_mul_f32_e32 v133, v112, v164
	v_fmac_f32_e32 v5, v111, v159
	s_waitcnt lgkmcnt(2)
	v_mul_f32_e32 v136, v118, v165
	v_add_f32_e32 v1, v1, v4
	v_add_f32_e32 v2, v2, v134
	v_mul_f32_e32 v4, v111, v132
	v_fmac_f32_e32 v133, v113, v158
	v_mul_f32_e32 v143, v120, v167
	v_add_f32_e32 v1, v1, v114
	v_add_f32_e32 v2, v2, v140
	v_mul_f32_e32 v114, v113, v164
	v_fma_f32 v4, v110, v159, -v4
	v_mul_f32_e32 v110, v119, v165
	v_add_f32_e32 v1, v1, v115
	v_add_f32_e32 v2, v2, v141
	v_fma_f32 v111, v112, v158, -v114
	v_fmac_f32_e32 v136, v119, v6
	s_waitcnt lgkmcnt(1)
	v_mul_f32_e32 v144, v122, v168
	v_add_f32_e32 v1, v1, v4
	v_add_f32_e32 v2, v2, v5
	v_mul_f32_e32 v4, v121, v167
	v_fma_f32 v5, v118, v6, -v110
	v_mul_f32_e32 v6, v123, v168
	v_add_f32_e32 v1, v1, v111
	v_add_f32_e32 v2, v2, v133
	s_waitcnt vmcnt(2)
	v_fma_f32 v4, v120, v161, -v4
	v_fmac_f32_e32 v143, v121, v161
	v_fma_f32 v6, v122, v160, -v6
	v_add_f32_e32 v1, v1, v5
	v_add_f32_e32 v2, v2, v136
	v_mul_f32_e32 v5, v125, v154
	v_mul_f32_e32 v137, v124, v154
	v_fmac_f32_e32 v144, v123, v160
	v_add_f32_e32 v1, v1, v4
	v_add_f32_e32 v2, v2, v143
	s_waitcnt lgkmcnt(0)
	v_mul_f32_e32 v4, v127, v169
	v_fma_f32 v5, v124, v138, -v5
	v_mul_f32_e32 v145, v126, v169
	v_add_f32_e32 v1, v1, v6
	v_fmac_f32_e32 v137, v125, v138
	v_add_f32_e32 v2, v2, v144
	v_mul_f32_e32 v6, v129, v8
	v_fma_f32 v4, v126, v7, -v4
	v_add_f32_e32 v1, v1, v5
	v_mul_f32_e32 v3, v128, v8
	v_fmac_f32_e32 v145, v127, v7
	v_add_f32_e32 v2, v2, v137
	s_waitcnt vmcnt(1)
	v_fma_f32 v5, v128, v139, -v6
	v_add_f32_e32 v1, v1, v4
	v_fmac_f32_e32 v3, v129, v139
	v_add_f32_e32 v2, v2, v145
	v_add_f32_e32 v1, v1, v5
	;; [unrolled: 1-line block ×3, first 2 shown]
	s_waitcnt vmcnt(0)
	v_sub_f32_e32 v1, v142, v1
	v_sub_f32_e32 v2, v157, v2
	buffer_store_dword v1, off, s[0:3], 0 offset:136
	buffer_store_dword v2, off, s[0:3], 0 offset:140
	v_cmpx_lt_u32_e32 16, v0
	s_cbranch_execz .LBB49_281
; %bb.280:
	s_clause 0x1
	buffer_load_dword v1, off, s[0:3], 0 offset:128
	buffer_load_dword v2, off, s[0:3], 0 offset:132
	v_mov_b32_e32 v3, 0
	buffer_store_dword v3, off, s[0:3], 0 offset:128
	buffer_store_dword v3, off, s[0:3], 0 offset:132
	s_waitcnt vmcnt(0)
	ds_write_b64 v109, v[1:2]
.LBB49_281:
	s_or_b32 exec_lo, exec_lo, s4
	s_waitcnt lgkmcnt(0)
	s_waitcnt_vscnt null, 0x0
	s_barrier
	buffer_gl0_inv
	s_clause 0x23
	buffer_load_dword v111, off, s[0:3], 0 offset:140
	buffer_load_dword v113, off, s[0:3], 0 offset:148
	;; [unrolled: 1-line block ×36, first 2 shown]
	v_mov_b32_e32 v110, 0
	ds_read2_b64 v[5:8], v110 offset0:67 offset1:68
	ds_read2_b64 v[1:4], v110 offset0:69 offset1:70
	buffer_load_dword v155, off, s[0:3], 0 offset:132
	ds_read2_b64 v[147:150], v110 offset0:71 offset1:72
	ds_read2_b64 v[151:154], v110 offset0:73 offset1:74
	s_mov_b32 s4, exec_lo
	s_waitcnt vmcnt(36) lgkmcnt(3)
	v_mul_f32_e32 v156, v5, v111
	s_waitcnt vmcnt(35)
	v_mul_f32_e32 v157, v7, v113
	v_mul_f32_e32 v111, v6, v111
	;; [unrolled: 1-line block ×3, first 2 shown]
	s_waitcnt vmcnt(34) lgkmcnt(2)
	v_mul_f32_e32 v158, v1, v114
	v_mul_f32_e32 v114, v2, v114
	s_waitcnt vmcnt(30)
	v_mul_f32_e32 v159, v3, v115
	v_mul_f32_e32 v115, v4, v115
	v_fmac_f32_e32 v156, v6, v117
	v_fmac_f32_e32 v157, v8, v116
	v_fma_f32 v117, v5, v117, -v111
	v_fma_f32 v116, v7, v116, -v113
	ds_read2_b64 v[5:8], v110 offset0:75 offset1:76
	v_fmac_f32_e32 v158, v2, v112
	v_fma_f32 v160, v1, v112, -v114
	ds_read2_b64 v[111:114], v110 offset0:77 offset1:78
	s_waitcnt vmcnt(26)
	v_fmac_f32_e32 v159, v4, v126
	v_fma_f32 v115, v3, v126, -v115
	s_waitcnt vmcnt(25) lgkmcnt(3)
	v_mul_f32_e32 v126, v147, v124
	s_waitcnt vmcnt(24)
	v_mul_f32_e32 v161, v149, v125
	v_mul_f32_e32 v1, v148, v124
	v_mul_f32_e32 v2, v150, v125
	s_clause 0x1
	buffer_load_dword v124, off, s[0:3], 0 offset:276
	buffer_load_dword v125, off, s[0:3], 0 offset:284
	v_fmac_f32_e32 v126, v148, v121
	v_fmac_f32_e32 v161, v150, v119
	v_fma_f32 v121, v147, v121, -v1
	v_fma_f32 v119, v149, v119, -v2
	ds_read2_b64 v[1:4], v110 offset0:79 offset1:80
	s_waitcnt vmcnt(25) lgkmcnt(3)
	v_mul_f32_e32 v147, v151, v122
	v_mul_f32_e32 v122, v152, v122
	s_waitcnt vmcnt(24)
	v_mul_f32_e32 v148, v153, v120
	v_mul_f32_e32 v120, v154, v120
	s_waitcnt vmcnt(23) lgkmcnt(2)
	v_mul_f32_e32 v149, v5, v123
	v_fmac_f32_e32 v147, v152, v118
	v_fma_f32 v118, v151, v118, -v122
	s_waitcnt vmcnt(22)
	v_mul_f32_e32 v122, v7, v127
	v_mul_f32_e32 v123, v6, v123
	;; [unrolled: 1-line block ×3, first 2 shown]
	s_waitcnt vmcnt(18)
	v_fma_f32 v120, v153, v134, -v120
	v_fmac_f32_e32 v149, v6, v132
	v_fmac_f32_e32 v122, v8, v131
	v_fma_f32 v123, v5, v132, -v123
	v_fma_f32 v127, v7, v131, -v127
	s_clause 0x5
	buffer_load_dword v131, off, s[0:3], 0 offset:292
	buffer_load_dword v132, off, s[0:3], 0 offset:300
	;; [unrolled: 1-line block ×6, first 2 shown]
	v_fmac_f32_e32 v148, v154, v134
	s_waitcnt vmcnt(23) lgkmcnt(1)
	v_mul_f32_e32 v134, v111, v133
	v_mul_f32_e32 v133, v112, v133
	s_waitcnt vmcnt(22)
	v_mul_f32_e32 v154, v113, v129
	v_mul_f32_e32 v129, v114, v129
	ds_read2_b64 v[5:8], v110 offset0:81 offset1:82
	v_fmac_f32_e32 v134, v112, v128
	v_fma_f32 v111, v111, v128, -v133
	s_waitcnt vmcnt(18)
	v_fmac_f32_e32 v154, v114, v145
	v_fma_f32 v112, v113, v145, -v129
	s_waitcnt vmcnt(17) lgkmcnt(1)
	v_mul_f32_e32 v113, v1, v143
	v_mul_f32_e32 v114, v2, v143
	s_clause 0x1
	buffer_load_dword v133, off, s[0:3], 0 offset:308
	buffer_load_dword v143, off, s[0:3], 0 offset:316
	v_add_f32_e32 v117, 0, v117
	s_waitcnt vmcnt(18)
	v_mul_f32_e32 v128, v3, v144
	v_mul_f32_e32 v129, v4, v144
	v_fma_f32 v114, v1, v140, -v114
	v_add_f32_e32 v1, 0, v156
	v_add_f32_e32 v116, v117, v116
	v_fmac_f32_e32 v113, v2, v140
	v_fmac_f32_e32 v128, v4, v139
	v_fma_f32 v129, v3, v139, -v129
	v_add_f32_e32 v156, v1, v157
	s_clause 0x3
	buffer_load_dword v139, off, s[0:3], 0 offset:324
	buffer_load_dword v140, off, s[0:3], 0 offset:332
	;; [unrolled: 1-line block ×4, first 2 shown]
	ds_read2_b64 v[1:4], v110 offset0:83 offset1:84
	s_waitcnt vmcnt(21) lgkmcnt(1)
	v_mul_f32_e32 v157, v5, v138
	v_mul_f32_e32 v117, v6, v138
	v_add_f32_e32 v138, v156, v158
	s_waitcnt vmcnt(20)
	v_mul_f32_e32 v156, v7, v137
	v_mul_f32_e32 v137, v8, v137
	v_fmac_f32_e32 v157, v6, v135
	v_fma_f32 v135, v5, v135, -v117
	v_add_f32_e32 v5, v138, v159
	v_add_f32_e32 v116, v116, v160
	s_clause 0x3
	buffer_load_dword v138, off, s[0:3], 0 offset:356
	buffer_load_dword v158, off, s[0:3], 0 offset:364
	;; [unrolled: 1-line block ×4, first 2 shown]
	s_waitcnt vmcnt(20)
	v_fmac_f32_e32 v156, v8, v146
	v_fma_f32 v137, v7, v146, -v137
	v_add_f32_e32 v5, v5, v126
	s_clause 0x5
	buffer_load_dword v146, off, s[0:3], 0 offset:388
	buffer_load_dword v126, off, s[0:3], 0 offset:344
	buffer_load_dword v162, off, s[0:3], 0 offset:336
	buffer_load_dword v163, off, s[0:3], 0 offset:328
	buffer_load_dword v164, off, s[0:3], 0 offset:320
	buffer_load_dword v165, off, s[0:3], 0 offset:396
	v_add_f32_e32 v6, v116, v115
	v_add_f32_e32 v5, v5, v161
	s_waitcnt vmcnt(25) lgkmcnt(0)
	v_mul_f32_e32 v117, v2, v142
	v_add_f32_e32 v6, v6, v121
	v_add_f32_e32 v116, v5, v147
	v_mul_f32_e32 v147, v1, v142
	v_add_f32_e32 v115, v6, v119
	ds_read2_b64 v[5:8], v110 offset0:85 offset1:86
	v_add_f32_e32 v116, v116, v148
	v_fmac_f32_e32 v147, v2, v141
	v_fma_f32 v119, v1, v141, -v117
	v_add_f32_e32 v115, v115, v118
	v_add_f32_e32 v2, v116, v149
	s_clause 0x5
	buffer_load_dword v141, off, s[0:3], 0 offset:376
	buffer_load_dword v142, off, s[0:3], 0 offset:368
	;; [unrolled: 1-line block ×6, first 2 shown]
	v_add_f32_e32 v1, v115, v120
	v_add_f32_e32 v2, v2, v122
	;; [unrolled: 1-line block ×5, first 2 shown]
	buffer_load_dword v127, off, s[0:3], 0 offset:128
	v_add_f32_e32 v115, v115, v154
	v_add_f32_e32 v111, v1, v111
	;; [unrolled: 1-line block ×6, first 2 shown]
	ds_read2_b64 v[111:114], v110 offset0:89 offset1:90
	v_add_f32_e32 v121, v121, v157
	v_add_f32_e32 v120, v117, v129
	;; [unrolled: 1-line block ×4, first 2 shown]
	s_waitcnt vmcnt(30)
	v_mul_f32_e32 v134, v3, v124
	v_mul_f32_e32 v2, v4, v124
	s_waitcnt vmcnt(29) lgkmcnt(1)
	v_mul_f32_e32 v116, v6, v125
	v_fmac_f32_e32 v134, v4, v136
	v_fma_f32 v123, v3, v136, -v2
	ds_read2_b64 v[1:4], v110 offset0:87 offset1:88
	v_mul_f32_e32 v136, v5, v125
	v_fmac_f32_e32 v136, v6, v130
	v_fma_f32 v130, v5, v130, -v116
	s_waitcnt vmcnt(28)
	v_mul_f32_e32 v125, v7, v131
	v_mul_f32_e32 v118, v8, v131
	s_waitcnt vmcnt(23)
	v_fmac_f32_e32 v125, v8, v153
	v_fma_f32 v129, v7, v153, -v118
	ds_read2_b64 v[5:8], v110 offset0:91 offset1:92
	ds_read2_b64 v[115:118], v110 offset0:93 offset1:94
	s_waitcnt lgkmcnt(2)
	v_mul_f32_e32 v122, v2, v132
	v_mul_f32_e32 v128, v1, v132
	v_fma_f32 v132, v1, v152, -v122
	v_add_f32_e32 v1, v121, v156
	s_waitcnt vmcnt(22)
	v_mul_f32_e32 v131, v3, v133
	v_mul_f32_e32 v124, v4, v133
	v_add_f32_e32 v133, v120, v119
	v_fmac_f32_e32 v128, v2, v152
	v_add_f32_e32 v137, v1, v147
	v_fmac_f32_e32 v131, v4, v151
	v_fma_f32 v135, v3, v151, -v124
	v_add_f32_e32 v133, v133, v123
	s_waitcnt vmcnt(21)
	v_mul_f32_e32 v147, v111, v143
	v_add_f32_e32 v134, v137, v134
	s_waitcnt vmcnt(20)
	v_mul_f32_e32 v137, v113, v139
	v_mul_f32_e32 v139, v114, v139
	v_add_f32_e32 v130, v133, v130
	v_mul_f32_e32 v133, v112, v143
	v_add_f32_e32 v134, v134, v136
	v_fmac_f32_e32 v147, v112, v150
	ds_read2_b64 v[119:122], v110 offset0:95 offset1:96
	ds_read2_b64 v[1:4], v110 offset0:97 offset1:98
	v_add_f32_e32 v129, v130, v129
	v_add_f32_e32 v125, v134, v125
	v_fma_f32 v111, v111, v150, -v133
	s_waitcnt vmcnt(19) lgkmcnt(3)
	v_mul_f32_e32 v136, v5, v140
	s_waitcnt vmcnt(18)
	v_mul_f32_e32 v130, v7, v144
	v_add_f32_e32 v129, v129, v132
	v_add_f32_e32 v125, v125, v128
	s_waitcnt vmcnt(17) lgkmcnt(2)
	v_mul_f32_e32 v143, v115, v145
	s_waitcnt vmcnt(9)
	v_fmac_f32_e32 v136, v6, v163
	s_waitcnt vmcnt(8)
	v_fma_f32 v113, v113, v164, -v139
	v_add_f32_e32 v129, v129, v135
	v_add_f32_e32 v125, v125, v131
	v_mul_f32_e32 v135, v6, v140
	v_fmac_f32_e32 v137, v114, v164
	v_fmac_f32_e32 v130, v8, v162
	v_add_f32_e32 v111, v129, v111
	v_add_f32_e32 v114, v125, v147
	v_mul_f32_e32 v125, v8, v144
	v_fma_f32 v5, v5, v163, -v135
	v_mul_f32_e32 v8, v118, v138
	v_add_f32_e32 v6, v111, v113
	v_add_f32_e32 v111, v114, v137
	v_mul_f32_e32 v113, v116, v145
	v_fma_f32 v7, v7, v162, -v125
	v_mul_f32_e32 v134, v117, v138
	v_add_f32_e32 v5, v6, v5
	v_add_f32_e32 v6, v111, v136
	v_fma_f32 v111, v115, v126, -v113
	v_fmac_f32_e32 v143, v116, v126
	ds_read_b64 v[123:124], v110 offset:792
	v_add_f32_e32 v5, v5, v7
	v_add_f32_e32 v6, v6, v130
	s_waitcnt lgkmcnt(2)
	v_mul_f32_e32 v7, v120, v158
	s_waitcnt vmcnt(3)
	v_fma_f32 v8, v117, v149, -v8
	v_mul_f32_e32 v132, v119, v158
	v_add_f32_e32 v5, v5, v111
	v_fmac_f32_e32 v134, v118, v149
	v_add_f32_e32 v6, v6, v143
	v_mul_f32_e32 v111, v122, v159
	v_fma_f32 v7, v119, v148, -v7
	v_add_f32_e32 v5, v5, v8
	v_mul_f32_e32 v112, v121, v159
	v_fmac_f32_e32 v132, v120, v148
	v_add_f32_e32 v6, v6, v134
	s_waitcnt lgkmcnt(1)
	v_mul_f32_e32 v128, v1, v160
	v_mul_f32_e32 v8, v2, v160
	v_fma_f32 v111, v121, v142, -v111
	v_add_f32_e32 v5, v5, v7
	v_fmac_f32_e32 v112, v122, v142
	v_add_f32_e32 v6, v6, v132
	v_mul_f32_e32 v7, v4, v146
	v_fmac_f32_e32 v128, v2, v141
	v_fma_f32 v1, v1, v141, -v8
	v_add_f32_e32 v2, v5, v111
	v_mul_f32_e32 v133, v3, v146
	v_add_f32_e32 v5, v6, v112
	s_waitcnt lgkmcnt(0)
	v_mul_f32_e32 v6, v124, v165
	s_waitcnt vmcnt(1)
	v_fma_f32 v3, v3, v166, -v7
	v_add_f32_e32 v1, v2, v1
	v_mul_f32_e32 v131, v123, v165
	v_fmac_f32_e32 v133, v4, v166
	v_add_f32_e32 v2, v5, v128
	v_fma_f32 v4, v123, v161, -v6
	v_add_f32_e32 v1, v1, v3
	v_fmac_f32_e32 v131, v124, v161
	v_add_f32_e32 v2, v2, v133
	v_add_f32_e32 v1, v1, v4
	;; [unrolled: 1-line block ×3, first 2 shown]
	s_waitcnt vmcnt(0)
	v_sub_f32_e32 v1, v127, v1
	v_sub_f32_e32 v2, v155, v2
	buffer_store_dword v1, off, s[0:3], 0 offset:128
	buffer_store_dword v2, off, s[0:3], 0 offset:132
	v_cmpx_lt_u32_e32 15, v0
	s_cbranch_execz .LBB49_283
; %bb.282:
	s_clause 0x1
	buffer_load_dword v1, off, s[0:3], 0 offset:120
	buffer_load_dword v2, off, s[0:3], 0 offset:124
	buffer_store_dword v110, off, s[0:3], 0 offset:120
	buffer_store_dword v110, off, s[0:3], 0 offset:124
	s_waitcnt vmcnt(0)
	ds_write_b64 v109, v[1:2]
.LBB49_283:
	s_or_b32 exec_lo, exec_lo, s4
	s_waitcnt lgkmcnt(0)
	s_waitcnt_vscnt null, 0x0
	s_barrier
	buffer_gl0_inv
	s_clause 0x23
	buffer_load_dword v145, off, s[0:3], 0 offset:132
	buffer_load_dword v146, off, s[0:3], 0 offset:140
	;; [unrolled: 1-line block ×36, first 2 shown]
	ds_read_b128 v[5:8], v110 offset:528
	ds_read_b128 v[1:4], v110 offset:544
	;; [unrolled: 1-line block ×3, first 2 shown]
	s_clause 0x1
	buffer_load_dword v155, off, s[0:3], 0 offset:268
	buffer_load_dword v156, off, s[0:3], 0 offset:276
	ds_read_b128 v[151:154], v110 offset:576
	buffer_load_dword v159, off, s[0:3], 0 offset:124
	s_mov_b32 s4, exec_lo
	s_waitcnt vmcnt(38) lgkmcnt(3)
	v_mul_f32_e32 v157, v5, v145
	s_waitcnt vmcnt(37)
	v_mul_f32_e32 v158, v7, v146
	v_mul_f32_e32 v145, v6, v145
	;; [unrolled: 1-line block ×3, first 2 shown]
	s_waitcnt vmcnt(34)
	v_fmac_f32_e32 v157, v6, v117
	v_fmac_f32_e32 v158, v8, v116
	v_fma_f32 v117, v5, v117, -v145
	v_fma_f32 v116, v7, v116, -v146
	ds_read_b128 v[5:8], v110 offset:592
	s_waitcnt vmcnt(33) lgkmcnt(3)
	v_mul_f32_e32 v145, v1, v114
	v_mul_f32_e32 v114, v2, v114
	s_waitcnt vmcnt(32)
	v_mul_f32_e32 v146, v3, v113
	v_mul_f32_e32 v113, v4, v113
	s_waitcnt vmcnt(31) lgkmcnt(2)
	v_mul_f32_e32 v160, v147, v112
	v_fmac_f32_e32 v145, v2, v111
	v_fma_f32 v161, v1, v111, -v114
	s_waitcnt vmcnt(30)
	v_mul_f32_e32 v162, v149, v115
	v_mul_f32_e32 v111, v148, v112
	;; [unrolled: 1-line block ×3, first 2 shown]
	s_waitcnt vmcnt(26)
	v_fmac_f32_e32 v146, v4, v123
	v_fma_f32 v115, v3, v123, -v113
	ds_read_b128 v[1:4], v110 offset:608
	v_fmac_f32_e32 v160, v148, v122
	v_fma_f32 v122, v147, v122, -v111
	s_waitcnt vmcnt(25) lgkmcnt(2)
	v_mul_f32_e32 v123, v151, v119
	s_waitcnt vmcnt(24)
	v_mul_f32_e32 v147, v153, v120
	v_mul_f32_e32 v119, v152, v119
	;; [unrolled: 1-line block ×3, first 2 shown]
	v_fmac_f32_e32 v162, v150, v121
	v_fma_f32 v121, v149, v121, -v112
	ds_read_b128 v[111:114], v110 offset:624
	v_fmac_f32_e32 v123, v152, v118
	s_waitcnt vmcnt(19)
	v_fmac_f32_e32 v147, v154, v134
	v_fma_f32 v118, v151, v118, -v119
	v_fma_f32 v119, v153, v134, -v120
	s_clause 0x4
	buffer_load_dword v120, off, s[0:3], 0 offset:284
	buffer_load_dword v134, off, s[0:3], 0 offset:304
	;; [unrolled: 1-line block ×5, first 2 shown]
	s_waitcnt lgkmcnt(2)
	v_mul_f32_e32 v148, v5, v124
	v_mul_f32_e32 v124, v6, v124
	s_waitcnt vmcnt(23)
	v_mul_f32_e32 v152, v7, v130
	v_mul_f32_e32 v130, v8, v130
	v_fmac_f32_e32 v148, v6, v129
	v_fma_f32 v5, v5, v129, -v124
	s_waitcnt vmcnt(22) lgkmcnt(1)
	v_mul_f32_e32 v124, v1, v127
	v_fmac_f32_e32 v152, v8, v126
	v_fma_f32 v126, v7, v126, -v130
	s_waitcnt vmcnt(21)
	v_mul_f32_e32 v129, v3, v128
	v_mul_f32_e32 v6, v2, v127
	;; [unrolled: 1-line block ×3, first 2 shown]
	s_clause 0x2
	buffer_load_dword v127, off, s[0:3], 0 offset:292
	buffer_load_dword v128, off, s[0:3], 0 offset:300
	;; [unrolled: 1-line block ×3, first 2 shown]
	v_fmac_f32_e32 v124, v2, v125
	s_waitcnt vmcnt(20)
	v_fmac_f32_e32 v129, v4, v143
	v_fma_f32 v125, v1, v125, -v6
	v_fma_f32 v143, v3, v143, -v7
	ds_read_b128 v[1:4], v110 offset:640
	v_add_f32_e32 v6, 0, v157
	v_add_f32_e32 v7, 0, v117
	s_waitcnt vmcnt(19) lgkmcnt(1)
	v_mul_f32_e32 v153, v111, v140
	s_waitcnt vmcnt(18)
	v_mul_f32_e32 v154, v113, v141
	v_mul_f32_e32 v8, v112, v140
	v_add_f32_e32 v6, v6, v158
	v_mul_f32_e32 v117, v114, v141
	v_add_f32_e32 v7, v7, v116
	v_fmac_f32_e32 v153, v112, v138
	v_fmac_f32_e32 v154, v114, v137
	v_add_f32_e32 v6, v6, v145
	v_fma_f32 v111, v111, v138, -v8
	v_fma_f32 v116, v113, v137, -v117
	v_add_f32_e32 v7, v7, v161
	s_clause 0x7
	buffer_load_dword v137, off, s[0:3], 0 offset:316
	buffer_load_dword v138, off, s[0:3], 0 offset:324
	;; [unrolled: 1-line block ×8, first 2 shown]
	v_add_f32_e32 v6, v6, v146
	v_add_f32_e32 v7, v7, v115
	s_waitcnt vmcnt(25) lgkmcnt(0)
	v_mul_f32_e32 v8, v2, v135
	v_mul_f32_e32 v117, v1, v135
	s_clause 0x3
	buffer_load_dword v135, off, s[0:3], 0 offset:348
	buffer_load_dword v146, off, s[0:3], 0 offset:356
	;; [unrolled: 1-line block ×4, first 2 shown]
	v_fma_f32 v115, v1, v132, -v8
	v_add_f32_e32 v1, v6, v160
	v_fmac_f32_e32 v117, v2, v132
	v_add_f32_e32 v6, v7, v122
	s_waitcnt vmcnt(28)
	v_mul_f32_e32 v122, v3, v133
	v_mul_f32_e32 v2, v4, v133
	v_add_f32_e32 v7, v1, v162
	s_clause 0x2
	buffer_load_dword v132, off, s[0:3], 0 offset:380
	buffer_load_dword v160, off, s[0:3], 0 offset:388
	;; [unrolled: 1-line block ×3, first 2 shown]
	s_waitcnt vmcnt(27)
	v_fmac_f32_e32 v122, v4, v144
	v_fma_f32 v144, v3, v144, -v2
	ds_read_b128 v[1:4], v110 offset:656
	v_add_f32_e32 v7, v7, v123
	v_add_f32_e32 v6, v6, v121
	;; [unrolled: 1-line block ×3, first 2 shown]
	s_clause 0x3
	buffer_load_dword v147, off, s[0:3], 0 offset:368
	buffer_load_dword v162, off, s[0:3], 0 offset:360
	;; [unrolled: 1-line block ×4, first 2 shown]
	v_add_f32_e32 v6, v6, v118
	v_add_f32_e32 v112, v7, v148
	;; [unrolled: 1-line block ×5, first 2 shown]
	ds_read_b128 v[5:8], v110 offset:672
	s_waitcnt vmcnt(30) lgkmcnt(1)
	v_mul_f32_e32 v119, v1, v142
	v_mul_f32_e32 v114, v2, v142
	s_waitcnt vmcnt(29)
	v_mul_f32_e32 v123, v3, v155
	v_fmac_f32_e32 v119, v2, v139
	v_fma_f32 v121, v1, v139, -v114
	s_clause 0x3
	buffer_load_dword v139, off, s[0:3], 0 offset:392
	buffer_load_dword v142, off, s[0:3], 0 offset:384
	;; [unrolled: 1-line block ×4, first 2 shown]
	v_add_f32_e32 v1, v113, v126
	v_add_f32_e32 v2, v112, v124
	v_mul_f32_e32 v112, v4, v155
	v_fmac_f32_e32 v123, v4, v136
	v_add_f32_e32 v1, v1, v125
	v_add_f32_e32 v2, v2, v129
	v_fma_f32 v124, v3, v136, -v112
	v_add_f32_e32 v113, v1, v143
	v_add_f32_e32 v118, v2, v153
	ds_read_b128 v[1:4], v110 offset:688
	s_waitcnt vmcnt(32) lgkmcnt(1)
	v_mul_f32_e32 v126, v5, v156
	v_mul_f32_e32 v129, v6, v156
	v_add_f32_e32 v125, v113, v111
	ds_read_b128 v[111:114], v110 offset:704
	v_add_f32_e32 v118, v118, v154
	v_fmac_f32_e32 v126, v6, v131
	v_fma_f32 v129, v5, v131, -v129
	v_add_f32_e32 v116, v125, v116
	v_add_f32_e32 v125, v118, v117
	;; [unrolled: 1-line block ×5, first 2 shown]
	s_waitcnt vmcnt(30)
	v_mul_f32_e32 v136, v7, v120
	v_mul_f32_e32 v120, v8, v120
	s_waitcnt vmcnt(26)
	v_fmac_f32_e32 v136, v8, v151
	v_fma_f32 v131, v7, v151, -v120
	v_add_f32_e32 v120, v116, v115
	ds_read_b128 v[5:8], v110 offset:720
	ds_read_b128 v[115:118], v110 offset:736
	v_add_f32_e32 v120, v120, v144
	s_waitcnt vmcnt(25) lgkmcnt(3)
	v_mul_f32_e32 v143, v1, v127
	v_mul_f32_e32 v125, v2, v127
	s_waitcnt vmcnt(24)
	v_mul_f32_e32 v144, v3, v128
	v_mul_f32_e32 v127, v4, v128
	s_waitcnt vmcnt(23) lgkmcnt(2)
	v_mul_f32_e32 v128, v111, v130
	v_fmac_f32_e32 v143, v2, v150
	v_fma_f32 v150, v1, v150, -v125
	v_add_f32_e32 v125, v120, v121
	v_fmac_f32_e32 v144, v4, v149
	v_fma_f32 v127, v3, v149, -v127
	v_mul_f32_e32 v130, v112, v130
	ds_read_b128 v[1:4], v110 offset:752
	ds_read_b128 v[119:122], v110 offset:768
	v_add_f32_e32 v149, v125, v124
	v_fmac_f32_e32 v128, v112, v134
	v_add_f32_e32 v112, v123, v126
	ds_read_b128 v[123:126], v110 offset:784
	v_fma_f32 v111, v111, v134, -v130
	v_add_f32_e32 v110, v149, v129
	s_waitcnt vmcnt(22)
	v_mul_f32_e32 v130, v114, v137
	v_add_f32_e32 v112, v112, v136
	v_mul_f32_e32 v129, v113, v137
	s_waitcnt vmcnt(21) lgkmcnt(4)
	v_mul_f32_e32 v134, v5, v138
	v_add_f32_e32 v110, v110, v131
	v_mul_f32_e32 v136, v6, v138
	v_add_f32_e32 v112, v112, v143
	s_waitcnt vmcnt(15)
	v_fma_f32 v113, v113, v161, -v130
	v_fmac_f32_e32 v129, v114, v161
	v_add_f32_e32 v110, v110, v150
	v_fmac_f32_e32 v134, v6, v158
	v_add_f32_e32 v112, v112, v144
	v_fma_f32 v5, v5, v158, -v136
	v_mul_f32_e32 v131, v7, v140
	v_add_f32_e32 v110, v110, v127
	v_mul_f32_e32 v127, v8, v140
	s_waitcnt lgkmcnt(3)
	v_mul_f32_e32 v114, v115, v141
	s_waitcnt vmcnt(14)
	v_mul_f32_e32 v130, v117, v135
	v_fmac_f32_e32 v131, v8, v157
	v_add_f32_e32 v110, v110, v111
	v_add_f32_e32 v111, v112, v128
	v_fma_f32 v7, v7, v157, -v127
	v_mul_f32_e32 v8, v118, v135
	v_fmac_f32_e32 v114, v116, v145
	v_add_f32_e32 v6, v110, v113
	v_add_f32_e32 v110, v111, v129
	v_mul_f32_e32 v111, v116, v141
	s_waitcnt vmcnt(13) lgkmcnt(2)
	v_mul_f32_e32 v137, v1, v146
	s_waitcnt vmcnt(12)
	v_mul_f32_e32 v138, v3, v163
	v_add_f32_e32 v5, v6, v5
	v_add_f32_e32 v6, v110, v134
	v_fma_f32 v110, v115, v145, -v111
	s_waitcnt vmcnt(4)
	v_fma_f32 v8, v117, v166, -v8
	v_fmac_f32_e32 v130, v118, v166
	v_add_f32_e32 v5, v5, v7
	v_add_f32_e32 v6, v6, v131
	v_mul_f32_e32 v7, v2, v146
	v_fmac_f32_e32 v137, v2, v165
	s_waitcnt lgkmcnt(1)
	v_mul_f32_e32 v143, v119, v164
	v_add_f32_e32 v5, v5, v110
	v_add_f32_e32 v6, v6, v114
	v_mul_f32_e32 v110, v4, v163
	v_fma_f32 v1, v1, v165, -v7
	v_fmac_f32_e32 v138, v4, v162
	v_add_f32_e32 v2, v5, v8
	v_add_f32_e32 v5, v6, v130
	v_mul_f32_e32 v6, v120, v164
	v_fma_f32 v3, v3, v162, -v110
	v_mul_f32_e32 v4, v122, v132
	v_add_f32_e32 v1, v2, v1
	v_add_f32_e32 v2, v5, v137
	v_fma_f32 v5, v119, v147, -v6
	v_mul_f32_e32 v140, v121, v132
	v_fmac_f32_e32 v143, v120, v147
	v_add_f32_e32 v1, v1, v3
	v_add_f32_e32 v2, v2, v138
	s_waitcnt lgkmcnt(0)
	v_mul_f32_e32 v3, v124, v160
	s_waitcnt vmcnt(1)
	v_fma_f32 v4, v121, v148, -v4
	v_mul_f32_e32 v144, v123, v160
	v_add_f32_e32 v1, v1, v5
	v_fmac_f32_e32 v140, v122, v148
	v_add_f32_e32 v2, v2, v143
	v_mul_f32_e32 v5, v126, v133
	v_fma_f32 v3, v123, v142, -v3
	v_add_f32_e32 v1, v1, v4
	v_mul_f32_e32 v112, v125, v133
	v_fmac_f32_e32 v144, v124, v142
	v_add_f32_e32 v2, v2, v140
	v_fma_f32 v4, v125, v139, -v5
	v_add_f32_e32 v1, v1, v3
	v_fmac_f32_e32 v112, v126, v139
	v_add_f32_e32 v2, v2, v144
	v_add_f32_e32 v1, v1, v4
	;; [unrolled: 1-line block ×3, first 2 shown]
	s_waitcnt vmcnt(0)
	v_sub_f32_e32 v1, v152, v1
	v_sub_f32_e32 v2, v159, v2
	buffer_store_dword v1, off, s[0:3], 0 offset:120
	buffer_store_dword v2, off, s[0:3], 0 offset:124
	v_cmpx_lt_u32_e32 14, v0
	s_cbranch_execz .LBB49_285
; %bb.284:
	s_clause 0x1
	buffer_load_dword v1, off, s[0:3], 0 offset:112
	buffer_load_dword v2, off, s[0:3], 0 offset:116
	v_mov_b32_e32 v3, 0
	buffer_store_dword v3, off, s[0:3], 0 offset:112
	buffer_store_dword v3, off, s[0:3], 0 offset:116
	s_waitcnt vmcnt(0)
	ds_write_b64 v109, v[1:2]
.LBB49_285:
	s_or_b32 exec_lo, exec_lo, s4
	s_waitcnt lgkmcnt(0)
	s_waitcnt_vscnt null, 0x0
	s_barrier
	buffer_gl0_inv
	s_clause 0x2a
	buffer_load_dword v7, off, s[0:3], 0 offset:124
	buffer_load_dword v8, off, s[0:3], 0 offset:132
	;; [unrolled: 1-line block ×43, first 2 shown]
	v_mov_b32_e32 v1, 0
	ds_read2_b64 v[142:145], v1 offset0:65 offset1:66
	ds_read2_b64 v[146:149], v1 offset0:67 offset1:68
	;; [unrolled: 1-line block ×3, first 2 shown]
	buffer_load_dword v160, off, s[0:3], 0 offset:116
	s_mov_b32 s4, exec_lo
	s_waitcnt vmcnt(43) lgkmcnt(2)
	v_mul_f32_e32 v158, v142, v7
	s_waitcnt vmcnt(42)
	v_mul_f32_e32 v159, v144, v8
	v_mul_f32_e32 v7, v143, v7
	;; [unrolled: 1-line block ×3, first 2 shown]
	s_waitcnt vmcnt(39)
	v_fmac_f32_e32 v158, v143, v6
	v_fmac_f32_e32 v159, v145, v5
	v_fma_f32 v161, v142, v6, -v7
	v_fma_f32 v162, v144, v5, -v8
	ds_read2_b64 v[5:8], v1 offset0:71 offset1:72
	ds_read2_b64 v[142:145], v1 offset0:73 offset1:74
	s_waitcnt vmcnt(38) lgkmcnt(3)
	v_mul_f32_e32 v163, v146, v3
	v_mul_f32_e32 v3, v147, v3
	s_waitcnt vmcnt(37)
	v_mul_f32_e32 v164, v148, v4
	v_mul_f32_e32 v4, v149, v4
	s_waitcnt vmcnt(32) lgkmcnt(2)
	v_mul_f32_e32 v166, v150, v117
	v_fmac_f32_e32 v163, v147, v2
	v_fma_f32 v165, v146, v2, -v3
	v_mul_f32_e32 v2, v151, v117
	s_waitcnt vmcnt(31)
	v_mul_f32_e32 v167, v152, v116
	v_mul_f32_e32 v3, v153, v116
	v_fmac_f32_e32 v164, v149, v118
	v_fma_f32 v118, v148, v118, -v4
	v_fmac_f32_e32 v166, v151, v113
	v_fma_f32 v150, v150, v113, -v2
	v_fmac_f32_e32 v167, v153, v111
	v_fma_f32 v152, v152, v111, -v3
	ds_read2_b64 v[146:149], v1 offset0:75 offset1:76
	s_waitcnt vmcnt(30) lgkmcnt(2)
	v_mul_f32_e32 v151, v5, v114
	v_mul_f32_e32 v2, v6, v114
	s_waitcnt vmcnt(29)
	v_mul_f32_e32 v153, v7, v112
	v_mul_f32_e32 v3, v8, v112
	s_waitcnt vmcnt(28) lgkmcnt(1)
	v_mul_f32_e32 v168, v142, v115
	v_fmac_f32_e32 v151, v6, v110
	v_fma_f32 v6, v5, v110, -v2
	s_waitcnt vmcnt(24)
	v_fmac_f32_e32 v153, v8, v125
	v_fma_f32 v7, v7, v125, -v3
	s_waitcnt vmcnt(23)
	v_mul_f32_e32 v8, v144, v124
	v_mul_f32_e32 v110, v143, v115
	;; [unrolled: 1-line block ×3, first 2 shown]
	ds_read2_b64 v[2:5], v1 offset0:77 offset1:78
	v_fmac_f32_e32 v168, v143, v123
	v_fmac_f32_e32 v8, v145, v120
	v_fma_f32 v123, v142, v123, -v110
	v_fma_f32 v120, v144, v120, -v111
	ds_read2_b64 v[110:113], v1 offset0:79 offset1:80
	s_waitcnt vmcnt(22) lgkmcnt(2)
	v_mul_f32_e32 v124, v146, v122
	v_mul_f32_e32 v114, v147, v122
	s_waitcnt vmcnt(21)
	v_mul_f32_e32 v122, v148, v121
	v_mul_f32_e32 v115, v149, v121
	buffer_load_dword v121, off, s[0:3], 0 offset:284
	v_fmac_f32_e32 v124, v147, v119
	v_fma_f32 v119, v146, v119, -v114
	s_waitcnt vmcnt(18)
	v_fmac_f32_e32 v122, v149, v133
	v_fma_f32 v125, v148, v133, -v115
	s_waitcnt vmcnt(17) lgkmcnt(1)
	v_mul_f32_e32 v133, v2, v131
	s_waitcnt vmcnt(16)
	v_mul_f32_e32 v142, v4, v132
	v_mul_f32_e32 v114, v3, v131
	;; [unrolled: 1-line block ×3, first 2 shown]
	v_fmac_f32_e32 v133, v3, v128
	v_fmac_f32_e32 v142, v5, v127
	v_fma_f32 v128, v2, v128, -v114
	v_fma_f32 v127, v4, v127, -v115
	ds_read2_b64 v[2:5], v1 offset0:81 offset1:82
	s_waitcnt vmcnt(15) lgkmcnt(1)
	v_mul_f32_e32 v131, v110, v130
	v_mul_f32_e32 v116, v111, v130
	s_waitcnt vmcnt(14)
	v_mul_f32_e32 v130, v112, v129
	v_mul_f32_e32 v129, v113, v129
	v_fmac_f32_e32 v131, v111, v126
	v_fma_f32 v126, v110, v126, -v116
	ds_read2_b64 v[114:117], v1 offset0:83 offset1:84
	s_waitcnt vmcnt(10)
	v_fmac_f32_e32 v130, v113, v141
	v_fma_f32 v129, v112, v141, -v129
	s_clause 0x1
	buffer_load_dword v132, off, s[0:3], 0 offset:292
	buffer_load_dword v141, off, s[0:3], 0 offset:300
	s_waitcnt vmcnt(11) lgkmcnt(1)
	v_mul_f32_e32 v143, v2, v140
	v_mul_f32_e32 v110, v3, v140
	s_waitcnt vmcnt(10)
	v_mul_f32_e32 v144, v4, v139
	v_mul_f32_e32 v111, v5, v139
	buffer_load_dword v140, off, s[0:3], 0 offset:308
	v_fmac_f32_e32 v143, v3, v137
	v_fma_f32 v137, v2, v137, -v110
	v_fmac_f32_e32 v144, v5, v135
	s_waitcnt vmcnt(10) lgkmcnt(0)
	v_mul_f32_e32 v139, v114, v138
	v_mul_f32_e32 v2, v115, v138
	s_waitcnt vmcnt(9)
	v_mul_f32_e32 v3, v117, v136
	s_clause 0x3
	buffer_load_dword v138, off, s[0:3], 0 offset:328
	buffer_load_dword v145, off, s[0:3], 0 offset:320
	;; [unrolled: 1-line block ×4, first 2 shown]
	v_mul_f32_e32 v148, v116, v136
	v_fmac_f32_e32 v139, v115, v134
	v_fma_f32 v134, v114, v134, -v2
	v_add_f32_e32 v2, 0, v158
	s_clause 0x1
	buffer_load_dword v136, off, s[0:3], 0 offset:316
	buffer_load_dword v158, off, s[0:3], 0 offset:332
	s_waitcnt vmcnt(11)
	v_fma_f32 v149, v116, v157, -v3
	v_add_f32_e32 v3, 0, v161
	v_add_f32_e32 v2, v2, v159
	v_fmac_f32_e32 v148, v117, v157
	s_clause 0x4
	buffer_load_dword v157, off, s[0:3], 0 offset:324
	buffer_load_dword v159, off, s[0:3], 0 offset:340
	;; [unrolled: 1-line block ×5, first 2 shown]
	v_add_f32_e32 v3, v3, v162
	v_add_f32_e32 v2, v2, v163
	s_clause 0x1
	buffer_load_dword v162, off, s[0:3], 0 offset:372
	buffer_load_dword v163, off, s[0:3], 0 offset:380
	v_fma_f32 v135, v4, v135, -v111
	v_add_f32_e32 v3, v3, v165
	v_add_f32_e32 v2, v2, v164
	s_clause 0x1
	buffer_load_dword v164, off, s[0:3], 0 offset:388
	buffer_load_dword v165, off, s[0:3], 0 offset:396
	v_add_f32_e32 v3, v3, v118
	v_add_f32_e32 v2, v2, v166
	;; [unrolled: 1-line block ×4, first 2 shown]
	s_clause 0x3
	buffer_load_dword v150, off, s[0:3], 0 offset:360
	buffer_load_dword v166, off, s[0:3], 0 offset:352
	;; [unrolled: 1-line block ×4, first 2 shown]
	v_add_f32_e32 v3, v3, v152
	v_add_f32_e32 v2, v2, v151
	;; [unrolled: 1-line block ×4, first 2 shown]
	s_clause 0x4
	buffer_load_dword v151, off, s[0:3], 0 offset:392
	buffer_load_dword v152, off, s[0:3], 0 offset:384
	;; [unrolled: 1-line block ×5, first 2 shown]
	ds_read2_b64 v[110:113], v1 offset0:87 offset1:88
	v_add_f32_e32 v3, v3, v7
	v_add_f32_e32 v2, v2, v168
	v_add_f32_e32 v3, v3, v123
	v_add_f32_e32 v6, v2, v8
	v_add_f32_e32 v7, v3, v120
	ds_read2_b64 v[2:5], v1 offset0:85 offset1:86
	v_add_f32_e32 v6, v6, v124
	v_add_f32_e32 v7, v7, v119
	;; [unrolled: 1-line block ×14, first 2 shown]
	s_waitcnt vmcnt(27) lgkmcnt(0)
	v_mul_f32_e32 v8, v2, v121
	v_mul_f32_e32 v114, v3, v121
	v_fmac_f32_e32 v8, v3, v156
	v_add_f32_e32 v3, v7, v126
	v_fma_f32 v126, v2, v156, -v114
	v_add_f32_e32 v8, v133, v8
	v_add_f32_e32 v7, v3, v129
	;; [unrolled: 1-line block ×5, first 2 shown]
	s_waitcnt vmcnt(26)
	v_mul_f32_e32 v127, v4, v132
	v_mul_f32_e32 v115, v5, v132
	v_add_f32_e32 v134, v7, v149
	s_waitcnt vmcnt(25)
	v_mul_f32_e32 v122, v111, v141
	v_mul_f32_e32 v129, v110, v141
	v_fmac_f32_e32 v127, v5, v155
	v_fma_f32 v128, v4, v155, -v115
	ds_read2_b64 v[2:5], v1 offset0:89 offset1:90
	ds_read2_b64 v[114:117], v1 offset0:91 offset1:92
	v_add_f32_e32 v126, v134, v126
	v_fma_f32 v132, v110, v154, -v122
	v_fmac_f32_e32 v129, v111, v154
	v_add_f32_e32 v8, v8, v127
	ds_read2_b64 v[118:121], v1 offset0:93 offset1:94
	ds_read2_b64 v[122:125], v1 offset0:95 offset1:96
	s_waitcnt vmcnt(24)
	v_mul_f32_e32 v131, v113, v140
	v_add_f32_e32 v126, v126, v128
	v_mul_f32_e32 v130, v112, v140
	v_add_f32_e32 v8, v8, v129
	v_add_f32_e32 v126, v126, v132
	s_waitcnt vmcnt(20)
	v_fma_f32 v131, v112, v147, -v131
	v_fmac_f32_e32 v130, v113, v147
	ds_read2_b64 v[110:113], v1 offset0:97 offset1:98
	ds_read_b64 v[6:7], v1 offset:792
	s_waitcnt vmcnt(19) lgkmcnt(5)
	v_mul_f32_e32 v134, v3, v136
	v_mul_f32_e32 v135, v2, v136
	v_add_f32_e32 v126, v126, v131
	v_add_f32_e32 v8, v8, v130
	s_waitcnt vmcnt(18) lgkmcnt(4)
	v_mul_f32_e32 v133, v114, v158
	v_fma_f32 v2, v2, v146, -v134
	s_waitcnt vmcnt(17)
	v_mul_f32_e32 v136, v5, v157
	v_mul_f32_e32 v137, v4, v157
	v_fmac_f32_e32 v135, v3, v146
	v_mul_f32_e32 v134, v115, v158
	v_add_f32_e32 v2, v126, v2
	v_fma_f32 v4, v4, v145, -v136
	v_fmac_f32_e32 v137, v5, v145
	v_add_f32_e32 v5, v8, v135
	s_waitcnt vmcnt(16)
	v_mul_f32_e32 v8, v117, v159
	v_fma_f32 v114, v114, v138, -v134
	v_add_f32_e32 v2, v2, v4
	v_mul_f32_e32 v128, v116, v159
	v_fmac_f32_e32 v133, v115, v138
	v_add_f32_e32 v4, v5, v137
	s_waitcnt vmcnt(15) lgkmcnt(3)
	v_mul_f32_e32 v5, v119, v161
	v_add_f32_e32 v2, v2, v114
	v_mul_f32_e32 v139, v118, v161
	s_waitcnt vmcnt(14)
	v_mul_f32_e32 v114, v121, v169
	v_add_f32_e32 v4, v4, v133
	s_waitcnt vmcnt(5)
	v_fma_f32 v8, v116, v171, -v8
	v_fmac_f32_e32 v128, v117, v171
	v_fma_f32 v5, v118, v167, -v5
	v_mul_f32_e32 v127, v120, v169
	v_fmac_f32_e32 v139, v119, v167
	v_add_f32_e32 v2, v2, v8
	v_add_f32_e32 v4, v4, v128
	s_waitcnt lgkmcnt(2)
	v_mul_f32_e32 v8, v123, v170
	v_fma_f32 v114, v120, v166, -v114
	v_mul_f32_e32 v132, v122, v170
	v_add_f32_e32 v2, v2, v5
	v_fmac_f32_e32 v127, v121, v166
	v_add_f32_e32 v4, v4, v139
	v_mul_f32_e32 v5, v125, v162
	v_fma_f32 v8, v122, v150, -v8
	v_add_f32_e32 v2, v2, v114
	v_mul_f32_e32 v3, v124, v162
	v_fmac_f32_e32 v132, v123, v150
	v_add_f32_e32 v4, v4, v127
	s_waitcnt lgkmcnt(1)
	v_mul_f32_e32 v114, v111, v163
	s_waitcnt vmcnt(1)
	v_fma_f32 v5, v124, v172, -v5
	v_add_f32_e32 v2, v2, v8
	v_mul_f32_e32 v129, v110, v163
	v_fmac_f32_e32 v3, v125, v172
	v_add_f32_e32 v4, v4, v132
	v_mul_f32_e32 v8, v113, v164
	v_fma_f32 v110, v110, v153, -v114
	v_add_f32_e32 v2, v2, v5
	v_mul_f32_e32 v131, v112, v164
	v_fmac_f32_e32 v129, v111, v153
	v_add_f32_e32 v3, v4, v3
	s_waitcnt lgkmcnt(0)
	v_mul_f32_e32 v4, v7, v165
	v_fma_f32 v5, v112, v152, -v8
	v_add_f32_e32 v2, v2, v110
	v_mul_f32_e32 v130, v6, v165
	v_fmac_f32_e32 v131, v113, v152
	v_add_f32_e32 v3, v3, v129
	v_fma_f32 v4, v6, v151, -v4
	v_add_f32_e32 v2, v2, v5
	v_fmac_f32_e32 v130, v7, v151
	v_add_f32_e32 v3, v3, v131
	v_add_f32_e32 v2, v2, v4
	;; [unrolled: 1-line block ×3, first 2 shown]
	s_waitcnt vmcnt(0)
	v_sub_f32_e32 v2, v173, v2
	v_sub_f32_e32 v3, v160, v3
	buffer_store_dword v2, off, s[0:3], 0 offset:112
	buffer_store_dword v3, off, s[0:3], 0 offset:116
	v_cmpx_lt_u32_e32 13, v0
	s_cbranch_execz .LBB49_287
; %bb.286:
	s_clause 0x1
	buffer_load_dword v2, off, s[0:3], 0 offset:104
	buffer_load_dword v3, off, s[0:3], 0 offset:108
	buffer_store_dword v1, off, s[0:3], 0 offset:104
	buffer_store_dword v1, off, s[0:3], 0 offset:108
	s_waitcnt vmcnt(0)
	ds_write_b64 v109, v[2:3]
.LBB49_287:
	s_or_b32 exec_lo, exec_lo, s4
	s_waitcnt lgkmcnt(0)
	s_waitcnt_vscnt null, 0x0
	s_barrier
	buffer_gl0_inv
	s_clause 0x2a
	buffer_load_dword v8, off, s[0:3], 0 offset:116
	buffer_load_dword v110, off, s[0:3], 0 offset:124
	;; [unrolled: 1-line block ×43, first 2 shown]
	ds_read_b128 v[142:145], v1 offset:512
	ds_read_b128 v[146:149], v1 offset:528
	;; [unrolled: 1-line block ×3, first 2 shown]
	buffer_load_dword v160, off, s[0:3], 0 offset:108
	s_mov_b32 s4, exec_lo
	s_waitcnt vmcnt(43) lgkmcnt(2)
	v_mul_f32_e32 v158, v142, v8
	s_waitcnt vmcnt(42)
	v_mul_f32_e32 v159, v144, v110
	v_mul_f32_e32 v8, v143, v8
	;; [unrolled: 1-line block ×3, first 2 shown]
	s_waitcnt vmcnt(39)
	v_fmac_f32_e32 v158, v143, v6
	v_fmac_f32_e32 v159, v145, v5
	v_fma_f32 v6, v142, v6, -v8
	v_fma_f32 v8, v144, v5, -v110
	ds_read_b128 v[142:145], v1 offset:560
	s_waitcnt vmcnt(38) lgkmcnt(2)
	v_mul_f32_e32 v161, v146, v3
	s_waitcnt vmcnt(37)
	v_mul_f32_e32 v162, v148, v4
	v_mul_f32_e32 v3, v147, v3
	;; [unrolled: 1-line block ×3, first 2 shown]
	s_waitcnt vmcnt(32) lgkmcnt(1)
	v_mul_f32_e32 v110, v151, v115
	v_fmac_f32_e32 v161, v147, v2
	v_fmac_f32_e32 v162, v149, v117
	v_fma_f32 v146, v146, v2, -v3
	v_fma_f32 v147, v148, v117, -v4
	ds_read_b128 v[2:5], v1 offset:576
	v_mul_f32_e32 v148, v150, v115
	s_waitcnt vmcnt(31)
	v_mul_f32_e32 v149, v152, v116
	v_mul_f32_e32 v115, v153, v116
	v_fma_f32 v150, v150, v114, -v110
	v_fmac_f32_e32 v148, v151, v114
	v_fmac_f32_e32 v149, v153, v111
	v_fma_f32 v151, v152, v111, -v115
	ds_read_b128 v[114:117], v1 offset:592
	s_waitcnt vmcnt(30) lgkmcnt(2)
	v_mul_f32_e32 v152, v142, v112
	s_waitcnt vmcnt(29)
	v_mul_f32_e32 v153, v144, v113
	v_mul_f32_e32 v110, v143, v112
	;; [unrolled: 1-line block ×3, first 2 shown]
	v_fmac_f32_e32 v152, v143, v7
	s_waitcnt vmcnt(25)
	v_fmac_f32_e32 v153, v145, v125
	v_fma_f32 v7, v142, v7, -v110
	v_fma_f32 v125, v144, v125, -v111
	ds_read_b128 v[110:113], v1 offset:608
	s_waitcnt vmcnt(24) lgkmcnt(2)
	v_mul_f32_e32 v142, v2, v123
	s_waitcnt vmcnt(23)
	v_mul_f32_e32 v143, v4, v124
	v_mul_f32_e32 v123, v3, v123
	;; [unrolled: 1-line block ×3, first 2 shown]
	v_fmac_f32_e32 v142, v3, v122
	v_fmac_f32_e32 v143, v5, v119
	v_fma_f32 v122, v2, v122, -v123
	v_fma_f32 v119, v4, v119, -v124
	ds_read_b128 v[2:5], v1 offset:624
	s_waitcnt vmcnt(22) lgkmcnt(2)
	v_mul_f32_e32 v123, v114, v120
	s_waitcnt vmcnt(21)
	v_mul_f32_e32 v124, v116, v121
	v_mul_f32_e32 v120, v115, v120
	;; [unrolled: 1-line block ×3, first 2 shown]
	v_fmac_f32_e32 v123, v115, v118
	s_waitcnt vmcnt(17)
	v_fmac_f32_e32 v124, v117, v133
	v_fma_f32 v118, v114, v118, -v120
	v_fma_f32 v120, v116, v133, -v121
	s_waitcnt vmcnt(16) lgkmcnt(1)
	v_mul_f32_e32 v121, v110, v131
	v_mul_f32_e32 v131, v111, v131
	ds_read_b128 v[114:117], v1 offset:640
	s_waitcnt vmcnt(15)
	v_mul_f32_e32 v133, v112, v132
	v_mul_f32_e32 v132, v113, v132
	v_fmac_f32_e32 v121, v111, v130
	v_fma_f32 v110, v110, v130, -v131
	s_clause 0x1
	buffer_load_dword v130, off, s[0:3], 0 offset:276
	buffer_load_dword v131, off, s[0:3], 0 offset:284
	v_fmac_f32_e32 v133, v113, v127
	v_fma_f32 v127, v112, v127, -v132
	s_waitcnt vmcnt(16) lgkmcnt(1)
	v_mul_f32_e32 v132, v2, v128
	s_waitcnt vmcnt(15)
	v_mul_f32_e32 v144, v4, v129
	v_mul_f32_e32 v111, v3, v128
	;; [unrolled: 1-line block ×3, first 2 shown]
	buffer_load_dword v129, off, s[0:3], 0 offset:292
	v_fmac_f32_e32 v132, v3, v126
	s_waitcnt vmcnt(12)
	v_fmac_f32_e32 v144, v5, v141
	v_fma_f32 v126, v2, v126, -v111
	v_fma_f32 v128, v4, v141, -v112
	ds_read_b128 v[2:5], v1 offset:656
	s_waitcnt vmcnt(11) lgkmcnt(1)
	v_mul_f32_e32 v141, v114, v139
	s_waitcnt vmcnt(10)
	v_mul_f32_e32 v145, v116, v140
	v_mul_f32_e32 v111, v115, v139
	;; [unrolled: 1-line block ×3, first 2 shown]
	s_clause 0x5
	buffer_load_dword v139, off, s[0:3], 0 offset:300
	buffer_load_dword v140, off, s[0:3], 0 offset:320
	buffer_load_dword v163, off, s[0:3], 0 offset:312
	buffer_load_dword v164, off, s[0:3], 0 offset:304
	buffer_load_dword v165, off, s[0:3], 0 offset:296
	buffer_load_dword v167, off, s[0:3], 0 offset:308
	v_fmac_f32_e32 v141, v115, v138
	v_fma_f32 v138, v114, v138, -v111
	v_fmac_f32_e32 v145, v117, v137
	v_fma_f32 v137, v116, v137, -v112
	s_waitcnt vmcnt(15) lgkmcnt(0)
	v_mul_f32_e32 v166, v2, v136
	v_mul_f32_e32 v111, v3, v136
	v_fmac_f32_e32 v166, v3, v134
	v_add_f32_e32 v3, 0, v158
	v_fma_f32 v134, v2, v134, -v111
	v_add_f32_e32 v2, 0, v6
	s_waitcnt vmcnt(14)
	v_mul_f32_e32 v6, v4, v135
	v_mul_f32_e32 v111, v5, v135
	v_add_f32_e32 v3, v3, v159
	buffer_load_dword v135, off, s[0:3], 0 offset:316
	v_add_f32_e32 v2, v2, v8
	buffer_load_dword v8, off, s[0:3], 0 offset:324
	s_waitcnt vmcnt(12)
	v_fmac_f32_e32 v6, v5, v157
	v_add_f32_e32 v3, v3, v161
	v_fma_f32 v136, v4, v157, -v111
	v_add_f32_e32 v2, v2, v146
	s_clause 0x3
	buffer_load_dword v157, off, s[0:3], 0 offset:332
	buffer_load_dword v146, off, s[0:3], 0 offset:340
	;; [unrolled: 1-line block ×4, first 2 shown]
	v_add_f32_e32 v3, v3, v162
	v_add_f32_e32 v2, v2, v147
	s_clause 0x3
	buffer_load_dword v147, off, s[0:3], 0 offset:364
	buffer_load_dword v161, off, s[0:3], 0 offset:372
	buffer_load_dword v162, off, s[0:3], 0 offset:380
	buffer_load_dword v168, off, s[0:3], 0 offset:388
	v_add_f32_e32 v3, v3, v148
	buffer_load_dword v148, off, s[0:3], 0 offset:396
	v_add_f32_e32 v2, v2, v150
	v_add_f32_e32 v3, v3, v149
	;; [unrolled: 1-line block ×3, first 2 shown]
	s_clause 0x3
	buffer_load_dword v149, off, s[0:3], 0 offset:352
	buffer_load_dword v150, off, s[0:3], 0 offset:344
	;; [unrolled: 1-line block ×4, first 2 shown]
	v_add_f32_e32 v3, v3, v152
	v_add_f32_e32 v2, v2, v7
	;; [unrolled: 1-line block ×3, first 2 shown]
	s_clause 0x4
	buffer_load_dword v7, off, s[0:3], 0 offset:384
	buffer_load_dword v152, off, s[0:3], 0 offset:376
	;; [unrolled: 1-line block ×5, first 2 shown]
	v_add_f32_e32 v2, v2, v125
	v_add_f32_e32 v3, v3, v142
	buffer_load_dword v142, off, s[0:3], 0 offset:392
	v_add_f32_e32 v2, v2, v122
	v_add_f32_e32 v3, v3, v143
	v_add_f32_e32 v2, v2, v119
	v_add_f32_e32 v111, v3, v123
	v_add_f32_e32 v112, v2, v118
	ds_read_b128 v[2:5], v1 offset:672
	v_add_f32_e32 v111, v111, v124
	v_add_f32_e32 v112, v112, v120
	v_add_f32_e32 v114, v111, v121
	v_add_f32_e32 v115, v112, v110
	ds_read_b128 v[110:113], v1 offset:688
	v_add_f32_e32 v114, v114, v133
	v_add_f32_e32 v115, v115, v127
	v_add_f32_e32 v114, v114, v132
	v_add_f32_e32 v118, v115, v126
	v_add_f32_e32 v119, v114, v144
	v_add_f32_e32 v118, v118, v128
	v_add_f32_e32 v119, v119, v141
	v_add_f32_e32 v118, v118, v138
	v_add_f32_e32 v122, v118, v137
	v_add_f32_e32 v126, v122, v134
	v_add_f32_e32 v136, v126, v136
	s_waitcnt vmcnt(29) lgkmcnt(1)
	v_mul_f32_e32 v133, v2, v130
	v_mul_f32_e32 v116, v3, v130
	s_waitcnt vmcnt(28)
	v_mul_f32_e32 v130, v4, v131
	v_mul_f32_e32 v117, v5, v131
	v_fmac_f32_e32 v133, v3, v156
	v_fma_f32 v131, v2, v156, -v116
	v_fmac_f32_e32 v130, v5, v155
	v_fma_f32 v132, v4, v155, -v117
	ds_read_b128 v[2:5], v1 offset:704
	ds_read_b128 v[114:117], v1 offset:720
	s_waitcnt vmcnt(27) lgkmcnt(2)
	v_mul_f32_e32 v143, v110, v129
	v_mul_f32_e32 v120, v111, v129
	v_fmac_f32_e32 v143, v111, v154
	v_add_f32_e32 v111, v119, v145
	v_fma_f32 v138, v110, v154, -v120
	s_waitcnt vmcnt(26)
	v_mul_f32_e32 v144, v112, v139
	v_mul_f32_e32 v121, v113, v139
	v_add_f32_e32 v123, v111, v166
	s_waitcnt vmcnt(22)
	v_fmac_f32_e32 v144, v113, v165
	v_fma_f32 v137, v112, v165, -v121
	v_add_f32_e32 v6, v123, v6
	ds_read_b128 v[110:113], v1 offset:736
	ds_read_b128 v[118:121], v1 offset:752
	s_waitcnt vmcnt(21) lgkmcnt(3)
	v_mul_f32_e32 v127, v3, v167
	v_mul_f32_e32 v134, v2, v167
	ds_read_b128 v[122:125], v1 offset:768
	v_fma_f32 v2, v2, v164, -v127
	ds_read_b128 v[126:129], v1 offset:784
	v_add_f32_e32 v1, v136, v131
	v_fmac_f32_e32 v134, v3, v164
	v_add_f32_e32 v3, v6, v133
	v_add_f32_e32 v1, v1, v132
	;; [unrolled: 1-line block ×3, first 2 shown]
	s_waitcnt vmcnt(20)
	v_mul_f32_e32 v131, v5, v135
	v_add_f32_e32 v1, v1, v138
	v_mul_f32_e32 v6, v4, v135
	v_add_f32_e32 v3, v3, v143
	s_waitcnt vmcnt(19) lgkmcnt(4)
	v_mul_f32_e32 v130, v114, v8
	v_mul_f32_e32 v8, v115, v8
	v_add_f32_e32 v1, v1, v137
	v_fma_f32 v4, v4, v163, -v131
	v_add_f32_e32 v3, v3, v144
	v_fmac_f32_e32 v6, v5, v163
	s_waitcnt vmcnt(18)
	v_mul_f32_e32 v137, v117, v157
	v_add_f32_e32 v1, v1, v2
	v_fma_f32 v8, v114, v140, -v8
	v_add_f32_e32 v2, v3, v134
	v_mul_f32_e32 v132, v116, v157
	v_fmac_f32_e32 v130, v115, v140
	v_add_f32_e32 v1, v1, v4
	s_waitcnt vmcnt(17) lgkmcnt(3)
	v_mul_f32_e32 v4, v111, v146
	v_add_f32_e32 v2, v2, v6
	v_mul_f32_e32 v5, v110, v146
	s_waitcnt vmcnt(16)
	v_mul_f32_e32 v131, v112, v158
	v_add_f32_e32 v1, v1, v8
	s_waitcnt vmcnt(6)
	v_fma_f32 v6, v116, v169, -v137
	v_fmac_f32_e32 v132, v117, v169
	v_add_f32_e32 v2, v2, v130
	v_mul_f32_e32 v8, v113, v158
	v_fma_f32 v4, v110, v151, -v4
	v_add_f32_e32 v1, v1, v6
	v_fmac_f32_e32 v5, v111, v151
	v_add_f32_e32 v2, v2, v132
	s_waitcnt lgkmcnt(2)
	v_mul_f32_e32 v6, v119, v159
	v_fma_f32 v8, v112, v150, -v8
	v_add_f32_e32 v1, v1, v4
	v_mul_f32_e32 v133, v118, v159
	v_fmac_f32_e32 v131, v113, v150
	v_add_f32_e32 v2, v2, v5
	v_mul_f32_e32 v4, v121, v147
	v_fma_f32 v5, v118, v149, -v6
	v_add_f32_e32 v1, v1, v8
	v_mul_f32_e32 v135, v120, v147
	v_fmac_f32_e32 v133, v119, v149
	v_add_f32_e32 v2, v2, v131
	s_waitcnt lgkmcnt(1)
	v_mul_f32_e32 v6, v123, v161
	s_waitcnt vmcnt(2)
	v_fma_f32 v4, v120, v170, -v4
	v_add_f32_e32 v1, v1, v5
	v_mul_f32_e32 v136, v122, v161
	v_fmac_f32_e32 v135, v121, v170
	v_add_f32_e32 v2, v2, v133
	v_mul_f32_e32 v5, v125, v162
	v_fma_f32 v6, v122, v153, -v6
	v_add_f32_e32 v1, v1, v4
	v_mul_f32_e32 v138, v124, v162
	v_fmac_f32_e32 v136, v123, v153
	v_add_f32_e32 v2, v2, v135
	s_waitcnt lgkmcnt(0)
	v_mul_f32_e32 v4, v127, v168
	v_fma_f32 v5, v124, v152, -v5
	v_add_f32_e32 v1, v1, v6
	v_mul_f32_e32 v139, v126, v168
	v_fmac_f32_e32 v138, v125, v152
	v_add_f32_e32 v2, v2, v136
	v_mul_f32_e32 v6, v129, v148
	v_fma_f32 v4, v126, v7, -v4
	v_add_f32_e32 v1, v1, v5
	v_mul_f32_e32 v3, v128, v148
	v_fmac_f32_e32 v139, v127, v7
	v_add_f32_e32 v2, v2, v138
	s_waitcnt vmcnt(0)
	v_fma_f32 v5, v128, v142, -v6
	v_add_f32_e32 v1, v1, v4
	v_fmac_f32_e32 v3, v129, v142
	v_add_f32_e32 v2, v2, v139
	v_add_f32_e32 v1, v1, v5
	;; [unrolled: 1-line block ×3, first 2 shown]
	v_sub_f32_e32 v1, v171, v1
	v_sub_f32_e32 v2, v160, v2
	buffer_store_dword v1, off, s[0:3], 0 offset:104
	buffer_store_dword v2, off, s[0:3], 0 offset:108
	v_cmpx_lt_u32_e32 12, v0
	s_cbranch_execz .LBB49_289
; %bb.288:
	s_clause 0x1
	buffer_load_dword v1, off, s[0:3], 0 offset:96
	buffer_load_dword v2, off, s[0:3], 0 offset:100
	v_mov_b32_e32 v3, 0
	buffer_store_dword v3, off, s[0:3], 0 offset:96
	buffer_store_dword v3, off, s[0:3], 0 offset:100
	s_waitcnt vmcnt(0)
	ds_write_b64 v109, v[1:2]
.LBB49_289:
	s_or_b32 exec_lo, exec_lo, s4
	s_waitcnt lgkmcnt(0)
	s_waitcnt_vscnt null, 0x0
	s_barrier
	buffer_gl0_inv
	s_clause 0x2b
	buffer_load_dword v141, off, s[0:3], 0 offset:108
	buffer_load_dword v2, off, s[0:3], 0 offset:120
	;; [unrolled: 1-line block ×44, first 2 shown]
	v_mov_b32_e32 v1, 0
	ds_read2_b64 v[142:145], v1 offset0:63 offset1:64
	ds_read2_b64 v[146:149], v1 offset0:65 offset1:66
	;; [unrolled: 1-line block ×3, first 2 shown]
	buffer_load_dword v160, off, s[0:3], 0 offset:100
	s_mov_b32 s4, exec_lo
	s_waitcnt vmcnt(44) lgkmcnt(2)
	v_mul_f32_e32 v159, v142, v141
	v_mul_f32_e32 v141, v143, v141
	s_waitcnt vmcnt(40)
	v_mul_f32_e32 v162, v144, v110
	v_mul_f32_e32 v110, v145, v110
	v_fmac_f32_e32 v159, v143, v111
	v_fma_f32 v161, v142, v111, -v141
	s_waitcnt vmcnt(39) lgkmcnt(1)
	v_mul_f32_e32 v164, v146, v7
	v_fmac_f32_e32 v162, v145, v5
	v_fma_f32 v163, v144, v5, -v110
	v_mul_f32_e32 v5, v147, v7
	ds_read2_b64 v[141:144], v1 offset0:69 offset1:70
	v_fmac_f32_e32 v164, v147, v2
	s_waitcnt vmcnt(38)
	v_mul_f32_e32 v166, v148, v4
	v_fma_f32 v165, v146, v2, -v5
	v_mul_f32_e32 v2, v149, v4
	s_waitcnt vmcnt(34)
	v_fmac_f32_e32 v166, v149, v115
	s_waitcnt vmcnt(33) lgkmcnt(1)
	v_mul_f32_e32 v149, v150, v114
	v_fma_f32 v115, v148, v115, -v2
	v_mul_f32_e32 v2, v151, v114
	ds_read2_b64 v[145:148], v1 offset0:71 offset1:72
	v_fmac_f32_e32 v149, v151, v112
	v_fma_f32 v114, v150, v112, -v2
	s_waitcnt vmcnt(32)
	v_mul_f32_e32 v150, v152, v113
	v_mul_f32_e32 v2, v153, v113
	ds_read2_b64 v[110:113], v1 offset0:75 offset1:76
	v_fmac_f32_e32 v150, v153, v6
	v_fma_f32 v151, v152, v6, -v2
	s_waitcnt vmcnt(31) lgkmcnt(2)
	v_mul_f32_e32 v2, v142, v8
	ds_read2_b64 v[4:7], v1 offset0:73 offset1:74
	v_mul_f32_e32 v152, v141, v8
	v_fma_f32 v8, v141, v3, -v2
	s_waitcnt vmcnt(30)
	v_mul_f32_e32 v2, v144, v116
	v_mul_f32_e32 v141, v143, v116
	v_fmac_f32_e32 v152, v142, v3
	s_waitcnt vmcnt(24) lgkmcnt(2)
	v_mul_f32_e32 v142, v147, v121
	v_fma_f32 v116, v143, v124, -v2
	v_mul_f32_e32 v2, v146, v123
	v_fmac_f32_e32 v141, v144, v124
	v_mul_f32_e32 v124, v145, v123
	v_fmac_f32_e32 v142, v148, v118
	v_fma_f32 v123, v145, v120, -v2
	v_mul_f32_e32 v2, v148, v121
	v_fmac_f32_e32 v124, v146, v120
	s_waitcnt vmcnt(23) lgkmcnt(0)
	v_mul_f32_e32 v144, v4, v119
	s_waitcnt vmcnt(22)
	v_mul_f32_e32 v145, v6, v122
	v_fma_f32 v143, v147, v118, -v2
	v_mul_f32_e32 v2, v5, v119
	ds_read2_b64 v[118:121], v1 offset0:77 offset1:78
	v_fmac_f32_e32 v144, v5, v117
	s_waitcnt vmcnt(18)
	v_fmac_f32_e32 v145, v7, v133
	v_fma_f32 v117, v4, v117, -v2
	v_mul_f32_e32 v2, v7, v122
	s_waitcnt vmcnt(17)
	v_mul_f32_e32 v7, v110, v132
	s_waitcnt vmcnt(16)
	v_mul_f32_e32 v122, v112, v131
	v_mul_f32_e32 v131, v113, v131
	v_fma_f32 v6, v6, v133, -v2
	v_mul_f32_e32 v2, v111, v132
	v_fmac_f32_e32 v7, v111, v129
	v_fmac_f32_e32 v122, v113, v126
	v_fma_f32 v126, v112, v126, -v131
	v_add_f32_e32 v112, 0, v159
	v_fma_f32 v129, v110, v129, -v2
	ds_read2_b64 v[2:5], v1 offset0:79 offset1:80
	s_clause 0x2
	buffer_load_dword v131, off, s[0:3], 0 offset:276
	buffer_load_dword v132, off, s[0:3], 0 offset:284
	;; [unrolled: 1-line block ×3, first 2 shown]
	s_waitcnt vmcnt(18) lgkmcnt(1)
	v_mul_f32_e32 v133, v118, v127
	v_mul_f32_e32 v110, v119, v127
	s_waitcnt vmcnt(17)
	v_mul_f32_e32 v127, v120, v130
	v_mul_f32_e32 v111, v121, v130
	v_fmac_f32_e32 v133, v119, v125
	v_fma_f32 v118, v118, v125, -v110
	s_waitcnt vmcnt(13)
	v_fmac_f32_e32 v127, v121, v140
	v_fma_f32 v119, v120, v140, -v111
	v_add_f32_e32 v121, v112, v162
	ds_read2_b64 v[110:113], v1 offset0:81 offset1:82
	v_add_f32_e32 v120, 0, v161
	v_add_f32_e32 v121, v121, v164
	;; [unrolled: 1-line block ×3, first 2 shown]
	s_waitcnt vmcnt(12) lgkmcnt(1)
	v_mul_f32_e32 v125, v2, v139
	v_mul_f32_e32 v130, v3, v139
	s_clause 0x3
	buffer_load_dword v139, off, s[0:3], 0 offset:312
	buffer_load_dword v140, off, s[0:3], 0 offset:304
	;; [unrolled: 1-line block ×4, first 2 shown]
	v_fmac_f32_e32 v125, v3, v138
	v_fma_f32 v130, v2, v138, -v130
	s_clause 0x1
	buffer_load_dword v138, off, s[0:3], 0 offset:300
	buffer_load_dword v153, off, s[0:3], 0 offset:308
	v_add_f32_e32 v2, v120, v165
	v_add_f32_e32 v3, v121, v166
	s_waitcnt vmcnt(17)
	v_mul_f32_e32 v120, v4, v137
	v_mul_f32_e32 v121, v5, v137
	buffer_load_dword v137, off, s[0:3], 0 offset:316
	v_add_f32_e32 v2, v2, v115
	v_add_f32_e32 v3, v3, v149
	v_fmac_f32_e32 v120, v5, v135
	v_fma_f32 v121, v4, v135, -v121
	s_clause 0x3
	buffer_load_dword v135, off, s[0:3], 0 offset:324
	buffer_load_dword v149, off, s[0:3], 0 offset:332
	;; [unrolled: 1-line block ×4, first 2 shown]
	v_add_f32_e32 v114, v2, v114
	v_add_f32_e32 v115, v3, v150
	ds_read2_b64 v[2:5], v1 offset0:83 offset1:84
	s_waitcnt vmcnt(21) lgkmcnt(1)
	v_mul_f32_e32 v150, v110, v134
	v_mul_f32_e32 v134, v111, v134
	v_add_f32_e32 v114, v114, v151
	v_add_f32_e32 v115, v115, v152
	s_waitcnt vmcnt(20)
	v_mul_f32_e32 v151, v112, v136
	v_fmac_f32_e32 v150, v111, v128
	v_fma_f32 v128, v110, v128, -v134
	v_add_f32_e32 v8, v114, v8
	v_add_f32_e32 v110, v115, v141
	v_mul_f32_e32 v114, v113, v136
	s_clause 0x4
	buffer_load_dword v134, off, s[0:3], 0 offset:356
	buffer_load_dword v136, off, s[0:3], 0 offset:364
	;; [unrolled: 1-line block ×5, first 2 shown]
	v_add_f32_e32 v8, v8, v116
	s_clause 0x4
	buffer_load_dword v163, off, s[0:3], 0 offset:344
	buffer_load_dword v164, off, s[0:3], 0 offset:336
	;; [unrolled: 1-line block ×5, first 2 shown]
	v_add_f32_e32 v110, v110, v124
	s_waitcnt vmcnt(26)
	v_fmac_f32_e32 v151, v113, v157
	v_fma_f32 v157, v112, v157, -v114
	v_add_f32_e32 v8, v8, v123
	v_add_f32_e32 v110, v110, v142
	s_waitcnt vmcnt(25) lgkmcnt(0)
	v_mul_f32_e32 v115, v3, v158
	v_mul_f32_e32 v142, v2, v158
	v_add_f32_e32 v8, v8, v143
	v_add_f32_e32 v114, v110, v144
	ds_read2_b64 v[110:113], v1 offset0:85 offset1:86
	v_fma_f32 v123, v2, v156, -v115
	v_add_f32_e32 v8, v8, v117
	v_fmac_f32_e32 v142, v3, v156
	v_add_f32_e32 v114, v114, v145
	v_add_f32_e32 v2, v8, v6
	s_clause 0x3
	buffer_load_dword v8, off, s[0:3], 0 offset:376
	buffer_load_dword v143, off, s[0:3], 0 offset:368
	;; [unrolled: 1-line block ×4, first 2 shown]
	v_add_f32_e32 v3, v114, v7
	v_add_f32_e32 v2, v2, v129
	s_clause 0x1
	buffer_load_dword v129, off, s[0:3], 0 offset:392
	buffer_load_dword v156, off, s[0:3], 0 offset:384
	v_add_f32_e32 v3, v3, v122
	ds_read2_b64 v[114:117], v1 offset0:89 offset1:90
	v_add_f32_e32 v2, v2, v126
	buffer_load_dword v126, off, s[0:3], 0 offset:96
	v_add_f32_e32 v6, v3, v133
	v_add_f32_e32 v7, v2, v118
	;; [unrolled: 1-line block ×11, first 2 shown]
	s_waitcnt vmcnt(30)
	v_mul_f32_e32 v133, v4, v131
	v_mul_f32_e32 v3, v5, v131
	s_waitcnt vmcnt(29) lgkmcnt(1)
	v_mul_f32_e32 v118, v111, v132
	v_mul_f32_e32 v127, v110, v132
	s_waitcnt vmcnt(28)
	v_mul_f32_e32 v119, v113, v146
	v_fmac_f32_e32 v133, v5, v155
	v_fma_f32 v131, v4, v155, -v3
	ds_read2_b64 v[2:5], v1 offset0:87 offset1:88
	v_fma_f32 v130, v110, v154, -v118
	v_mul_f32_e32 v132, v112, v146
	v_fmac_f32_e32 v127, v111, v154
	s_waitcnt vmcnt(24)
	v_fma_f32 v146, v112, v148, -v119
	v_fmac_f32_e32 v132, v113, v148
	ds_read2_b64 v[110:113], v1 offset0:91 offset1:92
	ds_read2_b64 v[118:121], v1 offset0:93 offset1:94
	s_waitcnt vmcnt(23) lgkmcnt(2)
	v_mul_f32_e32 v128, v2, v138
	v_mul_f32_e32 v122, v3, v138
	s_waitcnt vmcnt(22)
	v_mul_f32_e32 v138, v4, v153
	v_mul_f32_e32 v148, v5, v153
	v_fmac_f32_e32 v128, v3, v147
	v_fma_f32 v147, v2, v147, -v122
	v_add_f32_e32 v2, v6, v151
	v_add_f32_e32 v6, v7, v123
	v_fmac_f32_e32 v138, v5, v140
	v_fma_f32 v140, v4, v140, -v148
	s_waitcnt vmcnt(21)
	v_mul_f32_e32 v148, v114, v137
	v_add_f32_e32 v142, v2, v142
	v_add_f32_e32 v131, v6, v131
	ds_read2_b64 v[122:125], v1 offset0:95 offset1:96
	ds_read2_b64 v[2:5], v1 offset0:97 offset1:98
	v_fmac_f32_e32 v148, v115, v139
	v_add_f32_e32 v133, v142, v133
	v_add_f32_e32 v130, v131, v130
	v_mul_f32_e32 v131, v115, v137
	s_waitcnt vmcnt(20)
	v_mul_f32_e32 v142, v116, v135
	v_mul_f32_e32 v135, v117, v135
	v_add_f32_e32 v127, v133, v127
	v_add_f32_e32 v130, v130, v146
	v_fma_f32 v114, v114, v139, -v131
	s_waitcnt vmcnt(19) lgkmcnt(3)
	v_mul_f32_e32 v133, v110, v149
	v_mul_f32_e32 v139, v111, v149
	v_add_f32_e32 v127, v127, v132
	v_add_f32_e32 v130, v130, v147
	s_waitcnt vmcnt(8)
	v_fma_f32 v116, v116, v166, -v135
	v_fmac_f32_e32 v142, v117, v166
	v_fmac_f32_e32 v133, v111, v165
	v_add_f32_e32 v127, v127, v128
	v_add_f32_e32 v130, v130, v140
	v_fma_f32 v110, v110, v165, -v139
	v_mul_f32_e32 v137, v112, v159
	s_waitcnt lgkmcnt(2)
	v_mul_f32_e32 v146, v118, v161
	v_add_f32_e32 v127, v127, v138
	v_add_f32_e32 v114, v130, v114
	v_mul_f32_e32 v132, v120, v134
	v_fmac_f32_e32 v137, v113, v164
	v_fmac_f32_e32 v146, v119, v163
	v_add_f32_e32 v117, v127, v148
	v_mul_f32_e32 v127, v113, v159
	v_add_f32_e32 v111, v114, v116
	v_mul_f32_e32 v116, v119, v161
	v_mul_f32_e32 v113, v121, v134
	v_add_f32_e32 v114, v117, v142
	v_fma_f32 v112, v112, v164, -v127
	v_add_f32_e32 v110, v111, v110
	ds_read_b64 v[6:7], v1 offset:792
	s_waitcnt vmcnt(3)
	v_fma_f32 v113, v120, v145, -v113
	v_add_f32_e32 v111, v114, v133
	v_fma_f32 v114, v118, v163, -v116
	v_add_f32_e32 v110, v110, v112
	s_waitcnt lgkmcnt(2)
	v_mul_f32_e32 v112, v123, v136
	v_mul_f32_e32 v147, v122, v136
	v_add_f32_e32 v111, v111, v137
	v_fmac_f32_e32 v132, v121, v145
	v_add_f32_e32 v110, v110, v114
	v_mul_f32_e32 v114, v125, v141
	v_fma_f32 v112, v122, v144, -v112
	v_add_f32_e32 v111, v111, v146
	v_mul_f32_e32 v115, v124, v141
	v_add_f32_e32 v110, v110, v113
	v_fmac_f32_e32 v147, v123, v144
	s_waitcnt lgkmcnt(1)
	v_mul_f32_e32 v128, v2, v152
	v_add_f32_e32 v111, v111, v132
	v_mul_f32_e32 v113, v3, v152
	v_fma_f32 v114, v124, v143, -v114
	v_add_f32_e32 v110, v110, v112
	v_fmac_f32_e32 v115, v125, v143
	v_add_f32_e32 v111, v111, v147
	v_mul_f32_e32 v112, v5, v162
	v_fmac_f32_e32 v128, v3, v8
	v_fma_f32 v2, v2, v8, -v113
	v_add_f32_e32 v3, v110, v114
	v_mul_f32_e32 v131, v4, v162
	v_add_f32_e32 v8, v111, v115
	s_waitcnt lgkmcnt(0)
	v_mul_f32_e32 v110, v7, v167
	s_waitcnt vmcnt(1)
	v_fma_f32 v4, v4, v156, -v112
	v_add_f32_e32 v2, v3, v2
	v_mul_f32_e32 v138, v6, v167
	v_fmac_f32_e32 v131, v5, v156
	v_add_f32_e32 v3, v8, v128
	v_fma_f32 v5, v6, v129, -v110
	v_add_f32_e32 v2, v2, v4
	v_fmac_f32_e32 v138, v7, v129
	v_add_f32_e32 v3, v3, v131
	v_add_f32_e32 v2, v2, v5
	;; [unrolled: 1-line block ×3, first 2 shown]
	s_waitcnt vmcnt(0)
	v_sub_f32_e32 v2, v126, v2
	v_sub_f32_e32 v3, v160, v3
	buffer_store_dword v2, off, s[0:3], 0 offset:96
	buffer_store_dword v3, off, s[0:3], 0 offset:100
	v_cmpx_lt_u32_e32 11, v0
	s_cbranch_execz .LBB49_291
; %bb.290:
	s_clause 0x1
	buffer_load_dword v2, off, s[0:3], 0 offset:88
	buffer_load_dword v3, off, s[0:3], 0 offset:92
	buffer_store_dword v1, off, s[0:3], 0 offset:88
	buffer_store_dword v1, off, s[0:3], 0 offset:92
	s_waitcnt vmcnt(0)
	ds_write_b64 v109, v[2:3]
.LBB49_291:
	s_or_b32 exec_lo, exec_lo, s4
	s_waitcnt lgkmcnt(0)
	s_waitcnt_vscnt null, 0x0
	s_barrier
	buffer_gl0_inv
	s_clause 0x2b
	buffer_load_dword v6, off, s[0:3], 0 offset:100
	buffer_load_dword v7, off, s[0:3], 0 offset:112
	;; [unrolled: 1-line block ×44, first 2 shown]
	ds_read_b128 v[2:5], v1 offset:496
	ds_read_b128 v[110:113], v1 offset:512
	;; [unrolled: 1-line block ×3, first 2 shown]
	buffer_load_dword v160, off, s[0:3], 0 offset:92
	s_mov_b32 s4, exec_lo
	s_waitcnt vmcnt(44) lgkmcnt(2)
	v_mul_f32_e32 v159, v3, v6
	v_mul_f32_e32 v6, v2, v6
	s_waitcnt vmcnt(41)
	v_fma_f32 v159, v2, v118, -v159
	v_fmac_f32_e32 v6, v3, v118
	s_waitcnt vmcnt(40)
	v_mul_f32_e32 v118, v4, v119
	v_mul_f32_e32 v2, v5, v119
	s_waitcnt vmcnt(39) lgkmcnt(1)
	v_mul_f32_e32 v119, v110, v120
	v_mul_f32_e32 v120, v111, v120
	v_add_f32_e32 v6, 0, v6
	v_fmac_f32_e32 v118, v5, v8
	v_fma_f32 v8, v4, v8, -v2
	ds_read_b128 v[2:5], v1 offset:544
	v_fmac_f32_e32 v119, v111, v7
	v_fma_f32 v7, v110, v7, -v120
	s_waitcnt vmcnt(38)
	v_mul_f32_e32 v120, v112, v121
	v_mul_f32_e32 v110, v113, v121
	v_add_f32_e32 v6, v6, v118
	s_waitcnt vmcnt(34)
	v_fmac_f32_e32 v120, v113, v125
	v_fma_f32 v121, v112, v125, -v110
	s_waitcnt vmcnt(33) lgkmcnt(1)
	v_mul_f32_e32 v125, v114, v126
	v_mul_f32_e32 v126, v115, v126
	ds_read_b128 v[110:113], v1 offset:560
	v_add_f32_e32 v6, v6, v119
	v_fmac_f32_e32 v125, v115, v124
	v_fma_f32 v124, v114, v124, -v126
	s_waitcnt vmcnt(32)
	v_mul_f32_e32 v126, v116, v127
	v_mul_f32_e32 v114, v117, v127
	v_add_f32_e32 v6, v6, v120
	s_waitcnt vmcnt(31) lgkmcnt(1)
	v_mul_f32_e32 v127, v2, v128
	v_mul_f32_e32 v128, v3, v128
	v_fmac_f32_e32 v126, v117, v123
	v_fma_f32 v123, v116, v123, -v114
	ds_read_b128 v[114:117], v1 offset:576
	v_fmac_f32_e32 v127, v3, v122
	v_fma_f32 v122, v2, v122, -v128
	s_waitcnt vmcnt(30)
	v_mul_f32_e32 v128, v4, v129
	v_mul_f32_e32 v2, v5, v129
	v_add_f32_e32 v6, v6, v125
	s_waitcnt vmcnt(26)
	v_fmac_f32_e32 v128, v5, v133
	v_fma_f32 v129, v4, v133, -v2
	s_waitcnt vmcnt(25) lgkmcnt(1)
	v_mul_f32_e32 v133, v110, v134
	v_mul_f32_e32 v2, v111, v134
	s_waitcnt vmcnt(24)
	v_mul_f32_e32 v134, v112, v135
	v_mul_f32_e32 v135, v113, v135
	v_add_f32_e32 v6, v6, v126
	v_fmac_f32_e32 v133, v111, v132
	v_fma_f32 v132, v110, v132, -v2
	ds_read_b128 v[2:5], v1 offset:592
	v_fmac_f32_e32 v134, v113, v131
	v_fma_f32 v131, v112, v131, -v135
	ds_read_b128 v[110:113], v1 offset:608
	s_waitcnt vmcnt(23) lgkmcnt(2)
	v_mul_f32_e32 v135, v114, v136
	v_mul_f32_e32 v136, v115, v136
	v_fmac_f32_e32 v135, v115, v130
	v_fma_f32 v114, v114, v130, -v136
	s_waitcnt vmcnt(22)
	v_mul_f32_e32 v115, v116, v137
	v_mul_f32_e32 v130, v117, v137
	s_waitcnt vmcnt(18)
	v_fmac_f32_e32 v115, v117, v141
	v_fma_f32 v116, v116, v141, -v130
	s_clause 0x1
	buffer_load_dword v117, off, s[0:3], 0 offset:268
	buffer_load_dword v130, off, s[0:3], 0 offset:276
	s_waitcnt vmcnt(19) lgkmcnt(1)
	v_mul_f32_e32 v136, v2, v142
	v_mul_f32_e32 v137, v3, v142
	s_waitcnt vmcnt(18)
	v_mul_f32_e32 v141, v4, v143
	v_mul_f32_e32 v142, v5, v143
	s_waitcnt vmcnt(17) lgkmcnt(0)
	v_mul_f32_e32 v143, v110, v144
	v_mul_f32_e32 v144, v111, v144
	v_fmac_f32_e32 v136, v3, v140
	v_fma_f32 v137, v2, v140, -v137
	v_fmac_f32_e32 v141, v5, v139
	v_fmac_f32_e32 v143, v111, v138
	v_fma_f32 v138, v110, v138, -v144
	v_add_f32_e32 v110, 0, v159
	v_fma_f32 v139, v4, v139, -v142
	ds_read_b128 v[2:5], v1 offset:624
	s_waitcnt vmcnt(16)
	v_mul_f32_e32 v140, v112, v145
	v_mul_f32_e32 v145, v113, v145
	v_add_f32_e32 v8, v110, v8
	s_waitcnt vmcnt(12)
	v_fmac_f32_e32 v140, v113, v149
	v_fma_f32 v142, v112, v149, -v145
	s_clause 0x4
	buffer_load_dword v144, off, s[0:3], 0 offset:284
	buffer_load_dword v145, off, s[0:3], 0 offset:304
	;; [unrolled: 1-line block ×5, first 2 shown]
	v_add_f32_e32 v7, v8, v7
	s_clause 0x2
	buffer_load_dword v8, off, s[0:3], 0 offset:292
	buffer_load_dword v162, off, s[0:3], 0 offset:300
	;; [unrolled: 1-line block ×3, first 2 shown]
	ds_read_b128 v[110:113], v1 offset:640
	v_add_f32_e32 v7, v7, v121
	v_add_f32_e32 v7, v7, v124
	s_waitcnt vmcnt(19) lgkmcnt(1)
	v_mul_f32_e32 v118, v2, v150
	v_mul_f32_e32 v119, v3, v150
	s_waitcnt vmcnt(18)
	v_mul_f32_e32 v120, v4, v151
	v_mul_f32_e32 v121, v5, v151
	v_fmac_f32_e32 v118, v3, v148
	v_add_f32_e32 v3, v7, v123
	v_fma_f32 v7, v2, v148, -v119
	v_fmac_f32_e32 v120, v5, v147
	v_fma_f32 v119, v4, v147, -v121
	v_add_f32_e32 v2, v3, v122
	v_add_f32_e32 v3, v6, v127
	s_clause 0x7
	buffer_load_dword v6, off, s[0:3], 0 offset:316
	buffer_load_dword v147, off, s[0:3], 0 offset:324
	;; [unrolled: 1-line block ×8, first 2 shown]
	s_waitcnt vmcnt(25) lgkmcnt(0)
	v_mul_f32_e32 v4, v111, v152
	v_mul_f32_e32 v121, v110, v152
	v_add_f32_e32 v2, v2, v129
	v_add_f32_e32 v3, v3, v128
	s_clause 0x3
	buffer_load_dword v152, off, s[0:3], 0 offset:348
	buffer_load_dword v167, off, s[0:3], 0 offset:356
	;; [unrolled: 1-line block ×4, first 2 shown]
	v_fma_f32 v122, v110, v146, -v4
	v_fmac_f32_e32 v121, v111, v146
	v_add_f32_e32 v2, v2, v132
	v_add_f32_e32 v110, v3, v133
	s_waitcnt vmcnt(28)
	v_mul_f32_e32 v3, v113, v153
	s_clause 0x1
	buffer_load_dword v132, off, s[0:3], 0 offset:380
	buffer_load_dword v146, off, s[0:3], 0 offset:388
	v_mul_f32_e32 v123, v112, v153
	v_add_f32_e32 v111, v2, v131
	v_add_f32_e32 v110, v110, v134
	s_waitcnt vmcnt(26)
	v_fma_f32 v124, v112, v157, -v3
	ds_read_b128 v[2:5], v1 offset:656
	buffer_load_dword v131, off, s[0:3], 0 offset:396
	v_add_f32_e32 v111, v111, v114
	v_add_f32_e32 v110, v110, v135
	s_clause 0x3
	buffer_load_dword v133, off, s[0:3], 0 offset:368
	buffer_load_dword v134, off, s[0:3], 0 offset:360
	;; [unrolled: 1-line block ×4, first 2 shown]
	v_fmac_f32_e32 v123, v113, v157
	v_add_f32_e32 v111, v111, v116
	v_add_f32_e32 v110, v110, v115
	;; [unrolled: 1-line block ×4, first 2 shown]
	ds_read_b128 v[110:113], v1 offset:672
	v_add_f32_e32 v114, v114, v139
	s_waitcnt vmcnt(30) lgkmcnt(1)
	v_mul_f32_e32 v125, v2, v158
	v_mul_f32_e32 v116, v3, v158
	v_fmac_f32_e32 v125, v3, v156
	v_add_f32_e32 v3, v114, v138
	s_clause 0x3
	buffer_load_dword v136, off, s[0:3], 0 offset:392
	buffer_load_dword v137, off, s[0:3], 0 offset:384
	;; [unrolled: 1-line block ×4, first 2 shown]
	v_fma_f32 v126, v2, v156, -v116
	v_add_f32_e32 v2, v115, v141
	v_add_f32_e32 v3, v3, v142
	v_add_f32_e32 v2, v2, v143
	v_add_f32_e32 v7, v3, v7
	v_add_f32_e32 v115, v2, v140
	v_add_f32_e32 v7, v7, v119
	v_add_f32_e32 v118, v115, v118
	v_add_f32_e32 v7, v7, v122
	v_add_f32_e32 v118, v118, v120
	v_add_f32_e32 v7, v7, v124
	v_add_f32_e32 v122, v118, v121
	v_add_f32_e32 v7, v7, v126
	v_add_f32_e32 v122, v122, v123
	s_waitcnt vmcnt(32)
	v_mul_f32_e32 v127, v4, v117
	v_mul_f32_e32 v114, v5, v117
	s_waitcnt vmcnt(31) lgkmcnt(0)
	v_mul_f32_e32 v140, v110, v130
	v_mul_f32_e32 v119, v111, v130
	v_fmac_f32_e32 v127, v5, v155
	v_fma_f32 v128, v4, v155, -v114
	ds_read_b128 v[2:5], v1 offset:688
	ds_read_b128 v[114:117], v1 offset:704
	v_fmac_f32_e32 v140, v111, v154
	v_fma_f32 v129, v110, v154, -v119
	v_add_f32_e32 v154, v122, v125
	v_add_f32_e32 v7, v7, v128
	;; [unrolled: 1-line block ×4, first 2 shown]
	s_waitcnt vmcnt(30)
	v_mul_f32_e32 v120, v113, v144
	v_mul_f32_e32 v130, v112, v144
	s_waitcnt vmcnt(26)
	v_fma_f32 v141, v112, v161, -v120
	v_fmac_f32_e32 v130, v113, v161
	s_waitcnt vmcnt(25) lgkmcnt(1)
	v_mul_f32_e32 v142, v2, v8
	v_mul_f32_e32 v8, v3, v8
	s_waitcnt vmcnt(24)
	v_mul_f32_e32 v143, v4, v162
	v_mul_f32_e32 v123, v5, v162
	s_waitcnt vmcnt(23) lgkmcnt(0)
	v_mul_f32_e32 v126, v115, v163
	ds_read_b128 v[110:113], v1 offset:720
	ds_read_b128 v[118:121], v1 offset:736
	v_mul_f32_e32 v144, v114, v163
	v_fmac_f32_e32 v142, v3, v159
	v_fma_f32 v8, v2, v159, -v8
	v_fmac_f32_e32 v143, v5, v149
	v_fma_f32 v149, v4, v149, -v123
	ds_read_b128 v[2:5], v1 offset:752
	ds_read_b128 v[122:125], v1 offset:768
	v_fma_f32 v114, v114, v145, -v126
	ds_read_b128 v[126:129], v1 offset:784
	v_add_f32_e32 v1, v154, v140
	v_add_f32_e32 v7, v7, v141
	v_fmac_f32_e32 v144, v115, v145
	s_waitcnt vmcnt(22)
	v_mul_f32_e32 v115, v116, v6
	v_mul_f32_e32 v6, v117, v6
	v_add_f32_e32 v1, v1, v130
	v_add_f32_e32 v7, v7, v8
	s_waitcnt vmcnt(15)
	v_fmac_f32_e32 v115, v117, v166
	v_fma_f32 v6, v116, v166, -v6
	v_add_f32_e32 v1, v1, v142
	v_add_f32_e32 v7, v7, v149
	s_waitcnt lgkmcnt(4)
	v_mul_f32_e32 v141, v111, v147
	v_mul_f32_e32 v140, v110, v147
	;; [unrolled: 1-line block ×3, first 2 shown]
	v_add_f32_e32 v1, v1, v143
	v_add_f32_e32 v7, v7, v114
	v_mul_f32_e32 v143, v113, v148
	v_fma_f32 v110, v110, v165, -v141
	v_fmac_f32_e32 v140, v111, v165
	v_add_f32_e32 v1, v1, v144
	v_add_f32_e32 v6, v7, v6
	s_waitcnt lgkmcnt(3)
	v_mul_f32_e32 v7, v119, v150
	v_fma_f32 v111, v112, v164, -v143
	v_mul_f32_e32 v116, v118, v150
	v_add_f32_e32 v1, v1, v115
	v_add_f32_e32 v6, v6, v110
	v_fmac_f32_e32 v130, v113, v164
	s_waitcnt vmcnt(14)
	v_mul_f32_e32 v110, v121, v152
	v_fma_f32 v7, v118, v151, -v7
	v_add_f32_e32 v1, v1, v140
	v_add_f32_e32 v6, v6, v111
	v_mul_f32_e32 v117, v120, v152
	v_fmac_f32_e32 v116, v119, v151
	s_waitcnt vmcnt(13) lgkmcnt(2)
	v_mul_f32_e32 v8, v2, v167
	v_add_f32_e32 v1, v1, v130
	v_mul_f32_e32 v111, v3, v167
	s_waitcnt vmcnt(4)
	v_fma_f32 v110, v120, v153, -v110
	v_add_f32_e32 v6, v6, v7
	v_fmac_f32_e32 v117, v121, v153
	v_add_f32_e32 v1, v1, v116
	v_mul_f32_e32 v7, v5, v168
	v_fmac_f32_e32 v8, v3, v135
	v_fma_f32 v2, v2, v135, -v111
	v_add_f32_e32 v3, v6, v110
	v_mul_f32_e32 v142, v4, v168
	v_add_f32_e32 v1, v1, v117
	s_waitcnt lgkmcnt(1)
	v_mul_f32_e32 v6, v123, v169
	v_fma_f32 v4, v4, v134, -v7
	v_add_f32_e32 v2, v3, v2
	v_mul_f32_e32 v145, v122, v169
	v_fmac_f32_e32 v142, v5, v134
	v_add_f32_e32 v1, v1, v8
	v_mul_f32_e32 v3, v125, v132
	v_fma_f32 v5, v122, v133, -v6
	v_add_f32_e32 v2, v2, v4
	v_mul_f32_e32 v147, v124, v132
	v_fmac_f32_e32 v145, v123, v133
	v_add_f32_e32 v1, v1, v142
	s_waitcnt lgkmcnt(0)
	v_mul_f32_e32 v4, v127, v146
	s_waitcnt vmcnt(1)
	v_fma_f32 v3, v124, v138, -v3
	v_add_f32_e32 v2, v2, v5
	v_mul_f32_e32 v148, v126, v146
	v_fmac_f32_e32 v147, v125, v138
	v_add_f32_e32 v1, v1, v145
	v_mul_f32_e32 v5, v129, v131
	v_fma_f32 v4, v126, v137, -v4
	v_add_f32_e32 v2, v2, v3
	v_mul_f32_e32 v114, v128, v131
	v_fmac_f32_e32 v148, v127, v137
	v_add_f32_e32 v1, v1, v147
	v_fma_f32 v3, v128, v136, -v5
	v_add_f32_e32 v2, v2, v4
	v_fmac_f32_e32 v114, v129, v136
	v_add_f32_e32 v1, v1, v148
	v_add_f32_e32 v2, v2, v3
	;; [unrolled: 1-line block ×3, first 2 shown]
	s_waitcnt vmcnt(0)
	v_sub_f32_e32 v2, v139, v2
	v_sub_f32_e32 v1, v160, v1
	buffer_store_dword v2, off, s[0:3], 0 offset:88
	buffer_store_dword v1, off, s[0:3], 0 offset:92
	v_cmpx_lt_u32_e32 10, v0
	s_cbranch_execz .LBB49_293
; %bb.292:
	s_clause 0x1
	buffer_load_dword v1, off, s[0:3], 0 offset:80
	buffer_load_dword v2, off, s[0:3], 0 offset:84
	v_mov_b32_e32 v3, 0
	buffer_store_dword v3, off, s[0:3], 0 offset:80
	buffer_store_dword v3, off, s[0:3], 0 offset:84
	s_waitcnt vmcnt(0)
	ds_write_b64 v109, v[1:2]
.LBB49_293:
	s_or_b32 exec_lo, exec_lo, s4
	s_waitcnt lgkmcnt(0)
	s_waitcnt_vscnt null, 0x0
	s_barrier
	buffer_gl0_inv
	s_clause 0x2c
	buffer_load_dword v6, off, s[0:3], 0 offset:92
	buffer_load_dword v7, off, s[0:3], 0 offset:100
	;; [unrolled: 1-line block ×45, first 2 shown]
	v_mov_b32_e32 v1, 0
	ds_read2_b64 v[2:5], v1 offset0:61 offset1:62
	ds_read2_b64 v[110:113], v1 offset0:63 offset1:64
	s_clause 0x2
	buffer_load_dword v158, off, s[0:3], 0 offset:84
	buffer_load_dword v159, off, s[0:3], 0 offset:268
	;; [unrolled: 1-line block ×3, first 2 shown]
	s_mov_b32 s4, exec_lo
	s_waitcnt vmcnt(47) lgkmcnt(1)
	v_mul_f32_e32 v156, v3, v6
	v_mul_f32_e32 v6, v2, v6
	s_waitcnt vmcnt(46)
	v_mul_f32_e32 v157, v4, v7
	v_mul_f32_e32 v7, v5, v7
	s_waitcnt vmcnt(43)
	v_fma_f32 v156, v2, v115, -v156
	v_fmac_f32_e32 v6, v3, v115
	v_fmac_f32_e32 v157, v5, v114
	v_fma_f32 v7, v4, v114, -v7
	ds_read2_b64 v[2:5], v1 offset0:65 offset1:66
	s_waitcnt vmcnt(42) lgkmcnt(1)
	v_mul_f32_e32 v114, v110, v116
	v_mul_f32_e32 v115, v111, v116
	s_waitcnt vmcnt(41)
	v_mul_f32_e32 v116, v112, v117
	v_mul_f32_e32 v117, v113, v117
	v_fmac_f32_e32 v114, v111, v8
	v_fma_f32 v8, v110, v8, -v115
	s_waitcnt vmcnt(37)
	v_fmac_f32_e32 v116, v113, v121
	v_fma_f32 v115, v112, v121, -v117
	ds_read2_b64 v[110:113], v1 offset0:67 offset1:68
	s_waitcnt vmcnt(36) lgkmcnt(1)
	v_mul_f32_e32 v117, v2, v122
	v_mul_f32_e32 v121, v3, v122
	s_waitcnt vmcnt(35)
	v_mul_f32_e32 v122, v4, v123
	v_mul_f32_e32 v123, v5, v123
	v_fmac_f32_e32 v117, v3, v120
	v_fma_f32 v120, v2, v120, -v121
	v_fmac_f32_e32 v122, v5, v119
	v_fma_f32 v119, v4, v119, -v123
	ds_read2_b64 v[2:5], v1 offset0:69 offset1:70
	s_waitcnt vmcnt(34) lgkmcnt(1)
	v_mul_f32_e32 v121, v110, v124
	v_mul_f32_e32 v123, v111, v124
	s_waitcnt vmcnt(33)
	v_mul_f32_e32 v124, v112, v125
	v_mul_f32_e32 v125, v113, v125
	v_fmac_f32_e32 v121, v111, v118
	v_fma_f32 v118, v110, v118, -v123
	s_waitcnt vmcnt(29)
	v_fmac_f32_e32 v124, v113, v129
	v_fma_f32 v123, v112, v129, -v125
	ds_read2_b64 v[110:113], v1 offset0:71 offset1:72
	s_waitcnt vmcnt(28) lgkmcnt(1)
	v_mul_f32_e32 v125, v2, v130
	v_mul_f32_e32 v129, v3, v130
	s_waitcnt vmcnt(27)
	v_mul_f32_e32 v130, v4, v131
	v_mul_f32_e32 v131, v5, v131
	v_fmac_f32_e32 v125, v3, v128
	v_fma_f32 v128, v2, v128, -v129
	;; [unrolled: 23-line block ×5, first 2 shown]
	v_fmac_f32_e32 v154, v5, v151
	v_fma_f32 v151, v4, v151, -v155
	s_clause 0x3
	buffer_load_dword v153, off, s[0:3], 0 offset:296
	buffer_load_dword v155, off, s[0:3], 0 offset:288
	;; [unrolled: 1-line block ×4, first 2 shown]
	s_waitcnt vmcnt(5) lgkmcnt(0)
	v_mul_f32_e32 v162, v110, v159
	v_mul_f32_e32 v3, v111, v159
	s_waitcnt vmcnt(4)
	v_mul_f32_e32 v159, v112, v160
	v_mul_f32_e32 v4, v113, v160
	s_clause 0x1
	buffer_load_dword v160, off, s[0:3], 0 offset:284
	buffer_load_dword v164, off, s[0:3], 0 offset:292
	v_fmac_f32_e32 v162, v111, v150
	v_fma_f32 v150, v110, v150, -v3
	v_add_f32_e32 v3, 0, v6
	buffer_load_dword v6, off, s[0:3], 0 offset:308
	v_add_f32_e32 v3, v3, v157
	v_add_f32_e32 v3, v3, v114
	;; [unrolled: 1-line block ×17, first 2 shown]
	s_waitcnt vmcnt(3)
	v_fmac_f32_e32 v159, v113, v2
	v_fma_f32 v163, v112, v2, -v4
	v_add_f32_e32 v2, 0, v156
	buffer_load_dword v156, off, s[0:3], 0 offset:300
	v_add_f32_e32 v2, v2, v7
	v_add_f32_e32 v2, v2, v8
	s_clause 0xa
	buffer_load_dword v8, off, s[0:3], 0 offset:328
	buffer_load_dword v157, off, s[0:3], 0 offset:320
	;; [unrolled: 1-line block ×11, first 2 shown]
	v_add_f32_e32 v2, v2, v115
	s_clause 0x3
	buffer_load_dword v173, off, s[0:3], 0 offset:372
	buffer_load_dword v174, off, s[0:3], 0 offset:380
	;; [unrolled: 1-line block ×4, first 2 shown]
	v_add_f32_e32 v2, v2, v120
	v_add_f32_e32 v2, v2, v119
	;; [unrolled: 1-line block ×9, first 2 shown]
	s_clause 0x3
	buffer_load_dword v127, off, s[0:3], 0 offset:360
	buffer_load_dword v128, off, s[0:3], 0 offset:352
	;; [unrolled: 1-line block ×4, first 2 shown]
	v_add_f32_e32 v2, v2, v126
	v_add_f32_e32 v2, v2, v131
	s_clause 0x4
	buffer_load_dword v126, off, s[0:3], 0 offset:392
	buffer_load_dword v129, off, s[0:3], 0 offset:384
	;; [unrolled: 1-line block ×5, first 2 shown]
	v_add_f32_e32 v2, v2, v136
	v_add_f32_e32 v110, v2, v135
	ds_read2_b64 v[2:5], v1 offset0:85 offset1:86
	v_add_f32_e32 v110, v110, v134
	v_add_f32_e32 v110, v110, v139
	v_add_f32_e32 v115, v110, v144
	ds_read2_b64 v[110:113], v1 offset0:87 offset1:88
	v_add_f32_e32 v115, v115, v143
	s_waitcnt vmcnt(27) lgkmcnt(1)
	v_mul_f32_e32 v133, v2, v160
	v_mul_f32_e32 v116, v3, v160
	s_waitcnt vmcnt(26)
	v_mul_f32_e32 v134, v4, v164
	v_mul_f32_e32 v117, v5, v164
	v_fmac_f32_e32 v133, v3, v161
	v_add_f32_e32 v3, v115, v142
	v_fma_f32 v135, v2, v161, -v116
	v_fmac_f32_e32 v134, v5, v155
	v_fma_f32 v136, v4, v155, -v117
	v_add_f32_e32 v122, v3, v147
	ds_read2_b64 v[2:5], v1 offset0:89 offset1:90
	ds_read2_b64 v[114:117], v1 offset0:91 offset1:92
	;; [unrolled: 1-line block ×3, first 2 shown]
	s_waitcnt vmcnt(25) lgkmcnt(3)
	v_mul_f32_e32 v138, v112, v6
	v_add_f32_e32 v122, v122, v152
	v_mul_f32_e32 v6, v113, v6
	v_add_f32_e32 v122, v122, v151
	s_waitcnt vmcnt(24)
	v_mul_f32_e32 v124, v111, v156
	v_mul_f32_e32 v137, v110, v156
	v_fma_f32 v139, v110, v153, -v124
	v_add_f32_e32 v110, v123, v154
	v_fmac_f32_e32 v137, v111, v153
	v_add_f32_e32 v111, v122, v150
	ds_read2_b64 v[122:125], v1 offset0:95 offset1:96
	s_waitcnt vmcnt(20)
	v_fma_f32 v140, v112, v7, -v6
	v_add_f32_e32 v141, v110, v162
	v_fmac_f32_e32 v138, v113, v7
	v_add_f32_e32 v142, v111, v163
	s_waitcnt vmcnt(19) lgkmcnt(3)
	v_mul_f32_e32 v143, v2, v166
	s_waitcnt vmcnt(18)
	v_mul_f32_e32 v145, v5, v167
	v_add_f32_e32 v141, v141, v159
	v_mul_f32_e32 v144, v4, v167
	v_add_f32_e32 v135, v142, v135
	v_mul_f32_e32 v142, v3, v166
	v_fmac_f32_e32 v143, v3, v165
	v_add_f32_e32 v133, v141, v133
	s_waitcnt vmcnt(17) lgkmcnt(2)
	v_mul_f32_e32 v141, v114, v168
	v_add_f32_e32 v135, v135, v136
	v_fma_f32 v2, v2, v165, -v142
	v_mul_f32_e32 v142, v115, v168
	v_add_f32_e32 v133, v133, v134
	v_fma_f32 v4, v4, v157, -v145
	v_add_f32_e32 v135, v135, v139
	v_fmac_f32_e32 v144, v5, v157
	v_fmac_f32_e32 v141, v115, v8
	v_add_f32_e32 v133, v133, v137
	v_fma_f32 v8, v114, v8, -v142
	v_add_f32_e32 v135, v135, v140
	s_waitcnt vmcnt(16)
	v_mul_f32_e32 v136, v116, v169
	ds_read2_b64 v[110:113], v1 offset0:97 offset1:98
	ds_read_b64 v[6:7], v1 offset:792
	v_add_f32_e32 v133, v133, v138
	s_waitcnt vmcnt(15) lgkmcnt(3)
	v_mul_f32_e32 v146, v118, v170
	v_add_f32_e32 v2, v135, v2
	s_waitcnt vmcnt(14)
	v_mul_f32_e32 v134, v120, v171
	s_waitcnt vmcnt(13) lgkmcnt(2)
	v_mul_f32_e32 v139, v122, v172
	v_add_f32_e32 v5, v133, v143
	v_mul_f32_e32 v133, v117, v169
	v_add_f32_e32 v2, v2, v4
	s_waitcnt vmcnt(6)
	v_fmac_f32_e32 v146, v119, v177
	s_waitcnt vmcnt(5)
	v_fmac_f32_e32 v136, v117, v178
	v_add_f32_e32 v4, v5, v144
	v_mul_f32_e32 v5, v119, v170
	v_fma_f32 v114, v116, v178, -v133
	v_add_f32_e32 v2, v2, v8
	v_mul_f32_e32 v8, v121, v171
	v_add_f32_e32 v4, v4, v141
	v_fma_f32 v5, v118, v177, -v5
	v_fmac_f32_e32 v134, v121, v128
	v_add_f32_e32 v2, v2, v114
	v_mul_f32_e32 v114, v123, v172
	v_add_f32_e32 v4, v4, v136
	v_fma_f32 v8, v120, v128, -v8
	v_mul_f32_e32 v3, v124, v173
	v_add_f32_e32 v2, v2, v5
	v_mul_f32_e32 v5, v125, v173
	v_add_f32_e32 v4, v4, v146
	v_fma_f32 v114, v122, v127, -v114
	v_fmac_f32_e32 v139, v123, v127
	v_add_f32_e32 v2, v2, v8
	s_waitcnt lgkmcnt(1)
	v_mul_f32_e32 v8, v111, v174
	v_add_f32_e32 v4, v4, v134
	s_waitcnt vmcnt(1)
	v_fma_f32 v5, v124, v131, -v5
	v_mul_f32_e32 v137, v110, v174
	v_add_f32_e32 v2, v2, v114
	v_fmac_f32_e32 v3, v125, v131
	v_add_f32_e32 v4, v4, v139
	v_mul_f32_e32 v114, v113, v175
	v_fma_f32 v8, v110, v130, -v8
	v_add_f32_e32 v2, v2, v5
	v_mul_f32_e32 v140, v112, v175
	v_fmac_f32_e32 v137, v111, v130
	v_add_f32_e32 v3, v4, v3
	s_waitcnt lgkmcnt(0)
	v_mul_f32_e32 v4, v7, v176
	v_fma_f32 v5, v112, v129, -v114
	v_add_f32_e32 v2, v2, v8
	v_mul_f32_e32 v138, v6, v176
	v_fmac_f32_e32 v140, v113, v129
	v_add_f32_e32 v3, v3, v137
	v_fma_f32 v4, v6, v126, -v4
	v_add_f32_e32 v2, v2, v5
	v_fmac_f32_e32 v138, v7, v126
	v_add_f32_e32 v3, v3, v140
	v_add_f32_e32 v2, v2, v4
	v_add_f32_e32 v3, v3, v138
	s_waitcnt vmcnt(0)
	v_sub_f32_e32 v2, v132, v2
	v_sub_f32_e32 v3, v158, v3
	buffer_store_dword v2, off, s[0:3], 0 offset:80
	buffer_store_dword v3, off, s[0:3], 0 offset:84
	v_cmpx_lt_u32_e32 9, v0
	s_cbranch_execz .LBB49_295
; %bb.294:
	s_clause 0x1
	buffer_load_dword v2, off, s[0:3], 0 offset:72
	buffer_load_dword v3, off, s[0:3], 0 offset:76
	buffer_store_dword v1, off, s[0:3], 0 offset:72
	buffer_store_dword v1, off, s[0:3], 0 offset:76
	s_waitcnt vmcnt(0)
	ds_write_b64 v109, v[2:3]
.LBB49_295:
	s_or_b32 exec_lo, exec_lo, s4
	s_waitcnt lgkmcnt(0)
	s_waitcnt_vscnt null, 0x0
	s_barrier
	buffer_gl0_inv
	s_clause 0x2c
	buffer_load_dword v6, off, s[0:3], 0 offset:84
	buffer_load_dword v7, off, s[0:3], 0 offset:92
	;; [unrolled: 1-line block ×45, first 2 shown]
	ds_read_b128 v[2:5], v1 offset:480
	ds_read_b128 v[110:113], v1 offset:496
	s_clause 0x2
	buffer_load_dword v158, off, s[0:3], 0 offset:76
	buffer_load_dword v159, off, s[0:3], 0 offset:260
	;; [unrolled: 1-line block ×3, first 2 shown]
	s_mov_b32 s4, exec_lo
	s_waitcnt vmcnt(47) lgkmcnt(1)
	v_mul_f32_e32 v156, v3, v6
	v_mul_f32_e32 v6, v2, v6
	s_waitcnt vmcnt(46)
	v_mul_f32_e32 v157, v4, v7
	v_mul_f32_e32 v7, v5, v7
	s_waitcnt vmcnt(43)
	v_fma_f32 v156, v2, v115, -v156
	v_fmac_f32_e32 v6, v3, v115
	v_fmac_f32_e32 v157, v5, v114
	v_fma_f32 v7, v4, v114, -v7
	ds_read_b128 v[2:5], v1 offset:512
	s_waitcnt vmcnt(42) lgkmcnt(1)
	v_mul_f32_e32 v114, v110, v116
	v_mul_f32_e32 v115, v111, v116
	s_waitcnt vmcnt(41)
	v_mul_f32_e32 v116, v112, v117
	v_mul_f32_e32 v117, v113, v117
	v_fmac_f32_e32 v114, v111, v8
	v_fma_f32 v8, v110, v8, -v115
	s_waitcnt vmcnt(37)
	v_fmac_f32_e32 v116, v113, v121
	v_fma_f32 v115, v112, v121, -v117
	ds_read_b128 v[110:113], v1 offset:528
	s_waitcnt vmcnt(36) lgkmcnt(1)
	v_mul_f32_e32 v117, v2, v122
	v_mul_f32_e32 v121, v3, v122
	s_waitcnt vmcnt(35)
	v_mul_f32_e32 v122, v4, v123
	v_mul_f32_e32 v123, v5, v123
	v_fmac_f32_e32 v117, v3, v120
	v_fma_f32 v120, v2, v120, -v121
	v_fmac_f32_e32 v122, v5, v119
	v_fma_f32 v119, v4, v119, -v123
	ds_read_b128 v[2:5], v1 offset:544
	s_waitcnt vmcnt(34) lgkmcnt(1)
	v_mul_f32_e32 v121, v110, v124
	v_mul_f32_e32 v123, v111, v124
	s_waitcnt vmcnt(33)
	v_mul_f32_e32 v124, v112, v125
	v_mul_f32_e32 v125, v113, v125
	v_fmac_f32_e32 v121, v111, v118
	v_fma_f32 v118, v110, v118, -v123
	s_waitcnt vmcnt(29)
	v_fmac_f32_e32 v124, v113, v129
	v_fma_f32 v123, v112, v129, -v125
	ds_read_b128 v[110:113], v1 offset:560
	s_waitcnt vmcnt(28) lgkmcnt(1)
	v_mul_f32_e32 v125, v2, v130
	v_mul_f32_e32 v129, v3, v130
	s_waitcnt vmcnt(27)
	v_mul_f32_e32 v130, v4, v131
	v_mul_f32_e32 v131, v5, v131
	v_fmac_f32_e32 v125, v3, v128
	v_fma_f32 v128, v2, v128, -v129
	;; [unrolled: 23-line block ×5, first 2 shown]
	v_fmac_f32_e32 v154, v5, v151
	v_fma_f32 v151, v4, v151, -v155
	s_clause 0x5
	buffer_load_dword v153, off, s[0:3], 0 offset:288
	buffer_load_dword v155, off, s[0:3], 0 offset:280
	;; [unrolled: 1-line block ×6, first 2 shown]
	v_add_f32_e32 v4, 0, v6
	buffer_load_dword v6, off, s[0:3], 0 offset:292
	v_add_f32_e32 v3, 0, v156
	s_waitcnt vmcnt(8) lgkmcnt(0)
	v_mul_f32_e32 v5, v111, v159
	s_waitcnt vmcnt(7)
	v_mul_f32_e32 v166, v112, v160
	v_add_f32_e32 v4, v4, v157
	v_add_f32_e32 v3, v3, v7
	v_mul_f32_e32 v7, v110, v159
	v_add_f32_e32 v4, v4, v114
	v_add_f32_e32 v3, v3, v8
	s_clause 0x7
	buffer_load_dword v8, off, s[0:3], 0 offset:300
	buffer_load_dword v156, off, s[0:3], 0 offset:320
	;; [unrolled: 1-line block ×8, first 2 shown]
	v_add_f32_e32 v3, v3, v115
	v_add_f32_e32 v4, v4, v116
	v_fmac_f32_e32 v7, v111, v150
	v_fma_f32 v150, v110, v150, -v5
	v_mul_f32_e32 v5, v113, v160
	v_add_f32_e32 v3, v3, v120
	v_add_f32_e32 v4, v4, v117
	s_clause 0x7
	buffer_load_dword v160, off, s[0:3], 0 offset:316
	buffer_load_dword v169, off, s[0:3], 0 offset:340
	;; [unrolled: 1-line block ×8, first 2 shown]
	v_add_f32_e32 v3, v3, v119
	v_add_f32_e32 v4, v4, v122
	buffer_load_dword v176, off, s[0:3], 0 offset:396
	s_waitcnt vmcnt(20)
	v_fmac_f32_e32 v166, v113, v2
	v_fma_f32 v122, v112, v2, -v5
	v_add_f32_e32 v2, v3, v118
	v_add_f32_e32 v3, v4, v121
	;; [unrolled: 1-line block ×8, first 2 shown]
	s_clause 0x3
	buffer_load_dword v130, off, s[0:3], 0 offset:352
	buffer_load_dword v177, off, s[0:3], 0 offset:344
	buffer_load_dword v178, off, s[0:3], 0 offset:336
	buffer_load_dword v179, off, s[0:3], 0 offset:328
	v_add_f32_e32 v2, v2, v126
	v_add_f32_e32 v3, v3, v129
	v_add_f32_e32 v2, v2, v131
	v_add_f32_e32 v3, v3, v132
	s_clause 0x3
	buffer_load_dword v131, off, s[0:3], 0 offset:384
	buffer_load_dword v132, off, s[0:3], 0 offset:376
	;; [unrolled: 1-line block ×4, first 2 shown]
	v_add_f32_e32 v2, v2, v136
	buffer_load_dword v136, off, s[0:3], 0 offset:392
	v_add_f32_e32 v3, v3, v133
	buffer_load_dword v133, off, s[0:3], 0 offset:72
	v_add_f32_e32 v2, v2, v135
	v_add_f32_e32 v3, v3, v138
	;; [unrolled: 1-line block ×4, first 2 shown]
	ds_read_b128 v[2:5], v1 offset:672
	v_add_f32_e32 v110, v110, v139
	v_add_f32_e32 v111, v111, v140
	;; [unrolled: 1-line block ×4, first 2 shown]
	ds_read_b128 v[110:113], v1 offset:688
	v_add_f32_e32 v114, v114, v143
	v_add_f32_e32 v115, v115, v146
	;; [unrolled: 1-line block ×4, first 2 shown]
	s_waitcnt vmcnt(29) lgkmcnt(1)
	v_mul_f32_e32 v134, v2, v162
	v_mul_f32_e32 v116, v3, v162
	s_waitcnt vmcnt(28)
	v_mul_f32_e32 v135, v4, v163
	v_mul_f32_e32 v117, v5, v163
	v_add_f32_e32 v119, v114, v147
	v_fmac_f32_e32 v134, v3, v161
	v_fma_f32 v126, v2, v161, -v116
	v_fmac_f32_e32 v135, v5, v155
	v_fma_f32 v137, v4, v155, -v117
	ds_read_b128 v[2:5], v1 offset:704
	ds_read_b128 v[114:117], v1 offset:720
	v_add_f32_e32 v118, v118, v148
	s_waitcnt vmcnt(27) lgkmcnt(2)
	v_mul_f32_e32 v138, v110, v6
	v_add_f32_e32 v119, v119, v152
	v_mul_f32_e32 v6, v111, v6
	s_waitcnt vmcnt(26)
	v_mul_f32_e32 v139, v112, v8
	v_add_f32_e32 v118, v118, v149
	v_fmac_f32_e32 v138, v111, v153
	v_add_f32_e32 v111, v119, v151
	v_mul_f32_e32 v8, v113, v8
	v_fma_f32 v6, v110, v153, -v6
	v_add_f32_e32 v123, v118, v154
	s_waitcnt vmcnt(22)
	v_fmac_f32_e32 v139, v113, v164
	v_add_f32_e32 v124, v111, v150
	v_fma_f32 v8, v112, v164, -v8
	ds_read_b128 v[110:113], v1 offset:736
	ds_read_b128 v[118:121], v1 offset:752
	v_add_f32_e32 v7, v123, v7
	v_add_f32_e32 v128, v124, v122
	s_waitcnt vmcnt(21) lgkmcnt(3)
	v_mul_f32_e32 v140, v2, v165
	v_mul_f32_e32 v127, v3, v165
	v_add_f32_e32 v7, v7, v166
	ds_read_b128 v[122:125], v1 offset:768
	s_waitcnt vmcnt(20) lgkmcnt(3)
	v_mul_f32_e32 v141, v115, v167
	v_fmac_f32_e32 v140, v3, v159
	v_add_f32_e32 v3, v128, v126
	v_fma_f32 v2, v2, v159, -v127
	ds_read_b128 v[126:129], v1 offset:784
	v_add_f32_e32 v1, v7, v134
	s_waitcnt vmcnt(18)
	v_mul_f32_e32 v134, v5, v160
	v_add_f32_e32 v3, v3, v137
	v_mul_f32_e32 v7, v4, v160
	v_mul_f32_e32 v137, v114, v167
	v_add_f32_e32 v1, v1, v135
	v_fma_f32 v4, v4, v157, -v134
	v_add_f32_e32 v3, v3, v6
	v_fmac_f32_e32 v7, v5, v157
	v_fma_f32 v114, v114, v156, -v141
	v_add_f32_e32 v1, v1, v138
	v_mul_f32_e32 v135, v116, v168
	v_add_f32_e32 v3, v3, v8
	v_mul_f32_e32 v8, v117, v168
	v_fmac_f32_e32 v137, v115, v156
	v_add_f32_e32 v1, v1, v139
	s_waitcnt vmcnt(17) lgkmcnt(3)
	v_mul_f32_e32 v5, v110, v169
	v_add_f32_e32 v2, v3, v2
	s_waitcnt vmcnt(16)
	v_mul_f32_e32 v134, v112, v170
	s_waitcnt vmcnt(15) lgkmcnt(2)
	v_mul_f32_e32 v6, v118, v171
	v_add_f32_e32 v1, v1, v140
	s_waitcnt vmcnt(14)
	v_mul_f32_e32 v138, v120, v172
	v_add_f32_e32 v2, v2, v4
	v_mul_f32_e32 v4, v111, v169
	s_waitcnt vmcnt(13) lgkmcnt(1)
	v_mul_f32_e32 v142, v122, v173
	v_add_f32_e32 v1, v1, v7
	s_waitcnt vmcnt(12)
	v_mul_f32_e32 v139, v124, v174
	v_add_f32_e32 v2, v2, v114
	s_waitcnt vmcnt(11) lgkmcnt(0)
	v_mul_f32_e32 v143, v126, v175
	s_waitcnt vmcnt(10)
	v_mul_f32_e32 v3, v128, v176
	v_add_f32_e32 v1, v1, v137
	s_waitcnt vmcnt(9)
	v_fmac_f32_e32 v6, v119, v130
	s_waitcnt vmcnt(8)
	v_fmac_f32_e32 v134, v113, v177
	s_waitcnt vmcnt(7)
	v_fma_f32 v4, v110, v178, -v4
	s_waitcnt vmcnt(6)
	v_fma_f32 v7, v116, v179, -v8
	v_fmac_f32_e32 v135, v117, v179
	v_mul_f32_e32 v8, v113, v170
	v_fmac_f32_e32 v5, v111, v178
	v_add_f32_e32 v2, v2, v7
	v_add_f32_e32 v1, v1, v135
	v_mul_f32_e32 v7, v119, v171
	v_fma_f32 v8, v112, v177, -v8
	s_waitcnt vmcnt(3)
	v_fmac_f32_e32 v142, v123, v180
	v_add_f32_e32 v2, v2, v4
	v_add_f32_e32 v1, v1, v5
	v_mul_f32_e32 v4, v121, v172
	v_fma_f32 v5, v118, v130, -v7
	v_mul_f32_e32 v7, v123, v173
	v_add_f32_e32 v2, v2, v8
	v_add_f32_e32 v1, v1, v134
	s_waitcnt vmcnt(2)
	v_fma_f32 v4, v120, v181, -v4
	v_fmac_f32_e32 v138, v121, v181
	v_fmac_f32_e32 v139, v125, v132
	v_add_f32_e32 v2, v2, v5
	v_add_f32_e32 v1, v1, v6
	v_mul_f32_e32 v5, v125, v174
	v_fma_f32 v6, v122, v180, -v7
	v_fmac_f32_e32 v143, v127, v131
	v_add_f32_e32 v2, v2, v4
	v_add_f32_e32 v1, v1, v138
	v_mul_f32_e32 v4, v127, v175
	v_fma_f32 v5, v124, v132, -v5
	s_waitcnt vmcnt(1)
	v_fmac_f32_e32 v3, v129, v136
	v_add_f32_e32 v2, v2, v6
	v_add_f32_e32 v1, v1, v142
	v_mul_f32_e32 v6, v129, v176
	v_fma_f32 v4, v126, v131, -v4
	v_add_f32_e32 v2, v2, v5
	v_add_f32_e32 v1, v1, v139
	v_fma_f32 v5, v128, v136, -v6
	v_add_f32_e32 v2, v2, v4
	v_add_f32_e32 v1, v1, v143
	;; [unrolled: 1-line block ×4, first 2 shown]
	s_waitcnt vmcnt(0)
	v_sub_f32_e32 v2, v133, v2
	v_sub_f32_e32 v1, v158, v1
	buffer_store_dword v2, off, s[0:3], 0 offset:72
	buffer_store_dword v1, off, s[0:3], 0 offset:76
	v_cmpx_lt_u32_e32 8, v0
	s_cbranch_execz .LBB49_297
; %bb.296:
	s_clause 0x1
	buffer_load_dword v1, off, s[0:3], 0 offset:64
	buffer_load_dword v2, off, s[0:3], 0 offset:68
	v_mov_b32_e32 v3, 0
	buffer_store_dword v3, off, s[0:3], 0 offset:64
	buffer_store_dword v3, off, s[0:3], 0 offset:68
	s_waitcnt vmcnt(0)
	ds_write_b64 v109, v[1:2]
.LBB49_297:
	s_or_b32 exec_lo, exec_lo, s4
	s_waitcnt lgkmcnt(0)
	s_waitcnt_vscnt null, 0x0
	s_barrier
	buffer_gl0_inv
	s_clause 0x24
	buffer_load_dword v2, off, s[0:3], 0 offset:76
	buffer_load_dword v3, off, s[0:3], 0 offset:84
	;; [unrolled: 1-line block ×37, first 2 shown]
	v_mov_b32_e32 v1, 0
	ds_read2_b64 v[118:121], v1 offset0:59 offset1:60
	ds_read2_b64 v[122:125], v1 offset0:61 offset1:62
	;; [unrolled: 1-line block ×3, first 2 shown]
	s_clause 0x1
	buffer_load_dword v156, off, s[0:3], 0 offset:220
	buffer_load_dword v157, off, s[0:3], 0 offset:68
	ds_read2_b64 v[130:133], v1 offset0:65 offset1:66
	s_mov_b32 s4, exec_lo
	s_waitcnt vmcnt(38) lgkmcnt(3)
	v_mul_f32_e32 v158, v119, v2
	v_mul_f32_e32 v2, v118, v2
	s_waitcnt vmcnt(37)
	v_mul_f32_e32 v159, v120, v3
	v_mul_f32_e32 v3, v121, v3
	s_waitcnt vmcnt(34)
	v_fma_f32 v158, v118, v136, -v158
	v_fmac_f32_e32 v2, v119, v136
	v_fmac_f32_e32 v159, v121, v135
	v_fma_f32 v3, v120, v135, -v3
	ds_read2_b64 v[118:121], v1 offset0:67 offset1:68
	s_waitcnt vmcnt(33) lgkmcnt(3)
	v_mul_f32_e32 v135, v122, v137
	v_mul_f32_e32 v136, v123, v137
	s_waitcnt vmcnt(32)
	v_mul_f32_e32 v137, v124, v138
	v_mul_f32_e32 v138, v125, v138
	s_waitcnt vmcnt(31) lgkmcnt(2)
	v_mul_f32_e32 v160, v126, v139
	v_fmac_f32_e32 v135, v123, v134
	v_fma_f32 v134, v122, v134, -v136
	s_waitcnt vmcnt(26)
	v_fmac_f32_e32 v137, v125, v144
	v_fma_f32 v138, v124, v144, -v138
	ds_read2_b64 v[122:125], v1 offset0:69 offset1:70
	v_mul_f32_e32 v139, v127, v139
	v_mul_f32_e32 v136, v128, v140
	;; [unrolled: 1-line block ×3, first 2 shown]
	v_fmac_f32_e32 v160, v127, v143
	s_waitcnt vmcnt(24) lgkmcnt(2)
	v_mul_f32_e32 v144, v132, v146
	v_fma_f32 v139, v126, v143, -v139
	v_fmac_f32_e32 v136, v129, v142
	v_fma_f32 v140, v128, v142, -v140
	v_mul_f32_e32 v142, v130, v145
	v_mul_f32_e32 v143, v131, v145
	;; [unrolled: 1-line block ×3, first 2 shown]
	ds_read2_b64 v[126:129], v1 offset0:71 offset1:72
	s_waitcnt vmcnt(19)
	v_fmac_f32_e32 v144, v133, v149
	v_fmac_f32_e32 v142, v131, v141
	v_fma_f32 v130, v130, v141, -v143
	v_fma_f32 v131, v132, v149, -v145
	s_clause 0x4
	buffer_load_dword v132, off, s[0:3], 0 offset:228
	buffer_load_dword v133, off, s[0:3], 0 offset:248
	buffer_load_dword v141, off, s[0:3], 0 offset:240
	buffer_load_dword v143, off, s[0:3], 0 offset:232
	buffer_load_dword v145, off, s[0:3], 0 offset:224
	s_waitcnt lgkmcnt(2)
	v_mul_f32_e32 v146, v118, v147
	v_mul_f32_e32 v147, v119, v147
	s_waitcnt vmcnt(23)
	v_mul_f32_e32 v149, v120, v150
	v_mul_f32_e32 v150, v121, v150
	s_waitcnt vmcnt(21) lgkmcnt(1)
	v_mul_f32_e32 v161, v124, v152
	v_fmac_f32_e32 v146, v119, v148
	v_fma_f32 v147, v118, v148, -v147
	v_mul_f32_e32 v148, v122, v151
	v_mul_f32_e32 v118, v123, v151
	buffer_load_dword v151, off, s[0:3], 0 offset:236
	v_fmac_f32_e32 v149, v121, v115
	v_fma_f32 v150, v120, v115, -v150
	v_mul_f32_e32 v115, v125, v152
	v_fmac_f32_e32 v148, v123, v8
	v_fma_f32 v8, v122, v8, -v118
	ds_read2_b64 v[118:121], v1 offset0:73 offset1:74
	s_waitcnt vmcnt(18)
	v_fmac_f32_e32 v161, v125, v153
	v_fma_f32 v152, v124, v153, -v115
	ds_read2_b64 v[122:125], v1 offset0:75 offset1:76
	s_waitcnt vmcnt(17) lgkmcnt(2)
	v_mul_f32_e32 v153, v126, v154
	v_mul_f32_e32 v115, v127, v154
	s_waitcnt vmcnt(16)
	v_mul_f32_e32 v154, v128, v155
	v_mul_f32_e32 v155, v129, v155
	v_add_f32_e32 v2, 0, v2
	v_fmac_f32_e32 v153, v127, v116
	v_fma_f32 v126, v126, v116, -v115
	v_fmac_f32_e32 v154, v129, v110
	v_fma_f32 v127, v128, v110, -v155
	s_clause 0x2
	buffer_load_dword v128, off, s[0:3], 0 offset:244
	buffer_load_dword v129, off, s[0:3], 0 offset:252
	;; [unrolled: 1-line block ×3, first 2 shown]
	s_waitcnt vmcnt(18) lgkmcnt(1)
	v_mul_f32_e32 v155, v118, v112
	v_mul_f32_e32 v110, v119, v112
	s_waitcnt vmcnt(17)
	v_mul_f32_e32 v162, v120, v111
	v_mul_f32_e32 v111, v121, v111
	v_fmac_f32_e32 v155, v119, v5
	v_fma_f32 v119, v118, v5, -v110
	s_waitcnt vmcnt(13)
	v_fmac_f32_e32 v162, v121, v117
	s_waitcnt vmcnt(12) lgkmcnt(0)
	v_mul_f32_e32 v121, v122, v114
	v_mul_f32_e32 v5, v123, v114
	s_waitcnt vmcnt(11)
	v_mul_f32_e32 v114, v124, v113
	v_mul_f32_e32 v110, v125, v113
	v_fma_f32 v120, v120, v117, -v111
	ds_read2_b64 v[115:118], v1 offset0:77 offset1:78
	v_fmac_f32_e32 v121, v123, v7
	v_fma_f32 v7, v122, v7, -v5
	v_fmac_f32_e32 v114, v125, v6
	v_fma_f32 v6, v124, v6, -v110
	s_clause 0x4
	buffer_load_dword v122, off, s[0:3], 0 offset:280
	buffer_load_dword v123, off, s[0:3], 0 offset:272
	;; [unrolled: 1-line block ×5, first 2 shown]
	v_add_f32_e32 v5, 0, v158
	v_add_f32_e32 v3, v5, v3
	;; [unrolled: 1-line block ×3, first 2 shown]
	s_waitcnt vmcnt(15) lgkmcnt(0)
	v_mul_f32_e32 v158, v115, v156
	v_mul_f32_e32 v110, v116, v156
	v_add_f32_e32 v111, v111, v138
	v_fmac_f32_e32 v158, v116, v4
	buffer_load_dword v116, off, s[0:3], 0 offset:276
	v_fma_f32 v115, v115, v4, -v110
	v_add_f32_e32 v110, v2, v159
	ds_read2_b64 v[2:5], v1 offset0:79 offset1:80
	v_add_f32_e32 v111, v111, v139
	v_add_f32_e32 v110, v110, v135
	buffer_load_dword v135, off, s[0:3], 0 offset:292
	v_add_f32_e32 v110, v110, v137
	v_add_f32_e32 v137, v111, v140
	;; [unrolled: 1-line block ×3, first 2 shown]
	s_waitcnt vmcnt(15)
	v_mul_f32_e32 v134, v117, v132
	v_mul_f32_e32 v112, v118, v132
	buffer_load_dword v132, off, s[0:3], 0 offset:284
	s_waitcnt vmcnt(12)
	v_fmac_f32_e32 v134, v118, v145
	v_add_f32_e32 v118, v110, v160
	v_fma_f32 v117, v117, v145, -v112
	ds_read2_b64 v[110:113], v1 offset0:81 offset1:82
	v_add_f32_e32 v118, v118, v136
	s_clause 0x3
	buffer_load_dword v136, off, s[0:3], 0 offset:312
	buffer_load_dword v137, off, s[0:3], 0 offset:304
	;; [unrolled: 1-line block ×4, first 2 shown]
	s_waitcnt vmcnt(15) lgkmcnt(1)
	v_mul_f32_e32 v138, v2, v151
	v_mul_f32_e32 v139, v3, v151
	v_fmac_f32_e32 v138, v3, v143
	v_fma_f32 v139, v2, v143, -v139
	v_add_f32_e32 v2, v118, v142
	s_clause 0x1
	buffer_load_dword v142, off, s[0:3], 0 offset:300
	buffer_load_dword v143, off, s[0:3], 0 offset:308
	v_add_f32_e32 v3, v130, v131
	buffer_load_dword v130, off, s[0:3], 0 offset:316
	v_add_f32_e32 v2, v2, v144
	v_add_f32_e32 v3, v3, v147
	;; [unrolled: 1-line block ×3, first 2 shown]
	s_waitcnt vmcnt(17)
	v_mul_f32_e32 v118, v4, v128
	v_add_f32_e32 v150, v3, v150
	v_mul_f32_e32 v128, v5, v128
	v_add_f32_e32 v131, v131, v149
	s_waitcnt vmcnt(16) lgkmcnt(0)
	v_mul_f32_e32 v149, v110, v129
	v_add_f32_e32 v8, v150, v8
	v_mul_f32_e32 v129, v111, v129
	v_fmac_f32_e32 v118, v5, v141
	v_add_f32_e32 v131, v131, v148
	v_fma_f32 v128, v4, v141, -v128
	s_clause 0x3
	buffer_load_dword v141, off, s[0:3], 0 offset:324
	buffer_load_dword v144, off, s[0:3], 0 offset:332
	;; [unrolled: 1-line block ×4, first 2 shown]
	ds_read2_b64 v[2:5], v1 offset0:83 offset1:84
	v_add_f32_e32 v8, v8, v152
	s_waitcnt vmcnt(19)
	v_mul_f32_e32 v150, v112, v163
	v_mul_f32_e32 v148, v113, v163
	v_fma_f32 v129, v110, v133, -v129
	v_add_f32_e32 v110, v131, v161
	v_add_f32_e32 v8, v8, v126
	v_fmac_f32_e32 v149, v111, v133
	s_clause 0x3
	buffer_load_dword v131, off, s[0:3], 0 offset:356
	buffer_load_dword v133, off, s[0:3], 0 offset:364
	;; [unrolled: 1-line block ×4, first 2 shown]
	v_add_f32_e32 v110, v110, v153
	v_add_f32_e32 v8, v8, v127
	s_waitcnt vmcnt(19)
	v_fmac_f32_e32 v150, v113, v125
	v_fma_f32 v125, v112, v125, -v148
	s_clause 0x5
	buffer_load_dword v148, off, s[0:3], 0 offset:388
	buffer_load_dword v126, off, s[0:3], 0 offset:344
	;; [unrolled: 1-line block ×6, first 2 shown]
	v_add_f32_e32 v127, v110, v154
	v_add_f32_e32 v8, v8, v119
	ds_read2_b64 v[110:113], v1 offset0:85 offset1:86
	s_waitcnt vmcnt(24) lgkmcnt(1)
	v_mul_f32_e32 v154, v3, v164
	v_add_f32_e32 v119, v127, v155
	v_mul_f32_e32 v127, v2, v164
	v_add_f32_e32 v8, v8, v120
	v_fmac_f32_e32 v127, v3, v124
	v_fma_f32 v124, v2, v124, -v154
	v_add_f32_e32 v3, v8, v7
	s_clause 0x3
	buffer_load_dword v8, off, s[0:3], 0 offset:376
	buffer_load_dword v154, off, s[0:3], 0 offset:368
	;; [unrolled: 1-line block ×4, first 2 shown]
	v_add_f32_e32 v2, v119, v162
	s_clause 0x2
	buffer_load_dword v162, off, s[0:3], 0 offset:392
	buffer_load_dword v163, off, s[0:3], 0 offset:384
	;; [unrolled: 1-line block ×3, first 2 shown]
	v_add_f32_e32 v3, v3, v6
	s_waitcnt vmcnt(30)
	v_mul_f32_e32 v165, v4, v116
	v_add_f32_e32 v2, v2, v121
	v_add_f32_e32 v6, v3, v115
	v_mul_f32_e32 v3, v5, v116
	v_add_f32_e32 v2, v2, v114
	v_fmac_f32_e32 v165, v5, v123
	s_waitcnt vmcnt(29) lgkmcnt(0)
	v_mul_f32_e32 v120, v113, v135
	v_add_f32_e32 v6, v6, v117
	ds_read2_b64 v[114:117], v1 offset0:89 offset1:90
	v_add_f32_e32 v7, v2, v158
	v_fma_f32 v158, v4, v123, -v3
	ds_read2_b64 v[2:5], v1 offset0:87 offset1:88
	v_add_f32_e32 v6, v6, v139
	v_add_f32_e32 v7, v7, v134
	;; [unrolled: 1-line block ×9, first 2 shown]
	s_waitcnt vmcnt(28)
	v_mul_f32_e32 v134, v110, v132
	v_mul_f32_e32 v119, v111, v132
	;; [unrolled: 1-line block ×3, first 2 shown]
	v_fmac_f32_e32 v134, v111, v122
	v_fma_f32 v135, v110, v122, -v119
	s_waitcnt vmcnt(24)
	v_fma_f32 v128, v112, v145, -v120
	v_fmac_f32_e32 v132, v113, v145
	ds_read2_b64 v[110:113], v1 offset0:91 offset1:92
	ds_read2_b64 v[118:121], v1 offset0:93 offset1:94
	s_waitcnt vmcnt(23) lgkmcnt(2)
	v_mul_f32_e32 v129, v2, v142
	v_mul_f32_e32 v122, v3, v142
	s_waitcnt vmcnt(22)
	v_mul_f32_e32 v138, v4, v143
	v_mul_f32_e32 v139, v5, v143
	s_waitcnt vmcnt(21)
	v_mul_f32_e32 v142, v114, v130
	v_fmac_f32_e32 v129, v3, v140
	v_fma_f32 v140, v2, v140, -v122
	v_add_f32_e32 v2, v7, v150
	v_fmac_f32_e32 v138, v5, v137
	v_fma_f32 v137, v4, v137, -v139
	v_add_f32_e32 v139, v6, v158
	v_mul_f32_e32 v130, v115, v130
	v_add_f32_e32 v127, v2, v127
	v_fmac_f32_e32 v142, v115, v136
	ds_read2_b64 v[122:125], v1 offset0:95 offset1:96
	ds_read2_b64 v[2:5], v1 offset0:97 offset1:98
	v_add_f32_e32 v135, v139, v135
	v_add_f32_e32 v127, v127, v165
	v_fma_f32 v114, v114, v136, -v130
	s_waitcnt vmcnt(20)
	v_mul_f32_e32 v139, v117, v141
	v_mul_f32_e32 v143, v116, v141
	v_add_f32_e32 v128, v135, v128
	v_add_f32_e32 v127, v127, v134
	s_waitcnt vmcnt(19) lgkmcnt(3)
	v_mul_f32_e32 v134, v110, v144
	v_mul_f32_e32 v136, v111, v144
	s_waitcnt vmcnt(18)
	v_mul_f32_e32 v135, v112, v146
	v_add_f32_e32 v128, v128, v140
	v_add_f32_e32 v127, v127, v132
	s_waitcnt vmcnt(17) lgkmcnt(2)
	v_mul_f32_e32 v141, v118, v147
	s_waitcnt vmcnt(16)
	v_mul_f32_e32 v132, v120, v131
	ds_read_b64 v[6:7], v1 offset:792
	v_add_f32_e32 v128, v128, v137
	v_add_f32_e32 v127, v127, v129
	s_waitcnt vmcnt(15) lgkmcnt(2)
	v_mul_f32_e32 v140, v122, v133
	s_waitcnt vmcnt(11)
	v_fmac_f32_e32 v141, v119, v126
	v_add_f32_e32 v114, v128, v114
	v_add_f32_e32 v127, v127, v138
	s_waitcnt vmcnt(8)
	v_fma_f32 v116, v116, v159, -v139
	v_fmac_f32_e32 v143, v117, v159
	v_fmac_f32_e32 v134, v111, v156
	v_fma_f32 v110, v110, v156, -v136
	v_add_f32_e32 v117, v127, v142
	v_mul_f32_e32 v127, v113, v146
	v_add_f32_e32 v111, v114, v116
	v_mul_f32_e32 v116, v119, v147
	v_fmac_f32_e32 v135, v113, v153
	v_add_f32_e32 v114, v117, v143
	v_fma_f32 v112, v112, v153, -v127
	v_add_f32_e32 v110, v111, v110
	v_mul_f32_e32 v113, v121, v131
	v_mul_f32_e32 v115, v124, v151
	v_add_f32_e32 v111, v114, v134
	v_fma_f32 v114, v118, v126, -v116
	v_add_f32_e32 v110, v110, v112
	v_mul_f32_e32 v112, v123, v133
	s_waitcnt vmcnt(3)
	v_fma_f32 v113, v120, v161, -v113
	v_add_f32_e32 v111, v111, v135
	v_fmac_f32_e32 v132, v121, v161
	v_add_f32_e32 v110, v110, v114
	v_mul_f32_e32 v114, v125, v151
	v_fma_f32 v112, v122, v155, -v112
	v_add_f32_e32 v111, v111, v141
	v_fmac_f32_e32 v140, v123, v155
	v_add_f32_e32 v110, v110, v113
	s_waitcnt lgkmcnt(1)
	v_mul_f32_e32 v129, v2, v152
	v_mul_f32_e32 v113, v3, v152
	v_add_f32_e32 v111, v111, v132
	v_fma_f32 v114, v124, v154, -v114
	v_add_f32_e32 v110, v110, v112
	v_fmac_f32_e32 v115, v125, v154
	v_mul_f32_e32 v112, v5, v148
	v_add_f32_e32 v111, v111, v140
	v_fmac_f32_e32 v129, v3, v8
	v_fma_f32 v2, v2, v8, -v113
	v_add_f32_e32 v3, v110, v114
	v_mul_f32_e32 v130, v4, v148
	v_add_f32_e32 v8, v111, v115
	s_waitcnt lgkmcnt(0)
	v_mul_f32_e32 v110, v7, v160
	s_waitcnt vmcnt(1)
	v_fma_f32 v4, v4, v163, -v112
	v_add_f32_e32 v2, v3, v2
	v_mul_f32_e32 v137, v6, v160
	v_fmac_f32_e32 v130, v5, v163
	v_add_f32_e32 v3, v8, v129
	v_fma_f32 v5, v6, v162, -v110
	v_add_f32_e32 v2, v2, v4
	v_fmac_f32_e32 v137, v7, v162
	v_add_f32_e32 v3, v3, v130
	v_add_f32_e32 v2, v2, v5
	;; [unrolled: 1-line block ×3, first 2 shown]
	s_waitcnt vmcnt(0)
	v_sub_f32_e32 v2, v164, v2
	v_sub_f32_e32 v3, v157, v3
	buffer_store_dword v2, off, s[0:3], 0 offset:64
	buffer_store_dword v3, off, s[0:3], 0 offset:68
	v_cmpx_lt_u32_e32 7, v0
	s_cbranch_execz .LBB49_299
; %bb.298:
	s_clause 0x1
	buffer_load_dword v2, off, s[0:3], 0 offset:56
	buffer_load_dword v3, off, s[0:3], 0 offset:60
	buffer_store_dword v1, off, s[0:3], 0 offset:56
	buffer_store_dword v1, off, s[0:3], 0 offset:60
	s_waitcnt vmcnt(0)
	ds_write_b64 v109, v[2:3]
.LBB49_299:
	s_or_b32 exec_lo, exec_lo, s4
	s_waitcnt lgkmcnt(0)
	s_waitcnt_vscnt null, 0x0
	s_barrier
	buffer_gl0_inv
	s_clause 0x24
	buffer_load_dword v138, off, s[0:3], 0 offset:68
	buffer_load_dword v2, off, s[0:3], 0 offset:76
	;; [unrolled: 1-line block ×37, first 2 shown]
	ds_read_b128 v[122:125], v1 offset:464
	ds_read_b128 v[126:129], v1 offset:480
	;; [unrolled: 1-line block ×3, first 2 shown]
	s_clause 0x1
	buffer_load_dword v156, off, s[0:3], 0 offset:212
	buffer_load_dword v157, off, s[0:3], 0 offset:220
	ds_read_b128 v[134:137], v1 offset:512
	buffer_load_dword v159, off, s[0:3], 0 offset:60
	s_mov_b32 s4, exec_lo
	s_waitcnt vmcnt(39) lgkmcnt(3)
	v_mul_f32_e32 v158, v123, v138
	v_mul_f32_e32 v138, v122, v138
	s_waitcnt vmcnt(38)
	v_mul_f32_e32 v160, v124, v2
	v_mul_f32_e32 v2, v125, v2
	s_waitcnt vmcnt(35)
	v_fma_f32 v158, v122, v141, -v158
	v_fmac_f32_e32 v138, v123, v141
	v_fmac_f32_e32 v160, v125, v140
	v_fma_f32 v2, v124, v140, -v2
	s_waitcnt vmcnt(33) lgkmcnt(2)
	v_mul_f32_e32 v140, v128, v143
	v_mul_f32_e32 v123, v129, v143
	;; [unrolled: 1-line block ×4, first 2 shown]
	s_waitcnt vmcnt(32) lgkmcnt(1)
	v_mul_f32_e32 v142, v130, v144
	v_mul_f32_e32 v143, v131, v144
	s_waitcnt vmcnt(28)
	v_fmac_f32_e32 v140, v129, v147
	v_fma_f32 v144, v128, v147, -v123
	s_waitcnt vmcnt(27)
	v_mul_f32_e32 v147, v132, v148
	v_mul_f32_e32 v148, v133, v148
	v_fmac_f32_e32 v141, v127, v139
	v_fma_f32 v139, v126, v139, -v122
	ds_read_b128 v[122:125], v1 offset:528
	ds_read_b128 v[126:129], v1 offset:544
	v_fmac_f32_e32 v142, v131, v146
	v_fma_f32 v143, v130, v146, -v143
	s_waitcnt vmcnt(26) lgkmcnt(2)
	v_mul_f32_e32 v146, v134, v149
	v_mul_f32_e32 v130, v135, v149
	v_fmac_f32_e32 v147, v133, v145
	v_fma_f32 v145, v132, v145, -v148
	s_waitcnt vmcnt(25)
	v_mul_f32_e32 v148, v136, v150
	v_mul_f32_e32 v131, v137, v150
	s_clause 0x3
	buffer_load_dword v149, off, s[0:3], 0 offset:240
	buffer_load_dword v150, off, s[0:3], 0 offset:232
	;; [unrolled: 1-line block ×4, first 2 shown]
	v_fmac_f32_e32 v146, v135, v112
	v_fma_f32 v134, v134, v112, -v130
	s_waitcnt vmcnt(25)
	v_fmac_f32_e32 v148, v137, v151
	v_fma_f32 v135, v136, v151, -v131
	ds_read_b128 v[130:133], v1 offset:560
	s_clause 0x1
	buffer_load_dword v163, off, s[0:3], 0 offset:228
	buffer_load_dword v164, off, s[0:3], 0 offset:236
	s_waitcnt vmcnt(26) lgkmcnt(2)
	v_mul_f32_e32 v136, v122, v152
	v_mul_f32_e32 v112, v123, v152
	s_waitcnt vmcnt(25)
	v_mul_f32_e32 v137, v124, v153
	v_mul_f32_e32 v151, v125, v153
	s_waitcnt vmcnt(24) lgkmcnt(1)
	v_mul_f32_e32 v153, v126, v154
	v_fmac_f32_e32 v136, v123, v119
	v_fma_f32 v152, v122, v119, -v112
	v_fmac_f32_e32 v137, v125, v113
	v_fma_f32 v151, v124, v113, -v151
	ds_read_b128 v[122:125], v1 offset:576
	v_mul_f32_e32 v112, v127, v154
	s_waitcnt vmcnt(23)
	v_mul_f32_e32 v113, v129, v118
	v_mul_f32_e32 v154, v128, v118
	v_fmac_f32_e32 v153, v127, v6
	v_fma_f32 v6, v126, v6, -v112
	s_waitcnt vmcnt(19)
	v_fma_f32 v126, v128, v155, -v113
	s_waitcnt vmcnt(18) lgkmcnt(1)
	v_mul_f32_e32 v127, v130, v121
	v_mul_f32_e32 v112, v131, v121
	s_waitcnt vmcnt(17)
	v_mul_f32_e32 v128, v132, v120
	v_mul_f32_e32 v113, v133, v120
	ds_read_b128 v[118:121], v1 offset:592
	v_fmac_f32_e32 v154, v129, v155
	v_fmac_f32_e32 v127, v131, v114
	buffer_load_dword v129, off, s[0:3], 0 offset:244
	v_fma_f32 v114, v130, v114, -v112
	v_fmac_f32_e32 v128, v133, v8
	v_fma_f32 v8, v132, v8, -v113
	s_waitcnt vmcnt(16) lgkmcnt(1)
	v_mul_f32_e32 v131, v124, v110
	v_mul_f32_e32 v110, v125, v110
	;; [unrolled: 1-line block ×4, first 2 shown]
	s_waitcnt vmcnt(12)
	v_fmac_f32_e32 v131, v125, v117
	v_fma_f32 v117, v124, v117, -v110
	buffer_load_dword v124, off, s[0:3], 0 offset:252
	v_fmac_f32_e32 v130, v123, v4
	v_fma_f32 v122, v122, v4, -v111
	ds_read_b128 v[110:113], v1 offset:608
	s_waitcnt vmcnt(12) lgkmcnt(1)
	v_mul_f32_e32 v123, v118, v116
	v_mul_f32_e32 v4, v119, v116
	s_waitcnt vmcnt(11)
	v_mul_f32_e32 v116, v120, v115
	v_mul_f32_e32 v115, v121, v115
	v_fmac_f32_e32 v123, v119, v7
	v_fma_f32 v7, v118, v7, -v4
	v_fmac_f32_e32 v116, v121, v5
	v_fma_f32 v115, v120, v5, -v115
	s_clause 0x4
	buffer_load_dword v118, off, s[0:3], 0 offset:272
	buffer_load_dword v119, off, s[0:3], 0 offset:264
	;; [unrolled: 1-line block ×5, first 2 shown]
	v_add_f32_e32 v4, 0, v158
	v_add_f32_e32 v5, 0, v138
	s_clause 0x1
	buffer_load_dword v132, off, s[0:3], 0 offset:268
	buffer_load_dword v133, off, s[0:3], 0 offset:276
	v_add_f32_e32 v2, v4, v2
	v_add_f32_e32 v4, v5, v160
	s_waitcnt vmcnt(17) lgkmcnt(0)
	v_mul_f32_e32 v138, v110, v156
	v_mul_f32_e32 v5, v111, v156
	v_add_f32_e32 v2, v2, v139
	v_add_f32_e32 v4, v4, v141
	s_waitcnt vmcnt(16)
	v_mul_f32_e32 v141, v113, v157
	v_fmac_f32_e32 v138, v111, v3
	v_fma_f32 v155, v110, v3, -v5
	v_add_f32_e32 v110, v2, v144
	v_add_f32_e32 v111, v4, v140
	ds_read_b128 v[2:5], v1 offset:624
	v_mul_f32_e32 v139, v112, v157
	v_add_f32_e32 v110, v110, v143
	v_add_f32_e32 v111, v111, v142
	v_add_f32_e32 v110, v110, v145
	v_add_f32_e32 v111, v111, v147
	v_add_f32_e32 v110, v110, v134
	v_add_f32_e32 v111, v111, v146
	v_add_f32_e32 v135, v110, v135
	v_add_f32_e32 v147, v111, v148
	v_add_f32_e32 v135, v135, v152
	v_add_f32_e32 v136, v147, v136
	s_waitcnt vmcnt(11)
	v_fma_f32 v140, v112, v162, -v141
	s_clause 0x7
	buffer_load_dword v141, off, s[0:3], 0 offset:284
	buffer_load_dword v142, off, s[0:3], 0 offset:304
	;; [unrolled: 1-line block ×8, first 2 shown]
	v_fmac_f32_e32 v139, v113, v162
	ds_read_b128 v[110:113], v1 offset:640
	s_waitcnt vmcnt(18) lgkmcnt(1)
	v_mul_f32_e32 v148, v2, v163
	v_mul_f32_e32 v157, v3, v163
	s_waitcnt vmcnt(17)
	v_mul_f32_e32 v147, v4, v164
	v_mul_f32_e32 v152, v5, v164
	v_fmac_f32_e32 v148, v3, v161
	v_add_f32_e32 v3, v135, v151
	v_add_f32_e32 v135, v136, v137
	v_fma_f32 v136, v2, v161, -v157
	v_fmac_f32_e32 v147, v5, v150
	v_fma_f32 v137, v4, v150, -v152
	v_add_f32_e32 v2, v3, v6
	v_add_f32_e32 v3, v135, v153
	s_clause 0x7
	buffer_load_dword v6, off, s[0:3], 0 offset:316
	buffer_load_dword v135, off, s[0:3], 0 offset:324
	;; [unrolled: 1-line block ×8, first 2 shown]
	v_add_f32_e32 v2, v2, v126
	v_add_f32_e32 v3, v3, v154
	s_clause 0x3
	buffer_load_dword v154, off, s[0:3], 0 offset:348
	buffer_load_dword v161, off, s[0:3], 0 offset:356
	buffer_load_dword v162, off, s[0:3], 0 offset:364
	buffer_load_dword v163, off, s[0:3], 0 offset:372
	v_add_f32_e32 v2, v2, v114
	v_add_f32_e32 v8, v2, v8
	s_waitcnt vmcnt(28) lgkmcnt(0)
	v_mul_f32_e32 v4, v111, v129
	v_mul_f32_e32 v160, v110, v129
	v_add_f32_e32 v8, v8, v122
	v_fma_f32 v126, v110, v149, -v4
	v_add_f32_e32 v110, v3, v127
	v_fmac_f32_e32 v160, v111, v149
	s_clause 0x2
	buffer_load_dword v149, off, s[0:3], 0 offset:380
	buffer_load_dword v164, off, s[0:3], 0 offset:388
	;; [unrolled: 1-line block ×3, first 2 shown]
	v_add_f32_e32 v8, v8, v117
	v_add_f32_e32 v110, v110, v128
	s_waitcnt vmcnt(30)
	v_mul_f32_e32 v3, v113, v124
	v_mul_f32_e32 v127, v112, v124
	v_add_f32_e32 v7, v8, v7
	v_add_f32_e32 v110, v110, v130
	;; [unrolled: 1-line block ×4, first 2 shown]
	s_waitcnt vmcnt(26)
	v_fma_f32 v124, v112, v121, -v3
	ds_read_b128 v[2:5], v1 offset:656
	s_clause 0x3
	buffer_load_dword v130, off, s[0:3], 0 offset:368
	buffer_load_dword v166, off, s[0:3], 0 offset:360
	;; [unrolled: 1-line block ×4, first 2 shown]
	v_add_f32_e32 v8, v110, v123
	v_fmac_f32_e32 v127, v113, v121
	ds_read_b128 v[110:113], v1 offset:672
	s_waitcnt vmcnt(29) lgkmcnt(1)
	v_mul_f32_e32 v122, v2, v125
	v_mul_f32_e32 v114, v3, v125
	s_waitcnt vmcnt(28)
	v_mul_f32_e32 v128, v4, v132
	s_waitcnt vmcnt(27) lgkmcnt(0)
	v_mul_f32_e32 v121, v111, v133
	v_fmac_f32_e32 v122, v3, v120
	v_fma_f32 v123, v2, v120, -v114
	v_add_f32_e32 v2, v8, v116
	v_add_f32_e32 v3, v7, v155
	s_clause 0x2
	buffer_load_dword v7, off, s[0:3], 0 offset:392
	buffer_load_dword v8, off, s[0:3], 0 offset:384
	;; [unrolled: 1-line block ×3, first 2 shown]
	v_mul_f32_e32 v114, v5, v132
	v_fmac_f32_e32 v128, v5, v119
	v_add_f32_e32 v2, v2, v138
	buffer_load_dword v138, off, s[0:3], 0 offset:56
	v_add_f32_e32 v3, v3, v140
	v_fma_f32 v125, v4, v119, -v114
	v_mul_f32_e32 v132, v110, v133
	v_add_f32_e32 v115, v2, v139
	v_add_f32_e32 v119, v3, v136
	ds_read_b128 v[2:5], v1 offset:688
	v_fma_f32 v136, v110, v118, -v121
	v_add_f32_e32 v120, v115, v148
	ds_read_b128 v[114:117], v1 offset:704
	v_add_f32_e32 v119, v119, v137
	v_fmac_f32_e32 v132, v111, v118
	v_add_f32_e32 v120, v120, v147
	v_add_f32_e32 v126, v119, v126
	;; [unrolled: 1-line block ×4, first 2 shown]
	s_waitcnt vmcnt(30)
	v_mul_f32_e32 v129, v113, v141
	v_mul_f32_e32 v133, v112, v141
	s_waitcnt vmcnt(25) lgkmcnt(1)
	v_mul_f32_e32 v139, v2, v134
	v_mul_f32_e32 v126, v3, v134
	v_fma_f32 v137, v112, v156, -v129
	v_add_f32_e32 v129, v120, v160
	s_waitcnt vmcnt(23) lgkmcnt(0)
	v_mul_f32_e32 v140, v114, v146
	v_fmac_f32_e32 v139, v3, v144
	v_fma_f32 v144, v2, v144, -v126
	v_mul_f32_e32 v134, v4, v145
	v_add_f32_e32 v127, v129, v127
	v_mul_f32_e32 v129, v5, v145
	v_mul_f32_e32 v141, v115, v146
	v_fmac_f32_e32 v140, v115, v142
	v_fmac_f32_e32 v133, v113, v156
	v_add_f32_e32 v126, v127, v122
	v_add_f32_e32 v127, v123, v125
	ds_read_b128 v[110:113], v1 offset:720
	ds_read_b128 v[118:121], v1 offset:736
	v_fmac_f32_e32 v134, v5, v143
	v_fma_f32 v143, v4, v143, -v129
	v_add_f32_e32 v145, v126, v128
	v_add_f32_e32 v115, v127, v136
	ds_read_b128 v[2:5], v1 offset:752
	ds_read_b128 v[122:125], v1 offset:768
	;; [unrolled: 1-line block ×3, first 2 shown]
	v_fma_f32 v114, v114, v142, -v141
	v_add_f32_e32 v1, v145, v132
	v_add_f32_e32 v115, v115, v137
	s_waitcnt vmcnt(22)
	v_mul_f32_e32 v132, v116, v6
	v_mul_f32_e32 v6, v117, v6
	v_add_f32_e32 v1, v1, v133
	v_add_f32_e32 v115, v115, v144
	s_waitcnt vmcnt(15)
	v_fmac_f32_e32 v132, v117, v158
	v_fma_f32 v6, v116, v158, -v6
	v_add_f32_e32 v1, v1, v139
	v_add_f32_e32 v115, v115, v143
	s_waitcnt lgkmcnt(4)
	v_mul_f32_e32 v136, v110, v135
	v_mul_f32_e32 v135, v111, v135
	;; [unrolled: 1-line block ×3, first 2 shown]
	v_add_f32_e32 v1, v1, v134
	v_add_f32_e32 v114, v115, v114
	v_mul_f32_e32 v134, v113, v150
	v_fma_f32 v110, v110, v157, -v135
	v_fmac_f32_e32 v136, v111, v157
	v_add_f32_e32 v1, v1, v140
	v_add_f32_e32 v6, v114, v6
	s_waitcnt lgkmcnt(3)
	v_mul_f32_e32 v111, v119, v151
	v_fma_f32 v112, v112, v153, -v134
	v_mul_f32_e32 v116, v118, v151
	v_add_f32_e32 v1, v1, v132
	v_add_f32_e32 v6, v6, v110
	v_fmac_f32_e32 v133, v113, v153
	s_waitcnt vmcnt(14)
	v_mul_f32_e32 v110, v121, v154
	v_fma_f32 v111, v118, v152, -v111
	v_add_f32_e32 v1, v1, v136
	v_add_f32_e32 v6, v6, v112
	v_mul_f32_e32 v117, v120, v154
	v_fmac_f32_e32 v116, v119, v152
	s_waitcnt vmcnt(13) lgkmcnt(2)
	v_mul_f32_e32 v137, v2, v161
	v_add_f32_e32 v1, v1, v133
	v_mul_f32_e32 v112, v3, v161
	v_add_f32_e32 v6, v6, v111
	s_waitcnt vmcnt(4)
	v_fma_f32 v110, v120, v168, -v110
	v_fmac_f32_e32 v117, v121, v168
	v_add_f32_e32 v1, v1, v116
	v_mul_f32_e32 v111, v5, v162
	v_fmac_f32_e32 v137, v3, v167
	v_fma_f32 v2, v2, v167, -v112
	v_add_f32_e32 v3, v6, v110
	v_mul_f32_e32 v139, v4, v162
	v_add_f32_e32 v1, v1, v117
	s_waitcnt lgkmcnt(1)
	v_mul_f32_e32 v6, v123, v163
	v_fma_f32 v4, v4, v166, -v111
	v_add_f32_e32 v2, v3, v2
	v_mul_f32_e32 v141, v122, v163
	v_fmac_f32_e32 v139, v5, v166
	v_add_f32_e32 v1, v1, v137
	v_mul_f32_e32 v3, v125, v149
	v_fma_f32 v5, v122, v130, -v6
	v_add_f32_e32 v2, v2, v4
	v_mul_f32_e32 v142, v124, v149
	v_fmac_f32_e32 v141, v123, v130
	v_add_f32_e32 v1, v1, v139
	s_waitcnt lgkmcnt(0)
	v_mul_f32_e32 v4, v127, v164
	v_add_f32_e32 v2, v2, v5
	v_mul_f32_e32 v143, v126, v164
	v_mul_f32_e32 v5, v129, v165
	v_add_f32_e32 v1, v1, v141
	v_mul_f32_e32 v115, v128, v165
	s_waitcnt vmcnt(2)
	v_fma_f32 v4, v126, v8, -v4
	s_waitcnt vmcnt(1)
	v_fma_f32 v3, v124, v131, -v3
	v_fmac_f32_e32 v142, v125, v131
	v_fmac_f32_e32 v143, v127, v8
	;; [unrolled: 1-line block ×3, first 2 shown]
	v_add_f32_e32 v2, v2, v3
	v_add_f32_e32 v1, v1, v142
	v_fma_f32 v3, v128, v7, -v5
	v_add_f32_e32 v2, v2, v4
	v_add_f32_e32 v1, v1, v143
	;; [unrolled: 1-line block ×4, first 2 shown]
	s_waitcnt vmcnt(0)
	v_sub_f32_e32 v2, v138, v2
	v_sub_f32_e32 v1, v159, v1
	buffer_store_dword v2, off, s[0:3], 0 offset:56
	buffer_store_dword v1, off, s[0:3], 0 offset:60
	v_cmpx_lt_u32_e32 6, v0
	s_cbranch_execz .LBB49_301
; %bb.300:
	s_clause 0x1
	buffer_load_dword v1, off, s[0:3], 0 offset:48
	buffer_load_dword v2, off, s[0:3], 0 offset:52
	v_mov_b32_e32 v3, 0
	buffer_store_dword v3, off, s[0:3], 0 offset:48
	buffer_store_dword v3, off, s[0:3], 0 offset:52
	s_waitcnt vmcnt(0)
	ds_write_b64 v109, v[1:2]
.LBB49_301:
	s_or_b32 exec_lo, exec_lo, s4
	s_waitcnt lgkmcnt(0)
	s_waitcnt_vscnt null, 0x0
	s_barrier
	buffer_gl0_inv
	s_clause 0x2c
	buffer_load_dword v148, off, s[0:3], 0 offset:60
	buffer_load_dword v149, off, s[0:3], 0 offset:68
	;; [unrolled: 1-line block ×45, first 2 shown]
	v_mov_b32_e32 v1, 0
	ds_read2_b64 v[140:143], v1 offset0:57 offset1:58
	ds_read2_b64 v[144:147], v1 offset0:59 offset1:60
	buffer_load_dword v158, off, s[0:3], 0 offset:52
	s_mov_b32 s4, exec_lo
	s_waitcnt vmcnt(45) lgkmcnt(1)
	v_mul_f32_e32 v156, v141, v148
	v_mul_f32_e32 v148, v140, v148
	s_waitcnt vmcnt(44)
	v_mul_f32_e32 v157, v142, v149
	v_mul_f32_e32 v149, v143, v149
	s_waitcnt vmcnt(41)
	v_fma_f32 v156, v140, v137, -v156
	v_fmac_f32_e32 v148, v141, v137
	v_fmac_f32_e32 v157, v143, v133
	v_fma_f32 v149, v142, v133, -v149
	ds_read2_b64 v[140:143], v1 offset0:61 offset1:62
	s_waitcnt vmcnt(40) lgkmcnt(1)
	v_mul_f32_e32 v159, v144, v132
	v_mul_f32_e32 v132, v145, v132
	s_waitcnt vmcnt(39)
	v_mul_f32_e32 v160, v146, v130
	v_mul_f32_e32 v130, v147, v130
	v_fmac_f32_e32 v159, v145, v119
	v_fma_f32 v119, v144, v119, -v132
	s_waitcnt vmcnt(35)
	v_fmac_f32_e32 v160, v147, v138
	v_fma_f32 v161, v146, v138, -v130
	ds_read2_b64 v[144:147], v1 offset0:63 offset1:64
	s_waitcnt vmcnt(34) lgkmcnt(1)
	v_mul_f32_e32 v162, v140, v136
	v_mul_f32_e32 v130, v141, v136
	s_waitcnt vmcnt(33)
	v_mul_f32_e32 v163, v142, v135
	v_mul_f32_e32 v132, v143, v135
	ds_read2_b64 v[135:138], v1 offset0:65 offset1:66
	v_fmac_f32_e32 v162, v141, v127
	v_fma_f32 v127, v140, v127, -v130
	v_fmac_f32_e32 v163, v143, v122
	v_fma_f32 v164, v142, v122, -v132
	ds_read2_b64 v[140:143], v1 offset0:67 offset1:68
	s_waitcnt vmcnt(32) lgkmcnt(2)
	v_mul_f32_e32 v165, v144, v126
	v_mul_f32_e32 v122, v145, v126
	s_waitcnt vmcnt(31)
	v_mul_f32_e32 v126, v146, v124
	v_mul_f32_e32 v124, v147, v124
	v_fmac_f32_e32 v165, v145, v8
	v_fma_f32 v8, v144, v8, -v122
	s_waitcnt vmcnt(27)
	v_fmac_f32_e32 v126, v147, v134
	v_fma_f32 v144, v146, v134, -v124
	s_waitcnt vmcnt(26) lgkmcnt(1)
	v_mul_f32_e32 v145, v135, v131
	v_mul_f32_e32 v122, v136, v131
	s_waitcnt vmcnt(25)
	v_mul_f32_e32 v146, v137, v129
	v_mul_f32_e32 v124, v138, v129
	ds_read2_b64 v[129:132], v1 offset0:69 offset1:70
	v_fmac_f32_e32 v145, v136, v120
	v_fma_f32 v120, v135, v120, -v122
	ds_read2_b64 v[133:136], v1 offset0:71 offset1:72
	v_fmac_f32_e32 v146, v138, v114
	v_fma_f32 v137, v137, v114, -v124
	s_waitcnt vmcnt(24) lgkmcnt(2)
	v_mul_f32_e32 v138, v140, v118
	v_mul_f32_e32 v114, v141, v118
	s_waitcnt vmcnt(23)
	v_mul_f32_e32 v118, v142, v116
	v_mul_f32_e32 v116, v143, v116
	v_fmac_f32_e32 v138, v141, v4
	v_fma_f32 v140, v140, v4, -v114
	s_waitcnt vmcnt(19)
	v_fmac_f32_e32 v118, v143, v128
	v_fma_f32 v128, v142, v128, -v116
	s_waitcnt vmcnt(18) lgkmcnt(1)
	v_mul_f32_e32 v141, v129, v125
	v_mul_f32_e32 v4, v130, v125
	s_waitcnt vmcnt(17)
	v_mul_f32_e32 v142, v131, v123
	v_mul_f32_e32 v114, v132, v123
	ds_read2_b64 v[122:125], v1 offset0:73 offset1:74
	v_fmac_f32_e32 v141, v130, v113
	v_fma_f32 v129, v129, v113, -v4
	v_fmac_f32_e32 v142, v132, v110
	v_fma_f32 v130, v131, v110, -v114
	s_waitcnt vmcnt(15) lgkmcnt(1)
	v_mul_f32_e32 v132, v135, v111
	v_mul_f32_e32 v110, v136, v111
	;; [unrolled: 1-line block ×4, first 2 shown]
	s_waitcnt vmcnt(11)
	v_fmac_f32_e32 v132, v136, v121
	v_fma_f32 v121, v135, v121, -v110
	ds_read2_b64 v[110:113], v1 offset0:75 offset1:76
	v_fmac_f32_e32 v131, v134, v3
	v_fma_f32 v133, v133, v3, -v4
	s_waitcnt vmcnt(10) lgkmcnt(1)
	v_mul_f32_e32 v134, v122, v117
	v_mul_f32_e32 v3, v123, v117
	s_waitcnt vmcnt(9)
	v_mul_f32_e32 v135, v124, v115
	v_mul_f32_e32 v4, v125, v115
	ds_read2_b64 v[114:117], v1 offset0:77 offset1:78
	v_fmac_f32_e32 v134, v123, v7
	v_fma_f32 v7, v122, v7, -v3
	v_fmac_f32_e32 v135, v125, v5
	v_fma_f32 v122, v124, v5, -v4
	buffer_load_dword v124, off, s[0:3], 0 offset:236
	s_waitcnt vmcnt(8) lgkmcnt(1)
	v_mul_f32_e32 v4, v113, v139
	v_mul_f32_e32 v123, v110, v6
	;; [unrolled: 1-line block ×4, first 2 shown]
	s_waitcnt vmcnt(4)
	v_fma_f32 v136, v112, v153, -v4
	buffer_load_dword v112, off, s[0:3], 0 offset:244
	v_fmac_f32_e32 v123, v111, v2
	v_fma_f32 v125, v110, v2, -v3
	ds_read2_b64 v[2:5], v1 offset0:79 offset1:80
	v_fmac_f32_e32 v6, v113, v153
	s_waitcnt vmcnt(4) lgkmcnt(1)
	v_mul_f32_e32 v139, v114, v154
	v_mul_f32_e32 v110, v115, v154
	s_waitcnt vmcnt(3)
	v_mul_f32_e32 v143, v116, v155
	v_mul_f32_e32 v111, v117, v155
	v_fmac_f32_e32 v139, v115, v152
	v_fma_f32 v114, v114, v152, -v110
	v_fmac_f32_e32 v143, v117, v151
	v_fma_f32 v115, v116, v151, -v111
	s_clause 0x4
	buffer_load_dword v116, off, s[0:3], 0 offset:264
	buffer_load_dword v117, off, s[0:3], 0 offset:256
	;; [unrolled: 1-line block ×5, first 2 shown]
	s_waitcnt vmcnt(6) lgkmcnt(0)
	v_mul_f32_e32 v152, v2, v124
	v_mul_f32_e32 v111, v3, v124
	v_fmac_f32_e32 v152, v3, v150
	v_fma_f32 v124, v2, v150, -v111
	s_waitcnt vmcnt(5)
	v_mul_f32_e32 v150, v4, v112
	v_mul_f32_e32 v2, v5, v112
	s_waitcnt vmcnt(1)
	v_fmac_f32_e32 v150, v5, v110
	v_fma_f32 v153, v4, v110, -v2
	ds_read2_b64 v[2:5], v1 offset0:81 offset1:82
	ds_read2_b64 v[110:113], v1 offset0:83 offset1:84
	s_waitcnt vmcnt(0) lgkmcnt(1)
	v_mul_f32_e32 v154, v2, v151
	v_mul_f32_e32 v151, v3, v151
	v_fmac_f32_e32 v154, v3, v147
	v_fma_f32 v147, v2, v147, -v151
	buffer_load_dword v2, off, s[0:3], 0 offset:260
	s_waitcnt vmcnt(0)
	v_mul_f32_e32 v151, v4, v2
	v_mul_f32_e32 v2, v5, v2
	v_fmac_f32_e32 v151, v5, v117
	v_fma_f32 v155, v4, v117, -v2
	buffer_load_dword v2, off, s[0:3], 0 offset:268
	s_waitcnt vmcnt(0) lgkmcnt(0)
	v_mul_f32_e32 v166, v110, v2
	v_mul_f32_e32 v2, v111, v2
	v_fmac_f32_e32 v166, v111, v116
	v_fma_f32 v167, v110, v116, -v2
	s_clause 0x4
	buffer_load_dword v2, off, s[0:3], 0 offset:276
	buffer_load_dword v168, off, s[0:3], 0 offset:296
	;; [unrolled: 1-line block ×5, first 2 shown]
	s_waitcnt vmcnt(4)
	v_mul_f32_e32 v169, v112, v2
	v_mul_f32_e32 v2, v113, v2
	s_waitcnt vmcnt(0)
	v_fmac_f32_e32 v169, v113, v3
	v_fma_f32 v170, v112, v3, -v2
	v_add_f32_e32 v2, 0, v156
	v_add_f32_e32 v3, 0, v148
	buffer_load_dword v148, off, s[0:3], 0 offset:292
	v_add_f32_e32 v2, v2, v149
	v_add_f32_e32 v3, v3, v157
	buffer_load_dword v149, off, s[0:3], 0 offset:308
	v_add_f32_e32 v2, v2, v119
	buffer_load_dword v119, off, s[0:3], 0 offset:284
	v_add_f32_e32 v3, v3, v159
	v_add_f32_e32 v2, v2, v161
	;; [unrolled: 1-line block ×4, first 2 shown]
	buffer_load_dword v127, off, s[0:3], 0 offset:300
	v_add_f32_e32 v3, v3, v162
	v_add_f32_e32 v2, v2, v164
	;; [unrolled: 1-line block ×4, first 2 shown]
	s_clause 0x3
	buffer_load_dword v8, off, s[0:3], 0 offset:328
	buffer_load_dword v156, off, s[0:3], 0 offset:320
	;; [unrolled: 1-line block ×4, first 2 shown]
	v_add_f32_e32 v3, v3, v165
	v_add_f32_e32 v2, v2, v144
	s_clause 0x1
	buffer_load_dword v144, off, s[0:3], 0 offset:316
	buffer_load_dword v160, off, s[0:3], 0 offset:324
	v_add_f32_e32 v3, v3, v126
	buffer_load_dword v126, off, s[0:3], 0 offset:332
	v_add_f32_e32 v2, v2, v120
	v_add_f32_e32 v3, v3, v145
	v_add_f32_e32 v2, v2, v137
	s_clause 0x3
	buffer_load_dword v137, off, s[0:3], 0 offset:340
	buffer_load_dword v145, off, s[0:3], 0 offset:348
	;; [unrolled: 1-line block ×4, first 2 shown]
	v_add_f32_e32 v3, v3, v146
	v_add_f32_e32 v2, v2, v140
	s_clause 0x1
	buffer_load_dword v140, off, s[0:3], 0 offset:372
	buffer_load_dword v146, off, s[0:3], 0 offset:380
	v_add_f32_e32 v3, v3, v138
	v_add_f32_e32 v2, v2, v128
	s_clause 0x1
	buffer_load_dword v128, off, s[0:3], 0 offset:388
	buffer_load_dword v138, off, s[0:3], 0 offset:396
	v_add_f32_e32 v3, v3, v118
	v_add_f32_e32 v2, v2, v129
	;; [unrolled: 1-line block ×4, first 2 shown]
	s_clause 0x3
	buffer_load_dword v129, off, s[0:3], 0 offset:360
	buffer_load_dword v130, off, s[0:3], 0 offset:352
	buffer_load_dword v141, off, s[0:3], 0 offset:344
	buffer_load_dword v163, off, s[0:3], 0 offset:336
	v_add_f32_e32 v3, v3, v142
	v_add_f32_e32 v2, v2, v133
	;; [unrolled: 1-line block ×3, first 2 shown]
	s_clause 0x3
	buffer_load_dword v131, off, s[0:3], 0 offset:392
	buffer_load_dword v133, off, s[0:3], 0 offset:384
	;; [unrolled: 1-line block ×4, first 2 shown]
	v_add_f32_e32 v2, v2, v121
	v_add_f32_e32 v3, v3, v132
	buffer_load_dword v132, off, s[0:3], 0 offset:48
	v_add_f32_e32 v2, v2, v7
	v_add_f32_e32 v3, v3, v134
	;; [unrolled: 1-line block ×4, first 2 shown]
	ds_read2_b64 v[2:5], v1 offset0:85 offset1:86
	v_add_f32_e32 v7, v7, v125
	v_add_f32_e32 v110, v110, v123
	;; [unrolled: 1-line block ×4, first 2 shown]
	ds_read2_b64 v[110:113], v1 offset0:87 offset1:88
	v_add_f32_e32 v7, v7, v114
	v_add_f32_e32 v6, v6, v139
	;; [unrolled: 1-line block ×8, first 2 shown]
	s_waitcnt vmcnt(27) lgkmcnt(1)
	v_mul_f32_e32 v135, v4, v148
	v_mul_f32_e32 v115, v5, v148
	v_fmac_f32_e32 v135, v5, v116
	v_fma_f32 v139, v4, v116, -v115
	s_waitcnt vmcnt(25)
	v_mul_f32_e32 v134, v2, v119
	v_mul_f32_e32 v114, v3, v119
	v_fmac_f32_e32 v134, v3, v117
	v_add_f32_e32 v3, v7, v124
	v_fma_f32 v136, v2, v117, -v114
	s_waitcnt vmcnt(24) lgkmcnt(0)
	v_mul_f32_e32 v143, v110, v127
	v_add_f32_e32 v7, v3, v153
	ds_read2_b64 v[2:5], v1 offset0:89 offset1:90
	ds_read2_b64 v[114:117], v1 offset0:91 offset1:92
	v_mul_f32_e32 v122, v111, v127
	v_mul_f32_e32 v127, v112, v149
	v_fmac_f32_e32 v143, v111, v168
	v_add_f32_e32 v7, v7, v147
	v_mul_f32_e32 v147, v113, v149
	v_add_f32_e32 v149, v6, v166
	v_fma_f32 v148, v110, v168, -v122
	ds_read2_b64 v[118:121], v1 offset0:93 offset1:94
	ds_read2_b64 v[122:125], v1 offset0:95 offset1:96
	v_add_f32_e32 v7, v7, v155
	v_add_f32_e32 v149, v149, v169
	s_waitcnt vmcnt(20)
	v_fma_f32 v147, v112, v159, -v147
	v_fmac_f32_e32 v127, v113, v159
	v_add_f32_e32 v7, v7, v167
	v_add_f32_e32 v134, v149, v134
	s_waitcnt vmcnt(19) lgkmcnt(3)
	v_mul_f32_e32 v151, v2, v144
	v_add_f32_e32 v150, v7, v170
	v_add_f32_e32 v134, v134, v135
	v_mul_f32_e32 v144, v3, v144
	s_waitcnt vmcnt(18)
	v_mul_f32_e32 v152, v4, v160
	v_fmac_f32_e32 v151, v3, v157
	v_add_f32_e32 v136, v150, v136
	v_add_f32_e32 v134, v134, v143
	v_mul_f32_e32 v150, v5, v160
	v_fma_f32 v2, v2, v157, -v144
	s_waitcnt vmcnt(17) lgkmcnt(2)
	v_mul_f32_e32 v149, v114, v126
	v_add_f32_e32 v136, v136, v139
	v_add_f32_e32 v127, v134, v127
	v_mul_f32_e32 v126, v115, v126
	v_fma_f32 v4, v4, v156, -v150
	v_fmac_f32_e32 v152, v5, v156
	v_add_f32_e32 v136, v136, v148
	v_add_f32_e32 v5, v127, v151
	s_waitcnt vmcnt(16)
	v_mul_f32_e32 v127, v117, v137
	v_fmac_f32_e32 v149, v115, v8
	v_fma_f32 v8, v114, v8, -v126
	v_add_f32_e32 v136, v136, v147
	v_mul_f32_e32 v139, v116, v137
	ds_read2_b64 v[110:113], v1 offset0:97 offset1:98
	ds_read_b64 v[6:7], v1 offset:792
	s_waitcnt vmcnt(5)
	v_fma_f32 v114, v116, v163, -v127
	s_waitcnt lgkmcnt(3)
	v_mul_f32_e32 v153, v118, v145
	v_add_f32_e32 v2, v136, v2
	v_fmac_f32_e32 v139, v117, v163
	v_mul_f32_e32 v135, v120, v161
	s_waitcnt lgkmcnt(2)
	v_mul_f32_e32 v148, v122, v162
	v_fmac_f32_e32 v153, v119, v141
	v_add_f32_e32 v2, v2, v4
	v_add_f32_e32 v4, v5, v152
	v_mul_f32_e32 v5, v119, v145
	v_fmac_f32_e32 v135, v121, v130
	v_mul_f32_e32 v3, v124, v140
	v_add_f32_e32 v2, v2, v8
	v_add_f32_e32 v4, v4, v149
	v_mul_f32_e32 v8, v121, v161
	v_fma_f32 v5, v118, v141, -v5
	v_fmac_f32_e32 v148, v123, v129
	v_add_f32_e32 v2, v2, v114
	v_add_f32_e32 v4, v4, v139
	v_mul_f32_e32 v114, v123, v162
	v_fma_f32 v8, v120, v130, -v8
	s_waitcnt lgkmcnt(1)
	v_mul_f32_e32 v143, v110, v146
	v_add_f32_e32 v2, v2, v5
	v_add_f32_e32 v4, v4, v153
	v_mul_f32_e32 v5, v125, v140
	v_fma_f32 v114, v122, v129, -v114
	s_waitcnt vmcnt(1)
	v_fmac_f32_e32 v3, v125, v164
	v_add_f32_e32 v2, v2, v8
	v_add_f32_e32 v4, v4, v135
	v_mul_f32_e32 v8, v111, v146
	v_fma_f32 v5, v124, v164, -v5
	v_mul_f32_e32 v144, v112, v128
	v_add_f32_e32 v2, v2, v114
	v_add_f32_e32 v4, v4, v148
	v_mul_f32_e32 v114, v113, v128
	v_fma_f32 v8, v110, v142, -v8
	v_fmac_f32_e32 v143, v111, v142
	v_add_f32_e32 v2, v2, v5
	v_add_f32_e32 v3, v4, v3
	s_waitcnt lgkmcnt(0)
	v_mul_f32_e32 v4, v7, v138
	v_fma_f32 v5, v112, v133, -v114
	v_mul_f32_e32 v134, v6, v138
	v_add_f32_e32 v2, v2, v8
	v_fmac_f32_e32 v144, v113, v133
	v_add_f32_e32 v3, v3, v143
	v_fma_f32 v4, v6, v131, -v4
	v_fmac_f32_e32 v134, v7, v131
	v_add_f32_e32 v2, v2, v5
	v_add_f32_e32 v3, v3, v144
	;; [unrolled: 1-line block ×4, first 2 shown]
	s_waitcnt vmcnt(0)
	v_sub_f32_e32 v2, v132, v2
	v_sub_f32_e32 v3, v158, v3
	buffer_store_dword v2, off, s[0:3], 0 offset:48
	buffer_store_dword v3, off, s[0:3], 0 offset:52
	v_cmpx_lt_u32_e32 5, v0
	s_cbranch_execz .LBB49_303
; %bb.302:
	s_clause 0x1
	buffer_load_dword v2, off, s[0:3], 0 offset:40
	buffer_load_dword v3, off, s[0:3], 0 offset:44
	buffer_store_dword v1, off, s[0:3], 0 offset:40
	buffer_store_dword v1, off, s[0:3], 0 offset:44
	s_waitcnt vmcnt(0)
	ds_write_b64 v109, v[2:3]
.LBB49_303:
	s_or_b32 exec_lo, exec_lo, s4
	s_waitcnt lgkmcnt(0)
	s_waitcnt_vscnt null, 0x0
	s_barrier
	buffer_gl0_inv
	s_clause 0x2c
	buffer_load_dword v148, off, s[0:3], 0 offset:52
	buffer_load_dword v149, off, s[0:3], 0 offset:60
	;; [unrolled: 1-line block ×45, first 2 shown]
	ds_read_b128 v[140:143], v1 offset:448
	ds_read_b128 v[144:147], v1 offset:464
	buffer_load_dword v158, off, s[0:3], 0 offset:44
	s_mov_b32 s4, exec_lo
	s_waitcnt vmcnt(45) lgkmcnt(1)
	v_mul_f32_e32 v156, v141, v148
	v_mul_f32_e32 v148, v140, v148
	s_waitcnt vmcnt(44)
	v_mul_f32_e32 v157, v142, v149
	v_mul_f32_e32 v149, v143, v149
	s_waitcnt vmcnt(41)
	v_fma_f32 v156, v140, v138, -v156
	v_fmac_f32_e32 v148, v141, v138
	v_fmac_f32_e32 v157, v143, v134
	v_fma_f32 v149, v142, v134, -v149
	ds_read_b128 v[140:143], v1 offset:480
	s_waitcnt vmcnt(40) lgkmcnt(1)
	v_mul_f32_e32 v159, v144, v133
	v_mul_f32_e32 v133, v145, v133
	s_waitcnt vmcnt(39)
	v_mul_f32_e32 v160, v146, v131
	v_mul_f32_e32 v131, v147, v131
	v_fmac_f32_e32 v159, v145, v120
	v_fma_f32 v120, v144, v120, -v133
	s_waitcnt vmcnt(35)
	v_fmac_f32_e32 v160, v147, v139
	v_fma_f32 v161, v146, v139, -v131
	ds_read_b128 v[144:147], v1 offset:496
	s_waitcnt vmcnt(34) lgkmcnt(1)
	v_mul_f32_e32 v162, v140, v137
	v_mul_f32_e32 v131, v141, v137
	s_waitcnt vmcnt(33)
	v_mul_f32_e32 v163, v142, v136
	v_mul_f32_e32 v133, v143, v136
	ds_read_b128 v[136:139], v1 offset:512
	v_fmac_f32_e32 v162, v141, v128
	v_fma_f32 v128, v140, v128, -v131
	v_fmac_f32_e32 v163, v143, v123
	v_fma_f32 v164, v142, v123, -v133
	ds_read_b128 v[140:143], v1 offset:528
	s_waitcnt vmcnt(32) lgkmcnt(2)
	v_mul_f32_e32 v165, v144, v127
	v_mul_f32_e32 v123, v145, v127
	s_waitcnt vmcnt(31)
	v_mul_f32_e32 v127, v146, v125
	v_mul_f32_e32 v125, v147, v125
	v_fmac_f32_e32 v165, v145, v110
	v_fma_f32 v144, v144, v110, -v123
	s_waitcnt vmcnt(27)
	v_fmac_f32_e32 v127, v147, v135
	v_fma_f32 v145, v146, v135, -v125
	s_waitcnt vmcnt(26) lgkmcnt(1)
	v_mul_f32_e32 v146, v136, v132
	v_mul_f32_e32 v110, v137, v132
	s_waitcnt vmcnt(25)
	v_mul_f32_e32 v147, v138, v130
	v_mul_f32_e32 v123, v139, v130
	ds_read_b128 v[130:133], v1 offset:544
	v_fmac_f32_e32 v146, v137, v121
	v_fma_f32 v121, v136, v121, -v110
	ds_read_b128 v[134:137], v1 offset:560
	v_fmac_f32_e32 v147, v139, v115
	v_fma_f32 v138, v138, v115, -v123
	s_waitcnt vmcnt(24) lgkmcnt(2)
	v_mul_f32_e32 v139, v140, v119
	v_mul_f32_e32 v110, v141, v119
	s_waitcnt vmcnt(23)
	v_mul_f32_e32 v119, v142, v117
	v_mul_f32_e32 v115, v143, v117
	v_fmac_f32_e32 v139, v141, v4
	v_fma_f32 v140, v140, v4, -v110
	s_waitcnt vmcnt(19)
	v_fmac_f32_e32 v119, v143, v129
	v_fma_f32 v129, v142, v129, -v115
	s_waitcnt vmcnt(18) lgkmcnt(1)
	v_mul_f32_e32 v141, v130, v126
	v_mul_f32_e32 v4, v131, v126
	s_waitcnt vmcnt(17)
	v_mul_f32_e32 v142, v132, v124
	v_mul_f32_e32 v110, v133, v124
	ds_read_b128 v[123:126], v1 offset:576
	v_fmac_f32_e32 v141, v131, v114
	v_fma_f32 v130, v130, v114, -v4
	v_fmac_f32_e32 v142, v133, v111
	v_fma_f32 v131, v132, v111, -v110
	s_waitcnt vmcnt(15) lgkmcnt(1)
	v_mul_f32_e32 v133, v136, v112
	v_mul_f32_e32 v110, v137, v112
	v_mul_f32_e32 v132, v134, v113
	v_mul_f32_e32 v4, v135, v113
	s_waitcnt vmcnt(11)
	v_fmac_f32_e32 v133, v137, v122
	v_fma_f32 v122, v136, v122, -v110
	ds_read_b128 v[110:113], v1 offset:592
	v_fmac_f32_e32 v132, v135, v3
	v_fma_f32 v134, v134, v3, -v4
	s_waitcnt vmcnt(10) lgkmcnt(1)
	v_mul_f32_e32 v135, v123, v118
	v_mul_f32_e32 v3, v124, v118
	s_waitcnt vmcnt(9)
	v_mul_f32_e32 v118, v125, v116
	v_mul_f32_e32 v4, v126, v116
	ds_read_b128 v[114:117], v1 offset:608
	v_fmac_f32_e32 v135, v124, v8
	v_fma_f32 v8, v123, v8, -v3
	v_fmac_f32_e32 v118, v126, v5
	v_fma_f32 v123, v125, v5, -v4
	s_waitcnt vmcnt(8) lgkmcnt(1)
	v_mul_f32_e32 v124, v110, v7
	v_mul_f32_e32 v3, v111, v7
	s_waitcnt vmcnt(7)
	v_mul_f32_e32 v7, v112, v6
	v_mul_f32_e32 v4, v113, v6
	buffer_load_dword v6, off, s[0:3], 0 offset:228
	v_fmac_f32_e32 v124, v111, v2
	v_fma_f32 v125, v110, v2, -v3
	s_waitcnt vmcnt(4)
	v_fmac_f32_e32 v7, v113, v153
	v_fma_f32 v126, v112, v153, -v4
	buffer_load_dword v112, off, s[0:3], 0 offset:236
	ds_read_b128 v[2:5], v1 offset:624
	s_waitcnt vmcnt(4) lgkmcnt(1)
	v_mul_f32_e32 v136, v114, v154
	v_mul_f32_e32 v110, v115, v154
	s_waitcnt vmcnt(3)
	v_mul_f32_e32 v137, v116, v155
	v_mul_f32_e32 v111, v117, v155
	v_fmac_f32_e32 v136, v115, v152
	v_fma_f32 v114, v114, v152, -v110
	v_fmac_f32_e32 v137, v117, v151
	v_fma_f32 v115, v116, v151, -v111
	s_clause 0x4
	buffer_load_dword v116, off, s[0:3], 0 offset:256
	buffer_load_dword v117, off, s[0:3], 0 offset:248
	;; [unrolled: 1-line block ×5, first 2 shown]
	s_waitcnt vmcnt(6) lgkmcnt(0)
	v_mul_f32_e32 v152, v2, v6
	v_mul_f32_e32 v6, v3, v6
	v_fmac_f32_e32 v152, v3, v150
	v_fma_f32 v6, v2, v150, -v6
	s_waitcnt vmcnt(5)
	v_mul_f32_e32 v150, v4, v112
	v_mul_f32_e32 v2, v5, v112
	s_waitcnt vmcnt(1)
	v_fmac_f32_e32 v150, v5, v110
	v_fma_f32 v153, v4, v110, -v2
	ds_read_b128 v[2:5], v1 offset:640
	ds_read_b128 v[110:113], v1 offset:656
	s_waitcnt vmcnt(0) lgkmcnt(1)
	v_mul_f32_e32 v154, v2, v151
	v_mul_f32_e32 v151, v3, v151
	v_fmac_f32_e32 v154, v3, v143
	v_fma_f32 v143, v2, v143, -v151
	s_clause 0x1
	buffer_load_dword v2, off, s[0:3], 0 offset:252
	buffer_load_dword v3, off, s[0:3], 0 offset:260
	s_waitcnt vmcnt(1)
	v_mul_f32_e32 v151, v4, v2
	v_mul_f32_e32 v2, v5, v2
	v_fmac_f32_e32 v151, v5, v117
	v_fma_f32 v155, v4, v117, -v2
	v_add_f32_e32 v2, 0, v156
	buffer_load_dword v5, off, s[0:3], 0 offset:268
	v_add_f32_e32 v4, 0, v148
	v_add_f32_e32 v2, v2, v149
	;; [unrolled: 1-line block ×4, first 2 shown]
	s_clause 0x3
	buffer_load_dword v120, off, s[0:3], 0 offset:288
	buffer_load_dword v117, off, s[0:3], 0 offset:280
	;; [unrolled: 1-line block ×4, first 2 shown]
	v_add_f32_e32 v4, v4, v159
	s_clause 0x1
	buffer_load_dword v156, off, s[0:3], 0 offset:284
	buffer_load_dword v157, off, s[0:3], 0 offset:292
	v_add_f32_e32 v2, v2, v161
	s_waitcnt vmcnt(7) lgkmcnt(0)
	v_mul_f32_e32 v159, v110, v3
	v_add_f32_e32 v4, v4, v160
	v_mul_f32_e32 v3, v111, v3
	v_add_f32_e32 v2, v2, v128
	buffer_load_dword v128, off, s[0:3], 0 offset:276
	v_add_f32_e32 v4, v4, v162
	v_fma_f32 v160, v110, v116, -v3
	v_fmac_f32_e32 v159, v111, v116
	v_add_f32_e32 v2, v2, v164
	v_add_f32_e32 v4, v4, v163
	;; [unrolled: 1-line block ×3, first 2 shown]
	buffer_load_dword v144, off, s[0:3], 0 offset:300
	v_add_f32_e32 v4, v4, v165
	v_add_f32_e32 v2, v2, v145
	;; [unrolled: 1-line block ×3, first 2 shown]
	s_clause 0x5
	buffer_load_dword v145, off, s[0:3], 0 offset:320
	buffer_load_dword v161, off, s[0:3], 0 offset:312
	;; [unrolled: 1-line block ×6, first 2 shown]
	v_add_f32_e32 v2, v2, v121
	v_add_f32_e32 v3, v3, v146
	;; [unrolled: 1-line block ×4, first 2 shown]
	s_clause 0x1
	buffer_load_dword v138, off, s[0:3], 0 offset:316
	buffer_load_dword v147, off, s[0:3], 0 offset:324
	v_add_f32_e32 v2, v2, v140
	v_add_f32_e32 v3, v3, v139
	s_clause 0x6
	buffer_load_dword v139, off, s[0:3], 0 offset:340
	buffer_load_dword v140, off, s[0:3], 0 offset:348
	;; [unrolled: 1-line block ×7, first 2 shown]
	v_add_f32_e32 v2, v2, v129
	v_add_f32_e32 v3, v3, v119
	v_add_f32_e32 v2, v2, v130
	v_add_f32_e32 v3, v3, v141
	buffer_load_dword v130, off, s[0:3], 0 offset:396
	v_add_f32_e32 v2, v2, v131
	v_add_f32_e32 v3, v3, v142
	s_clause 0x3
	buffer_load_dword v131, off, s[0:3], 0 offset:352
	buffer_load_dword v141, off, s[0:3], 0 offset:344
	;; [unrolled: 1-line block ×4, first 2 shown]
	v_add_f32_e32 v2, v2, v134
	v_add_f32_e32 v3, v3, v132
	;; [unrolled: 1-line block ×4, first 2 shown]
	s_clause 0x3
	buffer_load_dword v132, off, s[0:3], 0 offset:384
	buffer_load_dword v133, off, s[0:3], 0 offset:376
	buffer_load_dword v134, off, s[0:3], 0 offset:368
	buffer_load_dword v171, off, s[0:3], 0 offset:360
	v_add_f32_e32 v2, v2, v8
	buffer_load_dword v8, off, s[0:3], 0 offset:392
	v_add_f32_e32 v3, v3, v135
	buffer_load_dword v135, off, s[0:3], 0 offset:40
	v_add_f32_e32 v2, v2, v123
	v_add_f32_e32 v3, v3, v118
	;; [unrolled: 1-line block ×20, first 2 shown]
	s_waitcnt vmcnt(34)
	v_mul_f32_e32 v146, v112, v5
	v_mul_f32_e32 v4, v113, v5
	s_waitcnt vmcnt(30)
	v_fmac_f32_e32 v146, v113, v149
	v_fma_f32 v149, v112, v149, -v4
	ds_read_b128 v[2:5], v1 offset:672
	ds_read_b128 v[110:113], v1 offset:688
	v_add_f32_e32 v7, v7, v146
	v_add_f32_e32 v6, v6, v149
	s_waitcnt vmcnt(27) lgkmcnt(1)
	v_mul_f32_e32 v136, v2, v128
	v_mul_f32_e32 v115, v3, v128
	;; [unrolled: 1-line block ×4, first 2 shown]
	s_waitcnt lgkmcnt(0)
	v_mul_f32_e32 v152, v110, v157
	v_fmac_f32_e32 v136, v3, v148
	v_fma_f32 v126, v2, v148, -v115
	v_fmac_f32_e32 v137, v5, v117
	v_fma_f32 v148, v4, v117, -v116
	ds_read_b128 v[2:5], v1 offset:704
	ds_read_b128 v[114:117], v1 offset:720
	v_mul_f32_e32 v118, v111, v157
	s_waitcnt vmcnt(26)
	v_mul_f32_e32 v143, v112, v144
	v_mul_f32_e32 v119, v113, v144
	v_fmac_f32_e32 v152, v111, v120
	v_fma_f32 v144, v110, v120, -v118
	s_waitcnt vmcnt(22)
	v_fmac_f32_e32 v143, v113, v162
	v_fma_f32 v150, v112, v162, -v119
	ds_read_b128 v[110:113], v1 offset:736
	ds_read_b128 v[118:121], v1 offset:752
	;; [unrolled: 1-line block ×3, first 2 shown]
	s_waitcnt vmcnt(21) lgkmcnt(4)
	v_mul_f32_e32 v151, v2, v163
	v_mul_f32_e32 v128, v3, v163
	v_fmac_f32_e32 v151, v3, v127
	v_add_f32_e32 v3, v6, v126
	v_fma_f32 v2, v2, v127, -v128
	ds_read_b128 v[126:129], v1 offset:784
	v_add_f32_e32 v1, v7, v136
	s_waitcnt vmcnt(19)
	v_mul_f32_e32 v7, v5, v138
	v_add_f32_e32 v3, v3, v148
	v_mul_f32_e32 v6, v4, v138
	s_waitcnt vmcnt(18) lgkmcnt(4)
	v_mul_f32_e32 v138, v115, v147
	v_add_f32_e32 v1, v1, v137
	v_fma_f32 v4, v4, v161, -v7
	v_add_f32_e32 v3, v3, v144
	v_mul_f32_e32 v136, v114, v147
	v_fmac_f32_e32 v6, v5, v161
	v_add_f32_e32 v1, v1, v152
	v_fma_f32 v114, v114, v145, -v138
	v_add_f32_e32 v3, v3, v150
	v_mul_f32_e32 v137, v116, v164
	v_fmac_f32_e32 v136, v115, v145
	v_add_f32_e32 v1, v1, v143
	v_mul_f32_e32 v143, v117, v164
	v_add_f32_e32 v2, v3, v2
	s_waitcnt vmcnt(17) lgkmcnt(3)
	v_mul_f32_e32 v5, v110, v139
	s_waitcnt vmcnt(6)
	v_fmac_f32_e32 v137, v117, v170
	v_add_f32_e32 v1, v1, v151
	v_mul_f32_e32 v7, v112, v140
	v_add_f32_e32 v2, v2, v4
	v_mul_f32_e32 v4, v111, v139
	v_fmac_f32_e32 v5, v111, v142
	v_add_f32_e32 v1, v1, v6
	v_fma_f32 v6, v116, v170, -v143
	v_add_f32_e32 v2, v2, v114
	v_mul_f32_e32 v114, v113, v140
	v_fma_f32 v4, v110, v142, -v4
	v_add_f32_e32 v1, v1, v136
	s_waitcnt lgkmcnt(2)
	v_mul_f32_e32 v144, v118, v165
	v_add_f32_e32 v2, v2, v6
	v_mul_f32_e32 v6, v119, v165
	v_fma_f32 v110, v112, v141, -v114
	v_add_f32_e32 v1, v1, v137
	v_fmac_f32_e32 v7, v113, v141
	v_add_f32_e32 v2, v2, v4
	v_mul_f32_e32 v4, v121, v166
	v_mul_f32_e32 v146, v120, v166
	v_add_f32_e32 v1, v1, v5
	v_fma_f32 v5, v118, v131, -v6
	v_add_f32_e32 v2, v2, v110
	v_fmac_f32_e32 v144, v119, v131
	s_waitcnt lgkmcnt(1)
	v_mul_f32_e32 v6, v123, v167
	v_add_f32_e32 v1, v1, v7
	s_waitcnt vmcnt(2)
	v_fma_f32 v4, v120, v171, -v4
	v_add_f32_e32 v2, v2, v5
	v_mul_f32_e32 v147, v122, v167
	v_fmac_f32_e32 v146, v121, v171
	v_add_f32_e32 v1, v1, v144
	v_mul_f32_e32 v5, v125, v168
	v_fma_f32 v6, v122, v134, -v6
	v_add_f32_e32 v2, v2, v4
	v_mul_f32_e32 v148, v124, v168
	v_fmac_f32_e32 v147, v123, v134
	v_add_f32_e32 v1, v1, v146
	s_waitcnt lgkmcnt(0)
	v_mul_f32_e32 v4, v127, v169
	v_fma_f32 v5, v124, v133, -v5
	v_add_f32_e32 v2, v2, v6
	v_mul_f32_e32 v149, v126, v169
	v_fmac_f32_e32 v148, v125, v133
	v_add_f32_e32 v1, v1, v147
	v_mul_f32_e32 v6, v129, v130
	v_fma_f32 v4, v126, v132, -v4
	v_add_f32_e32 v2, v2, v5
	v_mul_f32_e32 v3, v128, v130
	v_fmac_f32_e32 v149, v127, v132
	v_add_f32_e32 v1, v1, v148
	s_waitcnt vmcnt(1)
	v_fma_f32 v5, v128, v8, -v6
	v_add_f32_e32 v2, v2, v4
	v_fmac_f32_e32 v3, v129, v8
	v_add_f32_e32 v1, v1, v149
	v_add_f32_e32 v2, v2, v5
	;; [unrolled: 1-line block ×3, first 2 shown]
	s_waitcnt vmcnt(0)
	v_sub_f32_e32 v2, v135, v2
	v_sub_f32_e32 v1, v158, v1
	buffer_store_dword v2, off, s[0:3], 0 offset:40
	buffer_store_dword v1, off, s[0:3], 0 offset:44
	v_cmpx_lt_u32_e32 4, v0
	s_cbranch_execz .LBB49_305
; %bb.304:
	s_clause 0x1
	buffer_load_dword v1, off, s[0:3], 0 offset:32
	buffer_load_dword v2, off, s[0:3], 0 offset:36
	v_mov_b32_e32 v3, 0
	buffer_store_dword v3, off, s[0:3], 0 offset:32
	buffer_store_dword v3, off, s[0:3], 0 offset:36
	s_waitcnt vmcnt(0)
	ds_write_b64 v109, v[1:2]
.LBB49_305:
	s_or_b32 exec_lo, exec_lo, s4
	s_waitcnt lgkmcnt(0)
	s_waitcnt_vscnt null, 0x0
	s_barrier
	buffer_gl0_inv
	s_clause 0x2c
	buffer_load_dword v148, off, s[0:3], 0 offset:44
	buffer_load_dword v149, off, s[0:3], 0 offset:52
	;; [unrolled: 1-line block ×45, first 2 shown]
	v_mov_b32_e32 v1, 0
	ds_read2_b64 v[140:143], v1 offset0:55 offset1:56
	ds_read2_b64 v[144:147], v1 offset0:57 offset1:58
	buffer_load_dword v158, off, s[0:3], 0 offset:36
	s_mov_b32 s4, exec_lo
	s_waitcnt vmcnt(45) lgkmcnt(1)
	v_mul_f32_e32 v156, v141, v148
	v_mul_f32_e32 v148, v140, v148
	s_waitcnt vmcnt(44)
	v_mul_f32_e32 v157, v142, v149
	v_mul_f32_e32 v149, v143, v149
	s_waitcnt vmcnt(41)
	v_fma_f32 v156, v140, v137, -v156
	v_fmac_f32_e32 v148, v141, v137
	v_fmac_f32_e32 v157, v143, v133
	v_fma_f32 v149, v142, v133, -v149
	ds_read2_b64 v[140:143], v1 offset0:59 offset1:60
	s_waitcnt vmcnt(40) lgkmcnt(1)
	v_mul_f32_e32 v159, v144, v132
	v_mul_f32_e32 v132, v145, v132
	s_waitcnt vmcnt(39)
	v_mul_f32_e32 v160, v146, v130
	v_mul_f32_e32 v130, v147, v130
	v_fmac_f32_e32 v159, v145, v119
	v_fma_f32 v119, v144, v119, -v132
	s_waitcnt vmcnt(35)
	v_fmac_f32_e32 v160, v147, v138
	v_fma_f32 v161, v146, v138, -v130
	ds_read2_b64 v[144:147], v1 offset0:61 offset1:62
	s_waitcnt vmcnt(34) lgkmcnt(1)
	v_mul_f32_e32 v162, v140, v136
	v_mul_f32_e32 v130, v141, v136
	s_waitcnt vmcnt(33)
	v_mul_f32_e32 v163, v142, v135
	v_mul_f32_e32 v132, v143, v135
	ds_read2_b64 v[135:138], v1 offset0:63 offset1:64
	v_fmac_f32_e32 v162, v141, v127
	v_fma_f32 v127, v140, v127, -v130
	v_fmac_f32_e32 v163, v143, v122
	v_fma_f32 v164, v142, v122, -v132
	ds_read2_b64 v[140:143], v1 offset0:65 offset1:66
	s_waitcnt vmcnt(32) lgkmcnt(2)
	v_mul_f32_e32 v165, v144, v126
	v_mul_f32_e32 v122, v145, v126
	s_waitcnt vmcnt(31)
	v_mul_f32_e32 v126, v146, v124
	v_mul_f32_e32 v124, v147, v124
	v_fmac_f32_e32 v165, v145, v8
	v_fma_f32 v8, v144, v8, -v122
	s_waitcnt vmcnt(27)
	v_fmac_f32_e32 v126, v147, v134
	v_fma_f32 v144, v146, v134, -v124
	buffer_load_dword v147, off, s[0:3], 0 offset:228
	s_waitcnt vmcnt(27) lgkmcnt(1)
	v_mul_f32_e32 v145, v135, v131
	v_mul_f32_e32 v122, v136, v131
	s_waitcnt vmcnt(26)
	v_mul_f32_e32 v146, v137, v129
	v_mul_f32_e32 v124, v138, v129
	ds_read2_b64 v[129:132], v1 offset0:67 offset1:68
	v_fmac_f32_e32 v145, v136, v120
	v_fma_f32 v120, v135, v120, -v122
	v_fmac_f32_e32 v146, v138, v114
	v_fma_f32 v137, v137, v114, -v124
	s_waitcnt vmcnt(25) lgkmcnt(1)
	v_mul_f32_e32 v138, v140, v118
	v_mul_f32_e32 v114, v141, v118
	s_waitcnt vmcnt(24)
	v_mul_f32_e32 v118, v142, v116
	v_mul_f32_e32 v116, v143, v116
	ds_read2_b64 v[133:136], v1 offset0:69 offset1:70
	v_fmac_f32_e32 v138, v141, v4
	v_fma_f32 v140, v140, v4, -v114
	s_waitcnt vmcnt(20)
	v_fmac_f32_e32 v118, v143, v128
	v_fma_f32 v128, v142, v128, -v116
	s_waitcnt vmcnt(19) lgkmcnt(1)
	v_mul_f32_e32 v141, v129, v125
	v_mul_f32_e32 v4, v130, v125
	s_waitcnt vmcnt(18)
	v_mul_f32_e32 v142, v131, v123
	v_mul_f32_e32 v114, v132, v123
	ds_read2_b64 v[122:125], v1 offset0:71 offset1:72
	v_fmac_f32_e32 v141, v130, v113
	v_fma_f32 v129, v129, v113, -v4
	v_fmac_f32_e32 v142, v132, v110
	v_fma_f32 v130, v131, v110, -v114
	s_waitcnt vmcnt(17) lgkmcnt(1)
	v_mul_f32_e32 v131, v133, v112
	s_waitcnt vmcnt(16)
	v_mul_f32_e32 v132, v135, v111
	v_mul_f32_e32 v110, v136, v111
	;; [unrolled: 1-line block ×3, first 2 shown]
	v_fmac_f32_e32 v131, v134, v3
	s_waitcnt vmcnt(12)
	v_fmac_f32_e32 v132, v136, v121
	v_fma_f32 v121, v135, v121, -v110
	ds_read2_b64 v[110:113], v1 offset0:73 offset1:74
	v_fma_f32 v133, v133, v3, -v4
	s_waitcnt vmcnt(11) lgkmcnt(1)
	v_mul_f32_e32 v134, v122, v117
	v_mul_f32_e32 v3, v123, v117
	s_waitcnt vmcnt(10)
	v_mul_f32_e32 v135, v124, v115
	v_mul_f32_e32 v4, v125, v115
	ds_read2_b64 v[114:117], v1 offset0:75 offset1:76
	v_fmac_f32_e32 v134, v123, v7
	buffer_load_dword v123, off, s[0:3], 0 offset:220
	v_fma_f32 v7, v122, v7, -v3
	v_fma_f32 v122, v124, v5, -v4
	v_fmac_f32_e32 v135, v125, v5
	s_waitcnt vmcnt(10) lgkmcnt(1)
	v_mul_f32_e32 v124, v110, v6
	v_mul_f32_e32 v3, v111, v6
	s_waitcnt vmcnt(9)
	v_mul_f32_e32 v4, v113, v139
	v_mul_f32_e32 v6, v112, v139
	v_fmac_f32_e32 v124, v111, v2
	v_fma_f32 v125, v110, v2, -v3
	s_waitcnt vmcnt(5)
	v_fma_f32 v136, v112, v153, -v4
	ds_read2_b64 v[2:5], v1 offset0:77 offset1:78
	v_fmac_f32_e32 v6, v113, v153
	s_waitcnt vmcnt(4) lgkmcnt(1)
	v_mul_f32_e32 v139, v114, v154
	v_mul_f32_e32 v110, v115, v154
	s_waitcnt vmcnt(3)
	v_mul_f32_e32 v143, v116, v155
	v_mul_f32_e32 v111, v117, v155
	v_fmac_f32_e32 v139, v115, v152
	v_fma_f32 v114, v114, v152, -v110
	v_fmac_f32_e32 v143, v117, v151
	v_fma_f32 v115, v116, v151, -v111
	s_clause 0x5
	buffer_load_dword v116, off, s[0:3], 0 offset:248
	buffer_load_dword v117, off, s[0:3], 0 offset:240
	;; [unrolled: 1-line block ×6, first 2 shown]
	v_add_f32_e32 v110, 0, v156
	v_add_f32_e32 v111, 0, v148
	buffer_load_dword v148, off, s[0:3], 0 offset:252
	v_add_f32_e32 v110, v110, v149
	buffer_load_dword v149, off, s[0:3], 0 offset:260
	v_add_f32_e32 v111, v111, v157
	v_add_f32_e32 v110, v110, v119
	s_clause 0x3
	buffer_load_dword v119, off, s[0:3], 0 offset:280
	buffer_load_dword v155, off, s[0:3], 0 offset:272
	;; [unrolled: 1-line block ×4, first 2 shown]
	v_add_f32_e32 v111, v111, v159
	v_add_f32_e32 v110, v110, v161
	;; [unrolled: 1-line block ×4, first 2 shown]
	buffer_load_dword v127, off, s[0:3], 0 offset:268
	v_add_f32_e32 v111, v111, v162
	v_add_f32_e32 v110, v110, v164
	s_waitcnt vmcnt(13) lgkmcnt(0)
	v_mul_f32_e32 v159, v2, v123
	v_mul_f32_e32 v112, v3, v123
	v_fmac_f32_e32 v159, v3, v150
	v_fma_f32 v123, v2, v150, -v112
	v_add_f32_e32 v2, v111, v163
	v_add_f32_e32 v3, v110, v8
	ds_read2_b64 v[110:113], v1 offset0:79 offset1:80
	buffer_load_dword v8, off, s[0:3], 0 offset:276
	v_add_f32_e32 v2, v2, v165
	v_add_f32_e32 v3, v3, v144
	v_mul_f32_e32 v144, v4, v147
	v_mul_f32_e32 v147, v5, v147
	v_add_f32_e32 v2, v2, v126
	v_add_f32_e32 v3, v3, v120
	s_clause 0x1
	buffer_load_dword v126, off, s[0:3], 0 offset:284
	buffer_load_dword v120, off, s[0:3], 0 offset:292
	v_add_f32_e32 v145, v2, v145
	v_add_f32_e32 v137, v3, v137
	s_waitcnt vmcnt(12)
	v_fmac_f32_e32 v144, v5, v152
	v_fma_f32 v147, v4, v152, -v147
	ds_read2_b64 v[2:5], v1 offset0:81 offset1:82
	v_add_f32_e32 v145, v145, v146
	s_waitcnt vmcnt(11) lgkmcnt(1)
	v_mul_f32_e32 v150, v110, v153
	v_mul_f32_e32 v152, v111, v153
	v_add_f32_e32 v137, v137, v140
	s_clause 0x3
	buffer_load_dword v140, off, s[0:3], 0 offset:312
	buffer_load_dword v146, off, s[0:3], 0 offset:304
	;; [unrolled: 1-line block ×4, first 2 shown]
	v_fmac_f32_e32 v150, v111, v151
	v_fma_f32 v151, v110, v151, -v152
	v_add_f32_e32 v110, v145, v138
	v_add_f32_e32 v111, v137, v128
	s_waitcnt vmcnt(14)
	v_mul_f32_e32 v128, v112, v154
	v_mul_f32_e32 v137, v113, v154
	s_clause 0x1
	buffer_load_dword v138, off, s[0:3], 0 offset:300
	buffer_load_dword v145, off, s[0:3], 0 offset:308
	v_add_f32_e32 v110, v110, v118
	v_add_f32_e32 v111, v111, v129
	v_fmac_f32_e32 v128, v113, v117
	v_fma_f32 v118, v112, v117, -v137
	buffer_load_dword v152, off, s[0:3], 0 offset:316
	v_add_f32_e32 v117, v110, v141
	v_add_f32_e32 v130, v111, v130
	s_clause 0x3
	buffer_load_dword v129, off, s[0:3], 0 offset:324
	buffer_load_dword v137, off, s[0:3], 0 offset:332
	;; [unrolled: 1-line block ×4, first 2 shown]
	ds_read2_b64 v[110:113], v1 offset0:83 offset1:84
	v_add_f32_e32 v117, v117, v142
	s_waitcnt vmcnt(20) lgkmcnt(1)
	v_mul_f32_e32 v142, v2, v148
	v_mul_f32_e32 v148, v3, v148
	v_add_f32_e32 v130, v130, v133
	s_waitcnt vmcnt(19)
	v_mul_f32_e32 v133, v4, v149
	v_add_f32_e32 v117, v117, v131
	v_mul_f32_e32 v131, v5, v149
	v_fmac_f32_e32 v142, v3, v116
	v_fma_f32 v148, v2, v116, -v148
	v_add_f32_e32 v2, v130, v121
	v_add_f32_e32 v3, v117, v132
	s_clause 0x3
	buffer_load_dword v130, off, s[0:3], 0 offset:356
	buffer_load_dword v132, off, s[0:3], 0 offset:364
	;; [unrolled: 1-line block ×4, first 2 shown]
	s_waitcnt vmcnt(19)
	v_fmac_f32_e32 v133, v5, v157
	v_fma_f32 v131, v4, v157, -v131
	buffer_load_dword v157, off, s[0:3], 0 offset:388
	v_add_f32_e32 v3, v3, v134
	s_clause 0x4
	buffer_load_dword v134, off, s[0:3], 0 offset:344
	buffer_load_dword v162, off, s[0:3], 0 offset:336
	;; [unrolled: 1-line block ×5, first 2 shown]
	v_add_f32_e32 v2, v2, v7
	s_waitcnt vmcnt(24) lgkmcnt(0)
	v_mul_f32_e32 v117, v111, v127
	v_add_f32_e32 v7, v3, v135
	v_mul_f32_e32 v135, v110, v127
	v_add_f32_e32 v2, v2, v122
	v_fma_f32 v122, v110, v156, -v117
	v_add_f32_e32 v7, v7, v124
	v_fmac_f32_e32 v135, v111, v156
	v_add_f32_e32 v116, v2, v125
	ds_read2_b64 v[2:5], v1 offset0:85 offset1:86
	v_add_f32_e32 v6, v7, v6
	v_add_f32_e32 v116, v116, v136
	s_clause 0x3
	buffer_load_dword v127, off, s[0:3], 0 offset:376
	buffer_load_dword v136, off, s[0:3], 0 offset:368
	;; [unrolled: 1-line block ×4, first 2 shown]
	v_add_f32_e32 v6, v6, v139
	s_clause 0x1
	buffer_load_dword v139, off, s[0:3], 0 offset:392
	buffer_load_dword v167, off, s[0:3], 0 offset:384
	v_add_f32_e32 v7, v116, v114
	v_add_f32_e32 v6, v6, v143
	buffer_load_dword v143, off, s[0:3], 0 offset:32
	v_add_f32_e32 v7, v7, v115
	ds_read2_b64 v[114:117], v1 offset0:89 offset1:90
	v_add_f32_e32 v6, v6, v159
	v_add_f32_e32 v7, v7, v123
	;; [unrolled: 1-line block ×14, first 2 shown]
	s_waitcnt vmcnt(30)
	v_mul_f32_e32 v168, v112, v8
	v_mul_f32_e32 v8, v113, v8
	v_fmac_f32_e32 v168, v113, v155
	v_fma_f32 v8, v112, v155, -v8
	ds_read2_b64 v[110:113], v1 offset0:87 offset1:88
	s_waitcnt vmcnt(29) lgkmcnt(2)
	v_mul_f32_e32 v121, v3, v126
	v_mul_f32_e32 v144, v2, v126
	s_waitcnt vmcnt(28)
	v_mul_f32_e32 v126, v4, v120
	v_mul_f32_e32 v120, v5, v120
	v_add_f32_e32 v8, v7, v8
	v_fma_f32 v147, v2, v119, -v121
	v_fmac_f32_e32 v144, v3, v119
	v_add_f32_e32 v133, v133, v168
	v_add_f32_e32 v8, v8, v147
	;; [unrolled: 1-line block ×3, first 2 shown]
	s_waitcnt vmcnt(24)
	v_fma_f32 v150, v4, v160, -v120
	v_fmac_f32_e32 v126, v5, v160
	ds_read2_b64 v[2:5], v1 offset0:91 offset1:92
	ds_read2_b64 v[118:121], v1 offset0:93 offset1:94
	ds_read_b64 v[6:7], v1 offset:792
	v_add_f32_e32 v8, v8, v150
	v_add_f32_e32 v126, v133, v126
	s_waitcnt vmcnt(23) lgkmcnt(3)
	v_mul_f32_e32 v123, v111, v138
	v_mul_f32_e32 v128, v110, v138
	s_waitcnt vmcnt(22)
	v_mul_f32_e32 v138, v112, v145
	v_mul_f32_e32 v131, v113, v145
	v_fma_f32 v142, v110, v153, -v123
	v_fmac_f32_e32 v128, v111, v153
	v_fmac_f32_e32 v138, v113, v146
	v_fma_f32 v131, v112, v146, -v131
	s_waitcnt vmcnt(21)
	v_mul_f32_e32 v146, v115, v152
	v_add_f32_e32 v8, v8, v142
	v_mul_f32_e32 v135, v114, v152
	v_add_f32_e32 v126, v126, v128
	s_waitcnt vmcnt(20)
	v_mul_f32_e32 v145, v116, v129
	v_mul_f32_e32 v129, v117, v129
	v_fma_f32 v114, v114, v140, -v146
	v_add_f32_e32 v8, v8, v131
	v_fmac_f32_e32 v135, v115, v140
	v_add_f32_e32 v126, v126, v138
	ds_read2_b64 v[122:125], v1 offset0:95 offset1:96
	ds_read2_b64 v[110:113], v1 offset0:97 offset1:98
	s_waitcnt vmcnt(19) lgkmcnt(4)
	v_mul_f32_e32 v144, v2, v137
	v_mul_f32_e32 v137, v3, v137
	v_add_f32_e32 v8, v8, v114
	v_add_f32_e32 v114, v126, v135
	s_waitcnt vmcnt(18)
	v_mul_f32_e32 v147, v4, v141
	s_waitcnt vmcnt(9)
	v_fmac_f32_e32 v144, v3, v163
	s_waitcnt vmcnt(8)
	v_fma_f32 v116, v116, v164, -v129
	v_fmac_f32_e32 v145, v117, v164
	v_mul_f32_e32 v117, v5, v141
	v_fma_f32 v2, v2, v163, -v137
	s_waitcnt lgkmcnt(3)
	v_mul_f32_e32 v148, v118, v154
	v_add_f32_e32 v3, v8, v116
	v_add_f32_e32 v8, v114, v145
	v_mul_f32_e32 v114, v119, v154
	v_fma_f32 v4, v4, v162, -v117
	v_fmac_f32_e32 v147, v5, v162
	v_add_f32_e32 v2, v3, v2
	v_add_f32_e32 v3, v8, v144
	v_mul_f32_e32 v5, v121, v130
	v_fma_f32 v8, v118, v134, -v114
	v_mul_f32_e32 v133, v120, v130
	v_add_f32_e32 v2, v2, v4
	v_fmac_f32_e32 v148, v119, v134
	v_add_f32_e32 v3, v3, v147
	s_waitcnt lgkmcnt(1)
	v_mul_f32_e32 v4, v123, v132
	s_waitcnt vmcnt(3)
	v_fma_f32 v5, v120, v166, -v5
	v_add_f32_e32 v2, v2, v8
	v_mul_f32_e32 v142, v122, v132
	v_fmac_f32_e32 v133, v121, v166
	v_add_f32_e32 v3, v3, v148
	v_mul_f32_e32 v8, v125, v149
	v_fma_f32 v4, v122, v156, -v4
	v_add_f32_e32 v2, v2, v5
	v_mul_f32_e32 v115, v124, v149
	v_fmac_f32_e32 v142, v123, v156
	v_add_f32_e32 v3, v3, v133
	s_waitcnt lgkmcnt(0)
	v_mul_f32_e32 v5, v111, v161
	v_fma_f32 v8, v124, v136, -v8
	v_add_f32_e32 v2, v2, v4
	v_mul_f32_e32 v128, v110, v161
	v_fmac_f32_e32 v115, v125, v136
	v_add_f32_e32 v3, v3, v142
	v_mul_f32_e32 v4, v113, v157
	v_fma_f32 v5, v110, v127, -v5
	v_add_f32_e32 v2, v2, v8
	v_mul_f32_e32 v131, v112, v157
	v_fmac_f32_e32 v128, v111, v127
	v_add_f32_e32 v3, v3, v115
	v_mul_f32_e32 v8, v7, v165
	s_waitcnt vmcnt(1)
	v_fma_f32 v4, v112, v167, -v4
	v_add_f32_e32 v2, v2, v5
	v_mul_f32_e32 v138, v6, v165
	v_fmac_f32_e32 v131, v113, v167
	v_add_f32_e32 v3, v3, v128
	v_fma_f32 v5, v6, v139, -v8
	v_add_f32_e32 v2, v2, v4
	v_fmac_f32_e32 v138, v7, v139
	v_add_f32_e32 v3, v3, v131
	v_add_f32_e32 v2, v2, v5
	;; [unrolled: 1-line block ×3, first 2 shown]
	s_waitcnt vmcnt(0)
	v_sub_f32_e32 v2, v143, v2
	v_sub_f32_e32 v3, v158, v3
	buffer_store_dword v2, off, s[0:3], 0 offset:32
	buffer_store_dword v3, off, s[0:3], 0 offset:36
	v_cmpx_lt_u32_e32 3, v0
	s_cbranch_execz .LBB49_307
; %bb.306:
	s_clause 0x1
	buffer_load_dword v2, off, s[0:3], 0 offset:24
	buffer_load_dword v3, off, s[0:3], 0 offset:28
	buffer_store_dword v1, off, s[0:3], 0 offset:24
	buffer_store_dword v1, off, s[0:3], 0 offset:28
	s_waitcnt vmcnt(0)
	ds_write_b64 v109, v[2:3]
.LBB49_307:
	s_or_b32 exec_lo, exec_lo, s4
	s_waitcnt lgkmcnt(0)
	s_waitcnt_vscnt null, 0x0
	s_barrier
	buffer_gl0_inv
	s_clause 0x2c
	buffer_load_dword v148, off, s[0:3], 0 offset:36
	buffer_load_dword v149, off, s[0:3], 0 offset:44
	;; [unrolled: 1-line block ×45, first 2 shown]
	ds_read_b128 v[140:143], v1 offset:432
	ds_read_b128 v[144:147], v1 offset:448
	buffer_load_dword v158, off, s[0:3], 0 offset:28
	s_mov_b32 s4, exec_lo
	s_waitcnt vmcnt(45) lgkmcnt(1)
	v_mul_f32_e32 v156, v141, v148
	v_mul_f32_e32 v148, v140, v148
	s_waitcnt vmcnt(44)
	v_mul_f32_e32 v157, v142, v149
	v_mul_f32_e32 v149, v143, v149
	s_waitcnt vmcnt(41)
	v_fma_f32 v156, v140, v138, -v156
	v_fmac_f32_e32 v148, v141, v138
	v_fmac_f32_e32 v157, v143, v134
	v_fma_f32 v149, v142, v134, -v149
	ds_read_b128 v[140:143], v1 offset:464
	s_waitcnt vmcnt(40) lgkmcnt(1)
	v_mul_f32_e32 v159, v144, v133
	v_mul_f32_e32 v133, v145, v133
	s_waitcnt vmcnt(39)
	v_mul_f32_e32 v160, v146, v131
	v_mul_f32_e32 v131, v147, v131
	v_fmac_f32_e32 v159, v145, v120
	v_fma_f32 v120, v144, v120, -v133
	s_waitcnt vmcnt(35)
	v_fmac_f32_e32 v160, v147, v139
	v_fma_f32 v161, v146, v139, -v131
	ds_read_b128 v[144:147], v1 offset:480
	s_waitcnt vmcnt(34) lgkmcnt(1)
	v_mul_f32_e32 v162, v140, v137
	v_mul_f32_e32 v131, v141, v137
	s_waitcnt vmcnt(33)
	v_mul_f32_e32 v163, v142, v136
	v_mul_f32_e32 v133, v143, v136
	ds_read_b128 v[136:139], v1 offset:496
	v_fmac_f32_e32 v162, v141, v128
	v_fma_f32 v128, v140, v128, -v131
	v_fmac_f32_e32 v163, v143, v123
	v_fma_f32 v164, v142, v123, -v133
	ds_read_b128 v[140:143], v1 offset:512
	s_waitcnt vmcnt(32) lgkmcnt(2)
	v_mul_f32_e32 v165, v144, v127
	v_mul_f32_e32 v123, v145, v127
	s_waitcnt vmcnt(31)
	v_mul_f32_e32 v127, v146, v125
	v_mul_f32_e32 v125, v147, v125
	v_fmac_f32_e32 v165, v145, v110
	v_fma_f32 v144, v144, v110, -v123
	s_waitcnt vmcnt(27)
	v_fmac_f32_e32 v127, v147, v135
	v_fma_f32 v145, v146, v135, -v125
	s_waitcnt vmcnt(26) lgkmcnt(1)
	v_mul_f32_e32 v146, v136, v132
	v_mul_f32_e32 v110, v137, v132
	s_waitcnt vmcnt(25)
	v_mul_f32_e32 v147, v138, v130
	v_mul_f32_e32 v123, v139, v130
	ds_read_b128 v[130:133], v1 offset:528
	v_fmac_f32_e32 v146, v137, v121
	v_fma_f32 v121, v136, v121, -v110
	ds_read_b128 v[134:137], v1 offset:544
	v_fmac_f32_e32 v147, v139, v115
	v_fma_f32 v138, v138, v115, -v123
	s_waitcnt vmcnt(24) lgkmcnt(2)
	v_mul_f32_e32 v139, v140, v119
	v_mul_f32_e32 v110, v141, v119
	s_waitcnt vmcnt(23)
	v_mul_f32_e32 v119, v142, v117
	v_mul_f32_e32 v115, v143, v117
	v_fmac_f32_e32 v139, v141, v4
	v_fma_f32 v140, v140, v4, -v110
	s_waitcnt vmcnt(19)
	v_fmac_f32_e32 v119, v143, v129
	v_fma_f32 v129, v142, v129, -v115
	s_waitcnt vmcnt(18) lgkmcnt(1)
	v_mul_f32_e32 v141, v130, v126
	s_waitcnt vmcnt(17)
	v_mul_f32_e32 v142, v132, v124
	v_mul_f32_e32 v110, v133, v124
	;; [unrolled: 1-line block ×3, first 2 shown]
	ds_read_b128 v[123:126], v1 offset:560
	v_fmac_f32_e32 v141, v131, v114
	v_fmac_f32_e32 v142, v133, v111
	v_fma_f32 v131, v132, v111, -v110
	s_waitcnt vmcnt(15) lgkmcnt(1)
	v_mul_f32_e32 v133, v136, v112
	v_mul_f32_e32 v110, v137, v112
	v_fma_f32 v130, v130, v114, -v4
	v_mul_f32_e32 v132, v134, v113
	v_mul_f32_e32 v4, v135, v113
	s_waitcnt vmcnt(11)
	v_fmac_f32_e32 v133, v137, v122
	v_fma_f32 v122, v136, v122, -v110
	ds_read_b128 v[110:113], v1 offset:576
	v_fmac_f32_e32 v132, v135, v3
	v_fma_f32 v134, v134, v3, -v4
	s_waitcnt vmcnt(10) lgkmcnt(1)
	v_mul_f32_e32 v135, v123, v118
	v_mul_f32_e32 v3, v124, v118
	s_waitcnt vmcnt(9)
	v_mul_f32_e32 v4, v126, v116
	v_mul_f32_e32 v118, v125, v116
	ds_read_b128 v[114:117], v1 offset:592
	v_fmac_f32_e32 v135, v124, v8
	v_fma_f32 v8, v123, v8, -v3
	v_fma_f32 v123, v125, v5, -v4
	v_fmac_f32_e32 v118, v126, v5
	s_waitcnt vmcnt(8) lgkmcnt(1)
	v_mul_f32_e32 v124, v110, v7
	v_mul_f32_e32 v3, v111, v7
	s_waitcnt vmcnt(7)
	v_mul_f32_e32 v7, v112, v6
	v_mul_f32_e32 v4, v113, v6
	buffer_load_dword v6, off, s[0:3], 0 offset:212
	v_fmac_f32_e32 v124, v111, v2
	v_fma_f32 v125, v110, v2, -v3
	s_waitcnt vmcnt(4)
	v_fmac_f32_e32 v7, v113, v153
	v_fma_f32 v126, v112, v153, -v4
	buffer_load_dword v112, off, s[0:3], 0 offset:220
	ds_read_b128 v[2:5], v1 offset:608
	s_waitcnt vmcnt(4) lgkmcnt(1)
	v_mul_f32_e32 v136, v114, v154
	v_mul_f32_e32 v110, v115, v154
	s_waitcnt vmcnt(3)
	v_mul_f32_e32 v137, v116, v155
	v_mul_f32_e32 v111, v117, v155
	v_fmac_f32_e32 v136, v115, v152
	v_fma_f32 v114, v114, v152, -v110
	v_fmac_f32_e32 v137, v117, v151
	v_fma_f32 v115, v116, v151, -v111
	s_clause 0x5
	buffer_load_dword v116, off, s[0:3], 0 offset:240
	buffer_load_dword v117, off, s[0:3], 0 offset:232
	;; [unrolled: 1-line block ×6, first 2 shown]
	v_add_f32_e32 v110, 0, v156
	v_add_f32_e32 v111, 0, v148
	;; [unrolled: 1-line block ×3, first 2 shown]
	buffer_load_dword v149, off, s[0:3], 0 offset:244
	v_add_f32_e32 v111, v111, v157
	v_add_f32_e32 v110, v110, v120
	s_clause 0x4
	buffer_load_dword v120, off, s[0:3], 0 offset:252
	buffer_load_dword v148, off, s[0:3], 0 offset:272
	;; [unrolled: 1-line block ×5, first 2 shown]
	v_add_f32_e32 v111, v111, v159
	v_add_f32_e32 v110, v110, v161
	;; [unrolled: 1-line block ×4, first 2 shown]
	s_clause 0x2
	buffer_load_dword v128, off, s[0:3], 0 offset:260
	buffer_load_dword v157, off, s[0:3], 0 offset:268
	;; [unrolled: 1-line block ×3, first 2 shown]
	v_add_f32_e32 v111, v111, v162
	v_add_f32_e32 v110, v110, v164
	;; [unrolled: 1-line block ×5, first 2 shown]
	s_waitcnt vmcnt(16) lgkmcnt(0)
	v_mul_f32_e32 v160, v2, v6
	v_mul_f32_e32 v6, v3, v6
	v_fmac_f32_e32 v160, v3, v150
	v_fma_f32 v6, v2, v150, -v6
	v_add_f32_e32 v2, v110, v145
	v_add_f32_e32 v3, v111, v127
	s_waitcnt vmcnt(15)
	v_mul_f32_e32 v144, v4, v112
	v_mul_f32_e32 v161, v5, v112
	ds_read_b128 v[110:113], v1 offset:624
	v_add_f32_e32 v2, v2, v121
	v_add_f32_e32 v3, v3, v146
	s_waitcnt vmcnt(11)
	v_fmac_f32_e32 v144, v5, v151
	v_add_f32_e32 v2, v2, v138
	v_add_f32_e32 v3, v3, v147
	v_fma_f32 v127, v4, v151, -v161
	s_clause 0x4
	buffer_load_dword v121, off, s[0:3], 0 offset:284
	buffer_load_dword v145, off, s[0:3], 0 offset:304
	;; [unrolled: 1-line block ×5, first 2 shown]
	v_add_f32_e32 v2, v2, v140
	v_add_f32_e32 v3, v3, v139
	s_clause 0x2
	buffer_load_dword v138, off, s[0:3], 0 offset:292
	buffer_load_dword v139, off, s[0:3], 0 offset:300
	;; [unrolled: 1-line block ×3, first 2 shown]
	v_add_f32_e32 v129, v2, v129
	v_add_f32_e32 v119, v3, v119
	ds_read_b128 v[2:5], v1 offset:640
	s_waitcnt vmcnt(18) lgkmcnt(1)
	v_mul_f32_e32 v147, v110, v152
	v_add_f32_e32 v129, v129, v130
	v_add_f32_e32 v119, v119, v141
	v_mul_f32_e32 v152, v111, v152
	s_waitcnt vmcnt(17)
	v_mul_f32_e32 v141, v113, v153
	v_fmac_f32_e32 v147, v111, v143
	v_add_f32_e32 v111, v129, v131
	v_add_f32_e32 v119, v119, v142
	v_mul_f32_e32 v130, v112, v153
	v_fma_f32 v129, v110, v143, -v152
	v_fma_f32 v131, v112, v117, -v141
	v_add_f32_e32 v110, v111, v134
	v_add_f32_e32 v111, v119, v132
	s_clause 0x7
	buffer_load_dword v132, off, s[0:3], 0 offset:316
	buffer_load_dword v134, off, s[0:3], 0 offset:324
	;; [unrolled: 1-line block ×8, first 2 shown]
	v_fmac_f32_e32 v130, v113, v117
	v_add_f32_e32 v110, v110, v122
	v_add_f32_e32 v111, v111, v133
	s_waitcnt vmcnt(24) lgkmcnt(0)
	v_mul_f32_e32 v119, v2, v149
	v_mul_f32_e32 v112, v3, v149
	s_clause 0x3
	buffer_load_dword v133, off, s[0:3], 0 offset:348
	buffer_load_dword v149, off, s[0:3], 0 offset:356
	;; [unrolled: 1-line block ×4, first 2 shown]
	v_fmac_f32_e32 v119, v3, v116
	v_fma_f32 v122, v2, v116, -v112
	v_add_f32_e32 v2, v110, v8
	v_add_f32_e32 v110, v111, v135
	s_waitcnt vmcnt(27)
	v_mul_f32_e32 v135, v4, v120
	v_mul_f32_e32 v3, v5, v120
	s_clause 0x1
	buffer_load_dword v8, off, s[0:3], 0 offset:380
	buffer_load_dword v164, off, s[0:3], 0 offset:388
	v_add_f32_e32 v111, v2, v123
	buffer_load_dword v165, off, s[0:3], 0 offset:396
	s_waitcnt vmcnt(26)
	v_fmac_f32_e32 v135, v5, v156
	v_fma_f32 v123, v4, v156, -v3
	ds_read_b128 v[2:5], v1 offset:656
	v_add_f32_e32 v110, v110, v118
	v_add_f32_e32 v111, v111, v125
	s_clause 0x3
	buffer_load_dword v156, off, s[0:3], 0 offset:368
	buffer_load_dword v166, off, s[0:3], 0 offset:360
	;; [unrolled: 1-line block ×4, first 2 shown]
	v_add_f32_e32 v110, v110, v124
	v_add_f32_e32 v111, v111, v126
	;; [unrolled: 1-line block ×4, first 2 shown]
	ds_read_b128 v[110:113], v1 offset:672
	v_add_f32_e32 v7, v7, v136
	v_add_f32_e32 v114, v114, v115
	s_waitcnt vmcnt(29) lgkmcnt(1)
	v_mul_f32_e32 v124, v2, v128
	v_mul_f32_e32 v115, v3, v128
	s_waitcnt vmcnt(28)
	v_mul_f32_e32 v126, v4, v157
	v_fmac_f32_e32 v124, v3, v155
	v_fma_f32 v125, v2, v155, -v115
	v_add_f32_e32 v2, v7, v137
	v_add_f32_e32 v3, v114, v6
	s_clause 0x3
	buffer_load_dword v6, off, s[0:3], 0 offset:392
	buffer_load_dword v7, off, s[0:3], 0 offset:384
	;; [unrolled: 1-line block ×4, first 2 shown]
	v_mul_f32_e32 v114, v5, v157
	v_add_f32_e32 v2, v2, v160
	v_add_f32_e32 v3, v3, v127
	v_fmac_f32_e32 v126, v5, v154
	s_waitcnt vmcnt(31) lgkmcnt(0)
	v_mul_f32_e32 v128, v111, v159
	v_fma_f32 v127, v4, v154, -v114
	v_add_f32_e32 v115, v2, v144
	v_add_f32_e32 v118, v3, v129
	ds_read_b128 v[2:5], v1 offset:688
	v_fma_f32 v128, v110, v148, -v128
	v_add_f32_e32 v120, v115, v147
	ds_read_b128 v[114:117], v1 offset:704
	v_add_f32_e32 v118, v118, v131
	v_mul_f32_e32 v131, v110, v159
	v_add_f32_e32 v120, v120, v130
	v_add_f32_e32 v122, v118, v122
	v_fmac_f32_e32 v131, v111, v148
	v_add_f32_e32 v129, v120, v119
	v_add_f32_e32 v122, v122, v123
	;; [unrolled: 1-line block ×6, first 2 shown]
	s_waitcnt vmcnt(30)
	v_mul_f32_e32 v130, v112, v121
	v_mul_f32_e32 v121, v113, v121
	s_waitcnt vmcnt(26)
	v_fmac_f32_e32 v130, v113, v151
	s_waitcnt vmcnt(25) lgkmcnt(1)
	v_mul_f32_e32 v147, v2, v138
	v_mul_f32_e32 v123, v3, v138
	s_waitcnt vmcnt(24)
	v_mul_f32_e32 v135, v4, v139
	v_mul_f32_e32 v138, v5, v139
	s_waitcnt vmcnt(23) lgkmcnt(0)
	v_mul_f32_e32 v139, v114, v140
	v_fma_f32 v144, v112, v151, -v121
	v_mul_f32_e32 v140, v115, v140
	v_fmac_f32_e32 v135, v5, v146
	v_fma_f32 v138, v4, v146, -v138
	v_add_f32_e32 v146, v129, v126
	v_fmac_f32_e32 v139, v115, v145
	v_add_f32_e32 v115, v127, v128
	ds_read_b128 v[110:113], v1 offset:720
	ds_read_b128 v[118:121], v1 offset:736
	v_fmac_f32_e32 v147, v3, v150
	v_fma_f32 v148, v2, v150, -v123
	ds_read_b128 v[2:5], v1 offset:752
	ds_read_b128 v[122:125], v1 offset:768
	;; [unrolled: 1-line block ×3, first 2 shown]
	v_add_f32_e32 v1, v146, v131
	v_add_f32_e32 v115, v115, v144
	v_fma_f32 v114, v114, v145, -v140
	s_waitcnt vmcnt(22)
	v_mul_f32_e32 v131, v116, v132
	v_mul_f32_e32 v132, v117, v132
	v_add_f32_e32 v1, v1, v130
	v_add_f32_e32 v115, v115, v148
	s_waitcnt vmcnt(15)
	v_fmac_f32_e32 v131, v117, v161
	v_fma_f32 v116, v116, v161, -v132
	v_add_f32_e32 v1, v1, v147
	v_add_f32_e32 v115, v115, v138
	s_waitcnt lgkmcnt(4)
	v_mul_f32_e32 v140, v110, v134
	v_add_f32_e32 v1, v1, v135
	v_mul_f32_e32 v134, v111, v134
	v_add_f32_e32 v114, v115, v114
	v_mul_f32_e32 v135, v113, v141
	v_fmac_f32_e32 v140, v111, v153
	v_add_f32_e32 v1, v1, v139
	v_fma_f32 v110, v110, v153, -v134
	v_add_f32_e32 v111, v114, v116
	v_mul_f32_e32 v130, v112, v141
	s_waitcnt lgkmcnt(3)
	v_mul_f32_e32 v114, v119, v142
	v_add_f32_e32 v1, v1, v131
	v_fma_f32 v112, v112, v152, -v135
	v_add_f32_e32 v110, v111, v110
	v_mul_f32_e32 v117, v118, v142
	v_fmac_f32_e32 v130, v113, v152
	v_add_f32_e32 v1, v1, v140
	s_waitcnt vmcnt(14)
	v_mul_f32_e32 v111, v121, v133
	v_fma_f32 v113, v118, v143, -v114
	v_add_f32_e32 v110, v110, v112
	v_mul_f32_e32 v132, v120, v133
	v_fmac_f32_e32 v117, v119, v143
	v_add_f32_e32 v1, v1, v130
	s_waitcnt vmcnt(13) lgkmcnt(2)
	v_mul_f32_e32 v144, v2, v149
	v_mul_f32_e32 v112, v3, v149
	s_waitcnt vmcnt(4)
	v_fma_f32 v111, v120, v168, -v111
	v_add_f32_e32 v110, v110, v113
	v_fmac_f32_e32 v132, v121, v168
	v_add_f32_e32 v1, v1, v117
	v_mul_f32_e32 v113, v5, v162
	v_fmac_f32_e32 v144, v3, v167
	v_fma_f32 v2, v2, v167, -v112
	v_add_f32_e32 v3, v110, v111
	v_mul_f32_e32 v145, v4, v162
	v_add_f32_e32 v1, v1, v132
	s_waitcnt lgkmcnt(1)
	v_mul_f32_e32 v110, v123, v163
	v_fma_f32 v4, v4, v166, -v113
	v_add_f32_e32 v2, v3, v2
	v_mul_f32_e32 v146, v122, v163
	v_fmac_f32_e32 v145, v5, v166
	v_add_f32_e32 v1, v1, v144
	v_mul_f32_e32 v3, v125, v8
	v_fma_f32 v5, v122, v156, -v110
	v_add_f32_e32 v2, v2, v4
	v_mul_f32_e32 v138, v124, v8
	v_fmac_f32_e32 v146, v123, v156
	v_add_f32_e32 v1, v1, v145
	s_waitcnt lgkmcnt(0)
	v_mul_f32_e32 v4, v127, v164
	s_waitcnt vmcnt(1)
	v_fma_f32 v3, v124, v136, -v3
	v_add_f32_e32 v2, v2, v5
	v_mul_f32_e32 v141, v126, v164
	v_fmac_f32_e32 v138, v125, v136
	v_add_f32_e32 v1, v1, v146
	v_mul_f32_e32 v5, v129, v165
	v_fma_f32 v4, v126, v7, -v4
	v_add_f32_e32 v2, v2, v3
	v_mul_f32_e32 v115, v128, v165
	v_fmac_f32_e32 v141, v127, v7
	v_add_f32_e32 v1, v1, v138
	v_fma_f32 v3, v128, v6, -v5
	v_add_f32_e32 v2, v2, v4
	v_fmac_f32_e32 v115, v129, v6
	v_add_f32_e32 v1, v1, v141
	v_add_f32_e32 v2, v2, v3
	;; [unrolled: 1-line block ×3, first 2 shown]
	s_waitcnt vmcnt(0)
	v_sub_f32_e32 v2, v137, v2
	v_sub_f32_e32 v1, v158, v1
	buffer_store_dword v2, off, s[0:3], 0 offset:24
	buffer_store_dword v1, off, s[0:3], 0 offset:28
	v_cmpx_lt_u32_e32 2, v0
	s_cbranch_execz .LBB49_309
; %bb.308:
	s_clause 0x1
	buffer_load_dword v1, off, s[0:3], 0 offset:16
	buffer_load_dword v2, off, s[0:3], 0 offset:20
	v_mov_b32_e32 v3, 0
	buffer_store_dword v3, off, s[0:3], 0 offset:16
	buffer_store_dword v3, off, s[0:3], 0 offset:20
	s_waitcnt vmcnt(0)
	ds_write_b64 v109, v[1:2]
.LBB49_309:
	s_or_b32 exec_lo, exec_lo, s4
	s_waitcnt lgkmcnt(0)
	s_waitcnt_vscnt null, 0x0
	s_barrier
	buffer_gl0_inv
	s_clause 0x2c
	buffer_load_dword v140, off, s[0:3], 0 offset:28
	buffer_load_dword v141, off, s[0:3], 0 offset:36
	;; [unrolled: 1-line block ×45, first 2 shown]
	v_mov_b32_e32 v1, 0
	ds_read2_b64 v[149:152], v1 offset0:53 offset1:54
	ds_read2_b64 v[153:156], v1 offset0:55 offset1:56
	buffer_load_dword v158, off, s[0:3], 0 offset:20
	s_mov_b32 s4, exec_lo
	s_waitcnt vmcnt(45) lgkmcnt(1)
	v_mul_f32_e32 v142, v149, v140
	v_mul_f32_e32 v157, v150, v140
	s_waitcnt vmcnt(44)
	v_mul_f32_e32 v140, v151, v141
	v_mul_f32_e32 v141, v152, v141
	s_waitcnt vmcnt(41)
	v_fmac_f32_e32 v142, v150, v111
	v_fma_f32 v157, v149, v111, -v157
	v_fmac_f32_e32 v140, v152, v7
	v_fma_f32 v141, v151, v7, -v141
	ds_read2_b64 v[149:152], v1 offset0:57 offset1:58
	s_waitcnt vmcnt(40) lgkmcnt(1)
	v_mul_f32_e32 v159, v153, v4
	s_waitcnt vmcnt(39)
	v_mul_f32_e32 v160, v155, v5
	v_mul_f32_e32 v4, v154, v4
	;; [unrolled: 1-line block ×3, first 2 shown]
	v_fmac_f32_e32 v159, v154, v2
	s_waitcnt vmcnt(35)
	v_fmac_f32_e32 v160, v156, v114
	v_fma_f32 v161, v153, v2, -v4
	v_fma_f32 v114, v155, v114, -v5
	ds_read2_b64 v[153:156], v1 offset0:59 offset1:60
	s_waitcnt vmcnt(34) lgkmcnt(1)
	v_mul_f32_e32 v162, v149, v113
	s_waitcnt vmcnt(33)
	v_mul_f32_e32 v163, v151, v112
	v_mul_f32_e32 v4, v152, v112
	;; [unrolled: 1-line block ×3, first 2 shown]
	v_fmac_f32_e32 v162, v150, v110
	v_fmac_f32_e32 v163, v152, v6
	v_fma_f32 v150, v151, v6, -v4
	ds_read2_b64 v[4:7], v1 offset0:61 offset1:62
	v_fma_f32 v149, v149, v110, -v2
	s_waitcnt vmcnt(32) lgkmcnt(1)
	v_mul_f32_e32 v151, v153, v8
	v_mul_f32_e32 v2, v154, v8
	s_waitcnt vmcnt(31)
	v_mul_f32_e32 v8, v155, v115
	v_mul_f32_e32 v110, v156, v115
	v_fmac_f32_e32 v151, v154, v3
	v_fma_f32 v115, v153, v3, -v2
	s_waitcnt vmcnt(27)
	v_fmac_f32_e32 v8, v156, v123
	v_fma_f32 v123, v155, v123, -v110
	ds_read2_b64 v[110:113], v1 offset0:63 offset1:64
	buffer_load_dword v153, off, s[0:3], 0 offset:212
	s_waitcnt vmcnt(27) lgkmcnt(1)
	v_mul_f32_e32 v152, v4, v121
	v_mul_f32_e32 v2, v5, v121
	s_waitcnt vmcnt(26)
	v_mul_f32_e32 v3, v7, v120
	v_mul_f32_e32 v121, v6, v120
	v_fmac_f32_e32 v152, v5, v119
	v_fma_f32 v119, v4, v119, -v2
	v_fma_f32 v6, v6, v117, -v3
	ds_read2_b64 v[2:5], v1 offset0:65 offset1:66
	v_fmac_f32_e32 v121, v7, v117
	s_waitcnt vmcnt(25) lgkmcnt(1)
	v_mul_f32_e32 v7, v110, v118
	v_mul_f32_e32 v117, v111, v118
	s_waitcnt vmcnt(24)
	v_mul_f32_e32 v118, v112, v122
	v_mul_f32_e32 v120, v113, v122
	v_fmac_f32_e32 v7, v111, v116
	v_fma_f32 v116, v110, v116, -v117
	s_waitcnt vmcnt(20)
	v_fmac_f32_e32 v118, v113, v131
	v_fma_f32 v117, v112, v131, -v120
	ds_read2_b64 v[110:113], v1 offset0:67 offset1:68
	s_waitcnt vmcnt(19) lgkmcnt(1)
	v_mul_f32_e32 v120, v2, v129
	v_mul_f32_e32 v122, v3, v129
	s_waitcnt vmcnt(18)
	v_mul_f32_e32 v129, v4, v128
	v_mul_f32_e32 v128, v5, v128
	v_fmac_f32_e32 v120, v3, v127
	v_fma_f32 v122, v2, v127, -v122
	v_fmac_f32_e32 v129, v5, v125
	v_fma_f32 v125, v4, v125, -v128
	ds_read2_b64 v[2:5], v1 offset0:69 offset1:70
	s_waitcnt vmcnt(17) lgkmcnt(1)
	v_mul_f32_e32 v127, v110, v126
	v_mul_f32_e32 v126, v111, v126
	s_waitcnt vmcnt(16)
	v_mul_f32_e32 v128, v112, v130
	v_mul_f32_e32 v130, v113, v130
	v_fmac_f32_e32 v127, v111, v124
	v_fma_f32 v124, v110, v124, -v126
	s_waitcnt vmcnt(12)
	v_fmac_f32_e32 v128, v113, v138
	v_fma_f32 v126, v112, v138, -v130
	ds_read2_b64 v[110:113], v1 offset0:71 offset1:72
	s_waitcnt vmcnt(11) lgkmcnt(1)
	v_mul_f32_e32 v130, v2, v137
	v_mul_f32_e32 v131, v3, v137
	s_waitcnt vmcnt(10)
	v_mul_f32_e32 v137, v4, v136
	v_mul_f32_e32 v136, v5, v136
	v_fmac_f32_e32 v130, v3, v135
	v_fma_f32 v131, v2, v135, -v131
	v_fmac_f32_e32 v137, v5, v133
	v_fma_f32 v133, v4, v133, -v136
	ds_read2_b64 v[2:5], v1 offset0:73 offset1:74
	s_waitcnt vmcnt(8) lgkmcnt(1)
	v_mul_f32_e32 v136, v112, v139
	v_mul_f32_e32 v138, v113, v139
	buffer_load_dword v139, off, s[0:3], 0 offset:204
	v_mul_f32_e32 v135, v110, v134
	v_mul_f32_e32 v134, v111, v134
	s_waitcnt vmcnt(5)
	v_fmac_f32_e32 v136, v113, v148
	v_fmac_f32_e32 v135, v111, v132
	v_fma_f32 v132, v110, v132, -v134
	v_fma_f32 v134, v112, v148, -v138
	ds_read2_b64 v[110:113], v1 offset0:75 offset1:76
	s_waitcnt vmcnt(4) lgkmcnt(1)
	v_mul_f32_e32 v138, v2, v147
	v_mul_f32_e32 v147, v3, v147
	s_waitcnt vmcnt(3)
	v_mul_f32_e32 v148, v4, v146
	v_mul_f32_e32 v146, v5, v146
	v_fmac_f32_e32 v138, v3, v145
	v_fma_f32 v145, v2, v145, -v147
	v_fmac_f32_e32 v148, v5, v144
	v_fma_f32 v144, v4, v144, -v146
	s_clause 0x4
	buffer_load_dword v146, off, s[0:3], 0 offset:232
	buffer_load_dword v147, off, s[0:3], 0 offset:224
	;; [unrolled: 1-line block ×5, first 2 shown]
	s_waitcnt vmcnt(5) lgkmcnt(0)
	v_mul_f32_e32 v156, v110, v139
	v_mul_f32_e32 v3, v111, v139
	v_fmac_f32_e32 v156, v111, v143
	v_fma_f32 v139, v110, v143, -v3
	v_mul_f32_e32 v143, v112, v153
	v_mul_f32_e32 v3, v113, v153
	s_waitcnt vmcnt(1)
	v_fmac_f32_e32 v143, v113, v2
	v_fma_f32 v153, v112, v2, -v3
	ds_read2_b64 v[2:5], v1 offset0:77 offset1:78
	ds_read2_b64 v[110:113], v1 offset0:79 offset1:80
	s_waitcnt vmcnt(0) lgkmcnt(1)
	v_mul_f32_e32 v164, v2, v155
	v_mul_f32_e32 v155, v3, v155
	v_fmac_f32_e32 v164, v3, v154
	v_fma_f32 v154, v2, v154, -v155
	buffer_load_dword v2, off, s[0:3], 0 offset:228
	s_waitcnt vmcnt(0)
	v_mul_f32_e32 v155, v4, v2
	v_mul_f32_e32 v2, v5, v2
	v_fmac_f32_e32 v155, v5, v147
	v_fma_f32 v147, v4, v147, -v2
	buffer_load_dword v2, off, s[0:3], 0 offset:236
	s_waitcnt vmcnt(0) lgkmcnt(0)
	v_mul_f32_e32 v165, v110, v2
	v_mul_f32_e32 v2, v111, v2
	v_fmac_f32_e32 v165, v111, v146
	v_fma_f32 v146, v110, v146, -v2
	s_clause 0x5
	buffer_load_dword v2, off, s[0:3], 0 offset:244
	buffer_load_dword v166, off, s[0:3], 0 offset:264
	;; [unrolled: 1-line block ×6, first 2 shown]
	s_waitcnt vmcnt(5)
	v_mul_f32_e32 v169, v112, v2
	v_mul_f32_e32 v2, v113, v2
	s_waitcnt vmcnt(1)
	v_fmac_f32_e32 v169, v113, v3
	v_fma_f32 v170, v112, v3, -v2
	ds_read2_b64 v[2:5], v1 offset0:81 offset1:82
	ds_read2_b64 v[110:113], v1 offset0:83 offset1:84
	s_waitcnt vmcnt(0) lgkmcnt(1)
	v_mul_f32_e32 v172, v2, v171
	v_mul_f32_e32 v171, v3, v171
	v_fmac_f32_e32 v172, v3, v168
	v_fma_f32 v168, v2, v168, -v171
	buffer_load_dword v2, off, s[0:3], 0 offset:260
	s_waitcnt vmcnt(0)
	v_mul_f32_e32 v171, v4, v2
	v_mul_f32_e32 v2, v5, v2
	v_fmac_f32_e32 v171, v5, v167
	v_fma_f32 v167, v4, v167, -v2
	buffer_load_dword v2, off, s[0:3], 0 offset:268
	s_waitcnt vmcnt(0) lgkmcnt(0)
	v_mul_f32_e32 v173, v110, v2
	v_mul_f32_e32 v2, v111, v2
	v_fmac_f32_e32 v173, v111, v166
	v_fma_f32 v166, v110, v166, -v2
	s_clause 0x4
	buffer_load_dword v2, off, s[0:3], 0 offset:276
	buffer_load_dword v174, off, s[0:3], 0 offset:296
	;; [unrolled: 1-line block ×5, first 2 shown]
	s_waitcnt vmcnt(4)
	v_mul_f32_e32 v177, v112, v2
	v_mul_f32_e32 v2, v113, v2
	s_waitcnt vmcnt(0)
	v_fmac_f32_e32 v177, v113, v3
	v_fma_f32 v178, v112, v3, -v2
	v_add_f32_e32 v2, 0, v142
	v_add_f32_e32 v3, 0, v157
	;; [unrolled: 1-line block ×8, first 2 shown]
	buffer_load_dword v114, off, s[0:3], 0 offset:284
	v_add_f32_e32 v2, v2, v162
	v_add_f32_e32 v3, v3, v149
	v_add_f32_e32 v2, v2, v163
	v_add_f32_e32 v3, v3, v150
	v_add_f32_e32 v2, v2, v151
	v_add_f32_e32 v3, v3, v115
	buffer_load_dword v115, off, s[0:3], 0 offset:292
	v_add_f32_e32 v2, v2, v8
	v_add_f32_e32 v3, v3, v123
	s_clause 0x1
	buffer_load_dword v8, off, s[0:3], 0 offset:300
	buffer_load_dword v123, off, s[0:3], 0 offset:308
	v_add_f32_e32 v2, v2, v152
	v_add_f32_e32 v3, v3, v119
	;; [unrolled: 1-line block ×4, first 2 shown]
	s_clause 0x6
	buffer_load_dword v140, off, s[0:3], 0 offset:328
	buffer_load_dword v141, off, s[0:3], 0 offset:320
	;; [unrolled: 1-line block ×7, first 2 shown]
	v_add_f32_e32 v2, v2, v7
	v_add_f32_e32 v3, v3, v116
	;; [unrolled: 1-line block ×8, first 2 shown]
	s_clause 0x3
	buffer_load_dword v129, off, s[0:3], 0 offset:340
	buffer_load_dword v152, off, s[0:3], 0 offset:348
	;; [unrolled: 1-line block ×4, first 2 shown]
	v_add_f32_e32 v2, v2, v127
	v_add_f32_e32 v3, v3, v124
	s_clause 0x1
	buffer_load_dword v127, off, s[0:3], 0 offset:372
	buffer_load_dword v160, off, s[0:3], 0 offset:380
	v_add_f32_e32 v2, v2, v128
	v_add_f32_e32 v3, v3, v126
	s_clause 0x1
	buffer_load_dword v128, off, s[0:3], 0 offset:388
	buffer_load_dword v161, off, s[0:3], 0 offset:396
	v_add_f32_e32 v2, v2, v130
	v_add_f32_e32 v3, v3, v131
	;; [unrolled: 1-line block ×3, first 2 shown]
	s_clause 0x3
	buffer_load_dword v126, off, s[0:3], 0 offset:360
	buffer_load_dword v130, off, s[0:3], 0 offset:352
	;; [unrolled: 1-line block ×4, first 2 shown]
	v_add_f32_e32 v3, v3, v133
	v_add_f32_e32 v2, v2, v135
	;; [unrolled: 1-line block ×4, first 2 shown]
	s_clause 0x3
	buffer_load_dword v132, off, s[0:3], 0 offset:392
	buffer_load_dword v133, off, s[0:3], 0 offset:384
	;; [unrolled: 1-line block ×4, first 2 shown]
	v_add_f32_e32 v3, v3, v134
	buffer_load_dword v134, off, s[0:3], 0 offset:16
	v_add_f32_e32 v2, v2, v138
	v_add_f32_e32 v3, v3, v145
	;; [unrolled: 1-line block ×4, first 2 shown]
	ds_read2_b64 v[2:5], v1 offset0:85 offset1:86
	v_add_f32_e32 v7, v7, v156
	v_add_f32_e32 v110, v110, v139
	;; [unrolled: 1-line block ×6, first 2 shown]
	ds_read2_b64 v[110:113], v1 offset0:87 offset1:88
	v_add_f32_e32 v7, v7, v155
	v_add_f32_e32 v116, v116, v147
	;; [unrolled: 1-line block ×8, first 2 shown]
	s_waitcnt vmcnt(27) lgkmcnt(1)
	v_mul_f32_e32 v138, v2, v114
	v_mul_f32_e32 v114, v3, v114
	v_fmac_f32_e32 v138, v3, v176
	v_add_f32_e32 v3, v116, v146
	v_fma_f32 v143, v2, v176, -v114
	v_add_f32_e32 v138, v148, v138
	v_add_f32_e32 v122, v3, v170
	s_waitcnt vmcnt(26)
	v_mul_f32_e32 v139, v4, v115
	v_add_f32_e32 v122, v122, v168
	v_mul_f32_e32 v115, v5, v115
	s_waitcnt vmcnt(25) lgkmcnt(0)
	v_mul_f32_e32 v145, v110, v8
	v_mul_f32_e32 v8, v111, v8
	v_add_f32_e32 v122, v122, v167
	v_fmac_f32_e32 v139, v5, v175
	v_fma_f32 v144, v4, v175, -v115
	ds_read2_b64 v[2:5], v1 offset0:89 offset1:90
	ds_read2_b64 v[114:117], v1 offset0:91 offset1:92
	v_fma_f32 v8, v110, v174, -v8
	v_add_f32_e32 v110, v122, v166
	s_waitcnt vmcnt(24)
	v_mul_f32_e32 v147, v113, v123
	v_mul_f32_e32 v146, v112, v123
	v_fmac_f32_e32 v145, v111, v174
	v_add_f32_e32 v138, v138, v139
	v_add_f32_e32 v153, v110, v178
	ds_read2_b64 v[118:121], v1 offset0:93 offset1:94
	ds_read2_b64 v[122:125], v1 offset0:95 offset1:96
	s_waitcnt vmcnt(20)
	v_fma_f32 v147, v112, v6, -v147
	v_fmac_f32_e32 v146, v113, v6
	v_add_f32_e32 v143, v153, v143
	v_add_f32_e32 v138, v138, v145
	ds_read2_b64 v[110:113], v1 offset0:97 offset1:98
	ds_read_b64 v[6:7], v1 offset:792
	v_add_f32_e32 v143, v143, v144
	v_add_f32_e32 v138, v138, v146
	s_waitcnt vmcnt(19) lgkmcnt(5)
	v_mul_f32_e32 v154, v2, v149
	v_mul_f32_e32 v149, v3, v149
	s_waitcnt vmcnt(18)
	v_mul_f32_e32 v155, v4, v150
	v_add_f32_e32 v8, v143, v8
	v_mul_f32_e32 v150, v5, v150
	v_fmac_f32_e32 v154, v3, v142
	v_fma_f32 v2, v2, v142, -v149
	s_waitcnt vmcnt(17) lgkmcnt(4)
	v_mul_f32_e32 v148, v114, v151
	v_add_f32_e32 v8, v8, v147
	v_mul_f32_e32 v147, v115, v151
	v_fma_f32 v4, v4, v141, -v150
	v_fmac_f32_e32 v155, v5, v141
	v_add_f32_e32 v5, v138, v154
	v_add_f32_e32 v2, v8, v2
	s_waitcnt vmcnt(16)
	v_mul_f32_e32 v8, v117, v129
	v_fma_f32 v114, v114, v140, -v147
	v_mul_f32_e32 v144, v116, v129
	v_fmac_f32_e32 v148, v115, v140
	v_add_f32_e32 v2, v2, v4
	v_add_f32_e32 v4, v5, v155
	s_waitcnt vmcnt(15) lgkmcnt(3)
	v_mul_f32_e32 v5, v119, v152
	v_mul_f32_e32 v153, v118, v152
	s_waitcnt vmcnt(14)
	v_mul_f32_e32 v139, v120, v157
	v_add_f32_e32 v2, v2, v114
	v_add_f32_e32 v4, v4, v148
	s_waitcnt vmcnt(5)
	v_fma_f32 v8, v116, v137, -v8
	v_fmac_f32_e32 v144, v117, v137
	v_mul_f32_e32 v114, v121, v157
	v_fma_f32 v5, v118, v131, -v5
	v_fmac_f32_e32 v153, v119, v131
	v_add_f32_e32 v2, v2, v8
	v_add_f32_e32 v4, v4, v144
	s_waitcnt lgkmcnt(2)
	v_mul_f32_e32 v8, v123, v159
	v_fma_f32 v114, v120, v130, -v114
	v_mul_f32_e32 v143, v122, v159
	v_add_f32_e32 v2, v2, v5
	v_fmac_f32_e32 v139, v121, v130
	v_add_f32_e32 v4, v4, v153
	v_mul_f32_e32 v5, v125, v127
	v_fma_f32 v8, v122, v126, -v8
	v_add_f32_e32 v2, v2, v114
	v_mul_f32_e32 v3, v124, v127
	v_fmac_f32_e32 v143, v123, v126
	v_add_f32_e32 v4, v4, v139
	s_waitcnt lgkmcnt(1)
	v_mul_f32_e32 v114, v111, v160
	s_waitcnt vmcnt(1)
	v_fma_f32 v5, v124, v136, -v5
	v_add_f32_e32 v2, v2, v8
	v_mul_f32_e32 v142, v110, v160
	v_fmac_f32_e32 v3, v125, v136
	v_add_f32_e32 v4, v4, v143
	v_mul_f32_e32 v8, v113, v128
	v_fma_f32 v110, v110, v135, -v114
	v_add_f32_e32 v2, v2, v5
	v_mul_f32_e32 v145, v112, v128
	v_fmac_f32_e32 v142, v111, v135
	v_add_f32_e32 v3, v4, v3
	s_waitcnt lgkmcnt(0)
	v_mul_f32_e32 v4, v7, v161
	v_fma_f32 v5, v112, v133, -v8
	v_add_f32_e32 v2, v2, v110
	v_mul_f32_e32 v146, v6, v161
	v_fmac_f32_e32 v145, v113, v133
	v_add_f32_e32 v3, v3, v142
	v_fma_f32 v4, v6, v132, -v4
	v_add_f32_e32 v2, v2, v5
	v_fmac_f32_e32 v146, v7, v132
	v_add_f32_e32 v3, v3, v145
	v_add_f32_e32 v2, v2, v4
	;; [unrolled: 1-line block ×3, first 2 shown]
	s_waitcnt vmcnt(0)
	v_sub_f32_e32 v2, v134, v2
	v_sub_f32_e32 v3, v158, v3
	buffer_store_dword v2, off, s[0:3], 0 offset:16
	buffer_store_dword v3, off, s[0:3], 0 offset:20
	v_cmpx_lt_u32_e32 1, v0
	s_cbranch_execz .LBB49_311
; %bb.310:
	s_clause 0x1
	buffer_load_dword v2, off, s[0:3], 0 offset:8
	buffer_load_dword v3, off, s[0:3], 0 offset:12
	buffer_store_dword v1, off, s[0:3], 0 offset:8
	buffer_store_dword v1, off, s[0:3], 0 offset:12
	s_waitcnt vmcnt(0)
	ds_write_b64 v109, v[2:3]
.LBB49_311:
	s_or_b32 exec_lo, exec_lo, s4
	s_waitcnt lgkmcnt(0)
	s_waitcnt_vscnt null, 0x0
	s_barrier
	buffer_gl0_inv
	s_clause 0x2c
	buffer_load_dword v140, off, s[0:3], 0 offset:20
	buffer_load_dword v141, off, s[0:3], 0 offset:28
	;; [unrolled: 1-line block ×45, first 2 shown]
	ds_read_b128 v[149:152], v1 offset:416
	ds_read_b128 v[153:156], v1 offset:432
	s_mov_b32 s4, exec_lo
	s_waitcnt vmcnt(44) lgkmcnt(1)
	v_mul_f32_e32 v142, v149, v140
	v_mul_f32_e32 v157, v150, v140
	s_waitcnt vmcnt(43)
	v_mul_f32_e32 v140, v151, v141
	v_mul_f32_e32 v158, v152, v141
	buffer_load_dword v141, off, s[0:3], 0 offset:12
	s_waitcnt vmcnt(41)
	v_fmac_f32_e32 v142, v150, v111
	v_fma_f32 v157, v149, v111, -v157
	v_fmac_f32_e32 v140, v152, v7
	v_fma_f32 v158, v151, v7, -v158
	ds_read_b128 v[149:152], v1 offset:448
	s_waitcnt vmcnt(40) lgkmcnt(1)
	v_mul_f32_e32 v159, v153, v4
	s_waitcnt vmcnt(39)
	v_mul_f32_e32 v160, v155, v5
	v_mul_f32_e32 v4, v154, v4
	v_mul_f32_e32 v5, v156, v5
	v_fmac_f32_e32 v159, v154, v2
	s_waitcnt vmcnt(35)
	v_fmac_f32_e32 v160, v156, v114
	v_fma_f32 v161, v153, v2, -v4
	v_fma_f32 v114, v155, v114, -v5
	ds_read_b128 v[153:156], v1 offset:464
	s_waitcnt vmcnt(34) lgkmcnt(1)
	v_mul_f32_e32 v162, v149, v113
	s_waitcnt vmcnt(33)
	v_mul_f32_e32 v163, v151, v112
	v_mul_f32_e32 v4, v152, v112
	;; [unrolled: 1-line block ×3, first 2 shown]
	v_fmac_f32_e32 v162, v150, v110
	v_fmac_f32_e32 v163, v152, v6
	v_fma_f32 v150, v151, v6, -v4
	ds_read_b128 v[4:7], v1 offset:480
	v_fma_f32 v149, v149, v110, -v2
	s_waitcnt vmcnt(32) lgkmcnt(1)
	v_mul_f32_e32 v151, v153, v8
	v_mul_f32_e32 v2, v154, v8
	s_waitcnt vmcnt(31)
	v_mul_f32_e32 v8, v155, v115
	v_mul_f32_e32 v110, v156, v115
	v_fmac_f32_e32 v151, v154, v3
	v_fma_f32 v115, v153, v3, -v2
	s_waitcnt vmcnt(27)
	v_fmac_f32_e32 v8, v156, v123
	v_fma_f32 v123, v155, v123, -v110
	ds_read_b128 v[110:113], v1 offset:496
	buffer_load_dword v153, off, s[0:3], 0 offset:204
	s_waitcnt vmcnt(27) lgkmcnt(1)
	v_mul_f32_e32 v152, v4, v121
	v_mul_f32_e32 v2, v5, v121
	s_waitcnt vmcnt(26)
	v_mul_f32_e32 v3, v7, v120
	v_mul_f32_e32 v121, v6, v120
	v_fmac_f32_e32 v152, v5, v119
	v_fma_f32 v119, v4, v119, -v2
	v_fma_f32 v6, v6, v117, -v3
	ds_read_b128 v[2:5], v1 offset:512
	v_fmac_f32_e32 v121, v7, v117
	s_waitcnt vmcnt(25) lgkmcnt(1)
	v_mul_f32_e32 v7, v110, v118
	v_mul_f32_e32 v117, v111, v118
	s_waitcnt vmcnt(24)
	v_mul_f32_e32 v118, v112, v122
	v_mul_f32_e32 v120, v113, v122
	v_fmac_f32_e32 v7, v111, v116
	v_fma_f32 v116, v110, v116, -v117
	s_waitcnt vmcnt(20)
	v_fmac_f32_e32 v118, v113, v131
	v_fma_f32 v117, v112, v131, -v120
	ds_read_b128 v[110:113], v1 offset:528
	s_waitcnt vmcnt(19) lgkmcnt(1)
	v_mul_f32_e32 v120, v2, v129
	v_mul_f32_e32 v122, v3, v129
	s_waitcnt vmcnt(18)
	v_mul_f32_e32 v129, v4, v128
	v_mul_f32_e32 v128, v5, v128
	v_fmac_f32_e32 v120, v3, v127
	v_fma_f32 v122, v2, v127, -v122
	v_fmac_f32_e32 v129, v5, v125
	v_fma_f32 v125, v4, v125, -v128
	ds_read_b128 v[2:5], v1 offset:544
	s_waitcnt vmcnt(17) lgkmcnt(1)
	v_mul_f32_e32 v127, v110, v126
	v_mul_f32_e32 v126, v111, v126
	s_waitcnt vmcnt(16)
	v_mul_f32_e32 v128, v112, v130
	v_mul_f32_e32 v130, v113, v130
	v_fmac_f32_e32 v127, v111, v124
	v_fma_f32 v124, v110, v124, -v126
	s_waitcnt vmcnt(12)
	v_fmac_f32_e32 v128, v113, v139
	v_fma_f32 v126, v112, v139, -v130
	ds_read_b128 v[110:113], v1 offset:560
	buffer_load_dword v139, off, s[0:3], 0 offset:196
	s_waitcnt vmcnt(12) lgkmcnt(1)
	v_mul_f32_e32 v130, v2, v137
	v_mul_f32_e32 v131, v3, v137
	s_waitcnt vmcnt(11)
	v_mul_f32_e32 v137, v4, v136
	v_mul_f32_e32 v136, v5, v136
	v_fmac_f32_e32 v130, v3, v135
	v_fma_f32 v131, v2, v135, -v131
	v_fmac_f32_e32 v137, v5, v133
	v_fma_f32 v133, v4, v133, -v136
	ds_read_b128 v[2:5], v1 offset:576
	s_waitcnt vmcnt(10) lgkmcnt(1)
	v_mul_f32_e32 v135, v110, v134
	v_mul_f32_e32 v134, v111, v134
	s_waitcnt vmcnt(9)
	v_mul_f32_e32 v136, v112, v138
	v_mul_f32_e32 v138, v113, v138
	v_fmac_f32_e32 v135, v111, v132
	v_fma_f32 v132, v110, v132, -v134
	s_waitcnt vmcnt(5)
	v_fmac_f32_e32 v136, v113, v148
	v_fma_f32 v134, v112, v148, -v138
	ds_read_b128 v[110:113], v1 offset:592
	s_waitcnt vmcnt(4) lgkmcnt(1)
	v_mul_f32_e32 v138, v2, v147
	v_mul_f32_e32 v147, v3, v147
	s_waitcnt vmcnt(3)
	v_mul_f32_e32 v148, v4, v146
	v_mul_f32_e32 v146, v5, v146
	v_fmac_f32_e32 v138, v3, v145
	v_fma_f32 v145, v2, v145, -v147
	v_fmac_f32_e32 v148, v5, v144
	v_fma_f32 v144, v4, v144, -v146
	s_clause 0x4
	buffer_load_dword v146, off, s[0:3], 0 offset:224
	buffer_load_dword v147, off, s[0:3], 0 offset:216
	buffer_load_dword v154, off, s[0:3], 0 offset:208
	buffer_load_dword v2, off, s[0:3], 0 offset:200
	buffer_load_dword v155, off, s[0:3], 0 offset:212
	s_waitcnt vmcnt(5) lgkmcnt(0)
	v_mul_f32_e32 v156, v110, v139
	v_mul_f32_e32 v3, v111, v139
	v_fmac_f32_e32 v156, v111, v143
	v_fma_f32 v139, v110, v143, -v3
	v_mul_f32_e32 v143, v112, v153
	v_mul_f32_e32 v3, v113, v153
	s_waitcnt vmcnt(1)
	v_fmac_f32_e32 v143, v113, v2
	v_fma_f32 v153, v112, v2, -v3
	ds_read_b128 v[2:5], v1 offset:608
	ds_read_b128 v[110:113], v1 offset:624
	s_waitcnt vmcnt(0) lgkmcnt(1)
	v_mul_f32_e32 v164, v2, v155
	v_mul_f32_e32 v155, v3, v155
	v_fmac_f32_e32 v164, v3, v154
	v_fma_f32 v154, v2, v154, -v155
	buffer_load_dword v2, off, s[0:3], 0 offset:220
	s_waitcnt vmcnt(0)
	v_mul_f32_e32 v155, v4, v2
	v_mul_f32_e32 v2, v5, v2
	v_fmac_f32_e32 v155, v5, v147
	v_fma_f32 v147, v4, v147, -v2
	buffer_load_dword v2, off, s[0:3], 0 offset:228
	s_waitcnt vmcnt(0) lgkmcnt(0)
	v_mul_f32_e32 v165, v110, v2
	v_mul_f32_e32 v2, v111, v2
	v_fmac_f32_e32 v165, v111, v146
	v_fma_f32 v146, v110, v146, -v2
	s_clause 0x5
	buffer_load_dword v2, off, s[0:3], 0 offset:236
	buffer_load_dword v166, off, s[0:3], 0 offset:256
	;; [unrolled: 1-line block ×6, first 2 shown]
	s_waitcnt vmcnt(5)
	v_mul_f32_e32 v169, v112, v2
	v_mul_f32_e32 v2, v113, v2
	s_waitcnt vmcnt(1)
	v_fmac_f32_e32 v169, v113, v3
	v_fma_f32 v170, v112, v3, -v2
	ds_read_b128 v[2:5], v1 offset:640
	ds_read_b128 v[110:113], v1 offset:656
	s_waitcnt vmcnt(0) lgkmcnt(1)
	v_mul_f32_e32 v172, v2, v171
	v_mul_f32_e32 v171, v3, v171
	v_fmac_f32_e32 v172, v3, v168
	v_fma_f32 v168, v2, v168, -v171
	buffer_load_dword v2, off, s[0:3], 0 offset:252
	v_add_f32_e32 v3, 0, v157
	v_add_f32_e32 v3, v3, v158
	;; [unrolled: 1-line block ×22, first 2 shown]
	s_waitcnt vmcnt(0)
	v_mul_f32_e32 v171, v4, v2
	v_mul_f32_e32 v2, v5, v2
	v_fmac_f32_e32 v171, v5, v167
	v_fma_f32 v167, v4, v167, -v2
	s_clause 0x1
	buffer_load_dword v4, off, s[0:3], 0 offset:260
	buffer_load_dword v5, off, s[0:3], 0 offset:268
	v_add_f32_e32 v2, 0, v142
	v_add_f32_e32 v2, v2, v140
	v_add_f32_e32 v2, v2, v159
	v_add_f32_e32 v2, v2, v160
	v_add_f32_e32 v2, v2, v162
	v_add_f32_e32 v2, v2, v163
	v_add_f32_e32 v2, v2, v151
	v_add_f32_e32 v2, v2, v8
	s_clause 0x6
	buffer_load_dword v8, off, s[0:3], 0 offset:288
	buffer_load_dword v114, off, s[0:3], 0 offset:280
	;; [unrolled: 1-line block ×7, first 2 shown]
	v_add_f32_e32 v2, v2, v152
	v_add_f32_e32 v2, v2, v121
	;; [unrolled: 1-line block ×3, first 2 shown]
	buffer_load_dword v7, off, s[0:3], 0 offset:300
	v_add_f32_e32 v2, v2, v118
	s_clause 0x7
	buffer_load_dword v149, off, s[0:3], 0 offset:320
	buffer_load_dword v150, off, s[0:3], 0 offset:312
	;; [unrolled: 1-line block ×8, first 2 shown]
	v_add_f32_e32 v2, v2, v120
	s_clause 0x2
	buffer_load_dword v160, off, s[0:3], 0 offset:340
	buffer_load_dword v161, off, s[0:3], 0 offset:348
	;; [unrolled: 1-line block ×3, first 2 shown]
	v_add_f32_e32 v2, v2, v129
	v_add_f32_e32 v2, v2, v127
	;; [unrolled: 1-line block ×9, first 2 shown]
	s_waitcnt vmcnt(20) lgkmcnt(0)
	v_mul_f32_e32 v121, v110, v4
	v_mul_f32_e32 v4, v111, v4
	s_waitcnt vmcnt(19)
	v_mul_f32_e32 v122, v112, v5
	v_fmac_f32_e32 v121, v111, v166
	v_fma_f32 v142, v110, v166, -v4
	s_clause 0xe
	buffer_load_dword v163, off, s[0:3], 0 offset:364
	buffer_load_dword v166, off, s[0:3], 0 offset:372
	;; [unrolled: 1-line block ×15, first 2 shown]
	v_mul_f32_e32 v4, v113, v5
	v_add_f32_e32 v110, v2, v156
	v_add_f32_e32 v111, v3, v139
	;; [unrolled: 1-line block ×8, first 2 shown]
	s_waitcnt vmcnt(30)
	v_fma_f32 v129, v112, v123, -v4
	ds_read_b128 v[2:5], v1 offset:672
	v_fmac_f32_e32 v122, v113, v123
	ds_read_b128 v[110:113], v1 offset:688
	s_waitcnt vmcnt(29) lgkmcnt(1)
	v_mul_f32_e32 v126, v2, v140
	v_mul_f32_e32 v120, v3, v140
	s_waitcnt vmcnt(28)
	v_mul_f32_e32 v139, v4, v119
	v_mul_f32_e32 v119, v5, v119
	s_waitcnt vmcnt(27) lgkmcnt(0)
	v_mul_f32_e32 v144, v110, v6
	v_fmac_f32_e32 v126, v3, v115
	v_fma_f32 v140, v2, v115, -v120
	v_add_f32_e32 v115, v116, v165
	v_fma_f32 v143, v4, v114, -v119
	v_add_f32_e32 v119, v117, v146
	v_fmac_f32_e32 v139, v5, v114
	ds_read_b128 v[2:5], v1 offset:704
	v_add_f32_e32 v120, v115, v169
	v_mul_f32_e32 v6, v111, v6
	v_add_f32_e32 v119, v119, v170
	v_fmac_f32_e32 v144, v111, v8
	ds_read_b128 v[114:117], v1 offset:720
	v_add_f32_e32 v120, v120, v172
	v_fma_f32 v6, v110, v8, -v6
	v_add_f32_e32 v119, v119, v168
	s_waitcnt vmcnt(26)
	v_mul_f32_e32 v146, v112, v7
	v_mul_f32_e32 v7, v113, v7
	v_add_f32_e32 v111, v120, v171
	v_add_f32_e32 v8, v119, v167
	s_waitcnt vmcnt(22)
	v_fmac_f32_e32 v146, v113, v118
	v_fma_f32 v7, v112, v118, -v7
	v_add_f32_e32 v123, v111, v121
	ds_read_b128 v[110:113], v1 offset:736
	ds_read_b128 v[118:121], v1 offset:752
	v_add_f32_e32 v8, v8, v142
	s_waitcnt vmcnt(21) lgkmcnt(3)
	v_mul_f32_e32 v142, v2, v152
	v_mul_f32_e32 v127, v3, v152
	v_add_f32_e32 v128, v123, v122
	v_add_f32_e32 v8, v8, v129
	ds_read_b128 v[122:125], v1 offset:768
	v_fmac_f32_e32 v142, v3, v151
	v_fma_f32 v2, v2, v151, -v127
	v_add_f32_e32 v3, v128, v126
	ds_read_b128 v[126:129], v1 offset:784
	v_add_f32_e32 v1, v8, v140
	s_waitcnt vmcnt(20)
	v_mul_f32_e32 v140, v5, v157
	v_mul_f32_e32 v8, v4, v157
	v_add_f32_e32 v3, v3, v139
	s_waitcnt vmcnt(19) lgkmcnt(4)
	v_mul_f32_e32 v147, v115, v158
	v_add_f32_e32 v1, v1, v143
	v_fma_f32 v4, v4, v150, -v140
	v_mul_f32_e32 v139, v114, v158
	v_add_f32_e32 v3, v3, v144
	v_fmac_f32_e32 v8, v5, v150
	v_add_f32_e32 v1, v1, v6
	v_fma_f32 v114, v114, v149, -v147
	s_waitcnt vmcnt(18)
	v_mul_f32_e32 v143, v116, v159
	v_add_f32_e32 v3, v3, v146
	v_fmac_f32_e32 v139, v115, v149
	v_add_f32_e32 v1, v1, v7
	v_mul_f32_e32 v7, v117, v159
	s_waitcnt vmcnt(17) lgkmcnt(3)
	v_mul_f32_e32 v5, v110, v160
	s_waitcnt vmcnt(16)
	v_mul_f32_e32 v140, v112, v161
	s_waitcnt vmcnt(15) lgkmcnt(2)
	v_mul_f32_e32 v6, v118, v162
	v_add_f32_e32 v1, v1, v2
	v_add_f32_e32 v2, v3, v142
	;; [unrolled: 1-line block ×4, first 2 shown]
	v_mul_f32_e32 v4, v111, v160
	v_mul_f32_e32 v8, v113, v161
	v_add_f32_e32 v1, v1, v114
	v_add_f32_e32 v2, v2, v139
	s_waitcnt vmcnt(14)
	v_mul_f32_e32 v144, v120, v163
	s_waitcnt vmcnt(13) lgkmcnt(1)
	v_mul_f32_e32 v148, v122, v166
	s_waitcnt vmcnt(9)
	v_fmac_f32_e32 v6, v119, v131
	s_waitcnt vmcnt(8)
	v_fma_f32 v8, v112, v133, -v8
	s_waitcnt vmcnt(7)
	v_fma_f32 v4, v110, v137, -v4
	;; [unrolled: 2-line block ×3, first 2 shown]
	v_fmac_f32_e32 v143, v117, v175
	v_fmac_f32_e32 v5, v111, v137
	;; [unrolled: 1-line block ×3, first 2 shown]
	s_waitcnt vmcnt(2)
	v_fmac_f32_e32 v144, v121, v136
	v_add_f32_e32 v1, v1, v7
	v_add_f32_e32 v2, v2, v143
	v_mul_f32_e32 v7, v119, v162
	v_mul_f32_e32 v146, v124, v173
	v_fmac_f32_e32 v148, v123, v135
	v_add_f32_e32 v1, v1, v4
	v_add_f32_e32 v2, v2, v5
	v_mul_f32_e32 v4, v121, v163
	v_fma_f32 v5, v118, v131, -v7
	v_mul_f32_e32 v7, v123, v166
	v_add_f32_e32 v1, v1, v8
	v_add_f32_e32 v2, v2, v140
	v_fma_f32 v4, v120, v136, -v4
	s_waitcnt lgkmcnt(0)
	v_mul_f32_e32 v150, v126, v174
	v_fmac_f32_e32 v146, v125, v134
	v_add_f32_e32 v1, v1, v5
	v_add_f32_e32 v2, v2, v6
	v_mul_f32_e32 v5, v125, v173
	v_fma_f32 v6, v122, v135, -v7
	v_mul_f32_e32 v3, v128, v130
	v_add_f32_e32 v1, v1, v4
	v_add_f32_e32 v2, v2, v144
	v_mul_f32_e32 v4, v127, v174
	v_fma_f32 v5, v124, v134, -v5
	v_fmac_f32_e32 v150, v127, v132
	v_add_f32_e32 v1, v1, v6
	v_add_f32_e32 v2, v2, v148
	v_mul_f32_e32 v6, v129, v130
	v_fma_f32 v4, v126, v132, -v4
	s_waitcnt vmcnt(1)
	v_fmac_f32_e32 v3, v129, v138
	v_add_f32_e32 v1, v1, v5
	v_add_f32_e32 v2, v2, v146
	v_fma_f32 v5, v128, v138, -v6
	v_add_f32_e32 v1, v1, v4
	v_add_f32_e32 v2, v2, v150
	;; [unrolled: 1-line block ×4, first 2 shown]
	s_waitcnt vmcnt(0)
	v_sub_f32_e32 v1, v145, v1
	v_sub_f32_e32 v2, v141, v2
	buffer_store_dword v1, off, s[0:3], 0 offset:8
	buffer_store_dword v2, off, s[0:3], 0 offset:12
	v_cmpx_ne_u32_e32 0, v0
	s_cbranch_execz .LBB49_313
; %bb.312:
	s_clause 0x1
	buffer_load_dword v0, off, s[0:3], 0
	buffer_load_dword v1, off, s[0:3], 0 offset:4
	v_mov_b32_e32 v2, 0
	buffer_store_dword v2, off, s[0:3], 0
	buffer_store_dword v2, off, s[0:3], 0 offset:4
	s_waitcnt vmcnt(0)
	ds_write_b64 v109, v[0:1]
.LBB49_313:
	s_or_b32 exec_lo, exec_lo, s4
	s_waitcnt lgkmcnt(0)
	s_waitcnt_vscnt null, 0x0
	s_barrier
	buffer_gl0_inv
	s_clause 0x2c
	buffer_load_dword v139, off, s[0:3], 0 offset:12
	buffer_load_dword v0, off, s[0:3], 0 offset:24
	;; [unrolled: 1-line block ×45, first 2 shown]
	v_mov_b32_e32 v138, 0
	ds_read2_b64 v[147:150], v138 offset0:51 offset1:52
	ds_read2_b64 v[151:154], v138 offset0:53 offset1:54
	ds_read2_b64 v[155:158], v138 offset0:55 offset1:56
	s_and_b32 vcc_lo, exec_lo, s22
	s_waitcnt vmcnt(44) lgkmcnt(2)
	v_mul_f32_e32 v140, v147, v139
	v_mul_f32_e32 v159, v148, v139
	buffer_load_dword v139, off, s[0:3], 0 offset:4
	s_waitcnt vmcnt(42)
	v_fmac_f32_e32 v140, v148, v8
	v_fma_f32 v8, v147, v8, -v159
	s_waitcnt vmcnt(41)
	v_mul_f32_e32 v159, v149, v7
	v_mul_f32_e32 v7, v150, v7
	s_waitcnt vmcnt(40) lgkmcnt(1)
	v_mul_f32_e32 v161, v151, v5
	s_waitcnt vmcnt(39)
	v_mul_f32_e32 v163, v153, v2
	v_fmac_f32_e32 v159, v150, v3
	v_fma_f32 v160, v149, v3, -v7
	v_mul_f32_e32 v3, v152, v5
	ds_read2_b64 v[147:150], v138 offset0:57 offset1:58
	v_fmac_f32_e32 v161, v152, v0
	s_waitcnt vmcnt(35)
	v_fmac_f32_e32 v163, v154, v112
	s_waitcnt vmcnt(34) lgkmcnt(1)
	v_mul_f32_e32 v165, v155, v111
	v_fma_f32 v162, v151, v0, -v3
	v_mul_f32_e32 v0, v154, v2
	v_fmac_f32_e32 v165, v156, v109
	v_fma_f32 v164, v153, v112, -v0
	v_mul_f32_e32 v0, v156, v111
	ds_read2_b64 v[151:154], v138 offset0:59 offset1:60
	s_waitcnt vmcnt(33)
	v_mul_f32_e32 v156, v157, v110
	v_fma_f32 v155, v155, v109, -v0
	v_mul_f32_e32 v0, v158, v110
	v_fmac_f32_e32 v156, v158, v4
	ds_read2_b64 v[109:112], v138 offset0:63 offset1:64
	s_waitcnt vmcnt(32) lgkmcnt(2)
	v_mul_f32_e32 v158, v147, v6
	v_fma_f32 v157, v157, v4, -v0
	v_mul_f32_e32 v0, v148, v6
	ds_read2_b64 v[2:5], v138 offset0:61 offset1:62
	v_fmac_f32_e32 v158, v148, v1
	s_waitcnt vmcnt(31)
	v_mul_f32_e32 v148, v149, v113
	v_fma_f32 v147, v147, v1, -v0
	v_mul_f32_e32 v0, v150, v113
	s_waitcnt vmcnt(27)
	v_fmac_f32_e32 v148, v150, v121
	v_fma_f32 v113, v149, v121, -v0
	s_waitcnt vmcnt(26) lgkmcnt(2)
	v_mul_f32_e32 v0, v152, v120
	v_mul_f32_e32 v121, v151, v120
	s_waitcnt vmcnt(25)
	v_mul_f32_e32 v149, v153, v118
	v_fma_f32 v120, v151, v117, -v0
	v_mul_f32_e32 v0, v154, v118
	v_fmac_f32_e32 v121, v152, v117
	v_fmac_f32_e32 v149, v154, v115
	s_waitcnt vmcnt(24) lgkmcnt(0)
	v_mul_f32_e32 v151, v2, v116
	s_waitcnt vmcnt(23)
	v_mul_f32_e32 v152, v4, v119
	v_fma_f32 v150, v153, v115, -v0
	v_mul_f32_e32 v0, v3, v116
	ds_read2_b64 v[115:118], v138 offset0:65 offset1:66
	v_fmac_f32_e32 v151, v3, v114
	s_waitcnt vmcnt(19)
	v_fmac_f32_e32 v152, v5, v129
	v_fma_f32 v114, v2, v114, -v0
	v_mul_f32_e32 v0, v5, v119
	v_fma_f32 v119, v4, v129, -v0
	s_waitcnt vmcnt(18)
	v_mul_f32_e32 v129, v109, v128
	v_mul_f32_e32 v4, v110, v128
	ds_read2_b64 v[0:3], v138 offset0:67 offset1:68
	s_waitcnt vmcnt(17)
	v_mul_f32_e32 v128, v111, v126
	v_fmac_f32_e32 v129, v110, v125
	v_fma_f32 v125, v109, v125, -v4
	v_mul_f32_e32 v4, v112, v126
	v_fmac_f32_e32 v128, v112, v123
	s_waitcnt vmcnt(16) lgkmcnt(1)
	v_mul_f32_e32 v109, v116, v124
	v_mul_f32_e32 v126, v115, v124
	v_fma_f32 v123, v111, v123, -v4
	ds_read2_b64 v[4:7], v138 offset0:69 offset1:70
	v_fma_f32 v115, v115, v122, -v109
	s_waitcnt vmcnt(15)
	v_mul_f32_e32 v109, v118, v127
	v_fmac_f32_e32 v126, v116, v122
	v_mul_f32_e32 v116, v117, v127
	s_waitcnt vmcnt(11)
	v_fma_f32 v117, v117, v136, -v109
	ds_read2_b64 v[109:112], v138 offset0:71 offset1:72
	s_waitcnt vmcnt(10) lgkmcnt(2)
	v_mul_f32_e32 v122, v1, v135
	v_fmac_f32_e32 v116, v118, v136
	v_mul_f32_e32 v118, v0, v135
	s_waitcnt vmcnt(9)
	v_mul_f32_e32 v124, v2, v134
	v_fma_f32 v122, v0, v133, -v122
	v_mul_f32_e32 v0, v3, v134
	v_fmac_f32_e32 v118, v1, v133
	v_fmac_f32_e32 v124, v3, v131
	buffer_load_dword v133, off, s[0:3], 0 offset:188
	s_waitcnt vmcnt(8) lgkmcnt(1)
	v_mul_f32_e32 v1, v7, v137
	v_fma_f32 v127, v2, v131, -v0
	v_mul_f32_e32 v131, v4, v132
	v_mul_f32_e32 v0, v5, v132
	v_mul_f32_e32 v132, v6, v137
	s_waitcnt vmcnt(4)
	v_fma_f32 v134, v6, v146, -v1
	buffer_load_dword v6, off, s[0:3], 0 offset:196
	v_fmac_f32_e32 v131, v5, v130
	v_fma_f32 v130, v4, v130, -v0
	ds_read2_b64 v[0:3], v138 offset0:73 offset1:74
	s_waitcnt vmcnt(4) lgkmcnt(1)
	v_mul_f32_e32 v135, v109, v145
	v_mul_f32_e32 v4, v110, v145
	s_waitcnt vmcnt(3)
	v_mul_f32_e32 v136, v111, v144
	v_mul_f32_e32 v5, v112, v144
	v_fmac_f32_e32 v132, v7, v146
	v_fmac_f32_e32 v135, v110, v143
	v_fma_f32 v109, v109, v143, -v4
	v_fmac_f32_e32 v136, v112, v142
	v_fma_f32 v110, v111, v142, -v5
	s_clause 0x4
	buffer_load_dword v111, off, s[0:3], 0 offset:216
	buffer_load_dword v112, off, s[0:3], 0 offset:208
	;; [unrolled: 1-line block ×5, first 2 shown]
	s_waitcnt vmcnt(6) lgkmcnt(0)
	v_mul_f32_e32 v143, v0, v133
	v_mul_f32_e32 v5, v1, v133
	v_fmac_f32_e32 v143, v1, v141
	v_fma_f32 v141, v0, v141, -v5
	s_waitcnt vmcnt(5)
	v_mul_f32_e32 v133, v2, v6
	v_mul_f32_e32 v6, v3, v6
	s_waitcnt vmcnt(1)
	v_fmac_f32_e32 v133, v3, v4
	v_fma_f32 v144, v2, v4, -v6
	ds_read2_b64 v[0:3], v138 offset0:75 offset1:76
	ds_read2_b64 v[4:7], v138 offset0:77 offset1:78
	s_waitcnt vmcnt(0) lgkmcnt(1)
	v_mul_f32_e32 v145, v0, v142
	v_mul_f32_e32 v142, v1, v142
	v_fmac_f32_e32 v145, v1, v137
	v_fma_f32 v137, v0, v137, -v142
	buffer_load_dword v0, off, s[0:3], 0 offset:212
	v_add_f32_e32 v1, 0, v8
	buffer_load_dword v8, off, s[0:3], 0 offset:220
	v_add_f32_e32 v1, v1, v160
	v_add_f32_e32 v1, v1, v162
	v_add_f32_e32 v1, v1, v164
	v_add_f32_e32 v1, v1, v155
	v_add_f32_e32 v1, v1, v157
	v_add_f32_e32 v1, v1, v147
	v_add_f32_e32 v1, v1, v113
	v_add_f32_e32 v1, v1, v120
	v_add_f32_e32 v120, v1, v150
	v_add_f32_e32 v114, v120, v114
	v_add_f32_e32 v114, v114, v119
	v_add_f32_e32 v114, v114, v125
	v_add_f32_e32 v114, v114, v123
	s_waitcnt vmcnt(1)
	v_mul_f32_e32 v142, v2, v0
	v_mul_f32_e32 v0, v3, v0
	s_waitcnt vmcnt(0) lgkmcnt(0)
	v_mul_f32_e32 v120, v4, v8
	v_mul_f32_e32 v8, v5, v8
	v_fmac_f32_e32 v142, v3, v112
	v_fma_f32 v112, v2, v112, -v0
	v_add_f32_e32 v0, 0, v140
	buffer_load_dword v140, off, s[0:3], 0 offset:228
	v_fma_f32 v8, v4, v111, -v8
	v_fmac_f32_e32 v120, v5, v111
	v_add_f32_e32 v0, v0, v159
	s_clause 0x5
	buffer_load_dword v146, off, s[0:3], 0 offset:248
	buffer_load_dword v153, off, s[0:3], 0 offset:240
	;; [unrolled: 1-line block ×6, first 2 shown]
	v_add_f32_e32 v0, v0, v161
	buffer_load_dword v161, off, s[0:3], 0 offset:244
	v_add_f32_e32 v0, v0, v163
	v_add_f32_e32 v0, v0, v165
	;; [unrolled: 1-line block ×3, first 2 shown]
	buffer_load_dword v156, off, s[0:3], 0 offset:260
	v_add_f32_e32 v0, v0, v158
	v_add_f32_e32 v0, v0, v148
	s_clause 0x5
	buffer_load_dword v147, off, s[0:3], 0 offset:280
	buffer_load_dword v148, off, s[0:3], 0 offset:272
	;; [unrolled: 1-line block ×6, first 2 shown]
	v_add_f32_e32 v0, v0, v121
	buffer_load_dword v121, off, s[0:3], 0 offset:276
	v_add_f32_e32 v0, v0, v149
	v_add_f32_e32 v149, v0, v151
	ds_read2_b64 v[0:3], v138 offset0:79 offset1:80
	v_add_f32_e32 v149, v149, v152
	v_add_f32_e32 v4, v149, v129
	;; [unrolled: 1-line block ×3, first 2 shown]
	s_waitcnt vmcnt(15)
	v_mul_f32_e32 v150, v6, v140
	v_mul_f32_e32 v140, v7, v140
	s_waitcnt vmcnt(11)
	v_fmac_f32_e32 v150, v7, v159
	s_waitcnt vmcnt(10) lgkmcnt(0)
	v_mul_f32_e32 v152, v1, v160
	v_fma_f32 v111, v6, v159, -v140
	s_clause 0x4
	buffer_load_dword v125, off, s[0:3], 0 offset:292
	buffer_load_dword v129, off, s[0:3], 0 offset:312
	;; [unrolled: 1-line block ×5, first 2 shown]
	ds_read2_b64 v[4:7], v138 offset0:81 offset1:82
	v_mul_f32_e32 v123, v0, v160
	v_fma_f32 v152, v0, v154, -v152
	v_add_f32_e32 v0, v128, v126
	s_clause 0x2
	buffer_load_dword v126, off, s[0:3], 0 offset:300
	buffer_load_dword v128, off, s[0:3], 0 offset:308
	;; [unrolled: 1-line block ×3, first 2 shown]
	v_fmac_f32_e32 v123, v1, v154
	v_add_f32_e32 v1, v114, v115
	v_add_f32_e32 v0, v0, v116
	s_waitcnt vmcnt(16)
	v_mul_f32_e32 v154, v2, v161
	v_mul_f32_e32 v114, v3, v161
	v_add_f32_e32 v1, v1, v117
	v_add_f32_e32 v115, v0, v118
	v_fmac_f32_e32 v154, v3, v153
	v_fma_f32 v114, v2, v153, -v114
	s_clause 0x3
	buffer_load_dword v153, off, s[0:3], 0 offset:324
	buffer_load_dword v160, off, s[0:3], 0 offset:332
	;; [unrolled: 1-line block ×4, first 2 shown]
	v_add_f32_e32 v116, v1, v122
	v_add_f32_e32 v115, v115, v124
	ds_read2_b64 v[0:3], v138 offset0:83 offset1:84
	s_waitcnt lgkmcnt(1)
	v_mul_f32_e32 v118, v5, v155
	v_mul_f32_e32 v117, v4, v155
	v_add_f32_e32 v116, v116, v127
	v_add_f32_e32 v115, v115, v131
	s_waitcnt vmcnt(19)
	v_mul_f32_e32 v122, v6, v156
	v_fma_f32 v118, v4, v146, -v118
	v_mul_f32_e32 v124, v7, v156
	v_add_f32_e32 v4, v116, v130
	v_fmac_f32_e32 v117, v5, v146
	v_add_f32_e32 v5, v115, v132
	s_clause 0x3
	buffer_load_dword v127, off, s[0:3], 0 offset:356
	buffer_load_dword v130, off, s[0:3], 0 offset:364
	buffer_load_dword v131, off, s[0:3], 0 offset:372
	buffer_load_dword v132, off, s[0:3], 0 offset:380
	s_waitcnt vmcnt(19)
	v_fmac_f32_e32 v122, v7, v158
	v_add_f32_e32 v4, v4, v134
	v_fma_f32 v124, v6, v158, -v124
	buffer_load_dword v146, off, s[0:3], 0 offset:388
	v_add_f32_e32 v5, v5, v135
	s_clause 0x4
	buffer_load_dword v134, off, s[0:3], 0 offset:344
	buffer_load_dword v135, off, s[0:3], 0 offset:336
	;; [unrolled: 1-line block ×5, first 2 shown]
	v_add_f32_e32 v4, v4, v109
	s_waitcnt vmcnt(22) lgkmcnt(0)
	v_mul_f32_e32 v163, v2, v121
	v_add_f32_e32 v109, v5, v136
	v_mul_f32_e32 v136, v0, v113
	v_add_f32_e32 v110, v4, v110
	v_mul_f32_e32 v113, v1, v113
	ds_read2_b64 v[4:7], v138 offset0:85 offset1:86
	v_add_f32_e32 v109, v109, v143
	v_fmac_f32_e32 v136, v1, v157
	v_add_f32_e32 v110, v110, v141
	v_fma_f32 v141, v0, v157, -v113
	v_fmac_f32_e32 v163, v3, v148
	v_add_f32_e32 v0, v109, v133
	v_add_f32_e32 v1, v110, v144
	s_clause 0x3
	buffer_load_dword v133, off, s[0:3], 0 offset:376
	buffer_load_dword v143, off, s[0:3], 0 offset:368
	;; [unrolled: 1-line block ×4, first 2 shown]
	v_add_f32_e32 v0, v0, v145
	v_add_f32_e32 v1, v1, v137
	s_clause 0x1
	buffer_load_dword v137, off, s[0:3], 0 offset:392
	buffer_load_dword v145, off, s[0:3], 0 offset:384
	v_add_f32_e32 v109, v0, v142
	buffer_load_dword v142, off, s[0:3], 0
	v_add_f32_e32 v0, v1, v112
	v_mul_f32_e32 v1, v3, v121
	s_waitcnt lgkmcnt(0)
	v_mul_f32_e32 v164, v4, v119
	v_add_f32_e32 v109, v109, v120
	v_mul_f32_e32 v113, v5, v119
	v_add_f32_e32 v8, v0, v8
	v_fma_f32 v148, v2, v148, -v1
	ds_read2_b64 v[0:3], v138 offset0:87 offset1:88
	v_add_f32_e32 v115, v109, v150
	v_fmac_f32_e32 v164, v5, v147
	v_add_f32_e32 v8, v8, v111
	ds_read2_b64 v[109:112], v138 offset0:89 offset1:90
	v_add_f32_e32 v119, v115, v123
	v_add_f32_e32 v8, v8, v152
	;; [unrolled: 1-line block ×6, first 2 shown]
	s_waitcnt vmcnt(28)
	v_mul_f32_e32 v165, v6, v125
	v_mul_f32_e32 v116, v7, v125
	v_fma_f32 v125, v4, v147, -v113
	s_waitcnt vmcnt(24)
	v_fmac_f32_e32 v165, v7, v151
	v_fma_f32 v123, v6, v151, -v116
	ds_read2_b64 v[4:7], v138 offset0:91 offset1:92
	ds_read2_b64 v[113:116], v138 offset0:93 offset1:94
	s_waitcnt vmcnt(23) lgkmcnt(3)
	v_mul_f32_e32 v147, v0, v126
	v_mul_f32_e32 v118, v1, v126
	s_waitcnt vmcnt(22)
	v_mul_f32_e32 v150, v2, v128
	v_mul_f32_e32 v121, v3, v128
	v_fmac_f32_e32 v147, v1, v149
	v_add_f32_e32 v1, v8, v124
	v_fma_f32 v8, v0, v149, -v118
	v_add_f32_e32 v0, v117, v122
	v_fma_f32 v126, v2, v140, -v121
	v_fmac_f32_e32 v150, v3, v140
	v_add_f32_e32 v124, v1, v141
	s_waitcnt vmcnt(21) lgkmcnt(2)
	v_mul_f32_e32 v141, v110, v159
	v_add_f32_e32 v128, v0, v136
	v_mul_f32_e32 v136, v109, v159
	s_waitcnt vmcnt(20)
	v_mul_f32_e32 v140, v111, v153
	v_add_f32_e32 v124, v124, v148
	v_fma_f32 v109, v109, v129, -v141
	v_add_f32_e32 v128, v128, v163
	v_fmac_f32_e32 v136, v110, v129
	ds_read2_b64 v[117:120], v138 offset0:95 offset1:96
	v_add_f32_e32 v124, v124, v125
	v_mul_f32_e32 v125, v112, v153
	v_add_f32_e32 v128, v128, v164
	s_waitcnt vmcnt(19) lgkmcnt(2)
	v_mul_f32_e32 v148, v4, v160
	v_mul_f32_e32 v129, v5, v160
	v_add_f32_e32 v123, v124, v123
	s_waitcnt vmcnt(18)
	v_mul_f32_e32 v149, v6, v161
	v_add_f32_e32 v128, v128, v165
	ds_read2_b64 v[0:3], v138 offset0:97 offset1:98
	ds_read_b64 v[121:122], v138 offset:792
	s_waitcnt vmcnt(17) lgkmcnt(3)
	v_mul_f32_e32 v124, v113, v162
	v_add_f32_e32 v8, v123, v8
	s_waitcnt vmcnt(8)
	v_fma_f32 v111, v111, v156, -v125
	v_add_f32_e32 v128, v128, v147
	v_fmac_f32_e32 v140, v112, v156
	v_mul_f32_e32 v112, v7, v161
	v_add_f32_e32 v8, v8, v126
	v_fmac_f32_e32 v148, v5, v155
	v_add_f32_e32 v126, v128, v150
	v_fma_f32 v4, v4, v155, -v129
	v_fma_f32 v6, v6, v135, -v112
	v_add_f32_e32 v8, v8, v109
	v_fmac_f32_e32 v149, v7, v135
	v_add_f32_e32 v109, v126, v136
	v_mul_f32_e32 v7, v116, v127
	v_mul_f32_e32 v151, v115, v127
	v_add_f32_e32 v5, v8, v111
	v_fmac_f32_e32 v124, v114, v134
	v_add_f32_e32 v8, v109, v140
	v_mul_f32_e32 v109, v114, v162
	s_waitcnt vmcnt(3)
	v_fma_f32 v7, v115, v157, -v7
	v_add_f32_e32 v4, v5, v4
	s_waitcnt lgkmcnt(2)
	v_mul_f32_e32 v152, v117, v130
	v_add_f32_e32 v5, v8, v148
	v_fma_f32 v8, v113, v134, -v109
	v_fmac_f32_e32 v151, v116, v157
	v_add_f32_e32 v4, v4, v6
	v_mul_f32_e32 v6, v118, v130
	v_add_f32_e32 v5, v5, v149
	v_mul_f32_e32 v123, v119, v131
	v_fmac_f32_e32 v152, v118, v144
	v_add_f32_e32 v4, v4, v8
	v_mul_f32_e32 v8, v120, v131
	v_add_f32_e32 v5, v5, v124
	v_fma_f32 v6, v117, v144, -v6
	s_waitcnt lgkmcnt(1)
	v_mul_f32_e32 v147, v0, v132
	v_add_f32_e32 v4, v4, v7
	v_mul_f32_e32 v7, v1, v132
	v_add_f32_e32 v5, v5, v151
	v_fma_f32 v8, v119, v143, -v8
	v_fmac_f32_e32 v123, v120, v143
	v_add_f32_e32 v4, v4, v6
	v_mul_f32_e32 v6, v3, v146
	v_add_f32_e32 v5, v5, v152
	v_fmac_f32_e32 v147, v1, v133
	v_fma_f32 v0, v0, v133, -v7
	v_add_f32_e32 v1, v4, v8
	v_mul_f32_e32 v110, v2, v146
	v_add_f32_e32 v4, v5, v123
	s_waitcnt lgkmcnt(0)
	v_mul_f32_e32 v5, v122, v158
	s_waitcnt vmcnt(1)
	v_fma_f32 v2, v2, v145, -v6
	v_add_f32_e32 v0, v1, v0
	v_mul_f32_e32 v128, v121, v158
	v_fmac_f32_e32 v110, v3, v145
	v_add_f32_e32 v1, v4, v147
	v_fma_f32 v3, v121, v137, -v5
	v_add_f32_e32 v0, v0, v2
	v_fmac_f32_e32 v128, v122, v137
	v_add_f32_e32 v1, v1, v110
	v_add_f32_e32 v0, v0, v3
	;; [unrolled: 1-line block ×3, first 2 shown]
	s_waitcnt vmcnt(0)
	v_sub_f32_e32 v0, v142, v0
	v_sub_f32_e32 v1, v139, v1
	buffer_store_dword v0, off, s[0:3], 0
	buffer_store_dword v1, off, s[0:3], 0 offset:4
	s_cbranch_vccz .LBB49_412
; %bb.314:
	global_load_dword v0, v138, s[20:21] offset:192
	s_waitcnt vmcnt(0)
	v_add_nc_u32_e32 v0, -1, v0
	v_cmp_ne_u32_e32 vcc_lo, 48, v0
	s_cbranch_vccz .LBB49_316
; %bb.315:
	v_lshlrev_b32_e32 v0, 3, v0
	s_clause 0x3
	buffer_load_dword v1, v0, s[0:3], 0 offen
	buffer_load_dword v2, v0, s[0:3], 0 offen offset:4
	buffer_load_dword v3, off, s[0:3], 0 offset:388
	buffer_load_dword v4, off, s[0:3], 0 offset:384
	s_waitcnt vmcnt(3)
	buffer_store_dword v1, off, s[0:3], 0 offset:384
	s_waitcnt vmcnt(2)
	buffer_store_dword v2, off, s[0:3], 0 offset:388
	s_waitcnt vmcnt(1)
	buffer_store_dword v3, v0, s[0:3], 0 offen offset:4
	s_waitcnt vmcnt(0)
	buffer_store_dword v4, v0, s[0:3], 0 offen
.LBB49_316:
	v_mov_b32_e32 v0, 0
	global_load_dword v1, v0, s[20:21] offset:188
	s_waitcnt vmcnt(0)
	v_add_nc_u32_e32 v1, -1, v1
	v_cmp_eq_u32_e32 vcc_lo, 47, v1
	s_cbranch_vccnz .LBB49_318
; %bb.317:
	v_lshlrev_b32_e32 v1, 3, v1
	s_clause 0x3
	buffer_load_dword v2, v1, s[0:3], 0 offen
	buffer_load_dword v3, v1, s[0:3], 0 offen offset:4
	buffer_load_dword v4, off, s[0:3], 0 offset:376
	buffer_load_dword v5, off, s[0:3], 0 offset:380
	s_waitcnt vmcnt(3)
	buffer_store_dword v2, off, s[0:3], 0 offset:376
	s_waitcnt vmcnt(2)
	buffer_store_dword v3, off, s[0:3], 0 offset:380
	s_waitcnt vmcnt(1)
	buffer_store_dword v4, v1, s[0:3], 0 offen
	s_waitcnt vmcnt(0)
	buffer_store_dword v5, v1, s[0:3], 0 offen offset:4
.LBB49_318:
	global_load_dword v0, v0, s[20:21] offset:184
	s_waitcnt vmcnt(0)
	v_add_nc_u32_e32 v0, -1, v0
	v_cmp_eq_u32_e32 vcc_lo, 46, v0
	s_cbranch_vccnz .LBB49_320
; %bb.319:
	v_lshlrev_b32_e32 v0, 3, v0
	s_clause 0x3
	buffer_load_dword v1, v0, s[0:3], 0 offen
	buffer_load_dword v2, v0, s[0:3], 0 offen offset:4
	buffer_load_dword v3, off, s[0:3], 0 offset:372
	buffer_load_dword v4, off, s[0:3], 0 offset:368
	s_waitcnt vmcnt(3)
	buffer_store_dword v1, off, s[0:3], 0 offset:368
	s_waitcnt vmcnt(2)
	buffer_store_dword v2, off, s[0:3], 0 offset:372
	s_waitcnt vmcnt(1)
	buffer_store_dword v3, v0, s[0:3], 0 offen offset:4
	s_waitcnt vmcnt(0)
	buffer_store_dword v4, v0, s[0:3], 0 offen
.LBB49_320:
	v_mov_b32_e32 v0, 0
	global_load_dword v1, v0, s[20:21] offset:180
	s_waitcnt vmcnt(0)
	v_add_nc_u32_e32 v1, -1, v1
	v_cmp_eq_u32_e32 vcc_lo, 45, v1
	s_cbranch_vccnz .LBB49_322
; %bb.321:
	v_lshlrev_b32_e32 v1, 3, v1
	s_clause 0x3
	buffer_load_dword v2, v1, s[0:3], 0 offen
	buffer_load_dword v3, v1, s[0:3], 0 offen offset:4
	buffer_load_dword v4, off, s[0:3], 0 offset:360
	buffer_load_dword v5, off, s[0:3], 0 offset:364
	s_waitcnt vmcnt(3)
	buffer_store_dword v2, off, s[0:3], 0 offset:360
	s_waitcnt vmcnt(2)
	buffer_store_dword v3, off, s[0:3], 0 offset:364
	s_waitcnt vmcnt(1)
	buffer_store_dword v4, v1, s[0:3], 0 offen
	s_waitcnt vmcnt(0)
	buffer_store_dword v5, v1, s[0:3], 0 offen offset:4
.LBB49_322:
	global_load_dword v0, v0, s[20:21] offset:176
	s_waitcnt vmcnt(0)
	v_add_nc_u32_e32 v0, -1, v0
	v_cmp_eq_u32_e32 vcc_lo, 44, v0
	s_cbranch_vccnz .LBB49_324
; %bb.323:
	v_lshlrev_b32_e32 v0, 3, v0
	s_clause 0x3
	buffer_load_dword v1, v0, s[0:3], 0 offen
	buffer_load_dword v2, v0, s[0:3], 0 offen offset:4
	buffer_load_dword v3, off, s[0:3], 0 offset:356
	buffer_load_dword v4, off, s[0:3], 0 offset:352
	s_waitcnt vmcnt(3)
	buffer_store_dword v1, off, s[0:3], 0 offset:352
	s_waitcnt vmcnt(2)
	buffer_store_dword v2, off, s[0:3], 0 offset:356
	s_waitcnt vmcnt(1)
	buffer_store_dword v3, v0, s[0:3], 0 offen offset:4
	s_waitcnt vmcnt(0)
	buffer_store_dword v4, v0, s[0:3], 0 offen
.LBB49_324:
	;; [unrolled: 43-line block ×23, first 2 shown]
	v_mov_b32_e32 v0, 0
	global_load_dword v1, v0, s[20:21] offset:4
	s_waitcnt vmcnt(0)
	v_add_nc_u32_e32 v1, -1, v1
	v_cmp_eq_u32_e32 vcc_lo, 1, v1
	s_cbranch_vccnz .LBB49_410
; %bb.409:
	v_lshlrev_b32_e32 v1, 3, v1
	s_clause 0x3
	buffer_load_dword v2, v1, s[0:3], 0 offen
	buffer_load_dword v3, v1, s[0:3], 0 offen offset:4
	buffer_load_dword v4, off, s[0:3], 0 offset:8
	buffer_load_dword v5, off, s[0:3], 0 offset:12
	s_waitcnt vmcnt(3)
	buffer_store_dword v2, off, s[0:3], 0 offset:8
	s_waitcnt vmcnt(2)
	buffer_store_dword v3, off, s[0:3], 0 offset:12
	s_waitcnt vmcnt(1)
	buffer_store_dword v4, v1, s[0:3], 0 offen
	s_waitcnt vmcnt(0)
	buffer_store_dword v5, v1, s[0:3], 0 offen offset:4
.LBB49_410:
	global_load_dword v0, v0, s[20:21]
	s_waitcnt vmcnt(0)
	v_add_nc_u32_e32 v0, -1, v0
	v_cmp_eq_u32_e32 vcc_lo, 0, v0
	s_cbranch_vccnz .LBB49_412
; %bb.411:
	v_lshlrev_b32_e32 v0, 3, v0
	s_clause 0x3
	buffer_load_dword v1, v0, s[0:3], 0 offen
	buffer_load_dword v2, v0, s[0:3], 0 offen offset:4
	buffer_load_dword v3, off, s[0:3], 0 offset:4
	buffer_load_dword v4, off, s[0:3], 0
	s_waitcnt vmcnt(3)
	buffer_store_dword v1, off, s[0:3], 0
	s_waitcnt vmcnt(2)
	buffer_store_dword v2, off, s[0:3], 0 offset:4
	s_waitcnt vmcnt(1)
	buffer_store_dword v3, v0, s[0:3], 0 offen offset:4
	s_waitcnt vmcnt(0)
	buffer_store_dword v4, v0, s[0:3], 0 offen
.LBB49_412:
	s_clause 0x3e
	buffer_load_dword v0, off, s[0:3], 0
	buffer_load_dword v1, off, s[0:3], 0 offset:4
	buffer_load_dword v2, off, s[0:3], 0 offset:8
	;; [unrolled: 1-line block ×62, first 2 shown]
	s_clause 0x24
	buffer_load_dword v164, off, s[0:3], 0 offset:252
	buffer_load_dword v165, off, s[0:3], 0 offset:256
	;; [unrolled: 1-line block ×37, first 2 shown]
	s_waitcnt vmcnt(62)
	global_store_dwordx2 v[93:94], v[0:1], off
	global_store_dwordx2 v[95:96], v[2:3], off
	;; [unrolled: 1-line block ×19, first 2 shown]
	s_waitcnt vmcnt(60)
	global_store_dwordx2 v[43:44], v[139:140], off
	s_waitcnt vmcnt(58)
	global_store_dwordx2 v[45:46], v[141:142], off
	;; [unrolled: 2-line block ×31, first 2 shown]
	s_endpgm
	.section	.rodata,"a",@progbits
	.p2align	6, 0x0
	.amdhsa_kernel _ZN9rocsolver6v33100L18getri_kernel_smallILi50E19rocblas_complex_numIfEPS3_EEvT1_iilPiilS6_bb
		.amdhsa_group_segment_fixed_size 804
		.amdhsa_private_segment_fixed_size 416
		.amdhsa_kernarg_size 60
		.amdhsa_user_sgpr_count 6
		.amdhsa_user_sgpr_private_segment_buffer 1
		.amdhsa_user_sgpr_dispatch_ptr 0
		.amdhsa_user_sgpr_queue_ptr 0
		.amdhsa_user_sgpr_kernarg_segment_ptr 1
		.amdhsa_user_sgpr_dispatch_id 0
		.amdhsa_user_sgpr_flat_scratch_init 0
		.amdhsa_user_sgpr_private_segment_size 0
		.amdhsa_wavefront_size32 1
		.amdhsa_uses_dynamic_stack 0
		.amdhsa_system_sgpr_private_segment_wavefront_offset 1
		.amdhsa_system_sgpr_workgroup_id_x 1
		.amdhsa_system_sgpr_workgroup_id_y 0
		.amdhsa_system_sgpr_workgroup_id_z 0
		.amdhsa_system_sgpr_workgroup_info 0
		.amdhsa_system_vgpr_workitem_id 0
		.amdhsa_next_free_vgpr 254
		.amdhsa_next_free_sgpr 23
		.amdhsa_reserve_vcc 1
		.amdhsa_reserve_flat_scratch 0
		.amdhsa_float_round_mode_32 0
		.amdhsa_float_round_mode_16_64 0
		.amdhsa_float_denorm_mode_32 3
		.amdhsa_float_denorm_mode_16_64 3
		.amdhsa_dx10_clamp 1
		.amdhsa_ieee_mode 1
		.amdhsa_fp16_overflow 0
		.amdhsa_workgroup_processor_mode 1
		.amdhsa_memory_ordered 1
		.amdhsa_forward_progress 1
		.amdhsa_shared_vgpr_count 0
		.amdhsa_exception_fp_ieee_invalid_op 0
		.amdhsa_exception_fp_denorm_src 0
		.amdhsa_exception_fp_ieee_div_zero 0
		.amdhsa_exception_fp_ieee_overflow 0
		.amdhsa_exception_fp_ieee_underflow 0
		.amdhsa_exception_fp_ieee_inexact 0
		.amdhsa_exception_int_div_zero 0
	.end_amdhsa_kernel
	.section	.text._ZN9rocsolver6v33100L18getri_kernel_smallILi50E19rocblas_complex_numIfEPS3_EEvT1_iilPiilS6_bb,"axG",@progbits,_ZN9rocsolver6v33100L18getri_kernel_smallILi50E19rocblas_complex_numIfEPS3_EEvT1_iilPiilS6_bb,comdat
.Lfunc_end49:
	.size	_ZN9rocsolver6v33100L18getri_kernel_smallILi50E19rocblas_complex_numIfEPS3_EEvT1_iilPiilS6_bb, .Lfunc_end49-_ZN9rocsolver6v33100L18getri_kernel_smallILi50E19rocblas_complex_numIfEPS3_EEvT1_iilPiilS6_bb
                                        ; -- End function
	.set _ZN9rocsolver6v33100L18getri_kernel_smallILi50E19rocblas_complex_numIfEPS3_EEvT1_iilPiilS6_bb.num_vgpr, 254
	.set _ZN9rocsolver6v33100L18getri_kernel_smallILi50E19rocblas_complex_numIfEPS3_EEvT1_iilPiilS6_bb.num_agpr, 0
	.set _ZN9rocsolver6v33100L18getri_kernel_smallILi50E19rocblas_complex_numIfEPS3_EEvT1_iilPiilS6_bb.numbered_sgpr, 23
	.set _ZN9rocsolver6v33100L18getri_kernel_smallILi50E19rocblas_complex_numIfEPS3_EEvT1_iilPiilS6_bb.num_named_barrier, 0
	.set _ZN9rocsolver6v33100L18getri_kernel_smallILi50E19rocblas_complex_numIfEPS3_EEvT1_iilPiilS6_bb.private_seg_size, 416
	.set _ZN9rocsolver6v33100L18getri_kernel_smallILi50E19rocblas_complex_numIfEPS3_EEvT1_iilPiilS6_bb.uses_vcc, 1
	.set _ZN9rocsolver6v33100L18getri_kernel_smallILi50E19rocblas_complex_numIfEPS3_EEvT1_iilPiilS6_bb.uses_flat_scratch, 0
	.set _ZN9rocsolver6v33100L18getri_kernel_smallILi50E19rocblas_complex_numIfEPS3_EEvT1_iilPiilS6_bb.has_dyn_sized_stack, 0
	.set _ZN9rocsolver6v33100L18getri_kernel_smallILi50E19rocblas_complex_numIfEPS3_EEvT1_iilPiilS6_bb.has_recursion, 0
	.set _ZN9rocsolver6v33100L18getri_kernel_smallILi50E19rocblas_complex_numIfEPS3_EEvT1_iilPiilS6_bb.has_indirect_call, 0
	.section	.AMDGPU.csdata,"",@progbits
; Kernel info:
; codeLenInByte = 96956
; TotalNumSgprs: 25
; NumVgprs: 254
; ScratchSize: 416
; MemoryBound: 0
; FloatMode: 240
; IeeeMode: 1
; LDSByteSize: 804 bytes/workgroup (compile time only)
; SGPRBlocks: 0
; VGPRBlocks: 31
; NumSGPRsForWavesPerEU: 25
; NumVGPRsForWavesPerEU: 254
; Occupancy: 4
; WaveLimiterHint : 1
; COMPUTE_PGM_RSRC2:SCRATCH_EN: 1
; COMPUTE_PGM_RSRC2:USER_SGPR: 6
; COMPUTE_PGM_RSRC2:TRAP_HANDLER: 0
; COMPUTE_PGM_RSRC2:TGID_X_EN: 1
; COMPUTE_PGM_RSRC2:TGID_Y_EN: 0
; COMPUTE_PGM_RSRC2:TGID_Z_EN: 0
; COMPUTE_PGM_RSRC2:TIDIG_COMP_CNT: 0
	.section	.text._ZN9rocsolver6v33100L18getri_kernel_smallILi51E19rocblas_complex_numIfEPS3_EEvT1_iilPiilS6_bb,"axG",@progbits,_ZN9rocsolver6v33100L18getri_kernel_smallILi51E19rocblas_complex_numIfEPS3_EEvT1_iilPiilS6_bb,comdat
	.globl	_ZN9rocsolver6v33100L18getri_kernel_smallILi51E19rocblas_complex_numIfEPS3_EEvT1_iilPiilS6_bb ; -- Begin function _ZN9rocsolver6v33100L18getri_kernel_smallILi51E19rocblas_complex_numIfEPS3_EEvT1_iilPiilS6_bb
	.p2align	8
	.type	_ZN9rocsolver6v33100L18getri_kernel_smallILi51E19rocblas_complex_numIfEPS3_EEvT1_iilPiilS6_bb,@function
_ZN9rocsolver6v33100L18getri_kernel_smallILi51E19rocblas_complex_numIfEPS3_EEvT1_iilPiilS6_bb: ; @_ZN9rocsolver6v33100L18getri_kernel_smallILi51E19rocblas_complex_numIfEPS3_EEvT1_iilPiilS6_bb
; %bb.0:
	s_add_u32 s0, s0, s7
	s_addc_u32 s1, s1, 0
	s_mov_b32 s7, exec_lo
	v_cmpx_gt_u32_e32 51, v0
	s_cbranch_execz .LBB50_218
; %bb.1:
	s_clause 0x2
	s_load_dword s7, s[4:5], 0x38
	s_load_dwordx4 s[16:19], s[4:5], 0x10
	s_load_dwordx4 s[8:11], s[4:5], 0x28
                                        ; implicit-def: $sgpr20_sgpr21
	s_waitcnt lgkmcnt(0)
	s_bitcmp1_b32 s7, 8
	s_cselect_b32 s22, -1, 0
	s_bfe_u32 s12, s7, 0x10008
	s_ashr_i32 s7, s6, 31
	s_cmp_eq_u32 s12, 0
	s_cbranch_scc1 .LBB50_3
; %bb.2:
	s_load_dword s12, s[4:5], 0x20
	s_mul_i32 s13, s8, s7
	s_mul_hi_u32 s14, s8, s6
	s_mul_i32 s9, s9, s6
	s_add_i32 s13, s14, s13
	s_mul_i32 s8, s8, s6
	s_add_i32 s9, s13, s9
	s_lshl_b64 s[8:9], s[8:9], 2
	s_waitcnt lgkmcnt(0)
	s_ashr_i32 s13, s12, 31
	s_add_u32 s14, s18, s8
	s_addc_u32 s15, s19, s9
	s_lshl_b64 s[8:9], s[12:13], 2
	s_add_u32 s20, s14, s8
	s_addc_u32 s21, s15, s9
.LBB50_3:
	s_clause 0x1
	s_load_dwordx4 s[12:15], s[4:5], 0x0
	s_load_dword s8, s[4:5], 0x38
	s_mul_i32 s4, s16, s7
	s_mul_hi_u32 s5, s16, s6
	s_mul_i32 s9, s17, s6
	s_add_i32 s5, s5, s4
	s_mul_i32 s4, s16, s6
	s_add_i32 s5, s5, s9
	s_lshl_b64 s[4:5], s[4:5], 3
	s_waitcnt lgkmcnt(0)
	v_add3_u32 v1, s15, s15, v0
	s_ashr_i32 s17, s14, 31
	s_mov_b32 s16, s14
	s_add_u32 s9, s12, s4
	s_addc_u32 s12, s13, s5
	v_add_nc_u32_e32 v3, s15, v1
	v_ashrrev_i32_e32 v2, 31, v1
	s_lshl_b64 s[4:5], s[16:17], 3
	s_add_u32 s4, s9, s4
	v_add_nc_u32_e32 v5, s15, v3
	v_ashrrev_i32_e32 v4, 31, v3
	v_lshlrev_b64 v[1:2], 3, v[1:2]
	s_addc_u32 s5, s12, s5
	s_ashr_i32 s13, s15, 31
	v_ashrrev_i32_e32 v6, 31, v5
	v_add_nc_u32_e32 v7, s15, v5
	v_lshlrev_b64 v[3:4], 3, v[3:4]
	v_add_co_u32 v9, vcc_lo, s4, v1
	v_add_co_ci_u32_e64 v10, null, s5, v2, vcc_lo
	v_lshlrev_b64 v[1:2], 3, v[5:6]
	v_ashrrev_i32_e32 v8, 31, v7
	v_add_nc_u32_e32 v5, s15, v7
	v_add_co_u32 v11, vcc_lo, s4, v3
	v_add_co_ci_u32_e64 v12, null, s5, v4, vcc_lo
	v_lshlrev_b64 v[3:4], 3, v[7:8]
	v_ashrrev_i32_e32 v6, 31, v5
	v_add_nc_u32_e32 v7, s15, v5
	;; [unrolled: 5-line block ×35, first 2 shown]
	v_add_co_u32 v79, vcc_lo, s4, v3
	v_add_co_ci_u32_e64 v80, null, s5, v4, vcc_lo
	v_lshlrev_b64 v[3:4], 3, v[7:8]
	v_add_nc_u32_e32 v7, s15, v5
	v_ashrrev_i32_e32 v6, 31, v5
	v_add_co_u32 v81, vcc_lo, s4, v1
	v_add_co_ci_u32_e64 v82, null, s5, v2, vcc_lo
	v_ashrrev_i32_e32 v8, 31, v7
	v_lshlrev_b64 v[1:2], 3, v[5:6]
	v_add_nc_u32_e32 v5, s15, v7
	v_add_co_u32 v83, vcc_lo, s4, v3
	v_add_co_ci_u32_e64 v84, null, s5, v4, vcc_lo
	v_lshlrev_b64 v[3:4], 3, v[7:8]
	v_ashrrev_i32_e32 v6, 31, v5
	v_add_co_u32 v85, vcc_lo, s4, v1
	v_add_co_ci_u32_e64 v86, null, s5, v2, vcc_lo
	v_add_co_u32 v87, vcc_lo, s4, v3
	v_lshlrev_b64 v[1:2], 3, v[5:6]
	v_add_co_ci_u32_e64 v88, null, s5, v4, vcc_lo
	v_add_nc_u32_e32 v4, s15, v5
	v_lshlrev_b32_e32 v3, 3, v0
	s_mov_b32 s12, s15
	v_add_co_u32 v89, vcc_lo, s4, v1
	v_add_nc_u32_e32 v1, s15, v4
	v_ashrrev_i32_e32 v5, 31, v4
	v_add_co_ci_u32_e64 v90, null, s5, v2, vcc_lo
	v_add_co_u32 v95, s9, s4, v3
	v_add_nc_u32_e32 v6, s15, v1
	v_ashrrev_i32_e32 v2, 31, v1
	v_lshlrev_b64 v[4:5], 3, v[4:5]
	v_add_co_ci_u32_e64 v96, null, s5, 0, s9
	v_add_nc_u32_e32 v101, s15, v6
	v_ashrrev_i32_e32 v7, 31, v6
	s_lshl_b64 s[12:13], s[12:13], 3
	v_lshlrev_b64 v[1:2], 3, v[1:2]
	v_add_co_u32 v97, vcc_lo, v95, s12
	v_add_nc_u32_e32 v103, s15, v101
	v_ashrrev_i32_e32 v102, 31, v101
	v_lshlrev_b64 v[6:7], 3, v[6:7]
	v_add_co_ci_u32_e64 v98, null, s13, v96, vcc_lo
	v_add_nc_u32_e32 v105, s15, v103
	v_ashrrev_i32_e32 v104, 31, v103
	v_add_co_u32 v91, vcc_lo, s4, v4
	v_lshlrev_b64 v[101:102], 3, v[101:102]
	v_add_nc_u32_e32 v107, s15, v105
	v_ashrrev_i32_e32 v106, 31, v105
	v_add_co_ci_u32_e64 v92, null, s5, v5, vcc_lo
	v_add_co_u32 v93, vcc_lo, s4, v1
	v_add_nc_u32_e32 v109, s15, v107
	v_ashrrev_i32_e32 v108, 31, v107
	v_lshlrev_b64 v[103:104], 3, v[103:104]
	v_add_co_ci_u32_e64 v94, null, s5, v2, vcc_lo
	v_ashrrev_i32_e32 v110, 31, v109
	v_add_co_u32 v99, vcc_lo, s4, v6
	v_lshlrev_b64 v[105:106], 3, v[105:106]
	v_add_co_ci_u32_e64 v100, null, s5, v7, vcc_lo
	v_add_co_u32 v101, vcc_lo, s4, v101
	v_lshlrev_b64 v[107:108], 3, v[107:108]
	v_add_co_ci_u32_e64 v102, null, s5, v102, vcc_lo
	;; [unrolled: 3-line block ×3, first 2 shown]
	v_add_co_u32 v105, vcc_lo, s4, v105
	v_add_co_ci_u32_e64 v106, null, s5, v106, vcc_lo
	v_add_co_u32 v107, vcc_lo, s4, v107
	v_add_co_ci_u32_e64 v108, null, s5, v108, vcc_lo
	;; [unrolled: 2-line block ×3, first 2 shown]
	s_clause 0x32
	global_load_dwordx2 v[111:112], v3, s[4:5]
	global_load_dwordx2 v[113:114], v[97:98], off
	global_load_dwordx2 v[4:5], v[9:10], off
	;; [unrolled: 1-line block ×50, first 2 shown]
	s_mov_b32 s5, -1
	s_bitcmp0_b32 s8, 0
	s_waitcnt vmcnt(50)
	buffer_store_dword v112, off, s[0:3], 0 offset:4
	buffer_store_dword v111, off, s[0:3], 0
	s_waitcnt vmcnt(49)
	buffer_store_dword v114, off, s[0:3], 0 offset:12
	buffer_store_dword v113, off, s[0:3], 0 offset:8
	s_waitcnt vmcnt(48)
	buffer_store_dword v5, off, s[0:3], 0 offset:20
	buffer_store_dword v4, off, s[0:3], 0 offset:16
	;; [unrolled: 3-line block ×50, first 2 shown]
	s_cbranch_scc1 .LBB50_216
; %bb.4:
	v_cmp_eq_u32_e64 s4, 0, v0
	s_and_saveexec_b32 s5, s4
; %bb.5:
	v_mov_b32_e32 v1, 0
	ds_write_b32 v1, v1 offset:408
; %bb.6:
	s_or_b32 exec_lo, exec_lo, s5
	v_lshl_add_u32 v5, v0, 3, 0
	s_waitcnt lgkmcnt(0)
	s_waitcnt_vscnt null, 0x0
	s_barrier
	buffer_gl0_inv
	s_clause 0x1
	buffer_load_dword v1, v5, s[0:3], 0 offen
	buffer_load_dword v2, v5, s[0:3], 0 offen offset:4
	s_waitcnt vmcnt(1)
	v_cmp_eq_f32_e32 vcc_lo, 0, v1
	s_waitcnt vmcnt(0)
	v_cmp_eq_f32_e64 s5, 0, v2
	s_and_b32 s5, vcc_lo, s5
	s_and_saveexec_b32 s8, s5
	s_cbranch_execz .LBB50_10
; %bb.7:
	v_mov_b32_e32 v1, 0
	s_mov_b32 s9, 0
	ds_read_b32 v2, v1 offset:408
	s_waitcnt lgkmcnt(0)
	v_readfirstlane_b32 s5, v2
	v_add_nc_u32_e32 v2, 1, v0
	s_cmp_eq_u32 s5, 0
	v_cmp_gt_i32_e32 vcc_lo, s5, v2
	s_cselect_b32 s12, -1, 0
	s_or_b32 s12, s12, vcc_lo
	s_and_b32 exec_lo, exec_lo, s12
	s_cbranch_execz .LBB50_10
; %bb.8:
	v_mov_b32_e32 v4, s5
.LBB50_9:                               ; =>This Inner Loop Header: Depth=1
	ds_cmpst_rtn_b32 v4, v1, v4, v2 offset:408
	s_waitcnt lgkmcnt(0)
	v_cmp_ne_u32_e32 vcc_lo, 0, v4
	v_cmp_le_i32_e64 s5, v4, v2
	s_and_b32 s5, vcc_lo, s5
	s_and_b32 s5, exec_lo, s5
	s_or_b32 s9, s5, s9
	s_andn2_b32 exec_lo, exec_lo, s9
	s_cbranch_execnz .LBB50_9
.LBB50_10:
	s_or_b32 exec_lo, exec_lo, s8
	v_mov_b32_e32 v1, 0
	s_barrier
	buffer_gl0_inv
	ds_read_b32 v2, v1 offset:408
	s_and_saveexec_b32 s5, s4
	s_cbranch_execz .LBB50_12
; %bb.11:
	s_lshl_b64 s[8:9], s[6:7], 2
	s_add_u32 s8, s10, s8
	s_addc_u32 s9, s11, s9
	s_waitcnt lgkmcnt(0)
	global_store_dword v1, v2, s[8:9]
.LBB50_12:
	s_or_b32 exec_lo, exec_lo, s5
	s_waitcnt lgkmcnt(0)
	v_cmp_ne_u32_e32 vcc_lo, 0, v2
	s_mov_b32 s5, 0
	s_cbranch_vccnz .LBB50_216
; %bb.13:
	s_clause 0x1
	buffer_load_dword v2, v5, s[0:3], 0 offen
	buffer_load_dword v4, v5, s[0:3], 0 offen offset:4
                                        ; implicit-def: $vgpr7
                                        ; implicit-def: $vgpr6
                                        ; implicit-def: $vgpr1
	s_waitcnt vmcnt(0)
	v_cmp_ngt_f32_e64 s5, |v2|, |v4|
	s_and_saveexec_b32 s8, s5
	s_xor_b32 s5, exec_lo, s8
	s_cbranch_execz .LBB50_15
; %bb.14:
	v_div_scale_f32 v1, null, v4, v4, v2
	v_div_scale_f32 v8, vcc_lo, v2, v4, v2
	v_rcp_f32_e32 v6, v1
	v_fma_f32 v7, -v1, v6, 1.0
	v_fmac_f32_e32 v6, v7, v6
	v_mul_f32_e32 v7, v8, v6
	v_fma_f32 v111, -v1, v7, v8
	v_fmac_f32_e32 v7, v111, v6
	v_fma_f32 v1, -v1, v7, v8
	v_div_fmas_f32 v1, v1, v6, v7
	v_div_fixup_f32 v1, v1, v4, v2
	v_fmac_f32_e32 v4, v2, v1
	v_div_scale_f32 v2, null, v4, v4, 1.0
	v_rcp_f32_e32 v6, v2
	v_fma_f32 v7, -v2, v6, 1.0
	v_fmac_f32_e32 v6, v7, v6
	v_div_scale_f32 v7, vcc_lo, 1.0, v4, 1.0
	v_mul_f32_e32 v8, v7, v6
	v_fma_f32 v111, -v2, v8, v7
	v_fmac_f32_e32 v8, v111, v6
	v_fma_f32 v2, -v2, v8, v7
	v_div_fmas_f32 v2, v2, v6, v8
	v_div_fixup_f32 v2, v2, v4, 1.0
                                        ; implicit-def: $vgpr4
	v_mul_f32_e32 v7, v1, v2
	v_xor_b32_e32 v6, 0x80000000, v2
                                        ; implicit-def: $vgpr2
	v_xor_b32_e32 v1, 0x80000000, v7
.LBB50_15:
	s_andn2_saveexec_b32 s5, s5
	s_cbranch_execz .LBB50_17
; %bb.16:
	v_div_scale_f32 v1, null, v2, v2, v4
	v_div_scale_f32 v8, vcc_lo, v4, v2, v4
	v_rcp_f32_e32 v6, v1
	v_fma_f32 v7, -v1, v6, 1.0
	v_fmac_f32_e32 v6, v7, v6
	v_mul_f32_e32 v7, v8, v6
	v_fma_f32 v111, -v1, v7, v8
	v_fmac_f32_e32 v7, v111, v6
	v_fma_f32 v1, -v1, v7, v8
	v_div_fmas_f32 v1, v1, v6, v7
	v_div_fixup_f32 v6, v1, v2, v4
	v_fmac_f32_e32 v2, v4, v6
	v_div_scale_f32 v1, null, v2, v2, 1.0
	v_div_scale_f32 v8, vcc_lo, 1.0, v2, 1.0
	v_rcp_f32_e32 v4, v1
	v_fma_f32 v7, -v1, v4, 1.0
	v_fmac_f32_e32 v4, v7, v4
	v_mul_f32_e32 v7, v8, v4
	v_fma_f32 v111, -v1, v7, v8
	v_fmac_f32_e32 v7, v111, v4
	v_fma_f32 v1, -v1, v7, v8
	v_div_fmas_f32 v1, v1, v4, v7
	v_div_fixup_f32 v7, v1, v2, 1.0
	v_xor_b32_e32 v1, 0x80000000, v7
	v_mul_f32_e64 v6, v6, -v7
.LBB50_17:
	s_or_b32 exec_lo, exec_lo, s5
	buffer_store_dword v7, v5, s[0:3], 0 offen
	buffer_store_dword v6, v5, s[0:3], 0 offen offset:4
	s_clause 0x1
	buffer_load_dword v8, off, s[0:3], 0 offset:12
	buffer_load_dword v7, off, s[0:3], 0 offset:8
	v_xor_b32_e32 v2, 0x80000000, v6
	v_add_nc_u32_e32 v4, 0x1a0, v3
	s_waitcnt vmcnt(0)
	ds_write2_b64 v3, v[1:2], v[7:8] offset1:52
	s_waitcnt lgkmcnt(0)
	s_waitcnt_vscnt null, 0x0
	s_barrier
	buffer_gl0_inv
	s_and_saveexec_b32 s5, s4
	s_cbranch_execz .LBB50_19
; %bb.18:
	s_clause 0x1
	buffer_load_dword v8, v5, s[0:3], 0 offen offset:4
	buffer_load_dword v111, v5, s[0:3], 0 offen
	ds_read_b64 v[1:2], v4
	v_mov_b32_e32 v6, 0
	ds_read_b64 v[6:7], v6 offset:8
	s_waitcnt vmcnt(1) lgkmcnt(1)
	v_mul_f32_e32 v112, v1, v8
	v_mul_f32_e32 v8, v2, v8
	s_waitcnt vmcnt(0)
	v_fmac_f32_e32 v112, v2, v111
	v_fma_f32 v1, v1, v111, -v8
	v_add_f32_e32 v2, 0, v112
	v_add_f32_e32 v1, 0, v1
	s_waitcnt lgkmcnt(0)
	v_mul_f32_e32 v8, v2, v7
	v_mul_f32_e32 v7, v1, v7
	v_fma_f32 v1, v1, v6, -v8
	v_fmac_f32_e32 v7, v2, v6
	buffer_store_dword v1, off, s[0:3], 0 offset:8
	buffer_store_dword v7, off, s[0:3], 0 offset:12
.LBB50_19:
	s_or_b32 exec_lo, exec_lo, s5
	s_waitcnt_vscnt null, 0x0
	s_barrier
	buffer_gl0_inv
	s_clause 0x1
	buffer_load_dword v1, off, s[0:3], 0 offset:16
	buffer_load_dword v2, off, s[0:3], 0 offset:20
	s_mov_b32 s5, exec_lo
	s_waitcnt vmcnt(0)
	ds_write_b64 v4, v[1:2]
	s_waitcnt lgkmcnt(0)
	s_barrier
	buffer_gl0_inv
	v_cmpx_gt_u32_e32 2, v0
	s_cbranch_execz .LBB50_23
; %bb.20:
	s_clause 0x1
	buffer_load_dword v6, v5, s[0:3], 0 offen offset:4
	buffer_load_dword v5, v5, s[0:3], 0 offen
	ds_read_b64 v[1:2], v4
	s_waitcnt vmcnt(1) lgkmcnt(0)
	v_mul_f32_e32 v7, v2, v6
	v_mul_f32_e32 v6, v1, v6
	s_waitcnt vmcnt(0)
	v_fma_f32 v1, v1, v5, -v7
	v_fmac_f32_e32 v6, v2, v5
	v_add_f32_e32 v2, 0, v1
	v_add_f32_e32 v1, 0, v6
	s_and_saveexec_b32 s8, s4
	s_cbranch_execz .LBB50_22
; %bb.21:
	s_clause 0x1
	buffer_load_dword v7, off, s[0:3], 0 offset:12
	buffer_load_dword v8, off, s[0:3], 0 offset:8
	v_mov_b32_e32 v5, 0
	ds_read_b64 v[5:6], v5 offset:424
	s_waitcnt vmcnt(1) lgkmcnt(0)
	v_mul_f32_e32 v111, v5, v7
	v_mul_f32_e32 v7, v6, v7
	s_waitcnt vmcnt(0)
	v_fmac_f32_e32 v111, v6, v8
	v_fma_f32 v5, v5, v8, -v7
	v_add_f32_e32 v1, v1, v111
	v_add_f32_e32 v2, v2, v5
.LBB50_22:
	s_or_b32 exec_lo, exec_lo, s8
	v_mov_b32_e32 v5, 0
	ds_read_b64 v[5:6], v5 offset:16
	s_waitcnt lgkmcnt(0)
	v_mul_f32_e32 v7, v1, v6
	v_mul_f32_e32 v6, v2, v6
	v_fma_f32 v2, v2, v5, -v7
	v_fmac_f32_e32 v6, v1, v5
	buffer_store_dword v2, off, s[0:3], 0 offset:16
	buffer_store_dword v6, off, s[0:3], 0 offset:20
.LBB50_23:
	s_or_b32 exec_lo, exec_lo, s5
	s_waitcnt_vscnt null, 0x0
	s_barrier
	buffer_gl0_inv
	s_clause 0x1
	buffer_load_dword v5, off, s[0:3], 0 offset:24
	buffer_load_dword v6, off, s[0:3], 0 offset:28
	v_add_nc_u32_e32 v1, -1, v0
	s_mov_b32 s4, exec_lo
	s_waitcnt vmcnt(0)
	ds_write_b64 v4, v[5:6]
	s_waitcnt lgkmcnt(0)
	s_barrier
	buffer_gl0_inv
	v_cmpx_gt_u32_e32 3, v0
	s_cbranch_execz .LBB50_27
; %bb.24:
	v_add_nc_u32_e32 v5, -1, v0
	v_add_nc_u32_e32 v6, 0x1a0, v3
	v_mov_b32_e32 v7, v3
	v_mov_b32_e32 v2, 0
	;; [unrolled: 1-line block ×3, first 2 shown]
	s_mov_b32 s5, 0
	.p2align	6
.LBB50_25:                              ; =>This Inner Loop Header: Depth=1
	s_clause 0x1
	buffer_load_dword v113, v7, s[0:3], 0 offen offset:4
	buffer_load_dword v114, v7, s[0:3], 0 offen
	ds_read_b64 v[111:112], v6
	v_add_nc_u32_e32 v5, 1, v5
	v_add_nc_u32_e32 v6, 8, v6
	v_add_nc_u32_e32 v7, 8, v7
	v_cmp_lt_u32_e32 vcc_lo, 1, v5
	s_or_b32 s5, vcc_lo, s5
	s_waitcnt vmcnt(1) lgkmcnt(0)
	v_mul_f32_e32 v115, v112, v113
	v_mul_f32_e32 v113, v111, v113
	s_waitcnt vmcnt(0)
	v_fma_f32 v111, v111, v114, -v115
	v_fmac_f32_e32 v113, v112, v114
	v_add_f32_e32 v8, v8, v111
	v_add_f32_e32 v2, v2, v113
	s_andn2_b32 exec_lo, exec_lo, s5
	s_cbranch_execnz .LBB50_25
; %bb.26:
	s_or_b32 exec_lo, exec_lo, s5
	v_mov_b32_e32 v5, 0
	ds_read_b64 v[5:6], v5 offset:24
	s_waitcnt lgkmcnt(0)
	v_mul_f32_e32 v7, v2, v6
	v_mul_f32_e32 v6, v8, v6
	v_fma_f32 v7, v8, v5, -v7
	v_fmac_f32_e32 v6, v2, v5
	buffer_store_dword v7, off, s[0:3], 0 offset:24
	buffer_store_dword v6, off, s[0:3], 0 offset:28
.LBB50_27:
	s_or_b32 exec_lo, exec_lo, s4
	s_waitcnt_vscnt null, 0x0
	s_barrier
	buffer_gl0_inv
	s_clause 0x1
	buffer_load_dword v5, off, s[0:3], 0 offset:32
	buffer_load_dword v6, off, s[0:3], 0 offset:36
	s_mov_b32 s4, exec_lo
	s_waitcnt vmcnt(0)
	ds_write_b64 v4, v[5:6]
	s_waitcnt lgkmcnt(0)
	s_barrier
	buffer_gl0_inv
	v_cmpx_gt_u32_e32 4, v0
	s_cbranch_execz .LBB50_31
; %bb.28:
	v_add_nc_u32_e32 v5, -1, v0
	v_add_nc_u32_e32 v6, 0x1a0, v3
	v_mov_b32_e32 v7, v3
	v_mov_b32_e32 v2, 0
	;; [unrolled: 1-line block ×3, first 2 shown]
	s_mov_b32 s5, 0
	.p2align	6
.LBB50_29:                              ; =>This Inner Loop Header: Depth=1
	s_clause 0x1
	buffer_load_dword v113, v7, s[0:3], 0 offen offset:4
	buffer_load_dword v114, v7, s[0:3], 0 offen
	ds_read_b64 v[111:112], v6
	v_add_nc_u32_e32 v5, 1, v5
	v_add_nc_u32_e32 v6, 8, v6
	;; [unrolled: 1-line block ×3, first 2 shown]
	v_cmp_lt_u32_e32 vcc_lo, 2, v5
	s_or_b32 s5, vcc_lo, s5
	s_waitcnt vmcnt(1) lgkmcnt(0)
	v_mul_f32_e32 v115, v112, v113
	v_mul_f32_e32 v113, v111, v113
	s_waitcnt vmcnt(0)
	v_fma_f32 v111, v111, v114, -v115
	v_fmac_f32_e32 v113, v112, v114
	v_add_f32_e32 v8, v8, v111
	v_add_f32_e32 v2, v2, v113
	s_andn2_b32 exec_lo, exec_lo, s5
	s_cbranch_execnz .LBB50_29
; %bb.30:
	s_or_b32 exec_lo, exec_lo, s5
	v_mov_b32_e32 v5, 0
	ds_read_b64 v[5:6], v5 offset:32
	s_waitcnt lgkmcnt(0)
	v_mul_f32_e32 v7, v2, v6
	v_mul_f32_e32 v6, v8, v6
	v_fma_f32 v7, v8, v5, -v7
	v_fmac_f32_e32 v6, v2, v5
	buffer_store_dword v7, off, s[0:3], 0 offset:32
	buffer_store_dword v6, off, s[0:3], 0 offset:36
.LBB50_31:
	s_or_b32 exec_lo, exec_lo, s4
	s_waitcnt_vscnt null, 0x0
	s_barrier
	buffer_gl0_inv
	s_clause 0x1
	buffer_load_dword v5, off, s[0:3], 0 offset:40
	buffer_load_dword v6, off, s[0:3], 0 offset:44
	s_mov_b32 s4, exec_lo
	s_waitcnt vmcnt(0)
	ds_write_b64 v4, v[5:6]
	s_waitcnt lgkmcnt(0)
	s_barrier
	buffer_gl0_inv
	v_cmpx_gt_u32_e32 5, v0
	s_cbranch_execz .LBB50_35
; %bb.32:
	v_add_nc_u32_e32 v5, -1, v0
	v_add_nc_u32_e32 v6, 0x1a0, v3
	v_mov_b32_e32 v7, v3
	v_mov_b32_e32 v2, 0
	;; [unrolled: 1-line block ×3, first 2 shown]
	s_mov_b32 s5, 0
	.p2align	6
.LBB50_33:                              ; =>This Inner Loop Header: Depth=1
	s_clause 0x1
	buffer_load_dword v113, v7, s[0:3], 0 offen offset:4
	buffer_load_dword v114, v7, s[0:3], 0 offen
	ds_read_b64 v[111:112], v6
	v_add_nc_u32_e32 v5, 1, v5
	v_add_nc_u32_e32 v6, 8, v6
	;; [unrolled: 1-line block ×3, first 2 shown]
	v_cmp_lt_u32_e32 vcc_lo, 3, v5
	s_or_b32 s5, vcc_lo, s5
	s_waitcnt vmcnt(1) lgkmcnt(0)
	v_mul_f32_e32 v115, v112, v113
	v_mul_f32_e32 v113, v111, v113
	s_waitcnt vmcnt(0)
	v_fma_f32 v111, v111, v114, -v115
	v_fmac_f32_e32 v113, v112, v114
	v_add_f32_e32 v8, v8, v111
	v_add_f32_e32 v2, v2, v113
	s_andn2_b32 exec_lo, exec_lo, s5
	s_cbranch_execnz .LBB50_33
; %bb.34:
	s_or_b32 exec_lo, exec_lo, s5
	v_mov_b32_e32 v5, 0
	ds_read_b64 v[5:6], v5 offset:40
	s_waitcnt lgkmcnt(0)
	v_mul_f32_e32 v7, v2, v6
	v_mul_f32_e32 v6, v8, v6
	v_fma_f32 v7, v8, v5, -v7
	v_fmac_f32_e32 v6, v2, v5
	buffer_store_dword v7, off, s[0:3], 0 offset:40
	buffer_store_dword v6, off, s[0:3], 0 offset:44
.LBB50_35:
	s_or_b32 exec_lo, exec_lo, s4
	s_waitcnt_vscnt null, 0x0
	s_barrier
	buffer_gl0_inv
	s_clause 0x1
	buffer_load_dword v5, off, s[0:3], 0 offset:48
	buffer_load_dword v6, off, s[0:3], 0 offset:52
	s_mov_b32 s4, exec_lo
	s_waitcnt vmcnt(0)
	ds_write_b64 v4, v[5:6]
	s_waitcnt lgkmcnt(0)
	s_barrier
	buffer_gl0_inv
	v_cmpx_gt_u32_e32 6, v0
	s_cbranch_execz .LBB50_39
; %bb.36:
	v_add_nc_u32_e32 v5, -1, v0
	v_add_nc_u32_e32 v6, 0x1a0, v3
	v_mov_b32_e32 v7, v3
	v_mov_b32_e32 v2, 0
	;; [unrolled: 1-line block ×3, first 2 shown]
	s_mov_b32 s5, 0
	.p2align	6
.LBB50_37:                              ; =>This Inner Loop Header: Depth=1
	s_clause 0x1
	buffer_load_dword v113, v7, s[0:3], 0 offen offset:4
	buffer_load_dword v114, v7, s[0:3], 0 offen
	ds_read_b64 v[111:112], v6
	v_add_nc_u32_e32 v5, 1, v5
	v_add_nc_u32_e32 v6, 8, v6
	;; [unrolled: 1-line block ×3, first 2 shown]
	v_cmp_lt_u32_e32 vcc_lo, 4, v5
	s_or_b32 s5, vcc_lo, s5
	s_waitcnt vmcnt(1) lgkmcnt(0)
	v_mul_f32_e32 v115, v112, v113
	v_mul_f32_e32 v113, v111, v113
	s_waitcnt vmcnt(0)
	v_fma_f32 v111, v111, v114, -v115
	v_fmac_f32_e32 v113, v112, v114
	v_add_f32_e32 v8, v8, v111
	v_add_f32_e32 v2, v2, v113
	s_andn2_b32 exec_lo, exec_lo, s5
	s_cbranch_execnz .LBB50_37
; %bb.38:
	s_or_b32 exec_lo, exec_lo, s5
	v_mov_b32_e32 v5, 0
	ds_read_b64 v[5:6], v5 offset:48
	s_waitcnt lgkmcnt(0)
	v_mul_f32_e32 v7, v2, v6
	v_mul_f32_e32 v6, v8, v6
	v_fma_f32 v7, v8, v5, -v7
	v_fmac_f32_e32 v6, v2, v5
	buffer_store_dword v7, off, s[0:3], 0 offset:48
	buffer_store_dword v6, off, s[0:3], 0 offset:52
.LBB50_39:
	s_or_b32 exec_lo, exec_lo, s4
	s_waitcnt_vscnt null, 0x0
	s_barrier
	buffer_gl0_inv
	s_clause 0x1
	buffer_load_dword v5, off, s[0:3], 0 offset:56
	buffer_load_dword v6, off, s[0:3], 0 offset:60
	s_mov_b32 s4, exec_lo
	s_waitcnt vmcnt(0)
	ds_write_b64 v4, v[5:6]
	s_waitcnt lgkmcnt(0)
	s_barrier
	buffer_gl0_inv
	v_cmpx_gt_u32_e32 7, v0
	s_cbranch_execz .LBB50_43
; %bb.40:
	v_add_nc_u32_e32 v5, -1, v0
	v_add_nc_u32_e32 v6, 0x1a0, v3
	v_mov_b32_e32 v7, v3
	v_mov_b32_e32 v2, 0
	;; [unrolled: 1-line block ×3, first 2 shown]
	s_mov_b32 s5, 0
	.p2align	6
.LBB50_41:                              ; =>This Inner Loop Header: Depth=1
	s_clause 0x1
	buffer_load_dword v113, v7, s[0:3], 0 offen offset:4
	buffer_load_dword v114, v7, s[0:3], 0 offen
	ds_read_b64 v[111:112], v6
	v_add_nc_u32_e32 v5, 1, v5
	v_add_nc_u32_e32 v6, 8, v6
	;; [unrolled: 1-line block ×3, first 2 shown]
	v_cmp_lt_u32_e32 vcc_lo, 5, v5
	s_or_b32 s5, vcc_lo, s5
	s_waitcnt vmcnt(1) lgkmcnt(0)
	v_mul_f32_e32 v115, v112, v113
	v_mul_f32_e32 v113, v111, v113
	s_waitcnt vmcnt(0)
	v_fma_f32 v111, v111, v114, -v115
	v_fmac_f32_e32 v113, v112, v114
	v_add_f32_e32 v8, v8, v111
	v_add_f32_e32 v2, v2, v113
	s_andn2_b32 exec_lo, exec_lo, s5
	s_cbranch_execnz .LBB50_41
; %bb.42:
	s_or_b32 exec_lo, exec_lo, s5
	v_mov_b32_e32 v5, 0
	ds_read_b64 v[5:6], v5 offset:56
	s_waitcnt lgkmcnt(0)
	v_mul_f32_e32 v7, v2, v6
	v_mul_f32_e32 v6, v8, v6
	v_fma_f32 v7, v8, v5, -v7
	v_fmac_f32_e32 v6, v2, v5
	buffer_store_dword v7, off, s[0:3], 0 offset:56
	buffer_store_dword v6, off, s[0:3], 0 offset:60
.LBB50_43:
	s_or_b32 exec_lo, exec_lo, s4
	s_waitcnt_vscnt null, 0x0
	s_barrier
	buffer_gl0_inv
	s_clause 0x1
	buffer_load_dword v5, off, s[0:3], 0 offset:64
	buffer_load_dword v6, off, s[0:3], 0 offset:68
	s_mov_b32 s4, exec_lo
	s_waitcnt vmcnt(0)
	ds_write_b64 v4, v[5:6]
	s_waitcnt lgkmcnt(0)
	s_barrier
	buffer_gl0_inv
	v_cmpx_gt_u32_e32 8, v0
	s_cbranch_execz .LBB50_47
; %bb.44:
	v_add_nc_u32_e32 v5, -1, v0
	v_add_nc_u32_e32 v6, 0x1a0, v3
	v_mov_b32_e32 v7, v3
	v_mov_b32_e32 v2, 0
	;; [unrolled: 1-line block ×3, first 2 shown]
	s_mov_b32 s5, 0
	.p2align	6
.LBB50_45:                              ; =>This Inner Loop Header: Depth=1
	s_clause 0x1
	buffer_load_dword v113, v7, s[0:3], 0 offen offset:4
	buffer_load_dword v114, v7, s[0:3], 0 offen
	ds_read_b64 v[111:112], v6
	v_add_nc_u32_e32 v5, 1, v5
	v_add_nc_u32_e32 v6, 8, v6
	;; [unrolled: 1-line block ×3, first 2 shown]
	v_cmp_lt_u32_e32 vcc_lo, 6, v5
	s_or_b32 s5, vcc_lo, s5
	s_waitcnt vmcnt(1) lgkmcnt(0)
	v_mul_f32_e32 v115, v112, v113
	v_mul_f32_e32 v113, v111, v113
	s_waitcnt vmcnt(0)
	v_fma_f32 v111, v111, v114, -v115
	v_fmac_f32_e32 v113, v112, v114
	v_add_f32_e32 v8, v8, v111
	v_add_f32_e32 v2, v2, v113
	s_andn2_b32 exec_lo, exec_lo, s5
	s_cbranch_execnz .LBB50_45
; %bb.46:
	s_or_b32 exec_lo, exec_lo, s5
	v_mov_b32_e32 v5, 0
	ds_read_b64 v[5:6], v5 offset:64
	s_waitcnt lgkmcnt(0)
	v_mul_f32_e32 v7, v2, v6
	v_mul_f32_e32 v6, v8, v6
	v_fma_f32 v7, v8, v5, -v7
	v_fmac_f32_e32 v6, v2, v5
	buffer_store_dword v7, off, s[0:3], 0 offset:64
	buffer_store_dword v6, off, s[0:3], 0 offset:68
.LBB50_47:
	s_or_b32 exec_lo, exec_lo, s4
	s_waitcnt_vscnt null, 0x0
	s_barrier
	buffer_gl0_inv
	s_clause 0x1
	buffer_load_dword v5, off, s[0:3], 0 offset:72
	buffer_load_dword v6, off, s[0:3], 0 offset:76
	s_mov_b32 s4, exec_lo
	s_waitcnt vmcnt(0)
	ds_write_b64 v4, v[5:6]
	s_waitcnt lgkmcnt(0)
	s_barrier
	buffer_gl0_inv
	v_cmpx_gt_u32_e32 9, v0
	s_cbranch_execz .LBB50_51
; %bb.48:
	v_add_nc_u32_e32 v5, -1, v0
	v_add_nc_u32_e32 v6, 0x1a0, v3
	v_mov_b32_e32 v7, v3
	v_mov_b32_e32 v2, 0
	;; [unrolled: 1-line block ×3, first 2 shown]
	s_mov_b32 s5, 0
	.p2align	6
.LBB50_49:                              ; =>This Inner Loop Header: Depth=1
	s_clause 0x1
	buffer_load_dword v113, v7, s[0:3], 0 offen offset:4
	buffer_load_dword v114, v7, s[0:3], 0 offen
	ds_read_b64 v[111:112], v6
	v_add_nc_u32_e32 v5, 1, v5
	v_add_nc_u32_e32 v6, 8, v6
	;; [unrolled: 1-line block ×3, first 2 shown]
	v_cmp_lt_u32_e32 vcc_lo, 7, v5
	s_or_b32 s5, vcc_lo, s5
	s_waitcnt vmcnt(1) lgkmcnt(0)
	v_mul_f32_e32 v115, v112, v113
	v_mul_f32_e32 v113, v111, v113
	s_waitcnt vmcnt(0)
	v_fma_f32 v111, v111, v114, -v115
	v_fmac_f32_e32 v113, v112, v114
	v_add_f32_e32 v8, v8, v111
	v_add_f32_e32 v2, v2, v113
	s_andn2_b32 exec_lo, exec_lo, s5
	s_cbranch_execnz .LBB50_49
; %bb.50:
	s_or_b32 exec_lo, exec_lo, s5
	v_mov_b32_e32 v5, 0
	ds_read_b64 v[5:6], v5 offset:72
	s_waitcnt lgkmcnt(0)
	v_mul_f32_e32 v7, v2, v6
	v_mul_f32_e32 v6, v8, v6
	v_fma_f32 v7, v8, v5, -v7
	v_fmac_f32_e32 v6, v2, v5
	buffer_store_dword v7, off, s[0:3], 0 offset:72
	buffer_store_dword v6, off, s[0:3], 0 offset:76
.LBB50_51:
	s_or_b32 exec_lo, exec_lo, s4
	s_waitcnt_vscnt null, 0x0
	s_barrier
	buffer_gl0_inv
	s_clause 0x1
	buffer_load_dword v5, off, s[0:3], 0 offset:80
	buffer_load_dword v6, off, s[0:3], 0 offset:84
	s_mov_b32 s4, exec_lo
	s_waitcnt vmcnt(0)
	ds_write_b64 v4, v[5:6]
	s_waitcnt lgkmcnt(0)
	s_barrier
	buffer_gl0_inv
	v_cmpx_gt_u32_e32 10, v0
	s_cbranch_execz .LBB50_55
; %bb.52:
	v_add_nc_u32_e32 v5, -1, v0
	v_add_nc_u32_e32 v6, 0x1a0, v3
	v_mov_b32_e32 v7, v3
	v_mov_b32_e32 v2, 0
	;; [unrolled: 1-line block ×3, first 2 shown]
	s_mov_b32 s5, 0
	.p2align	6
.LBB50_53:                              ; =>This Inner Loop Header: Depth=1
	s_clause 0x1
	buffer_load_dword v113, v7, s[0:3], 0 offen offset:4
	buffer_load_dword v114, v7, s[0:3], 0 offen
	ds_read_b64 v[111:112], v6
	v_add_nc_u32_e32 v5, 1, v5
	v_add_nc_u32_e32 v6, 8, v6
	;; [unrolled: 1-line block ×3, first 2 shown]
	v_cmp_lt_u32_e32 vcc_lo, 8, v5
	s_or_b32 s5, vcc_lo, s5
	s_waitcnt vmcnt(1) lgkmcnt(0)
	v_mul_f32_e32 v115, v112, v113
	v_mul_f32_e32 v113, v111, v113
	s_waitcnt vmcnt(0)
	v_fma_f32 v111, v111, v114, -v115
	v_fmac_f32_e32 v113, v112, v114
	v_add_f32_e32 v8, v8, v111
	v_add_f32_e32 v2, v2, v113
	s_andn2_b32 exec_lo, exec_lo, s5
	s_cbranch_execnz .LBB50_53
; %bb.54:
	s_or_b32 exec_lo, exec_lo, s5
	v_mov_b32_e32 v5, 0
	ds_read_b64 v[5:6], v5 offset:80
	s_waitcnt lgkmcnt(0)
	v_mul_f32_e32 v7, v2, v6
	v_mul_f32_e32 v6, v8, v6
	v_fma_f32 v7, v8, v5, -v7
	v_fmac_f32_e32 v6, v2, v5
	buffer_store_dword v7, off, s[0:3], 0 offset:80
	buffer_store_dword v6, off, s[0:3], 0 offset:84
.LBB50_55:
	s_or_b32 exec_lo, exec_lo, s4
	s_waitcnt_vscnt null, 0x0
	s_barrier
	buffer_gl0_inv
	s_clause 0x1
	buffer_load_dword v5, off, s[0:3], 0 offset:88
	buffer_load_dword v6, off, s[0:3], 0 offset:92
	s_mov_b32 s4, exec_lo
	s_waitcnt vmcnt(0)
	ds_write_b64 v4, v[5:6]
	s_waitcnt lgkmcnt(0)
	s_barrier
	buffer_gl0_inv
	v_cmpx_gt_u32_e32 11, v0
	s_cbranch_execz .LBB50_59
; %bb.56:
	v_add_nc_u32_e32 v5, -1, v0
	v_add_nc_u32_e32 v6, 0x1a0, v3
	v_mov_b32_e32 v7, v3
	v_mov_b32_e32 v2, 0
	;; [unrolled: 1-line block ×3, first 2 shown]
	s_mov_b32 s5, 0
	.p2align	6
.LBB50_57:                              ; =>This Inner Loop Header: Depth=1
	s_clause 0x1
	buffer_load_dword v113, v7, s[0:3], 0 offen offset:4
	buffer_load_dword v114, v7, s[0:3], 0 offen
	ds_read_b64 v[111:112], v6
	v_add_nc_u32_e32 v5, 1, v5
	v_add_nc_u32_e32 v6, 8, v6
	;; [unrolled: 1-line block ×3, first 2 shown]
	v_cmp_lt_u32_e32 vcc_lo, 9, v5
	s_or_b32 s5, vcc_lo, s5
	s_waitcnt vmcnt(1) lgkmcnt(0)
	v_mul_f32_e32 v115, v112, v113
	v_mul_f32_e32 v113, v111, v113
	s_waitcnt vmcnt(0)
	v_fma_f32 v111, v111, v114, -v115
	v_fmac_f32_e32 v113, v112, v114
	v_add_f32_e32 v8, v8, v111
	v_add_f32_e32 v2, v2, v113
	s_andn2_b32 exec_lo, exec_lo, s5
	s_cbranch_execnz .LBB50_57
; %bb.58:
	s_or_b32 exec_lo, exec_lo, s5
	v_mov_b32_e32 v5, 0
	ds_read_b64 v[5:6], v5 offset:88
	s_waitcnt lgkmcnt(0)
	v_mul_f32_e32 v7, v2, v6
	v_mul_f32_e32 v6, v8, v6
	v_fma_f32 v7, v8, v5, -v7
	v_fmac_f32_e32 v6, v2, v5
	buffer_store_dword v7, off, s[0:3], 0 offset:88
	buffer_store_dword v6, off, s[0:3], 0 offset:92
.LBB50_59:
	s_or_b32 exec_lo, exec_lo, s4
	s_waitcnt_vscnt null, 0x0
	s_barrier
	buffer_gl0_inv
	s_clause 0x1
	buffer_load_dword v5, off, s[0:3], 0 offset:96
	buffer_load_dword v6, off, s[0:3], 0 offset:100
	s_mov_b32 s4, exec_lo
	s_waitcnt vmcnt(0)
	ds_write_b64 v4, v[5:6]
	s_waitcnt lgkmcnt(0)
	s_barrier
	buffer_gl0_inv
	v_cmpx_gt_u32_e32 12, v0
	s_cbranch_execz .LBB50_63
; %bb.60:
	v_add_nc_u32_e32 v5, -1, v0
	v_add_nc_u32_e32 v6, 0x1a0, v3
	v_mov_b32_e32 v7, v3
	v_mov_b32_e32 v2, 0
	;; [unrolled: 1-line block ×3, first 2 shown]
	s_mov_b32 s5, 0
	.p2align	6
.LBB50_61:                              ; =>This Inner Loop Header: Depth=1
	s_clause 0x1
	buffer_load_dword v113, v7, s[0:3], 0 offen offset:4
	buffer_load_dword v114, v7, s[0:3], 0 offen
	ds_read_b64 v[111:112], v6
	v_add_nc_u32_e32 v5, 1, v5
	v_add_nc_u32_e32 v6, 8, v6
	;; [unrolled: 1-line block ×3, first 2 shown]
	v_cmp_lt_u32_e32 vcc_lo, 10, v5
	s_or_b32 s5, vcc_lo, s5
	s_waitcnt vmcnt(1) lgkmcnt(0)
	v_mul_f32_e32 v115, v112, v113
	v_mul_f32_e32 v113, v111, v113
	s_waitcnt vmcnt(0)
	v_fma_f32 v111, v111, v114, -v115
	v_fmac_f32_e32 v113, v112, v114
	v_add_f32_e32 v8, v8, v111
	v_add_f32_e32 v2, v2, v113
	s_andn2_b32 exec_lo, exec_lo, s5
	s_cbranch_execnz .LBB50_61
; %bb.62:
	s_or_b32 exec_lo, exec_lo, s5
	v_mov_b32_e32 v5, 0
	ds_read_b64 v[5:6], v5 offset:96
	s_waitcnt lgkmcnt(0)
	v_mul_f32_e32 v7, v2, v6
	v_mul_f32_e32 v6, v8, v6
	v_fma_f32 v7, v8, v5, -v7
	v_fmac_f32_e32 v6, v2, v5
	buffer_store_dword v7, off, s[0:3], 0 offset:96
	buffer_store_dword v6, off, s[0:3], 0 offset:100
.LBB50_63:
	s_or_b32 exec_lo, exec_lo, s4
	s_waitcnt_vscnt null, 0x0
	s_barrier
	buffer_gl0_inv
	s_clause 0x1
	buffer_load_dword v5, off, s[0:3], 0 offset:104
	buffer_load_dword v6, off, s[0:3], 0 offset:108
	s_mov_b32 s4, exec_lo
	s_waitcnt vmcnt(0)
	ds_write_b64 v4, v[5:6]
	s_waitcnt lgkmcnt(0)
	s_barrier
	buffer_gl0_inv
	v_cmpx_gt_u32_e32 13, v0
	s_cbranch_execz .LBB50_67
; %bb.64:
	v_add_nc_u32_e32 v5, -1, v0
	v_add_nc_u32_e32 v6, 0x1a0, v3
	v_mov_b32_e32 v7, v3
	v_mov_b32_e32 v2, 0
	;; [unrolled: 1-line block ×3, first 2 shown]
	s_mov_b32 s5, 0
	.p2align	6
.LBB50_65:                              ; =>This Inner Loop Header: Depth=1
	s_clause 0x1
	buffer_load_dword v113, v7, s[0:3], 0 offen offset:4
	buffer_load_dword v114, v7, s[0:3], 0 offen
	ds_read_b64 v[111:112], v6
	v_add_nc_u32_e32 v5, 1, v5
	v_add_nc_u32_e32 v6, 8, v6
	;; [unrolled: 1-line block ×3, first 2 shown]
	v_cmp_lt_u32_e32 vcc_lo, 11, v5
	s_or_b32 s5, vcc_lo, s5
	s_waitcnt vmcnt(1) lgkmcnt(0)
	v_mul_f32_e32 v115, v112, v113
	v_mul_f32_e32 v113, v111, v113
	s_waitcnt vmcnt(0)
	v_fma_f32 v111, v111, v114, -v115
	v_fmac_f32_e32 v113, v112, v114
	v_add_f32_e32 v8, v8, v111
	v_add_f32_e32 v2, v2, v113
	s_andn2_b32 exec_lo, exec_lo, s5
	s_cbranch_execnz .LBB50_65
; %bb.66:
	s_or_b32 exec_lo, exec_lo, s5
	v_mov_b32_e32 v5, 0
	ds_read_b64 v[5:6], v5 offset:104
	s_waitcnt lgkmcnt(0)
	v_mul_f32_e32 v7, v2, v6
	v_mul_f32_e32 v6, v8, v6
	v_fma_f32 v7, v8, v5, -v7
	v_fmac_f32_e32 v6, v2, v5
	buffer_store_dword v7, off, s[0:3], 0 offset:104
	buffer_store_dword v6, off, s[0:3], 0 offset:108
.LBB50_67:
	s_or_b32 exec_lo, exec_lo, s4
	s_waitcnt_vscnt null, 0x0
	s_barrier
	buffer_gl0_inv
	s_clause 0x1
	buffer_load_dword v5, off, s[0:3], 0 offset:112
	buffer_load_dword v6, off, s[0:3], 0 offset:116
	s_mov_b32 s4, exec_lo
	s_waitcnt vmcnt(0)
	ds_write_b64 v4, v[5:6]
	s_waitcnt lgkmcnt(0)
	s_barrier
	buffer_gl0_inv
	v_cmpx_gt_u32_e32 14, v0
	s_cbranch_execz .LBB50_71
; %bb.68:
	v_add_nc_u32_e32 v5, -1, v0
	v_add_nc_u32_e32 v6, 0x1a0, v3
	v_mov_b32_e32 v7, v3
	v_mov_b32_e32 v2, 0
	;; [unrolled: 1-line block ×3, first 2 shown]
	s_mov_b32 s5, 0
	.p2align	6
.LBB50_69:                              ; =>This Inner Loop Header: Depth=1
	s_clause 0x1
	buffer_load_dword v113, v7, s[0:3], 0 offen offset:4
	buffer_load_dword v114, v7, s[0:3], 0 offen
	ds_read_b64 v[111:112], v6
	v_add_nc_u32_e32 v5, 1, v5
	v_add_nc_u32_e32 v6, 8, v6
	v_add_nc_u32_e32 v7, 8, v7
	v_cmp_lt_u32_e32 vcc_lo, 12, v5
	s_or_b32 s5, vcc_lo, s5
	s_waitcnt vmcnt(1) lgkmcnt(0)
	v_mul_f32_e32 v115, v112, v113
	v_mul_f32_e32 v113, v111, v113
	s_waitcnt vmcnt(0)
	v_fma_f32 v111, v111, v114, -v115
	v_fmac_f32_e32 v113, v112, v114
	v_add_f32_e32 v8, v8, v111
	v_add_f32_e32 v2, v2, v113
	s_andn2_b32 exec_lo, exec_lo, s5
	s_cbranch_execnz .LBB50_69
; %bb.70:
	s_or_b32 exec_lo, exec_lo, s5
	v_mov_b32_e32 v5, 0
	ds_read_b64 v[5:6], v5 offset:112
	s_waitcnt lgkmcnt(0)
	v_mul_f32_e32 v7, v2, v6
	v_mul_f32_e32 v6, v8, v6
	v_fma_f32 v7, v8, v5, -v7
	v_fmac_f32_e32 v6, v2, v5
	buffer_store_dword v7, off, s[0:3], 0 offset:112
	buffer_store_dword v6, off, s[0:3], 0 offset:116
.LBB50_71:
	s_or_b32 exec_lo, exec_lo, s4
	s_waitcnt_vscnt null, 0x0
	s_barrier
	buffer_gl0_inv
	s_clause 0x1
	buffer_load_dword v5, off, s[0:3], 0 offset:120
	buffer_load_dword v6, off, s[0:3], 0 offset:124
	s_mov_b32 s4, exec_lo
	s_waitcnt vmcnt(0)
	ds_write_b64 v4, v[5:6]
	s_waitcnt lgkmcnt(0)
	s_barrier
	buffer_gl0_inv
	v_cmpx_gt_u32_e32 15, v0
	s_cbranch_execz .LBB50_75
; %bb.72:
	v_add_nc_u32_e32 v5, -1, v0
	v_add_nc_u32_e32 v6, 0x1a0, v3
	v_mov_b32_e32 v7, v3
	v_mov_b32_e32 v2, 0
	;; [unrolled: 1-line block ×3, first 2 shown]
	s_mov_b32 s5, 0
	.p2align	6
.LBB50_73:                              ; =>This Inner Loop Header: Depth=1
	s_clause 0x1
	buffer_load_dword v113, v7, s[0:3], 0 offen offset:4
	buffer_load_dword v114, v7, s[0:3], 0 offen
	ds_read_b64 v[111:112], v6
	v_add_nc_u32_e32 v5, 1, v5
	v_add_nc_u32_e32 v6, 8, v6
	;; [unrolled: 1-line block ×3, first 2 shown]
	v_cmp_lt_u32_e32 vcc_lo, 13, v5
	s_or_b32 s5, vcc_lo, s5
	s_waitcnt vmcnt(1) lgkmcnt(0)
	v_mul_f32_e32 v115, v112, v113
	v_mul_f32_e32 v113, v111, v113
	s_waitcnt vmcnt(0)
	v_fma_f32 v111, v111, v114, -v115
	v_fmac_f32_e32 v113, v112, v114
	v_add_f32_e32 v8, v8, v111
	v_add_f32_e32 v2, v2, v113
	s_andn2_b32 exec_lo, exec_lo, s5
	s_cbranch_execnz .LBB50_73
; %bb.74:
	s_or_b32 exec_lo, exec_lo, s5
	v_mov_b32_e32 v5, 0
	ds_read_b64 v[5:6], v5 offset:120
	s_waitcnt lgkmcnt(0)
	v_mul_f32_e32 v7, v2, v6
	v_mul_f32_e32 v6, v8, v6
	v_fma_f32 v7, v8, v5, -v7
	v_fmac_f32_e32 v6, v2, v5
	buffer_store_dword v7, off, s[0:3], 0 offset:120
	buffer_store_dword v6, off, s[0:3], 0 offset:124
.LBB50_75:
	s_or_b32 exec_lo, exec_lo, s4
	s_waitcnt_vscnt null, 0x0
	s_barrier
	buffer_gl0_inv
	s_clause 0x1
	buffer_load_dword v5, off, s[0:3], 0 offset:128
	buffer_load_dword v6, off, s[0:3], 0 offset:132
	s_mov_b32 s4, exec_lo
	s_waitcnt vmcnt(0)
	ds_write_b64 v4, v[5:6]
	s_waitcnt lgkmcnt(0)
	s_barrier
	buffer_gl0_inv
	v_cmpx_gt_u32_e32 16, v0
	s_cbranch_execz .LBB50_79
; %bb.76:
	v_add_nc_u32_e32 v5, -1, v0
	v_add_nc_u32_e32 v6, 0x1a0, v3
	v_mov_b32_e32 v7, v3
	v_mov_b32_e32 v2, 0
	;; [unrolled: 1-line block ×3, first 2 shown]
	s_mov_b32 s5, 0
	.p2align	6
.LBB50_77:                              ; =>This Inner Loop Header: Depth=1
	s_clause 0x1
	buffer_load_dword v113, v7, s[0:3], 0 offen offset:4
	buffer_load_dword v114, v7, s[0:3], 0 offen
	ds_read_b64 v[111:112], v6
	v_add_nc_u32_e32 v5, 1, v5
	v_add_nc_u32_e32 v6, 8, v6
	;; [unrolled: 1-line block ×3, first 2 shown]
	v_cmp_lt_u32_e32 vcc_lo, 14, v5
	s_or_b32 s5, vcc_lo, s5
	s_waitcnt vmcnt(1) lgkmcnt(0)
	v_mul_f32_e32 v115, v112, v113
	v_mul_f32_e32 v113, v111, v113
	s_waitcnt vmcnt(0)
	v_fma_f32 v111, v111, v114, -v115
	v_fmac_f32_e32 v113, v112, v114
	v_add_f32_e32 v8, v8, v111
	v_add_f32_e32 v2, v2, v113
	s_andn2_b32 exec_lo, exec_lo, s5
	s_cbranch_execnz .LBB50_77
; %bb.78:
	s_or_b32 exec_lo, exec_lo, s5
	v_mov_b32_e32 v5, 0
	ds_read_b64 v[5:6], v5 offset:128
	s_waitcnt lgkmcnt(0)
	v_mul_f32_e32 v7, v2, v6
	v_mul_f32_e32 v6, v8, v6
	v_fma_f32 v7, v8, v5, -v7
	v_fmac_f32_e32 v6, v2, v5
	buffer_store_dword v7, off, s[0:3], 0 offset:128
	buffer_store_dword v6, off, s[0:3], 0 offset:132
.LBB50_79:
	s_or_b32 exec_lo, exec_lo, s4
	s_waitcnt_vscnt null, 0x0
	s_barrier
	buffer_gl0_inv
	s_clause 0x1
	buffer_load_dword v5, off, s[0:3], 0 offset:136
	buffer_load_dword v6, off, s[0:3], 0 offset:140
	s_mov_b32 s4, exec_lo
	s_waitcnt vmcnt(0)
	ds_write_b64 v4, v[5:6]
	s_waitcnt lgkmcnt(0)
	s_barrier
	buffer_gl0_inv
	v_cmpx_gt_u32_e32 17, v0
	s_cbranch_execz .LBB50_83
; %bb.80:
	v_add_nc_u32_e32 v5, -1, v0
	v_add_nc_u32_e32 v6, 0x1a0, v3
	v_mov_b32_e32 v7, v3
	v_mov_b32_e32 v2, 0
	;; [unrolled: 1-line block ×3, first 2 shown]
	s_mov_b32 s5, 0
	.p2align	6
.LBB50_81:                              ; =>This Inner Loop Header: Depth=1
	s_clause 0x1
	buffer_load_dword v113, v7, s[0:3], 0 offen offset:4
	buffer_load_dword v114, v7, s[0:3], 0 offen
	ds_read_b64 v[111:112], v6
	v_add_nc_u32_e32 v5, 1, v5
	v_add_nc_u32_e32 v6, 8, v6
	;; [unrolled: 1-line block ×3, first 2 shown]
	v_cmp_lt_u32_e32 vcc_lo, 15, v5
	s_or_b32 s5, vcc_lo, s5
	s_waitcnt vmcnt(1) lgkmcnt(0)
	v_mul_f32_e32 v115, v112, v113
	v_mul_f32_e32 v113, v111, v113
	s_waitcnt vmcnt(0)
	v_fma_f32 v111, v111, v114, -v115
	v_fmac_f32_e32 v113, v112, v114
	v_add_f32_e32 v8, v8, v111
	v_add_f32_e32 v2, v2, v113
	s_andn2_b32 exec_lo, exec_lo, s5
	s_cbranch_execnz .LBB50_81
; %bb.82:
	s_or_b32 exec_lo, exec_lo, s5
	v_mov_b32_e32 v5, 0
	ds_read_b64 v[5:6], v5 offset:136
	s_waitcnt lgkmcnt(0)
	v_mul_f32_e32 v7, v2, v6
	v_mul_f32_e32 v6, v8, v6
	v_fma_f32 v7, v8, v5, -v7
	v_fmac_f32_e32 v6, v2, v5
	buffer_store_dword v7, off, s[0:3], 0 offset:136
	buffer_store_dword v6, off, s[0:3], 0 offset:140
.LBB50_83:
	s_or_b32 exec_lo, exec_lo, s4
	s_waitcnt_vscnt null, 0x0
	s_barrier
	buffer_gl0_inv
	s_clause 0x1
	buffer_load_dword v5, off, s[0:3], 0 offset:144
	buffer_load_dword v6, off, s[0:3], 0 offset:148
	s_mov_b32 s4, exec_lo
	s_waitcnt vmcnt(0)
	ds_write_b64 v4, v[5:6]
	s_waitcnt lgkmcnt(0)
	s_barrier
	buffer_gl0_inv
	v_cmpx_gt_u32_e32 18, v0
	s_cbranch_execz .LBB50_87
; %bb.84:
	v_add_nc_u32_e32 v5, -1, v0
	v_add_nc_u32_e32 v6, 0x1a0, v3
	v_mov_b32_e32 v7, v3
	v_mov_b32_e32 v2, 0
	;; [unrolled: 1-line block ×3, first 2 shown]
	s_mov_b32 s5, 0
	.p2align	6
.LBB50_85:                              ; =>This Inner Loop Header: Depth=1
	s_clause 0x1
	buffer_load_dword v113, v7, s[0:3], 0 offen offset:4
	buffer_load_dword v114, v7, s[0:3], 0 offen
	ds_read_b64 v[111:112], v6
	v_add_nc_u32_e32 v5, 1, v5
	v_add_nc_u32_e32 v6, 8, v6
	;; [unrolled: 1-line block ×3, first 2 shown]
	v_cmp_lt_u32_e32 vcc_lo, 16, v5
	s_or_b32 s5, vcc_lo, s5
	s_waitcnt vmcnt(1) lgkmcnt(0)
	v_mul_f32_e32 v115, v112, v113
	v_mul_f32_e32 v113, v111, v113
	s_waitcnt vmcnt(0)
	v_fma_f32 v111, v111, v114, -v115
	v_fmac_f32_e32 v113, v112, v114
	v_add_f32_e32 v8, v8, v111
	v_add_f32_e32 v2, v2, v113
	s_andn2_b32 exec_lo, exec_lo, s5
	s_cbranch_execnz .LBB50_85
; %bb.86:
	s_or_b32 exec_lo, exec_lo, s5
	v_mov_b32_e32 v5, 0
	ds_read_b64 v[5:6], v5 offset:144
	s_waitcnt lgkmcnt(0)
	v_mul_f32_e32 v7, v2, v6
	v_mul_f32_e32 v6, v8, v6
	v_fma_f32 v7, v8, v5, -v7
	v_fmac_f32_e32 v6, v2, v5
	buffer_store_dword v7, off, s[0:3], 0 offset:144
	buffer_store_dword v6, off, s[0:3], 0 offset:148
.LBB50_87:
	s_or_b32 exec_lo, exec_lo, s4
	s_waitcnt_vscnt null, 0x0
	s_barrier
	buffer_gl0_inv
	s_clause 0x1
	buffer_load_dword v5, off, s[0:3], 0 offset:152
	buffer_load_dword v6, off, s[0:3], 0 offset:156
	s_mov_b32 s4, exec_lo
	s_waitcnt vmcnt(0)
	ds_write_b64 v4, v[5:6]
	s_waitcnt lgkmcnt(0)
	s_barrier
	buffer_gl0_inv
	v_cmpx_gt_u32_e32 19, v0
	s_cbranch_execz .LBB50_91
; %bb.88:
	v_add_nc_u32_e32 v5, -1, v0
	v_add_nc_u32_e32 v6, 0x1a0, v3
	v_mov_b32_e32 v7, v3
	v_mov_b32_e32 v2, 0
	;; [unrolled: 1-line block ×3, first 2 shown]
	s_mov_b32 s5, 0
	.p2align	6
.LBB50_89:                              ; =>This Inner Loop Header: Depth=1
	s_clause 0x1
	buffer_load_dword v113, v7, s[0:3], 0 offen offset:4
	buffer_load_dword v114, v7, s[0:3], 0 offen
	ds_read_b64 v[111:112], v6
	v_add_nc_u32_e32 v5, 1, v5
	v_add_nc_u32_e32 v6, 8, v6
	;; [unrolled: 1-line block ×3, first 2 shown]
	v_cmp_lt_u32_e32 vcc_lo, 17, v5
	s_or_b32 s5, vcc_lo, s5
	s_waitcnt vmcnt(1) lgkmcnt(0)
	v_mul_f32_e32 v115, v112, v113
	v_mul_f32_e32 v113, v111, v113
	s_waitcnt vmcnt(0)
	v_fma_f32 v111, v111, v114, -v115
	v_fmac_f32_e32 v113, v112, v114
	v_add_f32_e32 v8, v8, v111
	v_add_f32_e32 v2, v2, v113
	s_andn2_b32 exec_lo, exec_lo, s5
	s_cbranch_execnz .LBB50_89
; %bb.90:
	s_or_b32 exec_lo, exec_lo, s5
	v_mov_b32_e32 v5, 0
	ds_read_b64 v[5:6], v5 offset:152
	s_waitcnt lgkmcnt(0)
	v_mul_f32_e32 v7, v2, v6
	v_mul_f32_e32 v6, v8, v6
	v_fma_f32 v7, v8, v5, -v7
	v_fmac_f32_e32 v6, v2, v5
	buffer_store_dword v7, off, s[0:3], 0 offset:152
	buffer_store_dword v6, off, s[0:3], 0 offset:156
.LBB50_91:
	s_or_b32 exec_lo, exec_lo, s4
	s_waitcnt_vscnt null, 0x0
	s_barrier
	buffer_gl0_inv
	s_clause 0x1
	buffer_load_dword v5, off, s[0:3], 0 offset:160
	buffer_load_dword v6, off, s[0:3], 0 offset:164
	s_mov_b32 s4, exec_lo
	s_waitcnt vmcnt(0)
	ds_write_b64 v4, v[5:6]
	s_waitcnt lgkmcnt(0)
	s_barrier
	buffer_gl0_inv
	v_cmpx_gt_u32_e32 20, v0
	s_cbranch_execz .LBB50_95
; %bb.92:
	v_add_nc_u32_e32 v5, -1, v0
	v_add_nc_u32_e32 v6, 0x1a0, v3
	v_mov_b32_e32 v7, v3
	v_mov_b32_e32 v2, 0
	;; [unrolled: 1-line block ×3, first 2 shown]
	s_mov_b32 s5, 0
	.p2align	6
.LBB50_93:                              ; =>This Inner Loop Header: Depth=1
	s_clause 0x1
	buffer_load_dword v113, v7, s[0:3], 0 offen offset:4
	buffer_load_dword v114, v7, s[0:3], 0 offen
	ds_read_b64 v[111:112], v6
	v_add_nc_u32_e32 v5, 1, v5
	v_add_nc_u32_e32 v6, 8, v6
	;; [unrolled: 1-line block ×3, first 2 shown]
	v_cmp_lt_u32_e32 vcc_lo, 18, v5
	s_or_b32 s5, vcc_lo, s5
	s_waitcnt vmcnt(1) lgkmcnt(0)
	v_mul_f32_e32 v115, v112, v113
	v_mul_f32_e32 v113, v111, v113
	s_waitcnt vmcnt(0)
	v_fma_f32 v111, v111, v114, -v115
	v_fmac_f32_e32 v113, v112, v114
	v_add_f32_e32 v8, v8, v111
	v_add_f32_e32 v2, v2, v113
	s_andn2_b32 exec_lo, exec_lo, s5
	s_cbranch_execnz .LBB50_93
; %bb.94:
	s_or_b32 exec_lo, exec_lo, s5
	v_mov_b32_e32 v5, 0
	ds_read_b64 v[5:6], v5 offset:160
	s_waitcnt lgkmcnt(0)
	v_mul_f32_e32 v7, v2, v6
	v_mul_f32_e32 v6, v8, v6
	v_fma_f32 v7, v8, v5, -v7
	v_fmac_f32_e32 v6, v2, v5
	buffer_store_dword v7, off, s[0:3], 0 offset:160
	buffer_store_dword v6, off, s[0:3], 0 offset:164
.LBB50_95:
	s_or_b32 exec_lo, exec_lo, s4
	s_waitcnt_vscnt null, 0x0
	s_barrier
	buffer_gl0_inv
	s_clause 0x1
	buffer_load_dword v5, off, s[0:3], 0 offset:168
	buffer_load_dword v6, off, s[0:3], 0 offset:172
	s_mov_b32 s4, exec_lo
	s_waitcnt vmcnt(0)
	ds_write_b64 v4, v[5:6]
	s_waitcnt lgkmcnt(0)
	s_barrier
	buffer_gl0_inv
	v_cmpx_gt_u32_e32 21, v0
	s_cbranch_execz .LBB50_99
; %bb.96:
	v_add_nc_u32_e32 v5, -1, v0
	v_add_nc_u32_e32 v6, 0x1a0, v3
	v_mov_b32_e32 v7, v3
	v_mov_b32_e32 v2, 0
	;; [unrolled: 1-line block ×3, first 2 shown]
	s_mov_b32 s5, 0
	.p2align	6
.LBB50_97:                              ; =>This Inner Loop Header: Depth=1
	s_clause 0x1
	buffer_load_dword v113, v7, s[0:3], 0 offen offset:4
	buffer_load_dword v114, v7, s[0:3], 0 offen
	ds_read_b64 v[111:112], v6
	v_add_nc_u32_e32 v5, 1, v5
	v_add_nc_u32_e32 v6, 8, v6
	;; [unrolled: 1-line block ×3, first 2 shown]
	v_cmp_lt_u32_e32 vcc_lo, 19, v5
	s_or_b32 s5, vcc_lo, s5
	s_waitcnt vmcnt(1) lgkmcnt(0)
	v_mul_f32_e32 v115, v112, v113
	v_mul_f32_e32 v113, v111, v113
	s_waitcnt vmcnt(0)
	v_fma_f32 v111, v111, v114, -v115
	v_fmac_f32_e32 v113, v112, v114
	v_add_f32_e32 v8, v8, v111
	v_add_f32_e32 v2, v2, v113
	s_andn2_b32 exec_lo, exec_lo, s5
	s_cbranch_execnz .LBB50_97
; %bb.98:
	s_or_b32 exec_lo, exec_lo, s5
	v_mov_b32_e32 v5, 0
	ds_read_b64 v[5:6], v5 offset:168
	s_waitcnt lgkmcnt(0)
	v_mul_f32_e32 v7, v2, v6
	v_mul_f32_e32 v6, v8, v6
	v_fma_f32 v7, v8, v5, -v7
	v_fmac_f32_e32 v6, v2, v5
	buffer_store_dword v7, off, s[0:3], 0 offset:168
	buffer_store_dword v6, off, s[0:3], 0 offset:172
.LBB50_99:
	s_or_b32 exec_lo, exec_lo, s4
	s_waitcnt_vscnt null, 0x0
	s_barrier
	buffer_gl0_inv
	s_clause 0x1
	buffer_load_dword v5, off, s[0:3], 0 offset:176
	buffer_load_dword v6, off, s[0:3], 0 offset:180
	s_mov_b32 s4, exec_lo
	s_waitcnt vmcnt(0)
	ds_write_b64 v4, v[5:6]
	s_waitcnt lgkmcnt(0)
	s_barrier
	buffer_gl0_inv
	v_cmpx_gt_u32_e32 22, v0
	s_cbranch_execz .LBB50_103
; %bb.100:
	v_add_nc_u32_e32 v5, -1, v0
	v_add_nc_u32_e32 v6, 0x1a0, v3
	v_mov_b32_e32 v7, v3
	v_mov_b32_e32 v2, 0
	;; [unrolled: 1-line block ×3, first 2 shown]
	s_mov_b32 s5, 0
	.p2align	6
.LBB50_101:                             ; =>This Inner Loop Header: Depth=1
	s_clause 0x1
	buffer_load_dword v113, v7, s[0:3], 0 offen offset:4
	buffer_load_dword v114, v7, s[0:3], 0 offen
	ds_read_b64 v[111:112], v6
	v_add_nc_u32_e32 v5, 1, v5
	v_add_nc_u32_e32 v6, 8, v6
	;; [unrolled: 1-line block ×3, first 2 shown]
	v_cmp_lt_u32_e32 vcc_lo, 20, v5
	s_or_b32 s5, vcc_lo, s5
	s_waitcnt vmcnt(1) lgkmcnt(0)
	v_mul_f32_e32 v115, v112, v113
	v_mul_f32_e32 v113, v111, v113
	s_waitcnt vmcnt(0)
	v_fma_f32 v111, v111, v114, -v115
	v_fmac_f32_e32 v113, v112, v114
	v_add_f32_e32 v8, v8, v111
	v_add_f32_e32 v2, v2, v113
	s_andn2_b32 exec_lo, exec_lo, s5
	s_cbranch_execnz .LBB50_101
; %bb.102:
	s_or_b32 exec_lo, exec_lo, s5
	v_mov_b32_e32 v5, 0
	ds_read_b64 v[5:6], v5 offset:176
	s_waitcnt lgkmcnt(0)
	v_mul_f32_e32 v7, v2, v6
	v_mul_f32_e32 v6, v8, v6
	v_fma_f32 v7, v8, v5, -v7
	v_fmac_f32_e32 v6, v2, v5
	buffer_store_dword v7, off, s[0:3], 0 offset:176
	buffer_store_dword v6, off, s[0:3], 0 offset:180
.LBB50_103:
	s_or_b32 exec_lo, exec_lo, s4
	s_waitcnt_vscnt null, 0x0
	s_barrier
	buffer_gl0_inv
	s_clause 0x1
	buffer_load_dword v5, off, s[0:3], 0 offset:184
	buffer_load_dword v6, off, s[0:3], 0 offset:188
	s_mov_b32 s4, exec_lo
	s_waitcnt vmcnt(0)
	ds_write_b64 v4, v[5:6]
	s_waitcnt lgkmcnt(0)
	s_barrier
	buffer_gl0_inv
	v_cmpx_gt_u32_e32 23, v0
	s_cbranch_execz .LBB50_107
; %bb.104:
	v_add_nc_u32_e32 v5, -1, v0
	v_add_nc_u32_e32 v6, 0x1a0, v3
	v_mov_b32_e32 v7, v3
	v_mov_b32_e32 v2, 0
	;; [unrolled: 1-line block ×3, first 2 shown]
	s_mov_b32 s5, 0
	.p2align	6
.LBB50_105:                             ; =>This Inner Loop Header: Depth=1
	s_clause 0x1
	buffer_load_dword v113, v7, s[0:3], 0 offen offset:4
	buffer_load_dword v114, v7, s[0:3], 0 offen
	ds_read_b64 v[111:112], v6
	v_add_nc_u32_e32 v5, 1, v5
	v_add_nc_u32_e32 v6, 8, v6
	v_add_nc_u32_e32 v7, 8, v7
	v_cmp_lt_u32_e32 vcc_lo, 21, v5
	s_or_b32 s5, vcc_lo, s5
	s_waitcnt vmcnt(1) lgkmcnt(0)
	v_mul_f32_e32 v115, v112, v113
	v_mul_f32_e32 v113, v111, v113
	s_waitcnt vmcnt(0)
	v_fma_f32 v111, v111, v114, -v115
	v_fmac_f32_e32 v113, v112, v114
	v_add_f32_e32 v8, v8, v111
	v_add_f32_e32 v2, v2, v113
	s_andn2_b32 exec_lo, exec_lo, s5
	s_cbranch_execnz .LBB50_105
; %bb.106:
	s_or_b32 exec_lo, exec_lo, s5
	v_mov_b32_e32 v5, 0
	ds_read_b64 v[5:6], v5 offset:184
	s_waitcnt lgkmcnt(0)
	v_mul_f32_e32 v7, v2, v6
	v_mul_f32_e32 v6, v8, v6
	v_fma_f32 v7, v8, v5, -v7
	v_fmac_f32_e32 v6, v2, v5
	buffer_store_dword v7, off, s[0:3], 0 offset:184
	buffer_store_dword v6, off, s[0:3], 0 offset:188
.LBB50_107:
	s_or_b32 exec_lo, exec_lo, s4
	s_waitcnt_vscnt null, 0x0
	s_barrier
	buffer_gl0_inv
	s_clause 0x1
	buffer_load_dword v5, off, s[0:3], 0 offset:192
	buffer_load_dword v6, off, s[0:3], 0 offset:196
	s_mov_b32 s4, exec_lo
	s_waitcnt vmcnt(0)
	ds_write_b64 v4, v[5:6]
	s_waitcnt lgkmcnt(0)
	s_barrier
	buffer_gl0_inv
	v_cmpx_gt_u32_e32 24, v0
	s_cbranch_execz .LBB50_111
; %bb.108:
	v_add_nc_u32_e32 v5, -1, v0
	v_add_nc_u32_e32 v6, 0x1a0, v3
	v_mov_b32_e32 v7, v3
	v_mov_b32_e32 v2, 0
	;; [unrolled: 1-line block ×3, first 2 shown]
	s_mov_b32 s5, 0
	.p2align	6
.LBB50_109:                             ; =>This Inner Loop Header: Depth=1
	s_clause 0x1
	buffer_load_dword v113, v7, s[0:3], 0 offen offset:4
	buffer_load_dword v114, v7, s[0:3], 0 offen
	ds_read_b64 v[111:112], v6
	v_add_nc_u32_e32 v5, 1, v5
	v_add_nc_u32_e32 v6, 8, v6
	;; [unrolled: 1-line block ×3, first 2 shown]
	v_cmp_lt_u32_e32 vcc_lo, 22, v5
	s_or_b32 s5, vcc_lo, s5
	s_waitcnt vmcnt(1) lgkmcnt(0)
	v_mul_f32_e32 v115, v112, v113
	v_mul_f32_e32 v113, v111, v113
	s_waitcnt vmcnt(0)
	v_fma_f32 v111, v111, v114, -v115
	v_fmac_f32_e32 v113, v112, v114
	v_add_f32_e32 v8, v8, v111
	v_add_f32_e32 v2, v2, v113
	s_andn2_b32 exec_lo, exec_lo, s5
	s_cbranch_execnz .LBB50_109
; %bb.110:
	s_or_b32 exec_lo, exec_lo, s5
	v_mov_b32_e32 v5, 0
	ds_read_b64 v[5:6], v5 offset:192
	s_waitcnt lgkmcnt(0)
	v_mul_f32_e32 v7, v2, v6
	v_mul_f32_e32 v6, v8, v6
	v_fma_f32 v7, v8, v5, -v7
	v_fmac_f32_e32 v6, v2, v5
	buffer_store_dword v7, off, s[0:3], 0 offset:192
	buffer_store_dword v6, off, s[0:3], 0 offset:196
.LBB50_111:
	s_or_b32 exec_lo, exec_lo, s4
	s_waitcnt_vscnt null, 0x0
	s_barrier
	buffer_gl0_inv
	s_clause 0x1
	buffer_load_dword v5, off, s[0:3], 0 offset:200
	buffer_load_dword v6, off, s[0:3], 0 offset:204
	s_mov_b32 s4, exec_lo
	s_waitcnt vmcnt(0)
	ds_write_b64 v4, v[5:6]
	s_waitcnt lgkmcnt(0)
	s_barrier
	buffer_gl0_inv
	v_cmpx_gt_u32_e32 25, v0
	s_cbranch_execz .LBB50_115
; %bb.112:
	v_add_nc_u32_e32 v5, -1, v0
	v_add_nc_u32_e32 v6, 0x1a0, v3
	v_mov_b32_e32 v7, v3
	v_mov_b32_e32 v2, 0
	;; [unrolled: 1-line block ×3, first 2 shown]
	s_mov_b32 s5, 0
	.p2align	6
.LBB50_113:                             ; =>This Inner Loop Header: Depth=1
	s_clause 0x1
	buffer_load_dword v113, v7, s[0:3], 0 offen offset:4
	buffer_load_dword v114, v7, s[0:3], 0 offen
	ds_read_b64 v[111:112], v6
	v_add_nc_u32_e32 v5, 1, v5
	v_add_nc_u32_e32 v6, 8, v6
	;; [unrolled: 1-line block ×3, first 2 shown]
	v_cmp_lt_u32_e32 vcc_lo, 23, v5
	s_or_b32 s5, vcc_lo, s5
	s_waitcnt vmcnt(1) lgkmcnt(0)
	v_mul_f32_e32 v115, v112, v113
	v_mul_f32_e32 v113, v111, v113
	s_waitcnt vmcnt(0)
	v_fma_f32 v111, v111, v114, -v115
	v_fmac_f32_e32 v113, v112, v114
	v_add_f32_e32 v8, v8, v111
	v_add_f32_e32 v2, v2, v113
	s_andn2_b32 exec_lo, exec_lo, s5
	s_cbranch_execnz .LBB50_113
; %bb.114:
	s_or_b32 exec_lo, exec_lo, s5
	v_mov_b32_e32 v5, 0
	ds_read_b64 v[5:6], v5 offset:200
	s_waitcnt lgkmcnt(0)
	v_mul_f32_e32 v7, v2, v6
	v_mul_f32_e32 v6, v8, v6
	v_fma_f32 v7, v8, v5, -v7
	v_fmac_f32_e32 v6, v2, v5
	buffer_store_dword v7, off, s[0:3], 0 offset:200
	buffer_store_dword v6, off, s[0:3], 0 offset:204
.LBB50_115:
	s_or_b32 exec_lo, exec_lo, s4
	s_waitcnt_vscnt null, 0x0
	s_barrier
	buffer_gl0_inv
	s_clause 0x1
	buffer_load_dword v5, off, s[0:3], 0 offset:208
	buffer_load_dword v6, off, s[0:3], 0 offset:212
	s_mov_b32 s4, exec_lo
	s_waitcnt vmcnt(0)
	ds_write_b64 v4, v[5:6]
	s_waitcnt lgkmcnt(0)
	s_barrier
	buffer_gl0_inv
	v_cmpx_gt_u32_e32 26, v0
	s_cbranch_execz .LBB50_119
; %bb.116:
	v_add_nc_u32_e32 v5, -1, v0
	v_add_nc_u32_e32 v6, 0x1a0, v3
	v_mov_b32_e32 v7, v3
	v_mov_b32_e32 v2, 0
	;; [unrolled: 1-line block ×3, first 2 shown]
	s_mov_b32 s5, 0
	.p2align	6
.LBB50_117:                             ; =>This Inner Loop Header: Depth=1
	s_clause 0x1
	buffer_load_dword v113, v7, s[0:3], 0 offen offset:4
	buffer_load_dword v114, v7, s[0:3], 0 offen
	ds_read_b64 v[111:112], v6
	v_add_nc_u32_e32 v5, 1, v5
	v_add_nc_u32_e32 v6, 8, v6
	;; [unrolled: 1-line block ×3, first 2 shown]
	v_cmp_lt_u32_e32 vcc_lo, 24, v5
	s_or_b32 s5, vcc_lo, s5
	s_waitcnt vmcnt(1) lgkmcnt(0)
	v_mul_f32_e32 v115, v112, v113
	v_mul_f32_e32 v113, v111, v113
	s_waitcnt vmcnt(0)
	v_fma_f32 v111, v111, v114, -v115
	v_fmac_f32_e32 v113, v112, v114
	v_add_f32_e32 v8, v8, v111
	v_add_f32_e32 v2, v2, v113
	s_andn2_b32 exec_lo, exec_lo, s5
	s_cbranch_execnz .LBB50_117
; %bb.118:
	s_or_b32 exec_lo, exec_lo, s5
	v_mov_b32_e32 v5, 0
	ds_read_b64 v[5:6], v5 offset:208
	s_waitcnt lgkmcnt(0)
	v_mul_f32_e32 v7, v2, v6
	v_mul_f32_e32 v6, v8, v6
	v_fma_f32 v7, v8, v5, -v7
	v_fmac_f32_e32 v6, v2, v5
	buffer_store_dword v7, off, s[0:3], 0 offset:208
	buffer_store_dword v6, off, s[0:3], 0 offset:212
.LBB50_119:
	s_or_b32 exec_lo, exec_lo, s4
	s_waitcnt_vscnt null, 0x0
	s_barrier
	buffer_gl0_inv
	s_clause 0x1
	buffer_load_dword v5, off, s[0:3], 0 offset:216
	buffer_load_dword v6, off, s[0:3], 0 offset:220
	s_mov_b32 s4, exec_lo
	s_waitcnt vmcnt(0)
	ds_write_b64 v4, v[5:6]
	s_waitcnt lgkmcnt(0)
	s_barrier
	buffer_gl0_inv
	v_cmpx_gt_u32_e32 27, v0
	s_cbranch_execz .LBB50_123
; %bb.120:
	v_add_nc_u32_e32 v5, -1, v0
	v_add_nc_u32_e32 v6, 0x1a0, v3
	v_mov_b32_e32 v7, v3
	v_mov_b32_e32 v2, 0
	;; [unrolled: 1-line block ×3, first 2 shown]
	s_mov_b32 s5, 0
	.p2align	6
.LBB50_121:                             ; =>This Inner Loop Header: Depth=1
	s_clause 0x1
	buffer_load_dword v113, v7, s[0:3], 0 offen offset:4
	buffer_load_dword v114, v7, s[0:3], 0 offen
	ds_read_b64 v[111:112], v6
	v_add_nc_u32_e32 v5, 1, v5
	v_add_nc_u32_e32 v6, 8, v6
	;; [unrolled: 1-line block ×3, first 2 shown]
	v_cmp_lt_u32_e32 vcc_lo, 25, v5
	s_or_b32 s5, vcc_lo, s5
	s_waitcnt vmcnt(1) lgkmcnt(0)
	v_mul_f32_e32 v115, v112, v113
	v_mul_f32_e32 v113, v111, v113
	s_waitcnt vmcnt(0)
	v_fma_f32 v111, v111, v114, -v115
	v_fmac_f32_e32 v113, v112, v114
	v_add_f32_e32 v8, v8, v111
	v_add_f32_e32 v2, v2, v113
	s_andn2_b32 exec_lo, exec_lo, s5
	s_cbranch_execnz .LBB50_121
; %bb.122:
	s_or_b32 exec_lo, exec_lo, s5
	v_mov_b32_e32 v5, 0
	ds_read_b64 v[5:6], v5 offset:216
	s_waitcnt lgkmcnt(0)
	v_mul_f32_e32 v7, v2, v6
	v_mul_f32_e32 v6, v8, v6
	v_fma_f32 v7, v8, v5, -v7
	v_fmac_f32_e32 v6, v2, v5
	buffer_store_dword v7, off, s[0:3], 0 offset:216
	buffer_store_dword v6, off, s[0:3], 0 offset:220
.LBB50_123:
	s_or_b32 exec_lo, exec_lo, s4
	s_waitcnt_vscnt null, 0x0
	s_barrier
	buffer_gl0_inv
	s_clause 0x1
	buffer_load_dword v5, off, s[0:3], 0 offset:224
	buffer_load_dword v6, off, s[0:3], 0 offset:228
	s_mov_b32 s4, exec_lo
	s_waitcnt vmcnt(0)
	ds_write_b64 v4, v[5:6]
	s_waitcnt lgkmcnt(0)
	s_barrier
	buffer_gl0_inv
	v_cmpx_gt_u32_e32 28, v0
	s_cbranch_execz .LBB50_127
; %bb.124:
	v_add_nc_u32_e32 v5, -1, v0
	v_add_nc_u32_e32 v6, 0x1a0, v3
	v_mov_b32_e32 v7, v3
	v_mov_b32_e32 v2, 0
	;; [unrolled: 1-line block ×3, first 2 shown]
	s_mov_b32 s5, 0
	.p2align	6
.LBB50_125:                             ; =>This Inner Loop Header: Depth=1
	s_clause 0x1
	buffer_load_dword v113, v7, s[0:3], 0 offen offset:4
	buffer_load_dword v114, v7, s[0:3], 0 offen
	ds_read_b64 v[111:112], v6
	v_add_nc_u32_e32 v5, 1, v5
	v_add_nc_u32_e32 v6, 8, v6
	;; [unrolled: 1-line block ×3, first 2 shown]
	v_cmp_lt_u32_e32 vcc_lo, 26, v5
	s_or_b32 s5, vcc_lo, s5
	s_waitcnt vmcnt(1) lgkmcnt(0)
	v_mul_f32_e32 v115, v112, v113
	v_mul_f32_e32 v113, v111, v113
	s_waitcnt vmcnt(0)
	v_fma_f32 v111, v111, v114, -v115
	v_fmac_f32_e32 v113, v112, v114
	v_add_f32_e32 v8, v8, v111
	v_add_f32_e32 v2, v2, v113
	s_andn2_b32 exec_lo, exec_lo, s5
	s_cbranch_execnz .LBB50_125
; %bb.126:
	s_or_b32 exec_lo, exec_lo, s5
	v_mov_b32_e32 v5, 0
	ds_read_b64 v[5:6], v5 offset:224
	s_waitcnt lgkmcnt(0)
	v_mul_f32_e32 v7, v2, v6
	v_mul_f32_e32 v6, v8, v6
	v_fma_f32 v7, v8, v5, -v7
	v_fmac_f32_e32 v6, v2, v5
	buffer_store_dword v7, off, s[0:3], 0 offset:224
	buffer_store_dword v6, off, s[0:3], 0 offset:228
.LBB50_127:
	s_or_b32 exec_lo, exec_lo, s4
	s_waitcnt_vscnt null, 0x0
	s_barrier
	buffer_gl0_inv
	s_clause 0x1
	buffer_load_dword v5, off, s[0:3], 0 offset:232
	buffer_load_dword v6, off, s[0:3], 0 offset:236
	s_mov_b32 s4, exec_lo
	s_waitcnt vmcnt(0)
	ds_write_b64 v4, v[5:6]
	s_waitcnt lgkmcnt(0)
	s_barrier
	buffer_gl0_inv
	v_cmpx_gt_u32_e32 29, v0
	s_cbranch_execz .LBB50_131
; %bb.128:
	v_add_nc_u32_e32 v5, -1, v0
	v_add_nc_u32_e32 v6, 0x1a0, v3
	v_mov_b32_e32 v7, v3
	v_mov_b32_e32 v2, 0
	;; [unrolled: 1-line block ×3, first 2 shown]
	s_mov_b32 s5, 0
	.p2align	6
.LBB50_129:                             ; =>This Inner Loop Header: Depth=1
	s_clause 0x1
	buffer_load_dword v113, v7, s[0:3], 0 offen offset:4
	buffer_load_dword v114, v7, s[0:3], 0 offen
	ds_read_b64 v[111:112], v6
	v_add_nc_u32_e32 v5, 1, v5
	v_add_nc_u32_e32 v6, 8, v6
	;; [unrolled: 1-line block ×3, first 2 shown]
	v_cmp_lt_u32_e32 vcc_lo, 27, v5
	s_or_b32 s5, vcc_lo, s5
	s_waitcnt vmcnt(1) lgkmcnt(0)
	v_mul_f32_e32 v115, v112, v113
	v_mul_f32_e32 v113, v111, v113
	s_waitcnt vmcnt(0)
	v_fma_f32 v111, v111, v114, -v115
	v_fmac_f32_e32 v113, v112, v114
	v_add_f32_e32 v8, v8, v111
	v_add_f32_e32 v2, v2, v113
	s_andn2_b32 exec_lo, exec_lo, s5
	s_cbranch_execnz .LBB50_129
; %bb.130:
	s_or_b32 exec_lo, exec_lo, s5
	v_mov_b32_e32 v5, 0
	ds_read_b64 v[5:6], v5 offset:232
	s_waitcnt lgkmcnt(0)
	v_mul_f32_e32 v7, v2, v6
	v_mul_f32_e32 v6, v8, v6
	v_fma_f32 v7, v8, v5, -v7
	v_fmac_f32_e32 v6, v2, v5
	buffer_store_dword v7, off, s[0:3], 0 offset:232
	buffer_store_dword v6, off, s[0:3], 0 offset:236
.LBB50_131:
	s_or_b32 exec_lo, exec_lo, s4
	s_waitcnt_vscnt null, 0x0
	s_barrier
	buffer_gl0_inv
	s_clause 0x1
	buffer_load_dword v5, off, s[0:3], 0 offset:240
	buffer_load_dword v6, off, s[0:3], 0 offset:244
	s_mov_b32 s4, exec_lo
	s_waitcnt vmcnt(0)
	ds_write_b64 v4, v[5:6]
	s_waitcnt lgkmcnt(0)
	s_barrier
	buffer_gl0_inv
	v_cmpx_gt_u32_e32 30, v0
	s_cbranch_execz .LBB50_135
; %bb.132:
	v_add_nc_u32_e32 v5, -1, v0
	v_add_nc_u32_e32 v6, 0x1a0, v3
	v_mov_b32_e32 v7, v3
	v_mov_b32_e32 v2, 0
	;; [unrolled: 1-line block ×3, first 2 shown]
	s_mov_b32 s5, 0
	.p2align	6
.LBB50_133:                             ; =>This Inner Loop Header: Depth=1
	s_clause 0x1
	buffer_load_dword v113, v7, s[0:3], 0 offen offset:4
	buffer_load_dword v114, v7, s[0:3], 0 offen
	ds_read_b64 v[111:112], v6
	v_add_nc_u32_e32 v5, 1, v5
	v_add_nc_u32_e32 v6, 8, v6
	;; [unrolled: 1-line block ×3, first 2 shown]
	v_cmp_lt_u32_e32 vcc_lo, 28, v5
	s_or_b32 s5, vcc_lo, s5
	s_waitcnt vmcnt(1) lgkmcnt(0)
	v_mul_f32_e32 v115, v112, v113
	v_mul_f32_e32 v113, v111, v113
	s_waitcnt vmcnt(0)
	v_fma_f32 v111, v111, v114, -v115
	v_fmac_f32_e32 v113, v112, v114
	v_add_f32_e32 v8, v8, v111
	v_add_f32_e32 v2, v2, v113
	s_andn2_b32 exec_lo, exec_lo, s5
	s_cbranch_execnz .LBB50_133
; %bb.134:
	s_or_b32 exec_lo, exec_lo, s5
	v_mov_b32_e32 v5, 0
	ds_read_b64 v[5:6], v5 offset:240
	s_waitcnt lgkmcnt(0)
	v_mul_f32_e32 v7, v2, v6
	v_mul_f32_e32 v6, v8, v6
	v_fma_f32 v7, v8, v5, -v7
	v_fmac_f32_e32 v6, v2, v5
	buffer_store_dword v7, off, s[0:3], 0 offset:240
	buffer_store_dword v6, off, s[0:3], 0 offset:244
.LBB50_135:
	s_or_b32 exec_lo, exec_lo, s4
	s_waitcnt_vscnt null, 0x0
	s_barrier
	buffer_gl0_inv
	s_clause 0x1
	buffer_load_dword v5, off, s[0:3], 0 offset:248
	buffer_load_dword v6, off, s[0:3], 0 offset:252
	s_mov_b32 s4, exec_lo
	s_waitcnt vmcnt(0)
	ds_write_b64 v4, v[5:6]
	s_waitcnt lgkmcnt(0)
	s_barrier
	buffer_gl0_inv
	v_cmpx_gt_u32_e32 31, v0
	s_cbranch_execz .LBB50_139
; %bb.136:
	v_add_nc_u32_e32 v5, -1, v0
	v_add_nc_u32_e32 v6, 0x1a0, v3
	v_mov_b32_e32 v7, v3
	v_mov_b32_e32 v2, 0
	;; [unrolled: 1-line block ×3, first 2 shown]
	s_mov_b32 s5, 0
	.p2align	6
.LBB50_137:                             ; =>This Inner Loop Header: Depth=1
	s_clause 0x1
	buffer_load_dword v113, v7, s[0:3], 0 offen offset:4
	buffer_load_dword v114, v7, s[0:3], 0 offen
	ds_read_b64 v[111:112], v6
	v_add_nc_u32_e32 v5, 1, v5
	v_add_nc_u32_e32 v6, 8, v6
	;; [unrolled: 1-line block ×3, first 2 shown]
	v_cmp_lt_u32_e32 vcc_lo, 29, v5
	s_or_b32 s5, vcc_lo, s5
	s_waitcnt vmcnt(1) lgkmcnt(0)
	v_mul_f32_e32 v115, v112, v113
	v_mul_f32_e32 v113, v111, v113
	s_waitcnt vmcnt(0)
	v_fma_f32 v111, v111, v114, -v115
	v_fmac_f32_e32 v113, v112, v114
	v_add_f32_e32 v8, v8, v111
	v_add_f32_e32 v2, v2, v113
	s_andn2_b32 exec_lo, exec_lo, s5
	s_cbranch_execnz .LBB50_137
; %bb.138:
	s_or_b32 exec_lo, exec_lo, s5
	v_mov_b32_e32 v5, 0
	ds_read_b64 v[5:6], v5 offset:248
	s_waitcnt lgkmcnt(0)
	v_mul_f32_e32 v7, v2, v6
	v_mul_f32_e32 v6, v8, v6
	v_fma_f32 v7, v8, v5, -v7
	v_fmac_f32_e32 v6, v2, v5
	buffer_store_dword v7, off, s[0:3], 0 offset:248
	buffer_store_dword v6, off, s[0:3], 0 offset:252
.LBB50_139:
	s_or_b32 exec_lo, exec_lo, s4
	s_waitcnt_vscnt null, 0x0
	s_barrier
	buffer_gl0_inv
	s_clause 0x1
	buffer_load_dword v5, off, s[0:3], 0 offset:256
	buffer_load_dword v6, off, s[0:3], 0 offset:260
	s_mov_b32 s4, exec_lo
	s_waitcnt vmcnt(0)
	ds_write_b64 v4, v[5:6]
	s_waitcnt lgkmcnt(0)
	s_barrier
	buffer_gl0_inv
	v_cmpx_gt_u32_e32 32, v0
	s_cbranch_execz .LBB50_143
; %bb.140:
	v_add_nc_u32_e32 v5, -1, v0
	v_add_nc_u32_e32 v6, 0x1a0, v3
	v_mov_b32_e32 v7, v3
	v_mov_b32_e32 v2, 0
	;; [unrolled: 1-line block ×3, first 2 shown]
	s_mov_b32 s5, 0
	.p2align	6
.LBB50_141:                             ; =>This Inner Loop Header: Depth=1
	s_clause 0x1
	buffer_load_dword v113, v7, s[0:3], 0 offen offset:4
	buffer_load_dword v114, v7, s[0:3], 0 offen
	ds_read_b64 v[111:112], v6
	v_add_nc_u32_e32 v5, 1, v5
	v_add_nc_u32_e32 v6, 8, v6
	;; [unrolled: 1-line block ×3, first 2 shown]
	v_cmp_lt_u32_e32 vcc_lo, 30, v5
	s_or_b32 s5, vcc_lo, s5
	s_waitcnt vmcnt(1) lgkmcnt(0)
	v_mul_f32_e32 v115, v112, v113
	v_mul_f32_e32 v113, v111, v113
	s_waitcnt vmcnt(0)
	v_fma_f32 v111, v111, v114, -v115
	v_fmac_f32_e32 v113, v112, v114
	v_add_f32_e32 v8, v8, v111
	v_add_f32_e32 v2, v2, v113
	s_andn2_b32 exec_lo, exec_lo, s5
	s_cbranch_execnz .LBB50_141
; %bb.142:
	s_or_b32 exec_lo, exec_lo, s5
	v_mov_b32_e32 v5, 0
	ds_read_b64 v[5:6], v5 offset:256
	s_waitcnt lgkmcnt(0)
	v_mul_f32_e32 v7, v2, v6
	v_mul_f32_e32 v6, v8, v6
	v_fma_f32 v7, v8, v5, -v7
	v_fmac_f32_e32 v6, v2, v5
	buffer_store_dword v7, off, s[0:3], 0 offset:256
	buffer_store_dword v6, off, s[0:3], 0 offset:260
.LBB50_143:
	s_or_b32 exec_lo, exec_lo, s4
	s_waitcnt_vscnt null, 0x0
	s_barrier
	buffer_gl0_inv
	s_clause 0x1
	buffer_load_dword v5, off, s[0:3], 0 offset:264
	buffer_load_dword v6, off, s[0:3], 0 offset:268
	s_mov_b32 s4, exec_lo
	s_waitcnt vmcnt(0)
	ds_write_b64 v4, v[5:6]
	s_waitcnt lgkmcnt(0)
	s_barrier
	buffer_gl0_inv
	v_cmpx_gt_u32_e32 33, v0
	s_cbranch_execz .LBB50_147
; %bb.144:
	v_add_nc_u32_e32 v5, -1, v0
	v_add_nc_u32_e32 v6, 0x1a0, v3
	v_mov_b32_e32 v7, v3
	v_mov_b32_e32 v2, 0
	;; [unrolled: 1-line block ×3, first 2 shown]
	s_mov_b32 s5, 0
	.p2align	6
.LBB50_145:                             ; =>This Inner Loop Header: Depth=1
	s_clause 0x1
	buffer_load_dword v113, v7, s[0:3], 0 offen offset:4
	buffer_load_dword v114, v7, s[0:3], 0 offen
	ds_read_b64 v[111:112], v6
	v_add_nc_u32_e32 v5, 1, v5
	v_add_nc_u32_e32 v6, 8, v6
	;; [unrolled: 1-line block ×3, first 2 shown]
	v_cmp_lt_u32_e32 vcc_lo, 31, v5
	s_or_b32 s5, vcc_lo, s5
	s_waitcnt vmcnt(1) lgkmcnt(0)
	v_mul_f32_e32 v115, v112, v113
	v_mul_f32_e32 v113, v111, v113
	s_waitcnt vmcnt(0)
	v_fma_f32 v111, v111, v114, -v115
	v_fmac_f32_e32 v113, v112, v114
	v_add_f32_e32 v8, v8, v111
	v_add_f32_e32 v2, v2, v113
	s_andn2_b32 exec_lo, exec_lo, s5
	s_cbranch_execnz .LBB50_145
; %bb.146:
	s_or_b32 exec_lo, exec_lo, s5
	v_mov_b32_e32 v5, 0
	ds_read_b64 v[5:6], v5 offset:264
	s_waitcnt lgkmcnt(0)
	v_mul_f32_e32 v7, v2, v6
	v_mul_f32_e32 v6, v8, v6
	v_fma_f32 v7, v8, v5, -v7
	v_fmac_f32_e32 v6, v2, v5
	buffer_store_dword v7, off, s[0:3], 0 offset:264
	buffer_store_dword v6, off, s[0:3], 0 offset:268
.LBB50_147:
	s_or_b32 exec_lo, exec_lo, s4
	s_waitcnt_vscnt null, 0x0
	s_barrier
	buffer_gl0_inv
	s_clause 0x1
	buffer_load_dword v5, off, s[0:3], 0 offset:272
	buffer_load_dword v6, off, s[0:3], 0 offset:276
	s_mov_b32 s4, exec_lo
	s_waitcnt vmcnt(0)
	ds_write_b64 v4, v[5:6]
	s_waitcnt lgkmcnt(0)
	s_barrier
	buffer_gl0_inv
	v_cmpx_gt_u32_e32 34, v0
	s_cbranch_execz .LBB50_151
; %bb.148:
	v_add_nc_u32_e32 v5, -1, v0
	v_add_nc_u32_e32 v6, 0x1a0, v3
	v_mov_b32_e32 v7, v3
	v_mov_b32_e32 v2, 0
	;; [unrolled: 1-line block ×3, first 2 shown]
	s_mov_b32 s5, 0
	.p2align	6
.LBB50_149:                             ; =>This Inner Loop Header: Depth=1
	s_clause 0x1
	buffer_load_dword v113, v7, s[0:3], 0 offen offset:4
	buffer_load_dword v114, v7, s[0:3], 0 offen
	ds_read_b64 v[111:112], v6
	v_add_nc_u32_e32 v5, 1, v5
	v_add_nc_u32_e32 v6, 8, v6
	;; [unrolled: 1-line block ×3, first 2 shown]
	v_cmp_lt_u32_e32 vcc_lo, 32, v5
	s_or_b32 s5, vcc_lo, s5
	s_waitcnt vmcnt(1) lgkmcnt(0)
	v_mul_f32_e32 v115, v112, v113
	v_mul_f32_e32 v113, v111, v113
	s_waitcnt vmcnt(0)
	v_fma_f32 v111, v111, v114, -v115
	v_fmac_f32_e32 v113, v112, v114
	v_add_f32_e32 v8, v8, v111
	v_add_f32_e32 v2, v2, v113
	s_andn2_b32 exec_lo, exec_lo, s5
	s_cbranch_execnz .LBB50_149
; %bb.150:
	s_or_b32 exec_lo, exec_lo, s5
	v_mov_b32_e32 v5, 0
	ds_read_b64 v[5:6], v5 offset:272
	s_waitcnt lgkmcnt(0)
	v_mul_f32_e32 v7, v2, v6
	v_mul_f32_e32 v6, v8, v6
	v_fma_f32 v7, v8, v5, -v7
	v_fmac_f32_e32 v6, v2, v5
	buffer_store_dword v7, off, s[0:3], 0 offset:272
	buffer_store_dword v6, off, s[0:3], 0 offset:276
.LBB50_151:
	s_or_b32 exec_lo, exec_lo, s4
	s_waitcnt_vscnt null, 0x0
	s_barrier
	buffer_gl0_inv
	s_clause 0x1
	buffer_load_dword v5, off, s[0:3], 0 offset:280
	buffer_load_dword v6, off, s[0:3], 0 offset:284
	s_mov_b32 s4, exec_lo
	s_waitcnt vmcnt(0)
	ds_write_b64 v4, v[5:6]
	s_waitcnt lgkmcnt(0)
	s_barrier
	buffer_gl0_inv
	v_cmpx_gt_u32_e32 35, v0
	s_cbranch_execz .LBB50_155
; %bb.152:
	v_add_nc_u32_e32 v5, -1, v0
	v_add_nc_u32_e32 v6, 0x1a0, v3
	v_mov_b32_e32 v7, v3
	v_mov_b32_e32 v2, 0
	;; [unrolled: 1-line block ×3, first 2 shown]
	s_mov_b32 s5, 0
	.p2align	6
.LBB50_153:                             ; =>This Inner Loop Header: Depth=1
	s_clause 0x1
	buffer_load_dword v113, v7, s[0:3], 0 offen offset:4
	buffer_load_dword v114, v7, s[0:3], 0 offen
	ds_read_b64 v[111:112], v6
	v_add_nc_u32_e32 v5, 1, v5
	v_add_nc_u32_e32 v6, 8, v6
	;; [unrolled: 1-line block ×3, first 2 shown]
	v_cmp_lt_u32_e32 vcc_lo, 33, v5
	s_or_b32 s5, vcc_lo, s5
	s_waitcnt vmcnt(1) lgkmcnt(0)
	v_mul_f32_e32 v115, v112, v113
	v_mul_f32_e32 v113, v111, v113
	s_waitcnt vmcnt(0)
	v_fma_f32 v111, v111, v114, -v115
	v_fmac_f32_e32 v113, v112, v114
	v_add_f32_e32 v8, v8, v111
	v_add_f32_e32 v2, v2, v113
	s_andn2_b32 exec_lo, exec_lo, s5
	s_cbranch_execnz .LBB50_153
; %bb.154:
	s_or_b32 exec_lo, exec_lo, s5
	v_mov_b32_e32 v5, 0
	ds_read_b64 v[5:6], v5 offset:280
	s_waitcnt lgkmcnt(0)
	v_mul_f32_e32 v7, v2, v6
	v_mul_f32_e32 v6, v8, v6
	v_fma_f32 v7, v8, v5, -v7
	v_fmac_f32_e32 v6, v2, v5
	buffer_store_dword v7, off, s[0:3], 0 offset:280
	buffer_store_dword v6, off, s[0:3], 0 offset:284
.LBB50_155:
	s_or_b32 exec_lo, exec_lo, s4
	s_waitcnt_vscnt null, 0x0
	s_barrier
	buffer_gl0_inv
	s_clause 0x1
	buffer_load_dword v5, off, s[0:3], 0 offset:288
	buffer_load_dword v6, off, s[0:3], 0 offset:292
	s_mov_b32 s4, exec_lo
	s_waitcnt vmcnt(0)
	ds_write_b64 v4, v[5:6]
	s_waitcnt lgkmcnt(0)
	s_barrier
	buffer_gl0_inv
	v_cmpx_gt_u32_e32 36, v0
	s_cbranch_execz .LBB50_159
; %bb.156:
	v_add_nc_u32_e32 v5, -1, v0
	v_add_nc_u32_e32 v6, 0x1a0, v3
	v_mov_b32_e32 v7, v3
	v_mov_b32_e32 v2, 0
	;; [unrolled: 1-line block ×3, first 2 shown]
	s_mov_b32 s5, 0
	.p2align	6
.LBB50_157:                             ; =>This Inner Loop Header: Depth=1
	s_clause 0x1
	buffer_load_dword v113, v7, s[0:3], 0 offen offset:4
	buffer_load_dword v114, v7, s[0:3], 0 offen
	ds_read_b64 v[111:112], v6
	v_add_nc_u32_e32 v5, 1, v5
	v_add_nc_u32_e32 v6, 8, v6
	;; [unrolled: 1-line block ×3, first 2 shown]
	v_cmp_lt_u32_e32 vcc_lo, 34, v5
	s_or_b32 s5, vcc_lo, s5
	s_waitcnt vmcnt(1) lgkmcnt(0)
	v_mul_f32_e32 v115, v112, v113
	v_mul_f32_e32 v113, v111, v113
	s_waitcnt vmcnt(0)
	v_fma_f32 v111, v111, v114, -v115
	v_fmac_f32_e32 v113, v112, v114
	v_add_f32_e32 v8, v8, v111
	v_add_f32_e32 v2, v2, v113
	s_andn2_b32 exec_lo, exec_lo, s5
	s_cbranch_execnz .LBB50_157
; %bb.158:
	s_or_b32 exec_lo, exec_lo, s5
	v_mov_b32_e32 v5, 0
	ds_read_b64 v[5:6], v5 offset:288
	s_waitcnt lgkmcnt(0)
	v_mul_f32_e32 v7, v2, v6
	v_mul_f32_e32 v6, v8, v6
	v_fma_f32 v7, v8, v5, -v7
	v_fmac_f32_e32 v6, v2, v5
	buffer_store_dword v7, off, s[0:3], 0 offset:288
	buffer_store_dword v6, off, s[0:3], 0 offset:292
.LBB50_159:
	s_or_b32 exec_lo, exec_lo, s4
	s_waitcnt_vscnt null, 0x0
	s_barrier
	buffer_gl0_inv
	s_clause 0x1
	buffer_load_dword v5, off, s[0:3], 0 offset:296
	buffer_load_dword v6, off, s[0:3], 0 offset:300
	s_mov_b32 s4, exec_lo
	s_waitcnt vmcnt(0)
	ds_write_b64 v4, v[5:6]
	s_waitcnt lgkmcnt(0)
	s_barrier
	buffer_gl0_inv
	v_cmpx_gt_u32_e32 37, v0
	s_cbranch_execz .LBB50_163
; %bb.160:
	v_add_nc_u32_e32 v5, -1, v0
	v_add_nc_u32_e32 v6, 0x1a0, v3
	v_mov_b32_e32 v7, v3
	v_mov_b32_e32 v2, 0
	;; [unrolled: 1-line block ×3, first 2 shown]
	s_mov_b32 s5, 0
	.p2align	6
.LBB50_161:                             ; =>This Inner Loop Header: Depth=1
	s_clause 0x1
	buffer_load_dword v113, v7, s[0:3], 0 offen offset:4
	buffer_load_dword v114, v7, s[0:3], 0 offen
	ds_read_b64 v[111:112], v6
	v_add_nc_u32_e32 v5, 1, v5
	v_add_nc_u32_e32 v6, 8, v6
	v_add_nc_u32_e32 v7, 8, v7
	v_cmp_lt_u32_e32 vcc_lo, 35, v5
	s_or_b32 s5, vcc_lo, s5
	s_waitcnt vmcnt(1) lgkmcnt(0)
	v_mul_f32_e32 v115, v112, v113
	v_mul_f32_e32 v113, v111, v113
	s_waitcnt vmcnt(0)
	v_fma_f32 v111, v111, v114, -v115
	v_fmac_f32_e32 v113, v112, v114
	v_add_f32_e32 v8, v8, v111
	v_add_f32_e32 v2, v2, v113
	s_andn2_b32 exec_lo, exec_lo, s5
	s_cbranch_execnz .LBB50_161
; %bb.162:
	s_or_b32 exec_lo, exec_lo, s5
	v_mov_b32_e32 v5, 0
	ds_read_b64 v[5:6], v5 offset:296
	s_waitcnt lgkmcnt(0)
	v_mul_f32_e32 v7, v2, v6
	v_mul_f32_e32 v6, v8, v6
	v_fma_f32 v7, v8, v5, -v7
	v_fmac_f32_e32 v6, v2, v5
	buffer_store_dword v7, off, s[0:3], 0 offset:296
	buffer_store_dword v6, off, s[0:3], 0 offset:300
.LBB50_163:
	s_or_b32 exec_lo, exec_lo, s4
	s_waitcnt_vscnt null, 0x0
	s_barrier
	buffer_gl0_inv
	s_clause 0x1
	buffer_load_dword v5, off, s[0:3], 0 offset:304
	buffer_load_dword v6, off, s[0:3], 0 offset:308
	s_mov_b32 s4, exec_lo
	s_waitcnt vmcnt(0)
	ds_write_b64 v4, v[5:6]
	s_waitcnt lgkmcnt(0)
	s_barrier
	buffer_gl0_inv
	v_cmpx_gt_u32_e32 38, v0
	s_cbranch_execz .LBB50_167
; %bb.164:
	v_add_nc_u32_e32 v5, -1, v0
	v_add_nc_u32_e32 v6, 0x1a0, v3
	v_mov_b32_e32 v7, v3
	v_mov_b32_e32 v2, 0
	;; [unrolled: 1-line block ×3, first 2 shown]
	s_mov_b32 s5, 0
	.p2align	6
.LBB50_165:                             ; =>This Inner Loop Header: Depth=1
	s_clause 0x1
	buffer_load_dword v113, v7, s[0:3], 0 offen offset:4
	buffer_load_dword v114, v7, s[0:3], 0 offen
	ds_read_b64 v[111:112], v6
	v_add_nc_u32_e32 v5, 1, v5
	v_add_nc_u32_e32 v6, 8, v6
	;; [unrolled: 1-line block ×3, first 2 shown]
	v_cmp_lt_u32_e32 vcc_lo, 36, v5
	s_or_b32 s5, vcc_lo, s5
	s_waitcnt vmcnt(1) lgkmcnt(0)
	v_mul_f32_e32 v115, v112, v113
	v_mul_f32_e32 v113, v111, v113
	s_waitcnt vmcnt(0)
	v_fma_f32 v111, v111, v114, -v115
	v_fmac_f32_e32 v113, v112, v114
	v_add_f32_e32 v8, v8, v111
	v_add_f32_e32 v2, v2, v113
	s_andn2_b32 exec_lo, exec_lo, s5
	s_cbranch_execnz .LBB50_165
; %bb.166:
	s_or_b32 exec_lo, exec_lo, s5
	v_mov_b32_e32 v5, 0
	ds_read_b64 v[5:6], v5 offset:304
	s_waitcnt lgkmcnt(0)
	v_mul_f32_e32 v7, v2, v6
	v_mul_f32_e32 v6, v8, v6
	v_fma_f32 v7, v8, v5, -v7
	v_fmac_f32_e32 v6, v2, v5
	buffer_store_dword v7, off, s[0:3], 0 offset:304
	buffer_store_dword v6, off, s[0:3], 0 offset:308
.LBB50_167:
	s_or_b32 exec_lo, exec_lo, s4
	s_waitcnt_vscnt null, 0x0
	s_barrier
	buffer_gl0_inv
	s_clause 0x1
	buffer_load_dword v5, off, s[0:3], 0 offset:312
	buffer_load_dword v6, off, s[0:3], 0 offset:316
	s_mov_b32 s4, exec_lo
	s_waitcnt vmcnt(0)
	ds_write_b64 v4, v[5:6]
	s_waitcnt lgkmcnt(0)
	s_barrier
	buffer_gl0_inv
	v_cmpx_gt_u32_e32 39, v0
	s_cbranch_execz .LBB50_171
; %bb.168:
	v_add_nc_u32_e32 v5, -1, v0
	v_add_nc_u32_e32 v6, 0x1a0, v3
	v_mov_b32_e32 v7, v3
	v_mov_b32_e32 v2, 0
	;; [unrolled: 1-line block ×3, first 2 shown]
	s_mov_b32 s5, 0
	.p2align	6
.LBB50_169:                             ; =>This Inner Loop Header: Depth=1
	s_clause 0x1
	buffer_load_dword v113, v7, s[0:3], 0 offen offset:4
	buffer_load_dword v114, v7, s[0:3], 0 offen
	ds_read_b64 v[111:112], v6
	v_add_nc_u32_e32 v5, 1, v5
	v_add_nc_u32_e32 v6, 8, v6
	;; [unrolled: 1-line block ×3, first 2 shown]
	v_cmp_lt_u32_e32 vcc_lo, 37, v5
	s_or_b32 s5, vcc_lo, s5
	s_waitcnt vmcnt(1) lgkmcnt(0)
	v_mul_f32_e32 v115, v112, v113
	v_mul_f32_e32 v113, v111, v113
	s_waitcnt vmcnt(0)
	v_fma_f32 v111, v111, v114, -v115
	v_fmac_f32_e32 v113, v112, v114
	v_add_f32_e32 v8, v8, v111
	v_add_f32_e32 v2, v2, v113
	s_andn2_b32 exec_lo, exec_lo, s5
	s_cbranch_execnz .LBB50_169
; %bb.170:
	s_or_b32 exec_lo, exec_lo, s5
	v_mov_b32_e32 v5, 0
	ds_read_b64 v[5:6], v5 offset:312
	s_waitcnt lgkmcnt(0)
	v_mul_f32_e32 v7, v2, v6
	v_mul_f32_e32 v6, v8, v6
	v_fma_f32 v7, v8, v5, -v7
	v_fmac_f32_e32 v6, v2, v5
	buffer_store_dword v7, off, s[0:3], 0 offset:312
	buffer_store_dword v6, off, s[0:3], 0 offset:316
.LBB50_171:
	s_or_b32 exec_lo, exec_lo, s4
	s_waitcnt_vscnt null, 0x0
	s_barrier
	buffer_gl0_inv
	s_clause 0x1
	buffer_load_dword v5, off, s[0:3], 0 offset:320
	buffer_load_dword v6, off, s[0:3], 0 offset:324
	s_mov_b32 s4, exec_lo
	s_waitcnt vmcnt(0)
	ds_write_b64 v4, v[5:6]
	s_waitcnt lgkmcnt(0)
	s_barrier
	buffer_gl0_inv
	v_cmpx_gt_u32_e32 40, v0
	s_cbranch_execz .LBB50_175
; %bb.172:
	v_add_nc_u32_e32 v5, -1, v0
	v_add_nc_u32_e32 v6, 0x1a0, v3
	v_mov_b32_e32 v7, v3
	v_mov_b32_e32 v2, 0
	;; [unrolled: 1-line block ×3, first 2 shown]
	s_mov_b32 s5, 0
	.p2align	6
.LBB50_173:                             ; =>This Inner Loop Header: Depth=1
	s_clause 0x1
	buffer_load_dword v113, v7, s[0:3], 0 offen offset:4
	buffer_load_dword v114, v7, s[0:3], 0 offen
	ds_read_b64 v[111:112], v6
	v_add_nc_u32_e32 v5, 1, v5
	v_add_nc_u32_e32 v6, 8, v6
	;; [unrolled: 1-line block ×3, first 2 shown]
	v_cmp_lt_u32_e32 vcc_lo, 38, v5
	s_or_b32 s5, vcc_lo, s5
	s_waitcnt vmcnt(1) lgkmcnt(0)
	v_mul_f32_e32 v115, v112, v113
	v_mul_f32_e32 v113, v111, v113
	s_waitcnt vmcnt(0)
	v_fma_f32 v111, v111, v114, -v115
	v_fmac_f32_e32 v113, v112, v114
	v_add_f32_e32 v8, v8, v111
	v_add_f32_e32 v2, v2, v113
	s_andn2_b32 exec_lo, exec_lo, s5
	s_cbranch_execnz .LBB50_173
; %bb.174:
	s_or_b32 exec_lo, exec_lo, s5
	v_mov_b32_e32 v5, 0
	ds_read_b64 v[5:6], v5 offset:320
	s_waitcnt lgkmcnt(0)
	v_mul_f32_e32 v7, v2, v6
	v_mul_f32_e32 v6, v8, v6
	v_fma_f32 v7, v8, v5, -v7
	v_fmac_f32_e32 v6, v2, v5
	buffer_store_dword v7, off, s[0:3], 0 offset:320
	buffer_store_dword v6, off, s[0:3], 0 offset:324
.LBB50_175:
	s_or_b32 exec_lo, exec_lo, s4
	s_waitcnt_vscnt null, 0x0
	s_barrier
	buffer_gl0_inv
	s_clause 0x1
	buffer_load_dword v5, off, s[0:3], 0 offset:328
	buffer_load_dword v6, off, s[0:3], 0 offset:332
	s_mov_b32 s4, exec_lo
	s_waitcnt vmcnt(0)
	ds_write_b64 v4, v[5:6]
	s_waitcnt lgkmcnt(0)
	s_barrier
	buffer_gl0_inv
	v_cmpx_gt_u32_e32 41, v0
	s_cbranch_execz .LBB50_179
; %bb.176:
	v_add_nc_u32_e32 v5, -1, v0
	v_add_nc_u32_e32 v6, 0x1a0, v3
	v_mov_b32_e32 v7, v3
	v_mov_b32_e32 v2, 0
	;; [unrolled: 1-line block ×3, first 2 shown]
	s_mov_b32 s5, 0
	.p2align	6
.LBB50_177:                             ; =>This Inner Loop Header: Depth=1
	s_clause 0x1
	buffer_load_dword v113, v7, s[0:3], 0 offen offset:4
	buffer_load_dword v114, v7, s[0:3], 0 offen
	ds_read_b64 v[111:112], v6
	v_add_nc_u32_e32 v5, 1, v5
	v_add_nc_u32_e32 v6, 8, v6
	;; [unrolled: 1-line block ×3, first 2 shown]
	v_cmp_lt_u32_e32 vcc_lo, 39, v5
	s_or_b32 s5, vcc_lo, s5
	s_waitcnt vmcnt(1) lgkmcnt(0)
	v_mul_f32_e32 v115, v112, v113
	v_mul_f32_e32 v113, v111, v113
	s_waitcnt vmcnt(0)
	v_fma_f32 v111, v111, v114, -v115
	v_fmac_f32_e32 v113, v112, v114
	v_add_f32_e32 v8, v8, v111
	v_add_f32_e32 v2, v2, v113
	s_andn2_b32 exec_lo, exec_lo, s5
	s_cbranch_execnz .LBB50_177
; %bb.178:
	s_or_b32 exec_lo, exec_lo, s5
	v_mov_b32_e32 v5, 0
	ds_read_b64 v[5:6], v5 offset:328
	s_waitcnt lgkmcnt(0)
	v_mul_f32_e32 v7, v2, v6
	v_mul_f32_e32 v6, v8, v6
	v_fma_f32 v7, v8, v5, -v7
	v_fmac_f32_e32 v6, v2, v5
	buffer_store_dword v7, off, s[0:3], 0 offset:328
	buffer_store_dword v6, off, s[0:3], 0 offset:332
.LBB50_179:
	s_or_b32 exec_lo, exec_lo, s4
	s_waitcnt_vscnt null, 0x0
	s_barrier
	buffer_gl0_inv
	s_clause 0x1
	buffer_load_dword v5, off, s[0:3], 0 offset:336
	buffer_load_dword v6, off, s[0:3], 0 offset:340
	s_mov_b32 s4, exec_lo
	s_waitcnt vmcnt(0)
	ds_write_b64 v4, v[5:6]
	s_waitcnt lgkmcnt(0)
	s_barrier
	buffer_gl0_inv
	v_cmpx_gt_u32_e32 42, v0
	s_cbranch_execz .LBB50_183
; %bb.180:
	v_add_nc_u32_e32 v5, -1, v0
	v_add_nc_u32_e32 v6, 0x1a0, v3
	v_mov_b32_e32 v7, v3
	v_mov_b32_e32 v2, 0
	;; [unrolled: 1-line block ×3, first 2 shown]
	s_mov_b32 s5, 0
	.p2align	6
.LBB50_181:                             ; =>This Inner Loop Header: Depth=1
	s_clause 0x1
	buffer_load_dword v113, v7, s[0:3], 0 offen offset:4
	buffer_load_dword v114, v7, s[0:3], 0 offen
	ds_read_b64 v[111:112], v6
	v_add_nc_u32_e32 v5, 1, v5
	v_add_nc_u32_e32 v6, 8, v6
	;; [unrolled: 1-line block ×3, first 2 shown]
	v_cmp_lt_u32_e32 vcc_lo, 40, v5
	s_or_b32 s5, vcc_lo, s5
	s_waitcnt vmcnt(1) lgkmcnt(0)
	v_mul_f32_e32 v115, v112, v113
	v_mul_f32_e32 v113, v111, v113
	s_waitcnt vmcnt(0)
	v_fma_f32 v111, v111, v114, -v115
	v_fmac_f32_e32 v113, v112, v114
	v_add_f32_e32 v8, v8, v111
	v_add_f32_e32 v2, v2, v113
	s_andn2_b32 exec_lo, exec_lo, s5
	s_cbranch_execnz .LBB50_181
; %bb.182:
	s_or_b32 exec_lo, exec_lo, s5
	v_mov_b32_e32 v5, 0
	ds_read_b64 v[5:6], v5 offset:336
	s_waitcnt lgkmcnt(0)
	v_mul_f32_e32 v7, v2, v6
	v_mul_f32_e32 v6, v8, v6
	v_fma_f32 v7, v8, v5, -v7
	v_fmac_f32_e32 v6, v2, v5
	buffer_store_dword v7, off, s[0:3], 0 offset:336
	buffer_store_dword v6, off, s[0:3], 0 offset:340
.LBB50_183:
	s_or_b32 exec_lo, exec_lo, s4
	s_waitcnt_vscnt null, 0x0
	s_barrier
	buffer_gl0_inv
	s_clause 0x1
	buffer_load_dword v5, off, s[0:3], 0 offset:344
	buffer_load_dword v6, off, s[0:3], 0 offset:348
	s_mov_b32 s4, exec_lo
	s_waitcnt vmcnt(0)
	ds_write_b64 v4, v[5:6]
	s_waitcnt lgkmcnt(0)
	s_barrier
	buffer_gl0_inv
	v_cmpx_gt_u32_e32 43, v0
	s_cbranch_execz .LBB50_187
; %bb.184:
	v_add_nc_u32_e32 v5, -1, v0
	v_add_nc_u32_e32 v6, 0x1a0, v3
	v_mov_b32_e32 v7, v3
	v_mov_b32_e32 v2, 0
	;; [unrolled: 1-line block ×3, first 2 shown]
	s_mov_b32 s5, 0
	.p2align	6
.LBB50_185:                             ; =>This Inner Loop Header: Depth=1
	s_clause 0x1
	buffer_load_dword v113, v7, s[0:3], 0 offen offset:4
	buffer_load_dword v114, v7, s[0:3], 0 offen
	ds_read_b64 v[111:112], v6
	v_add_nc_u32_e32 v5, 1, v5
	v_add_nc_u32_e32 v6, 8, v6
	;; [unrolled: 1-line block ×3, first 2 shown]
	v_cmp_lt_u32_e32 vcc_lo, 41, v5
	s_or_b32 s5, vcc_lo, s5
	s_waitcnt vmcnt(1) lgkmcnt(0)
	v_mul_f32_e32 v115, v112, v113
	v_mul_f32_e32 v113, v111, v113
	s_waitcnt vmcnt(0)
	v_fma_f32 v111, v111, v114, -v115
	v_fmac_f32_e32 v113, v112, v114
	v_add_f32_e32 v8, v8, v111
	v_add_f32_e32 v2, v2, v113
	s_andn2_b32 exec_lo, exec_lo, s5
	s_cbranch_execnz .LBB50_185
; %bb.186:
	s_or_b32 exec_lo, exec_lo, s5
	v_mov_b32_e32 v5, 0
	ds_read_b64 v[5:6], v5 offset:344
	s_waitcnt lgkmcnt(0)
	v_mul_f32_e32 v7, v2, v6
	v_mul_f32_e32 v6, v8, v6
	v_fma_f32 v7, v8, v5, -v7
	v_fmac_f32_e32 v6, v2, v5
	buffer_store_dword v7, off, s[0:3], 0 offset:344
	buffer_store_dword v6, off, s[0:3], 0 offset:348
.LBB50_187:
	s_or_b32 exec_lo, exec_lo, s4
	s_waitcnt_vscnt null, 0x0
	s_barrier
	buffer_gl0_inv
	s_clause 0x1
	buffer_load_dword v5, off, s[0:3], 0 offset:352
	buffer_load_dword v6, off, s[0:3], 0 offset:356
	s_mov_b32 s4, exec_lo
	s_waitcnt vmcnt(0)
	ds_write_b64 v4, v[5:6]
	s_waitcnt lgkmcnt(0)
	s_barrier
	buffer_gl0_inv
	v_cmpx_gt_u32_e32 44, v0
	s_cbranch_execz .LBB50_191
; %bb.188:
	v_add_nc_u32_e32 v5, -1, v0
	v_add_nc_u32_e32 v6, 0x1a0, v3
	v_mov_b32_e32 v7, v3
	v_mov_b32_e32 v2, 0
	;; [unrolled: 1-line block ×3, first 2 shown]
	s_mov_b32 s5, 0
	.p2align	6
.LBB50_189:                             ; =>This Inner Loop Header: Depth=1
	s_clause 0x1
	buffer_load_dword v113, v7, s[0:3], 0 offen offset:4
	buffer_load_dword v114, v7, s[0:3], 0 offen
	ds_read_b64 v[111:112], v6
	v_add_nc_u32_e32 v5, 1, v5
	v_add_nc_u32_e32 v6, 8, v6
	;; [unrolled: 1-line block ×3, first 2 shown]
	v_cmp_lt_u32_e32 vcc_lo, 42, v5
	s_or_b32 s5, vcc_lo, s5
	s_waitcnt vmcnt(1) lgkmcnt(0)
	v_mul_f32_e32 v115, v112, v113
	v_mul_f32_e32 v113, v111, v113
	s_waitcnt vmcnt(0)
	v_fma_f32 v111, v111, v114, -v115
	v_fmac_f32_e32 v113, v112, v114
	v_add_f32_e32 v8, v8, v111
	v_add_f32_e32 v2, v2, v113
	s_andn2_b32 exec_lo, exec_lo, s5
	s_cbranch_execnz .LBB50_189
; %bb.190:
	s_or_b32 exec_lo, exec_lo, s5
	v_mov_b32_e32 v5, 0
	ds_read_b64 v[5:6], v5 offset:352
	s_waitcnt lgkmcnt(0)
	v_mul_f32_e32 v7, v2, v6
	v_mul_f32_e32 v6, v8, v6
	v_fma_f32 v7, v8, v5, -v7
	v_fmac_f32_e32 v6, v2, v5
	buffer_store_dword v7, off, s[0:3], 0 offset:352
	buffer_store_dword v6, off, s[0:3], 0 offset:356
.LBB50_191:
	s_or_b32 exec_lo, exec_lo, s4
	s_waitcnt_vscnt null, 0x0
	s_barrier
	buffer_gl0_inv
	s_clause 0x1
	buffer_load_dword v5, off, s[0:3], 0 offset:360
	buffer_load_dword v6, off, s[0:3], 0 offset:364
	s_mov_b32 s4, exec_lo
	s_waitcnt vmcnt(0)
	ds_write_b64 v4, v[5:6]
	s_waitcnt lgkmcnt(0)
	s_barrier
	buffer_gl0_inv
	v_cmpx_gt_u32_e32 45, v0
	s_cbranch_execz .LBB50_195
; %bb.192:
	v_add_nc_u32_e32 v5, -1, v0
	v_add_nc_u32_e32 v6, 0x1a0, v3
	v_mov_b32_e32 v7, v3
	v_mov_b32_e32 v2, 0
	;; [unrolled: 1-line block ×3, first 2 shown]
	s_mov_b32 s5, 0
	.p2align	6
.LBB50_193:                             ; =>This Inner Loop Header: Depth=1
	s_clause 0x1
	buffer_load_dword v113, v7, s[0:3], 0 offen offset:4
	buffer_load_dword v114, v7, s[0:3], 0 offen
	ds_read_b64 v[111:112], v6
	v_add_nc_u32_e32 v5, 1, v5
	v_add_nc_u32_e32 v6, 8, v6
	;; [unrolled: 1-line block ×3, first 2 shown]
	v_cmp_lt_u32_e32 vcc_lo, 43, v5
	s_or_b32 s5, vcc_lo, s5
	s_waitcnt vmcnt(1) lgkmcnt(0)
	v_mul_f32_e32 v115, v112, v113
	v_mul_f32_e32 v113, v111, v113
	s_waitcnt vmcnt(0)
	v_fma_f32 v111, v111, v114, -v115
	v_fmac_f32_e32 v113, v112, v114
	v_add_f32_e32 v8, v8, v111
	v_add_f32_e32 v2, v2, v113
	s_andn2_b32 exec_lo, exec_lo, s5
	s_cbranch_execnz .LBB50_193
; %bb.194:
	s_or_b32 exec_lo, exec_lo, s5
	v_mov_b32_e32 v5, 0
	ds_read_b64 v[5:6], v5 offset:360
	s_waitcnt lgkmcnt(0)
	v_mul_f32_e32 v7, v2, v6
	v_mul_f32_e32 v6, v8, v6
	v_fma_f32 v7, v8, v5, -v7
	v_fmac_f32_e32 v6, v2, v5
	buffer_store_dword v7, off, s[0:3], 0 offset:360
	buffer_store_dword v6, off, s[0:3], 0 offset:364
.LBB50_195:
	s_or_b32 exec_lo, exec_lo, s4
	s_waitcnt_vscnt null, 0x0
	s_barrier
	buffer_gl0_inv
	s_clause 0x1
	buffer_load_dword v5, off, s[0:3], 0 offset:368
	buffer_load_dword v6, off, s[0:3], 0 offset:372
	s_mov_b32 s4, exec_lo
	s_waitcnt vmcnt(0)
	ds_write_b64 v4, v[5:6]
	s_waitcnt lgkmcnt(0)
	s_barrier
	buffer_gl0_inv
	v_cmpx_gt_u32_e32 46, v0
	s_cbranch_execz .LBB50_199
; %bb.196:
	v_add_nc_u32_e32 v5, -1, v0
	v_add_nc_u32_e32 v6, 0x1a0, v3
	v_mov_b32_e32 v7, v3
	v_mov_b32_e32 v2, 0
	;; [unrolled: 1-line block ×3, first 2 shown]
	s_mov_b32 s5, 0
	.p2align	6
.LBB50_197:                             ; =>This Inner Loop Header: Depth=1
	s_clause 0x1
	buffer_load_dword v113, v7, s[0:3], 0 offen offset:4
	buffer_load_dword v114, v7, s[0:3], 0 offen
	ds_read_b64 v[111:112], v6
	v_add_nc_u32_e32 v5, 1, v5
	v_add_nc_u32_e32 v6, 8, v6
	;; [unrolled: 1-line block ×3, first 2 shown]
	v_cmp_lt_u32_e32 vcc_lo, 44, v5
	s_or_b32 s5, vcc_lo, s5
	s_waitcnt vmcnt(1) lgkmcnt(0)
	v_mul_f32_e32 v115, v112, v113
	v_mul_f32_e32 v113, v111, v113
	s_waitcnt vmcnt(0)
	v_fma_f32 v111, v111, v114, -v115
	v_fmac_f32_e32 v113, v112, v114
	v_add_f32_e32 v8, v8, v111
	v_add_f32_e32 v2, v2, v113
	s_andn2_b32 exec_lo, exec_lo, s5
	s_cbranch_execnz .LBB50_197
; %bb.198:
	s_or_b32 exec_lo, exec_lo, s5
	v_mov_b32_e32 v5, 0
	ds_read_b64 v[5:6], v5 offset:368
	s_waitcnt lgkmcnt(0)
	v_mul_f32_e32 v7, v2, v6
	v_mul_f32_e32 v6, v8, v6
	v_fma_f32 v7, v8, v5, -v7
	v_fmac_f32_e32 v6, v2, v5
	buffer_store_dword v7, off, s[0:3], 0 offset:368
	buffer_store_dword v6, off, s[0:3], 0 offset:372
.LBB50_199:
	s_or_b32 exec_lo, exec_lo, s4
	s_waitcnt_vscnt null, 0x0
	s_barrier
	buffer_gl0_inv
	s_clause 0x1
	buffer_load_dword v5, off, s[0:3], 0 offset:376
	buffer_load_dword v6, off, s[0:3], 0 offset:380
	s_mov_b32 s4, exec_lo
	s_waitcnt vmcnt(0)
	ds_write_b64 v4, v[5:6]
	s_waitcnt lgkmcnt(0)
	s_barrier
	buffer_gl0_inv
	v_cmpx_gt_u32_e32 47, v0
	s_cbranch_execz .LBB50_203
; %bb.200:
	v_add_nc_u32_e32 v5, -1, v0
	v_add_nc_u32_e32 v6, 0x1a0, v3
	v_mov_b32_e32 v7, v3
	v_mov_b32_e32 v2, 0
	;; [unrolled: 1-line block ×3, first 2 shown]
	s_mov_b32 s5, 0
	.p2align	6
.LBB50_201:                             ; =>This Inner Loop Header: Depth=1
	s_clause 0x1
	buffer_load_dword v113, v7, s[0:3], 0 offen offset:4
	buffer_load_dword v114, v7, s[0:3], 0 offen
	ds_read_b64 v[111:112], v6
	v_add_nc_u32_e32 v5, 1, v5
	v_add_nc_u32_e32 v6, 8, v6
	;; [unrolled: 1-line block ×3, first 2 shown]
	v_cmp_lt_u32_e32 vcc_lo, 45, v5
	s_or_b32 s5, vcc_lo, s5
	s_waitcnt vmcnt(1) lgkmcnt(0)
	v_mul_f32_e32 v115, v112, v113
	v_mul_f32_e32 v113, v111, v113
	s_waitcnt vmcnt(0)
	v_fma_f32 v111, v111, v114, -v115
	v_fmac_f32_e32 v113, v112, v114
	v_add_f32_e32 v8, v8, v111
	v_add_f32_e32 v2, v2, v113
	s_andn2_b32 exec_lo, exec_lo, s5
	s_cbranch_execnz .LBB50_201
; %bb.202:
	s_or_b32 exec_lo, exec_lo, s5
	v_mov_b32_e32 v5, 0
	ds_read_b64 v[5:6], v5 offset:376
	s_waitcnt lgkmcnt(0)
	v_mul_f32_e32 v7, v2, v6
	v_mul_f32_e32 v6, v8, v6
	v_fma_f32 v7, v8, v5, -v7
	v_fmac_f32_e32 v6, v2, v5
	buffer_store_dword v7, off, s[0:3], 0 offset:376
	buffer_store_dword v6, off, s[0:3], 0 offset:380
.LBB50_203:
	s_or_b32 exec_lo, exec_lo, s4
	s_waitcnt_vscnt null, 0x0
	s_barrier
	buffer_gl0_inv
	s_clause 0x1
	buffer_load_dword v5, off, s[0:3], 0 offset:384
	buffer_load_dword v6, off, s[0:3], 0 offset:388
	s_mov_b32 s4, exec_lo
	s_waitcnt vmcnt(0)
	ds_write_b64 v4, v[5:6]
	s_waitcnt lgkmcnt(0)
	s_barrier
	buffer_gl0_inv
	v_cmpx_gt_u32_e32 48, v0
	s_cbranch_execz .LBB50_207
; %bb.204:
	v_add_nc_u32_e32 v5, -1, v0
	v_add_nc_u32_e32 v6, 0x1a0, v3
	v_mov_b32_e32 v7, v3
	v_mov_b32_e32 v2, 0
	;; [unrolled: 1-line block ×3, first 2 shown]
	s_mov_b32 s5, 0
	.p2align	6
.LBB50_205:                             ; =>This Inner Loop Header: Depth=1
	s_clause 0x1
	buffer_load_dword v113, v7, s[0:3], 0 offen offset:4
	buffer_load_dword v114, v7, s[0:3], 0 offen
	ds_read_b64 v[111:112], v6
	v_add_nc_u32_e32 v5, 1, v5
	v_add_nc_u32_e32 v6, 8, v6
	;; [unrolled: 1-line block ×3, first 2 shown]
	v_cmp_lt_u32_e32 vcc_lo, 46, v5
	s_or_b32 s5, vcc_lo, s5
	s_waitcnt vmcnt(1) lgkmcnt(0)
	v_mul_f32_e32 v115, v112, v113
	v_mul_f32_e32 v113, v111, v113
	s_waitcnt vmcnt(0)
	v_fma_f32 v111, v111, v114, -v115
	v_fmac_f32_e32 v113, v112, v114
	v_add_f32_e32 v8, v8, v111
	v_add_f32_e32 v2, v2, v113
	s_andn2_b32 exec_lo, exec_lo, s5
	s_cbranch_execnz .LBB50_205
; %bb.206:
	s_or_b32 exec_lo, exec_lo, s5
	v_mov_b32_e32 v5, 0
	ds_read_b64 v[5:6], v5 offset:384
	s_waitcnt lgkmcnt(0)
	v_mul_f32_e32 v7, v2, v6
	v_mul_f32_e32 v6, v8, v6
	v_fma_f32 v7, v8, v5, -v7
	v_fmac_f32_e32 v6, v2, v5
	buffer_store_dword v7, off, s[0:3], 0 offset:384
	buffer_store_dword v6, off, s[0:3], 0 offset:388
.LBB50_207:
	s_or_b32 exec_lo, exec_lo, s4
	s_waitcnt_vscnt null, 0x0
	s_barrier
	buffer_gl0_inv
	s_clause 0x1
	buffer_load_dword v5, off, s[0:3], 0 offset:392
	buffer_load_dword v6, off, s[0:3], 0 offset:396
	s_mov_b32 s4, exec_lo
	s_waitcnt vmcnt(0)
	ds_write_b64 v4, v[5:6]
	s_waitcnt lgkmcnt(0)
	s_barrier
	buffer_gl0_inv
	v_cmpx_gt_u32_e32 49, v0
	s_cbranch_execz .LBB50_211
; %bb.208:
	v_add_nc_u32_e32 v5, -1, v0
	v_add_nc_u32_e32 v6, 0x1a0, v3
	v_mov_b32_e32 v7, v3
	v_mov_b32_e32 v2, 0
	;; [unrolled: 1-line block ×3, first 2 shown]
	s_mov_b32 s5, 0
	.p2align	6
.LBB50_209:                             ; =>This Inner Loop Header: Depth=1
	s_clause 0x1
	buffer_load_dword v113, v7, s[0:3], 0 offen offset:4
	buffer_load_dword v114, v7, s[0:3], 0 offen
	ds_read_b64 v[111:112], v6
	v_add_nc_u32_e32 v5, 1, v5
	v_add_nc_u32_e32 v6, 8, v6
	;; [unrolled: 1-line block ×3, first 2 shown]
	v_cmp_lt_u32_e32 vcc_lo, 47, v5
	s_or_b32 s5, vcc_lo, s5
	s_waitcnt vmcnt(1) lgkmcnt(0)
	v_mul_f32_e32 v115, v112, v113
	v_mul_f32_e32 v113, v111, v113
	s_waitcnt vmcnt(0)
	v_fma_f32 v111, v111, v114, -v115
	v_fmac_f32_e32 v113, v112, v114
	v_add_f32_e32 v8, v8, v111
	v_add_f32_e32 v2, v2, v113
	s_andn2_b32 exec_lo, exec_lo, s5
	s_cbranch_execnz .LBB50_209
; %bb.210:
	s_or_b32 exec_lo, exec_lo, s5
	v_mov_b32_e32 v5, 0
	ds_read_b64 v[5:6], v5 offset:392
	s_waitcnt lgkmcnt(0)
	v_mul_f32_e32 v7, v2, v6
	v_mul_f32_e32 v6, v8, v6
	v_fma_f32 v7, v8, v5, -v7
	v_fmac_f32_e32 v6, v2, v5
	buffer_store_dword v7, off, s[0:3], 0 offset:392
	buffer_store_dword v6, off, s[0:3], 0 offset:396
.LBB50_211:
	s_or_b32 exec_lo, exec_lo, s4
	s_waitcnt_vscnt null, 0x0
	s_barrier
	buffer_gl0_inv
	s_clause 0x1
	buffer_load_dword v5, off, s[0:3], 0 offset:400
	buffer_load_dword v6, off, s[0:3], 0 offset:404
	s_mov_b32 s4, exec_lo
	s_waitcnt vmcnt(0)
	ds_write_b64 v4, v[5:6]
	s_waitcnt lgkmcnt(0)
	s_barrier
	buffer_gl0_inv
	v_cmpx_ne_u32_e32 50, v0
	s_cbranch_execz .LBB50_215
; %bb.212:
	v_mov_b32_e32 v2, 0
	v_mov_b32_e32 v5, 0
	s_mov_b32 s5, 0
	.p2align	6
.LBB50_213:                             ; =>This Inner Loop Header: Depth=1
	s_clause 0x1
	buffer_load_dword v8, v3, s[0:3], 0 offen offset:4
	buffer_load_dword v111, v3, s[0:3], 0 offen
	ds_read_b64 v[6:7], v4
	v_add_nc_u32_e32 v1, 1, v1
	v_add_nc_u32_e32 v4, 8, v4
	;; [unrolled: 1-line block ×3, first 2 shown]
	v_cmp_lt_u32_e32 vcc_lo, 48, v1
	s_or_b32 s5, vcc_lo, s5
	s_waitcnt vmcnt(1) lgkmcnt(0)
	v_mul_f32_e32 v112, v7, v8
	v_mul_f32_e32 v8, v6, v8
	s_waitcnt vmcnt(0)
	v_fma_f32 v6, v6, v111, -v112
	v_fmac_f32_e32 v8, v7, v111
	v_add_f32_e32 v5, v5, v6
	v_add_f32_e32 v2, v2, v8
	s_andn2_b32 exec_lo, exec_lo, s5
	s_cbranch_execnz .LBB50_213
; %bb.214:
	s_or_b32 exec_lo, exec_lo, s5
	v_mov_b32_e32 v1, 0
	ds_read_b64 v[3:4], v1 offset:400
	s_waitcnt lgkmcnt(0)
	v_mul_f32_e32 v1, v2, v4
	v_mul_f32_e32 v4, v5, v4
	v_fma_f32 v1, v5, v3, -v1
	v_fmac_f32_e32 v4, v2, v3
	buffer_store_dword v1, off, s[0:3], 0 offset:400
	buffer_store_dword v4, off, s[0:3], 0 offset:404
.LBB50_215:
	s_or_b32 exec_lo, exec_lo, s4
	s_mov_b32 s5, -1
	s_waitcnt_vscnt null, 0x0
	s_barrier
	buffer_gl0_inv
.LBB50_216:
	s_and_b32 vcc_lo, exec_lo, s5
	s_cbranch_vccz .LBB50_218
; %bb.217:
	s_lshl_b64 s[4:5], s[6:7], 2
	v_mov_b32_e32 v1, 0
	s_add_u32 s4, s10, s4
	s_addc_u32 s5, s11, s5
	global_load_dword v1, v1, s[4:5]
	s_waitcnt vmcnt(0)
	v_cmp_ne_u32_e32 vcc_lo, 0, v1
	s_cbranch_vccz .LBB50_219
.LBB50_218:
	s_endpgm
.LBB50_219:
	v_lshl_add_u32 v111, v0, 3, 0x1a0
	s_mov_b32 s4, exec_lo
	v_cmpx_eq_u32_e32 50, v0
	s_cbranch_execz .LBB50_221
; %bb.220:
	s_clause 0x1
	buffer_load_dword v1, off, s[0:3], 0 offset:392
	buffer_load_dword v2, off, s[0:3], 0 offset:396
	v_mov_b32_e32 v3, 0
	buffer_store_dword v3, off, s[0:3], 0 offset:392
	buffer_store_dword v3, off, s[0:3], 0 offset:396
	s_waitcnt vmcnt(0)
	ds_write_b64 v111, v[1:2]
.LBB50_221:
	s_or_b32 exec_lo, exec_lo, s4
	s_waitcnt lgkmcnt(0)
	s_waitcnt_vscnt null, 0x0
	s_barrier
	buffer_gl0_inv
	s_clause 0x3
	buffer_load_dword v4, off, s[0:3], 0 offset:404
	buffer_load_dword v5, off, s[0:3], 0 offset:400
	;; [unrolled: 1-line block ×4, first 2 shown]
	v_mov_b32_e32 v1, 0
	s_mov_b32 s4, exec_lo
	ds_read_b64 v[2:3], v1 offset:816
	s_waitcnt vmcnt(3) lgkmcnt(0)
	v_mul_f32_e32 v8, v3, v4
	v_mul_f32_e32 v4, v2, v4
	s_waitcnt vmcnt(2)
	v_fma_f32 v2, v2, v5, -v8
	v_fmac_f32_e32 v4, v3, v5
	v_add_f32_e32 v2, 0, v2
	v_add_f32_e32 v3, 0, v4
	s_waitcnt vmcnt(1)
	v_sub_f32_e32 v2, v6, v2
	s_waitcnt vmcnt(0)
	v_sub_f32_e32 v3, v7, v3
	buffer_store_dword v2, off, s[0:3], 0 offset:392
	buffer_store_dword v3, off, s[0:3], 0 offset:396
	v_cmpx_lt_u32_e32 48, v0
	s_cbranch_execz .LBB50_223
; %bb.222:
	s_clause 0x1
	buffer_load_dword v2, off, s[0:3], 0 offset:384
	buffer_load_dword v3, off, s[0:3], 0 offset:388
	buffer_store_dword v1, off, s[0:3], 0 offset:384
	buffer_store_dword v1, off, s[0:3], 0 offset:388
	s_waitcnt vmcnt(0)
	ds_write_b64 v111, v[2:3]
.LBB50_223:
	s_or_b32 exec_lo, exec_lo, s4
	s_waitcnt lgkmcnt(0)
	s_waitcnt_vscnt null, 0x0
	s_barrier
	buffer_gl0_inv
	s_clause 0x5
	buffer_load_dword v5, off, s[0:3], 0 offset:396
	buffer_load_dword v6, off, s[0:3], 0 offset:404
	;; [unrolled: 1-line block ×6, first 2 shown]
	ds_read2_b64 v[1:4], v1 offset0:101 offset1:102
	s_mov_b32 s4, exec_lo
	s_waitcnt vmcnt(5) lgkmcnt(0)
	v_mul_f32_e32 v114, v2, v5
	v_mul_f32_e32 v5, v1, v5
	s_waitcnt vmcnt(4)
	v_mul_f32_e32 v115, v3, v6
	v_mul_f32_e32 v6, v4, v6
	s_waitcnt vmcnt(3)
	v_fma_f32 v1, v1, v7, -v114
	v_fmac_f32_e32 v5, v2, v7
	s_waitcnt vmcnt(2)
	v_fmac_f32_e32 v115, v4, v8
	v_fma_f32 v2, v3, v8, -v6
	v_add_f32_e32 v1, 0, v1
	v_add_f32_e32 v3, 0, v5
	;; [unrolled: 1-line block ×4, first 2 shown]
	s_waitcnt vmcnt(1)
	v_sub_f32_e32 v1, v112, v1
	s_waitcnt vmcnt(0)
	v_sub_f32_e32 v2, v113, v2
	buffer_store_dword v1, off, s[0:3], 0 offset:384
	buffer_store_dword v2, off, s[0:3], 0 offset:388
	v_cmpx_lt_u32_e32 47, v0
	s_cbranch_execz .LBB50_225
; %bb.224:
	s_clause 0x1
	buffer_load_dword v1, off, s[0:3], 0 offset:376
	buffer_load_dword v2, off, s[0:3], 0 offset:380
	v_mov_b32_e32 v3, 0
	buffer_store_dword v3, off, s[0:3], 0 offset:376
	buffer_store_dword v3, off, s[0:3], 0 offset:380
	s_waitcnt vmcnt(0)
	ds_write_b64 v111, v[1:2]
.LBB50_225:
	s_or_b32 exec_lo, exec_lo, s4
	s_waitcnt lgkmcnt(0)
	s_waitcnt_vscnt null, 0x0
	s_barrier
	buffer_gl0_inv
	s_clause 0x7
	buffer_load_dword v8, off, s[0:3], 0 offset:388
	buffer_load_dword v112, off, s[0:3], 0 offset:396
	;; [unrolled: 1-line block ×8, first 2 shown]
	v_mov_b32_e32 v1, 0
	ds_read_b128 v[2:5], v1 offset:800
	ds_read_b64 v[6:7], v1 offset:816
	s_mov_b32 s4, exec_lo
	s_waitcnt vmcnt(7) lgkmcnt(1)
	v_mul_f32_e32 v119, v3, v8
	v_mul_f32_e32 v8, v2, v8
	s_waitcnt vmcnt(6)
	v_mul_f32_e32 v120, v4, v112
	v_mul_f32_e32 v112, v5, v112
	s_waitcnt vmcnt(5) lgkmcnt(0)
	v_mul_f32_e32 v121, v6, v113
	s_waitcnt vmcnt(4)
	v_fma_f32 v2, v2, v114, -v119
	v_fmac_f32_e32 v8, v3, v114
	v_mul_f32_e32 v3, v7, v113
	s_waitcnt vmcnt(3)
	v_fma_f32 v4, v4, v115, -v112
	v_fmac_f32_e32 v120, v5, v115
	v_add_f32_e32 v2, 0, v2
	v_add_f32_e32 v5, 0, v8
	s_waitcnt vmcnt(2)
	v_fma_f32 v3, v6, v116, -v3
	v_fmac_f32_e32 v121, v7, v116
	v_add_f32_e32 v2, v2, v4
	v_add_f32_e32 v4, v5, v120
	;; [unrolled: 1-line block ×4, first 2 shown]
	s_waitcnt vmcnt(1)
	v_sub_f32_e32 v2, v117, v2
	s_waitcnt vmcnt(0)
	v_sub_f32_e32 v3, v118, v3
	buffer_store_dword v2, off, s[0:3], 0 offset:376
	buffer_store_dword v3, off, s[0:3], 0 offset:380
	v_cmpx_lt_u32_e32 46, v0
	s_cbranch_execz .LBB50_227
; %bb.226:
	s_clause 0x1
	buffer_load_dword v2, off, s[0:3], 0 offset:368
	buffer_load_dword v3, off, s[0:3], 0 offset:372
	buffer_store_dword v1, off, s[0:3], 0 offset:368
	buffer_store_dword v1, off, s[0:3], 0 offset:372
	s_waitcnt vmcnt(0)
	ds_write_b64 v111, v[2:3]
.LBB50_227:
	s_or_b32 exec_lo, exec_lo, s4
	s_waitcnt lgkmcnt(0)
	s_waitcnt_vscnt null, 0x0
	s_barrier
	buffer_gl0_inv
	s_clause 0x9
	buffer_load_dword v6, off, s[0:3], 0 offset:380
	buffer_load_dword v7, off, s[0:3], 0 offset:388
	;; [unrolled: 1-line block ×10, first 2 shown]
	ds_read2_b64 v[2:5], v1 offset0:99 offset1:100
	ds_read2_b64 v[112:115], v1 offset0:101 offset1:102
	s_mov_b32 s4, exec_lo
	s_waitcnt vmcnt(9) lgkmcnt(1)
	v_mul_f32_e32 v1, v2, v6
	v_mul_f32_e32 v6, v3, v6
	s_waitcnt vmcnt(8)
	v_mul_f32_e32 v123, v4, v7
	v_mul_f32_e32 v7, v5, v7
	s_waitcnt vmcnt(7) lgkmcnt(0)
	v_mul_f32_e32 v124, v112, v8
	s_waitcnt vmcnt(5)
	v_fmac_f32_e32 v1, v3, v117
	v_fma_f32 v2, v2, v117, -v6
	v_mul_f32_e32 v3, v113, v8
	s_waitcnt vmcnt(4)
	v_fma_f32 v4, v4, v118, -v7
	v_fmac_f32_e32 v123, v5, v118
	v_add_f32_e32 v1, 0, v1
	v_add_f32_e32 v2, 0, v2
	v_mul_f32_e32 v5, v115, v116
	s_waitcnt vmcnt(3)
	v_fma_f32 v3, v112, v119, -v3
	v_mul_f32_e32 v125, v114, v116
	v_fmac_f32_e32 v124, v113, v119
	v_add_f32_e32 v2, v2, v4
	v_add_f32_e32 v1, v1, v123
	s_waitcnt vmcnt(2)
	v_fma_f32 v4, v114, v120, -v5
	v_fmac_f32_e32 v125, v115, v120
	v_add_f32_e32 v2, v2, v3
	v_add_f32_e32 v1, v1, v124
	;; [unrolled: 1-line block ×4, first 2 shown]
	s_waitcnt vmcnt(1)
	v_sub_f32_e32 v2, v121, v2
	s_waitcnt vmcnt(0)
	v_sub_f32_e32 v1, v122, v1
	buffer_store_dword v2, off, s[0:3], 0 offset:368
	buffer_store_dword v1, off, s[0:3], 0 offset:372
	v_cmpx_lt_u32_e32 45, v0
	s_cbranch_execz .LBB50_229
; %bb.228:
	s_clause 0x1
	buffer_load_dword v1, off, s[0:3], 0 offset:360
	buffer_load_dword v2, off, s[0:3], 0 offset:364
	v_mov_b32_e32 v3, 0
	buffer_store_dword v3, off, s[0:3], 0 offset:360
	buffer_store_dword v3, off, s[0:3], 0 offset:364
	s_waitcnt vmcnt(0)
	ds_write_b64 v111, v[1:2]
.LBB50_229:
	s_or_b32 exec_lo, exec_lo, s4
	s_waitcnt lgkmcnt(0)
	s_waitcnt_vscnt null, 0x0
	s_barrier
	buffer_gl0_inv
	s_clause 0xb
	buffer_load_dword v8, off, s[0:3], 0 offset:372
	buffer_load_dword v116, off, s[0:3], 0 offset:380
	;; [unrolled: 1-line block ×12, first 2 shown]
	v_mov_b32_e32 v1, 0
	ds_read_b128 v[2:5], v1 offset:784
	ds_read_b128 v[112:115], v1 offset:800
	ds_read_b64 v[6:7], v1 offset:816
	s_mov_b32 s4, exec_lo
	s_waitcnt vmcnt(11) lgkmcnt(2)
	v_mul_f32_e32 v127, v2, v8
	v_mul_f32_e32 v8, v3, v8
	s_waitcnt vmcnt(10)
	v_mul_f32_e32 v128, v4, v116
	v_mul_f32_e32 v116, v5, v116
	s_waitcnt vmcnt(9) lgkmcnt(1)
	v_mul_f32_e32 v129, v112, v117
	s_waitcnt vmcnt(6)
	v_fmac_f32_e32 v127, v3, v120
	v_fma_f32 v2, v2, v120, -v8
	v_mul_f32_e32 v3, v113, v117
	s_waitcnt vmcnt(5)
	v_fma_f32 v4, v4, v121, -v116
	v_fmac_f32_e32 v128, v5, v121
	v_add_f32_e32 v5, 0, v127
	v_add_f32_e32 v2, 0, v2
	v_mul_f32_e32 v8, v115, v118
	s_waitcnt vmcnt(4)
	v_fma_f32 v3, v112, v122, -v3
	v_mul_f32_e32 v130, v114, v118
	v_fmac_f32_e32 v129, v113, v122
	v_add_f32_e32 v2, v2, v4
	v_add_f32_e32 v4, v5, v128
	s_waitcnt lgkmcnt(0)
	v_mul_f32_e32 v5, v7, v119
	s_waitcnt vmcnt(3)
	v_fma_f32 v8, v114, v123, -v8
	v_mul_f32_e32 v131, v6, v119
	v_add_f32_e32 v2, v2, v3
	v_fmac_f32_e32 v130, v115, v123
	v_add_f32_e32 v3, v4, v129
	s_waitcnt vmcnt(2)
	v_fma_f32 v4, v6, v124, -v5
	v_fmac_f32_e32 v131, v7, v124
	v_add_f32_e32 v2, v2, v8
	v_add_f32_e32 v3, v3, v130
	;; [unrolled: 1-line block ×4, first 2 shown]
	s_waitcnt vmcnt(1)
	v_sub_f32_e32 v2, v125, v2
	s_waitcnt vmcnt(0)
	v_sub_f32_e32 v3, v126, v3
	buffer_store_dword v2, off, s[0:3], 0 offset:360
	buffer_store_dword v3, off, s[0:3], 0 offset:364
	v_cmpx_lt_u32_e32 44, v0
	s_cbranch_execz .LBB50_231
; %bb.230:
	s_clause 0x1
	buffer_load_dword v2, off, s[0:3], 0 offset:352
	buffer_load_dword v3, off, s[0:3], 0 offset:356
	buffer_store_dword v1, off, s[0:3], 0 offset:352
	buffer_store_dword v1, off, s[0:3], 0 offset:356
	s_waitcnt vmcnt(0)
	ds_write_b64 v111, v[2:3]
.LBB50_231:
	s_or_b32 exec_lo, exec_lo, s4
	s_waitcnt lgkmcnt(0)
	s_waitcnt_vscnt null, 0x0
	s_barrier
	buffer_gl0_inv
	s_clause 0xd
	buffer_load_dword v6, off, s[0:3], 0 offset:364
	buffer_load_dword v7, off, s[0:3], 0 offset:372
	;; [unrolled: 1-line block ×14, first 2 shown]
	ds_read2_b64 v[2:5], v1 offset0:97 offset1:98
	ds_read2_b64 v[112:115], v1 offset0:99 offset1:100
	;; [unrolled: 1-line block ×3, first 2 shown]
	s_mov_b32 s4, exec_lo
	s_waitcnt vmcnt(13) lgkmcnt(2)
	v_mul_f32_e32 v1, v2, v6
	v_mul_f32_e32 v6, v3, v6
	s_waitcnt vmcnt(12)
	v_mul_f32_e32 v131, v4, v7
	v_mul_f32_e32 v7, v5, v7
	s_waitcnt vmcnt(11) lgkmcnt(1)
	v_mul_f32_e32 v132, v112, v8
	s_waitcnt vmcnt(10)
	v_mul_f32_e32 v133, v114, v120
	s_waitcnt vmcnt(7)
	v_fma_f32 v2, v2, v123, -v6
	v_fmac_f32_e32 v1, v3, v123
	v_mul_f32_e32 v3, v113, v8
	s_waitcnt vmcnt(6)
	v_fma_f32 v4, v4, v124, -v7
	v_fmac_f32_e32 v131, v5, v124
	v_add_f32_e32 v2, 0, v2
	v_add_f32_e32 v1, 0, v1
	v_mul_f32_e32 v5, v115, v120
	s_waitcnt vmcnt(5)
	v_fma_f32 v3, v112, v125, -v3
	v_fmac_f32_e32 v132, v113, v125
	v_add_f32_e32 v2, v2, v4
	v_add_f32_e32 v1, v1, v131
	s_waitcnt lgkmcnt(0)
	v_mul_f32_e32 v4, v117, v121
	s_waitcnt vmcnt(4)
	v_fma_f32 v5, v114, v126, -v5
	v_mul_f32_e32 v134, v116, v121
	v_add_f32_e32 v2, v2, v3
	v_fmac_f32_e32 v133, v115, v126
	v_add_f32_e32 v1, v1, v132
	v_mul_f32_e32 v3, v119, v122
	s_waitcnt vmcnt(3)
	v_fma_f32 v4, v116, v127, -v4
	v_add_f32_e32 v2, v2, v5
	v_mul_f32_e32 v135, v118, v122
	v_fmac_f32_e32 v134, v117, v127
	v_add_f32_e32 v1, v1, v133
	s_waitcnt vmcnt(2)
	v_fma_f32 v3, v118, v128, -v3
	v_add_f32_e32 v2, v2, v4
	v_fmac_f32_e32 v135, v119, v128
	v_add_f32_e32 v1, v1, v134
	v_add_f32_e32 v2, v2, v3
	;; [unrolled: 1-line block ×3, first 2 shown]
	s_waitcnt vmcnt(1)
	v_sub_f32_e32 v2, v129, v2
	s_waitcnt vmcnt(0)
	v_sub_f32_e32 v1, v130, v1
	buffer_store_dword v2, off, s[0:3], 0 offset:352
	buffer_store_dword v1, off, s[0:3], 0 offset:356
	v_cmpx_lt_u32_e32 43, v0
	s_cbranch_execz .LBB50_233
; %bb.232:
	s_clause 0x1
	buffer_load_dword v1, off, s[0:3], 0 offset:344
	buffer_load_dword v2, off, s[0:3], 0 offset:348
	v_mov_b32_e32 v3, 0
	buffer_store_dword v3, off, s[0:3], 0 offset:344
	buffer_store_dword v3, off, s[0:3], 0 offset:348
	s_waitcnt vmcnt(0)
	ds_write_b64 v111, v[1:2]
.LBB50_233:
	s_or_b32 exec_lo, exec_lo, s4
	s_waitcnt lgkmcnt(0)
	s_waitcnt_vscnt null, 0x0
	s_barrier
	buffer_gl0_inv
	s_clause 0xf
	buffer_load_dword v8, off, s[0:3], 0 offset:356
	buffer_load_dword v120, off, s[0:3], 0 offset:364
	;; [unrolled: 1-line block ×16, first 2 shown]
	v_mov_b32_e32 v1, 0
	ds_read_b128 v[2:5], v1 offset:768
	ds_read_b128 v[112:115], v1 offset:784
	;; [unrolled: 1-line block ×3, first 2 shown]
	ds_read_b64 v[6:7], v1 offset:816
	s_mov_b32 s4, exec_lo
	s_waitcnt vmcnt(15) lgkmcnt(3)
	v_mul_f32_e32 v135, v2, v8
	v_mul_f32_e32 v8, v3, v8
	s_waitcnt vmcnt(14)
	v_mul_f32_e32 v136, v4, v120
	v_mul_f32_e32 v120, v5, v120
	s_waitcnt vmcnt(13) lgkmcnt(2)
	v_mul_f32_e32 v137, v112, v121
	s_waitcnt vmcnt(12)
	v_mul_f32_e32 v138, v114, v122
	s_waitcnt vmcnt(11) lgkmcnt(1)
	v_mul_f32_e32 v139, v116, v123
	s_waitcnt vmcnt(8)
	v_fma_f32 v2, v2, v126, -v8
	v_fmac_f32_e32 v135, v3, v126
	v_mul_f32_e32 v3, v113, v121
	s_waitcnt vmcnt(7)
	v_fma_f32 v4, v4, v127, -v120
	v_fmac_f32_e32 v136, v5, v127
	v_add_f32_e32 v2, 0, v2
	v_add_f32_e32 v5, 0, v135
	v_mul_f32_e32 v8, v115, v122
	s_waitcnt vmcnt(6)
	v_fma_f32 v3, v112, v128, -v3
	v_fmac_f32_e32 v137, v113, v128
	v_add_f32_e32 v2, v2, v4
	v_add_f32_e32 v4, v5, v136
	;; [unrolled: 6-line block ×3, first 2 shown]
	v_mul_f32_e32 v4, v119, v124
	s_waitcnt vmcnt(4)
	v_fma_f32 v5, v116, v130, -v5
	v_mul_f32_e32 v140, v118, v124
	v_add_f32_e32 v2, v2, v8
	v_fmac_f32_e32 v139, v117, v130
	v_add_f32_e32 v3, v3, v138
	s_waitcnt lgkmcnt(0)
	v_mul_f32_e32 v8, v7, v125
	s_waitcnt vmcnt(3)
	v_fma_f32 v4, v118, v131, -v4
	v_add_f32_e32 v2, v2, v5
	v_mul_f32_e32 v141, v6, v125
	v_fmac_f32_e32 v140, v119, v131
	v_add_f32_e32 v3, v3, v139
	s_waitcnt vmcnt(2)
	v_fma_f32 v5, v6, v132, -v8
	v_add_f32_e32 v2, v2, v4
	v_fmac_f32_e32 v141, v7, v132
	v_add_f32_e32 v3, v3, v140
	v_add_f32_e32 v2, v2, v5
	;; [unrolled: 1-line block ×3, first 2 shown]
	s_waitcnt vmcnt(1)
	v_sub_f32_e32 v2, v133, v2
	s_waitcnt vmcnt(0)
	v_sub_f32_e32 v3, v134, v3
	buffer_store_dword v2, off, s[0:3], 0 offset:344
	buffer_store_dword v3, off, s[0:3], 0 offset:348
	v_cmpx_lt_u32_e32 42, v0
	s_cbranch_execz .LBB50_235
; %bb.234:
	s_clause 0x1
	buffer_load_dword v2, off, s[0:3], 0 offset:336
	buffer_load_dword v3, off, s[0:3], 0 offset:340
	buffer_store_dword v1, off, s[0:3], 0 offset:336
	buffer_store_dword v1, off, s[0:3], 0 offset:340
	s_waitcnt vmcnt(0)
	ds_write_b64 v111, v[2:3]
.LBB50_235:
	s_or_b32 exec_lo, exec_lo, s4
	s_waitcnt lgkmcnt(0)
	s_waitcnt_vscnt null, 0x0
	s_barrier
	buffer_gl0_inv
	s_clause 0x11
	buffer_load_dword v6, off, s[0:3], 0 offset:348
	buffer_load_dword v7, off, s[0:3], 0 offset:356
	;; [unrolled: 1-line block ×18, first 2 shown]
	ds_read2_b64 v[2:5], v1 offset0:95 offset1:96
	ds_read2_b64 v[112:115], v1 offset0:97 offset1:98
	;; [unrolled: 1-line block ×4, first 2 shown]
	s_mov_b32 s4, exec_lo
	s_waitcnt vmcnt(17) lgkmcnt(3)
	v_mul_f32_e32 v1, v2, v6
	v_mul_f32_e32 v6, v3, v6
	s_waitcnt vmcnt(16)
	v_mul_f32_e32 v139, v4, v7
	v_mul_f32_e32 v7, v5, v7
	s_waitcnt vmcnt(15) lgkmcnt(2)
	v_mul_f32_e32 v140, v112, v8
	s_waitcnt vmcnt(14)
	v_mul_f32_e32 v141, v114, v124
	s_waitcnt vmcnt(13) lgkmcnt(1)
	v_mul_f32_e32 v142, v116, v125
	s_waitcnt vmcnt(12)
	v_mul_f32_e32 v143, v118, v126
	s_waitcnt vmcnt(9)
	v_fma_f32 v2, v2, v129, -v6
	v_fmac_f32_e32 v1, v3, v129
	v_mul_f32_e32 v3, v113, v8
	s_waitcnt vmcnt(8)
	v_fma_f32 v4, v4, v130, -v7
	v_fmac_f32_e32 v139, v5, v130
	v_add_f32_e32 v2, 0, v2
	v_add_f32_e32 v1, 0, v1
	v_mul_f32_e32 v5, v115, v124
	s_waitcnt vmcnt(7)
	v_fma_f32 v3, v112, v131, -v3
	v_fmac_f32_e32 v140, v113, v131
	v_add_f32_e32 v2, v2, v4
	v_add_f32_e32 v1, v1, v139
	;; [unrolled: 6-line block ×4, first 2 shown]
	s_waitcnt lgkmcnt(0)
	v_mul_f32_e32 v5, v121, v127
	s_waitcnt vmcnt(4)
	v_fma_f32 v3, v118, v134, -v3
	v_mul_f32_e32 v144, v120, v127
	v_add_f32_e32 v2, v2, v4
	v_fmac_f32_e32 v143, v119, v134
	v_add_f32_e32 v1, v1, v142
	v_mul_f32_e32 v4, v123, v128
	s_waitcnt vmcnt(3)
	v_fma_f32 v5, v120, v135, -v5
	v_add_f32_e32 v2, v2, v3
	v_mul_f32_e32 v145, v122, v128
	v_fmac_f32_e32 v144, v121, v135
	v_add_f32_e32 v1, v1, v143
	s_waitcnt vmcnt(2)
	v_fma_f32 v3, v122, v136, -v4
	v_add_f32_e32 v2, v2, v5
	v_fmac_f32_e32 v145, v123, v136
	v_add_f32_e32 v1, v1, v144
	v_add_f32_e32 v2, v2, v3
	;; [unrolled: 1-line block ×3, first 2 shown]
	s_waitcnt vmcnt(1)
	v_sub_f32_e32 v2, v137, v2
	s_waitcnt vmcnt(0)
	v_sub_f32_e32 v1, v138, v1
	buffer_store_dword v2, off, s[0:3], 0 offset:336
	buffer_store_dword v1, off, s[0:3], 0 offset:340
	v_cmpx_lt_u32_e32 41, v0
	s_cbranch_execz .LBB50_237
; %bb.236:
	s_clause 0x1
	buffer_load_dword v1, off, s[0:3], 0 offset:328
	buffer_load_dword v2, off, s[0:3], 0 offset:332
	v_mov_b32_e32 v3, 0
	buffer_store_dword v3, off, s[0:3], 0 offset:328
	buffer_store_dword v3, off, s[0:3], 0 offset:332
	s_waitcnt vmcnt(0)
	ds_write_b64 v111, v[1:2]
.LBB50_237:
	s_or_b32 exec_lo, exec_lo, s4
	s_waitcnt lgkmcnt(0)
	s_waitcnt_vscnt null, 0x0
	s_barrier
	buffer_gl0_inv
	s_clause 0x13
	buffer_load_dword v8, off, s[0:3], 0 offset:340
	buffer_load_dword v124, off, s[0:3], 0 offset:348
	buffer_load_dword v125, off, s[0:3], 0 offset:356
	buffer_load_dword v126, off, s[0:3], 0 offset:364
	buffer_load_dword v127, off, s[0:3], 0 offset:372
	buffer_load_dword v128, off, s[0:3], 0 offset:380
	buffer_load_dword v129, off, s[0:3], 0 offset:388
	buffer_load_dword v130, off, s[0:3], 0 offset:396
	buffer_load_dword v131, off, s[0:3], 0 offset:404
	buffer_load_dword v132, off, s[0:3], 0 offset:336
	buffer_load_dword v133, off, s[0:3], 0 offset:344
	buffer_load_dword v134, off, s[0:3], 0 offset:352
	buffer_load_dword v135, off, s[0:3], 0 offset:360
	buffer_load_dword v136, off, s[0:3], 0 offset:368
	buffer_load_dword v137, off, s[0:3], 0 offset:376
	buffer_load_dword v138, off, s[0:3], 0 offset:384
	buffer_load_dword v139, off, s[0:3], 0 offset:392
	buffer_load_dword v140, off, s[0:3], 0 offset:400
	buffer_load_dword v141, off, s[0:3], 0 offset:328
	buffer_load_dword v142, off, s[0:3], 0 offset:332
	v_mov_b32_e32 v1, 0
	ds_read_b128 v[2:5], v1 offset:752
	ds_read_b128 v[112:115], v1 offset:768
	;; [unrolled: 1-line block ×4, first 2 shown]
	ds_read_b64 v[6:7], v1 offset:816
	s_mov_b32 s4, exec_lo
	s_waitcnt vmcnt(19) lgkmcnt(4)
	v_mul_f32_e32 v143, v2, v8
	v_mul_f32_e32 v8, v3, v8
	s_waitcnt vmcnt(18)
	v_mul_f32_e32 v144, v4, v124
	v_mul_f32_e32 v124, v5, v124
	s_waitcnt vmcnt(17) lgkmcnt(3)
	v_mul_f32_e32 v145, v112, v125
	s_waitcnt vmcnt(16)
	v_mul_f32_e32 v146, v114, v126
	s_waitcnt vmcnt(15) lgkmcnt(2)
	v_mul_f32_e32 v147, v116, v127
	s_waitcnt vmcnt(14)
	;; [unrolled: 4-line block ×3, first 2 shown]
	v_fma_f32 v2, v2, v132, -v8
	v_fmac_f32_e32 v143, v3, v132
	v_mul_f32_e32 v3, v113, v125
	s_waitcnt vmcnt(9)
	v_fma_f32 v4, v4, v133, -v124
	v_fmac_f32_e32 v144, v5, v133
	v_add_f32_e32 v2, 0, v2
	v_add_f32_e32 v5, 0, v143
	v_mul_f32_e32 v8, v115, v126
	s_waitcnt vmcnt(8)
	v_fma_f32 v3, v112, v134, -v3
	v_fmac_f32_e32 v145, v113, v134
	v_add_f32_e32 v2, v2, v4
	v_add_f32_e32 v4, v5, v144
	;; [unrolled: 6-line block ×5, first 2 shown]
	v_mul_f32_e32 v5, v123, v130
	s_waitcnt vmcnt(4)
	v_fma_f32 v8, v120, v138, -v8
	v_mul_f32_e32 v150, v122, v130
	v_add_f32_e32 v2, v2, v4
	v_fmac_f32_e32 v149, v121, v138
	v_add_f32_e32 v3, v3, v148
	s_waitcnt lgkmcnt(0)
	v_mul_f32_e32 v4, v7, v131
	s_waitcnt vmcnt(3)
	v_fma_f32 v5, v122, v139, -v5
	v_add_f32_e32 v2, v2, v8
	v_mul_f32_e32 v151, v6, v131
	v_fmac_f32_e32 v150, v123, v139
	v_add_f32_e32 v3, v3, v149
	s_waitcnt vmcnt(2)
	v_fma_f32 v4, v6, v140, -v4
	v_add_f32_e32 v2, v2, v5
	v_fmac_f32_e32 v151, v7, v140
	v_add_f32_e32 v3, v3, v150
	v_add_f32_e32 v2, v2, v4
	;; [unrolled: 1-line block ×3, first 2 shown]
	s_waitcnt vmcnt(1)
	v_sub_f32_e32 v2, v141, v2
	s_waitcnt vmcnt(0)
	v_sub_f32_e32 v3, v142, v3
	buffer_store_dword v2, off, s[0:3], 0 offset:328
	buffer_store_dword v3, off, s[0:3], 0 offset:332
	v_cmpx_lt_u32_e32 40, v0
	s_cbranch_execz .LBB50_239
; %bb.238:
	s_clause 0x1
	buffer_load_dword v2, off, s[0:3], 0 offset:320
	buffer_load_dword v3, off, s[0:3], 0 offset:324
	buffer_store_dword v1, off, s[0:3], 0 offset:320
	buffer_store_dword v1, off, s[0:3], 0 offset:324
	s_waitcnt vmcnt(0)
	ds_write_b64 v111, v[2:3]
.LBB50_239:
	s_or_b32 exec_lo, exec_lo, s4
	s_waitcnt lgkmcnt(0)
	s_waitcnt_vscnt null, 0x0
	s_barrier
	buffer_gl0_inv
	s_clause 0x15
	buffer_load_dword v6, off, s[0:3], 0 offset:332
	buffer_load_dword v7, off, s[0:3], 0 offset:340
	;; [unrolled: 1-line block ×22, first 2 shown]
	ds_read2_b64 v[2:5], v1 offset0:93 offset1:94
	ds_read2_b64 v[112:115], v1 offset0:95 offset1:96
	;; [unrolled: 1-line block ×5, first 2 shown]
	s_mov_b32 s4, exec_lo
	s_waitcnt vmcnt(21) lgkmcnt(4)
	v_mul_f32_e32 v1, v2, v6
	v_mul_f32_e32 v6, v3, v6
	s_waitcnt vmcnt(20)
	v_mul_f32_e32 v147, v4, v7
	v_mul_f32_e32 v7, v5, v7
	s_waitcnt vmcnt(19) lgkmcnt(3)
	v_mul_f32_e32 v148, v112, v8
	s_waitcnt vmcnt(18)
	v_mul_f32_e32 v149, v114, v128
	s_waitcnt vmcnt(17) lgkmcnt(2)
	v_mul_f32_e32 v150, v116, v129
	s_waitcnt vmcnt(16)
	;; [unrolled: 4-line block ×3, first 2 shown]
	v_mul_f32_e32 v153, v122, v132
	s_waitcnt vmcnt(11)
	v_fma_f32 v2, v2, v135, -v6
	v_fmac_f32_e32 v1, v3, v135
	v_mul_f32_e32 v3, v113, v8
	s_waitcnt vmcnt(10)
	v_fma_f32 v4, v4, v136, -v7
	v_fmac_f32_e32 v147, v5, v136
	v_add_f32_e32 v2, 0, v2
	v_add_f32_e32 v1, 0, v1
	v_mul_f32_e32 v5, v115, v128
	s_waitcnt vmcnt(9)
	v_fma_f32 v3, v112, v137, -v3
	v_fmac_f32_e32 v148, v113, v137
	v_add_f32_e32 v2, v2, v4
	v_add_f32_e32 v1, v1, v147
	;; [unrolled: 6-line block ×6, first 2 shown]
	s_waitcnt lgkmcnt(0)
	v_mul_f32_e32 v3, v125, v133
	s_waitcnt vmcnt(4)
	v_fma_f32 v4, v122, v142, -v4
	v_mul_f32_e32 v154, v124, v133
	v_add_f32_e32 v2, v2, v5
	v_fmac_f32_e32 v153, v123, v142
	v_add_f32_e32 v1, v1, v152
	v_mul_f32_e32 v5, v127, v134
	s_waitcnt vmcnt(3)
	v_fma_f32 v3, v124, v143, -v3
	v_add_f32_e32 v2, v2, v4
	v_mul_f32_e32 v155, v126, v134
	v_fmac_f32_e32 v154, v125, v143
	v_add_f32_e32 v1, v1, v153
	s_waitcnt vmcnt(2)
	v_fma_f32 v4, v126, v144, -v5
	v_add_f32_e32 v2, v2, v3
	v_fmac_f32_e32 v155, v127, v144
	v_add_f32_e32 v1, v1, v154
	v_add_f32_e32 v2, v2, v4
	;; [unrolled: 1-line block ×3, first 2 shown]
	s_waitcnt vmcnt(1)
	v_sub_f32_e32 v2, v145, v2
	s_waitcnt vmcnt(0)
	v_sub_f32_e32 v1, v146, v1
	buffer_store_dword v2, off, s[0:3], 0 offset:320
	buffer_store_dword v1, off, s[0:3], 0 offset:324
	v_cmpx_lt_u32_e32 39, v0
	s_cbranch_execz .LBB50_241
; %bb.240:
	s_clause 0x1
	buffer_load_dword v1, off, s[0:3], 0 offset:312
	buffer_load_dword v2, off, s[0:3], 0 offset:316
	v_mov_b32_e32 v3, 0
	buffer_store_dword v3, off, s[0:3], 0 offset:312
	buffer_store_dword v3, off, s[0:3], 0 offset:316
	s_waitcnt vmcnt(0)
	ds_write_b64 v111, v[1:2]
.LBB50_241:
	s_or_b32 exec_lo, exec_lo, s4
	s_waitcnt lgkmcnt(0)
	s_waitcnt_vscnt null, 0x0
	s_barrier
	buffer_gl0_inv
	s_clause 0x17
	buffer_load_dword v8, off, s[0:3], 0 offset:324
	buffer_load_dword v128, off, s[0:3], 0 offset:332
	;; [unrolled: 1-line block ×24, first 2 shown]
	v_mov_b32_e32 v1, 0
	ds_read_b128 v[2:5], v1 offset:736
	ds_read_b128 v[112:115], v1 offset:752
	;; [unrolled: 1-line block ×5, first 2 shown]
	ds_read_b64 v[6:7], v1 offset:816
	s_mov_b32 s4, exec_lo
	s_waitcnt vmcnt(23) lgkmcnt(5)
	v_mul_f32_e32 v151, v2, v8
	v_mul_f32_e32 v8, v3, v8
	s_waitcnt vmcnt(22)
	v_mul_f32_e32 v152, v4, v128
	v_mul_f32_e32 v128, v5, v128
	s_waitcnt vmcnt(21) lgkmcnt(4)
	v_mul_f32_e32 v153, v112, v129
	s_waitcnt vmcnt(20)
	v_mul_f32_e32 v154, v114, v130
	s_waitcnt vmcnt(19) lgkmcnt(3)
	v_mul_f32_e32 v155, v116, v131
	s_waitcnt vmcnt(18)
	;; [unrolled: 4-line block ×4, first 2 shown]
	v_fma_f32 v2, v2, v138, -v8
	v_fmac_f32_e32 v151, v3, v138
	v_mul_f32_e32 v3, v113, v129
	s_waitcnt vmcnt(11)
	v_fma_f32 v4, v4, v139, -v128
	v_fmac_f32_e32 v152, v5, v139
	v_add_f32_e32 v2, 0, v2
	v_add_f32_e32 v5, 0, v151
	v_mul_f32_e32 v8, v115, v130
	s_waitcnt vmcnt(10)
	v_fma_f32 v3, v112, v140, -v3
	v_fmac_f32_e32 v153, v113, v140
	v_add_f32_e32 v2, v2, v4
	v_add_f32_e32 v4, v5, v152
	;; [unrolled: 6-line block ×7, first 2 shown]
	v_mul_f32_e32 v8, v127, v136
	s_waitcnt vmcnt(4)
	v_fma_f32 v4, v124, v146, -v4
	v_mul_f32_e32 v160, v126, v136
	v_add_f32_e32 v2, v2, v5
	v_fmac_f32_e32 v159, v125, v146
	v_add_f32_e32 v3, v3, v158
	s_waitcnt lgkmcnt(0)
	v_mul_f32_e32 v5, v7, v137
	s_waitcnt vmcnt(3)
	v_fma_f32 v8, v126, v147, -v8
	v_add_f32_e32 v2, v2, v4
	v_mul_f32_e32 v161, v6, v137
	v_fmac_f32_e32 v160, v127, v147
	v_add_f32_e32 v3, v3, v159
	s_waitcnt vmcnt(2)
	v_fma_f32 v4, v6, v148, -v5
	v_add_f32_e32 v2, v2, v8
	v_fmac_f32_e32 v161, v7, v148
	v_add_f32_e32 v3, v3, v160
	v_add_f32_e32 v2, v2, v4
	v_add_f32_e32 v3, v3, v161
	s_waitcnt vmcnt(1)
	v_sub_f32_e32 v2, v149, v2
	s_waitcnt vmcnt(0)
	v_sub_f32_e32 v3, v150, v3
	buffer_store_dword v2, off, s[0:3], 0 offset:312
	buffer_store_dword v3, off, s[0:3], 0 offset:316
	v_cmpx_lt_u32_e32 38, v0
	s_cbranch_execz .LBB50_243
; %bb.242:
	s_clause 0x1
	buffer_load_dword v2, off, s[0:3], 0 offset:304
	buffer_load_dword v3, off, s[0:3], 0 offset:308
	buffer_store_dword v1, off, s[0:3], 0 offset:304
	buffer_store_dword v1, off, s[0:3], 0 offset:308
	s_waitcnt vmcnt(0)
	ds_write_b64 v111, v[2:3]
.LBB50_243:
	s_or_b32 exec_lo, exec_lo, s4
	s_waitcnt lgkmcnt(0)
	s_waitcnt_vscnt null, 0x0
	s_barrier
	buffer_gl0_inv
	s_clause 0x19
	buffer_load_dword v6, off, s[0:3], 0 offset:316
	buffer_load_dword v7, off, s[0:3], 0 offset:324
	;; [unrolled: 1-line block ×26, first 2 shown]
	ds_read2_b64 v[2:5], v1 offset0:91 offset1:92
	ds_read2_b64 v[112:115], v1 offset0:93 offset1:94
	;; [unrolled: 1-line block ×6, first 2 shown]
	s_mov_b32 s4, exec_lo
	s_waitcnt vmcnt(25) lgkmcnt(5)
	v_mul_f32_e32 v1, v2, v6
	v_mul_f32_e32 v6, v3, v6
	s_waitcnt vmcnt(24)
	v_mul_f32_e32 v155, v4, v7
	v_mul_f32_e32 v7, v5, v7
	s_waitcnt vmcnt(23) lgkmcnt(4)
	v_mul_f32_e32 v156, v112, v8
	s_waitcnt vmcnt(22)
	v_mul_f32_e32 v157, v114, v132
	s_waitcnt vmcnt(21) lgkmcnt(3)
	v_mul_f32_e32 v158, v116, v133
	s_waitcnt vmcnt(20)
	;; [unrolled: 4-line block ×4, first 2 shown]
	v_mul_f32_e32 v163, v126, v138
	s_waitcnt vmcnt(13)
	v_fma_f32 v2, v2, v141, -v6
	v_fmac_f32_e32 v1, v3, v141
	v_mul_f32_e32 v3, v113, v8
	s_waitcnt vmcnt(12)
	v_fma_f32 v4, v4, v142, -v7
	v_fmac_f32_e32 v155, v5, v142
	v_add_f32_e32 v2, 0, v2
	v_add_f32_e32 v1, 0, v1
	v_mul_f32_e32 v5, v115, v132
	s_waitcnt vmcnt(11)
	v_fma_f32 v3, v112, v143, -v3
	v_fmac_f32_e32 v156, v113, v143
	v_add_f32_e32 v2, v2, v4
	v_add_f32_e32 v1, v1, v155
	v_mul_f32_e32 v4, v117, v133
	s_waitcnt vmcnt(10)
	v_fma_f32 v5, v114, v144, -v5
	v_fmac_f32_e32 v157, v115, v144
	v_add_f32_e32 v2, v2, v3
	v_add_f32_e32 v1, v1, v156
	v_mul_f32_e32 v3, v119, v134
	s_waitcnt vmcnt(9)
	v_fma_f32 v4, v116, v145, -v4
	v_fmac_f32_e32 v158, v117, v145
	v_add_f32_e32 v2, v2, v5
	v_add_f32_e32 v1, v1, v157
	v_mul_f32_e32 v5, v121, v135
	s_waitcnt vmcnt(8)
	v_fma_f32 v3, v118, v146, -v3
	v_fmac_f32_e32 v159, v119, v146
	v_add_f32_e32 v2, v2, v4
	v_add_f32_e32 v1, v1, v158
	v_mul_f32_e32 v4, v123, v136
	s_waitcnt vmcnt(7)
	v_fma_f32 v5, v120, v147, -v5
	v_fmac_f32_e32 v160, v121, v147
	v_add_f32_e32 v2, v2, v3
	v_add_f32_e32 v1, v1, v159
	v_mul_f32_e32 v3, v125, v137
	s_waitcnt vmcnt(6)
	v_fma_f32 v4, v122, v148, -v4
	v_fmac_f32_e32 v161, v123, v148
	v_add_f32_e32 v2, v2, v5
	v_add_f32_e32 v1, v1, v160
	v_mul_f32_e32 v5, v127, v138
	s_waitcnt vmcnt(5)
	v_fma_f32 v3, v124, v149, -v3
	v_fmac_f32_e32 v162, v125, v149
	v_add_f32_e32 v2, v2, v4
	v_add_f32_e32 v1, v1, v161
	s_waitcnt lgkmcnt(0)
	v_mul_f32_e32 v4, v129, v139
	s_waitcnt vmcnt(4)
	v_fma_f32 v5, v126, v150, -v5
	v_mul_f32_e32 v164, v128, v139
	v_add_f32_e32 v2, v2, v3
	v_fmac_f32_e32 v163, v127, v150
	v_add_f32_e32 v1, v1, v162
	v_mul_f32_e32 v3, v131, v140
	s_waitcnt vmcnt(3)
	v_fma_f32 v4, v128, v151, -v4
	v_add_f32_e32 v2, v2, v5
	v_mul_f32_e32 v165, v130, v140
	v_fmac_f32_e32 v164, v129, v151
	v_add_f32_e32 v1, v1, v163
	s_waitcnt vmcnt(2)
	v_fma_f32 v3, v130, v152, -v3
	v_add_f32_e32 v2, v2, v4
	v_fmac_f32_e32 v165, v131, v152
	v_add_f32_e32 v1, v1, v164
	v_add_f32_e32 v2, v2, v3
	;; [unrolled: 1-line block ×3, first 2 shown]
	s_waitcnt vmcnt(1)
	v_sub_f32_e32 v2, v153, v2
	s_waitcnt vmcnt(0)
	v_sub_f32_e32 v1, v154, v1
	buffer_store_dword v2, off, s[0:3], 0 offset:304
	buffer_store_dword v1, off, s[0:3], 0 offset:308
	v_cmpx_lt_u32_e32 37, v0
	s_cbranch_execz .LBB50_245
; %bb.244:
	s_clause 0x1
	buffer_load_dword v1, off, s[0:3], 0 offset:296
	buffer_load_dword v2, off, s[0:3], 0 offset:300
	v_mov_b32_e32 v3, 0
	buffer_store_dword v3, off, s[0:3], 0 offset:296
	buffer_store_dword v3, off, s[0:3], 0 offset:300
	s_waitcnt vmcnt(0)
	ds_write_b64 v111, v[1:2]
.LBB50_245:
	s_or_b32 exec_lo, exec_lo, s4
	s_waitcnt lgkmcnt(0)
	s_waitcnt_vscnt null, 0x0
	s_barrier
	buffer_gl0_inv
	s_clause 0x1b
	buffer_load_dword v8, off, s[0:3], 0 offset:308
	buffer_load_dword v132, off, s[0:3], 0 offset:316
	;; [unrolled: 1-line block ×28, first 2 shown]
	v_mov_b32_e32 v1, 0
	ds_read_b128 v[2:5], v1 offset:720
	ds_read_b128 v[112:115], v1 offset:736
	;; [unrolled: 1-line block ×6, first 2 shown]
	ds_read_b64 v[6:7], v1 offset:816
	s_mov_b32 s4, exec_lo
	s_waitcnt vmcnt(27) lgkmcnt(6)
	v_mul_f32_e32 v159, v2, v8
	v_mul_f32_e32 v8, v3, v8
	s_waitcnt vmcnt(26)
	v_mul_f32_e32 v160, v4, v132
	v_mul_f32_e32 v132, v5, v132
	s_waitcnt vmcnt(25) lgkmcnt(5)
	v_mul_f32_e32 v161, v112, v133
	s_waitcnt vmcnt(24)
	v_mul_f32_e32 v162, v114, v134
	s_waitcnt vmcnt(23) lgkmcnt(4)
	v_mul_f32_e32 v163, v116, v135
	s_waitcnt vmcnt(22)
	;; [unrolled: 4-line block ×5, first 2 shown]
	v_fma_f32 v2, v2, v144, -v8
	v_fmac_f32_e32 v159, v3, v144
	v_mul_f32_e32 v3, v113, v133
	s_waitcnt vmcnt(13)
	v_fma_f32 v4, v4, v145, -v132
	v_fmac_f32_e32 v160, v5, v145
	v_add_f32_e32 v2, 0, v2
	v_add_f32_e32 v5, 0, v159
	v_mul_f32_e32 v8, v115, v134
	s_waitcnt vmcnt(12)
	v_fma_f32 v3, v112, v146, -v3
	v_fmac_f32_e32 v161, v113, v146
	v_add_f32_e32 v2, v2, v4
	v_add_f32_e32 v4, v5, v160
	;; [unrolled: 6-line block ×9, first 2 shown]
	v_mul_f32_e32 v4, v131, v142
	s_waitcnt vmcnt(4)
	v_fma_f32 v5, v128, v154, -v5
	v_mul_f32_e32 v170, v130, v142
	v_add_f32_e32 v2, v2, v8
	v_fmac_f32_e32 v169, v129, v154
	v_add_f32_e32 v3, v3, v168
	s_waitcnt lgkmcnt(0)
	v_mul_f32_e32 v8, v7, v143
	s_waitcnt vmcnt(3)
	v_fma_f32 v4, v130, v155, -v4
	v_add_f32_e32 v2, v2, v5
	v_mul_f32_e32 v171, v6, v143
	v_fmac_f32_e32 v170, v131, v155
	v_add_f32_e32 v3, v3, v169
	s_waitcnt vmcnt(2)
	v_fma_f32 v5, v6, v156, -v8
	v_add_f32_e32 v2, v2, v4
	v_fmac_f32_e32 v171, v7, v156
	v_add_f32_e32 v3, v3, v170
	v_add_f32_e32 v2, v2, v5
	;; [unrolled: 1-line block ×3, first 2 shown]
	s_waitcnt vmcnt(1)
	v_sub_f32_e32 v2, v157, v2
	s_waitcnt vmcnt(0)
	v_sub_f32_e32 v3, v158, v3
	buffer_store_dword v2, off, s[0:3], 0 offset:296
	buffer_store_dword v3, off, s[0:3], 0 offset:300
	v_cmpx_lt_u32_e32 36, v0
	s_cbranch_execz .LBB50_247
; %bb.246:
	s_clause 0x1
	buffer_load_dword v2, off, s[0:3], 0 offset:288
	buffer_load_dword v3, off, s[0:3], 0 offset:292
	buffer_store_dword v1, off, s[0:3], 0 offset:288
	buffer_store_dword v1, off, s[0:3], 0 offset:292
	s_waitcnt vmcnt(0)
	ds_write_b64 v111, v[2:3]
.LBB50_247:
	s_or_b32 exec_lo, exec_lo, s4
	s_waitcnt lgkmcnt(0)
	s_waitcnt_vscnt null, 0x0
	s_barrier
	buffer_gl0_inv
	s_clause 0x1d
	buffer_load_dword v6, off, s[0:3], 0 offset:300
	buffer_load_dword v7, off, s[0:3], 0 offset:308
	;; [unrolled: 1-line block ×30, first 2 shown]
	ds_read2_b64 v[2:5], v1 offset0:89 offset1:90
	ds_read2_b64 v[112:115], v1 offset0:91 offset1:92
	;; [unrolled: 1-line block ×7, first 2 shown]
	s_mov_b32 s4, exec_lo
	s_waitcnt vmcnt(29) lgkmcnt(6)
	v_mul_f32_e32 v1, v2, v6
	v_mul_f32_e32 v6, v3, v6
	s_waitcnt vmcnt(28)
	v_mul_f32_e32 v163, v4, v7
	v_mul_f32_e32 v7, v5, v7
	s_waitcnt vmcnt(27) lgkmcnt(5)
	v_mul_f32_e32 v164, v112, v8
	s_waitcnt vmcnt(26)
	v_mul_f32_e32 v165, v114, v136
	s_waitcnt vmcnt(25) lgkmcnt(4)
	v_mul_f32_e32 v166, v116, v137
	s_waitcnt vmcnt(24)
	v_mul_f32_e32 v167, v118, v138
	s_waitcnt vmcnt(23) lgkmcnt(3)
	v_mul_f32_e32 v168, v120, v139
	s_waitcnt vmcnt(22)
	v_mul_f32_e32 v169, v122, v140
	s_waitcnt vmcnt(21) lgkmcnt(2)
	v_mul_f32_e32 v170, v124, v141
	s_waitcnt vmcnt(20)
	v_mul_f32_e32 v171, v126, v142
	s_waitcnt vmcnt(19) lgkmcnt(1)
	v_mul_f32_e32 v172, v128, v143
	s_waitcnt vmcnt(18)
	v_mul_f32_e32 v173, v130, v144
	s_waitcnt vmcnt(15)
	v_fma_f32 v2, v2, v147, -v6
	v_fmac_f32_e32 v1, v3, v147
	v_mul_f32_e32 v3, v113, v8
	s_waitcnt vmcnt(14)
	v_fma_f32 v4, v4, v148, -v7
	v_fmac_f32_e32 v163, v5, v148
	v_add_f32_e32 v2, 0, v2
	v_add_f32_e32 v1, 0, v1
	v_mul_f32_e32 v5, v115, v136
	s_waitcnt vmcnt(13)
	v_fma_f32 v3, v112, v149, -v3
	v_fmac_f32_e32 v164, v113, v149
	v_add_f32_e32 v2, v2, v4
	v_add_f32_e32 v1, v1, v163
	;; [unrolled: 6-line block ×10, first 2 shown]
	s_waitcnt lgkmcnt(0)
	v_mul_f32_e32 v5, v133, v145
	s_waitcnt vmcnt(4)
	v_fma_f32 v3, v130, v158, -v3
	v_mul_f32_e32 v174, v132, v145
	v_add_f32_e32 v2, v2, v4
	v_fmac_f32_e32 v173, v131, v158
	v_add_f32_e32 v1, v1, v172
	v_mul_f32_e32 v4, v135, v146
	s_waitcnt vmcnt(3)
	v_fma_f32 v5, v132, v159, -v5
	v_add_f32_e32 v2, v2, v3
	v_mul_f32_e32 v175, v134, v146
	v_fmac_f32_e32 v174, v133, v159
	v_add_f32_e32 v1, v1, v173
	s_waitcnt vmcnt(2)
	v_fma_f32 v3, v134, v160, -v4
	v_add_f32_e32 v2, v2, v5
	v_fmac_f32_e32 v175, v135, v160
	v_add_f32_e32 v1, v1, v174
	v_add_f32_e32 v2, v2, v3
	v_add_f32_e32 v1, v1, v175
	s_waitcnt vmcnt(1)
	v_sub_f32_e32 v2, v161, v2
	s_waitcnt vmcnt(0)
	v_sub_f32_e32 v1, v162, v1
	buffer_store_dword v2, off, s[0:3], 0 offset:288
	buffer_store_dword v1, off, s[0:3], 0 offset:292
	v_cmpx_lt_u32_e32 35, v0
	s_cbranch_execz .LBB50_249
; %bb.248:
	s_clause 0x1
	buffer_load_dword v1, off, s[0:3], 0 offset:280
	buffer_load_dword v2, off, s[0:3], 0 offset:284
	v_mov_b32_e32 v3, 0
	buffer_store_dword v3, off, s[0:3], 0 offset:280
	buffer_store_dword v3, off, s[0:3], 0 offset:284
	s_waitcnt vmcnt(0)
	ds_write_b64 v111, v[1:2]
.LBB50_249:
	s_or_b32 exec_lo, exec_lo, s4
	s_waitcnt lgkmcnt(0)
	s_waitcnt_vscnt null, 0x0
	s_barrier
	buffer_gl0_inv
	s_clause 0x1f
	buffer_load_dword v8, off, s[0:3], 0 offset:292
	buffer_load_dword v136, off, s[0:3], 0 offset:300
	;; [unrolled: 1-line block ×32, first 2 shown]
	v_mov_b32_e32 v1, 0
	ds_read_b128 v[2:5], v1 offset:704
	ds_read_b128 v[112:115], v1 offset:720
	;; [unrolled: 1-line block ×7, first 2 shown]
	ds_read_b64 v[6:7], v1 offset:816
	s_mov_b32 s4, exec_lo
	s_waitcnt vmcnt(31) lgkmcnt(7)
	v_mul_f32_e32 v167, v2, v8
	v_mul_f32_e32 v8, v3, v8
	s_waitcnt vmcnt(30)
	v_mul_f32_e32 v168, v4, v136
	v_mul_f32_e32 v136, v5, v136
	s_waitcnt vmcnt(29) lgkmcnt(6)
	v_mul_f32_e32 v169, v112, v137
	s_waitcnt vmcnt(28)
	v_mul_f32_e32 v170, v114, v138
	s_waitcnt vmcnt(27) lgkmcnt(5)
	v_mul_f32_e32 v171, v116, v139
	s_waitcnt vmcnt(26)
	;; [unrolled: 4-line block ×6, first 2 shown]
	v_fma_f32 v2, v2, v150, -v8
	v_fmac_f32_e32 v167, v3, v150
	v_mul_f32_e32 v3, v113, v137
	s_waitcnt vmcnt(15)
	v_fma_f32 v4, v4, v151, -v136
	v_fmac_f32_e32 v168, v5, v151
	v_add_f32_e32 v2, 0, v2
	v_add_f32_e32 v5, 0, v167
	v_mul_f32_e32 v8, v115, v138
	s_waitcnt vmcnt(14)
	v_fma_f32 v3, v112, v152, -v3
	v_fmac_f32_e32 v169, v113, v152
	v_add_f32_e32 v2, v2, v4
	v_add_f32_e32 v4, v5, v168
	;; [unrolled: 6-line block ×11, first 2 shown]
	v_mul_f32_e32 v5, v135, v148
	s_waitcnt vmcnt(4)
	v_fma_f32 v8, v132, v162, -v8
	v_mul_f32_e32 v180, v134, v148
	v_add_f32_e32 v2, v2, v4
	v_fmac_f32_e32 v179, v133, v162
	v_add_f32_e32 v3, v3, v178
	s_waitcnt lgkmcnt(0)
	v_mul_f32_e32 v4, v7, v149
	s_waitcnt vmcnt(3)
	v_fma_f32 v5, v134, v163, -v5
	v_add_f32_e32 v2, v2, v8
	v_mul_f32_e32 v181, v6, v149
	v_fmac_f32_e32 v180, v135, v163
	v_add_f32_e32 v3, v3, v179
	s_waitcnt vmcnt(2)
	v_fma_f32 v4, v6, v164, -v4
	v_add_f32_e32 v2, v2, v5
	v_fmac_f32_e32 v181, v7, v164
	v_add_f32_e32 v3, v3, v180
	v_add_f32_e32 v2, v2, v4
	;; [unrolled: 1-line block ×3, first 2 shown]
	s_waitcnt vmcnt(1)
	v_sub_f32_e32 v2, v165, v2
	s_waitcnt vmcnt(0)
	v_sub_f32_e32 v3, v166, v3
	buffer_store_dword v2, off, s[0:3], 0 offset:280
	buffer_store_dword v3, off, s[0:3], 0 offset:284
	v_cmpx_lt_u32_e32 34, v0
	s_cbranch_execz .LBB50_251
; %bb.250:
	s_clause 0x1
	buffer_load_dword v2, off, s[0:3], 0 offset:272
	buffer_load_dword v3, off, s[0:3], 0 offset:276
	buffer_store_dword v1, off, s[0:3], 0 offset:272
	buffer_store_dword v1, off, s[0:3], 0 offset:276
	s_waitcnt vmcnt(0)
	ds_write_b64 v111, v[2:3]
.LBB50_251:
	s_or_b32 exec_lo, exec_lo, s4
	s_waitcnt lgkmcnt(0)
	s_waitcnt_vscnt null, 0x0
	s_barrier
	buffer_gl0_inv
	s_clause 0x21
	buffer_load_dword v6, off, s[0:3], 0 offset:284
	buffer_load_dword v7, off, s[0:3], 0 offset:292
	;; [unrolled: 1-line block ×34, first 2 shown]
	ds_read2_b64 v[2:5], v1 offset0:87 offset1:88
	ds_read2_b64 v[112:115], v1 offset0:89 offset1:90
	;; [unrolled: 1-line block ×8, first 2 shown]
	s_mov_b32 s4, exec_lo
	s_waitcnt vmcnt(33) lgkmcnt(7)
	v_mul_f32_e32 v1, v2, v6
	v_mul_f32_e32 v6, v3, v6
	s_waitcnt vmcnt(32)
	v_mul_f32_e32 v171, v4, v7
	v_mul_f32_e32 v7, v5, v7
	s_waitcnt vmcnt(31) lgkmcnt(6)
	v_mul_f32_e32 v172, v112, v8
	s_waitcnt vmcnt(30)
	v_mul_f32_e32 v173, v114, v140
	s_waitcnt vmcnt(29) lgkmcnt(5)
	v_mul_f32_e32 v174, v116, v141
	s_waitcnt vmcnt(28)
	;; [unrolled: 4-line block ×6, first 2 shown]
	v_mul_f32_e32 v183, v134, v150
	s_waitcnt vmcnt(17)
	v_fma_f32 v2, v2, v153, -v6
	v_fmac_f32_e32 v1, v3, v153
	v_mul_f32_e32 v3, v113, v8
	s_waitcnt vmcnt(16)
	v_fma_f32 v4, v4, v154, -v7
	v_fmac_f32_e32 v171, v5, v154
	v_add_f32_e32 v2, 0, v2
	v_add_f32_e32 v1, 0, v1
	v_mul_f32_e32 v5, v115, v140
	s_waitcnt vmcnt(15)
	v_fma_f32 v3, v112, v155, -v3
	v_fmac_f32_e32 v172, v113, v155
	v_add_f32_e32 v2, v2, v4
	v_add_f32_e32 v1, v1, v171
	v_mul_f32_e32 v4, v117, v141
	s_waitcnt vmcnt(14)
	v_fma_f32 v5, v114, v156, -v5
	v_fmac_f32_e32 v173, v115, v156
	v_add_f32_e32 v2, v2, v3
	v_add_f32_e32 v1, v1, v172
	v_mul_f32_e32 v3, v119, v142
	s_waitcnt vmcnt(13)
	v_fma_f32 v4, v116, v157, -v4
	v_fmac_f32_e32 v174, v117, v157
	v_add_f32_e32 v2, v2, v5
	v_add_f32_e32 v1, v1, v173
	v_mul_f32_e32 v5, v121, v143
	s_waitcnt vmcnt(12)
	v_fma_f32 v3, v118, v158, -v3
	v_fmac_f32_e32 v175, v119, v158
	v_add_f32_e32 v2, v2, v4
	v_add_f32_e32 v1, v1, v174
	v_mul_f32_e32 v4, v123, v144
	s_waitcnt vmcnt(11)
	v_fma_f32 v5, v120, v159, -v5
	v_fmac_f32_e32 v176, v121, v159
	v_add_f32_e32 v2, v2, v3
	v_add_f32_e32 v1, v1, v175
	v_mul_f32_e32 v3, v125, v145
	s_waitcnt vmcnt(10)
	v_fma_f32 v4, v122, v160, -v4
	v_fmac_f32_e32 v177, v123, v160
	v_add_f32_e32 v2, v2, v5
	v_add_f32_e32 v1, v1, v176
	v_mul_f32_e32 v5, v127, v146
	s_waitcnt vmcnt(9)
	v_fma_f32 v3, v124, v161, -v3
	v_fmac_f32_e32 v178, v125, v161
	v_add_f32_e32 v2, v2, v4
	v_add_f32_e32 v1, v1, v177
	v_mul_f32_e32 v4, v129, v147
	s_waitcnt vmcnt(8)
	v_fma_f32 v5, v126, v162, -v5
	v_fmac_f32_e32 v179, v127, v162
	v_add_f32_e32 v2, v2, v3
	v_add_f32_e32 v1, v1, v178
	v_mul_f32_e32 v3, v131, v148
	s_waitcnt vmcnt(7)
	v_fma_f32 v4, v128, v163, -v4
	v_fmac_f32_e32 v180, v129, v163
	v_add_f32_e32 v2, v2, v5
	v_add_f32_e32 v1, v1, v179
	v_mul_f32_e32 v5, v133, v149
	s_waitcnt vmcnt(6)
	v_fma_f32 v3, v130, v164, -v3
	v_fmac_f32_e32 v181, v131, v164
	v_add_f32_e32 v2, v2, v4
	v_add_f32_e32 v1, v1, v180
	v_mul_f32_e32 v4, v135, v150
	s_waitcnt vmcnt(5)
	v_fma_f32 v5, v132, v165, -v5
	v_fmac_f32_e32 v182, v133, v165
	v_add_f32_e32 v2, v2, v3
	v_add_f32_e32 v1, v1, v181
	s_waitcnt lgkmcnt(0)
	v_mul_f32_e32 v3, v137, v151
	s_waitcnt vmcnt(4)
	v_fma_f32 v4, v134, v166, -v4
	v_mul_f32_e32 v184, v136, v151
	v_add_f32_e32 v2, v2, v5
	v_fmac_f32_e32 v183, v135, v166
	v_add_f32_e32 v1, v1, v182
	v_mul_f32_e32 v5, v139, v152
	s_waitcnt vmcnt(3)
	v_fma_f32 v3, v136, v167, -v3
	v_add_f32_e32 v2, v2, v4
	v_mul_f32_e32 v185, v138, v152
	v_fmac_f32_e32 v184, v137, v167
	v_add_f32_e32 v1, v1, v183
	s_waitcnt vmcnt(2)
	v_fma_f32 v4, v138, v168, -v5
	v_add_f32_e32 v2, v2, v3
	v_fmac_f32_e32 v185, v139, v168
	v_add_f32_e32 v1, v1, v184
	v_add_f32_e32 v2, v2, v4
	;; [unrolled: 1-line block ×3, first 2 shown]
	s_waitcnt vmcnt(1)
	v_sub_f32_e32 v2, v169, v2
	s_waitcnt vmcnt(0)
	v_sub_f32_e32 v1, v170, v1
	buffer_store_dword v2, off, s[0:3], 0 offset:272
	buffer_store_dword v1, off, s[0:3], 0 offset:276
	v_cmpx_lt_u32_e32 33, v0
	s_cbranch_execz .LBB50_253
; %bb.252:
	s_clause 0x1
	buffer_load_dword v1, off, s[0:3], 0 offset:264
	buffer_load_dword v2, off, s[0:3], 0 offset:268
	v_mov_b32_e32 v3, 0
	buffer_store_dword v3, off, s[0:3], 0 offset:264
	buffer_store_dword v3, off, s[0:3], 0 offset:268
	s_waitcnt vmcnt(0)
	ds_write_b64 v111, v[1:2]
.LBB50_253:
	s_or_b32 exec_lo, exec_lo, s4
	s_waitcnt lgkmcnt(0)
	s_waitcnt_vscnt null, 0x0
	s_barrier
	buffer_gl0_inv
	s_clause 0x23
	buffer_load_dword v8, off, s[0:3], 0 offset:276
	buffer_load_dword v140, off, s[0:3], 0 offset:284
	;; [unrolled: 1-line block ×36, first 2 shown]
	v_mov_b32_e32 v1, 0
	ds_read_b128 v[2:5], v1 offset:688
	ds_read_b128 v[112:115], v1 offset:704
	;; [unrolled: 1-line block ×8, first 2 shown]
	ds_read_b64 v[6:7], v1 offset:816
	s_mov_b32 s4, exec_lo
	s_waitcnt vmcnt(35) lgkmcnt(8)
	v_mul_f32_e32 v175, v2, v8
	v_mul_f32_e32 v8, v3, v8
	s_waitcnt vmcnt(34)
	v_mul_f32_e32 v176, v4, v140
	v_mul_f32_e32 v140, v5, v140
	s_waitcnt vmcnt(33) lgkmcnt(7)
	v_mul_f32_e32 v177, v112, v141
	s_waitcnt vmcnt(32)
	v_mul_f32_e32 v178, v114, v142
	s_waitcnt vmcnt(31) lgkmcnt(6)
	v_mul_f32_e32 v179, v116, v143
	s_waitcnt vmcnt(30)
	;; [unrolled: 4-line block ×7, first 2 shown]
	v_fma_f32 v2, v2, v156, -v8
	v_fmac_f32_e32 v175, v3, v156
	v_mul_f32_e32 v3, v113, v141
	s_waitcnt vmcnt(17)
	v_fma_f32 v4, v4, v157, -v140
	v_fmac_f32_e32 v176, v5, v157
	v_add_f32_e32 v2, 0, v2
	v_add_f32_e32 v5, 0, v175
	v_mul_f32_e32 v8, v115, v142
	s_waitcnt vmcnt(16)
	v_fma_f32 v3, v112, v158, -v3
	v_fmac_f32_e32 v177, v113, v158
	v_add_f32_e32 v2, v2, v4
	v_add_f32_e32 v4, v5, v176
	;; [unrolled: 6-line block ×13, first 2 shown]
	v_mul_f32_e32 v8, v139, v154
	s_waitcnt vmcnt(4)
	v_fma_f32 v4, v136, v170, -v4
	v_mul_f32_e32 v190, v138, v154
	v_add_f32_e32 v2, v2, v5
	v_fmac_f32_e32 v189, v137, v170
	v_add_f32_e32 v3, v3, v188
	s_waitcnt lgkmcnt(0)
	v_mul_f32_e32 v5, v7, v155
	s_waitcnt vmcnt(3)
	v_fma_f32 v8, v138, v171, -v8
	v_add_f32_e32 v2, v2, v4
	v_mul_f32_e32 v191, v6, v155
	v_fmac_f32_e32 v190, v139, v171
	v_add_f32_e32 v3, v3, v189
	s_waitcnt vmcnt(2)
	v_fma_f32 v4, v6, v172, -v5
	v_add_f32_e32 v2, v2, v8
	v_fmac_f32_e32 v191, v7, v172
	v_add_f32_e32 v3, v3, v190
	v_add_f32_e32 v2, v2, v4
	;; [unrolled: 1-line block ×3, first 2 shown]
	s_waitcnt vmcnt(1)
	v_sub_f32_e32 v2, v173, v2
	s_waitcnt vmcnt(0)
	v_sub_f32_e32 v3, v174, v3
	buffer_store_dword v2, off, s[0:3], 0 offset:264
	buffer_store_dword v3, off, s[0:3], 0 offset:268
	v_cmpx_lt_u32_e32 32, v0
	s_cbranch_execz .LBB50_255
; %bb.254:
	s_clause 0x1
	buffer_load_dword v2, off, s[0:3], 0 offset:256
	buffer_load_dword v3, off, s[0:3], 0 offset:260
	buffer_store_dword v1, off, s[0:3], 0 offset:256
	buffer_store_dword v1, off, s[0:3], 0 offset:260
	s_waitcnt vmcnt(0)
	ds_write_b64 v111, v[2:3]
.LBB50_255:
	s_or_b32 exec_lo, exec_lo, s4
	s_waitcnt lgkmcnt(0)
	s_waitcnt_vscnt null, 0x0
	s_barrier
	buffer_gl0_inv
	s_clause 0x25
	buffer_load_dword v6, off, s[0:3], 0 offset:268
	buffer_load_dword v7, off, s[0:3], 0 offset:276
	buffer_load_dword v8, off, s[0:3], 0 offset:284
	buffer_load_dword v144, off, s[0:3], 0 offset:292
	buffer_load_dword v145, off, s[0:3], 0 offset:300
	buffer_load_dword v146, off, s[0:3], 0 offset:308
	buffer_load_dword v147, off, s[0:3], 0 offset:316
	buffer_load_dword v148, off, s[0:3], 0 offset:324
	buffer_load_dword v149, off, s[0:3], 0 offset:332
	buffer_load_dword v150, off, s[0:3], 0 offset:340
	buffer_load_dword v151, off, s[0:3], 0 offset:348
	buffer_load_dword v152, off, s[0:3], 0 offset:356
	buffer_load_dword v153, off, s[0:3], 0 offset:364
	buffer_load_dword v154, off, s[0:3], 0 offset:372
	buffer_load_dword v155, off, s[0:3], 0 offset:380
	buffer_load_dword v156, off, s[0:3], 0 offset:388
	buffer_load_dword v157, off, s[0:3], 0 offset:396
	buffer_load_dword v158, off, s[0:3], 0 offset:404
	buffer_load_dword v159, off, s[0:3], 0 offset:264
	buffer_load_dword v160, off, s[0:3], 0 offset:272
	buffer_load_dword v161, off, s[0:3], 0 offset:280
	buffer_load_dword v162, off, s[0:3], 0 offset:288
	buffer_load_dword v163, off, s[0:3], 0 offset:296
	buffer_load_dword v164, off, s[0:3], 0 offset:304
	buffer_load_dword v165, off, s[0:3], 0 offset:312
	buffer_load_dword v166, off, s[0:3], 0 offset:320
	buffer_load_dword v167, off, s[0:3], 0 offset:328
	buffer_load_dword v168, off, s[0:3], 0 offset:336
	buffer_load_dword v169, off, s[0:3], 0 offset:344
	buffer_load_dword v170, off, s[0:3], 0 offset:352
	buffer_load_dword v171, off, s[0:3], 0 offset:360
	buffer_load_dword v172, off, s[0:3], 0 offset:368
	buffer_load_dword v173, off, s[0:3], 0 offset:376
	buffer_load_dword v174, off, s[0:3], 0 offset:384
	buffer_load_dword v175, off, s[0:3], 0 offset:392
	buffer_load_dword v176, off, s[0:3], 0 offset:400
	buffer_load_dword v177, off, s[0:3], 0 offset:256
	buffer_load_dword v178, off, s[0:3], 0 offset:260
	ds_read2_b64 v[2:5], v1 offset0:85 offset1:86
	ds_read2_b64 v[112:115], v1 offset0:87 offset1:88
	;; [unrolled: 1-line block ×9, first 2 shown]
	s_mov_b32 s4, exec_lo
	s_waitcnt vmcnt(37) lgkmcnt(8)
	v_mul_f32_e32 v1, v2, v6
	v_mul_f32_e32 v6, v3, v6
	s_waitcnt vmcnt(36)
	v_mul_f32_e32 v179, v4, v7
	v_mul_f32_e32 v7, v5, v7
	s_waitcnt vmcnt(35) lgkmcnt(7)
	v_mul_f32_e32 v180, v112, v8
	s_waitcnt vmcnt(34)
	v_mul_f32_e32 v181, v114, v144
	s_waitcnt vmcnt(33) lgkmcnt(6)
	v_mul_f32_e32 v182, v116, v145
	s_waitcnt vmcnt(32)
	v_mul_f32_e32 v183, v118, v146
	s_waitcnt vmcnt(31) lgkmcnt(5)
	v_mul_f32_e32 v184, v120, v147
	s_waitcnt vmcnt(30)
	v_mul_f32_e32 v185, v122, v148
	s_waitcnt vmcnt(29) lgkmcnt(4)
	v_mul_f32_e32 v186, v124, v149
	s_waitcnt vmcnt(28)
	v_mul_f32_e32 v187, v126, v150
	s_waitcnt vmcnt(27) lgkmcnt(3)
	v_mul_f32_e32 v188, v128, v151
	s_waitcnt vmcnt(26)
	v_mul_f32_e32 v189, v130, v152
	s_waitcnt vmcnt(25) lgkmcnt(2)
	v_mul_f32_e32 v190, v132, v153
	s_waitcnt vmcnt(24)
	v_mul_f32_e32 v191, v134, v154
	s_waitcnt vmcnt(23) lgkmcnt(1)
	v_mul_f32_e32 v192, v136, v155
	s_waitcnt vmcnt(22)
	v_mul_f32_e32 v193, v138, v156
	s_waitcnt vmcnt(19)
	v_fma_f32 v2, v2, v159, -v6
	v_fmac_f32_e32 v1, v3, v159
	v_mul_f32_e32 v3, v113, v8
	s_waitcnt vmcnt(18)
	v_fma_f32 v4, v4, v160, -v7
	v_fmac_f32_e32 v179, v5, v160
	v_add_f32_e32 v2, 0, v2
	v_add_f32_e32 v1, 0, v1
	v_mul_f32_e32 v5, v115, v144
	s_waitcnt vmcnt(17)
	v_fma_f32 v3, v112, v161, -v3
	v_fmac_f32_e32 v180, v113, v161
	v_add_f32_e32 v2, v2, v4
	v_add_f32_e32 v1, v1, v179
	;; [unrolled: 6-line block ×14, first 2 shown]
	s_waitcnt lgkmcnt(0)
	v_mul_f32_e32 v4, v141, v157
	s_waitcnt vmcnt(4)
	v_fma_f32 v5, v138, v174, -v5
	v_mul_f32_e32 v194, v140, v157
	v_add_f32_e32 v2, v2, v3
	v_fmac_f32_e32 v193, v139, v174
	v_add_f32_e32 v1, v1, v192
	v_mul_f32_e32 v3, v143, v158
	s_waitcnt vmcnt(3)
	v_fma_f32 v4, v140, v175, -v4
	v_add_f32_e32 v2, v2, v5
	v_mul_f32_e32 v195, v142, v158
	v_fmac_f32_e32 v194, v141, v175
	v_add_f32_e32 v1, v1, v193
	s_waitcnt vmcnt(2)
	v_fma_f32 v3, v142, v176, -v3
	v_add_f32_e32 v2, v2, v4
	v_fmac_f32_e32 v195, v143, v176
	v_add_f32_e32 v1, v1, v194
	v_add_f32_e32 v2, v2, v3
	;; [unrolled: 1-line block ×3, first 2 shown]
	s_waitcnt vmcnt(1)
	v_sub_f32_e32 v2, v177, v2
	s_waitcnt vmcnt(0)
	v_sub_f32_e32 v1, v178, v1
	buffer_store_dword v2, off, s[0:3], 0 offset:256
	buffer_store_dword v1, off, s[0:3], 0 offset:260
	v_cmpx_lt_u32_e32 31, v0
	s_cbranch_execz .LBB50_257
; %bb.256:
	s_clause 0x1
	buffer_load_dword v1, off, s[0:3], 0 offset:248
	buffer_load_dword v2, off, s[0:3], 0 offset:252
	v_mov_b32_e32 v3, 0
	buffer_store_dword v3, off, s[0:3], 0 offset:248
	buffer_store_dword v3, off, s[0:3], 0 offset:252
	s_waitcnt vmcnt(0)
	ds_write_b64 v111, v[1:2]
.LBB50_257:
	s_or_b32 exec_lo, exec_lo, s4
	s_waitcnt lgkmcnt(0)
	s_waitcnt_vscnt null, 0x0
	s_barrier
	buffer_gl0_inv
	s_clause 0x27
	buffer_load_dword v8, off, s[0:3], 0 offset:260
	buffer_load_dword v144, off, s[0:3], 0 offset:268
	;; [unrolled: 1-line block ×40, first 2 shown]
	v_mov_b32_e32 v1, 0
	ds_read_b128 v[2:5], v1 offset:672
	ds_read_b128 v[112:115], v1 offset:688
	;; [unrolled: 1-line block ×9, first 2 shown]
	ds_read_b64 v[6:7], v1 offset:816
	s_mov_b32 s4, exec_lo
	s_waitcnt vmcnt(39) lgkmcnt(9)
	v_mul_f32_e32 v183, v2, v8
	v_mul_f32_e32 v8, v3, v8
	s_waitcnt vmcnt(38)
	v_mul_f32_e32 v184, v4, v144
	v_mul_f32_e32 v144, v5, v144
	s_waitcnt vmcnt(37) lgkmcnt(8)
	v_mul_f32_e32 v185, v112, v145
	s_waitcnt vmcnt(36)
	v_mul_f32_e32 v186, v114, v146
	s_waitcnt vmcnt(35) lgkmcnt(7)
	v_mul_f32_e32 v187, v116, v147
	s_waitcnt vmcnt(34)
	;; [unrolled: 4-line block ×8, first 2 shown]
	v_fma_f32 v2, v2, v162, -v8
	v_fmac_f32_e32 v183, v3, v162
	v_mul_f32_e32 v3, v113, v145
	s_waitcnt vmcnt(19)
	v_fma_f32 v4, v4, v163, -v144
	v_fmac_f32_e32 v184, v5, v163
	v_add_f32_e32 v2, 0, v2
	v_add_f32_e32 v5, 0, v183
	v_mul_f32_e32 v8, v115, v146
	s_waitcnt vmcnt(18)
	v_fma_f32 v3, v112, v164, -v3
	v_fmac_f32_e32 v185, v113, v164
	v_add_f32_e32 v2, v2, v4
	v_add_f32_e32 v4, v5, v184
	;; [unrolled: 6-line block ×15, first 2 shown]
	v_mul_f32_e32 v4, v143, v160
	s_waitcnt vmcnt(4)
	v_fma_f32 v5, v140, v178, -v5
	v_mul_f32_e32 v200, v142, v160
	v_add_f32_e32 v2, v2, v8
	v_fmac_f32_e32 v199, v141, v178
	v_add_f32_e32 v3, v3, v198
	s_waitcnt lgkmcnt(0)
	v_mul_f32_e32 v8, v7, v161
	s_waitcnt vmcnt(3)
	v_fma_f32 v4, v142, v179, -v4
	v_add_f32_e32 v2, v2, v5
	v_mul_f32_e32 v201, v6, v161
	v_fmac_f32_e32 v200, v143, v179
	v_add_f32_e32 v3, v3, v199
	s_waitcnt vmcnt(2)
	v_fma_f32 v5, v6, v180, -v8
	v_add_f32_e32 v2, v2, v4
	v_fmac_f32_e32 v201, v7, v180
	v_add_f32_e32 v3, v3, v200
	v_add_f32_e32 v2, v2, v5
	;; [unrolled: 1-line block ×3, first 2 shown]
	s_waitcnt vmcnt(1)
	v_sub_f32_e32 v2, v181, v2
	s_waitcnt vmcnt(0)
	v_sub_f32_e32 v3, v182, v3
	buffer_store_dword v2, off, s[0:3], 0 offset:248
	buffer_store_dword v3, off, s[0:3], 0 offset:252
	v_cmpx_lt_u32_e32 30, v0
	s_cbranch_execz .LBB50_259
; %bb.258:
	s_clause 0x1
	buffer_load_dword v2, off, s[0:3], 0 offset:240
	buffer_load_dword v3, off, s[0:3], 0 offset:244
	buffer_store_dword v1, off, s[0:3], 0 offset:240
	buffer_store_dword v1, off, s[0:3], 0 offset:244
	s_waitcnt vmcnt(0)
	ds_write_b64 v111, v[2:3]
.LBB50_259:
	s_or_b32 exec_lo, exec_lo, s4
	s_waitcnt lgkmcnt(0)
	s_waitcnt_vscnt null, 0x0
	s_barrier
	buffer_gl0_inv
	s_clause 0x29
	buffer_load_dword v6, off, s[0:3], 0 offset:252
	buffer_load_dword v7, off, s[0:3], 0 offset:260
	;; [unrolled: 1-line block ×42, first 2 shown]
	ds_read2_b64 v[2:5], v1 offset0:83 offset1:84
	ds_read2_b64 v[112:115], v1 offset0:85 offset1:86
	;; [unrolled: 1-line block ×10, first 2 shown]
	s_mov_b32 s4, exec_lo
	s_waitcnt vmcnt(41) lgkmcnt(9)
	v_mul_f32_e32 v1, v2, v6
	v_mul_f32_e32 v6, v3, v6
	s_waitcnt vmcnt(40)
	v_mul_f32_e32 v187, v4, v7
	v_mul_f32_e32 v7, v5, v7
	s_waitcnt vmcnt(39) lgkmcnt(8)
	v_mul_f32_e32 v188, v112, v8
	s_waitcnt vmcnt(38)
	v_mul_f32_e32 v189, v114, v148
	s_waitcnt vmcnt(37) lgkmcnt(7)
	v_mul_f32_e32 v190, v116, v149
	s_waitcnt vmcnt(36)
	;; [unrolled: 4-line block ×8, first 2 shown]
	v_mul_f32_e32 v203, v142, v162
	s_waitcnt vmcnt(21)
	v_fma_f32 v2, v2, v165, -v6
	v_fmac_f32_e32 v1, v3, v165
	v_mul_f32_e32 v3, v113, v8
	s_waitcnt vmcnt(20)
	v_fma_f32 v4, v4, v166, -v7
	v_fmac_f32_e32 v187, v5, v166
	v_add_f32_e32 v2, 0, v2
	v_add_f32_e32 v1, 0, v1
	v_mul_f32_e32 v5, v115, v148
	s_waitcnt vmcnt(19)
	v_fma_f32 v3, v112, v167, -v3
	v_fmac_f32_e32 v188, v113, v167
	v_add_f32_e32 v2, v2, v4
	v_add_f32_e32 v1, v1, v187
	;; [unrolled: 6-line block ×16, first 2 shown]
	s_waitcnt lgkmcnt(0)
	v_mul_f32_e32 v5, v145, v163
	s_waitcnt vmcnt(4)
	v_fma_f32 v3, v142, v182, -v3
	v_mul_f32_e32 v204, v144, v163
	v_add_f32_e32 v2, v2, v4
	v_fmac_f32_e32 v203, v143, v182
	v_add_f32_e32 v1, v1, v202
	v_mul_f32_e32 v4, v147, v164
	s_waitcnt vmcnt(3)
	v_fma_f32 v5, v144, v183, -v5
	v_add_f32_e32 v2, v2, v3
	v_mul_f32_e32 v205, v146, v164
	v_fmac_f32_e32 v204, v145, v183
	v_add_f32_e32 v1, v1, v203
	s_waitcnt vmcnt(2)
	v_fma_f32 v3, v146, v184, -v4
	v_add_f32_e32 v2, v2, v5
	v_fmac_f32_e32 v205, v147, v184
	v_add_f32_e32 v1, v1, v204
	v_add_f32_e32 v2, v2, v3
	;; [unrolled: 1-line block ×3, first 2 shown]
	s_waitcnt vmcnt(1)
	v_sub_f32_e32 v2, v185, v2
	s_waitcnt vmcnt(0)
	v_sub_f32_e32 v1, v186, v1
	buffer_store_dword v2, off, s[0:3], 0 offset:240
	buffer_store_dword v1, off, s[0:3], 0 offset:244
	v_cmpx_lt_u32_e32 29, v0
	s_cbranch_execz .LBB50_261
; %bb.260:
	s_clause 0x1
	buffer_load_dword v1, off, s[0:3], 0 offset:232
	buffer_load_dword v2, off, s[0:3], 0 offset:236
	v_mov_b32_e32 v3, 0
	buffer_store_dword v3, off, s[0:3], 0 offset:232
	buffer_store_dword v3, off, s[0:3], 0 offset:236
	s_waitcnt vmcnt(0)
	ds_write_b64 v111, v[1:2]
.LBB50_261:
	s_or_b32 exec_lo, exec_lo, s4
	s_waitcnt lgkmcnt(0)
	s_waitcnt_vscnt null, 0x0
	s_barrier
	buffer_gl0_inv
	s_clause 0x2b
	buffer_load_dword v8, off, s[0:3], 0 offset:244
	buffer_load_dword v148, off, s[0:3], 0 offset:252
	;; [unrolled: 1-line block ×44, first 2 shown]
	v_mov_b32_e32 v1, 0
	ds_read_b128 v[2:5], v1 offset:656
	ds_read_b128 v[112:115], v1 offset:672
	;; [unrolled: 1-line block ×10, first 2 shown]
	ds_read_b64 v[6:7], v1 offset:816
	s_mov_b32 s4, exec_lo
	s_waitcnt vmcnt(43) lgkmcnt(10)
	v_mul_f32_e32 v191, v2, v8
	v_mul_f32_e32 v8, v3, v8
	s_waitcnt vmcnt(42)
	v_mul_f32_e32 v192, v4, v148
	v_mul_f32_e32 v148, v5, v148
	s_waitcnt vmcnt(41) lgkmcnt(9)
	v_mul_f32_e32 v193, v112, v149
	s_waitcnt vmcnt(40)
	v_mul_f32_e32 v194, v114, v150
	s_waitcnt vmcnt(39) lgkmcnt(8)
	v_mul_f32_e32 v195, v116, v151
	s_waitcnt vmcnt(38)
	;; [unrolled: 4-line block ×9, first 2 shown]
	v_fma_f32 v2, v2, v168, -v8
	v_fmac_f32_e32 v191, v3, v168
	v_mul_f32_e32 v3, v113, v149
	s_waitcnt vmcnt(21)
	v_fma_f32 v4, v4, v169, -v148
	v_fmac_f32_e32 v192, v5, v169
	v_add_f32_e32 v2, 0, v2
	v_add_f32_e32 v5, 0, v191
	v_mul_f32_e32 v8, v115, v150
	s_waitcnt vmcnt(20)
	v_fma_f32 v3, v112, v170, -v3
	v_fmac_f32_e32 v193, v113, v170
	v_add_f32_e32 v2, v2, v4
	v_add_f32_e32 v4, v5, v192
	;; [unrolled: 6-line block ×17, first 2 shown]
	v_mul_f32_e32 v5, v147, v166
	s_waitcnt vmcnt(4)
	v_fma_f32 v8, v144, v186, -v8
	v_mul_f32_e32 v210, v146, v166
	v_add_f32_e32 v2, v2, v4
	v_fmac_f32_e32 v209, v145, v186
	v_add_f32_e32 v3, v3, v208
	s_waitcnt lgkmcnt(0)
	v_mul_f32_e32 v4, v7, v167
	s_waitcnt vmcnt(3)
	v_fma_f32 v5, v146, v187, -v5
	v_add_f32_e32 v2, v2, v8
	v_mul_f32_e32 v211, v6, v167
	v_fmac_f32_e32 v210, v147, v187
	v_add_f32_e32 v3, v3, v209
	s_waitcnt vmcnt(2)
	v_fma_f32 v4, v6, v188, -v4
	v_add_f32_e32 v2, v2, v5
	v_fmac_f32_e32 v211, v7, v188
	v_add_f32_e32 v3, v3, v210
	v_add_f32_e32 v2, v2, v4
	;; [unrolled: 1-line block ×3, first 2 shown]
	s_waitcnt vmcnt(1)
	v_sub_f32_e32 v2, v189, v2
	s_waitcnt vmcnt(0)
	v_sub_f32_e32 v3, v190, v3
	buffer_store_dword v2, off, s[0:3], 0 offset:232
	buffer_store_dword v3, off, s[0:3], 0 offset:236
	v_cmpx_lt_u32_e32 28, v0
	s_cbranch_execz .LBB50_263
; %bb.262:
	s_clause 0x1
	buffer_load_dword v2, off, s[0:3], 0 offset:224
	buffer_load_dword v3, off, s[0:3], 0 offset:228
	buffer_store_dword v1, off, s[0:3], 0 offset:224
	buffer_store_dword v1, off, s[0:3], 0 offset:228
	s_waitcnt vmcnt(0)
	ds_write_b64 v111, v[2:3]
.LBB50_263:
	s_or_b32 exec_lo, exec_lo, s4
	s_waitcnt lgkmcnt(0)
	s_waitcnt_vscnt null, 0x0
	s_barrier
	buffer_gl0_inv
	s_clause 0x2d
	buffer_load_dword v6, off, s[0:3], 0 offset:236
	buffer_load_dword v7, off, s[0:3], 0 offset:244
	;; [unrolled: 1-line block ×46, first 2 shown]
	ds_read2_b64 v[2:5], v1 offset0:81 offset1:82
	ds_read2_b64 v[112:115], v1 offset0:83 offset1:84
	;; [unrolled: 1-line block ×11, first 2 shown]
	s_mov_b32 s4, exec_lo
	s_waitcnt vmcnt(45) lgkmcnt(10)
	v_mul_f32_e32 v1, v2, v6
	v_mul_f32_e32 v6, v3, v6
	s_waitcnt vmcnt(44)
	v_mul_f32_e32 v195, v4, v7
	v_mul_f32_e32 v7, v5, v7
	s_waitcnt vmcnt(43) lgkmcnt(9)
	v_mul_f32_e32 v196, v112, v8
	s_waitcnt vmcnt(42)
	v_mul_f32_e32 v197, v114, v152
	s_waitcnt vmcnt(41) lgkmcnt(8)
	v_mul_f32_e32 v198, v116, v153
	s_waitcnt vmcnt(40)
	;; [unrolled: 4-line block ×9, first 2 shown]
	v_mul_f32_e32 v213, v146, v168
	s_waitcnt vmcnt(23)
	v_fma_f32 v2, v2, v171, -v6
	v_fmac_f32_e32 v1, v3, v171
	v_mul_f32_e32 v3, v113, v8
	s_waitcnt vmcnt(22)
	v_fma_f32 v4, v4, v172, -v7
	v_fmac_f32_e32 v195, v5, v172
	v_add_f32_e32 v2, 0, v2
	v_add_f32_e32 v1, 0, v1
	v_mul_f32_e32 v5, v115, v152
	s_waitcnt vmcnt(21)
	v_fma_f32 v3, v112, v173, -v3
	v_fmac_f32_e32 v196, v113, v173
	v_add_f32_e32 v2, v2, v4
	v_add_f32_e32 v1, v1, v195
	;; [unrolled: 6-line block ×18, first 2 shown]
	s_waitcnt lgkmcnt(0)
	v_mul_f32_e32 v3, v149, v169
	s_waitcnt vmcnt(4)
	v_fma_f32 v4, v146, v190, -v4
	v_mul_f32_e32 v214, v148, v169
	v_add_f32_e32 v2, v2, v5
	v_fmac_f32_e32 v213, v147, v190
	v_add_f32_e32 v1, v1, v212
	v_mul_f32_e32 v5, v151, v170
	s_waitcnt vmcnt(3)
	v_fma_f32 v3, v148, v191, -v3
	v_add_f32_e32 v2, v2, v4
	v_mul_f32_e32 v215, v150, v170
	v_fmac_f32_e32 v214, v149, v191
	v_add_f32_e32 v1, v1, v213
	s_waitcnt vmcnt(2)
	v_fma_f32 v4, v150, v192, -v5
	v_add_f32_e32 v2, v2, v3
	v_fmac_f32_e32 v215, v151, v192
	v_add_f32_e32 v1, v1, v214
	v_add_f32_e32 v2, v2, v4
	;; [unrolled: 1-line block ×3, first 2 shown]
	s_waitcnt vmcnt(1)
	v_sub_f32_e32 v2, v193, v2
	s_waitcnt vmcnt(0)
	v_sub_f32_e32 v1, v194, v1
	buffer_store_dword v2, off, s[0:3], 0 offset:224
	buffer_store_dword v1, off, s[0:3], 0 offset:228
	v_cmpx_lt_u32_e32 27, v0
	s_cbranch_execz .LBB50_265
; %bb.264:
	s_clause 0x1
	buffer_load_dword v1, off, s[0:3], 0 offset:216
	buffer_load_dword v2, off, s[0:3], 0 offset:220
	v_mov_b32_e32 v3, 0
	buffer_store_dword v3, off, s[0:3], 0 offset:216
	buffer_store_dword v3, off, s[0:3], 0 offset:220
	s_waitcnt vmcnt(0)
	ds_write_b64 v111, v[1:2]
.LBB50_265:
	s_or_b32 exec_lo, exec_lo, s4
	s_waitcnt lgkmcnt(0)
	s_waitcnt_vscnt null, 0x0
	s_barrier
	buffer_gl0_inv
	s_clause 0x2f
	buffer_load_dword v8, off, s[0:3], 0 offset:228
	buffer_load_dword v152, off, s[0:3], 0 offset:236
	;; [unrolled: 1-line block ×48, first 2 shown]
	v_mov_b32_e32 v1, 0
	ds_read_b128 v[2:5], v1 offset:640
	ds_read_b128 v[112:115], v1 offset:656
	;; [unrolled: 1-line block ×11, first 2 shown]
	ds_read_b64 v[6:7], v1 offset:816
	s_mov_b32 s4, exec_lo
	s_waitcnt vmcnt(47) lgkmcnt(11)
	v_mul_f32_e32 v199, v2, v8
	v_mul_f32_e32 v8, v3, v8
	s_waitcnt vmcnt(46)
	v_mul_f32_e32 v200, v4, v152
	v_mul_f32_e32 v152, v5, v152
	s_waitcnt vmcnt(45) lgkmcnt(10)
	v_mul_f32_e32 v201, v112, v153
	s_waitcnt vmcnt(44)
	v_mul_f32_e32 v202, v114, v154
	s_waitcnt vmcnt(43) lgkmcnt(9)
	v_mul_f32_e32 v203, v116, v155
	s_waitcnt vmcnt(42)
	;; [unrolled: 4-line block ×10, first 2 shown]
	v_fma_f32 v2, v2, v174, -v8
	v_fmac_f32_e32 v199, v3, v174
	v_mul_f32_e32 v3, v113, v153
	s_waitcnt vmcnt(23)
	v_fma_f32 v4, v4, v175, -v152
	v_fmac_f32_e32 v200, v5, v175
	v_add_f32_e32 v2, 0, v2
	v_add_f32_e32 v5, 0, v199
	v_mul_f32_e32 v8, v115, v154
	s_waitcnt vmcnt(22)
	v_fma_f32 v3, v112, v176, -v3
	v_fmac_f32_e32 v201, v113, v176
	v_add_f32_e32 v2, v2, v4
	v_add_f32_e32 v4, v5, v200
	;; [unrolled: 6-line block ×19, first 2 shown]
	v_mul_f32_e32 v8, v151, v172
	s_waitcnt vmcnt(4)
	v_fma_f32 v4, v148, v194, -v4
	v_mul_f32_e32 v220, v150, v172
	v_add_f32_e32 v2, v2, v5
	v_fmac_f32_e32 v219, v149, v194
	v_add_f32_e32 v3, v3, v218
	s_waitcnt lgkmcnt(0)
	v_mul_f32_e32 v5, v7, v173
	s_waitcnt vmcnt(3)
	v_fma_f32 v8, v150, v195, -v8
	v_add_f32_e32 v2, v2, v4
	v_mul_f32_e32 v221, v6, v173
	v_fmac_f32_e32 v220, v151, v195
	v_add_f32_e32 v3, v3, v219
	s_waitcnt vmcnt(2)
	v_fma_f32 v4, v6, v196, -v5
	v_add_f32_e32 v2, v2, v8
	v_fmac_f32_e32 v221, v7, v196
	v_add_f32_e32 v3, v3, v220
	v_add_f32_e32 v2, v2, v4
	;; [unrolled: 1-line block ×3, first 2 shown]
	s_waitcnt vmcnt(1)
	v_sub_f32_e32 v2, v197, v2
	s_waitcnt vmcnt(0)
	v_sub_f32_e32 v3, v198, v3
	buffer_store_dword v2, off, s[0:3], 0 offset:216
	buffer_store_dword v3, off, s[0:3], 0 offset:220
	v_cmpx_lt_u32_e32 26, v0
	s_cbranch_execz .LBB50_267
; %bb.266:
	s_clause 0x1
	buffer_load_dword v2, off, s[0:3], 0 offset:208
	buffer_load_dword v3, off, s[0:3], 0 offset:212
	buffer_store_dword v1, off, s[0:3], 0 offset:208
	buffer_store_dword v1, off, s[0:3], 0 offset:212
	s_waitcnt vmcnt(0)
	ds_write_b64 v111, v[2:3]
.LBB50_267:
	s_or_b32 exec_lo, exec_lo, s4
	s_waitcnt lgkmcnt(0)
	s_waitcnt_vscnt null, 0x0
	s_barrier
	buffer_gl0_inv
	s_clause 0x31
	buffer_load_dword v6, off, s[0:3], 0 offset:220
	buffer_load_dword v7, off, s[0:3], 0 offset:228
	buffer_load_dword v8, off, s[0:3], 0 offset:236
	buffer_load_dword v156, off, s[0:3], 0 offset:244
	buffer_load_dword v157, off, s[0:3], 0 offset:252
	buffer_load_dword v158, off, s[0:3], 0 offset:260
	buffer_load_dword v159, off, s[0:3], 0 offset:268
	buffer_load_dword v160, off, s[0:3], 0 offset:276
	buffer_load_dword v161, off, s[0:3], 0 offset:284
	buffer_load_dword v162, off, s[0:3], 0 offset:292
	buffer_load_dword v163, off, s[0:3], 0 offset:300
	buffer_load_dword v164, off, s[0:3], 0 offset:308
	buffer_load_dword v165, off, s[0:3], 0 offset:316
	buffer_load_dword v166, off, s[0:3], 0 offset:324
	buffer_load_dword v167, off, s[0:3], 0 offset:332
	buffer_load_dword v168, off, s[0:3], 0 offset:340
	buffer_load_dword v169, off, s[0:3], 0 offset:348
	buffer_load_dword v170, off, s[0:3], 0 offset:356
	buffer_load_dword v171, off, s[0:3], 0 offset:364
	buffer_load_dword v172, off, s[0:3], 0 offset:372
	buffer_load_dword v173, off, s[0:3], 0 offset:380
	buffer_load_dword v174, off, s[0:3], 0 offset:388
	buffer_load_dword v175, off, s[0:3], 0 offset:396
	buffer_load_dword v176, off, s[0:3], 0 offset:404
	buffer_load_dword v177, off, s[0:3], 0 offset:216
	buffer_load_dword v178, off, s[0:3], 0 offset:224
	buffer_load_dword v179, off, s[0:3], 0 offset:232
	buffer_load_dword v180, off, s[0:3], 0 offset:240
	buffer_load_dword v181, off, s[0:3], 0 offset:248
	buffer_load_dword v182, off, s[0:3], 0 offset:256
	buffer_load_dword v183, off, s[0:3], 0 offset:264
	buffer_load_dword v184, off, s[0:3], 0 offset:272
	buffer_load_dword v185, off, s[0:3], 0 offset:280
	buffer_load_dword v186, off, s[0:3], 0 offset:288
	buffer_load_dword v187, off, s[0:3], 0 offset:296
	buffer_load_dword v188, off, s[0:3], 0 offset:304
	buffer_load_dword v189, off, s[0:3], 0 offset:312
	buffer_load_dword v190, off, s[0:3], 0 offset:320
	buffer_load_dword v191, off, s[0:3], 0 offset:328
	buffer_load_dword v192, off, s[0:3], 0 offset:336
	buffer_load_dword v193, off, s[0:3], 0 offset:344
	buffer_load_dword v194, off, s[0:3], 0 offset:352
	buffer_load_dword v195, off, s[0:3], 0 offset:360
	buffer_load_dword v196, off, s[0:3], 0 offset:368
	buffer_load_dword v197, off, s[0:3], 0 offset:376
	buffer_load_dword v198, off, s[0:3], 0 offset:384
	buffer_load_dword v199, off, s[0:3], 0 offset:392
	buffer_load_dword v200, off, s[0:3], 0 offset:400
	buffer_load_dword v201, off, s[0:3], 0 offset:208
	buffer_load_dword v202, off, s[0:3], 0 offset:212
	ds_read2_b64 v[2:5], v1 offset0:79 offset1:80
	ds_read2_b64 v[112:115], v1 offset0:81 offset1:82
	;; [unrolled: 1-line block ×12, first 2 shown]
	s_mov_b32 s4, exec_lo
	s_waitcnt vmcnt(49) lgkmcnt(11)
	v_mul_f32_e32 v1, v2, v6
	v_mul_f32_e32 v6, v3, v6
	s_waitcnt vmcnt(48)
	v_mul_f32_e32 v203, v4, v7
	v_mul_f32_e32 v7, v5, v7
	s_waitcnt vmcnt(47) lgkmcnt(10)
	v_mul_f32_e32 v204, v112, v8
	s_waitcnt vmcnt(46)
	v_mul_f32_e32 v205, v114, v156
	s_waitcnt vmcnt(45) lgkmcnt(9)
	v_mul_f32_e32 v206, v116, v157
	s_waitcnt vmcnt(44)
	;; [unrolled: 4-line block ×10, first 2 shown]
	v_mul_f32_e32 v223, v150, v174
	s_waitcnt vmcnt(25)
	v_fma_f32 v2, v2, v177, -v6
	v_fmac_f32_e32 v1, v3, v177
	v_mul_f32_e32 v3, v113, v8
	s_waitcnt vmcnt(24)
	v_fma_f32 v4, v4, v178, -v7
	v_fmac_f32_e32 v203, v5, v178
	v_add_f32_e32 v2, 0, v2
	v_add_f32_e32 v1, 0, v1
	v_mul_f32_e32 v5, v115, v156
	s_waitcnt vmcnt(23)
	v_fma_f32 v3, v112, v179, -v3
	v_fmac_f32_e32 v204, v113, v179
	v_add_f32_e32 v2, v2, v4
	v_add_f32_e32 v1, v1, v203
	;; [unrolled: 6-line block ×20, first 2 shown]
	s_waitcnt lgkmcnt(0)
	v_mul_f32_e32 v4, v153, v175
	s_waitcnt vmcnt(4)
	v_fma_f32 v5, v150, v198, -v5
	v_mul_f32_e32 v224, v152, v175
	v_add_f32_e32 v2, v2, v3
	v_fmac_f32_e32 v223, v151, v198
	v_add_f32_e32 v1, v1, v222
	v_mul_f32_e32 v3, v155, v176
	s_waitcnt vmcnt(3)
	v_fma_f32 v4, v152, v199, -v4
	v_add_f32_e32 v2, v2, v5
	v_mul_f32_e32 v225, v154, v176
	v_fmac_f32_e32 v224, v153, v199
	v_add_f32_e32 v1, v1, v223
	s_waitcnt vmcnt(2)
	v_fma_f32 v3, v154, v200, -v3
	v_add_f32_e32 v2, v2, v4
	v_fmac_f32_e32 v225, v155, v200
	v_add_f32_e32 v1, v1, v224
	v_add_f32_e32 v2, v2, v3
	;; [unrolled: 1-line block ×3, first 2 shown]
	s_waitcnt vmcnt(1)
	v_sub_f32_e32 v2, v201, v2
	s_waitcnt vmcnt(0)
	v_sub_f32_e32 v1, v202, v1
	buffer_store_dword v2, off, s[0:3], 0 offset:208
	buffer_store_dword v1, off, s[0:3], 0 offset:212
	v_cmpx_lt_u32_e32 25, v0
	s_cbranch_execz .LBB50_269
; %bb.268:
	s_clause 0x1
	buffer_load_dword v1, off, s[0:3], 0 offset:200
	buffer_load_dword v2, off, s[0:3], 0 offset:204
	v_mov_b32_e32 v3, 0
	buffer_store_dword v3, off, s[0:3], 0 offset:200
	buffer_store_dword v3, off, s[0:3], 0 offset:204
	s_waitcnt vmcnt(0)
	ds_write_b64 v111, v[1:2]
.LBB50_269:
	s_or_b32 exec_lo, exec_lo, s4
	s_waitcnt lgkmcnt(0)
	s_waitcnt_vscnt null, 0x0
	s_barrier
	buffer_gl0_inv
	s_clause 0x33
	buffer_load_dword v8, off, s[0:3], 0 offset:212
	buffer_load_dword v156, off, s[0:3], 0 offset:220
	;; [unrolled: 1-line block ×52, first 2 shown]
	v_mov_b32_e32 v1, 0
	ds_read_b128 v[2:5], v1 offset:624
	ds_read_b128 v[112:115], v1 offset:640
	;; [unrolled: 1-line block ×12, first 2 shown]
	ds_read_b64 v[6:7], v1 offset:816
	s_mov_b32 s4, exec_lo
	s_waitcnt vmcnt(51) lgkmcnt(12)
	v_mul_f32_e32 v207, v2, v8
	v_mul_f32_e32 v8, v3, v8
	s_waitcnt vmcnt(50)
	v_mul_f32_e32 v208, v4, v156
	v_mul_f32_e32 v156, v5, v156
	s_waitcnt vmcnt(49) lgkmcnt(11)
	v_mul_f32_e32 v209, v112, v157
	s_waitcnt vmcnt(48)
	v_mul_f32_e32 v210, v114, v158
	s_waitcnt vmcnt(47) lgkmcnt(10)
	v_mul_f32_e32 v211, v116, v159
	s_waitcnt vmcnt(46)
	;; [unrolled: 4-line block ×11, first 2 shown]
	v_fma_f32 v2, v2, v180, -v8
	v_fmac_f32_e32 v207, v3, v180
	v_mul_f32_e32 v3, v113, v157
	s_waitcnt vmcnt(25)
	v_fma_f32 v4, v4, v181, -v156
	v_fmac_f32_e32 v208, v5, v181
	v_add_f32_e32 v2, 0, v2
	v_add_f32_e32 v5, 0, v207
	v_mul_f32_e32 v8, v115, v158
	s_waitcnt vmcnt(24)
	v_fma_f32 v3, v112, v182, -v3
	v_fmac_f32_e32 v209, v113, v182
	v_add_f32_e32 v2, v2, v4
	v_add_f32_e32 v4, v5, v208
	;; [unrolled: 6-line block ×21, first 2 shown]
	v_mul_f32_e32 v4, v155, v178
	s_waitcnt vmcnt(4)
	v_fma_f32 v5, v152, v202, -v5
	v_mul_f32_e32 v230, v154, v178
	v_add_f32_e32 v2, v2, v8
	v_fmac_f32_e32 v229, v153, v202
	v_add_f32_e32 v3, v3, v228
	s_waitcnt lgkmcnt(0)
	v_mul_f32_e32 v8, v7, v179
	s_waitcnt vmcnt(3)
	v_fma_f32 v4, v154, v203, -v4
	v_add_f32_e32 v2, v2, v5
	v_mul_f32_e32 v231, v6, v179
	v_fmac_f32_e32 v230, v155, v203
	v_add_f32_e32 v3, v3, v229
	s_waitcnt vmcnt(2)
	v_fma_f32 v5, v6, v204, -v8
	v_add_f32_e32 v2, v2, v4
	v_fmac_f32_e32 v231, v7, v204
	v_add_f32_e32 v3, v3, v230
	v_add_f32_e32 v2, v2, v5
	;; [unrolled: 1-line block ×3, first 2 shown]
	s_waitcnt vmcnt(1)
	v_sub_f32_e32 v2, v205, v2
	s_waitcnt vmcnt(0)
	v_sub_f32_e32 v3, v206, v3
	buffer_store_dword v2, off, s[0:3], 0 offset:200
	buffer_store_dword v3, off, s[0:3], 0 offset:204
	v_cmpx_lt_u32_e32 24, v0
	s_cbranch_execz .LBB50_271
; %bb.270:
	s_clause 0x1
	buffer_load_dword v2, off, s[0:3], 0 offset:192
	buffer_load_dword v3, off, s[0:3], 0 offset:196
	buffer_store_dword v1, off, s[0:3], 0 offset:192
	buffer_store_dword v1, off, s[0:3], 0 offset:196
	s_waitcnt vmcnt(0)
	ds_write_b64 v111, v[2:3]
.LBB50_271:
	s_or_b32 exec_lo, exec_lo, s4
	s_waitcnt lgkmcnt(0)
	s_waitcnt_vscnt null, 0x0
	s_barrier
	buffer_gl0_inv
	s_clause 0x35
	buffer_load_dword v6, off, s[0:3], 0 offset:204
	buffer_load_dword v7, off, s[0:3], 0 offset:212
	buffer_load_dword v8, off, s[0:3], 0 offset:220
	buffer_load_dword v160, off, s[0:3], 0 offset:228
	buffer_load_dword v161, off, s[0:3], 0 offset:236
	buffer_load_dword v162, off, s[0:3], 0 offset:244
	buffer_load_dword v163, off, s[0:3], 0 offset:252
	buffer_load_dword v164, off, s[0:3], 0 offset:260
	buffer_load_dword v165, off, s[0:3], 0 offset:268
	buffer_load_dword v166, off, s[0:3], 0 offset:276
	buffer_load_dword v167, off, s[0:3], 0 offset:284
	buffer_load_dword v168, off, s[0:3], 0 offset:292
	buffer_load_dword v169, off, s[0:3], 0 offset:300
	buffer_load_dword v170, off, s[0:3], 0 offset:308
	buffer_load_dword v171, off, s[0:3], 0 offset:316
	buffer_load_dword v172, off, s[0:3], 0 offset:324
	buffer_load_dword v173, off, s[0:3], 0 offset:332
	buffer_load_dword v174, off, s[0:3], 0 offset:340
	buffer_load_dword v175, off, s[0:3], 0 offset:348
	buffer_load_dword v176, off, s[0:3], 0 offset:356
	buffer_load_dword v177, off, s[0:3], 0 offset:364
	buffer_load_dword v178, off, s[0:3], 0 offset:372
	buffer_load_dword v179, off, s[0:3], 0 offset:380
	buffer_load_dword v180, off, s[0:3], 0 offset:388
	buffer_load_dword v181, off, s[0:3], 0 offset:396
	buffer_load_dword v182, off, s[0:3], 0 offset:404
	buffer_load_dword v183, off, s[0:3], 0 offset:200
	buffer_load_dword v184, off, s[0:3], 0 offset:208
	buffer_load_dword v185, off, s[0:3], 0 offset:216
	buffer_load_dword v186, off, s[0:3], 0 offset:224
	buffer_load_dword v187, off, s[0:3], 0 offset:232
	buffer_load_dword v188, off, s[0:3], 0 offset:240
	buffer_load_dword v189, off, s[0:3], 0 offset:248
	buffer_load_dword v190, off, s[0:3], 0 offset:256
	buffer_load_dword v191, off, s[0:3], 0 offset:264
	buffer_load_dword v192, off, s[0:3], 0 offset:272
	buffer_load_dword v193, off, s[0:3], 0 offset:280
	buffer_load_dword v194, off, s[0:3], 0 offset:288
	buffer_load_dword v195, off, s[0:3], 0 offset:296
	buffer_load_dword v196, off, s[0:3], 0 offset:304
	buffer_load_dword v197, off, s[0:3], 0 offset:312
	buffer_load_dword v198, off, s[0:3], 0 offset:320
	buffer_load_dword v199, off, s[0:3], 0 offset:328
	buffer_load_dword v200, off, s[0:3], 0 offset:336
	buffer_load_dword v201, off, s[0:3], 0 offset:344
	buffer_load_dword v202, off, s[0:3], 0 offset:352
	buffer_load_dword v203, off, s[0:3], 0 offset:360
	buffer_load_dword v204, off, s[0:3], 0 offset:368
	buffer_load_dword v205, off, s[0:3], 0 offset:376
	buffer_load_dword v206, off, s[0:3], 0 offset:384
	buffer_load_dword v207, off, s[0:3], 0 offset:392
	buffer_load_dword v208, off, s[0:3], 0 offset:400
	buffer_load_dword v209, off, s[0:3], 0 offset:192
	buffer_load_dword v210, off, s[0:3], 0 offset:196
	ds_read2_b64 v[2:5], v1 offset0:77 offset1:78
	ds_read2_b64 v[112:115], v1 offset0:79 offset1:80
	;; [unrolled: 1-line block ×13, first 2 shown]
	s_mov_b32 s4, exec_lo
	s_waitcnt vmcnt(53) lgkmcnt(12)
	v_mul_f32_e32 v1, v2, v6
	v_mul_f32_e32 v6, v3, v6
	s_waitcnt vmcnt(52)
	v_mul_f32_e32 v211, v4, v7
	v_mul_f32_e32 v7, v5, v7
	s_waitcnt vmcnt(51) lgkmcnt(11)
	v_mul_f32_e32 v212, v112, v8
	s_waitcnt vmcnt(50)
	v_mul_f32_e32 v213, v114, v160
	s_waitcnt vmcnt(49) lgkmcnt(10)
	v_mul_f32_e32 v214, v116, v161
	s_waitcnt vmcnt(48)
	;; [unrolled: 4-line block ×11, first 2 shown]
	v_mul_f32_e32 v233, v154, v180
	s_waitcnt vmcnt(27)
	v_fma_f32 v2, v2, v183, -v6
	v_fmac_f32_e32 v1, v3, v183
	v_mul_f32_e32 v3, v113, v8
	s_waitcnt vmcnt(26)
	v_fma_f32 v4, v4, v184, -v7
	v_fmac_f32_e32 v211, v5, v184
	v_add_f32_e32 v2, 0, v2
	v_add_f32_e32 v1, 0, v1
	v_mul_f32_e32 v5, v115, v160
	s_waitcnt vmcnt(25)
	v_fma_f32 v3, v112, v185, -v3
	v_fmac_f32_e32 v212, v113, v185
	v_add_f32_e32 v2, v2, v4
	v_add_f32_e32 v1, v1, v211
	;; [unrolled: 6-line block ×22, first 2 shown]
	s_waitcnt lgkmcnt(0)
	v_mul_f32_e32 v5, v157, v181
	s_waitcnt vmcnt(4)
	v_fma_f32 v3, v154, v206, -v3
	v_mul_f32_e32 v234, v156, v181
	v_add_f32_e32 v2, v2, v4
	v_fmac_f32_e32 v233, v155, v206
	v_add_f32_e32 v1, v1, v232
	v_mul_f32_e32 v4, v159, v182
	s_waitcnt vmcnt(3)
	v_fma_f32 v5, v156, v207, -v5
	v_add_f32_e32 v2, v2, v3
	v_mul_f32_e32 v235, v158, v182
	v_fmac_f32_e32 v234, v157, v207
	v_add_f32_e32 v1, v1, v233
	s_waitcnt vmcnt(2)
	v_fma_f32 v3, v158, v208, -v4
	v_add_f32_e32 v2, v2, v5
	v_fmac_f32_e32 v235, v159, v208
	v_add_f32_e32 v1, v1, v234
	v_add_f32_e32 v2, v2, v3
	;; [unrolled: 1-line block ×3, first 2 shown]
	s_waitcnt vmcnt(1)
	v_sub_f32_e32 v2, v209, v2
	s_waitcnt vmcnt(0)
	v_sub_f32_e32 v1, v210, v1
	buffer_store_dword v2, off, s[0:3], 0 offset:192
	buffer_store_dword v1, off, s[0:3], 0 offset:196
	v_cmpx_lt_u32_e32 23, v0
	s_cbranch_execz .LBB50_273
; %bb.272:
	s_clause 0x1
	buffer_load_dword v1, off, s[0:3], 0 offset:184
	buffer_load_dword v2, off, s[0:3], 0 offset:188
	v_mov_b32_e32 v3, 0
	buffer_store_dword v3, off, s[0:3], 0 offset:184
	buffer_store_dword v3, off, s[0:3], 0 offset:188
	s_waitcnt vmcnt(0)
	ds_write_b64 v111, v[1:2]
.LBB50_273:
	s_or_b32 exec_lo, exec_lo, s4
	s_waitcnt lgkmcnt(0)
	s_waitcnt_vscnt null, 0x0
	s_barrier
	buffer_gl0_inv
	s_clause 0x37
	buffer_load_dword v8, off, s[0:3], 0 offset:196
	buffer_load_dword v160, off, s[0:3], 0 offset:204
	;; [unrolled: 1-line block ×56, first 2 shown]
	v_mov_b32_e32 v1, 0
	ds_read_b128 v[2:5], v1 offset:608
	ds_read_b128 v[112:115], v1 offset:624
	;; [unrolled: 1-line block ×13, first 2 shown]
	ds_read_b64 v[6:7], v1 offset:816
	s_mov_b32 s4, exec_lo
	s_waitcnt vmcnt(55) lgkmcnt(13)
	v_mul_f32_e32 v215, v2, v8
	v_mul_f32_e32 v8, v3, v8
	s_waitcnt vmcnt(54)
	v_mul_f32_e32 v216, v4, v160
	v_mul_f32_e32 v160, v5, v160
	s_waitcnt vmcnt(53) lgkmcnt(12)
	v_mul_f32_e32 v217, v112, v161
	s_waitcnt vmcnt(52)
	v_mul_f32_e32 v218, v114, v162
	s_waitcnt vmcnt(51) lgkmcnt(11)
	v_mul_f32_e32 v219, v116, v163
	s_waitcnt vmcnt(50)
	;; [unrolled: 4-line block ×12, first 2 shown]
	v_fma_f32 v2, v2, v186, -v8
	v_fmac_f32_e32 v215, v3, v186
	v_mul_f32_e32 v3, v113, v161
	s_waitcnt vmcnt(27)
	v_fma_f32 v4, v4, v187, -v160
	v_fmac_f32_e32 v216, v5, v187
	v_add_f32_e32 v2, 0, v2
	v_add_f32_e32 v5, 0, v215
	v_mul_f32_e32 v8, v115, v162
	s_waitcnt vmcnt(26)
	v_fma_f32 v3, v112, v188, -v3
	v_fmac_f32_e32 v217, v113, v188
	v_add_f32_e32 v2, v2, v4
	v_add_f32_e32 v4, v5, v216
	;; [unrolled: 6-line block ×23, first 2 shown]
	v_mul_f32_e32 v5, v159, v184
	s_waitcnt vmcnt(4)
	v_fma_f32 v8, v156, v210, -v8
	v_mul_f32_e32 v240, v158, v184
	v_add_f32_e32 v2, v2, v4
	v_fmac_f32_e32 v239, v157, v210
	v_add_f32_e32 v3, v3, v238
	s_waitcnt lgkmcnt(0)
	v_mul_f32_e32 v4, v7, v185
	s_waitcnt vmcnt(3)
	v_fma_f32 v5, v158, v211, -v5
	v_add_f32_e32 v2, v2, v8
	v_mul_f32_e32 v241, v6, v185
	v_fmac_f32_e32 v240, v159, v211
	v_add_f32_e32 v3, v3, v239
	s_waitcnt vmcnt(2)
	v_fma_f32 v4, v6, v212, -v4
	v_add_f32_e32 v2, v2, v5
	v_fmac_f32_e32 v241, v7, v212
	v_add_f32_e32 v3, v3, v240
	v_add_f32_e32 v2, v2, v4
	;; [unrolled: 1-line block ×3, first 2 shown]
	s_waitcnt vmcnt(1)
	v_sub_f32_e32 v2, v213, v2
	s_waitcnt vmcnt(0)
	v_sub_f32_e32 v3, v214, v3
	buffer_store_dword v2, off, s[0:3], 0 offset:184
	buffer_store_dword v3, off, s[0:3], 0 offset:188
	v_cmpx_lt_u32_e32 22, v0
	s_cbranch_execz .LBB50_275
; %bb.274:
	s_clause 0x1
	buffer_load_dword v2, off, s[0:3], 0 offset:176
	buffer_load_dword v3, off, s[0:3], 0 offset:180
	buffer_store_dword v1, off, s[0:3], 0 offset:176
	buffer_store_dword v1, off, s[0:3], 0 offset:180
	s_waitcnt vmcnt(0)
	ds_write_b64 v111, v[2:3]
.LBB50_275:
	s_or_b32 exec_lo, exec_lo, s4
	s_waitcnt lgkmcnt(0)
	s_waitcnt_vscnt null, 0x0
	s_barrier
	buffer_gl0_inv
	s_clause 0x39
	buffer_load_dword v6, off, s[0:3], 0 offset:188
	buffer_load_dword v7, off, s[0:3], 0 offset:196
	;; [unrolled: 1-line block ×58, first 2 shown]
	ds_read2_b64 v[2:5], v1 offset0:75 offset1:76
	ds_read2_b64 v[112:115], v1 offset0:77 offset1:78
	;; [unrolled: 1-line block ×14, first 2 shown]
	s_mov_b32 s4, exec_lo
	s_waitcnt vmcnt(57) lgkmcnt(13)
	v_mul_f32_e32 v1, v2, v6
	v_mul_f32_e32 v6, v3, v6
	s_waitcnt vmcnt(56)
	v_mul_f32_e32 v219, v4, v7
	v_mul_f32_e32 v7, v5, v7
	s_waitcnt vmcnt(55) lgkmcnt(12)
	v_mul_f32_e32 v220, v112, v8
	s_waitcnt vmcnt(54)
	v_mul_f32_e32 v221, v114, v164
	s_waitcnt vmcnt(53) lgkmcnt(11)
	v_mul_f32_e32 v222, v116, v165
	s_waitcnt vmcnt(52)
	;; [unrolled: 4-line block ×12, first 2 shown]
	v_mul_f32_e32 v243, v158, v186
	s_waitcnt vmcnt(29)
	v_fma_f32 v2, v2, v189, -v6
	v_fmac_f32_e32 v1, v3, v189
	v_mul_f32_e32 v3, v113, v8
	s_waitcnt vmcnt(28)
	v_fma_f32 v4, v4, v190, -v7
	v_fmac_f32_e32 v219, v5, v190
	v_add_f32_e32 v2, 0, v2
	v_add_f32_e32 v1, 0, v1
	v_mul_f32_e32 v5, v115, v164
	s_waitcnt vmcnt(27)
	v_fma_f32 v3, v112, v191, -v3
	v_fmac_f32_e32 v220, v113, v191
	v_add_f32_e32 v2, v2, v4
	v_add_f32_e32 v1, v1, v219
	v_mul_f32_e32 v4, v117, v165
	s_waitcnt vmcnt(26)
	v_fma_f32 v5, v114, v192, -v5
	v_fmac_f32_e32 v221, v115, v192
	v_add_f32_e32 v2, v2, v3
	v_add_f32_e32 v1, v1, v220
	v_mul_f32_e32 v3, v119, v166
	s_waitcnt vmcnt(25)
	v_fma_f32 v4, v116, v193, -v4
	v_fmac_f32_e32 v222, v117, v193
	v_add_f32_e32 v2, v2, v5
	v_add_f32_e32 v1, v1, v221
	v_mul_f32_e32 v5, v121, v167
	s_waitcnt vmcnt(24)
	v_fma_f32 v3, v118, v194, -v3
	v_fmac_f32_e32 v223, v119, v194
	v_add_f32_e32 v2, v2, v4
	v_add_f32_e32 v1, v1, v222
	v_mul_f32_e32 v4, v123, v168
	s_waitcnt vmcnt(23)
	v_fma_f32 v5, v120, v195, -v5
	v_fmac_f32_e32 v224, v121, v195
	v_add_f32_e32 v2, v2, v3
	v_add_f32_e32 v1, v1, v223
	v_mul_f32_e32 v3, v125, v169
	s_waitcnt vmcnt(22)
	v_fma_f32 v4, v122, v196, -v4
	v_fmac_f32_e32 v225, v123, v196
	v_add_f32_e32 v2, v2, v5
	v_add_f32_e32 v1, v1, v224
	v_mul_f32_e32 v5, v127, v170
	s_waitcnt vmcnt(21)
	v_fma_f32 v3, v124, v197, -v3
	v_fmac_f32_e32 v226, v125, v197
	v_add_f32_e32 v2, v2, v4
	v_add_f32_e32 v1, v1, v225
	v_mul_f32_e32 v4, v129, v171
	s_waitcnt vmcnt(20)
	v_fma_f32 v5, v126, v198, -v5
	v_fmac_f32_e32 v227, v127, v198
	v_add_f32_e32 v2, v2, v3
	v_add_f32_e32 v1, v1, v226
	v_mul_f32_e32 v3, v131, v172
	s_waitcnt vmcnt(19)
	v_fma_f32 v4, v128, v199, -v4
	v_fmac_f32_e32 v228, v129, v199
	v_add_f32_e32 v2, v2, v5
	v_add_f32_e32 v1, v1, v227
	v_mul_f32_e32 v5, v133, v173
	s_waitcnt vmcnt(18)
	v_fma_f32 v3, v130, v200, -v3
	v_fmac_f32_e32 v229, v131, v200
	v_add_f32_e32 v2, v2, v4
	v_add_f32_e32 v1, v1, v228
	v_mul_f32_e32 v4, v135, v174
	s_waitcnt vmcnt(17)
	v_fma_f32 v5, v132, v201, -v5
	v_fmac_f32_e32 v230, v133, v201
	v_add_f32_e32 v2, v2, v3
	v_add_f32_e32 v1, v1, v229
	v_mul_f32_e32 v3, v137, v175
	s_waitcnt vmcnt(16)
	v_fma_f32 v4, v134, v202, -v4
	v_fmac_f32_e32 v231, v135, v202
	v_add_f32_e32 v2, v2, v5
	v_add_f32_e32 v1, v1, v230
	v_mul_f32_e32 v5, v139, v176
	s_waitcnt vmcnt(15)
	v_fma_f32 v3, v136, v203, -v3
	v_fmac_f32_e32 v232, v137, v203
	v_add_f32_e32 v2, v2, v4
	v_add_f32_e32 v1, v1, v231
	v_mul_f32_e32 v4, v141, v177
	s_waitcnt vmcnt(14)
	v_fma_f32 v5, v138, v204, -v5
	v_fmac_f32_e32 v233, v139, v204
	v_add_f32_e32 v2, v2, v3
	v_add_f32_e32 v1, v1, v232
	v_mul_f32_e32 v3, v143, v178
	s_waitcnt vmcnt(13)
	v_fma_f32 v4, v140, v205, -v4
	v_fmac_f32_e32 v234, v141, v205
	v_add_f32_e32 v2, v2, v5
	v_add_f32_e32 v1, v1, v233
	v_mul_f32_e32 v5, v145, v179
	s_waitcnt vmcnt(12)
	v_fma_f32 v3, v142, v206, -v3
	v_fmac_f32_e32 v235, v143, v206
	v_add_f32_e32 v2, v2, v4
	v_add_f32_e32 v1, v1, v234
	v_mul_f32_e32 v4, v147, v180
	s_waitcnt vmcnt(11)
	v_fma_f32 v5, v144, v207, -v5
	v_fmac_f32_e32 v236, v145, v207
	v_add_f32_e32 v2, v2, v3
	v_add_f32_e32 v1, v1, v235
	v_mul_f32_e32 v3, v149, v181
	s_waitcnt vmcnt(10)
	v_fma_f32 v4, v146, v208, -v4
	v_fmac_f32_e32 v237, v147, v208
	v_add_f32_e32 v2, v2, v5
	v_add_f32_e32 v1, v1, v236
	v_mul_f32_e32 v5, v151, v182
	s_waitcnt vmcnt(9)
	v_fma_f32 v3, v148, v209, -v3
	v_fmac_f32_e32 v238, v149, v209
	v_add_f32_e32 v2, v2, v4
	v_add_f32_e32 v1, v1, v237
	v_mul_f32_e32 v4, v153, v183
	s_waitcnt vmcnt(8)
	v_fma_f32 v5, v150, v210, -v5
	v_fmac_f32_e32 v239, v151, v210
	v_add_f32_e32 v2, v2, v3
	v_add_f32_e32 v1, v1, v238
	v_mul_f32_e32 v3, v155, v184
	s_waitcnt vmcnt(7)
	v_fma_f32 v4, v152, v211, -v4
	v_fmac_f32_e32 v240, v153, v211
	v_add_f32_e32 v2, v2, v5
	v_add_f32_e32 v1, v1, v239
	v_mul_f32_e32 v5, v157, v185
	s_waitcnt vmcnt(6)
	v_fma_f32 v3, v154, v212, -v3
	v_fmac_f32_e32 v241, v155, v212
	v_add_f32_e32 v2, v2, v4
	v_add_f32_e32 v1, v1, v240
	v_mul_f32_e32 v4, v159, v186
	s_waitcnt vmcnt(5)
	v_fma_f32 v5, v156, v213, -v5
	v_fmac_f32_e32 v242, v157, v213
	v_add_f32_e32 v2, v2, v3
	v_add_f32_e32 v1, v1, v241
	s_waitcnt lgkmcnt(0)
	v_mul_f32_e32 v3, v161, v187
	s_waitcnt vmcnt(4)
	v_fma_f32 v4, v158, v214, -v4
	v_mul_f32_e32 v244, v160, v187
	v_add_f32_e32 v2, v2, v5
	v_fmac_f32_e32 v243, v159, v214
	v_add_f32_e32 v1, v1, v242
	v_mul_f32_e32 v5, v163, v188
	s_waitcnt vmcnt(3)
	v_fma_f32 v3, v160, v215, -v3
	v_add_f32_e32 v2, v2, v4
	v_mul_f32_e32 v245, v162, v188
	v_fmac_f32_e32 v244, v161, v215
	v_add_f32_e32 v1, v1, v243
	s_waitcnt vmcnt(2)
	v_fma_f32 v4, v162, v216, -v5
	v_add_f32_e32 v2, v2, v3
	v_fmac_f32_e32 v245, v163, v216
	v_add_f32_e32 v1, v1, v244
	v_add_f32_e32 v2, v2, v4
	v_add_f32_e32 v1, v1, v245
	s_waitcnt vmcnt(1)
	v_sub_f32_e32 v2, v217, v2
	s_waitcnt vmcnt(0)
	v_sub_f32_e32 v1, v218, v1
	buffer_store_dword v2, off, s[0:3], 0 offset:176
	buffer_store_dword v1, off, s[0:3], 0 offset:180
	v_cmpx_lt_u32_e32 21, v0
	s_cbranch_execz .LBB50_277
; %bb.276:
	s_clause 0x1
	buffer_load_dword v1, off, s[0:3], 0 offset:168
	buffer_load_dword v2, off, s[0:3], 0 offset:172
	v_mov_b32_e32 v3, 0
	buffer_store_dword v3, off, s[0:3], 0 offset:168
	buffer_store_dword v3, off, s[0:3], 0 offset:172
	s_waitcnt vmcnt(0)
	ds_write_b64 v111, v[1:2]
.LBB50_277:
	s_or_b32 exec_lo, exec_lo, s4
	s_waitcnt lgkmcnt(0)
	s_waitcnt_vscnt null, 0x0
	s_barrier
	buffer_gl0_inv
	s_clause 0x3b
	buffer_load_dword v8, off, s[0:3], 0 offset:180
	buffer_load_dword v164, off, s[0:3], 0 offset:188
	;; [unrolled: 1-line block ×60, first 2 shown]
	v_mov_b32_e32 v1, 0
	ds_read_b128 v[2:5], v1 offset:592
	ds_read_b128 v[112:115], v1 offset:608
	;; [unrolled: 1-line block ×14, first 2 shown]
	ds_read_b64 v[6:7], v1 offset:816
	s_mov_b32 s4, exec_lo
	s_waitcnt vmcnt(59) lgkmcnt(14)
	v_mul_f32_e32 v223, v2, v8
	v_mul_f32_e32 v8, v3, v8
	s_waitcnt vmcnt(58)
	v_mul_f32_e32 v224, v4, v164
	v_mul_f32_e32 v164, v5, v164
	s_waitcnt vmcnt(57) lgkmcnt(13)
	v_mul_f32_e32 v225, v112, v165
	s_waitcnt vmcnt(56)
	v_mul_f32_e32 v226, v114, v166
	s_waitcnt vmcnt(55) lgkmcnt(12)
	v_mul_f32_e32 v227, v116, v167
	s_waitcnt vmcnt(54)
	;; [unrolled: 4-line block ×13, first 2 shown]
	v_fma_f32 v2, v2, v192, -v8
	v_fmac_f32_e32 v223, v3, v192
	v_mul_f32_e32 v3, v113, v165
	s_waitcnt vmcnt(29)
	v_fma_f32 v4, v4, v193, -v164
	v_fmac_f32_e32 v224, v5, v193
	v_add_f32_e32 v2, 0, v2
	v_add_f32_e32 v5, 0, v223
	v_mul_f32_e32 v8, v115, v166
	s_waitcnt vmcnt(28)
	v_fma_f32 v3, v112, v194, -v3
	v_fmac_f32_e32 v225, v113, v194
	v_add_f32_e32 v2, v2, v4
	v_add_f32_e32 v4, v5, v224
	;; [unrolled: 6-line block ×25, first 2 shown]
	v_mul_f32_e32 v8, v163, v190
	s_waitcnt vmcnt(4)
	v_fma_f32 v4, v160, v218, -v4
	v_mul_f32_e32 v250, v162, v190
	v_add_f32_e32 v2, v2, v5
	v_fmac_f32_e32 v249, v161, v218
	v_add_f32_e32 v3, v3, v248
	s_waitcnt lgkmcnt(0)
	v_mul_f32_e32 v5, v7, v191
	s_waitcnt vmcnt(3)
	v_fma_f32 v8, v162, v219, -v8
	v_add_f32_e32 v2, v2, v4
	v_mul_f32_e32 v251, v6, v191
	v_fmac_f32_e32 v250, v163, v219
	v_add_f32_e32 v3, v3, v249
	s_waitcnt vmcnt(2)
	v_fma_f32 v4, v6, v220, -v5
	v_add_f32_e32 v2, v2, v8
	v_fmac_f32_e32 v251, v7, v220
	v_add_f32_e32 v3, v3, v250
	v_add_f32_e32 v2, v2, v4
	;; [unrolled: 1-line block ×3, first 2 shown]
	s_waitcnt vmcnt(1)
	v_sub_f32_e32 v2, v221, v2
	s_waitcnt vmcnt(0)
	v_sub_f32_e32 v3, v222, v3
	buffer_store_dword v2, off, s[0:3], 0 offset:168
	buffer_store_dword v3, off, s[0:3], 0 offset:172
	v_cmpx_lt_u32_e32 20, v0
	s_cbranch_execz .LBB50_279
; %bb.278:
	s_clause 0x1
	buffer_load_dword v2, off, s[0:3], 0 offset:160
	buffer_load_dword v3, off, s[0:3], 0 offset:164
	buffer_store_dword v1, off, s[0:3], 0 offset:160
	buffer_store_dword v1, off, s[0:3], 0 offset:164
	s_waitcnt vmcnt(0)
	ds_write_b64 v111, v[2:3]
.LBB50_279:
	s_or_b32 exec_lo, exec_lo, s4
	s_waitcnt lgkmcnt(0)
	s_waitcnt_vscnt null, 0x0
	s_barrier
	buffer_gl0_inv
	s_clause 0x1b
	buffer_load_dword v3, off, s[0:3], 0 offset:172
	buffer_load_dword v4, off, s[0:3], 0 offset:180
	;; [unrolled: 1-line block ×28, first 2 shown]
	ds_read2_b64 v[135:138], v1 offset0:73 offset1:74
	ds_read2_b64 v[139:142], v1 offset0:75 offset1:76
	s_clause 0x1
	buffer_load_dword v131, off, s[0:3], 0 offset:276
	buffer_load_dword v128, off, s[0:3], 0 offset:284
	ds_read2_b64 v[143:146], v1 offset0:77 offset1:78
	ds_read2_b64 v[147:150], v1 offset0:79 offset1:80
	;; [unrolled: 1-line block ×3, first 2 shown]
	buffer_load_dword v155, off, s[0:3], 0 offset:164
	s_mov_b32 s4, exec_lo
	s_waitcnt vmcnt(30) lgkmcnt(4)
	v_mul_f32_e32 v156, v135, v3
	s_waitcnt vmcnt(29)
	v_mul_f32_e32 v157, v137, v4
	v_mul_f32_e32 v3, v136, v3
	;; [unrolled: 1-line block ×3, first 2 shown]
	s_waitcnt vmcnt(28) lgkmcnt(3)
	v_mul_f32_e32 v158, v139, v5
	v_mul_f32_e32 v5, v140, v5
	s_waitcnt vmcnt(24)
	v_fmac_f32_e32 v156, v136, v8
	v_fmac_f32_e32 v157, v138, v7
	v_fma_f32 v8, v135, v8, -v3
	v_fma_f32 v7, v137, v7, -v4
	s_clause 0x7
	buffer_load_dword v135, off, s[0:3], 0 offset:292
	buffer_load_dword v136, off, s[0:3], 0 offset:296
	;; [unrolled: 1-line block ×8, first 2 shown]
	v_mul_f32_e32 v159, v141, v6
	v_mul_f32_e32 v6, v142, v6
	v_fmac_f32_e32 v158, v140, v2
	v_fma_f32 v139, v139, v2, -v5
	ds_read2_b64 v[2:5], v1 offset0:83 offset1:84
	s_waitcnt vmcnt(28)
	v_fmac_f32_e32 v159, v142, v119
	v_fma_f32 v6, v141, v119, -v6
	s_waitcnt vmcnt(27) lgkmcnt(3)
	v_mul_f32_e32 v119, v143, v117
	v_mul_f32_e32 v117, v144, v117
	s_waitcnt vmcnt(26)
	v_mul_f32_e32 v140, v145, v118
	v_mul_f32_e32 v118, v146, v118
	s_waitcnt vmcnt(25) lgkmcnt(2)
	v_mul_f32_e32 v141, v147, v116
	v_mul_f32_e32 v116, v148, v116
	v_fmac_f32_e32 v119, v144, v114
	v_fma_f32 v114, v143, v114, -v117
	s_waitcnt vmcnt(24)
	v_mul_f32_e32 v117, v149, v115
	v_mul_f32_e32 v115, v150, v115
	v_fmac_f32_e32 v140, v146, v113
	v_fma_f32 v118, v145, v113, -v118
	s_waitcnt vmcnt(23) lgkmcnt(1)
	v_mul_f32_e32 v142, v151, v120
	s_waitcnt vmcnt(22)
	v_mul_f32_e32 v143, v153, v123
	v_mul_f32_e32 v113, v152, v120
	;; [unrolled: 1-line block ×3, first 2 shown]
	v_fmac_f32_e32 v141, v148, v112
	v_fma_f32 v116, v147, v112, -v116
	s_waitcnt vmcnt(18)
	v_fmac_f32_e32 v117, v150, v130
	v_fma_f32 v123, v149, v130, -v115
	s_clause 0x7
	buffer_load_dword v144, off, s[0:3], 0 offset:324
	buffer_load_dword v145, off, s[0:3], 0 offset:328
	;; [unrolled: 1-line block ×8, first 2 shown]
	v_fmac_f32_e32 v143, v154, v126
	v_fma_f32 v120, v153, v126, -v120
	s_waitcnt vmcnt(25) lgkmcnt(0)
	v_mul_f32_e32 v126, v2, v125
	v_mul_f32_e32 v112, v3, v125
	v_fmac_f32_e32 v142, v152, v127
	v_fma_f32 v127, v151, v127, -v113
	v_add_f32_e32 v113, 0, v156
	v_fmac_f32_e32 v126, v3, v121
	v_fma_f32 v121, v2, v121, -v112
	s_waitcnt vmcnt(24)
	v_mul_f32_e32 v125, v4, v124
	v_mul_f32_e32 v2, v5, v124
	v_add_f32_e32 v8, 0, v8
	s_clause 0x5
	buffer_load_dword v151, off, s[0:3], 0 offset:356
	buffer_load_dword v152, off, s[0:3], 0 offset:364
	;; [unrolled: 1-line block ×6, first 2 shown]
	v_add_f32_e32 v112, v113, v157
	s_waitcnt vmcnt(26)
	v_fmac_f32_e32 v125, v5, v134
	v_fma_f32 v124, v4, v134, -v2
	ds_read2_b64 v[2:5], v1 offset0:85 offset1:86
	v_add_f32_e32 v7, v8, v7
	buffer_load_dword v156, off, s[0:3], 0 offset:404
	v_add_f32_e32 v8, v112, v158
	v_add_f32_e32 v7, v7, v139
	s_clause 0x3
	buffer_load_dword v134, off, s[0:3], 0 offset:376
	buffer_load_dword v139, off, s[0:3], 0 offset:368
	;; [unrolled: 1-line block ×4, first 2 shown]
	v_add_f32_e32 v8, v8, v159
	v_add_f32_e32 v6, v7, v6
	;; [unrolled: 1-line block ×4, first 2 shown]
	ds_read2_b64 v[112:115], v1 offset0:87 offset1:88
	v_add_f32_e32 v7, v7, v140
	s_waitcnt vmcnt(30) lgkmcnt(1)
	v_mul_f32_e32 v8, v2, v133
	v_mul_f32_e32 v119, v3, v133
	s_waitcnt vmcnt(29)
	v_mul_f32_e32 v140, v4, v131
	v_fmac_f32_e32 v8, v3, v132
	v_fma_f32 v130, v2, v132, -v119
	v_add_f32_e32 v2, v6, v118
	v_add_f32_e32 v3, v7, v141
	s_clause 0x3
	buffer_load_dword v6, off, s[0:3], 0 offset:400
	buffer_load_dword v7, off, s[0:3], 0 offset:392
	;; [unrolled: 1-line block ×4, first 2 shown]
	v_fmac_f32_e32 v140, v5, v129
	v_add_f32_e32 v2, v2, v116
	v_add_f32_e32 v3, v3, v117
	v_mul_f32_e32 v116, v5, v131
	v_add_f32_e32 v117, v2, v123
	v_add_f32_e32 v123, v3, v142
	v_fma_f32 v129, v4, v129, -v116
	ds_read2_b64 v[2:5], v1 offset0:89 offset1:90
	s_waitcnt vmcnt(32) lgkmcnt(1)
	v_mul_f32_e32 v131, v112, v128
	v_add_f32_e32 v127, v117, v127
	ds_read2_b64 v[116:119], v1 offset0:91 offset1:92
	v_add_f32_e32 v123, v123, v143
	v_mul_f32_e32 v128, v113, v128
	v_fmac_f32_e32 v131, v113, v122
	v_add_f32_e32 v120, v127, v120
	v_add_f32_e32 v126, v123, v126
	;; [unrolled: 1-line block ×6, first 2 shown]
	s_waitcnt vmcnt(30)
	v_mul_f32_e32 v127, v115, v135
	v_mul_f32_e32 v141, v114, v135
	v_fma_f32 v135, v112, v122, -v128
	s_waitcnt vmcnt(28) lgkmcnt(1)
	v_mul_f32_e32 v143, v2, v137
	s_waitcnt vmcnt(27)
	v_mul_f32_e32 v159, v4, v138
	v_mul_f32_e32 v126, v3, v137
	s_waitcnt vmcnt(26) lgkmcnt(0)
	v_mul_f32_e32 v128, v117, v160
	s_waitcnt vmcnt(23)
	v_fma_f32 v142, v114, v163, -v127
	v_add_f32_e32 v127, v120, v121
	v_fmac_f32_e32 v141, v115, v163
	ds_read2_b64 v[112:115], v1 offset0:93 offset1:94
	ds_read2_b64 v[120:123], v1 offset0:95 offset1:96
	v_mul_f32_e32 v137, v116, v160
	v_fmac_f32_e32 v143, v3, v136
	v_add_f32_e32 v124, v127, v124
	v_mul_f32_e32 v127, v5, v138
	v_fmac_f32_e32 v159, v5, v162
	v_fma_f32 v136, v2, v136, -v126
	v_fma_f32 v116, v116, v161, -v128
	v_add_f32_e32 v130, v124, v130
	v_fma_f32 v138, v4, v162, -v127
	ds_read2_b64 v[2:5], v1 offset0:97 offset1:98
	ds_read2_b64 v[124:127], v1 offset0:99 offset1:100
	v_add_f32_e32 v8, v8, v141
	v_fmac_f32_e32 v137, v117, v161
	v_add_f32_e32 v140, v130, v129
	ds_read2_b64 v[128:131], v1 offset0:101 offset1:102
	v_add_f32_e32 v8, v8, v143
	v_add_f32_e32 v1, v140, v135
	s_waitcnt vmcnt(22)
	v_mul_f32_e32 v135, v119, v144
	v_mul_f32_e32 v117, v118, v144
	v_add_f32_e32 v8, v8, v159
	s_waitcnt vmcnt(20) lgkmcnt(4)
	v_mul_f32_e32 v140, v112, v146
	v_add_f32_e32 v1, v1, v142
	v_mul_f32_e32 v142, v113, v146
	s_waitcnt vmcnt(15)
	v_fma_f32 v118, v118, v164, -v135
	v_fmac_f32_e32 v117, v119, v164
	v_add_f32_e32 v8, v8, v137
	v_add_f32_e32 v1, v1, v136
	v_fma_f32 v112, v112, v145, -v142
	v_mul_f32_e32 v141, v114, v147
	v_fmac_f32_e32 v140, v113, v145
	v_add_f32_e32 v8, v8, v117
	v_add_f32_e32 v1, v1, v138
	v_mul_f32_e32 v138, v115, v147
	s_waitcnt lgkmcnt(3)
	v_mul_f32_e32 v113, v121, v148
	v_mul_f32_e32 v119, v120, v148
	v_fmac_f32_e32 v141, v115, v150
	v_add_f32_e32 v1, v1, v116
	v_fma_f32 v114, v114, v150, -v138
	v_add_f32_e32 v8, v8, v140
	v_fma_f32 v113, v120, v149, -v113
	s_waitcnt vmcnt(14)
	v_mul_f32_e32 v135, v122, v151
	v_add_f32_e32 v1, v1, v118
	v_fmac_f32_e32 v119, v121, v149
	v_add_f32_e32 v8, v8, v141
	s_waitcnt vmcnt(13) lgkmcnt(2)
	v_mul_f32_e32 v136, v2, v152
	s_waitcnt vmcnt(12)
	v_mul_f32_e32 v143, v4, v153
	v_add_f32_e32 v1, v1, v112
	v_mul_f32_e32 v112, v123, v151
	s_waitcnt vmcnt(4)
	v_fmac_f32_e32 v135, v123, v158
	v_add_f32_e32 v8, v8, v119
	v_fmac_f32_e32 v136, v3, v157
	v_add_f32_e32 v1, v1, v114
	v_mul_f32_e32 v114, v3, v152
	v_fma_f32 v112, v122, v158, -v112
	v_add_f32_e32 v3, v8, v135
	s_waitcnt lgkmcnt(1)
	v_mul_f32_e32 v8, v125, v154
	v_add_f32_e32 v1, v1, v113
	v_mul_f32_e32 v113, v5, v153
	v_fma_f32 v2, v2, v157, -v114
	v_mul_f32_e32 v144, v124, v154
	v_fmac_f32_e32 v143, v5, v139
	v_add_f32_e32 v1, v1, v112
	v_fma_f32 v4, v4, v139, -v113
	v_fma_f32 v5, v124, v134, -v8
	v_mul_f32_e32 v146, v126, v165
	v_fmac_f32_e32 v144, v125, v134
	v_add_f32_e32 v1, v1, v2
	v_add_f32_e32 v2, v3, v136
	v_mul_f32_e32 v3, v127, v165
	s_waitcnt lgkmcnt(0)
	v_mul_f32_e32 v147, v128, v166
	s_waitcnt vmcnt(1)
	v_fmac_f32_e32 v146, v127, v132
	v_add_f32_e32 v1, v1, v4
	v_add_f32_e32 v2, v2, v143
	v_mul_f32_e32 v4, v129, v166
	v_fma_f32 v3, v126, v132, -v3
	v_mul_f32_e32 v116, v130, v156
	v_add_f32_e32 v1, v1, v5
	v_add_f32_e32 v2, v2, v144
	v_mul_f32_e32 v5, v131, v156
	v_fma_f32 v4, v128, v7, -v4
	v_fmac_f32_e32 v147, v129, v7
	v_add_f32_e32 v1, v1, v3
	v_add_f32_e32 v2, v2, v146
	v_fma_f32 v3, v130, v6, -v5
	v_fmac_f32_e32 v116, v131, v6
	v_add_f32_e32 v1, v1, v4
	v_add_f32_e32 v2, v2, v147
	;; [unrolled: 1-line block ×4, first 2 shown]
	s_waitcnt vmcnt(0)
	v_sub_f32_e32 v1, v133, v1
	v_sub_f32_e32 v2, v155, v2
	buffer_store_dword v1, off, s[0:3], 0 offset:160
	buffer_store_dword v2, off, s[0:3], 0 offset:164
	v_cmpx_lt_u32_e32 19, v0
	s_cbranch_execz .LBB50_281
; %bb.280:
	s_clause 0x1
	buffer_load_dword v1, off, s[0:3], 0 offset:152
	buffer_load_dword v2, off, s[0:3], 0 offset:156
	v_mov_b32_e32 v3, 0
	buffer_store_dword v3, off, s[0:3], 0 offset:152
	buffer_store_dword v3, off, s[0:3], 0 offset:156
	s_waitcnt vmcnt(0)
	ds_write_b64 v111, v[1:2]
.LBB50_281:
	s_or_b32 exec_lo, exec_lo, s4
	s_waitcnt lgkmcnt(0)
	s_waitcnt_vscnt null, 0x0
	s_barrier
	buffer_gl0_inv
	s_clause 0x23
	buffer_load_dword v3, off, s[0:3], 0 offset:164
	buffer_load_dword v4, off, s[0:3], 0 offset:172
	;; [unrolled: 1-line block ×36, first 2 shown]
	v_mov_b32_e32 v1, 0
	ds_read_b128 v[136:139], v1 offset:576
	ds_read_b128 v[140:143], v1 offset:592
	;; [unrolled: 1-line block ×3, first 2 shown]
	s_clause 0x3
	buffer_load_dword v157, off, s[0:3], 0 offset:292
	buffer_load_dword v158, off, s[0:3], 0 offset:300
	;; [unrolled: 1-line block ×4, first 2 shown]
	ds_read_b128 v[148:151], v1 offset:624
	s_mov_b32 s4, exec_lo
	s_waitcnt vmcnt(39) lgkmcnt(3)
	v_mul_f32_e32 v161, v136, v3
	v_mul_f32_e32 v3, v137, v3
	s_waitcnt vmcnt(38)
	v_mul_f32_e32 v162, v138, v4
	v_mul_f32_e32 v4, v139, v4
	s_waitcnt vmcnt(35)
	v_fmac_f32_e32 v161, v137, v112
	v_fma_f32 v163, v136, v112, -v3
	s_waitcnt vmcnt(34) lgkmcnt(2)
	v_mul_f32_e32 v164, v140, v8
	v_mul_f32_e32 v3, v141, v8
	v_fmac_f32_e32 v162, v139, v5
	v_fma_f32 v8, v138, v5, -v4
	ds_read_b128 v[136:139], v1 offset:640
	s_waitcnt vmcnt(33)
	v_mul_f32_e32 v4, v143, v6
	v_mul_f32_e32 v165, v142, v6
	v_fmac_f32_e32 v164, v141, v2
	v_fma_f32 v6, v140, v2, -v3
	s_waitcnt vmcnt(32) lgkmcnt(2)
	v_mul_f32_e32 v140, v144, v7
	s_waitcnt vmcnt(28)
	v_fma_f32 v141, v142, v119, -v4
	ds_read_b128 v[2:5], v1 offset:656
	v_mul_f32_e32 v7, v145, v7
	s_waitcnt vmcnt(27)
	v_mul_f32_e32 v112, v147, v118
	v_mul_f32_e32 v142, v146, v118
	v_fmac_f32_e32 v165, v143, v119
	s_waitcnt vmcnt(26) lgkmcnt(2)
	v_mul_f32_e32 v143, v148, v115
	v_fma_f32 v7, v144, v117, -v7
	v_fma_f32 v144, v146, v114, -v112
	v_mul_f32_e32 v112, v149, v115
	v_fmac_f32_e32 v142, v147, v114
	v_fmac_f32_e32 v140, v145, v117
	s_waitcnt vmcnt(25)
	v_mul_f32_e32 v145, v150, v116
	v_mul_f32_e32 v114, v151, v116
	v_fma_f32 v147, v148, v113, -v112
	s_waitcnt vmcnt(19) lgkmcnt(1)
	v_mul_f32_e32 v148, v138, v126
	v_mul_f32_e32 v126, v139, v126
	;; [unrolled: 1-line block ×4, first 2 shown]
	v_fmac_f32_e32 v143, v149, v113
	v_fmac_f32_e32 v148, v139, v122
	v_fma_f32 v122, v138, v122, -v126
	s_waitcnt vmcnt(17) lgkmcnt(0)
	v_mul_f32_e32 v126, v4, v123
	v_mul_f32_e32 v123, v5, v123
	v_fmac_f32_e32 v145, v151, v127
	v_fma_f32 v127, v150, v127, -v114
	ds_read_b128 v[112:115], v1 offset:672
	ds_read_b128 v[116:119], v1 offset:688
	v_fmac_f32_e32 v146, v137, v124
	v_fma_f32 v120, v136, v124, -v120
	s_waitcnt vmcnt(13)
	v_fmac_f32_e32 v126, v5, v135
	v_fma_f32 v123, v4, v135, -v123
	s_clause 0x6
	buffer_load_dword v135, off, s[0:3], 0 offset:312
	buffer_load_dword v136, off, s[0:3], 0 offset:324
	;; [unrolled: 1-line block ×7, first 2 shown]
	v_mul_f32_e32 v124, v2, v125
	v_mul_f32_e32 v125, v3, v125
	v_fmac_f32_e32 v124, v3, v121
	v_fma_f32 v121, v2, v121, -v125
	s_waitcnt vmcnt(19) lgkmcnt(1)
	v_mul_f32_e32 v125, v112, v134
	v_mul_f32_e32 v2, v113, v134
	s_waitcnt vmcnt(16) lgkmcnt(0)
	v_mul_f32_e32 v168, v118, v132
	v_mul_f32_e32 v134, v114, v133
	;; [unrolled: 1-line block ×3, first 2 shown]
	v_fmac_f32_e32 v125, v113, v130
	v_fma_f32 v130, v112, v130, -v2
	v_mul_f32_e32 v2, v119, v132
	s_waitcnt vmcnt(11)
	v_fmac_f32_e32 v168, v119, v156
	v_mul_f32_e32 v133, v116, v131
	v_mul_f32_e32 v4, v117, v131
	s_clause 0x3
	buffer_load_dword v131, off, s[0:3], 0 offset:348
	buffer_load_dword v151, off, s[0:3], 0 offset:356
	;; [unrolled: 1-line block ×4, first 2 shown]
	v_fma_f32 v156, v118, v156, -v2
	v_add_f32_e32 v2, 0, v161
	s_clause 0x3
	buffer_load_dword v132, off, s[0:3], 0 offset:380
	buffer_load_dword v169, off, s[0:3], 0 offset:388
	;; [unrolled: 1-line block ×4, first 2 shown]
	v_fmac_f32_e32 v134, v115, v129
	v_fma_f32 v129, v114, v129, -v3
	v_add_f32_e32 v2, v2, v162
	s_clause 0x3
	buffer_load_dword v161, off, s[0:3], 0 offset:368
	buffer_load_dword v162, off, s[0:3], 0 offset:360
	;; [unrolled: 1-line block ×4, first 2 shown]
	v_add_f32_e32 v3, 0, v163
	v_fmac_f32_e32 v133, v117, v128
	v_fma_f32 v128, v116, v128, -v4
	v_add_f32_e32 v2, v2, v164
	v_add_f32_e32 v3, v3, v8
	;; [unrolled: 1-line block ×3, first 2 shown]
	s_clause 0x3
	buffer_load_dword v8, off, s[0:3], 0 offset:400
	buffer_load_dword v163, off, s[0:3], 0 offset:392
	;; [unrolled: 1-line block ×4, first 2 shown]
	v_add_f32_e32 v3, v3, v6
	ds_read_b128 v[112:115], v1 offset:720
	v_add_f32_e32 v2, v2, v140
	v_add_f32_e32 v3, v3, v141
	buffer_load_dword v141, off, s[0:3], 0 offset:152
	v_add_f32_e32 v6, v2, v142
	v_add_f32_e32 v3, v3, v7
	;; [unrolled: 1-line block ×4, first 2 shown]
	ds_read_b128 v[2:5], v1 offset:704
	v_add_f32_e32 v6, v6, v145
	v_add_f32_e32 v7, v7, v147
	s_waitcnt vmcnt(25) lgkmcnt(1)
	v_mul_f32_e32 v145, v114, v159
	v_add_f32_e32 v6, v6, v146
	v_add_f32_e32 v7, v7, v127
	;; [unrolled: 1-line block ×5, first 2 shown]
	v_mul_f32_e32 v124, v113, v153
	v_add_f32_e32 v7, v7, v122
	s_waitcnt lgkmcnt(0)
	v_mul_f32_e32 v140, v2, v157
	v_mul_f32_e32 v116, v3, v157
	v_add_f32_e32 v6, v6, v126
	v_mul_f32_e32 v142, v4, v158
	v_mul_f32_e32 v117, v5, v158
	v_fmac_f32_e32 v140, v3, v155
	v_add_f32_e32 v3, v7, v121
	v_add_f32_e32 v6, v6, v125
	v_fma_f32 v143, v2, v155, -v116
	v_fmac_f32_e32 v142, v5, v154
	v_fma_f32 v144, v4, v154, -v117
	v_add_f32_e32 v7, v3, v123
	v_add_f32_e32 v6, v6, v134
	ds_read_b128 v[2:5], v1 offset:736
	ds_read_b128 v[116:119], v1 offset:752
	v_fma_f32 v146, v112, v152, -v124
	ds_read_b128 v[120:123], v1 offset:768
	ds_read_b128 v[124:127], v1 offset:784
	v_add_f32_e32 v7, v7, v130
	v_mul_f32_e32 v130, v112, v153
	v_add_f32_e32 v7, v7, v129
	v_mul_f32_e32 v129, v115, v159
	v_fmac_f32_e32 v130, v113, v152
	v_add_f32_e32 v7, v7, v128
	s_waitcnt vmcnt(23)
	v_fma_f32 v128, v114, v135, -v129
	v_add_f32_e32 v129, v6, v133
	v_add_f32_e32 v133, v7, v156
	s_waitcnt vmcnt(22) lgkmcnt(3)
	v_mul_f32_e32 v134, v2, v136
	v_mul_f32_e32 v136, v3, v136
	v_fmac_f32_e32 v145, v115, v135
	v_add_f32_e32 v129, v129, v168
	v_add_f32_e32 v133, v133, v143
	s_waitcnt vmcnt(21)
	v_mul_f32_e32 v135, v4, v137
	v_mul_f32_e32 v137, v5, v137
	s_waitcnt vmcnt(17)
	v_fma_f32 v2, v2, v150, -v136
	v_add_f32_e32 v129, v129, v140
	v_add_f32_e32 v133, v133, v144
	v_fmac_f32_e32 v134, v3, v150
	s_waitcnt lgkmcnt(2)
	v_mul_f32_e32 v136, v117, v138
	v_fma_f32 v4, v4, v149, -v137
	v_add_f32_e32 v129, v129, v142
	v_add_f32_e32 v133, v133, v146
	v_mul_f32_e32 v140, v116, v138
	v_fmac_f32_e32 v135, v5, v149
	v_fma_f32 v116, v116, v139, -v136
	v_add_f32_e32 v129, v129, v130
	v_add_f32_e32 v128, v133, v128
	v_fmac_f32_e32 v140, v117, v139
	ds_read_b128 v[112:115], v1 offset:800
	ds_read_b64 v[6:7], v1 offset:816
	v_add_f32_e32 v129, v129, v145
	v_add_f32_e32 v2, v128, v2
	s_waitcnt vmcnt(16)
	v_mul_f32_e32 v128, v119, v131
	v_mul_f32_e32 v143, v118, v131
	s_waitcnt vmcnt(15) lgkmcnt(3)
	v_mul_f32_e32 v144, v120, v151
	v_add_f32_e32 v5, v129, v134
	v_add_f32_e32 v2, v2, v4
	s_waitcnt vmcnt(14)
	v_mul_f32_e32 v142, v122, v166
	s_waitcnt vmcnt(13) lgkmcnt(2)
	v_mul_f32_e32 v146, v124, v167
	s_waitcnt vmcnt(12)
	v_mul_f32_e32 v3, v126, v132
	v_add_f32_e32 v4, v5, v135
	v_mul_f32_e32 v5, v121, v151
	v_add_f32_e32 v2, v2, v116
	s_waitcnt vmcnt(5)
	v_fma_f32 v117, v118, v173, -v128
	v_fmac_f32_e32 v143, v119, v173
	v_add_f32_e32 v4, v4, v140
	v_mul_f32_e32 v116, v123, v166
	v_fma_f32 v5, v120, v172, -v5
	v_add_f32_e32 v2, v2, v117
	v_fmac_f32_e32 v144, v121, v172
	v_add_f32_e32 v4, v4, v143
	v_mul_f32_e32 v117, v125, v167
	v_fma_f32 v116, v122, v162, -v116
	v_add_f32_e32 v2, v2, v5
	;; [unrolled: 5-line block ×3, first 2 shown]
	v_fmac_f32_e32 v146, v125, v161
	v_add_f32_e32 v4, v4, v142
	s_waitcnt lgkmcnt(1)
	v_mul_f32_e32 v116, v113, v169
	s_waitcnt vmcnt(1)
	v_fma_f32 v5, v126, v165, -v5
	v_add_f32_e32 v2, v2, v117
	v_mul_f32_e32 v130, v112, v169
	v_fmac_f32_e32 v3, v127, v165
	v_add_f32_e32 v4, v4, v146
	v_mul_f32_e32 v117, v115, v170
	v_fma_f32 v112, v112, v164, -v116
	v_add_f32_e32 v2, v2, v5
	v_mul_f32_e32 v133, v114, v170
	v_fmac_f32_e32 v130, v113, v164
	v_add_f32_e32 v3, v4, v3
	s_waitcnt lgkmcnt(0)
	v_mul_f32_e32 v4, v7, v171
	v_fma_f32 v5, v114, v163, -v117
	v_add_f32_e32 v2, v2, v112
	v_mul_f32_e32 v138, v6, v171
	v_fmac_f32_e32 v133, v115, v163
	v_add_f32_e32 v3, v3, v130
	v_fma_f32 v4, v6, v8, -v4
	v_add_f32_e32 v2, v2, v5
	v_fmac_f32_e32 v138, v7, v8
	v_add_f32_e32 v3, v3, v133
	v_add_f32_e32 v2, v2, v4
	;; [unrolled: 1-line block ×3, first 2 shown]
	s_waitcnt vmcnt(0)
	v_sub_f32_e32 v2, v141, v2
	v_sub_f32_e32 v3, v160, v3
	buffer_store_dword v2, off, s[0:3], 0 offset:152
	buffer_store_dword v3, off, s[0:3], 0 offset:156
	v_cmpx_lt_u32_e32 18, v0
	s_cbranch_execz .LBB50_283
; %bb.282:
	s_clause 0x1
	buffer_load_dword v2, off, s[0:3], 0 offset:144
	buffer_load_dword v3, off, s[0:3], 0 offset:148
	buffer_store_dword v1, off, s[0:3], 0 offset:144
	buffer_store_dword v1, off, s[0:3], 0 offset:148
	s_waitcnt vmcnt(0)
	ds_write_b64 v111, v[2:3]
.LBB50_283:
	s_or_b32 exec_lo, exec_lo, s4
	s_waitcnt lgkmcnt(0)
	s_waitcnt_vscnt null, 0x0
	s_barrier
	buffer_gl0_inv
	s_clause 0x23
	buffer_load_dword v3, off, s[0:3], 0 offset:156
	buffer_load_dword v4, off, s[0:3], 0 offset:164
	;; [unrolled: 1-line block ×36, first 2 shown]
	ds_read2_b64 v[136:139], v1 offset0:71 offset1:72
	ds_read2_b64 v[140:143], v1 offset0:73 offset1:74
	s_clause 0x1
	buffer_load_dword v157, off, s[0:3], 0 offset:284
	buffer_load_dword v158, off, s[0:3], 0 offset:292
	ds_read2_b64 v[144:147], v1 offset0:75 offset1:76
	ds_read2_b64 v[148:151], v1 offset0:77 offset1:78
	buffer_load_dword v159, off, s[0:3], 0 offset:148
	s_mov_b32 s4, exec_lo
	s_waitcnt vmcnt(38) lgkmcnt(3)
	v_mul_f32_e32 v160, v136, v3
	v_mul_f32_e32 v3, v137, v3
	s_waitcnt vmcnt(37)
	v_mul_f32_e32 v161, v138, v4
	v_mul_f32_e32 v4, v139, v4
	s_waitcnt vmcnt(36) lgkmcnt(2)
	v_mul_f32_e32 v162, v140, v5
	s_waitcnt vmcnt(33)
	v_fmac_f32_e32 v160, v137, v8
	v_fma_f32 v8, v136, v8, -v3
	v_mul_f32_e32 v3, v141, v5
	s_waitcnt vmcnt(32)
	v_mul_f32_e32 v5, v143, v7
	v_mul_f32_e32 v163, v142, v7
	v_fmac_f32_e32 v161, v139, v6
	v_fma_f32 v6, v138, v6, -v4
	v_fmac_f32_e32 v162, v141, v2
	v_fma_f32 v7, v140, v2, -v3
	s_waitcnt vmcnt(28)
	v_fma_f32 v140, v142, v119, -v5
	ds_read2_b64 v[2:5], v1 offset0:79 offset1:80
	ds_read2_b64 v[136:139], v1 offset0:81 offset1:82
	s_waitcnt vmcnt(27) lgkmcnt(3)
	v_mul_f32_e32 v141, v144, v118
	v_mul_f32_e32 v118, v145, v118
	v_fmac_f32_e32 v163, v143, v119
	s_waitcnt vmcnt(26)
	v_mul_f32_e32 v142, v146, v117
	v_mul_f32_e32 v117, v147, v117
	s_waitcnt vmcnt(25) lgkmcnt(2)
	v_mul_f32_e32 v143, v148, v115
	v_fmac_f32_e32 v141, v145, v114
	v_fma_f32 v144, v144, v114, -v118
	s_waitcnt vmcnt(24)
	v_mul_f32_e32 v145, v150, v116
	v_mul_f32_e32 v114, v149, v115
	;; [unrolled: 1-line block ×3, first 2 shown]
	v_fmac_f32_e32 v142, v147, v113
	v_fma_f32 v146, v146, v113, -v117
	v_fmac_f32_e32 v143, v149, v112
	s_waitcnt vmcnt(20)
	v_fmac_f32_e32 v145, v151, v127
	v_fma_f32 v147, v148, v112, -v114
	v_fma_f32 v127, v150, v127, -v115
	ds_read2_b64 v[112:115], v1 offset0:83 offset1:84
	ds_read2_b64 v[116:119], v1 offset0:85 offset1:86
	s_waitcnt vmcnt(19) lgkmcnt(3)
	v_mul_f32_e32 v148, v2, v125
	s_waitcnt vmcnt(18)
	v_mul_f32_e32 v149, v4, v126
	v_mul_f32_e32 v125, v3, v125
	;; [unrolled: 1-line block ×3, first 2 shown]
	buffer_load_dword v150, off, s[0:3], 0 offset:308
	v_fmac_f32_e32 v148, v3, v124
	v_fmac_f32_e32 v149, v5, v123
	v_fma_f32 v124, v2, v124, -v125
	v_fma_f32 v123, v4, v123, -v126
	s_clause 0x3
	buffer_load_dword v151, off, s[0:3], 0 offset:328
	buffer_load_dword v164, off, s[0:3], 0 offset:320
	;; [unrolled: 1-line block ×4, first 2 shown]
	s_waitcnt vmcnt(22) lgkmcnt(2)
	v_mul_f32_e32 v126, v136, v122
	v_mul_f32_e32 v2, v137, v122
	s_waitcnt vmcnt(21)
	v_mul_f32_e32 v3, v139, v121
	v_mul_f32_e32 v122, v138, v121
	v_fmac_f32_e32 v126, v137, v120
	v_fma_f32 v120, v136, v120, -v2
	buffer_load_dword v136, off, s[0:3], 0 offset:316
	s_waitcnt vmcnt(18)
	v_fma_f32 v121, v138, v135, -v3
	s_waitcnt vmcnt(17) lgkmcnt(1)
	v_mul_f32_e32 v138, v112, v133
	v_mul_f32_e32 v2, v113, v133
	v_fmac_f32_e32 v122, v139, v135
	s_clause 0x1
	buffer_load_dword v135, off, s[0:3], 0 offset:324
	buffer_load_dword v137, off, s[0:3], 0 offset:332
	s_waitcnt vmcnt(18)
	v_mul_f32_e32 v139, v114, v134
	v_mul_f32_e32 v3, v115, v134
	v_fmac_f32_e32 v138, v113, v131
	v_fma_f32 v131, v112, v131, -v2
	s_waitcnt vmcnt(16) lgkmcnt(0)
	v_mul_f32_e32 v2, v119, v130
	v_fmac_f32_e32 v139, v115, v129
	v_fma_f32 v129, v114, v129, -v3
	v_mul_f32_e32 v168, v118, v130
	v_add_f32_e32 v3, 0, v8
	s_waitcnt vmcnt(11)
	v_fma_f32 v130, v118, v156, -v2
	v_add_f32_e32 v2, 0, v160
	v_mul_f32_e32 v133, v116, v132
	v_mul_f32_e32 v4, v117, v132
	s_clause 0x5
	buffer_load_dword v132, off, s[0:3], 0 offset:340
	buffer_load_dword v134, off, s[0:3], 0 offset:348
	;; [unrolled: 1-line block ×6, first 2 shown]
	v_fmac_f32_e32 v168, v119, v156
	s_clause 0x2
	buffer_load_dword v156, off, s[0:3], 0 offset:388
	buffer_load_dword v171, off, s[0:3], 0 offset:396
	;; [unrolled: 1-line block ×3, first 2 shown]
	v_add_f32_e32 v2, v2, v161
	v_add_f32_e32 v3, v3, v6
	s_clause 0x3
	buffer_load_dword v6, off, s[0:3], 0 offset:360
	buffer_load_dword v160, off, s[0:3], 0 offset:352
	;; [unrolled: 1-line block ×4, first 2 shown]
	v_fmac_f32_e32 v133, v117, v128
	v_fma_f32 v128, v116, v128, -v4
	v_add_f32_e32 v2, v2, v162
	v_add_f32_e32 v3, v3, v7
	;; [unrolled: 1-line block ×4, first 2 shown]
	s_clause 0x3
	buffer_load_dword v7, off, s[0:3], 0 offset:392
	buffer_load_dword v140, off, s[0:3], 0 offset:384
	;; [unrolled: 1-line block ×4, first 2 shown]
	v_add_f32_e32 v2, v2, v141
	buffer_load_dword v141, off, s[0:3], 0 offset:400
	v_add_f32_e32 v3, v3, v144
	buffer_load_dword v144, off, s[0:3], 0 offset:144
	v_add_f32_e32 v2, v2, v142
	v_add_f32_e32 v3, v3, v146
	;; [unrolled: 1-line block ×4, first 2 shown]
	ds_read2_b64 v[2:5], v1 offset0:87 offset1:88
	v_add_f32_e32 v112, v112, v145
	v_add_f32_e32 v113, v113, v127
	;; [unrolled: 1-line block ×4, first 2 shown]
	ds_read2_b64 v[112:115], v1 offset0:89 offset1:90
	v_add_f32_e32 v116, v116, v149
	v_add_f32_e32 v117, v117, v123
	;; [unrolled: 1-line block ×4, first 2 shown]
	s_waitcnt vmcnt(29) lgkmcnt(1)
	v_mul_f32_e32 v142, v2, v157
	v_mul_f32_e32 v118, v3, v157
	s_waitcnt vmcnt(28)
	v_mul_f32_e32 v143, v4, v158
	v_mul_f32_e32 v119, v5, v158
	v_add_f32_e32 v122, v116, v122
	v_fmac_f32_e32 v142, v3, v155
	v_fma_f32 v145, v2, v155, -v118
	v_fmac_f32_e32 v143, v5, v154
	v_fma_f32 v146, v4, v154, -v119
	ds_read2_b64 v[2:5], v1 offset0:91 offset1:92
	ds_read2_b64 v[116:119], v1 offset0:93 offset1:94
	v_add_f32_e32 v120, v120, v121
	s_waitcnt lgkmcnt(2)
	v_mul_f32_e32 v147, v112, v153
	v_add_f32_e32 v121, v122, v138
	v_mul_f32_e32 v122, v113, v153
	v_add_f32_e32 v120, v120, v131
	v_fmac_f32_e32 v147, v113, v152
	v_add_f32_e32 v113, v121, v139
	v_fma_f32 v138, v112, v152, -v122
	v_add_f32_e32 v124, v120, v129
	v_add_f32_e32 v128, v124, v128
	s_waitcnt vmcnt(26)
	v_mul_f32_e32 v148, v114, v150
	v_mul_f32_e32 v123, v115, v150
	s_waitcnt vmcnt(22)
	v_fmac_f32_e32 v148, v115, v125
	v_fma_f32 v139, v114, v125, -v123
	v_add_f32_e32 v125, v113, v133
	ds_read2_b64 v[112:115], v1 offset0:95 offset1:96
	ds_read2_b64 v[120:123], v1 offset0:97 offset1:98
	v_add_f32_e32 v131, v125, v168
	s_waitcnt vmcnt(21) lgkmcnt(3)
	v_mul_f32_e32 v133, v2, v136
	v_mul_f32_e32 v129, v3, v136
	v_add_f32_e32 v136, v128, v130
	ds_read2_b64 v[124:127], v1 offset0:99 offset1:100
	v_fmac_f32_e32 v133, v3, v165
	v_fma_f32 v2, v2, v165, -v129
	v_add_f32_e32 v3, v131, v142
	ds_read2_b64 v[128:131], v1 offset0:101 offset1:102
	v_add_f32_e32 v1, v136, v145
	s_waitcnt vmcnt(20)
	v_mul_f32_e32 v136, v4, v135
	v_mul_f32_e32 v135, v5, v135
	v_add_f32_e32 v3, v3, v143
	s_waitcnt vmcnt(19) lgkmcnt(4)
	v_mul_f32_e32 v142, v116, v137
	v_add_f32_e32 v1, v1, v146
	v_mul_f32_e32 v137, v117, v137
	v_fma_f32 v4, v4, v164, -v135
	v_add_f32_e32 v3, v3, v147
	v_fmac_f32_e32 v136, v5, v164
	v_add_f32_e32 v1, v1, v138
	s_waitcnt vmcnt(18)
	v_mul_f32_e32 v143, v118, v132
	v_mul_f32_e32 v132, v119, v132
	v_add_f32_e32 v3, v3, v148
	v_fma_f32 v116, v116, v151, -v137
	v_add_f32_e32 v1, v1, v139
	v_fmac_f32_e32 v142, v117, v151
	s_waitcnt vmcnt(6)
	v_fma_f32 v117, v118, v172, -v132
	s_waitcnt lgkmcnt(3)
	v_mul_f32_e32 v5, v112, v134
	v_fmac_f32_e32 v143, v119, v172
	v_add_f32_e32 v1, v1, v2
	v_add_f32_e32 v2, v3, v133
	v_mul_f32_e32 v135, v114, v166
	v_fmac_f32_e32 v5, v113, v161
	s_waitcnt lgkmcnt(2)
	v_mul_f32_e32 v138, v120, v167
	v_add_f32_e32 v1, v1, v4
	v_add_f32_e32 v2, v2, v136
	v_mul_f32_e32 v4, v113, v134
	v_fmac_f32_e32 v135, v115, v160
	v_mul_f32_e32 v145, v122, v169
	v_add_f32_e32 v1, v1, v116
	v_add_f32_e32 v2, v2, v142
	v_mul_f32_e32 v116, v115, v166
	v_fma_f32 v4, v112, v161, -v4
	v_mul_f32_e32 v112, v121, v167
	v_add_f32_e32 v1, v1, v117
	v_add_f32_e32 v2, v2, v143
	v_fma_f32 v113, v114, v160, -v116
	v_fmac_f32_e32 v138, v121, v6
	s_waitcnt lgkmcnt(1)
	v_mul_f32_e32 v146, v124, v170
	v_add_f32_e32 v1, v1, v4
	v_add_f32_e32 v2, v2, v5
	v_mul_f32_e32 v4, v123, v169
	v_fma_f32 v5, v120, v6, -v112
	v_mul_f32_e32 v6, v125, v170
	v_add_f32_e32 v1, v1, v113
	v_add_f32_e32 v2, v2, v135
	s_waitcnt vmcnt(2)
	v_fma_f32 v4, v122, v163, -v4
	v_fmac_f32_e32 v145, v123, v163
	v_fma_f32 v6, v124, v162, -v6
	v_add_f32_e32 v1, v1, v5
	v_add_f32_e32 v2, v2, v138
	v_mul_f32_e32 v5, v127, v156
	v_mul_f32_e32 v139, v126, v156
	v_fmac_f32_e32 v146, v125, v162
	v_add_f32_e32 v1, v1, v4
	v_add_f32_e32 v2, v2, v145
	s_waitcnt lgkmcnt(0)
	v_mul_f32_e32 v4, v129, v171
	v_fma_f32 v5, v126, v140, -v5
	v_mul_f32_e32 v147, v128, v171
	v_add_f32_e32 v1, v1, v6
	v_fmac_f32_e32 v139, v127, v140
	v_add_f32_e32 v2, v2, v146
	v_mul_f32_e32 v6, v131, v8
	v_fma_f32 v4, v128, v7, -v4
	v_add_f32_e32 v1, v1, v5
	v_mul_f32_e32 v3, v130, v8
	v_fmac_f32_e32 v147, v129, v7
	v_add_f32_e32 v2, v2, v139
	s_waitcnt vmcnt(1)
	v_fma_f32 v5, v130, v141, -v6
	v_add_f32_e32 v1, v1, v4
	v_fmac_f32_e32 v3, v131, v141
	v_add_f32_e32 v2, v2, v147
	v_add_f32_e32 v1, v1, v5
	;; [unrolled: 1-line block ×3, first 2 shown]
	s_waitcnt vmcnt(0)
	v_sub_f32_e32 v1, v144, v1
	v_sub_f32_e32 v2, v159, v2
	buffer_store_dword v1, off, s[0:3], 0 offset:144
	buffer_store_dword v2, off, s[0:3], 0 offset:148
	v_cmpx_lt_u32_e32 17, v0
	s_cbranch_execz .LBB50_285
; %bb.284:
	s_clause 0x1
	buffer_load_dword v1, off, s[0:3], 0 offset:136
	buffer_load_dword v2, off, s[0:3], 0 offset:140
	v_mov_b32_e32 v3, 0
	buffer_store_dword v3, off, s[0:3], 0 offset:136
	buffer_store_dword v3, off, s[0:3], 0 offset:140
	s_waitcnt vmcnt(0)
	ds_write_b64 v111, v[1:2]
.LBB50_285:
	s_or_b32 exec_lo, exec_lo, s4
	s_waitcnt lgkmcnt(0)
	s_waitcnt_vscnt null, 0x0
	s_barrier
	buffer_gl0_inv
	s_clause 0x23
	buffer_load_dword v113, off, s[0:3], 0 offset:148
	buffer_load_dword v115, off, s[0:3], 0 offset:156
	;; [unrolled: 1-line block ×36, first 2 shown]
	v_mov_b32_e32 v112, 0
	ds_read_b128 v[5:8], v112 offset:560
	ds_read_b128 v[1:4], v112 offset:576
	buffer_load_dword v157, off, s[0:3], 0 offset:140
	ds_read_b128 v[149:152], v112 offset:592
	ds_read_b128 v[153:156], v112 offset:608
	s_mov_b32 s4, exec_lo
	s_waitcnt vmcnt(36) lgkmcnt(3)
	v_mul_f32_e32 v158, v5, v113
	s_waitcnt vmcnt(35)
	v_mul_f32_e32 v159, v7, v115
	v_mul_f32_e32 v113, v6, v113
	;; [unrolled: 1-line block ×3, first 2 shown]
	s_waitcnt vmcnt(34) lgkmcnt(2)
	v_mul_f32_e32 v160, v1, v116
	v_mul_f32_e32 v116, v2, v116
	s_waitcnt vmcnt(30)
	v_mul_f32_e32 v161, v3, v117
	v_mul_f32_e32 v117, v4, v117
	v_fmac_f32_e32 v158, v6, v119
	v_fmac_f32_e32 v159, v8, v118
	v_fma_f32 v119, v5, v119, -v113
	v_fma_f32 v118, v7, v118, -v115
	ds_read_b128 v[5:8], v112 offset:624
	v_fmac_f32_e32 v160, v2, v114
	v_fma_f32 v162, v1, v114, -v116
	ds_read_b128 v[113:116], v112 offset:640
	s_waitcnt vmcnt(26)
	v_fmac_f32_e32 v161, v4, v128
	v_fma_f32 v117, v3, v128, -v117
	s_waitcnt vmcnt(25) lgkmcnt(3)
	v_mul_f32_e32 v128, v149, v126
	s_waitcnt vmcnt(24)
	v_mul_f32_e32 v163, v151, v127
	v_mul_f32_e32 v1, v150, v126
	;; [unrolled: 1-line block ×3, first 2 shown]
	s_clause 0x1
	buffer_load_dword v126, off, s[0:3], 0 offset:284
	buffer_load_dword v127, off, s[0:3], 0 offset:292
	v_fmac_f32_e32 v128, v150, v123
	v_fmac_f32_e32 v163, v152, v121
	v_fma_f32 v123, v149, v123, -v1
	v_fma_f32 v121, v151, v121, -v2
	ds_read_b128 v[1:4], v112 offset:656
	s_waitcnt vmcnt(25) lgkmcnt(3)
	v_mul_f32_e32 v149, v153, v124
	v_mul_f32_e32 v124, v154, v124
	s_waitcnt vmcnt(24)
	v_mul_f32_e32 v150, v155, v122
	v_mul_f32_e32 v122, v156, v122
	s_waitcnt vmcnt(23) lgkmcnt(2)
	v_mul_f32_e32 v151, v5, v125
	v_fmac_f32_e32 v149, v154, v120
	v_fma_f32 v120, v153, v120, -v124
	s_waitcnt vmcnt(22)
	v_mul_f32_e32 v124, v7, v129
	v_mul_f32_e32 v125, v6, v125
	;; [unrolled: 1-line block ×3, first 2 shown]
	s_waitcnt vmcnt(18)
	v_fma_f32 v122, v155, v136, -v122
	v_fmac_f32_e32 v151, v6, v134
	v_fmac_f32_e32 v124, v8, v133
	v_fma_f32 v125, v5, v134, -v125
	v_fma_f32 v129, v7, v133, -v129
	s_clause 0x5
	buffer_load_dword v133, off, s[0:3], 0 offset:300
	buffer_load_dword v134, off, s[0:3], 0 offset:308
	;; [unrolled: 1-line block ×6, first 2 shown]
	v_fmac_f32_e32 v150, v156, v136
	s_waitcnt vmcnt(23) lgkmcnt(1)
	v_mul_f32_e32 v136, v113, v135
	v_mul_f32_e32 v135, v114, v135
	s_waitcnt vmcnt(22)
	v_mul_f32_e32 v156, v115, v131
	v_mul_f32_e32 v131, v116, v131
	ds_read_b128 v[5:8], v112 offset:672
	v_fmac_f32_e32 v136, v114, v130
	v_fma_f32 v113, v113, v130, -v135
	s_waitcnt vmcnt(18)
	v_fmac_f32_e32 v156, v116, v147
	v_fma_f32 v114, v115, v147, -v131
	s_waitcnt vmcnt(17) lgkmcnt(1)
	v_mul_f32_e32 v115, v1, v145
	v_mul_f32_e32 v116, v2, v145
	s_clause 0x1
	buffer_load_dword v135, off, s[0:3], 0 offset:316
	buffer_load_dword v145, off, s[0:3], 0 offset:324
	v_add_f32_e32 v119, 0, v119
	s_waitcnt vmcnt(18)
	v_mul_f32_e32 v130, v3, v146
	v_mul_f32_e32 v131, v4, v146
	v_fma_f32 v116, v1, v142, -v116
	v_add_f32_e32 v1, 0, v158
	v_add_f32_e32 v118, v119, v118
	v_fmac_f32_e32 v115, v2, v142
	v_fmac_f32_e32 v130, v4, v141
	v_fma_f32 v131, v3, v141, -v131
	v_add_f32_e32 v158, v1, v159
	s_clause 0x3
	buffer_load_dword v141, off, s[0:3], 0 offset:332
	buffer_load_dword v142, off, s[0:3], 0 offset:340
	;; [unrolled: 1-line block ×4, first 2 shown]
	ds_read_b128 v[1:4], v112 offset:688
	s_waitcnt vmcnt(21) lgkmcnt(1)
	v_mul_f32_e32 v159, v5, v140
	v_mul_f32_e32 v119, v6, v140
	v_add_f32_e32 v140, v158, v160
	s_waitcnt vmcnt(20)
	v_mul_f32_e32 v158, v7, v139
	v_mul_f32_e32 v139, v8, v139
	v_fmac_f32_e32 v159, v6, v137
	v_fma_f32 v137, v5, v137, -v119
	v_add_f32_e32 v5, v140, v161
	v_add_f32_e32 v118, v118, v162
	s_clause 0x3
	buffer_load_dword v140, off, s[0:3], 0 offset:364
	buffer_load_dword v160, off, s[0:3], 0 offset:372
	;; [unrolled: 1-line block ×4, first 2 shown]
	s_waitcnt vmcnt(20)
	v_fmac_f32_e32 v158, v8, v148
	v_fma_f32 v139, v7, v148, -v139
	v_add_f32_e32 v5, v5, v128
	s_clause 0x5
	buffer_load_dword v148, off, s[0:3], 0 offset:396
	buffer_load_dword v128, off, s[0:3], 0 offset:352
	;; [unrolled: 1-line block ×6, first 2 shown]
	v_add_f32_e32 v6, v118, v117
	v_add_f32_e32 v5, v5, v163
	s_waitcnt vmcnt(25) lgkmcnt(0)
	v_mul_f32_e32 v119, v2, v144
	v_add_f32_e32 v6, v6, v123
	v_add_f32_e32 v118, v5, v149
	v_mul_f32_e32 v149, v1, v144
	v_add_f32_e32 v117, v6, v121
	ds_read_b128 v[5:8], v112 offset:704
	v_add_f32_e32 v118, v118, v150
	v_fmac_f32_e32 v149, v2, v143
	v_fma_f32 v121, v1, v143, -v119
	v_add_f32_e32 v117, v117, v120
	v_add_f32_e32 v2, v118, v151
	s_clause 0x5
	buffer_load_dword v143, off, s[0:3], 0 offset:384
	buffer_load_dword v144, off, s[0:3], 0 offset:376
	;; [unrolled: 1-line block ×6, first 2 shown]
	v_add_f32_e32 v1, v117, v122
	v_add_f32_e32 v2, v2, v124
	;; [unrolled: 1-line block ×5, first 2 shown]
	buffer_load_dword v129, off, s[0:3], 0 offset:136
	v_add_f32_e32 v117, v117, v156
	v_add_f32_e32 v113, v1, v113
	;; [unrolled: 1-line block ×6, first 2 shown]
	ds_read_b128 v[113:116], v112 offset:736
	v_add_f32_e32 v123, v123, v159
	v_add_f32_e32 v122, v119, v131
	;; [unrolled: 1-line block ×4, first 2 shown]
	s_waitcnt vmcnt(30)
	v_mul_f32_e32 v136, v3, v126
	v_mul_f32_e32 v2, v4, v126
	s_waitcnt vmcnt(29) lgkmcnt(1)
	v_mul_f32_e32 v118, v6, v127
	v_fmac_f32_e32 v136, v4, v138
	v_fma_f32 v125, v3, v138, -v2
	ds_read_b128 v[1:4], v112 offset:720
	v_mul_f32_e32 v138, v5, v127
	v_fmac_f32_e32 v138, v6, v132
	v_fma_f32 v132, v5, v132, -v118
	s_waitcnt vmcnt(28)
	v_mul_f32_e32 v127, v7, v133
	v_mul_f32_e32 v120, v8, v133
	s_waitcnt vmcnt(23)
	v_fmac_f32_e32 v127, v8, v155
	v_fma_f32 v131, v7, v155, -v120
	ds_read_b128 v[5:8], v112 offset:752
	ds_read_b128 v[117:120], v112 offset:768
	s_waitcnt lgkmcnt(2)
	v_mul_f32_e32 v124, v2, v134
	v_mul_f32_e32 v130, v1, v134
	v_fma_f32 v134, v1, v154, -v124
	v_add_f32_e32 v1, v123, v158
	s_waitcnt vmcnt(22)
	v_mul_f32_e32 v133, v3, v135
	v_mul_f32_e32 v126, v4, v135
	v_add_f32_e32 v135, v122, v121
	v_fmac_f32_e32 v130, v2, v154
	v_add_f32_e32 v139, v1, v149
	v_fmac_f32_e32 v133, v4, v153
	v_fma_f32 v137, v3, v153, -v126
	v_add_f32_e32 v135, v135, v125
	s_waitcnt vmcnt(21)
	v_mul_f32_e32 v149, v113, v145
	v_add_f32_e32 v136, v139, v136
	s_waitcnt vmcnt(20)
	v_mul_f32_e32 v139, v115, v141
	v_mul_f32_e32 v141, v116, v141
	v_add_f32_e32 v132, v135, v132
	v_mul_f32_e32 v135, v114, v145
	v_add_f32_e32 v136, v136, v138
	v_fmac_f32_e32 v149, v114, v152
	ds_read_b128 v[121:124], v112 offset:784
	ds_read_b128 v[1:4], v112 offset:800
	v_add_f32_e32 v131, v132, v131
	v_add_f32_e32 v127, v136, v127
	v_fma_f32 v113, v113, v152, -v135
	s_waitcnt vmcnt(19) lgkmcnt(3)
	v_mul_f32_e32 v138, v5, v142
	s_waitcnt vmcnt(18)
	v_mul_f32_e32 v132, v7, v146
	v_add_f32_e32 v131, v131, v134
	v_add_f32_e32 v127, v127, v130
	s_waitcnt vmcnt(17) lgkmcnt(2)
	v_mul_f32_e32 v145, v117, v147
	s_waitcnt vmcnt(9)
	v_fmac_f32_e32 v138, v6, v165
	s_waitcnt vmcnt(8)
	v_fma_f32 v115, v115, v166, -v141
	v_add_f32_e32 v131, v131, v137
	v_add_f32_e32 v127, v127, v133
	v_mul_f32_e32 v137, v6, v142
	v_fmac_f32_e32 v139, v116, v166
	v_fmac_f32_e32 v132, v8, v164
	v_add_f32_e32 v113, v131, v113
	v_add_f32_e32 v116, v127, v149
	v_mul_f32_e32 v127, v8, v146
	v_fma_f32 v5, v5, v165, -v137
	v_mul_f32_e32 v8, v120, v140
	v_add_f32_e32 v6, v113, v115
	v_add_f32_e32 v113, v116, v139
	v_mul_f32_e32 v115, v118, v147
	v_fma_f32 v7, v7, v164, -v127
	v_mul_f32_e32 v136, v119, v140
	v_add_f32_e32 v5, v6, v5
	v_add_f32_e32 v6, v113, v138
	v_fma_f32 v113, v117, v128, -v115
	v_fmac_f32_e32 v145, v118, v128
	ds_read_b64 v[125:126], v112 offset:816
	v_add_f32_e32 v5, v5, v7
	v_add_f32_e32 v6, v6, v132
	s_waitcnt lgkmcnt(2)
	v_mul_f32_e32 v7, v122, v160
	s_waitcnt vmcnt(3)
	v_fma_f32 v8, v119, v151, -v8
	v_mul_f32_e32 v134, v121, v160
	v_add_f32_e32 v5, v5, v113
	v_fmac_f32_e32 v136, v120, v151
	v_add_f32_e32 v6, v6, v145
	v_mul_f32_e32 v113, v124, v161
	v_fma_f32 v7, v121, v150, -v7
	v_add_f32_e32 v5, v5, v8
	v_mul_f32_e32 v114, v123, v161
	v_fmac_f32_e32 v134, v122, v150
	v_add_f32_e32 v6, v6, v136
	s_waitcnt lgkmcnt(1)
	v_mul_f32_e32 v130, v1, v162
	v_mul_f32_e32 v8, v2, v162
	v_fma_f32 v113, v123, v144, -v113
	v_add_f32_e32 v5, v5, v7
	v_fmac_f32_e32 v114, v124, v144
	v_add_f32_e32 v6, v6, v134
	v_mul_f32_e32 v7, v4, v148
	v_fmac_f32_e32 v130, v2, v143
	v_fma_f32 v1, v1, v143, -v8
	v_add_f32_e32 v2, v5, v113
	v_mul_f32_e32 v135, v3, v148
	v_add_f32_e32 v5, v6, v114
	s_waitcnt lgkmcnt(0)
	v_mul_f32_e32 v6, v126, v167
	s_waitcnt vmcnt(1)
	v_fma_f32 v3, v3, v168, -v7
	v_add_f32_e32 v1, v2, v1
	v_mul_f32_e32 v133, v125, v167
	v_fmac_f32_e32 v135, v4, v168
	v_add_f32_e32 v2, v5, v130
	v_fma_f32 v4, v125, v163, -v6
	v_add_f32_e32 v1, v1, v3
	v_fmac_f32_e32 v133, v126, v163
	v_add_f32_e32 v2, v2, v135
	v_add_f32_e32 v1, v1, v4
	;; [unrolled: 1-line block ×3, first 2 shown]
	s_waitcnt vmcnt(0)
	v_sub_f32_e32 v1, v129, v1
	v_sub_f32_e32 v2, v157, v2
	buffer_store_dword v1, off, s[0:3], 0 offset:136
	buffer_store_dword v2, off, s[0:3], 0 offset:140
	v_cmpx_lt_u32_e32 16, v0
	s_cbranch_execz .LBB50_287
; %bb.286:
	s_clause 0x1
	buffer_load_dword v1, off, s[0:3], 0 offset:128
	buffer_load_dword v2, off, s[0:3], 0 offset:132
	buffer_store_dword v112, off, s[0:3], 0 offset:128
	buffer_store_dword v112, off, s[0:3], 0 offset:132
	s_waitcnt vmcnt(0)
	ds_write_b64 v111, v[1:2]
.LBB50_287:
	s_or_b32 exec_lo, exec_lo, s4
	s_waitcnt lgkmcnt(0)
	s_waitcnt_vscnt null, 0x0
	s_barrier
	buffer_gl0_inv
	s_clause 0x23
	buffer_load_dword v147, off, s[0:3], 0 offset:140
	buffer_load_dword v148, off, s[0:3], 0 offset:148
	;; [unrolled: 1-line block ×36, first 2 shown]
	ds_read2_b64 v[5:8], v112 offset0:69 offset1:70
	ds_read2_b64 v[1:4], v112 offset0:71 offset1:72
	;; [unrolled: 1-line block ×3, first 2 shown]
	s_clause 0x1
	buffer_load_dword v157, off, s[0:3], 0 offset:276
	buffer_load_dword v158, off, s[0:3], 0 offset:284
	ds_read2_b64 v[153:156], v112 offset0:75 offset1:76
	buffer_load_dword v161, off, s[0:3], 0 offset:132
	s_mov_b32 s4, exec_lo
	s_waitcnt vmcnt(38) lgkmcnt(3)
	v_mul_f32_e32 v159, v5, v147
	s_waitcnt vmcnt(37)
	v_mul_f32_e32 v160, v7, v148
	v_mul_f32_e32 v147, v6, v147
	;; [unrolled: 1-line block ×3, first 2 shown]
	s_waitcnt vmcnt(34)
	v_fmac_f32_e32 v159, v6, v119
	v_fmac_f32_e32 v160, v8, v118
	v_fma_f32 v119, v5, v119, -v147
	v_fma_f32 v118, v7, v118, -v148
	ds_read2_b64 v[5:8], v112 offset0:77 offset1:78
	s_waitcnt vmcnt(33) lgkmcnt(3)
	v_mul_f32_e32 v147, v1, v116
	v_mul_f32_e32 v116, v2, v116
	s_waitcnt vmcnt(32)
	v_mul_f32_e32 v148, v3, v115
	v_mul_f32_e32 v115, v4, v115
	s_waitcnt vmcnt(31) lgkmcnt(2)
	v_mul_f32_e32 v162, v149, v114
	v_fmac_f32_e32 v147, v2, v113
	v_fma_f32 v163, v1, v113, -v116
	s_waitcnt vmcnt(30)
	v_mul_f32_e32 v164, v151, v117
	v_mul_f32_e32 v113, v150, v114
	v_mul_f32_e32 v114, v152, v117
	s_waitcnt vmcnt(26)
	v_fmac_f32_e32 v148, v4, v125
	v_fma_f32 v117, v3, v125, -v115
	ds_read2_b64 v[1:4], v112 offset0:79 offset1:80
	v_fmac_f32_e32 v162, v150, v124
	v_fma_f32 v124, v149, v124, -v113
	s_waitcnt vmcnt(25) lgkmcnt(2)
	v_mul_f32_e32 v125, v153, v121
	s_waitcnt vmcnt(24)
	v_mul_f32_e32 v149, v155, v122
	v_mul_f32_e32 v121, v154, v121
	;; [unrolled: 1-line block ×3, first 2 shown]
	v_fmac_f32_e32 v164, v152, v123
	v_fma_f32 v123, v151, v123, -v114
	ds_read2_b64 v[113:116], v112 offset0:81 offset1:82
	v_fmac_f32_e32 v125, v154, v120
	s_waitcnt vmcnt(19)
	v_fmac_f32_e32 v149, v156, v136
	v_fma_f32 v120, v153, v120, -v121
	v_fma_f32 v121, v155, v136, -v122
	s_clause 0x4
	buffer_load_dword v122, off, s[0:3], 0 offset:292
	buffer_load_dword v136, off, s[0:3], 0 offset:312
	;; [unrolled: 1-line block ×5, first 2 shown]
	s_waitcnt lgkmcnt(2)
	v_mul_f32_e32 v150, v5, v126
	v_mul_f32_e32 v126, v6, v126
	s_waitcnt vmcnt(23)
	v_mul_f32_e32 v154, v7, v132
	v_mul_f32_e32 v132, v8, v132
	v_fmac_f32_e32 v150, v6, v131
	v_fma_f32 v5, v5, v131, -v126
	s_waitcnt vmcnt(22) lgkmcnt(1)
	v_mul_f32_e32 v126, v1, v129
	v_fmac_f32_e32 v154, v8, v128
	v_fma_f32 v128, v7, v128, -v132
	s_waitcnt vmcnt(21)
	v_mul_f32_e32 v131, v3, v130
	v_mul_f32_e32 v6, v2, v129
	;; [unrolled: 1-line block ×3, first 2 shown]
	s_clause 0x2
	buffer_load_dword v129, off, s[0:3], 0 offset:300
	buffer_load_dword v130, off, s[0:3], 0 offset:308
	;; [unrolled: 1-line block ×3, first 2 shown]
	v_fmac_f32_e32 v126, v2, v127
	s_waitcnt vmcnt(20)
	v_fmac_f32_e32 v131, v4, v145
	v_fma_f32 v127, v1, v127, -v6
	v_fma_f32 v145, v3, v145, -v7
	ds_read2_b64 v[1:4], v112 offset0:83 offset1:84
	v_add_f32_e32 v6, 0, v159
	v_add_f32_e32 v7, 0, v119
	s_waitcnt vmcnt(19) lgkmcnt(1)
	v_mul_f32_e32 v155, v113, v142
	s_waitcnt vmcnt(18)
	v_mul_f32_e32 v156, v115, v143
	v_mul_f32_e32 v8, v114, v142
	v_add_f32_e32 v6, v6, v160
	v_mul_f32_e32 v119, v116, v143
	v_add_f32_e32 v7, v7, v118
	v_fmac_f32_e32 v155, v114, v140
	v_fmac_f32_e32 v156, v116, v139
	v_add_f32_e32 v6, v6, v147
	v_fma_f32 v113, v113, v140, -v8
	v_fma_f32 v118, v115, v139, -v119
	v_add_f32_e32 v7, v7, v163
	s_clause 0x7
	buffer_load_dword v139, off, s[0:3], 0 offset:324
	buffer_load_dword v140, off, s[0:3], 0 offset:332
	;; [unrolled: 1-line block ×8, first 2 shown]
	v_add_f32_e32 v6, v6, v148
	v_add_f32_e32 v7, v7, v117
	s_waitcnt vmcnt(25) lgkmcnt(0)
	v_mul_f32_e32 v8, v2, v137
	v_mul_f32_e32 v119, v1, v137
	s_clause 0x3
	buffer_load_dword v137, off, s[0:3], 0 offset:356
	buffer_load_dword v148, off, s[0:3], 0 offset:364
	;; [unrolled: 1-line block ×4, first 2 shown]
	v_fma_f32 v117, v1, v134, -v8
	v_add_f32_e32 v1, v6, v162
	v_fmac_f32_e32 v119, v2, v134
	v_add_f32_e32 v6, v7, v124
	s_waitcnt vmcnt(28)
	v_mul_f32_e32 v124, v3, v135
	v_mul_f32_e32 v2, v4, v135
	v_add_f32_e32 v7, v1, v164
	s_clause 0x2
	buffer_load_dword v134, off, s[0:3], 0 offset:388
	buffer_load_dword v162, off, s[0:3], 0 offset:396
	;; [unrolled: 1-line block ×3, first 2 shown]
	s_waitcnt vmcnt(27)
	v_fmac_f32_e32 v124, v4, v146
	v_fma_f32 v146, v3, v146, -v2
	ds_read2_b64 v[1:4], v112 offset0:85 offset1:86
	v_add_f32_e32 v7, v7, v125
	v_add_f32_e32 v6, v6, v123
	;; [unrolled: 1-line block ×3, first 2 shown]
	s_clause 0x3
	buffer_load_dword v149, off, s[0:3], 0 offset:376
	buffer_load_dword v164, off, s[0:3], 0 offset:368
	;; [unrolled: 1-line block ×4, first 2 shown]
	v_add_f32_e32 v6, v6, v120
	v_add_f32_e32 v114, v7, v150
	;; [unrolled: 1-line block ×5, first 2 shown]
	ds_read2_b64 v[5:8], v112 offset0:87 offset1:88
	s_waitcnt vmcnt(30) lgkmcnt(1)
	v_mul_f32_e32 v121, v1, v144
	v_mul_f32_e32 v116, v2, v144
	s_waitcnt vmcnt(29)
	v_mul_f32_e32 v125, v3, v157
	v_fmac_f32_e32 v121, v2, v141
	v_fma_f32 v123, v1, v141, -v116
	s_clause 0x3
	buffer_load_dword v141, off, s[0:3], 0 offset:400
	buffer_load_dword v144, off, s[0:3], 0 offset:392
	;; [unrolled: 1-line block ×4, first 2 shown]
	v_add_f32_e32 v1, v115, v128
	v_add_f32_e32 v2, v114, v126
	v_mul_f32_e32 v114, v4, v157
	v_fmac_f32_e32 v125, v4, v138
	v_add_f32_e32 v1, v1, v127
	v_add_f32_e32 v2, v2, v131
	v_fma_f32 v126, v3, v138, -v114
	v_add_f32_e32 v115, v1, v145
	v_add_f32_e32 v120, v2, v155
	ds_read2_b64 v[1:4], v112 offset0:89 offset1:90
	s_waitcnt vmcnt(32) lgkmcnt(1)
	v_mul_f32_e32 v128, v5, v158
	v_mul_f32_e32 v131, v6, v158
	v_add_f32_e32 v127, v115, v113
	ds_read2_b64 v[113:116], v112 offset0:91 offset1:92
	v_add_f32_e32 v120, v120, v156
	v_fmac_f32_e32 v128, v6, v133
	v_fma_f32 v131, v5, v133, -v131
	v_add_f32_e32 v118, v127, v118
	v_add_f32_e32 v127, v120, v119
	;; [unrolled: 1-line block ×5, first 2 shown]
	s_waitcnt vmcnt(30)
	v_mul_f32_e32 v138, v7, v122
	v_mul_f32_e32 v122, v8, v122
	s_waitcnt vmcnt(26)
	v_fmac_f32_e32 v138, v8, v153
	v_fma_f32 v133, v7, v153, -v122
	v_add_f32_e32 v122, v118, v117
	ds_read2_b64 v[5:8], v112 offset0:93 offset1:94
	ds_read2_b64 v[117:120], v112 offset0:95 offset1:96
	v_add_f32_e32 v122, v122, v146
	s_waitcnt vmcnt(25) lgkmcnt(3)
	v_mul_f32_e32 v145, v1, v129
	v_mul_f32_e32 v127, v2, v129
	s_waitcnt vmcnt(24)
	v_mul_f32_e32 v146, v3, v130
	v_mul_f32_e32 v129, v4, v130
	s_waitcnt vmcnt(23) lgkmcnt(2)
	v_mul_f32_e32 v130, v113, v132
	v_fmac_f32_e32 v145, v2, v152
	v_fma_f32 v152, v1, v152, -v127
	v_add_f32_e32 v127, v122, v123
	v_fmac_f32_e32 v146, v4, v151
	v_fma_f32 v129, v3, v151, -v129
	v_mul_f32_e32 v132, v114, v132
	ds_read2_b64 v[1:4], v112 offset0:97 offset1:98
	ds_read2_b64 v[121:124], v112 offset0:99 offset1:100
	v_add_f32_e32 v151, v127, v126
	v_fmac_f32_e32 v130, v114, v136
	v_add_f32_e32 v114, v125, v128
	ds_read2_b64 v[125:128], v112 offset0:101 offset1:102
	v_fma_f32 v113, v113, v136, -v132
	v_add_f32_e32 v112, v151, v131
	s_waitcnt vmcnt(22)
	v_mul_f32_e32 v132, v116, v139
	v_add_f32_e32 v114, v114, v138
	v_mul_f32_e32 v131, v115, v139
	s_waitcnt vmcnt(21) lgkmcnt(4)
	v_mul_f32_e32 v136, v5, v140
	v_add_f32_e32 v112, v112, v133
	v_mul_f32_e32 v138, v6, v140
	v_add_f32_e32 v114, v114, v145
	s_waitcnt vmcnt(15)
	v_fma_f32 v115, v115, v163, -v132
	v_fmac_f32_e32 v131, v116, v163
	v_add_f32_e32 v112, v112, v152
	v_fmac_f32_e32 v136, v6, v160
	v_add_f32_e32 v114, v114, v146
	v_fma_f32 v5, v5, v160, -v138
	v_mul_f32_e32 v133, v7, v142
	v_add_f32_e32 v112, v112, v129
	v_mul_f32_e32 v129, v8, v142
	s_waitcnt lgkmcnt(3)
	v_mul_f32_e32 v116, v117, v143
	s_waitcnt vmcnt(14)
	v_mul_f32_e32 v132, v119, v137
	v_fmac_f32_e32 v133, v8, v159
	v_add_f32_e32 v112, v112, v113
	v_add_f32_e32 v113, v114, v130
	v_fma_f32 v7, v7, v159, -v129
	v_mul_f32_e32 v8, v120, v137
	v_fmac_f32_e32 v116, v118, v147
	v_add_f32_e32 v6, v112, v115
	v_add_f32_e32 v112, v113, v131
	v_mul_f32_e32 v113, v118, v143
	s_waitcnt vmcnt(13) lgkmcnt(2)
	v_mul_f32_e32 v139, v1, v148
	s_waitcnt vmcnt(12)
	v_mul_f32_e32 v140, v3, v165
	v_add_f32_e32 v5, v6, v5
	v_add_f32_e32 v6, v112, v136
	v_fma_f32 v112, v117, v147, -v113
	s_waitcnt vmcnt(4)
	v_fma_f32 v8, v119, v168, -v8
	v_fmac_f32_e32 v132, v120, v168
	v_add_f32_e32 v5, v5, v7
	v_add_f32_e32 v6, v6, v133
	v_mul_f32_e32 v7, v2, v148
	v_fmac_f32_e32 v139, v2, v167
	s_waitcnt lgkmcnt(1)
	v_mul_f32_e32 v145, v121, v166
	v_add_f32_e32 v5, v5, v112
	v_add_f32_e32 v6, v6, v116
	v_mul_f32_e32 v112, v4, v165
	v_fma_f32 v1, v1, v167, -v7
	v_fmac_f32_e32 v140, v4, v164
	v_add_f32_e32 v2, v5, v8
	v_add_f32_e32 v5, v6, v132
	v_mul_f32_e32 v6, v122, v166
	v_fma_f32 v3, v3, v164, -v112
	v_mul_f32_e32 v4, v124, v134
	v_add_f32_e32 v1, v2, v1
	v_add_f32_e32 v2, v5, v139
	v_fma_f32 v5, v121, v149, -v6
	v_mul_f32_e32 v142, v123, v134
	v_fmac_f32_e32 v145, v122, v149
	v_add_f32_e32 v1, v1, v3
	v_add_f32_e32 v2, v2, v140
	s_waitcnt lgkmcnt(0)
	v_mul_f32_e32 v3, v126, v162
	s_waitcnt vmcnt(1)
	v_fma_f32 v4, v123, v150, -v4
	v_mul_f32_e32 v146, v125, v162
	v_add_f32_e32 v1, v1, v5
	v_fmac_f32_e32 v142, v124, v150
	v_add_f32_e32 v2, v2, v145
	v_mul_f32_e32 v5, v128, v135
	v_fma_f32 v3, v125, v144, -v3
	v_add_f32_e32 v1, v1, v4
	v_mul_f32_e32 v114, v127, v135
	v_fmac_f32_e32 v146, v126, v144
	v_add_f32_e32 v2, v2, v142
	v_fma_f32 v4, v127, v141, -v5
	v_add_f32_e32 v1, v1, v3
	v_fmac_f32_e32 v114, v128, v141
	v_add_f32_e32 v2, v2, v146
	v_add_f32_e32 v1, v1, v4
	;; [unrolled: 1-line block ×3, first 2 shown]
	s_waitcnt vmcnt(0)
	v_sub_f32_e32 v1, v154, v1
	v_sub_f32_e32 v2, v161, v2
	buffer_store_dword v1, off, s[0:3], 0 offset:128
	buffer_store_dword v2, off, s[0:3], 0 offset:132
	v_cmpx_lt_u32_e32 15, v0
	s_cbranch_execz .LBB50_289
; %bb.288:
	s_clause 0x1
	buffer_load_dword v1, off, s[0:3], 0 offset:120
	buffer_load_dword v2, off, s[0:3], 0 offset:124
	v_mov_b32_e32 v3, 0
	buffer_store_dword v3, off, s[0:3], 0 offset:120
	buffer_store_dword v3, off, s[0:3], 0 offset:124
	s_waitcnt vmcnt(0)
	ds_write_b64 v111, v[1:2]
.LBB50_289:
	s_or_b32 exec_lo, exec_lo, s4
	s_waitcnt lgkmcnt(0)
	s_waitcnt_vscnt null, 0x0
	s_barrier
	buffer_gl0_inv
	s_clause 0x2a
	buffer_load_dword v7, off, s[0:3], 0 offset:132
	buffer_load_dword v8, off, s[0:3], 0 offset:140
	;; [unrolled: 1-line block ×43, first 2 shown]
	v_mov_b32_e32 v1, 0
	ds_read_b128 v[144:147], v1 offset:544
	ds_read_b128 v[148:151], v1 offset:560
	;; [unrolled: 1-line block ×3, first 2 shown]
	buffer_load_dword v162, off, s[0:3], 0 offset:124
	s_mov_b32 s4, exec_lo
	s_waitcnt vmcnt(43) lgkmcnt(2)
	v_mul_f32_e32 v160, v144, v7
	s_waitcnt vmcnt(42)
	v_mul_f32_e32 v161, v146, v8
	v_mul_f32_e32 v7, v145, v7
	;; [unrolled: 1-line block ×3, first 2 shown]
	s_waitcnt vmcnt(39)
	v_fmac_f32_e32 v160, v145, v6
	v_fmac_f32_e32 v161, v147, v5
	v_fma_f32 v163, v144, v6, -v7
	v_fma_f32 v164, v146, v5, -v8
	ds_read_b128 v[5:8], v1 offset:592
	ds_read_b128 v[144:147], v1 offset:608
	s_waitcnt vmcnt(38) lgkmcnt(3)
	v_mul_f32_e32 v165, v148, v3
	v_mul_f32_e32 v3, v149, v3
	s_waitcnt vmcnt(37)
	v_mul_f32_e32 v166, v150, v4
	v_mul_f32_e32 v4, v151, v4
	s_waitcnt vmcnt(32) lgkmcnt(2)
	v_mul_f32_e32 v168, v152, v119
	v_fmac_f32_e32 v165, v149, v2
	v_fma_f32 v167, v148, v2, -v3
	v_mul_f32_e32 v2, v153, v119
	s_waitcnt vmcnt(31)
	v_mul_f32_e32 v169, v154, v118
	v_mul_f32_e32 v3, v155, v118
	v_fmac_f32_e32 v166, v151, v120
	v_fma_f32 v120, v150, v120, -v4
	v_fmac_f32_e32 v168, v153, v115
	v_fma_f32 v152, v152, v115, -v2
	;; [unrolled: 2-line block ×3, first 2 shown]
	ds_read_b128 v[148:151], v1 offset:624
	s_waitcnt vmcnt(30) lgkmcnt(2)
	v_mul_f32_e32 v153, v5, v116
	v_mul_f32_e32 v2, v6, v116
	s_waitcnt vmcnt(29)
	v_mul_f32_e32 v155, v7, v114
	v_mul_f32_e32 v3, v8, v114
	s_waitcnt vmcnt(28) lgkmcnt(1)
	v_mul_f32_e32 v170, v144, v117
	v_fmac_f32_e32 v153, v6, v112
	v_fma_f32 v6, v5, v112, -v2
	s_waitcnt vmcnt(24)
	v_fmac_f32_e32 v155, v8, v127
	v_fma_f32 v7, v7, v127, -v3
	s_waitcnt vmcnt(23)
	v_mul_f32_e32 v8, v146, v126
	v_mul_f32_e32 v112, v145, v117
	v_mul_f32_e32 v113, v147, v126
	ds_read_b128 v[2:5], v1 offset:640
	v_fmac_f32_e32 v170, v145, v125
	v_fmac_f32_e32 v8, v147, v122
	v_fma_f32 v125, v144, v125, -v112
	v_fma_f32 v122, v146, v122, -v113
	ds_read_b128 v[112:115], v1 offset:656
	s_waitcnt vmcnt(22) lgkmcnt(2)
	v_mul_f32_e32 v126, v148, v124
	v_mul_f32_e32 v116, v149, v124
	s_waitcnt vmcnt(21)
	v_mul_f32_e32 v124, v150, v123
	v_mul_f32_e32 v117, v151, v123
	buffer_load_dword v123, off, s[0:3], 0 offset:292
	v_fmac_f32_e32 v126, v149, v121
	v_fma_f32 v121, v148, v121, -v116
	s_waitcnt vmcnt(18)
	v_fmac_f32_e32 v124, v151, v135
	v_fma_f32 v127, v150, v135, -v117
	s_waitcnt vmcnt(17) lgkmcnt(1)
	v_mul_f32_e32 v135, v2, v133
	s_waitcnt vmcnt(16)
	v_mul_f32_e32 v144, v4, v134
	v_mul_f32_e32 v116, v3, v133
	;; [unrolled: 1-line block ×3, first 2 shown]
	v_fmac_f32_e32 v135, v3, v130
	v_fmac_f32_e32 v144, v5, v129
	v_fma_f32 v130, v2, v130, -v116
	v_fma_f32 v129, v4, v129, -v117
	ds_read_b128 v[2:5], v1 offset:672
	s_waitcnt vmcnt(15) lgkmcnt(1)
	v_mul_f32_e32 v133, v112, v132
	v_mul_f32_e32 v118, v113, v132
	s_waitcnt vmcnt(14)
	v_mul_f32_e32 v132, v114, v131
	v_mul_f32_e32 v131, v115, v131
	v_fmac_f32_e32 v133, v113, v128
	v_fma_f32 v128, v112, v128, -v118
	ds_read_b128 v[116:119], v1 offset:688
	s_waitcnt vmcnt(10)
	v_fmac_f32_e32 v132, v115, v143
	v_fma_f32 v131, v114, v143, -v131
	s_clause 0x1
	buffer_load_dword v134, off, s[0:3], 0 offset:300
	buffer_load_dword v143, off, s[0:3], 0 offset:308
	s_waitcnt vmcnt(11) lgkmcnt(1)
	v_mul_f32_e32 v145, v2, v142
	v_mul_f32_e32 v112, v3, v142
	s_waitcnt vmcnt(10)
	v_mul_f32_e32 v146, v4, v141
	v_mul_f32_e32 v113, v5, v141
	buffer_load_dword v142, off, s[0:3], 0 offset:316
	v_fmac_f32_e32 v145, v3, v139
	v_fma_f32 v139, v2, v139, -v112
	v_fmac_f32_e32 v146, v5, v137
	s_waitcnt vmcnt(10) lgkmcnt(0)
	v_mul_f32_e32 v141, v116, v140
	v_mul_f32_e32 v2, v117, v140
	s_waitcnt vmcnt(9)
	v_mul_f32_e32 v3, v119, v138
	s_clause 0x3
	buffer_load_dword v140, off, s[0:3], 0 offset:336
	buffer_load_dword v147, off, s[0:3], 0 offset:328
	;; [unrolled: 1-line block ×4, first 2 shown]
	v_mul_f32_e32 v150, v118, v138
	v_fmac_f32_e32 v141, v117, v136
	v_fma_f32 v136, v116, v136, -v2
	v_add_f32_e32 v2, 0, v160
	s_clause 0x1
	buffer_load_dword v138, off, s[0:3], 0 offset:324
	buffer_load_dword v160, off, s[0:3], 0 offset:340
	s_waitcnt vmcnt(11)
	v_fma_f32 v151, v118, v159, -v3
	v_add_f32_e32 v3, 0, v163
	v_add_f32_e32 v2, v2, v161
	v_fmac_f32_e32 v150, v119, v159
	s_clause 0x4
	buffer_load_dword v159, off, s[0:3], 0 offset:332
	buffer_load_dword v161, off, s[0:3], 0 offset:348
	;; [unrolled: 1-line block ×5, first 2 shown]
	v_add_f32_e32 v3, v3, v164
	v_add_f32_e32 v2, v2, v165
	s_clause 0x1
	buffer_load_dword v164, off, s[0:3], 0 offset:380
	buffer_load_dword v165, off, s[0:3], 0 offset:388
	v_fma_f32 v137, v4, v137, -v113
	v_add_f32_e32 v3, v3, v167
	v_add_f32_e32 v2, v2, v166
	s_clause 0x1
	buffer_load_dword v166, off, s[0:3], 0 offset:396
	buffer_load_dword v167, off, s[0:3], 0 offset:404
	v_add_f32_e32 v3, v3, v120
	v_add_f32_e32 v2, v2, v168
	;; [unrolled: 1-line block ×4, first 2 shown]
	s_clause 0x3
	buffer_load_dword v152, off, s[0:3], 0 offset:368
	buffer_load_dword v168, off, s[0:3], 0 offset:360
	;; [unrolled: 1-line block ×4, first 2 shown]
	v_add_f32_e32 v3, v3, v154
	v_add_f32_e32 v2, v2, v153
	;; [unrolled: 1-line block ×4, first 2 shown]
	s_clause 0x4
	buffer_load_dword v153, off, s[0:3], 0 offset:400
	buffer_load_dword v154, off, s[0:3], 0 offset:392
	;; [unrolled: 1-line block ×5, first 2 shown]
	ds_read_b128 v[112:115], v1 offset:720
	v_add_f32_e32 v3, v3, v7
	v_add_f32_e32 v2, v2, v170
	;; [unrolled: 1-line block ×5, first 2 shown]
	ds_read_b128 v[2:5], v1 offset:704
	v_add_f32_e32 v6, v6, v126
	v_add_f32_e32 v7, v7, v121
	;; [unrolled: 1-line block ×14, first 2 shown]
	s_waitcnt vmcnt(27) lgkmcnt(0)
	v_mul_f32_e32 v8, v2, v123
	v_mul_f32_e32 v116, v3, v123
	v_fmac_f32_e32 v8, v3, v158
	v_add_f32_e32 v3, v7, v128
	v_fma_f32 v128, v2, v158, -v116
	v_add_f32_e32 v8, v135, v8
	v_add_f32_e32 v7, v3, v131
	;; [unrolled: 1-line block ×5, first 2 shown]
	s_waitcnt vmcnt(26)
	v_mul_f32_e32 v129, v4, v134
	v_mul_f32_e32 v117, v5, v134
	v_add_f32_e32 v136, v7, v151
	s_waitcnt vmcnt(25)
	v_mul_f32_e32 v124, v113, v143
	v_mul_f32_e32 v131, v112, v143
	v_fmac_f32_e32 v129, v5, v157
	v_fma_f32 v130, v4, v157, -v117
	ds_read_b128 v[2:5], v1 offset:736
	ds_read_b128 v[116:119], v1 offset:752
	v_add_f32_e32 v128, v136, v128
	v_fma_f32 v134, v112, v156, -v124
	v_fmac_f32_e32 v131, v113, v156
	v_add_f32_e32 v8, v8, v129
	ds_read_b128 v[120:123], v1 offset:768
	ds_read_b128 v[124:127], v1 offset:784
	s_waitcnt vmcnt(24)
	v_mul_f32_e32 v133, v115, v142
	v_add_f32_e32 v128, v128, v130
	v_mul_f32_e32 v132, v114, v142
	v_add_f32_e32 v8, v8, v131
	v_add_f32_e32 v128, v128, v134
	s_waitcnt vmcnt(20)
	v_fma_f32 v133, v114, v149, -v133
	v_fmac_f32_e32 v132, v115, v149
	ds_read_b128 v[112:115], v1 offset:800
	ds_read_b64 v[6:7], v1 offset:816
	s_waitcnt vmcnt(19) lgkmcnt(5)
	v_mul_f32_e32 v136, v3, v138
	v_mul_f32_e32 v137, v2, v138
	v_add_f32_e32 v128, v128, v133
	v_add_f32_e32 v8, v8, v132
	s_waitcnt vmcnt(18) lgkmcnt(4)
	v_mul_f32_e32 v135, v116, v160
	v_fma_f32 v2, v2, v148, -v136
	s_waitcnt vmcnt(17)
	v_mul_f32_e32 v138, v5, v159
	v_mul_f32_e32 v139, v4, v159
	v_fmac_f32_e32 v137, v3, v148
	v_mul_f32_e32 v136, v117, v160
	v_add_f32_e32 v2, v128, v2
	v_fma_f32 v4, v4, v147, -v138
	v_fmac_f32_e32 v139, v5, v147
	v_add_f32_e32 v5, v8, v137
	s_waitcnt vmcnt(16)
	v_mul_f32_e32 v8, v119, v161
	v_fma_f32 v116, v116, v140, -v136
	v_add_f32_e32 v2, v2, v4
	v_mul_f32_e32 v130, v118, v161
	v_fmac_f32_e32 v135, v117, v140
	v_add_f32_e32 v4, v5, v139
	s_waitcnt vmcnt(15) lgkmcnt(3)
	v_mul_f32_e32 v5, v121, v163
	v_add_f32_e32 v2, v2, v116
	v_mul_f32_e32 v141, v120, v163
	s_waitcnt vmcnt(14)
	v_mul_f32_e32 v116, v123, v171
	v_add_f32_e32 v4, v4, v135
	s_waitcnt vmcnt(5)
	v_fma_f32 v8, v118, v173, -v8
	v_fmac_f32_e32 v130, v119, v173
	v_fma_f32 v5, v120, v169, -v5
	v_mul_f32_e32 v129, v122, v171
	v_fmac_f32_e32 v141, v121, v169
	v_add_f32_e32 v2, v2, v8
	v_add_f32_e32 v4, v4, v130
	s_waitcnt lgkmcnt(2)
	v_mul_f32_e32 v8, v125, v172
	v_fma_f32 v116, v122, v168, -v116
	v_mul_f32_e32 v134, v124, v172
	v_add_f32_e32 v2, v2, v5
	v_fmac_f32_e32 v129, v123, v168
	v_add_f32_e32 v4, v4, v141
	v_mul_f32_e32 v5, v127, v164
	v_fma_f32 v8, v124, v152, -v8
	v_add_f32_e32 v2, v2, v116
	v_mul_f32_e32 v3, v126, v164
	v_fmac_f32_e32 v134, v125, v152
	v_add_f32_e32 v4, v4, v129
	s_waitcnt lgkmcnt(1)
	v_mul_f32_e32 v116, v113, v165
	s_waitcnt vmcnt(1)
	v_fma_f32 v5, v126, v174, -v5
	v_add_f32_e32 v2, v2, v8
	v_mul_f32_e32 v131, v112, v165
	v_fmac_f32_e32 v3, v127, v174
	v_add_f32_e32 v4, v4, v134
	v_mul_f32_e32 v8, v115, v166
	v_fma_f32 v112, v112, v155, -v116
	v_add_f32_e32 v2, v2, v5
	v_mul_f32_e32 v133, v114, v166
	v_fmac_f32_e32 v131, v113, v155
	v_add_f32_e32 v3, v4, v3
	s_waitcnt lgkmcnt(0)
	v_mul_f32_e32 v4, v7, v167
	v_fma_f32 v5, v114, v154, -v8
	v_add_f32_e32 v2, v2, v112
	v_mul_f32_e32 v132, v6, v167
	v_fmac_f32_e32 v133, v115, v154
	v_add_f32_e32 v3, v3, v131
	v_fma_f32 v4, v6, v153, -v4
	v_add_f32_e32 v2, v2, v5
	v_fmac_f32_e32 v132, v7, v153
	v_add_f32_e32 v3, v3, v133
	v_add_f32_e32 v2, v2, v4
	;; [unrolled: 1-line block ×3, first 2 shown]
	s_waitcnt vmcnt(0)
	v_sub_f32_e32 v2, v175, v2
	v_sub_f32_e32 v3, v162, v3
	buffer_store_dword v2, off, s[0:3], 0 offset:120
	buffer_store_dword v3, off, s[0:3], 0 offset:124
	v_cmpx_lt_u32_e32 14, v0
	s_cbranch_execz .LBB50_291
; %bb.290:
	s_clause 0x1
	buffer_load_dword v2, off, s[0:3], 0 offset:112
	buffer_load_dword v3, off, s[0:3], 0 offset:116
	buffer_store_dword v1, off, s[0:3], 0 offset:112
	buffer_store_dword v1, off, s[0:3], 0 offset:116
	s_waitcnt vmcnt(0)
	ds_write_b64 v111, v[2:3]
.LBB50_291:
	s_or_b32 exec_lo, exec_lo, s4
	s_waitcnt lgkmcnt(0)
	s_waitcnt_vscnt null, 0x0
	s_barrier
	buffer_gl0_inv
	s_clause 0x2a
	buffer_load_dword v7, off, s[0:3], 0 offset:124
	buffer_load_dword v8, off, s[0:3], 0 offset:132
	;; [unrolled: 1-line block ×43, first 2 shown]
	ds_read2_b64 v[144:147], v1 offset0:67 offset1:68
	ds_read2_b64 v[148:151], v1 offset0:69 offset1:70
	;; [unrolled: 1-line block ×3, first 2 shown]
	buffer_load_dword v162, off, s[0:3], 0 offset:116
	s_mov_b32 s4, exec_lo
	s_waitcnt vmcnt(43) lgkmcnt(2)
	v_mul_f32_e32 v160, v144, v7
	s_waitcnt vmcnt(42)
	v_mul_f32_e32 v161, v146, v8
	v_mul_f32_e32 v7, v145, v7
	;; [unrolled: 1-line block ×3, first 2 shown]
	s_waitcnt vmcnt(39)
	v_fmac_f32_e32 v160, v145, v6
	v_fmac_f32_e32 v161, v147, v5
	v_fma_f32 v163, v144, v6, -v7
	v_fma_f32 v164, v146, v5, -v8
	ds_read2_b64 v[5:8], v1 offset0:73 offset1:74
	ds_read2_b64 v[144:147], v1 offset0:75 offset1:76
	s_waitcnt vmcnt(38) lgkmcnt(3)
	v_mul_f32_e32 v165, v148, v3
	s_waitcnt vmcnt(37)
	v_mul_f32_e32 v166, v150, v4
	v_mul_f32_e32 v3, v149, v3
	;; [unrolled: 1-line block ×3, first 2 shown]
	v_fmac_f32_e32 v165, v149, v2
	s_waitcnt vmcnt(33)
	v_fmac_f32_e32 v166, v151, v119
	v_fma_f32 v148, v148, v2, -v3
	v_fma_f32 v149, v150, v119, -v4
	s_waitcnt vmcnt(32) lgkmcnt(2)
	v_mul_f32_e32 v150, v152, v117
	v_mul_f32_e32 v2, v153, v117
	s_waitcnt vmcnt(31)
	v_mul_f32_e32 v3, v155, v118
	v_mul_f32_e32 v151, v154, v118
	v_fmac_f32_e32 v150, v153, v116
	v_fma_f32 v152, v152, v116, -v2
	v_fma_f32 v153, v154, v113, -v3
	ds_read2_b64 v[116:119], v1 offset0:77 offset1:78
	s_waitcnt vmcnt(30) lgkmcnt(2)
	v_mul_f32_e32 v154, v5, v114
	v_mul_f32_e32 v2, v6, v114
	s_waitcnt vmcnt(29)
	v_mul_f32_e32 v3, v8, v115
	v_fmac_f32_e32 v151, v155, v113
	v_mul_f32_e32 v155, v7, v115
	v_fmac_f32_e32 v154, v6, v112
	v_fma_f32 v6, v5, v112, -v2
	s_waitcnt vmcnt(25)
	v_fma_f32 v7, v7, v127, -v3
	ds_read2_b64 v[2:5], v1 offset0:79 offset1:80
	v_fmac_f32_e32 v155, v8, v127
	s_waitcnt vmcnt(24) lgkmcnt(2)
	v_mul_f32_e32 v8, v144, v125
	s_waitcnt vmcnt(23)
	v_mul_f32_e32 v127, v146, v126
	v_mul_f32_e32 v112, v145, v125
	;; [unrolled: 1-line block ×3, first 2 shown]
	v_fmac_f32_e32 v8, v145, v124
	v_fmac_f32_e32 v127, v147, v121
	v_fma_f32 v124, v144, v124, -v112
	v_fma_f32 v121, v146, v121, -v113
	ds_read2_b64 v[112:115], v1 offset0:81 offset1:82
	s_waitcnt vmcnt(22) lgkmcnt(2)
	v_mul_f32_e32 v125, v116, v122
	s_waitcnt vmcnt(21)
	v_mul_f32_e32 v126, v118, v123
	v_mul_f32_e32 v122, v117, v122
	;; [unrolled: 1-line block ×3, first 2 shown]
	v_fmac_f32_e32 v125, v117, v120
	s_waitcnt vmcnt(17)
	v_fmac_f32_e32 v126, v119, v135
	v_fma_f32 v120, v116, v120, -v122
	v_fma_f32 v122, v118, v135, -v123
	s_waitcnt vmcnt(16) lgkmcnt(1)
	v_mul_f32_e32 v123, v2, v133
	s_waitcnt vmcnt(15)
	v_mul_f32_e32 v135, v4, v134
	v_mul_f32_e32 v133, v3, v133
	;; [unrolled: 1-line block ×3, first 2 shown]
	ds_read2_b64 v[116:119], v1 offset0:83 offset1:84
	v_fmac_f32_e32 v123, v3, v132
	v_fmac_f32_e32 v135, v5, v129
	v_fma_f32 v132, v2, v132, -v133
	v_fma_f32 v129, v4, v129, -v134
	s_clause 0x1
	buffer_load_dword v133, off, s[0:3], 0 offset:284
	buffer_load_dword v134, off, s[0:3], 0 offset:292
	s_waitcnt vmcnt(16) lgkmcnt(1)
	v_mul_f32_e32 v144, v112, v130
	v_mul_f32_e32 v2, v113, v130
	s_waitcnt vmcnt(15)
	v_mul_f32_e32 v3, v115, v131
	v_mul_f32_e32 v145, v114, v131
	buffer_load_dword v131, off, s[0:3], 0 offset:300
	v_fmac_f32_e32 v144, v113, v128
	v_fma_f32 v128, v112, v128, -v2
	s_waitcnt vmcnt(12)
	v_fma_f32 v130, v114, v143, -v3
	ds_read2_b64 v[2:5], v1 offset0:85 offset1:86
	v_fmac_f32_e32 v145, v115, v143
	s_waitcnt vmcnt(11) lgkmcnt(1)
	v_mul_f32_e32 v143, v116, v141
	s_waitcnt vmcnt(10)
	v_mul_f32_e32 v146, v118, v142
	v_mul_f32_e32 v112, v117, v141
	;; [unrolled: 1-line block ×3, first 2 shown]
	s_clause 0x5
	buffer_load_dword v141, off, s[0:3], 0 offset:308
	buffer_load_dword v142, off, s[0:3], 0 offset:328
	;; [unrolled: 1-line block ×6, first 2 shown]
	v_fmac_f32_e32 v143, v117, v140
	v_fma_f32 v140, v116, v140, -v112
	v_fmac_f32_e32 v146, v119, v139
	v_fma_f32 v139, v118, v139, -v113
	s_waitcnt vmcnt(15) lgkmcnt(0)
	v_mul_f32_e32 v169, v2, v138
	v_mul_f32_e32 v112, v3, v138
	s_waitcnt vmcnt(14)
	v_mul_f32_e32 v138, v4, v137
	v_fmac_f32_e32 v169, v3, v136
	v_add_f32_e32 v3, 0, v160
	v_fma_f32 v136, v2, v136, -v112
	v_add_f32_e32 v2, 0, v163
	v_mul_f32_e32 v112, v5, v137
	s_clause 0x1
	buffer_load_dword v137, off, s[0:3], 0 offset:324
	buffer_load_dword v160, off, s[0:3], 0 offset:332
	v_add_f32_e32 v3, v3, v161
	v_add_f32_e32 v2, v2, v164
	buffer_load_dword v161, off, s[0:3], 0 offset:340
	s_waitcnt vmcnt(13)
	v_fmac_f32_e32 v138, v5, v159
	v_fma_f32 v159, v4, v159, -v112
	v_add_f32_e32 v3, v3, v165
	v_add_f32_e32 v2, v2, v148
	s_clause 0x2
	buffer_load_dword v148, off, s[0:3], 0 offset:348
	buffer_load_dword v163, off, s[0:3], 0 offset:356
	;; [unrolled: 1-line block ×3, first 2 shown]
	v_add_f32_e32 v3, v3, v166
	v_add_f32_e32 v2, v2, v149
	s_clause 0x3
	buffer_load_dword v149, off, s[0:3], 0 offset:372
	buffer_load_dword v165, off, s[0:3], 0 offset:380
	;; [unrolled: 1-line block ×4, first 2 shown]
	v_add_f32_e32 v3, v3, v150
	v_add_f32_e32 v2, v2, v152
	buffer_load_dword v150, off, s[0:3], 0 offset:404
	v_add_f32_e32 v3, v3, v151
	v_add_f32_e32 v2, v2, v153
	s_clause 0x3
	buffer_load_dword v151, off, s[0:3], 0 offset:360
	buffer_load_dword v152, off, s[0:3], 0 offset:352
	;; [unrolled: 1-line block ×4, first 2 shown]
	v_add_f32_e32 v3, v3, v154
	v_add_f32_e32 v2, v2, v6
	;; [unrolled: 1-line block ×4, first 2 shown]
	s_clause 0x4
	buffer_load_dword v6, off, s[0:3], 0 offset:392
	buffer_load_dword v7, off, s[0:3], 0 offset:384
	;; [unrolled: 1-line block ×5, first 2 shown]
	v_add_f32_e32 v3, v3, v8
	buffer_load_dword v8, off, s[0:3], 0 offset:400
	v_add_f32_e32 v2, v2, v124
	v_add_f32_e32 v3, v3, v127
	;; [unrolled: 1-line block ×5, first 2 shown]
	ds_read2_b64 v[2:5], v1 offset0:87 offset1:88
	v_add_f32_e32 v112, v112, v126
	v_add_f32_e32 v113, v113, v122
	;; [unrolled: 1-line block ×4, first 2 shown]
	ds_read2_b64 v[112:115], v1 offset0:89 offset1:90
	v_add_f32_e32 v116, v116, v135
	v_add_f32_e32 v117, v117, v129
	;; [unrolled: 1-line block ×10, first 2 shown]
	s_waitcnt vmcnt(29) lgkmcnt(1)
	v_mul_f32_e32 v132, v2, v133
	v_mul_f32_e32 v118, v3, v133
	s_waitcnt vmcnt(28)
	v_mul_f32_e32 v133, v4, v134
	v_mul_f32_e32 v119, v5, v134
	v_fmac_f32_e32 v132, v3, v158
	v_fma_f32 v134, v2, v158, -v118
	v_fmac_f32_e32 v133, v5, v157
	v_fma_f32 v135, v4, v157, -v119
	ds_read2_b64 v[2:5], v1 offset0:91 offset1:92
	ds_read2_b64 v[116:119], v1 offset0:93 offset1:94
	s_waitcnt vmcnt(27) lgkmcnt(2)
	v_mul_f32_e32 v144, v112, v131
	v_mul_f32_e32 v122, v113, v131
	v_fmac_f32_e32 v144, v113, v156
	v_add_f32_e32 v113, v121, v146
	v_fma_f32 v140, v112, v156, -v122
	s_waitcnt vmcnt(26)
	v_mul_f32_e32 v145, v114, v141
	v_mul_f32_e32 v123, v115, v141
	v_add_f32_e32 v125, v113, v169
	s_waitcnt vmcnt(22)
	v_fmac_f32_e32 v145, v115, v168
	v_fma_f32 v139, v114, v168, -v123
	v_add_f32_e32 v130, v125, v138
	v_add_f32_e32 v138, v128, v159
	s_waitcnt vmcnt(21) lgkmcnt(1)
	v_mul_f32_e32 v136, v2, v170
	v_mul_f32_e32 v129, v3, v170
	ds_read2_b64 v[112:115], v1 offset0:95 offset1:96
	ds_read2_b64 v[120:123], v1 offset0:97 offset1:98
	;; [unrolled: 1-line block ×3, first 2 shown]
	v_fmac_f32_e32 v136, v3, v167
	v_fma_f32 v2, v2, v167, -v129
	v_add_f32_e32 v3, v130, v132
	ds_read2_b64 v[128:131], v1 offset0:101 offset1:102
	v_add_f32_e32 v1, v138, v134
	s_waitcnt vmcnt(20)
	v_mul_f32_e32 v134, v5, v137
	v_add_f32_e32 v3, v3, v133
	v_mul_f32_e32 v132, v4, v137
	v_add_f32_e32 v1, v1, v135
	s_waitcnt vmcnt(19) lgkmcnt(4)
	v_mul_f32_e32 v137, v117, v160
	v_fma_f32 v4, v4, v147, -v134
	v_add_f32_e32 v3, v3, v144
	v_mul_f32_e32 v133, v116, v160
	v_add_f32_e32 v1, v1, v140
	v_fmac_f32_e32 v132, v5, v147
	v_fma_f32 v116, v116, v142, -v137
	v_add_f32_e32 v3, v3, v145
	s_waitcnt vmcnt(18)
	v_mul_f32_e32 v135, v118, v161
	v_add_f32_e32 v1, v1, v139
	v_mul_f32_e32 v139, v119, v161
	v_fmac_f32_e32 v133, v117, v142
	s_waitcnt vmcnt(17) lgkmcnt(3)
	v_mul_f32_e32 v5, v112, v148
	s_waitcnt vmcnt(16)
	v_mul_f32_e32 v134, v114, v163
	v_add_f32_e32 v1, v1, v2
	v_add_f32_e32 v2, v3, v136
	s_waitcnt vmcnt(15) lgkmcnt(2)
	v_mul_f32_e32 v138, v120, v164
	s_waitcnt vmcnt(14)
	v_mul_f32_e32 v140, v122, v149
	s_waitcnt vmcnt(8)
	v_fmac_f32_e32 v134, v115, v152
	v_add_f32_e32 v1, v1, v4
	v_add_f32_e32 v2, v2, v132
	v_mul_f32_e32 v4, v113, v148
	s_waitcnt vmcnt(6)
	v_fma_f32 v117, v118, v172, -v139
	v_fmac_f32_e32 v135, v119, v172
	v_add_f32_e32 v1, v1, v116
	v_add_f32_e32 v2, v2, v133
	v_mul_f32_e32 v116, v115, v163
	v_fma_f32 v4, v112, v153, -v4
	v_fmac_f32_e32 v5, v113, v153
	v_add_f32_e32 v1, v1, v117
	v_add_f32_e32 v2, v2, v135
	v_mul_f32_e32 v112, v121, v164
	;; [unrolled: 5-line block ×3, first 2 shown]
	v_fma_f32 v5, v120, v151, -v112
	s_waitcnt lgkmcnt(1)
	v_mul_f32_e32 v112, v125, v165
	v_add_f32_e32 v1, v1, v113
	v_add_f32_e32 v2, v2, v134
	s_waitcnt vmcnt(2)
	v_fma_f32 v4, v122, v155, -v4
	v_mul_f32_e32 v141, v124, v165
	v_fmac_f32_e32 v140, v123, v155
	v_add_f32_e32 v1, v1, v5
	v_add_f32_e32 v2, v2, v138
	v_mul_f32_e32 v5, v127, v166
	v_fma_f32 v112, v124, v154, -v112
	v_mul_f32_e32 v143, v126, v166
	v_add_f32_e32 v1, v1, v4
	v_fmac_f32_e32 v141, v125, v154
	v_add_f32_e32 v2, v2, v140
	s_waitcnt lgkmcnt(0)
	v_mul_f32_e32 v4, v129, v171
	v_fma_f32 v5, v126, v7, -v5
	v_add_f32_e32 v1, v1, v112
	v_mul_f32_e32 v144, v128, v171
	v_fmac_f32_e32 v143, v127, v7
	v_add_f32_e32 v2, v2, v141
	v_mul_f32_e32 v7, v131, v150
	v_fma_f32 v4, v128, v6, -v4
	v_add_f32_e32 v1, v1, v5
	v_mul_f32_e32 v3, v130, v150
	v_fmac_f32_e32 v144, v129, v6
	v_add_f32_e32 v2, v2, v143
	s_waitcnt vmcnt(0)
	v_fma_f32 v5, v130, v8, -v7
	v_add_f32_e32 v1, v1, v4
	v_fmac_f32_e32 v3, v131, v8
	v_add_f32_e32 v2, v2, v144
	v_add_f32_e32 v1, v1, v5
	;; [unrolled: 1-line block ×3, first 2 shown]
	v_sub_f32_e32 v1, v173, v1
	v_sub_f32_e32 v2, v162, v2
	buffer_store_dword v1, off, s[0:3], 0 offset:112
	buffer_store_dword v2, off, s[0:3], 0 offset:116
	v_cmpx_lt_u32_e32 13, v0
	s_cbranch_execz .LBB50_293
; %bb.292:
	s_clause 0x1
	buffer_load_dword v1, off, s[0:3], 0 offset:104
	buffer_load_dword v2, off, s[0:3], 0 offset:108
	v_mov_b32_e32 v3, 0
	buffer_store_dword v3, off, s[0:3], 0 offset:104
	buffer_store_dword v3, off, s[0:3], 0 offset:108
	s_waitcnt vmcnt(0)
	ds_write_b64 v111, v[1:2]
.LBB50_293:
	s_or_b32 exec_lo, exec_lo, s4
	s_waitcnt lgkmcnt(0)
	s_waitcnt_vscnt null, 0x0
	s_barrier
	buffer_gl0_inv
	s_clause 0x2b
	buffer_load_dword v6, off, s[0:3], 0 offset:116
	buffer_load_dword v7, off, s[0:3], 0 offset:128
	;; [unrolled: 1-line block ×44, first 2 shown]
	v_mov_b32_e32 v1, 0
	ds_read_b128 v[2:5], v1 offset:528
	ds_read_b128 v[112:115], v1 offset:544
	;; [unrolled: 1-line block ×3, first 2 shown]
	buffer_load_dword v162, off, s[0:3], 0 offset:108
	s_mov_b32 s4, exec_lo
	s_waitcnt vmcnt(44) lgkmcnt(2)
	v_mul_f32_e32 v161, v3, v6
	v_mul_f32_e32 v6, v2, v6
	s_waitcnt vmcnt(41)
	v_fma_f32 v161, v2, v120, -v161
	v_fmac_f32_e32 v6, v3, v120
	s_waitcnt vmcnt(40)
	v_mul_f32_e32 v120, v4, v121
	v_mul_f32_e32 v2, v5, v121
	s_waitcnt vmcnt(39) lgkmcnt(1)
	v_mul_f32_e32 v121, v112, v122
	v_mul_f32_e32 v122, v113, v122
	v_add_f32_e32 v6, 0, v6
	v_fmac_f32_e32 v120, v5, v8
	v_fma_f32 v8, v4, v8, -v2
	ds_read_b128 v[2:5], v1 offset:576
	v_fmac_f32_e32 v121, v113, v7
	v_fma_f32 v7, v112, v7, -v122
	s_waitcnt vmcnt(38)
	v_mul_f32_e32 v122, v114, v123
	v_mul_f32_e32 v112, v115, v123
	v_add_f32_e32 v6, v6, v120
	s_waitcnt vmcnt(34)
	v_fmac_f32_e32 v122, v115, v127
	v_fma_f32 v123, v114, v127, -v112
	s_waitcnt vmcnt(33) lgkmcnt(1)
	v_mul_f32_e32 v127, v116, v128
	v_mul_f32_e32 v128, v117, v128
	ds_read_b128 v[112:115], v1 offset:592
	v_add_f32_e32 v6, v6, v121
	v_fmac_f32_e32 v127, v117, v126
	v_fma_f32 v126, v116, v126, -v128
	s_waitcnt vmcnt(32)
	v_mul_f32_e32 v128, v118, v129
	v_mul_f32_e32 v116, v119, v129
	v_add_f32_e32 v6, v6, v122
	s_waitcnt vmcnt(31) lgkmcnt(1)
	v_mul_f32_e32 v129, v2, v130
	v_mul_f32_e32 v130, v3, v130
	v_fmac_f32_e32 v128, v119, v125
	v_fma_f32 v125, v118, v125, -v116
	ds_read_b128 v[116:119], v1 offset:608
	v_fmac_f32_e32 v129, v3, v124
	v_fma_f32 v124, v2, v124, -v130
	s_waitcnt vmcnt(30)
	v_mul_f32_e32 v130, v4, v131
	v_mul_f32_e32 v2, v5, v131
	v_add_f32_e32 v6, v6, v127
	s_waitcnt vmcnt(26)
	v_fmac_f32_e32 v130, v5, v135
	v_fma_f32 v131, v4, v135, -v2
	ds_read_b128 v[2:5], v1 offset:624
	s_waitcnt vmcnt(25) lgkmcnt(2)
	v_mul_f32_e32 v135, v112, v136
	v_mul_f32_e32 v136, v113, v136
	v_add_f32_e32 v6, v6, v128
	v_fmac_f32_e32 v135, v113, v134
	v_fma_f32 v134, v112, v134, -v136
	s_waitcnt vmcnt(24)
	v_mul_f32_e32 v136, v114, v137
	v_mul_f32_e32 v112, v115, v137
	s_waitcnt vmcnt(23) lgkmcnt(1)
	v_mul_f32_e32 v137, v116, v138
	v_mul_f32_e32 v138, v117, v138
	v_add_f32_e32 v6, v6, v129
	v_fmac_f32_e32 v136, v115, v133
	v_fma_f32 v133, v114, v133, -v112
	ds_read_b128 v[112:115], v1 offset:640
	v_fmac_f32_e32 v137, v117, v132
	v_fma_f32 v132, v116, v132, -v138
	s_waitcnt vmcnt(22)
	v_mul_f32_e32 v138, v118, v139
	v_mul_f32_e32 v116, v119, v139
	s_waitcnt vmcnt(18)
	v_fmac_f32_e32 v138, v119, v143
	v_fma_f32 v139, v118, v143, -v116
	s_waitcnt vmcnt(17) lgkmcnt(1)
	v_mul_f32_e32 v143, v2, v144
	v_mul_f32_e32 v116, v3, v144
	s_waitcnt vmcnt(16)
	v_mul_f32_e32 v144, v4, v145
	v_mul_f32_e32 v145, v5, v145
	v_fmac_f32_e32 v143, v3, v142
	v_fma_f32 v142, v2, v142, -v116
	ds_read_b128 v[116:119], v1 offset:656
	v_fmac_f32_e32 v144, v5, v141
	v_fma_f32 v141, v4, v141, -v145
	s_clause 0x1
	buffer_load_dword v145, off, s[0:3], 0 offset:284
	buffer_load_dword v163, off, s[0:3], 0 offset:292
	v_add_f32_e32 v4, 0, v161
	s_waitcnt vmcnt(17) lgkmcnt(1)
	v_mul_f32_e32 v164, v112, v146
	v_mul_f32_e32 v2, v113, v146
	s_waitcnt vmcnt(16)
	v_mul_f32_e32 v3, v115, v147
	v_mul_f32_e32 v146, v114, v147
	v_add_f32_e32 v8, v4, v8
	v_fmac_f32_e32 v164, v113, v140
	v_fma_f32 v140, v112, v140, -v2
	s_waitcnt vmcnt(12)
	v_fma_f32 v147, v114, v151, -v3
	ds_read_b128 v[2:5], v1 offset:672
	v_add_f32_e32 v7, v8, v7
	buffer_load_dword v165, off, s[0:3], 0 offset:300
	v_fmac_f32_e32 v146, v115, v151
	v_add_f32_e32 v7, v7, v123
	s_waitcnt vmcnt(12) lgkmcnt(1)
	v_mul_f32_e32 v151, v116, v152
	v_mul_f32_e32 v112, v117, v152
	s_clause 0x3
	buffer_load_dword v8, off, s[0:3], 0 offset:320
	buffer_load_dword v152, off, s[0:3], 0 offset:312
	;; [unrolled: 1-line block ×4, first 2 shown]
	s_waitcnt vmcnt(15)
	v_mul_f32_e32 v121, v118, v153
	v_add_f32_e32 v7, v7, v126
	v_fmac_f32_e32 v151, v117, v150
	v_fma_f32 v116, v116, v150, -v112
	s_clause 0x1
	buffer_load_dword v150, off, s[0:3], 0 offset:308
	buffer_load_dword v166, off, s[0:3], 0 offset:316
	v_mul_f32_e32 v112, v119, v153
	buffer_load_dword v153, off, s[0:3], 0 offset:324
	v_add_f32_e32 v7, v7, v125
	v_fmac_f32_e32 v121, v119, v149
	s_waitcnt vmcnt(17) lgkmcnt(0)
	v_mul_f32_e32 v125, v2, v154
	v_mul_f32_e32 v117, v3, v154
	v_add_f32_e32 v7, v7, v124
	v_fma_f32 v122, v118, v149, -v112
	s_waitcnt vmcnt(16)
	v_mul_f32_e32 v124, v4, v155
	v_mul_f32_e32 v118, v5, v155
	v_fmac_f32_e32 v125, v3, v148
	v_fma_f32 v126, v2, v148, -v117
	v_add_f32_e32 v2, v7, v131
	v_add_f32_e32 v3, v6, v130
	s_clause 0x3
	buffer_load_dword v149, off, s[0:3], 0 offset:332
	buffer_load_dword v167, off, s[0:3], 0 offset:340
	;; [unrolled: 1-line block ×4, first 2 shown]
	ds_read_b128 v[112:115], v1 offset:688
	s_clause 0x3
	buffer_load_dword v128, off, s[0:3], 0 offset:364
	buffer_load_dword v129, off, s[0:3], 0 offset:372
	;; [unrolled: 1-line block ×4, first 2 shown]
	s_waitcnt vmcnt(20)
	v_fmac_f32_e32 v124, v5, v159
	v_fma_f32 v6, v4, v159, -v118
	buffer_load_dword v148, off, s[0:3], 0 offset:396
	v_add_f32_e32 v2, v2, v134
	v_add_f32_e32 v3, v3, v135
	s_clause 0x4
	buffer_load_dword v134, off, s[0:3], 0 offset:352
	buffer_load_dword v135, off, s[0:3], 0 offset:344
	;; [unrolled: 1-line block ×5, first 2 shown]
	v_add_f32_e32 v2, v2, v133
	v_add_f32_e32 v7, v3, v136
	;; [unrolled: 1-line block ×4, first 2 shown]
	ds_read_b128 v[2:5], v1 offset:704
	s_waitcnt vmcnt(25) lgkmcnt(1)
	v_mul_f32_e32 v118, v113, v160
	v_add_f32_e32 v7, v7, v138
	s_clause 0x3
	buffer_load_dword v133, off, s[0:3], 0 offset:384
	buffer_load_dword v136, off, s[0:3], 0 offset:376
	;; [unrolled: 1-line block ×4, first 2 shown]
	v_add_f32_e32 v117, v117, v139
	v_mul_f32_e32 v132, v112, v160
	v_fma_f32 v127, v112, v158, -v118
	v_add_f32_e32 v7, v7, v143
	v_add_f32_e32 v112, v117, v142
	v_fmac_f32_e32 v132, v113, v158
	v_add_f32_e32 v7, v7, v144
	v_add_f32_e32 v112, v112, v141
	s_clause 0x2
	buffer_load_dword v139, off, s[0:3], 0 offset:400
	buffer_load_dword v141, off, s[0:3], 0 offset:392
	;; [unrolled: 1-line block ×3, first 2 shown]
	v_add_f32_e32 v7, v7, v164
	v_add_f32_e32 v117, v112, v140
	;; [unrolled: 1-line block ×6, first 2 shown]
	ds_read_b128 v[116:119], v1 offset:736
	v_add_f32_e32 v7, v7, v121
	v_add_f32_e32 v146, v146, v122
	;; [unrolled: 1-line block ×8, first 2 shown]
	s_waitcnt vmcnt(30)
	v_mul_f32_e32 v140, v114, v145
	v_mul_f32_e32 v112, v115, v145
	s_waitcnt vmcnt(29) lgkmcnt(1)
	v_mul_f32_e32 v123, v3, v163
	v_mul_f32_e32 v144, v2, v163
	v_fmac_f32_e32 v140, v115, v157
	v_fma_f32 v143, v114, v157, -v112
	ds_read_b128 v[112:115], v1 offset:720
	v_fma_f32 v151, v2, v156, -v123
	v_fmac_f32_e32 v144, v3, v156
	v_add_f32_e32 v132, v132, v140
	v_add_f32_e32 v143, v6, v143
	s_waitcnt vmcnt(28)
	v_mul_f32_e32 v147, v5, v165
	v_mul_f32_e32 v145, v4, v165
	v_add_f32_e32 v132, v132, v144
	v_add_f32_e32 v143, v143, v151
	s_waitcnt vmcnt(24)
	v_fma_f32 v147, v4, v120, -v147
	v_fmac_f32_e32 v145, v5, v120
	ds_read_b128 v[2:5], v1 offset:752
	ds_read_b128 v[120:123], v1 offset:768
	;; [unrolled: 1-line block ×3, first 2 shown]
	ds_read_b64 v[6:7], v1 offset:816
	v_add_f32_e32 v143, v143, v147
	v_add_f32_e32 v132, v132, v145
	s_waitcnt vmcnt(23) lgkmcnt(4)
	v_mul_f32_e32 v146, v112, v150
	v_mul_f32_e32 v150, v113, v150
	s_waitcnt vmcnt(22)
	v_mul_f32_e32 v156, v114, v166
	v_mul_f32_e32 v157, v115, v166
	s_waitcnt vmcnt(21)
	v_mul_f32_e32 v151, v117, v153
	v_fmac_f32_e32 v146, v113, v161
	v_fma_f32 v150, v112, v161, -v150
	v_fmac_f32_e32 v156, v115, v152
	v_fma_f32 v152, v114, v152, -v157
	v_mul_f32_e32 v157, v116, v153
	ds_read_b128 v[112:115], v1 offset:800
	v_add_f32_e32 v143, v143, v150
	s_waitcnt vmcnt(20)
	v_mul_f32_e32 v140, v118, v149
	v_mul_f32_e32 v149, v119, v149
	v_fmac_f32_e32 v157, v117, v8
	v_add_f32_e32 v117, v132, v146
	v_fma_f32 v8, v116, v8, -v151
	v_add_f32_e32 v143, v143, v152
	s_waitcnt vmcnt(19) lgkmcnt(4)
	v_mul_f32_e32 v144, v2, v167
	v_mul_f32_e32 v151, v3, v167
	v_add_f32_e32 v117, v117, v156
	s_waitcnt vmcnt(8)
	v_fma_f32 v118, v118, v155, -v149
	v_add_f32_e32 v8, v143, v8
	v_fmac_f32_e32 v140, v119, v155
	v_mul_f32_e32 v119, v5, v168
	v_add_f32_e32 v117, v117, v157
	v_fmac_f32_e32 v144, v3, v154
	v_fma_f32 v2, v2, v154, -v151
	v_add_f32_e32 v3, v8, v118
	v_mul_f32_e32 v147, v4, v168
	v_add_f32_e32 v8, v117, v140
	s_waitcnt lgkmcnt(3)
	v_mul_f32_e32 v117, v121, v169
	v_fma_f32 v4, v4, v135, -v119
	v_add_f32_e32 v2, v3, v2
	v_mul_f32_e32 v153, v120, v169
	v_fmac_f32_e32 v147, v5, v135
	v_add_f32_e32 v3, v8, v144
	v_mul_f32_e32 v5, v123, v128
	v_fma_f32 v8, v120, v134, -v117
	v_add_f32_e32 v2, v2, v4
	v_mul_f32_e32 v145, v122, v128
	v_fmac_f32_e32 v153, v121, v134
	v_add_f32_e32 v3, v3, v147
	s_waitcnt lgkmcnt(2)
	v_mul_f32_e32 v4, v125, v129
	s_waitcnt vmcnt(3)
	v_fma_f32 v5, v122, v138, -v5
	v_add_f32_e32 v2, v2, v8
	v_mul_f32_e32 v150, v124, v129
	v_fmac_f32_e32 v145, v123, v138
	v_add_f32_e32 v3, v3, v153
	v_mul_f32_e32 v8, v127, v130
	v_fma_f32 v4, v124, v137, -v4
	v_add_f32_e32 v2, v2, v5
	v_mul_f32_e32 v116, v126, v130
	v_fmac_f32_e32 v150, v125, v137
	v_add_f32_e32 v3, v3, v145
	s_waitcnt lgkmcnt(0)
	v_mul_f32_e32 v5, v113, v131
	v_fma_f32 v8, v126, v136, -v8
	v_add_f32_e32 v2, v2, v4
	v_mul_f32_e32 v132, v112, v131
	v_fmac_f32_e32 v116, v127, v136
	v_add_f32_e32 v3, v3, v150
	v_mul_f32_e32 v4, v115, v148
	v_fma_f32 v5, v112, v133, -v5
	v_add_f32_e32 v2, v2, v8
	v_mul_f32_e32 v146, v114, v148
	v_fmac_f32_e32 v132, v113, v133
	v_add_f32_e32 v3, v3, v116
	v_mul_f32_e32 v8, v7, v159
	s_waitcnt vmcnt(1)
	v_fma_f32 v4, v114, v141, -v4
	v_add_f32_e32 v2, v2, v5
	v_mul_f32_e32 v152, v6, v159
	v_fmac_f32_e32 v146, v115, v141
	v_add_f32_e32 v3, v3, v132
	v_fma_f32 v5, v6, v139, -v8
	v_add_f32_e32 v2, v2, v4
	v_fmac_f32_e32 v152, v7, v139
	v_add_f32_e32 v3, v3, v146
	v_add_f32_e32 v2, v2, v5
	;; [unrolled: 1-line block ×3, first 2 shown]
	s_waitcnt vmcnt(0)
	v_sub_f32_e32 v2, v142, v2
	v_sub_f32_e32 v3, v162, v3
	buffer_store_dword v2, off, s[0:3], 0 offset:104
	buffer_store_dword v3, off, s[0:3], 0 offset:108
	v_cmpx_lt_u32_e32 12, v0
	s_cbranch_execz .LBB50_295
; %bb.294:
	s_clause 0x1
	buffer_load_dword v2, off, s[0:3], 0 offset:96
	buffer_load_dword v3, off, s[0:3], 0 offset:100
	buffer_store_dword v1, off, s[0:3], 0 offset:96
	buffer_store_dword v1, off, s[0:3], 0 offset:100
	s_waitcnt vmcnt(0)
	ds_write_b64 v111, v[2:3]
.LBB50_295:
	s_or_b32 exec_lo, exec_lo, s4
	s_waitcnt lgkmcnt(0)
	s_waitcnt_vscnt null, 0x0
	s_barrier
	buffer_gl0_inv
	s_clause 0x2b
	buffer_load_dword v6, off, s[0:3], 0 offset:108
	buffer_load_dword v7, off, s[0:3], 0 offset:120
	;; [unrolled: 1-line block ×44, first 2 shown]
	ds_read2_b64 v[2:5], v1 offset0:65 offset1:66
	ds_read2_b64 v[112:115], v1 offset0:67 offset1:68
	;; [unrolled: 1-line block ×3, first 2 shown]
	buffer_load_dword v162, off, s[0:3], 0 offset:100
	s_mov_b32 s4, exec_lo
	s_waitcnt vmcnt(44) lgkmcnt(2)
	v_mul_f32_e32 v161, v3, v6
	v_mul_f32_e32 v6, v2, v6
	s_waitcnt vmcnt(41)
	v_fma_f32 v161, v2, v120, -v161
	v_fmac_f32_e32 v6, v3, v120
	s_waitcnt vmcnt(40)
	v_mul_f32_e32 v120, v4, v121
	v_mul_f32_e32 v2, v5, v121
	s_waitcnt vmcnt(39) lgkmcnt(1)
	v_mul_f32_e32 v121, v112, v122
	v_mul_f32_e32 v122, v113, v122
	v_add_f32_e32 v6, 0, v6
	v_fmac_f32_e32 v120, v5, v8
	v_fma_f32 v8, v4, v8, -v2
	ds_read2_b64 v[2:5], v1 offset0:71 offset1:72
	v_fmac_f32_e32 v121, v113, v7
	v_fma_f32 v7, v112, v7, -v122
	s_waitcnt vmcnt(38)
	v_mul_f32_e32 v122, v114, v123
	v_mul_f32_e32 v112, v115, v123
	v_add_f32_e32 v6, v6, v120
	s_waitcnt vmcnt(34)
	v_fmac_f32_e32 v122, v115, v127
	v_fma_f32 v123, v114, v127, -v112
	s_waitcnt vmcnt(33) lgkmcnt(1)
	v_mul_f32_e32 v127, v116, v128
	v_mul_f32_e32 v128, v117, v128
	ds_read2_b64 v[112:115], v1 offset0:73 offset1:74
	v_add_f32_e32 v6, v6, v121
	v_fmac_f32_e32 v127, v117, v126
	v_fma_f32 v126, v116, v126, -v128
	s_waitcnt vmcnt(32)
	v_mul_f32_e32 v128, v118, v129
	v_mul_f32_e32 v116, v119, v129
	v_add_f32_e32 v6, v6, v122
	s_waitcnt vmcnt(31) lgkmcnt(1)
	v_mul_f32_e32 v129, v2, v130
	v_mul_f32_e32 v130, v3, v130
	v_fmac_f32_e32 v128, v119, v125
	v_fma_f32 v125, v118, v125, -v116
	ds_read2_b64 v[116:119], v1 offset0:75 offset1:76
	v_fmac_f32_e32 v129, v3, v124
	v_fma_f32 v124, v2, v124, -v130
	s_waitcnt vmcnt(30)
	v_mul_f32_e32 v130, v4, v131
	v_mul_f32_e32 v2, v5, v131
	v_add_f32_e32 v6, v6, v127
	s_waitcnt vmcnt(26)
	v_fmac_f32_e32 v130, v5, v135
	v_fma_f32 v131, v4, v135, -v2
	s_waitcnt vmcnt(25) lgkmcnt(1)
	v_mul_f32_e32 v135, v112, v136
	v_mul_f32_e32 v2, v113, v136
	s_waitcnt vmcnt(24)
	v_mul_f32_e32 v136, v114, v137
	v_mul_f32_e32 v137, v115, v137
	v_add_f32_e32 v6, v6, v128
	v_fmac_f32_e32 v135, v113, v134
	v_fma_f32 v134, v112, v134, -v2
	ds_read2_b64 v[2:5], v1 offset0:77 offset1:78
	v_fmac_f32_e32 v136, v115, v133
	v_fma_f32 v133, v114, v133, -v137
	ds_read2_b64 v[112:115], v1 offset0:79 offset1:80
	s_waitcnt vmcnt(23) lgkmcnt(2)
	v_mul_f32_e32 v137, v116, v138
	v_mul_f32_e32 v138, v117, v138
	v_fmac_f32_e32 v137, v117, v132
	v_fma_f32 v116, v116, v132, -v138
	s_waitcnt vmcnt(22)
	v_mul_f32_e32 v117, v118, v139
	v_mul_f32_e32 v132, v119, v139
	s_waitcnt vmcnt(18)
	v_fmac_f32_e32 v117, v119, v143
	v_fma_f32 v118, v118, v143, -v132
	s_clause 0x1
	buffer_load_dword v119, off, s[0:3], 0 offset:276
	buffer_load_dword v132, off, s[0:3], 0 offset:284
	s_waitcnt vmcnt(19) lgkmcnt(1)
	v_mul_f32_e32 v138, v2, v144
	v_mul_f32_e32 v139, v3, v144
	s_waitcnt vmcnt(18)
	v_mul_f32_e32 v143, v4, v145
	v_mul_f32_e32 v144, v5, v145
	s_waitcnt vmcnt(17) lgkmcnt(0)
	v_mul_f32_e32 v145, v112, v146
	v_mul_f32_e32 v146, v113, v146
	v_fmac_f32_e32 v138, v3, v142
	v_fma_f32 v139, v2, v142, -v139
	v_fmac_f32_e32 v143, v5, v141
	v_fmac_f32_e32 v145, v113, v140
	v_fma_f32 v140, v112, v140, -v146
	v_add_f32_e32 v112, 0, v161
	v_fma_f32 v141, v4, v141, -v144
	ds_read2_b64 v[2:5], v1 offset0:81 offset1:82
	s_waitcnt vmcnt(16)
	v_mul_f32_e32 v142, v114, v147
	v_mul_f32_e32 v147, v115, v147
	v_add_f32_e32 v8, v112, v8
	s_waitcnt vmcnt(12)
	v_fmac_f32_e32 v142, v115, v151
	v_fma_f32 v144, v114, v151, -v147
	s_clause 0x4
	buffer_load_dword v146, off, s[0:3], 0 offset:292
	buffer_load_dword v147, off, s[0:3], 0 offset:312
	;; [unrolled: 1-line block ×5, first 2 shown]
	v_add_f32_e32 v7, v8, v7
	s_clause 0x2
	buffer_load_dword v8, off, s[0:3], 0 offset:300
	buffer_load_dword v164, off, s[0:3], 0 offset:308
	;; [unrolled: 1-line block ×3, first 2 shown]
	ds_read2_b64 v[112:115], v1 offset0:83 offset1:84
	v_add_f32_e32 v7, v7, v123
	v_add_f32_e32 v7, v7, v126
	s_waitcnt vmcnt(19) lgkmcnt(1)
	v_mul_f32_e32 v120, v2, v152
	v_mul_f32_e32 v121, v3, v152
	s_waitcnt vmcnt(18)
	v_mul_f32_e32 v122, v4, v153
	v_mul_f32_e32 v123, v5, v153
	v_fmac_f32_e32 v120, v3, v150
	v_add_f32_e32 v3, v7, v125
	v_fma_f32 v7, v2, v150, -v121
	v_fmac_f32_e32 v122, v5, v149
	v_fma_f32 v121, v4, v149, -v123
	v_add_f32_e32 v2, v3, v124
	v_add_f32_e32 v3, v6, v129
	s_clause 0x7
	buffer_load_dword v6, off, s[0:3], 0 offset:324
	buffer_load_dword v149, off, s[0:3], 0 offset:332
	buffer_load_dword v150, off, s[0:3], 0 offset:340
	buffer_load_dword v152, off, s[0:3], 0 offset:348
	buffer_load_dword v153, off, s[0:3], 0 offset:344
	buffer_load_dword v166, off, s[0:3], 0 offset:336
	buffer_load_dword v167, off, s[0:3], 0 offset:328
	buffer_load_dword v168, off, s[0:3], 0 offset:320
	s_waitcnt vmcnt(25) lgkmcnt(0)
	v_mul_f32_e32 v4, v113, v154
	v_mul_f32_e32 v123, v112, v154
	v_add_f32_e32 v2, v2, v131
	v_add_f32_e32 v3, v3, v130
	s_clause 0x3
	buffer_load_dword v154, off, s[0:3], 0 offset:356
	buffer_load_dword v169, off, s[0:3], 0 offset:364
	;; [unrolled: 1-line block ×4, first 2 shown]
	v_fma_f32 v124, v112, v148, -v4
	v_fmac_f32_e32 v123, v113, v148
	v_add_f32_e32 v2, v2, v134
	v_add_f32_e32 v112, v3, v135
	s_waitcnt vmcnt(28)
	v_mul_f32_e32 v3, v115, v155
	s_clause 0x1
	buffer_load_dword v134, off, s[0:3], 0 offset:388
	buffer_load_dword v148, off, s[0:3], 0 offset:396
	v_mul_f32_e32 v125, v114, v155
	v_add_f32_e32 v113, v2, v133
	v_add_f32_e32 v112, v112, v136
	s_waitcnt vmcnt(26)
	v_fma_f32 v126, v114, v159, -v3
	ds_read2_b64 v[2:5], v1 offset0:85 offset1:86
	buffer_load_dword v133, off, s[0:3], 0 offset:404
	v_add_f32_e32 v113, v113, v116
	v_add_f32_e32 v112, v112, v137
	s_clause 0x3
	buffer_load_dword v135, off, s[0:3], 0 offset:376
	buffer_load_dword v136, off, s[0:3], 0 offset:368
	;; [unrolled: 1-line block ×4, first 2 shown]
	v_fmac_f32_e32 v125, v115, v159
	v_add_f32_e32 v113, v113, v118
	v_add_f32_e32 v112, v112, v117
	;; [unrolled: 1-line block ×4, first 2 shown]
	ds_read2_b64 v[112:115], v1 offset0:87 offset1:88
	v_add_f32_e32 v116, v116, v141
	s_waitcnt vmcnt(30) lgkmcnt(1)
	v_mul_f32_e32 v127, v2, v160
	v_mul_f32_e32 v118, v3, v160
	v_fmac_f32_e32 v127, v3, v158
	v_add_f32_e32 v3, v116, v140
	s_clause 0x3
	buffer_load_dword v138, off, s[0:3], 0 offset:400
	buffer_load_dword v139, off, s[0:3], 0 offset:392
	;; [unrolled: 1-line block ×4, first 2 shown]
	v_fma_f32 v128, v2, v158, -v118
	v_add_f32_e32 v2, v117, v143
	v_add_f32_e32 v3, v3, v144
	;; [unrolled: 1-line block ×13, first 2 shown]
	s_waitcnt vmcnt(32)
	v_mul_f32_e32 v129, v4, v119
	v_mul_f32_e32 v116, v5, v119
	s_waitcnt vmcnt(31) lgkmcnt(0)
	v_mul_f32_e32 v142, v112, v132
	v_mul_f32_e32 v121, v113, v132
	v_fmac_f32_e32 v129, v5, v157
	v_fma_f32 v130, v4, v157, -v116
	ds_read2_b64 v[2:5], v1 offset0:89 offset1:90
	ds_read2_b64 v[116:119], v1 offset0:91 offset1:92
	v_fmac_f32_e32 v142, v113, v156
	v_fma_f32 v131, v112, v156, -v121
	v_add_f32_e32 v156, v124, v127
	v_add_f32_e32 v7, v7, v130
	;; [unrolled: 1-line block ×4, first 2 shown]
	s_waitcnt vmcnt(30)
	v_mul_f32_e32 v122, v115, v146
	v_mul_f32_e32 v132, v114, v146
	s_waitcnt vmcnt(26)
	v_fma_f32 v143, v114, v163, -v122
	v_fmac_f32_e32 v132, v115, v163
	s_waitcnt vmcnt(25) lgkmcnt(1)
	v_mul_f32_e32 v144, v2, v8
	v_mul_f32_e32 v8, v3, v8
	s_waitcnt vmcnt(24)
	v_mul_f32_e32 v145, v4, v164
	v_mul_f32_e32 v125, v5, v164
	s_waitcnt vmcnt(23) lgkmcnt(0)
	v_mul_f32_e32 v128, v117, v165
	ds_read2_b64 v[112:115], v1 offset0:93 offset1:94
	ds_read2_b64 v[120:123], v1 offset0:95 offset1:96
	v_mul_f32_e32 v146, v116, v165
	v_fmac_f32_e32 v144, v3, v161
	v_fma_f32 v8, v2, v161, -v8
	v_fmac_f32_e32 v145, v5, v151
	v_fma_f32 v151, v4, v151, -v125
	ds_read2_b64 v[2:5], v1 offset0:97 offset1:98
	ds_read2_b64 v[124:127], v1 offset0:99 offset1:100
	v_fma_f32 v116, v116, v147, -v128
	ds_read2_b64 v[128:131], v1 offset0:101 offset1:102
	v_add_f32_e32 v1, v156, v142
	v_add_f32_e32 v7, v7, v143
	v_fmac_f32_e32 v146, v117, v147
	s_waitcnt vmcnt(22)
	v_mul_f32_e32 v117, v118, v6
	v_mul_f32_e32 v6, v119, v6
	v_add_f32_e32 v1, v1, v132
	v_add_f32_e32 v7, v7, v8
	s_waitcnt vmcnt(15)
	v_fmac_f32_e32 v117, v119, v168
	v_fma_f32 v6, v118, v168, -v6
	v_add_f32_e32 v1, v1, v144
	v_add_f32_e32 v7, v7, v151
	s_waitcnt lgkmcnt(4)
	v_mul_f32_e32 v143, v113, v149
	v_mul_f32_e32 v142, v112, v149
	;; [unrolled: 1-line block ×3, first 2 shown]
	v_add_f32_e32 v1, v1, v145
	v_add_f32_e32 v7, v7, v116
	v_mul_f32_e32 v145, v115, v150
	v_fma_f32 v112, v112, v167, -v143
	v_fmac_f32_e32 v142, v113, v167
	v_add_f32_e32 v1, v1, v146
	v_add_f32_e32 v6, v7, v6
	s_waitcnt lgkmcnt(3)
	v_mul_f32_e32 v7, v121, v152
	v_fma_f32 v113, v114, v166, -v145
	v_mul_f32_e32 v118, v120, v152
	v_add_f32_e32 v1, v1, v117
	v_add_f32_e32 v6, v6, v112
	v_fmac_f32_e32 v132, v115, v166
	s_waitcnt vmcnt(14)
	v_mul_f32_e32 v112, v123, v154
	v_fma_f32 v7, v120, v153, -v7
	v_add_f32_e32 v1, v1, v142
	v_add_f32_e32 v6, v6, v113
	v_mul_f32_e32 v119, v122, v154
	v_fmac_f32_e32 v118, v121, v153
	s_waitcnt vmcnt(13) lgkmcnt(2)
	v_mul_f32_e32 v8, v2, v169
	v_add_f32_e32 v1, v1, v132
	v_mul_f32_e32 v113, v3, v169
	s_waitcnt vmcnt(4)
	v_fma_f32 v112, v122, v155, -v112
	v_add_f32_e32 v6, v6, v7
	v_fmac_f32_e32 v119, v123, v155
	v_add_f32_e32 v1, v1, v118
	v_mul_f32_e32 v7, v5, v170
	v_fmac_f32_e32 v8, v3, v137
	v_fma_f32 v2, v2, v137, -v113
	v_add_f32_e32 v3, v6, v112
	v_mul_f32_e32 v144, v4, v170
	v_add_f32_e32 v1, v1, v119
	s_waitcnt lgkmcnt(1)
	v_mul_f32_e32 v6, v125, v171
	v_fma_f32 v4, v4, v136, -v7
	v_add_f32_e32 v2, v3, v2
	v_mul_f32_e32 v147, v124, v171
	v_fmac_f32_e32 v144, v5, v136
	v_add_f32_e32 v1, v1, v8
	v_mul_f32_e32 v3, v127, v134
	v_fma_f32 v5, v124, v135, -v6
	v_add_f32_e32 v2, v2, v4
	v_mul_f32_e32 v149, v126, v134
	v_fmac_f32_e32 v147, v125, v135
	v_add_f32_e32 v1, v1, v144
	s_waitcnt lgkmcnt(0)
	v_mul_f32_e32 v4, v129, v148
	s_waitcnt vmcnt(1)
	v_fma_f32 v3, v126, v140, -v3
	v_add_f32_e32 v2, v2, v5
	v_mul_f32_e32 v150, v128, v148
	v_fmac_f32_e32 v149, v127, v140
	v_add_f32_e32 v1, v1, v147
	v_mul_f32_e32 v5, v131, v133
	v_fma_f32 v4, v128, v139, -v4
	v_add_f32_e32 v2, v2, v3
	v_mul_f32_e32 v116, v130, v133
	v_fmac_f32_e32 v150, v129, v139
	v_add_f32_e32 v1, v1, v149
	v_fma_f32 v3, v130, v138, -v5
	v_add_f32_e32 v2, v2, v4
	v_fmac_f32_e32 v116, v131, v138
	v_add_f32_e32 v1, v1, v150
	v_add_f32_e32 v2, v2, v3
	;; [unrolled: 1-line block ×3, first 2 shown]
	s_waitcnt vmcnt(0)
	v_sub_f32_e32 v2, v141, v2
	v_sub_f32_e32 v1, v162, v1
	buffer_store_dword v2, off, s[0:3], 0 offset:96
	buffer_store_dword v1, off, s[0:3], 0 offset:100
	v_cmpx_lt_u32_e32 11, v0
	s_cbranch_execz .LBB50_297
; %bb.296:
	s_clause 0x1
	buffer_load_dword v1, off, s[0:3], 0 offset:88
	buffer_load_dword v2, off, s[0:3], 0 offset:92
	v_mov_b32_e32 v3, 0
	buffer_store_dword v3, off, s[0:3], 0 offset:88
	buffer_store_dword v3, off, s[0:3], 0 offset:92
	s_waitcnt vmcnt(0)
	ds_write_b64 v111, v[1:2]
.LBB50_297:
	s_or_b32 exec_lo, exec_lo, s4
	s_waitcnt lgkmcnt(0)
	s_waitcnt_vscnt null, 0x0
	s_barrier
	buffer_gl0_inv
	s_clause 0x2c
	buffer_load_dword v6, off, s[0:3], 0 offset:100
	buffer_load_dword v7, off, s[0:3], 0 offset:108
	;; [unrolled: 1-line block ×45, first 2 shown]
	v_mov_b32_e32 v1, 0
	ds_read_b128 v[2:5], v1 offset:512
	ds_read_b128 v[112:115], v1 offset:528
	s_clause 0x2
	buffer_load_dword v160, off, s[0:3], 0 offset:92
	buffer_load_dword v161, off, s[0:3], 0 offset:276
	;; [unrolled: 1-line block ×3, first 2 shown]
	s_mov_b32 s4, exec_lo
	s_waitcnt vmcnt(47) lgkmcnt(1)
	v_mul_f32_e32 v158, v3, v6
	v_mul_f32_e32 v6, v2, v6
	s_waitcnt vmcnt(46)
	v_mul_f32_e32 v159, v4, v7
	v_mul_f32_e32 v7, v5, v7
	s_waitcnt vmcnt(43)
	v_fma_f32 v158, v2, v117, -v158
	v_fmac_f32_e32 v6, v3, v117
	v_fmac_f32_e32 v159, v5, v116
	v_fma_f32 v7, v4, v116, -v7
	ds_read_b128 v[2:5], v1 offset:544
	s_waitcnt vmcnt(42) lgkmcnt(1)
	v_mul_f32_e32 v116, v112, v118
	v_mul_f32_e32 v117, v113, v118
	s_waitcnt vmcnt(41)
	v_mul_f32_e32 v118, v114, v119
	v_mul_f32_e32 v119, v115, v119
	v_fmac_f32_e32 v116, v113, v8
	v_fma_f32 v8, v112, v8, -v117
	s_waitcnt vmcnt(37)
	v_fmac_f32_e32 v118, v115, v123
	v_fma_f32 v117, v114, v123, -v119
	ds_read_b128 v[112:115], v1 offset:560
	s_waitcnt vmcnt(36) lgkmcnt(1)
	v_mul_f32_e32 v119, v2, v124
	v_mul_f32_e32 v123, v3, v124
	s_waitcnt vmcnt(35)
	v_mul_f32_e32 v124, v4, v125
	v_mul_f32_e32 v125, v5, v125
	v_fmac_f32_e32 v119, v3, v122
	v_fma_f32 v122, v2, v122, -v123
	v_fmac_f32_e32 v124, v5, v121
	v_fma_f32 v121, v4, v121, -v125
	ds_read_b128 v[2:5], v1 offset:576
	s_waitcnt vmcnt(34) lgkmcnt(1)
	v_mul_f32_e32 v123, v112, v126
	v_mul_f32_e32 v125, v113, v126
	s_waitcnt vmcnt(33)
	v_mul_f32_e32 v126, v114, v127
	v_mul_f32_e32 v127, v115, v127
	v_fmac_f32_e32 v123, v113, v120
	v_fma_f32 v120, v112, v120, -v125
	s_waitcnt vmcnt(29)
	v_fmac_f32_e32 v126, v115, v131
	v_fma_f32 v125, v114, v131, -v127
	ds_read_b128 v[112:115], v1 offset:592
	s_waitcnt vmcnt(28) lgkmcnt(1)
	v_mul_f32_e32 v127, v2, v132
	v_mul_f32_e32 v131, v3, v132
	s_waitcnt vmcnt(27)
	v_mul_f32_e32 v132, v4, v133
	v_mul_f32_e32 v133, v5, v133
	v_fmac_f32_e32 v127, v3, v130
	v_fma_f32 v130, v2, v130, -v131
	;; [unrolled: 23-line block ×5, first 2 shown]
	v_fmac_f32_e32 v156, v5, v153
	v_fma_f32 v153, v4, v153, -v157
	s_clause 0x3
	buffer_load_dword v155, off, s[0:3], 0 offset:304
	buffer_load_dword v157, off, s[0:3], 0 offset:296
	;; [unrolled: 1-line block ×4, first 2 shown]
	s_waitcnt vmcnt(5) lgkmcnt(0)
	v_mul_f32_e32 v164, v112, v161
	v_mul_f32_e32 v3, v113, v161
	s_waitcnt vmcnt(4)
	v_mul_f32_e32 v161, v114, v162
	v_mul_f32_e32 v4, v115, v162
	s_clause 0x1
	buffer_load_dword v162, off, s[0:3], 0 offset:292
	buffer_load_dword v166, off, s[0:3], 0 offset:300
	v_fmac_f32_e32 v164, v113, v152
	v_fma_f32 v152, v112, v152, -v3
	v_add_f32_e32 v3, 0, v6
	buffer_load_dword v6, off, s[0:3], 0 offset:316
	v_add_f32_e32 v3, v3, v159
	v_add_f32_e32 v3, v3, v116
	;; [unrolled: 1-line block ×17, first 2 shown]
	s_waitcnt vmcnt(3)
	v_fmac_f32_e32 v161, v115, v2
	v_fma_f32 v165, v114, v2, -v4
	v_add_f32_e32 v2, 0, v158
	buffer_load_dword v158, off, s[0:3], 0 offset:308
	v_add_f32_e32 v2, v2, v7
	v_add_f32_e32 v2, v2, v8
	s_clause 0xa
	buffer_load_dword v8, off, s[0:3], 0 offset:336
	buffer_load_dword v159, off, s[0:3], 0 offset:328
	;; [unrolled: 1-line block ×11, first 2 shown]
	v_add_f32_e32 v2, v2, v117
	s_clause 0x3
	buffer_load_dword v175, off, s[0:3], 0 offset:380
	buffer_load_dword v176, off, s[0:3], 0 offset:388
	;; [unrolled: 1-line block ×4, first 2 shown]
	v_add_f32_e32 v2, v2, v122
	v_add_f32_e32 v2, v2, v121
	;; [unrolled: 1-line block ×9, first 2 shown]
	s_clause 0x3
	buffer_load_dword v129, off, s[0:3], 0 offset:368
	buffer_load_dword v130, off, s[0:3], 0 offset:360
	;; [unrolled: 1-line block ×4, first 2 shown]
	v_add_f32_e32 v2, v2, v128
	v_add_f32_e32 v2, v2, v133
	s_clause 0x4
	buffer_load_dword v128, off, s[0:3], 0 offset:400
	buffer_load_dword v131, off, s[0:3], 0 offset:392
	;; [unrolled: 1-line block ×5, first 2 shown]
	v_add_f32_e32 v2, v2, v138
	v_add_f32_e32 v112, v2, v137
	ds_read_b128 v[2:5], v1 offset:704
	v_add_f32_e32 v112, v112, v136
	v_add_f32_e32 v112, v112, v141
	;; [unrolled: 1-line block ×3, first 2 shown]
	ds_read_b128 v[112:115], v1 offset:720
	v_add_f32_e32 v117, v117, v145
	s_waitcnt vmcnt(27) lgkmcnt(1)
	v_mul_f32_e32 v135, v2, v162
	v_mul_f32_e32 v118, v3, v162
	s_waitcnt vmcnt(26)
	v_mul_f32_e32 v136, v4, v166
	v_mul_f32_e32 v119, v5, v166
	v_fmac_f32_e32 v135, v3, v163
	v_add_f32_e32 v3, v117, v144
	v_fma_f32 v137, v2, v163, -v118
	v_fmac_f32_e32 v136, v5, v157
	v_fma_f32 v138, v4, v157, -v119
	v_add_f32_e32 v124, v3, v149
	ds_read_b128 v[2:5], v1 offset:736
	ds_read_b128 v[116:119], v1 offset:752
	;; [unrolled: 1-line block ×3, first 2 shown]
	s_waitcnt vmcnt(25) lgkmcnt(3)
	v_mul_f32_e32 v140, v114, v6
	v_add_f32_e32 v124, v124, v154
	v_mul_f32_e32 v6, v115, v6
	v_add_f32_e32 v124, v124, v153
	s_waitcnt vmcnt(24)
	v_mul_f32_e32 v126, v113, v158
	v_mul_f32_e32 v139, v112, v158
	v_fma_f32 v141, v112, v155, -v126
	v_add_f32_e32 v112, v125, v156
	v_fmac_f32_e32 v139, v113, v155
	v_add_f32_e32 v113, v124, v152
	ds_read_b128 v[124:127], v1 offset:784
	s_waitcnt vmcnt(20)
	v_fma_f32 v142, v114, v7, -v6
	v_add_f32_e32 v143, v112, v164
	v_fmac_f32_e32 v140, v115, v7
	v_add_f32_e32 v144, v113, v165
	s_waitcnt vmcnt(19) lgkmcnt(3)
	v_mul_f32_e32 v145, v2, v168
	s_waitcnt vmcnt(18)
	v_mul_f32_e32 v147, v5, v169
	v_add_f32_e32 v143, v143, v161
	v_mul_f32_e32 v146, v4, v169
	v_add_f32_e32 v137, v144, v137
	v_mul_f32_e32 v144, v3, v168
	v_fmac_f32_e32 v145, v3, v167
	v_add_f32_e32 v135, v143, v135
	s_waitcnt vmcnt(17) lgkmcnt(2)
	v_mul_f32_e32 v143, v116, v170
	v_add_f32_e32 v137, v137, v138
	v_fma_f32 v2, v2, v167, -v144
	v_mul_f32_e32 v144, v117, v170
	v_add_f32_e32 v135, v135, v136
	v_fma_f32 v4, v4, v159, -v147
	v_add_f32_e32 v137, v137, v141
	v_fmac_f32_e32 v146, v5, v159
	v_fmac_f32_e32 v143, v117, v8
	v_add_f32_e32 v135, v135, v139
	v_fma_f32 v8, v116, v8, -v144
	v_add_f32_e32 v137, v137, v142
	s_waitcnt vmcnt(16)
	v_mul_f32_e32 v138, v118, v171
	ds_read_b128 v[112:115], v1 offset:800
	ds_read_b64 v[6:7], v1 offset:816
	v_add_f32_e32 v135, v135, v140
	s_waitcnt vmcnt(15) lgkmcnt(3)
	v_mul_f32_e32 v148, v120, v172
	v_add_f32_e32 v2, v137, v2
	s_waitcnt vmcnt(14)
	v_mul_f32_e32 v136, v122, v173
	s_waitcnt vmcnt(13) lgkmcnt(2)
	v_mul_f32_e32 v141, v124, v174
	v_add_f32_e32 v5, v135, v145
	v_mul_f32_e32 v135, v119, v171
	v_add_f32_e32 v2, v2, v4
	s_waitcnt vmcnt(6)
	v_fmac_f32_e32 v148, v121, v179
	s_waitcnt vmcnt(5)
	v_fmac_f32_e32 v138, v119, v180
	v_add_f32_e32 v4, v5, v146
	v_mul_f32_e32 v5, v121, v172
	v_fma_f32 v116, v118, v180, -v135
	v_add_f32_e32 v2, v2, v8
	v_mul_f32_e32 v8, v123, v173
	v_add_f32_e32 v4, v4, v143
	v_fma_f32 v5, v120, v179, -v5
	v_fmac_f32_e32 v136, v123, v130
	v_add_f32_e32 v2, v2, v116
	v_mul_f32_e32 v116, v125, v174
	v_add_f32_e32 v4, v4, v138
	v_fma_f32 v8, v122, v130, -v8
	v_mul_f32_e32 v3, v126, v175
	v_add_f32_e32 v2, v2, v5
	v_mul_f32_e32 v5, v127, v175
	v_add_f32_e32 v4, v4, v148
	v_fma_f32 v116, v124, v129, -v116
	v_fmac_f32_e32 v141, v125, v129
	v_add_f32_e32 v2, v2, v8
	s_waitcnt lgkmcnt(1)
	v_mul_f32_e32 v8, v113, v176
	v_add_f32_e32 v4, v4, v136
	s_waitcnt vmcnt(1)
	v_fma_f32 v5, v126, v133, -v5
	v_mul_f32_e32 v139, v112, v176
	v_add_f32_e32 v2, v2, v116
	v_fmac_f32_e32 v3, v127, v133
	v_add_f32_e32 v4, v4, v141
	v_mul_f32_e32 v116, v115, v177
	v_fma_f32 v8, v112, v132, -v8
	v_add_f32_e32 v2, v2, v5
	v_mul_f32_e32 v142, v114, v177
	v_fmac_f32_e32 v139, v113, v132
	v_add_f32_e32 v3, v4, v3
	s_waitcnt lgkmcnt(0)
	v_mul_f32_e32 v4, v7, v178
	v_fma_f32 v5, v114, v131, -v116
	v_add_f32_e32 v2, v2, v8
	v_mul_f32_e32 v140, v6, v178
	v_fmac_f32_e32 v142, v115, v131
	v_add_f32_e32 v3, v3, v139
	v_fma_f32 v4, v6, v128, -v4
	v_add_f32_e32 v2, v2, v5
	v_fmac_f32_e32 v140, v7, v128
	v_add_f32_e32 v3, v3, v142
	v_add_f32_e32 v2, v2, v4
	;; [unrolled: 1-line block ×3, first 2 shown]
	s_waitcnt vmcnt(0)
	v_sub_f32_e32 v2, v134, v2
	v_sub_f32_e32 v3, v160, v3
	buffer_store_dword v2, off, s[0:3], 0 offset:88
	buffer_store_dword v3, off, s[0:3], 0 offset:92
	v_cmpx_lt_u32_e32 10, v0
	s_cbranch_execz .LBB50_299
; %bb.298:
	s_clause 0x1
	buffer_load_dword v2, off, s[0:3], 0 offset:80
	buffer_load_dword v3, off, s[0:3], 0 offset:84
	buffer_store_dword v1, off, s[0:3], 0 offset:80
	buffer_store_dword v1, off, s[0:3], 0 offset:84
	s_waitcnt vmcnt(0)
	ds_write_b64 v111, v[2:3]
.LBB50_299:
	s_or_b32 exec_lo, exec_lo, s4
	s_waitcnt lgkmcnt(0)
	s_waitcnt_vscnt null, 0x0
	s_barrier
	buffer_gl0_inv
	s_clause 0x2c
	buffer_load_dword v6, off, s[0:3], 0 offset:92
	buffer_load_dword v7, off, s[0:3], 0 offset:100
	;; [unrolled: 1-line block ×45, first 2 shown]
	ds_read2_b64 v[2:5], v1 offset0:63 offset1:64
	ds_read2_b64 v[112:115], v1 offset0:65 offset1:66
	s_clause 0x2
	buffer_load_dword v160, off, s[0:3], 0 offset:84
	buffer_load_dword v161, off, s[0:3], 0 offset:268
	;; [unrolled: 1-line block ×3, first 2 shown]
	s_mov_b32 s4, exec_lo
	s_waitcnt vmcnt(47) lgkmcnt(1)
	v_mul_f32_e32 v158, v3, v6
	v_mul_f32_e32 v6, v2, v6
	s_waitcnt vmcnt(46)
	v_mul_f32_e32 v159, v4, v7
	v_mul_f32_e32 v7, v5, v7
	s_waitcnt vmcnt(43)
	v_fma_f32 v158, v2, v117, -v158
	v_fmac_f32_e32 v6, v3, v117
	v_fmac_f32_e32 v159, v5, v116
	v_fma_f32 v7, v4, v116, -v7
	ds_read2_b64 v[2:5], v1 offset0:67 offset1:68
	s_waitcnt vmcnt(42) lgkmcnt(1)
	v_mul_f32_e32 v116, v112, v118
	v_mul_f32_e32 v117, v113, v118
	s_waitcnt vmcnt(41)
	v_mul_f32_e32 v118, v114, v119
	v_mul_f32_e32 v119, v115, v119
	v_fmac_f32_e32 v116, v113, v8
	v_fma_f32 v8, v112, v8, -v117
	s_waitcnt vmcnt(37)
	v_fmac_f32_e32 v118, v115, v123
	v_fma_f32 v117, v114, v123, -v119
	ds_read2_b64 v[112:115], v1 offset0:69 offset1:70
	s_waitcnt vmcnt(36) lgkmcnt(1)
	v_mul_f32_e32 v119, v2, v124
	v_mul_f32_e32 v123, v3, v124
	s_waitcnt vmcnt(35)
	v_mul_f32_e32 v124, v4, v125
	v_mul_f32_e32 v125, v5, v125
	v_fmac_f32_e32 v119, v3, v122
	v_fma_f32 v122, v2, v122, -v123
	v_fmac_f32_e32 v124, v5, v121
	v_fma_f32 v121, v4, v121, -v125
	ds_read2_b64 v[2:5], v1 offset0:71 offset1:72
	s_waitcnt vmcnt(34) lgkmcnt(1)
	v_mul_f32_e32 v123, v112, v126
	v_mul_f32_e32 v125, v113, v126
	s_waitcnt vmcnt(33)
	v_mul_f32_e32 v126, v114, v127
	v_mul_f32_e32 v127, v115, v127
	v_fmac_f32_e32 v123, v113, v120
	v_fma_f32 v120, v112, v120, -v125
	s_waitcnt vmcnt(29)
	v_fmac_f32_e32 v126, v115, v131
	v_fma_f32 v125, v114, v131, -v127
	ds_read2_b64 v[112:115], v1 offset0:73 offset1:74
	s_waitcnt vmcnt(28) lgkmcnt(1)
	v_mul_f32_e32 v127, v2, v132
	v_mul_f32_e32 v131, v3, v132
	s_waitcnt vmcnt(27)
	v_mul_f32_e32 v132, v4, v133
	v_mul_f32_e32 v133, v5, v133
	v_fmac_f32_e32 v127, v3, v130
	v_fma_f32 v130, v2, v130, -v131
	;; [unrolled: 23-line block ×5, first 2 shown]
	v_fmac_f32_e32 v156, v5, v153
	v_fma_f32 v153, v4, v153, -v157
	s_clause 0x5
	buffer_load_dword v155, off, s[0:3], 0 offset:296
	buffer_load_dword v157, off, s[0:3], 0 offset:288
	;; [unrolled: 1-line block ×6, first 2 shown]
	v_add_f32_e32 v4, 0, v6
	buffer_load_dword v6, off, s[0:3], 0 offset:300
	v_add_f32_e32 v3, 0, v158
	s_waitcnt vmcnt(8) lgkmcnt(0)
	v_mul_f32_e32 v5, v113, v161
	s_waitcnt vmcnt(7)
	v_mul_f32_e32 v168, v114, v162
	v_add_f32_e32 v4, v4, v159
	v_add_f32_e32 v3, v3, v7
	v_mul_f32_e32 v7, v112, v161
	v_add_f32_e32 v4, v4, v116
	v_add_f32_e32 v3, v3, v8
	s_clause 0x7
	buffer_load_dword v8, off, s[0:3], 0 offset:308
	buffer_load_dword v158, off, s[0:3], 0 offset:328
	;; [unrolled: 1-line block ×8, first 2 shown]
	v_add_f32_e32 v3, v3, v117
	v_add_f32_e32 v4, v4, v118
	v_fmac_f32_e32 v7, v113, v152
	v_fma_f32 v152, v112, v152, -v5
	v_mul_f32_e32 v5, v115, v162
	v_add_f32_e32 v3, v3, v122
	v_add_f32_e32 v4, v4, v119
	s_clause 0x7
	buffer_load_dword v162, off, s[0:3], 0 offset:324
	buffer_load_dword v171, off, s[0:3], 0 offset:348
	;; [unrolled: 1-line block ×8, first 2 shown]
	v_add_f32_e32 v3, v3, v121
	v_add_f32_e32 v4, v4, v124
	buffer_load_dword v178, off, s[0:3], 0 offset:404
	s_waitcnt vmcnt(20)
	v_fmac_f32_e32 v168, v115, v2
	v_fma_f32 v124, v114, v2, -v5
	v_add_f32_e32 v2, v3, v120
	v_add_f32_e32 v3, v4, v123
	;; [unrolled: 1-line block ×8, first 2 shown]
	s_clause 0x3
	buffer_load_dword v132, off, s[0:3], 0 offset:360
	buffer_load_dword v179, off, s[0:3], 0 offset:352
	;; [unrolled: 1-line block ×4, first 2 shown]
	v_add_f32_e32 v2, v2, v128
	v_add_f32_e32 v3, v3, v131
	;; [unrolled: 1-line block ×4, first 2 shown]
	s_clause 0x3
	buffer_load_dword v133, off, s[0:3], 0 offset:392
	buffer_load_dword v134, off, s[0:3], 0 offset:384
	;; [unrolled: 1-line block ×4, first 2 shown]
	v_add_f32_e32 v2, v2, v138
	buffer_load_dword v138, off, s[0:3], 0 offset:400
	v_add_f32_e32 v3, v3, v135
	buffer_load_dword v135, off, s[0:3], 0 offset:80
	v_add_f32_e32 v2, v2, v137
	v_add_f32_e32 v3, v3, v140
	;; [unrolled: 1-line block ×4, first 2 shown]
	ds_read2_b64 v[2:5], v1 offset0:87 offset1:88
	v_add_f32_e32 v112, v112, v141
	v_add_f32_e32 v113, v113, v142
	;; [unrolled: 1-line block ×4, first 2 shown]
	ds_read2_b64 v[112:115], v1 offset0:89 offset1:90
	v_add_f32_e32 v116, v116, v145
	v_add_f32_e32 v117, v117, v148
	;; [unrolled: 1-line block ×4, first 2 shown]
	s_waitcnt vmcnt(29) lgkmcnt(1)
	v_mul_f32_e32 v136, v2, v164
	v_mul_f32_e32 v118, v3, v164
	s_waitcnt vmcnt(28)
	v_mul_f32_e32 v137, v4, v165
	v_mul_f32_e32 v119, v5, v165
	v_add_f32_e32 v121, v116, v149
	v_fmac_f32_e32 v136, v3, v163
	v_fma_f32 v128, v2, v163, -v118
	v_fmac_f32_e32 v137, v5, v157
	v_fma_f32 v139, v4, v157, -v119
	ds_read2_b64 v[2:5], v1 offset0:91 offset1:92
	ds_read2_b64 v[116:119], v1 offset0:93 offset1:94
	v_add_f32_e32 v120, v120, v150
	s_waitcnt vmcnt(27) lgkmcnt(2)
	v_mul_f32_e32 v140, v112, v6
	v_add_f32_e32 v121, v121, v154
	v_mul_f32_e32 v6, v113, v6
	s_waitcnt vmcnt(26)
	v_mul_f32_e32 v141, v114, v8
	v_add_f32_e32 v120, v120, v151
	v_fmac_f32_e32 v140, v113, v155
	v_add_f32_e32 v113, v121, v153
	v_mul_f32_e32 v8, v115, v8
	v_fma_f32 v6, v112, v155, -v6
	v_add_f32_e32 v125, v120, v156
	s_waitcnt vmcnt(22)
	v_fmac_f32_e32 v141, v115, v166
	v_add_f32_e32 v126, v113, v152
	v_fma_f32 v8, v114, v166, -v8
	ds_read2_b64 v[112:115], v1 offset0:95 offset1:96
	ds_read2_b64 v[120:123], v1 offset0:97 offset1:98
	v_add_f32_e32 v7, v125, v7
	v_add_f32_e32 v130, v126, v124
	s_waitcnt vmcnt(21) lgkmcnt(3)
	v_mul_f32_e32 v142, v2, v167
	v_mul_f32_e32 v129, v3, v167
	v_add_f32_e32 v7, v7, v168
	ds_read2_b64 v[124:127], v1 offset0:99 offset1:100
	s_waitcnt vmcnt(20) lgkmcnt(3)
	v_mul_f32_e32 v143, v117, v169
	v_fmac_f32_e32 v142, v3, v161
	v_add_f32_e32 v3, v130, v128
	v_fma_f32 v2, v2, v161, -v129
	ds_read2_b64 v[128:131], v1 offset0:101 offset1:102
	v_add_f32_e32 v1, v7, v136
	s_waitcnt vmcnt(18)
	v_mul_f32_e32 v136, v5, v162
	v_add_f32_e32 v3, v3, v139
	v_mul_f32_e32 v7, v4, v162
	v_mul_f32_e32 v139, v116, v169
	v_add_f32_e32 v1, v1, v137
	v_fma_f32 v4, v4, v159, -v136
	v_add_f32_e32 v3, v3, v6
	v_fmac_f32_e32 v7, v5, v159
	v_fma_f32 v116, v116, v158, -v143
	v_add_f32_e32 v1, v1, v140
	v_mul_f32_e32 v137, v118, v170
	v_add_f32_e32 v3, v3, v8
	v_mul_f32_e32 v8, v119, v170
	v_fmac_f32_e32 v139, v117, v158
	v_add_f32_e32 v1, v1, v141
	s_waitcnt vmcnt(17) lgkmcnt(3)
	v_mul_f32_e32 v5, v112, v171
	v_add_f32_e32 v2, v3, v2
	s_waitcnt vmcnt(16)
	v_mul_f32_e32 v136, v114, v172
	s_waitcnt vmcnt(15) lgkmcnt(2)
	v_mul_f32_e32 v6, v120, v173
	v_add_f32_e32 v1, v1, v142
	s_waitcnt vmcnt(14)
	v_mul_f32_e32 v140, v122, v174
	v_add_f32_e32 v2, v2, v4
	v_mul_f32_e32 v4, v113, v171
	s_waitcnt vmcnt(13) lgkmcnt(1)
	v_mul_f32_e32 v144, v124, v175
	v_add_f32_e32 v1, v1, v7
	s_waitcnt vmcnt(12)
	v_mul_f32_e32 v141, v126, v176
	v_add_f32_e32 v2, v2, v116
	s_waitcnt vmcnt(11) lgkmcnt(0)
	v_mul_f32_e32 v145, v128, v177
	s_waitcnt vmcnt(10)
	v_mul_f32_e32 v3, v130, v178
	v_add_f32_e32 v1, v1, v139
	s_waitcnt vmcnt(9)
	v_fmac_f32_e32 v6, v121, v132
	s_waitcnt vmcnt(8)
	v_fmac_f32_e32 v136, v115, v179
	s_waitcnt vmcnt(7)
	v_fma_f32 v4, v112, v180, -v4
	s_waitcnt vmcnt(6)
	v_fma_f32 v7, v118, v181, -v8
	v_fmac_f32_e32 v137, v119, v181
	v_mul_f32_e32 v8, v115, v172
	v_fmac_f32_e32 v5, v113, v180
	v_add_f32_e32 v2, v2, v7
	v_add_f32_e32 v1, v1, v137
	v_mul_f32_e32 v7, v121, v173
	v_fma_f32 v8, v114, v179, -v8
	s_waitcnt vmcnt(3)
	v_fmac_f32_e32 v144, v125, v182
	v_add_f32_e32 v2, v2, v4
	v_add_f32_e32 v1, v1, v5
	v_mul_f32_e32 v4, v123, v174
	v_fma_f32 v5, v120, v132, -v7
	v_mul_f32_e32 v7, v125, v175
	v_add_f32_e32 v2, v2, v8
	v_add_f32_e32 v1, v1, v136
	s_waitcnt vmcnt(2)
	v_fma_f32 v4, v122, v183, -v4
	v_fmac_f32_e32 v140, v123, v183
	v_fmac_f32_e32 v141, v127, v134
	v_add_f32_e32 v2, v2, v5
	v_add_f32_e32 v1, v1, v6
	v_mul_f32_e32 v5, v127, v176
	v_fma_f32 v6, v124, v182, -v7
	v_fmac_f32_e32 v145, v129, v133
	v_add_f32_e32 v2, v2, v4
	v_add_f32_e32 v1, v1, v140
	v_mul_f32_e32 v4, v129, v177
	v_fma_f32 v5, v126, v134, -v5
	s_waitcnt vmcnt(1)
	v_fmac_f32_e32 v3, v131, v138
	v_add_f32_e32 v2, v2, v6
	v_add_f32_e32 v1, v1, v144
	v_mul_f32_e32 v6, v131, v178
	v_fma_f32 v4, v128, v133, -v4
	v_add_f32_e32 v2, v2, v5
	v_add_f32_e32 v1, v1, v141
	v_fma_f32 v5, v130, v138, -v6
	v_add_f32_e32 v2, v2, v4
	v_add_f32_e32 v1, v1, v145
	;; [unrolled: 1-line block ×4, first 2 shown]
	s_waitcnt vmcnt(0)
	v_sub_f32_e32 v2, v135, v2
	v_sub_f32_e32 v1, v160, v1
	buffer_store_dword v2, off, s[0:3], 0 offset:80
	buffer_store_dword v1, off, s[0:3], 0 offset:84
	v_cmpx_lt_u32_e32 9, v0
	s_cbranch_execz .LBB50_301
; %bb.300:
	s_clause 0x1
	buffer_load_dword v1, off, s[0:3], 0 offset:72
	buffer_load_dword v2, off, s[0:3], 0 offset:76
	v_mov_b32_e32 v3, 0
	buffer_store_dword v3, off, s[0:3], 0 offset:72
	buffer_store_dword v3, off, s[0:3], 0 offset:76
	s_waitcnt vmcnt(0)
	ds_write_b64 v111, v[1:2]
.LBB50_301:
	s_or_b32 exec_lo, exec_lo, s4
	s_waitcnt lgkmcnt(0)
	s_waitcnt_vscnt null, 0x0
	s_barrier
	buffer_gl0_inv
	s_clause 0x24
	buffer_load_dword v2, off, s[0:3], 0 offset:84
	buffer_load_dword v3, off, s[0:3], 0 offset:92
	;; [unrolled: 1-line block ×37, first 2 shown]
	v_mov_b32_e32 v1, 0
	ds_read_b128 v[120:123], v1 offset:496
	ds_read_b128 v[124:127], v1 offset:512
	;; [unrolled: 1-line block ×3, first 2 shown]
	s_clause 0x1
	buffer_load_dword v158, off, s[0:3], 0 offset:228
	buffer_load_dword v159, off, s[0:3], 0 offset:76
	ds_read_b128 v[132:135], v1 offset:544
	s_mov_b32 s4, exec_lo
	s_waitcnt vmcnt(38) lgkmcnt(3)
	v_mul_f32_e32 v160, v121, v2
	v_mul_f32_e32 v2, v120, v2
	s_waitcnt vmcnt(37)
	v_mul_f32_e32 v161, v122, v3
	v_mul_f32_e32 v3, v123, v3
	s_waitcnt vmcnt(34)
	v_fma_f32 v160, v120, v138, -v160
	v_fmac_f32_e32 v2, v121, v138
	v_fmac_f32_e32 v161, v123, v137
	v_fma_f32 v3, v122, v137, -v3
	ds_read_b128 v[120:123], v1 offset:560
	s_waitcnt vmcnt(33) lgkmcnt(3)
	v_mul_f32_e32 v137, v124, v139
	v_mul_f32_e32 v138, v125, v139
	s_waitcnt vmcnt(32)
	v_mul_f32_e32 v139, v126, v140
	v_mul_f32_e32 v140, v127, v140
	s_waitcnt vmcnt(31) lgkmcnt(2)
	v_mul_f32_e32 v162, v128, v141
	v_fmac_f32_e32 v137, v125, v136
	v_fma_f32 v136, v124, v136, -v138
	s_waitcnt vmcnt(26)
	v_fmac_f32_e32 v139, v127, v146
	v_fma_f32 v140, v126, v146, -v140
	ds_read_b128 v[124:127], v1 offset:576
	v_mul_f32_e32 v141, v129, v141
	v_mul_f32_e32 v138, v130, v142
	;; [unrolled: 1-line block ×3, first 2 shown]
	v_fmac_f32_e32 v162, v129, v145
	s_waitcnt vmcnt(24) lgkmcnt(2)
	v_mul_f32_e32 v146, v134, v148
	v_fma_f32 v141, v128, v145, -v141
	v_fmac_f32_e32 v138, v131, v144
	v_fma_f32 v142, v130, v144, -v142
	v_mul_f32_e32 v144, v132, v147
	v_mul_f32_e32 v145, v133, v147
	;; [unrolled: 1-line block ×3, first 2 shown]
	ds_read_b128 v[128:131], v1 offset:592
	s_waitcnt vmcnt(19)
	v_fmac_f32_e32 v146, v135, v151
	v_fmac_f32_e32 v144, v133, v143
	v_fma_f32 v132, v132, v143, -v145
	v_fma_f32 v133, v134, v151, -v147
	s_clause 0x4
	buffer_load_dword v134, off, s[0:3], 0 offset:236
	buffer_load_dword v135, off, s[0:3], 0 offset:256
	;; [unrolled: 1-line block ×5, first 2 shown]
	s_waitcnt lgkmcnt(2)
	v_mul_f32_e32 v148, v120, v149
	v_mul_f32_e32 v149, v121, v149
	s_waitcnt vmcnt(23)
	v_mul_f32_e32 v151, v122, v152
	v_mul_f32_e32 v152, v123, v152
	s_waitcnt vmcnt(21) lgkmcnt(1)
	v_mul_f32_e32 v163, v126, v154
	v_fmac_f32_e32 v148, v121, v150
	v_fma_f32 v149, v120, v150, -v149
	v_mul_f32_e32 v150, v124, v153
	v_mul_f32_e32 v120, v125, v153
	buffer_load_dword v153, off, s[0:3], 0 offset:244
	v_fmac_f32_e32 v151, v123, v117
	v_fma_f32 v152, v122, v117, -v152
	v_mul_f32_e32 v117, v127, v154
	v_fmac_f32_e32 v150, v125, v8
	v_fma_f32 v8, v124, v8, -v120
	ds_read_b128 v[120:123], v1 offset:608
	s_waitcnt vmcnt(18)
	v_fmac_f32_e32 v163, v127, v155
	v_fma_f32 v154, v126, v155, -v117
	ds_read_b128 v[124:127], v1 offset:624
	s_waitcnt vmcnt(17) lgkmcnt(2)
	v_mul_f32_e32 v155, v128, v156
	v_mul_f32_e32 v117, v129, v156
	s_waitcnt vmcnt(16)
	v_mul_f32_e32 v156, v130, v157
	v_mul_f32_e32 v157, v131, v157
	v_add_f32_e32 v2, 0, v2
	v_fmac_f32_e32 v155, v129, v118
	v_fma_f32 v128, v128, v118, -v117
	v_fmac_f32_e32 v156, v131, v112
	v_fma_f32 v129, v130, v112, -v157
	s_clause 0x2
	buffer_load_dword v130, off, s[0:3], 0 offset:252
	buffer_load_dword v131, off, s[0:3], 0 offset:260
	;; [unrolled: 1-line block ×3, first 2 shown]
	s_waitcnt vmcnt(18) lgkmcnt(1)
	v_mul_f32_e32 v157, v120, v114
	v_mul_f32_e32 v112, v121, v114
	s_waitcnt vmcnt(17)
	v_mul_f32_e32 v164, v122, v113
	v_mul_f32_e32 v113, v123, v113
	v_fmac_f32_e32 v157, v121, v5
	v_fma_f32 v121, v120, v5, -v112
	s_waitcnt vmcnt(13)
	v_fmac_f32_e32 v164, v123, v119
	s_waitcnt vmcnt(12) lgkmcnt(0)
	v_mul_f32_e32 v123, v124, v116
	v_mul_f32_e32 v5, v125, v116
	s_waitcnt vmcnt(11)
	v_mul_f32_e32 v116, v126, v115
	v_mul_f32_e32 v112, v127, v115
	v_fma_f32 v122, v122, v119, -v113
	ds_read_b128 v[117:120], v1 offset:640
	v_fmac_f32_e32 v123, v125, v7
	v_fma_f32 v7, v124, v7, -v5
	v_fmac_f32_e32 v116, v127, v6
	v_fma_f32 v6, v126, v6, -v112
	s_clause 0x4
	buffer_load_dword v124, off, s[0:3], 0 offset:288
	buffer_load_dword v125, off, s[0:3], 0 offset:280
	;; [unrolled: 1-line block ×5, first 2 shown]
	v_add_f32_e32 v5, 0, v160
	v_add_f32_e32 v3, v5, v3
	;; [unrolled: 1-line block ×3, first 2 shown]
	s_waitcnt vmcnt(15) lgkmcnt(0)
	v_mul_f32_e32 v160, v117, v158
	v_mul_f32_e32 v112, v118, v158
	v_add_f32_e32 v113, v113, v140
	v_fmac_f32_e32 v160, v118, v4
	buffer_load_dword v118, off, s[0:3], 0 offset:284
	v_fma_f32 v117, v117, v4, -v112
	v_add_f32_e32 v112, v2, v161
	ds_read_b128 v[2:5], v1 offset:656
	v_add_f32_e32 v113, v113, v141
	v_add_f32_e32 v112, v112, v137
	buffer_load_dword v137, off, s[0:3], 0 offset:300
	v_add_f32_e32 v112, v112, v139
	v_add_f32_e32 v139, v113, v142
	;; [unrolled: 1-line block ×3, first 2 shown]
	s_waitcnt vmcnt(15)
	v_mul_f32_e32 v136, v119, v134
	v_mul_f32_e32 v114, v120, v134
	buffer_load_dword v134, off, s[0:3], 0 offset:292
	s_waitcnt vmcnt(12)
	v_fmac_f32_e32 v136, v120, v147
	v_add_f32_e32 v120, v112, v162
	v_fma_f32 v119, v119, v147, -v114
	ds_read_b128 v[112:115], v1 offset:672
	v_add_f32_e32 v120, v120, v138
	s_clause 0x3
	buffer_load_dword v138, off, s[0:3], 0 offset:320
	buffer_load_dword v139, off, s[0:3], 0 offset:312
	;; [unrolled: 1-line block ×4, first 2 shown]
	s_waitcnt vmcnt(15) lgkmcnt(1)
	v_mul_f32_e32 v140, v2, v153
	v_mul_f32_e32 v141, v3, v153
	v_fmac_f32_e32 v140, v3, v145
	v_fma_f32 v141, v2, v145, -v141
	v_add_f32_e32 v2, v120, v144
	s_clause 0x1
	buffer_load_dword v144, off, s[0:3], 0 offset:308
	buffer_load_dword v145, off, s[0:3], 0 offset:316
	v_add_f32_e32 v3, v132, v133
	buffer_load_dword v132, off, s[0:3], 0 offset:324
	v_add_f32_e32 v2, v2, v146
	v_add_f32_e32 v3, v3, v149
	;; [unrolled: 1-line block ×3, first 2 shown]
	s_waitcnt vmcnt(17)
	v_mul_f32_e32 v120, v4, v130
	v_add_f32_e32 v152, v3, v152
	v_mul_f32_e32 v130, v5, v130
	v_add_f32_e32 v133, v133, v151
	s_waitcnt vmcnt(16) lgkmcnt(0)
	v_mul_f32_e32 v151, v112, v131
	v_add_f32_e32 v8, v152, v8
	v_mul_f32_e32 v131, v113, v131
	v_fmac_f32_e32 v120, v5, v143
	v_add_f32_e32 v133, v133, v150
	v_fma_f32 v130, v4, v143, -v130
	s_clause 0x3
	buffer_load_dword v143, off, s[0:3], 0 offset:332
	buffer_load_dword v146, off, s[0:3], 0 offset:340
	;; [unrolled: 1-line block ×4, first 2 shown]
	ds_read_b128 v[2:5], v1 offset:688
	v_add_f32_e32 v8, v8, v154
	s_waitcnt vmcnt(19)
	v_mul_f32_e32 v152, v114, v165
	v_mul_f32_e32 v150, v115, v165
	v_fma_f32 v131, v112, v135, -v131
	v_add_f32_e32 v112, v133, v163
	v_add_f32_e32 v8, v8, v128
	v_fmac_f32_e32 v151, v113, v135
	s_clause 0x3
	buffer_load_dword v133, off, s[0:3], 0 offset:364
	buffer_load_dword v135, off, s[0:3], 0 offset:372
	buffer_load_dword v153, off, s[0:3], 0 offset:380
	buffer_load_dword v154, off, s[0:3], 0 offset:388
	v_add_f32_e32 v112, v112, v155
	v_add_f32_e32 v8, v8, v129
	s_waitcnt vmcnt(19)
	v_fmac_f32_e32 v152, v115, v127
	v_fma_f32 v127, v114, v127, -v150
	s_clause 0x5
	buffer_load_dword v150, off, s[0:3], 0 offset:396
	buffer_load_dword v128, off, s[0:3], 0 offset:352
	;; [unrolled: 1-line block ×6, first 2 shown]
	v_add_f32_e32 v129, v112, v156
	v_add_f32_e32 v8, v8, v121
	ds_read_b128 v[112:115], v1 offset:704
	s_waitcnt vmcnt(24) lgkmcnt(1)
	v_mul_f32_e32 v156, v3, v166
	v_add_f32_e32 v121, v129, v157
	v_mul_f32_e32 v129, v2, v166
	v_add_f32_e32 v8, v8, v122
	v_fmac_f32_e32 v129, v3, v126
	v_fma_f32 v126, v2, v126, -v156
	v_add_f32_e32 v3, v8, v7
	s_clause 0x3
	buffer_load_dword v8, off, s[0:3], 0 offset:384
	buffer_load_dword v156, off, s[0:3], 0 offset:376
	;; [unrolled: 1-line block ×4, first 2 shown]
	v_add_f32_e32 v2, v121, v164
	s_clause 0x2
	buffer_load_dword v164, off, s[0:3], 0 offset:400
	buffer_load_dword v165, off, s[0:3], 0 offset:392
	;; [unrolled: 1-line block ×3, first 2 shown]
	v_add_f32_e32 v3, v3, v6
	s_waitcnt vmcnt(30)
	v_mul_f32_e32 v167, v4, v118
	v_add_f32_e32 v2, v2, v123
	v_add_f32_e32 v6, v3, v117
	v_mul_f32_e32 v3, v5, v118
	v_add_f32_e32 v2, v2, v116
	v_fmac_f32_e32 v167, v5, v125
	s_waitcnt vmcnt(29) lgkmcnt(0)
	v_mul_f32_e32 v122, v115, v137
	v_add_f32_e32 v6, v6, v119
	ds_read_b128 v[116:119], v1 offset:736
	v_add_f32_e32 v7, v2, v160
	v_fma_f32 v160, v4, v125, -v3
	ds_read_b128 v[2:5], v1 offset:720
	v_add_f32_e32 v6, v6, v141
	v_add_f32_e32 v7, v7, v136
	;; [unrolled: 1-line block ×9, first 2 shown]
	s_waitcnt vmcnt(28)
	v_mul_f32_e32 v136, v112, v134
	v_mul_f32_e32 v121, v113, v134
	v_mul_f32_e32 v134, v114, v137
	v_fmac_f32_e32 v136, v113, v124
	v_fma_f32 v137, v112, v124, -v121
	s_waitcnt vmcnt(24)
	v_fma_f32 v130, v114, v147, -v122
	v_fmac_f32_e32 v134, v115, v147
	ds_read_b128 v[112:115], v1 offset:752
	ds_read_b128 v[120:123], v1 offset:768
	s_waitcnt vmcnt(23) lgkmcnt(2)
	v_mul_f32_e32 v131, v2, v144
	v_mul_f32_e32 v124, v3, v144
	s_waitcnt vmcnt(22)
	v_mul_f32_e32 v140, v4, v145
	v_mul_f32_e32 v141, v5, v145
	s_waitcnt vmcnt(21)
	v_mul_f32_e32 v144, v116, v132
	v_fmac_f32_e32 v131, v3, v142
	v_fma_f32 v142, v2, v142, -v124
	v_add_f32_e32 v2, v7, v152
	v_fmac_f32_e32 v140, v5, v139
	v_fma_f32 v139, v4, v139, -v141
	v_add_f32_e32 v141, v6, v160
	v_mul_f32_e32 v132, v117, v132
	v_add_f32_e32 v129, v2, v129
	v_fmac_f32_e32 v144, v117, v138
	ds_read_b128 v[124:127], v1 offset:784
	ds_read_b128 v[2:5], v1 offset:800
	v_add_f32_e32 v137, v141, v137
	v_add_f32_e32 v129, v129, v167
	v_fma_f32 v116, v116, v138, -v132
	s_waitcnt vmcnt(20)
	v_mul_f32_e32 v141, v119, v143
	v_mul_f32_e32 v145, v118, v143
	v_add_f32_e32 v130, v137, v130
	v_add_f32_e32 v129, v129, v136
	s_waitcnt vmcnt(19) lgkmcnt(3)
	v_mul_f32_e32 v136, v112, v146
	v_mul_f32_e32 v138, v113, v146
	s_waitcnt vmcnt(18)
	v_mul_f32_e32 v137, v114, v148
	v_add_f32_e32 v130, v130, v142
	v_add_f32_e32 v129, v129, v134
	s_waitcnt vmcnt(17) lgkmcnt(2)
	v_mul_f32_e32 v143, v120, v149
	s_waitcnt vmcnt(16)
	v_mul_f32_e32 v134, v122, v133
	ds_read_b64 v[6:7], v1 offset:816
	v_add_f32_e32 v130, v130, v139
	v_add_f32_e32 v129, v129, v131
	s_waitcnt vmcnt(15) lgkmcnt(2)
	v_mul_f32_e32 v142, v124, v135
	s_waitcnt vmcnt(11)
	v_fmac_f32_e32 v143, v121, v128
	v_add_f32_e32 v116, v130, v116
	v_add_f32_e32 v129, v129, v140
	s_waitcnt vmcnt(8)
	v_fma_f32 v118, v118, v161, -v141
	v_fmac_f32_e32 v145, v119, v161
	v_fmac_f32_e32 v136, v113, v158
	v_fma_f32 v112, v112, v158, -v138
	v_add_f32_e32 v119, v129, v144
	v_mul_f32_e32 v129, v115, v148
	v_add_f32_e32 v113, v116, v118
	v_mul_f32_e32 v118, v121, v149
	v_fmac_f32_e32 v137, v115, v155
	v_add_f32_e32 v116, v119, v145
	v_fma_f32 v114, v114, v155, -v129
	v_add_f32_e32 v112, v113, v112
	v_mul_f32_e32 v115, v123, v133
	v_mul_f32_e32 v117, v126, v153
	v_add_f32_e32 v113, v116, v136
	v_fma_f32 v116, v120, v128, -v118
	v_add_f32_e32 v112, v112, v114
	v_mul_f32_e32 v114, v125, v135
	s_waitcnt vmcnt(3)
	v_fma_f32 v115, v122, v163, -v115
	v_add_f32_e32 v113, v113, v137
	v_fmac_f32_e32 v134, v123, v163
	v_add_f32_e32 v112, v112, v116
	v_mul_f32_e32 v116, v127, v153
	v_fma_f32 v114, v124, v157, -v114
	v_add_f32_e32 v113, v113, v143
	v_fmac_f32_e32 v142, v125, v157
	v_add_f32_e32 v112, v112, v115
	s_waitcnt lgkmcnt(1)
	v_mul_f32_e32 v131, v2, v154
	v_mul_f32_e32 v115, v3, v154
	v_add_f32_e32 v113, v113, v134
	v_fma_f32 v116, v126, v156, -v116
	v_add_f32_e32 v112, v112, v114
	v_fmac_f32_e32 v117, v127, v156
	v_mul_f32_e32 v114, v5, v150
	v_add_f32_e32 v113, v113, v142
	v_fmac_f32_e32 v131, v3, v8
	v_fma_f32 v2, v2, v8, -v115
	v_add_f32_e32 v3, v112, v116
	v_mul_f32_e32 v132, v4, v150
	v_add_f32_e32 v8, v113, v117
	s_waitcnt lgkmcnt(0)
	v_mul_f32_e32 v112, v7, v162
	s_waitcnt vmcnt(1)
	v_fma_f32 v4, v4, v165, -v114
	v_add_f32_e32 v2, v3, v2
	v_mul_f32_e32 v139, v6, v162
	v_fmac_f32_e32 v132, v5, v165
	v_add_f32_e32 v3, v8, v131
	v_fma_f32 v5, v6, v164, -v112
	v_add_f32_e32 v2, v2, v4
	v_fmac_f32_e32 v139, v7, v164
	v_add_f32_e32 v3, v3, v132
	v_add_f32_e32 v2, v2, v5
	v_add_f32_e32 v3, v3, v139
	s_waitcnt vmcnt(0)
	v_sub_f32_e32 v2, v166, v2
	v_sub_f32_e32 v3, v159, v3
	buffer_store_dword v2, off, s[0:3], 0 offset:72
	buffer_store_dword v3, off, s[0:3], 0 offset:76
	v_cmpx_lt_u32_e32 8, v0
	s_cbranch_execz .LBB50_303
; %bb.302:
	s_clause 0x1
	buffer_load_dword v2, off, s[0:3], 0 offset:64
	buffer_load_dword v3, off, s[0:3], 0 offset:68
	buffer_store_dword v1, off, s[0:3], 0 offset:64
	buffer_store_dword v1, off, s[0:3], 0 offset:68
	s_waitcnt vmcnt(0)
	ds_write_b64 v111, v[2:3]
.LBB50_303:
	s_or_b32 exec_lo, exec_lo, s4
	s_waitcnt lgkmcnt(0)
	s_waitcnt_vscnt null, 0x0
	s_barrier
	buffer_gl0_inv
	s_clause 0x24
	buffer_load_dword v140, off, s[0:3], 0 offset:76
	buffer_load_dword v2, off, s[0:3], 0 offset:84
	;; [unrolled: 1-line block ×37, first 2 shown]
	ds_read2_b64 v[124:127], v1 offset0:61 offset1:62
	ds_read2_b64 v[128:131], v1 offset0:63 offset1:64
	;; [unrolled: 1-line block ×3, first 2 shown]
	s_clause 0x1
	buffer_load_dword v158, off, s[0:3], 0 offset:220
	buffer_load_dword v159, off, s[0:3], 0 offset:228
	ds_read2_b64 v[136:139], v1 offset0:67 offset1:68
	buffer_load_dword v161, off, s[0:3], 0 offset:68
	s_mov_b32 s4, exec_lo
	s_waitcnt vmcnt(39) lgkmcnt(3)
	v_mul_f32_e32 v160, v125, v140
	v_mul_f32_e32 v140, v124, v140
	s_waitcnt vmcnt(38)
	v_mul_f32_e32 v162, v126, v2
	v_mul_f32_e32 v2, v127, v2
	s_waitcnt vmcnt(35)
	v_fma_f32 v160, v124, v143, -v160
	v_fmac_f32_e32 v140, v125, v143
	v_fmac_f32_e32 v162, v127, v142
	v_fma_f32 v2, v126, v142, -v2
	s_waitcnt vmcnt(33) lgkmcnt(2)
	v_mul_f32_e32 v142, v130, v145
	v_mul_f32_e32 v125, v131, v145
	;; [unrolled: 1-line block ×4, first 2 shown]
	s_waitcnt vmcnt(32) lgkmcnt(1)
	v_mul_f32_e32 v144, v132, v146
	v_mul_f32_e32 v145, v133, v146
	s_waitcnt vmcnt(28)
	v_fmac_f32_e32 v142, v131, v149
	v_fma_f32 v146, v130, v149, -v125
	s_waitcnt vmcnt(27)
	v_mul_f32_e32 v149, v134, v150
	v_mul_f32_e32 v150, v135, v150
	v_fmac_f32_e32 v143, v129, v141
	v_fma_f32 v141, v128, v141, -v124
	ds_read2_b64 v[124:127], v1 offset0:69 offset1:70
	ds_read2_b64 v[128:131], v1 offset0:71 offset1:72
	v_fmac_f32_e32 v144, v133, v148
	v_fma_f32 v145, v132, v148, -v145
	s_waitcnt vmcnt(26) lgkmcnt(2)
	v_mul_f32_e32 v148, v136, v151
	v_mul_f32_e32 v132, v137, v151
	v_fmac_f32_e32 v149, v135, v147
	v_fma_f32 v147, v134, v147, -v150
	s_waitcnt vmcnt(25)
	v_mul_f32_e32 v150, v138, v152
	v_mul_f32_e32 v133, v139, v152
	s_clause 0x3
	buffer_load_dword v151, off, s[0:3], 0 offset:248
	buffer_load_dword v152, off, s[0:3], 0 offset:240
	;; [unrolled: 1-line block ×4, first 2 shown]
	v_fmac_f32_e32 v148, v137, v114
	v_fma_f32 v136, v136, v114, -v132
	s_waitcnt vmcnt(25)
	v_fmac_f32_e32 v150, v139, v153
	v_fma_f32 v137, v138, v153, -v133
	ds_read2_b64 v[132:135], v1 offset0:73 offset1:74
	s_clause 0x1
	buffer_load_dword v165, off, s[0:3], 0 offset:236
	buffer_load_dword v166, off, s[0:3], 0 offset:244
	s_waitcnt vmcnt(26) lgkmcnt(2)
	v_mul_f32_e32 v138, v124, v154
	v_mul_f32_e32 v114, v125, v154
	s_waitcnt vmcnt(25)
	v_mul_f32_e32 v139, v126, v155
	v_mul_f32_e32 v153, v127, v155
	s_waitcnt vmcnt(24) lgkmcnt(1)
	v_mul_f32_e32 v155, v128, v156
	v_fmac_f32_e32 v138, v125, v121
	v_fma_f32 v154, v124, v121, -v114
	v_fmac_f32_e32 v139, v127, v115
	v_fma_f32 v153, v126, v115, -v153
	ds_read2_b64 v[124:127], v1 offset0:75 offset1:76
	v_mul_f32_e32 v114, v129, v156
	s_waitcnt vmcnt(23)
	v_mul_f32_e32 v115, v131, v120
	v_mul_f32_e32 v156, v130, v120
	v_fmac_f32_e32 v155, v129, v6
	v_fma_f32 v6, v128, v6, -v114
	s_waitcnt vmcnt(19)
	v_fma_f32 v128, v130, v157, -v115
	s_waitcnt vmcnt(18) lgkmcnt(1)
	v_mul_f32_e32 v129, v132, v123
	v_mul_f32_e32 v114, v133, v123
	s_waitcnt vmcnt(17)
	v_mul_f32_e32 v130, v134, v122
	v_mul_f32_e32 v115, v135, v122
	ds_read2_b64 v[120:123], v1 offset0:77 offset1:78
	v_fmac_f32_e32 v156, v131, v157
	v_fmac_f32_e32 v129, v133, v116
	buffer_load_dword v131, off, s[0:3], 0 offset:252
	v_fma_f32 v116, v132, v116, -v114
	v_fmac_f32_e32 v130, v135, v8
	v_fma_f32 v8, v134, v8, -v115
	s_waitcnt vmcnt(16) lgkmcnt(1)
	v_mul_f32_e32 v133, v126, v112
	v_mul_f32_e32 v112, v127, v112
	;; [unrolled: 1-line block ×4, first 2 shown]
	s_waitcnt vmcnt(12)
	v_fmac_f32_e32 v133, v127, v119
	v_fma_f32 v119, v126, v119, -v112
	buffer_load_dword v126, off, s[0:3], 0 offset:260
	v_fmac_f32_e32 v132, v125, v4
	v_fma_f32 v124, v124, v4, -v113
	ds_read2_b64 v[112:115], v1 offset0:79 offset1:80
	s_waitcnt vmcnt(12) lgkmcnt(1)
	v_mul_f32_e32 v125, v120, v118
	v_mul_f32_e32 v4, v121, v118
	s_waitcnt vmcnt(11)
	v_mul_f32_e32 v118, v122, v117
	v_mul_f32_e32 v117, v123, v117
	v_fmac_f32_e32 v125, v121, v7
	v_fma_f32 v7, v120, v7, -v4
	v_fmac_f32_e32 v118, v123, v5
	v_fma_f32 v117, v122, v5, -v117
	s_clause 0x4
	buffer_load_dword v120, off, s[0:3], 0 offset:280
	buffer_load_dword v121, off, s[0:3], 0 offset:272
	;; [unrolled: 1-line block ×5, first 2 shown]
	v_add_f32_e32 v4, 0, v160
	v_add_f32_e32 v5, 0, v140
	s_clause 0x1
	buffer_load_dword v134, off, s[0:3], 0 offset:276
	buffer_load_dword v135, off, s[0:3], 0 offset:284
	v_add_f32_e32 v2, v4, v2
	v_add_f32_e32 v4, v5, v162
	s_waitcnt vmcnt(17) lgkmcnt(0)
	v_mul_f32_e32 v140, v112, v158
	v_mul_f32_e32 v5, v113, v158
	v_add_f32_e32 v2, v2, v141
	v_add_f32_e32 v4, v4, v143
	s_waitcnt vmcnt(16)
	v_mul_f32_e32 v143, v115, v159
	v_fmac_f32_e32 v140, v113, v3
	v_fma_f32 v157, v112, v3, -v5
	v_add_f32_e32 v112, v2, v146
	v_add_f32_e32 v113, v4, v142
	ds_read2_b64 v[2:5], v1 offset0:81 offset1:82
	v_mul_f32_e32 v141, v114, v159
	v_add_f32_e32 v112, v112, v145
	v_add_f32_e32 v113, v113, v144
	;; [unrolled: 1-line block ×10, first 2 shown]
	s_waitcnt vmcnt(11)
	v_fma_f32 v142, v114, v164, -v143
	s_clause 0x7
	buffer_load_dword v143, off, s[0:3], 0 offset:292
	buffer_load_dword v144, off, s[0:3], 0 offset:312
	;; [unrolled: 1-line block ×8, first 2 shown]
	v_fmac_f32_e32 v141, v115, v164
	ds_read2_b64 v[112:115], v1 offset0:83 offset1:84
	s_waitcnt vmcnt(18) lgkmcnt(1)
	v_mul_f32_e32 v150, v2, v165
	v_mul_f32_e32 v159, v3, v165
	s_waitcnt vmcnt(17)
	v_mul_f32_e32 v149, v4, v166
	v_mul_f32_e32 v154, v5, v166
	v_fmac_f32_e32 v150, v3, v163
	v_add_f32_e32 v3, v137, v153
	v_add_f32_e32 v137, v138, v139
	v_fma_f32 v138, v2, v163, -v159
	v_fmac_f32_e32 v149, v5, v152
	v_fma_f32 v139, v4, v152, -v154
	v_add_f32_e32 v2, v3, v6
	v_add_f32_e32 v3, v137, v155
	s_clause 0x7
	buffer_load_dword v6, off, s[0:3], 0 offset:324
	buffer_load_dword v137, off, s[0:3], 0 offset:332
	;; [unrolled: 1-line block ×8, first 2 shown]
	v_add_f32_e32 v2, v2, v128
	v_add_f32_e32 v3, v3, v156
	s_clause 0x3
	buffer_load_dword v156, off, s[0:3], 0 offset:356
	buffer_load_dword v163, off, s[0:3], 0 offset:364
	;; [unrolled: 1-line block ×4, first 2 shown]
	v_add_f32_e32 v2, v2, v116
	v_add_f32_e32 v8, v2, v8
	s_waitcnt vmcnt(28) lgkmcnt(0)
	v_mul_f32_e32 v4, v113, v131
	v_mul_f32_e32 v162, v112, v131
	v_add_f32_e32 v8, v8, v124
	v_fma_f32 v128, v112, v151, -v4
	v_add_f32_e32 v112, v3, v129
	v_fmac_f32_e32 v162, v113, v151
	s_clause 0x2
	buffer_load_dword v151, off, s[0:3], 0 offset:388
	buffer_load_dword v166, off, s[0:3], 0 offset:396
	;; [unrolled: 1-line block ×3, first 2 shown]
	v_add_f32_e32 v8, v8, v119
	v_add_f32_e32 v112, v112, v130
	s_waitcnt vmcnt(30)
	v_mul_f32_e32 v3, v115, v126
	v_mul_f32_e32 v129, v114, v126
	v_add_f32_e32 v7, v8, v7
	v_add_f32_e32 v112, v112, v132
	;; [unrolled: 1-line block ×4, first 2 shown]
	s_waitcnt vmcnt(26)
	v_fma_f32 v126, v114, v123, -v3
	ds_read2_b64 v[2:5], v1 offset0:85 offset1:86
	s_clause 0x3
	buffer_load_dword v132, off, s[0:3], 0 offset:376
	buffer_load_dword v168, off, s[0:3], 0 offset:368
	;; [unrolled: 1-line block ×4, first 2 shown]
	v_add_f32_e32 v8, v112, v125
	v_fmac_f32_e32 v129, v115, v123
	ds_read2_b64 v[112:115], v1 offset0:87 offset1:88
	s_waitcnt vmcnt(29) lgkmcnt(1)
	v_mul_f32_e32 v124, v2, v127
	v_mul_f32_e32 v116, v3, v127
	s_waitcnt vmcnt(28)
	v_mul_f32_e32 v130, v4, v134
	s_waitcnt vmcnt(27) lgkmcnt(0)
	v_mul_f32_e32 v123, v113, v135
	v_fmac_f32_e32 v124, v3, v122
	v_fma_f32 v125, v2, v122, -v116
	v_add_f32_e32 v2, v8, v118
	v_add_f32_e32 v3, v7, v157
	s_clause 0x2
	buffer_load_dword v7, off, s[0:3], 0 offset:400
	buffer_load_dword v8, off, s[0:3], 0 offset:392
	;; [unrolled: 1-line block ×3, first 2 shown]
	v_mul_f32_e32 v116, v5, v134
	v_fmac_f32_e32 v130, v5, v121
	v_add_f32_e32 v2, v2, v140
	buffer_load_dword v140, off, s[0:3], 0 offset:64
	v_add_f32_e32 v3, v3, v142
	v_fma_f32 v127, v4, v121, -v116
	v_mul_f32_e32 v134, v112, v135
	v_add_f32_e32 v117, v2, v141
	v_add_f32_e32 v121, v3, v138
	ds_read2_b64 v[2:5], v1 offset0:89 offset1:90
	v_fma_f32 v138, v112, v120, -v123
	v_add_f32_e32 v122, v117, v150
	ds_read2_b64 v[116:119], v1 offset0:91 offset1:92
	v_add_f32_e32 v121, v121, v139
	v_fmac_f32_e32 v134, v113, v120
	v_add_f32_e32 v122, v122, v149
	v_add_f32_e32 v128, v121, v128
	;; [unrolled: 1-line block ×4, first 2 shown]
	s_waitcnt vmcnt(30)
	v_mul_f32_e32 v131, v115, v143
	v_mul_f32_e32 v135, v114, v143
	s_waitcnt vmcnt(25) lgkmcnt(1)
	v_mul_f32_e32 v141, v2, v136
	v_mul_f32_e32 v128, v3, v136
	v_fma_f32 v139, v114, v158, -v131
	v_add_f32_e32 v131, v122, v162
	s_waitcnt vmcnt(23) lgkmcnt(0)
	v_mul_f32_e32 v142, v116, v148
	v_fmac_f32_e32 v141, v3, v146
	v_fma_f32 v146, v2, v146, -v128
	v_mul_f32_e32 v136, v4, v147
	v_add_f32_e32 v129, v131, v129
	v_mul_f32_e32 v131, v5, v147
	v_mul_f32_e32 v143, v117, v148
	v_fmac_f32_e32 v142, v117, v144
	v_fmac_f32_e32 v135, v115, v158
	v_add_f32_e32 v128, v129, v124
	v_add_f32_e32 v129, v125, v127
	ds_read2_b64 v[112:115], v1 offset0:93 offset1:94
	ds_read2_b64 v[120:123], v1 offset0:95 offset1:96
	v_fmac_f32_e32 v136, v5, v145
	v_fma_f32 v145, v4, v145, -v131
	v_add_f32_e32 v147, v128, v130
	v_add_f32_e32 v117, v129, v138
	ds_read2_b64 v[2:5], v1 offset0:97 offset1:98
	ds_read2_b64 v[124:127], v1 offset0:99 offset1:100
	;; [unrolled: 1-line block ×3, first 2 shown]
	v_fma_f32 v116, v116, v144, -v143
	v_add_f32_e32 v1, v147, v134
	v_add_f32_e32 v117, v117, v139
	s_waitcnt vmcnt(22)
	v_mul_f32_e32 v134, v118, v6
	v_mul_f32_e32 v6, v119, v6
	v_add_f32_e32 v1, v1, v135
	v_add_f32_e32 v117, v117, v146
	s_waitcnt vmcnt(15)
	v_fmac_f32_e32 v134, v119, v160
	v_fma_f32 v6, v118, v160, -v6
	v_add_f32_e32 v1, v1, v141
	v_add_f32_e32 v117, v117, v145
	s_waitcnt lgkmcnt(4)
	v_mul_f32_e32 v138, v112, v137
	v_mul_f32_e32 v137, v113, v137
	;; [unrolled: 1-line block ×3, first 2 shown]
	v_add_f32_e32 v1, v1, v136
	v_add_f32_e32 v116, v117, v116
	v_mul_f32_e32 v136, v115, v152
	v_fma_f32 v112, v112, v159, -v137
	v_fmac_f32_e32 v138, v113, v159
	v_add_f32_e32 v1, v1, v142
	v_add_f32_e32 v6, v116, v6
	s_waitcnt lgkmcnt(3)
	v_mul_f32_e32 v113, v121, v153
	v_fma_f32 v114, v114, v155, -v136
	v_mul_f32_e32 v118, v120, v153
	v_add_f32_e32 v1, v1, v134
	v_add_f32_e32 v6, v6, v112
	v_fmac_f32_e32 v135, v115, v155
	s_waitcnt vmcnt(14)
	v_mul_f32_e32 v112, v123, v156
	v_fma_f32 v113, v120, v154, -v113
	v_add_f32_e32 v1, v1, v138
	v_add_f32_e32 v6, v6, v114
	v_mul_f32_e32 v119, v122, v156
	v_fmac_f32_e32 v118, v121, v154
	s_waitcnt vmcnt(13) lgkmcnt(2)
	v_mul_f32_e32 v139, v2, v163
	v_add_f32_e32 v1, v1, v135
	v_mul_f32_e32 v114, v3, v163
	v_add_f32_e32 v6, v6, v113
	s_waitcnt vmcnt(4)
	v_fma_f32 v112, v122, v170, -v112
	v_fmac_f32_e32 v119, v123, v170
	v_add_f32_e32 v1, v1, v118
	v_mul_f32_e32 v113, v5, v164
	v_fmac_f32_e32 v139, v3, v169
	v_fma_f32 v2, v2, v169, -v114
	v_add_f32_e32 v3, v6, v112
	v_mul_f32_e32 v141, v4, v164
	v_add_f32_e32 v1, v1, v119
	s_waitcnt lgkmcnt(1)
	v_mul_f32_e32 v6, v125, v165
	v_fma_f32 v4, v4, v168, -v113
	v_add_f32_e32 v2, v3, v2
	v_mul_f32_e32 v143, v124, v165
	v_fmac_f32_e32 v141, v5, v168
	v_add_f32_e32 v1, v1, v139
	v_mul_f32_e32 v3, v127, v151
	v_fma_f32 v5, v124, v132, -v6
	v_add_f32_e32 v2, v2, v4
	v_mul_f32_e32 v144, v126, v151
	v_fmac_f32_e32 v143, v125, v132
	v_add_f32_e32 v1, v1, v141
	s_waitcnt lgkmcnt(0)
	v_mul_f32_e32 v4, v129, v166
	v_add_f32_e32 v2, v2, v5
	v_mul_f32_e32 v145, v128, v166
	v_mul_f32_e32 v5, v131, v167
	v_add_f32_e32 v1, v1, v143
	v_mul_f32_e32 v117, v130, v167
	s_waitcnt vmcnt(2)
	v_fma_f32 v4, v128, v8, -v4
	s_waitcnt vmcnt(1)
	v_fma_f32 v3, v126, v133, -v3
	v_fmac_f32_e32 v144, v127, v133
	v_fmac_f32_e32 v145, v129, v8
	v_fmac_f32_e32 v117, v131, v7
	v_add_f32_e32 v2, v2, v3
	v_add_f32_e32 v1, v1, v144
	v_fma_f32 v3, v130, v7, -v5
	v_add_f32_e32 v2, v2, v4
	v_add_f32_e32 v1, v1, v145
	;; [unrolled: 1-line block ×4, first 2 shown]
	s_waitcnt vmcnt(0)
	v_sub_f32_e32 v2, v140, v2
	v_sub_f32_e32 v1, v161, v1
	buffer_store_dword v2, off, s[0:3], 0 offset:64
	buffer_store_dword v1, off, s[0:3], 0 offset:68
	v_cmpx_lt_u32_e32 7, v0
	s_cbranch_execz .LBB50_305
; %bb.304:
	s_clause 0x1
	buffer_load_dword v1, off, s[0:3], 0 offset:56
	buffer_load_dword v2, off, s[0:3], 0 offset:60
	v_mov_b32_e32 v3, 0
	buffer_store_dword v3, off, s[0:3], 0 offset:56
	buffer_store_dword v3, off, s[0:3], 0 offset:60
	s_waitcnt vmcnt(0)
	ds_write_b64 v111, v[1:2]
.LBB50_305:
	s_or_b32 exec_lo, exec_lo, s4
	s_waitcnt lgkmcnt(0)
	s_waitcnt_vscnt null, 0x0
	s_barrier
	buffer_gl0_inv
	s_clause 0x2c
	buffer_load_dword v150, off, s[0:3], 0 offset:68
	buffer_load_dword v151, off, s[0:3], 0 offset:76
	buffer_load_dword v121, off, s[0:3], 0 offset:80
	buffer_load_dword v135, off, s[0:3], 0 offset:72
	buffer_load_dword v139, off, s[0:3], 0 offset:64
	buffer_load_dword v134, off, s[0:3], 0 offset:84
	buffer_load_dword v132, off, s[0:3], 0 offset:92
	buffer_load_dword v8, off, s[0:3], 0 offset:112
	buffer_load_dword v124, off, s[0:3], 0 offset:104
	buffer_load_dword v129, off, s[0:3], 0 offset:96
	buffer_load_dword v140, off, s[0:3], 0 offset:88
	buffer_load_dword v138, off, s[0:3], 0 offset:100
	buffer_load_dword v137, off, s[0:3], 0 offset:108
	buffer_load_dword v128, off, s[0:3], 0 offset:116
	buffer_load_dword v126, off, s[0:3], 0 offset:124
	buffer_load_dword v4, off, s[0:3], 0 offset:144
	buffer_load_dword v116, off, s[0:3], 0 offset:136
	buffer_load_dword v122, off, s[0:3], 0 offset:128
	buffer_load_dword v136, off, s[0:3], 0 offset:120
	buffer_load_dword v133, off, s[0:3], 0 offset:132
	buffer_load_dword v131, off, s[0:3], 0 offset:140
	buffer_load_dword v120, off, s[0:3], 0 offset:148
	buffer_load_dword v118, off, s[0:3], 0 offset:156
	buffer_load_dword v3, off, s[0:3], 0 offset:176
	buffer_load_dword v112, off, s[0:3], 0 offset:168
	buffer_load_dword v115, off, s[0:3], 0 offset:160
	buffer_load_dword v130, off, s[0:3], 0 offset:152
	buffer_load_dword v127, off, s[0:3], 0 offset:164
	buffer_load_dword v125, off, s[0:3], 0 offset:172
	buffer_load_dword v114, off, s[0:3], 0 offset:180
	buffer_load_dword v113, off, s[0:3], 0 offset:188
	buffer_load_dword v2, off, s[0:3], 0 offset:208
	buffer_load_dword v5, off, s[0:3], 0 offset:200
	buffer_load_dword v7, off, s[0:3], 0 offset:192
	buffer_load_dword v123, off, s[0:3], 0 offset:184
	buffer_load_dword v119, off, s[0:3], 0 offset:196
	buffer_load_dword v117, off, s[0:3], 0 offset:204
	buffer_load_dword v6, off, s[0:3], 0 offset:212
	buffer_load_dword v141, off, s[0:3], 0 offset:220
	buffer_load_dword v152, off, s[0:3], 0 offset:240
	buffer_load_dword v153, off, s[0:3], 0 offset:232
	buffer_load_dword v154, off, s[0:3], 0 offset:224
	buffer_load_dword v155, off, s[0:3], 0 offset:216
	buffer_load_dword v156, off, s[0:3], 0 offset:228
	buffer_load_dword v157, off, s[0:3], 0 offset:236
	v_mov_b32_e32 v1, 0
	ds_read_b128 v[142:145], v1 offset:480
	ds_read_b128 v[146:149], v1 offset:496
	buffer_load_dword v160, off, s[0:3], 0 offset:60
	s_mov_b32 s4, exec_lo
	s_waitcnt vmcnt(45) lgkmcnt(1)
	v_mul_f32_e32 v158, v143, v150
	v_mul_f32_e32 v150, v142, v150
	s_waitcnt vmcnt(44)
	v_mul_f32_e32 v159, v144, v151
	v_mul_f32_e32 v151, v145, v151
	s_waitcnt vmcnt(41)
	v_fma_f32 v158, v142, v139, -v158
	v_fmac_f32_e32 v150, v143, v139
	v_fmac_f32_e32 v159, v145, v135
	v_fma_f32 v151, v144, v135, -v151
	ds_read_b128 v[142:145], v1 offset:512
	s_waitcnt vmcnt(40) lgkmcnt(1)
	v_mul_f32_e32 v161, v146, v134
	v_mul_f32_e32 v134, v147, v134
	s_waitcnt vmcnt(39)
	v_mul_f32_e32 v162, v148, v132
	v_mul_f32_e32 v132, v149, v132
	v_fmac_f32_e32 v161, v147, v121
	v_fma_f32 v121, v146, v121, -v134
	s_waitcnt vmcnt(35)
	v_fmac_f32_e32 v162, v149, v140
	v_fma_f32 v163, v148, v140, -v132
	ds_read_b128 v[146:149], v1 offset:528
	s_waitcnt vmcnt(34) lgkmcnt(1)
	v_mul_f32_e32 v164, v142, v138
	v_mul_f32_e32 v132, v143, v138
	s_waitcnt vmcnt(33)
	v_mul_f32_e32 v165, v144, v137
	v_mul_f32_e32 v134, v145, v137
	ds_read_b128 v[137:140], v1 offset:544
	v_fmac_f32_e32 v164, v143, v129
	v_fma_f32 v129, v142, v129, -v132
	v_fmac_f32_e32 v165, v145, v124
	v_fma_f32 v166, v144, v124, -v134
	ds_read_b128 v[142:145], v1 offset:560
	s_waitcnt vmcnt(32) lgkmcnt(2)
	v_mul_f32_e32 v167, v146, v128
	v_mul_f32_e32 v124, v147, v128
	s_waitcnt vmcnt(31)
	v_mul_f32_e32 v128, v148, v126
	v_mul_f32_e32 v126, v149, v126
	v_fmac_f32_e32 v167, v147, v8
	v_fma_f32 v8, v146, v8, -v124
	s_waitcnt vmcnt(27)
	v_fmac_f32_e32 v128, v149, v136
	v_fma_f32 v146, v148, v136, -v126
	s_waitcnt vmcnt(26) lgkmcnt(1)
	v_mul_f32_e32 v147, v137, v133
	v_mul_f32_e32 v124, v138, v133
	s_waitcnt vmcnt(25)
	v_mul_f32_e32 v148, v139, v131
	v_mul_f32_e32 v126, v140, v131
	ds_read_b128 v[131:134], v1 offset:576
	v_fmac_f32_e32 v147, v138, v122
	v_fma_f32 v122, v137, v122, -v124
	ds_read_b128 v[135:138], v1 offset:592
	v_fmac_f32_e32 v148, v140, v116
	v_fma_f32 v139, v139, v116, -v126
	s_waitcnt vmcnt(24) lgkmcnt(2)
	v_mul_f32_e32 v140, v142, v120
	v_mul_f32_e32 v116, v143, v120
	s_waitcnt vmcnt(23)
	v_mul_f32_e32 v120, v144, v118
	v_mul_f32_e32 v118, v145, v118
	v_fmac_f32_e32 v140, v143, v4
	v_fma_f32 v142, v142, v4, -v116
	s_waitcnt vmcnt(19)
	v_fmac_f32_e32 v120, v145, v130
	v_fma_f32 v130, v144, v130, -v118
	s_waitcnt vmcnt(18) lgkmcnt(1)
	v_mul_f32_e32 v143, v131, v127
	v_mul_f32_e32 v4, v132, v127
	s_waitcnt vmcnt(17)
	v_mul_f32_e32 v144, v133, v125
	v_mul_f32_e32 v116, v134, v125
	ds_read_b128 v[124:127], v1 offset:608
	v_fmac_f32_e32 v143, v132, v115
	v_fma_f32 v131, v131, v115, -v4
	v_fmac_f32_e32 v144, v134, v112
	v_fma_f32 v132, v133, v112, -v116
	s_waitcnt vmcnt(15) lgkmcnt(1)
	v_mul_f32_e32 v134, v137, v113
	v_mul_f32_e32 v112, v138, v113
	;; [unrolled: 1-line block ×4, first 2 shown]
	s_waitcnt vmcnt(11)
	v_fmac_f32_e32 v134, v138, v123
	v_fma_f32 v123, v137, v123, -v112
	ds_read_b128 v[112:115], v1 offset:624
	v_fmac_f32_e32 v133, v136, v3
	v_fma_f32 v135, v135, v3, -v4
	s_waitcnt vmcnt(10) lgkmcnt(1)
	v_mul_f32_e32 v136, v124, v119
	v_mul_f32_e32 v3, v125, v119
	s_waitcnt vmcnt(9)
	v_mul_f32_e32 v137, v126, v117
	v_mul_f32_e32 v4, v127, v117
	ds_read_b128 v[116:119], v1 offset:640
	v_fmac_f32_e32 v136, v125, v7
	v_fma_f32 v7, v124, v7, -v3
	v_fmac_f32_e32 v137, v127, v5
	v_fma_f32 v124, v126, v5, -v4
	buffer_load_dword v126, off, s[0:3], 0 offset:244
	s_waitcnt vmcnt(8) lgkmcnt(1)
	v_mul_f32_e32 v4, v115, v141
	v_mul_f32_e32 v125, v112, v6
	;; [unrolled: 1-line block ×4, first 2 shown]
	s_waitcnt vmcnt(4)
	v_fma_f32 v138, v114, v155, -v4
	buffer_load_dword v114, off, s[0:3], 0 offset:252
	v_fmac_f32_e32 v125, v113, v2
	v_fma_f32 v127, v112, v2, -v3
	ds_read_b128 v[2:5], v1 offset:656
	v_fmac_f32_e32 v6, v115, v155
	s_waitcnt vmcnt(4) lgkmcnt(1)
	v_mul_f32_e32 v141, v116, v156
	v_mul_f32_e32 v112, v117, v156
	s_waitcnt vmcnt(3)
	v_mul_f32_e32 v145, v118, v157
	v_mul_f32_e32 v113, v119, v157
	v_fmac_f32_e32 v141, v117, v154
	v_fma_f32 v116, v116, v154, -v112
	v_fmac_f32_e32 v145, v119, v153
	v_fma_f32 v117, v118, v153, -v113
	s_clause 0x4
	buffer_load_dword v118, off, s[0:3], 0 offset:272
	buffer_load_dword v119, off, s[0:3], 0 offset:264
	;; [unrolled: 1-line block ×5, first 2 shown]
	s_waitcnt vmcnt(6) lgkmcnt(0)
	v_mul_f32_e32 v154, v2, v126
	v_mul_f32_e32 v113, v3, v126
	v_fmac_f32_e32 v154, v3, v152
	v_fma_f32 v126, v2, v152, -v113
	s_waitcnt vmcnt(5)
	v_mul_f32_e32 v152, v4, v114
	v_mul_f32_e32 v2, v5, v114
	s_waitcnt vmcnt(1)
	v_fmac_f32_e32 v152, v5, v112
	v_fma_f32 v155, v4, v112, -v2
	ds_read_b128 v[2:5], v1 offset:672
	ds_read_b128 v[112:115], v1 offset:688
	s_waitcnt vmcnt(0) lgkmcnt(1)
	v_mul_f32_e32 v156, v2, v153
	v_mul_f32_e32 v153, v3, v153
	v_fmac_f32_e32 v156, v3, v149
	v_fma_f32 v149, v2, v149, -v153
	buffer_load_dword v2, off, s[0:3], 0 offset:268
	s_waitcnt vmcnt(0)
	v_mul_f32_e32 v153, v4, v2
	v_mul_f32_e32 v2, v5, v2
	v_fmac_f32_e32 v153, v5, v119
	v_fma_f32 v157, v4, v119, -v2
	buffer_load_dword v2, off, s[0:3], 0 offset:276
	s_waitcnt vmcnt(0) lgkmcnt(0)
	v_mul_f32_e32 v168, v112, v2
	v_mul_f32_e32 v2, v113, v2
	v_fmac_f32_e32 v168, v113, v118
	v_fma_f32 v169, v112, v118, -v2
	s_clause 0x4
	buffer_load_dword v2, off, s[0:3], 0 offset:284
	buffer_load_dword v170, off, s[0:3], 0 offset:304
	buffer_load_dword v118, off, s[0:3], 0 offset:296
	buffer_load_dword v119, off, s[0:3], 0 offset:288
	buffer_load_dword v3, off, s[0:3], 0 offset:280
	s_waitcnt vmcnt(4)
	v_mul_f32_e32 v171, v114, v2
	v_mul_f32_e32 v2, v115, v2
	s_waitcnt vmcnt(0)
	v_fmac_f32_e32 v171, v115, v3
	v_fma_f32 v172, v114, v3, -v2
	v_add_f32_e32 v2, 0, v158
	v_add_f32_e32 v3, 0, v150
	buffer_load_dword v150, off, s[0:3], 0 offset:300
	v_add_f32_e32 v2, v2, v151
	v_add_f32_e32 v3, v3, v159
	buffer_load_dword v151, off, s[0:3], 0 offset:316
	v_add_f32_e32 v2, v2, v121
	buffer_load_dword v121, off, s[0:3], 0 offset:292
	v_add_f32_e32 v3, v3, v161
	v_add_f32_e32 v2, v2, v163
	;; [unrolled: 1-line block ×4, first 2 shown]
	buffer_load_dword v129, off, s[0:3], 0 offset:308
	v_add_f32_e32 v3, v3, v164
	v_add_f32_e32 v2, v2, v166
	;; [unrolled: 1-line block ×4, first 2 shown]
	s_clause 0x3
	buffer_load_dword v8, off, s[0:3], 0 offset:336
	buffer_load_dword v158, off, s[0:3], 0 offset:328
	;; [unrolled: 1-line block ×4, first 2 shown]
	v_add_f32_e32 v3, v3, v167
	v_add_f32_e32 v2, v2, v146
	s_clause 0x1
	buffer_load_dword v146, off, s[0:3], 0 offset:324
	buffer_load_dword v162, off, s[0:3], 0 offset:332
	v_add_f32_e32 v3, v3, v128
	buffer_load_dword v128, off, s[0:3], 0 offset:340
	v_add_f32_e32 v2, v2, v122
	v_add_f32_e32 v3, v3, v147
	;; [unrolled: 1-line block ×3, first 2 shown]
	s_clause 0x3
	buffer_load_dword v139, off, s[0:3], 0 offset:348
	buffer_load_dword v147, off, s[0:3], 0 offset:356
	;; [unrolled: 1-line block ×4, first 2 shown]
	v_add_f32_e32 v3, v3, v148
	v_add_f32_e32 v2, v2, v142
	s_clause 0x1
	buffer_load_dword v142, off, s[0:3], 0 offset:380
	buffer_load_dword v148, off, s[0:3], 0 offset:388
	v_add_f32_e32 v3, v3, v140
	v_add_f32_e32 v2, v2, v130
	s_clause 0x1
	buffer_load_dword v130, off, s[0:3], 0 offset:396
	buffer_load_dword v140, off, s[0:3], 0 offset:404
	v_add_f32_e32 v3, v3, v120
	v_add_f32_e32 v2, v2, v131
	;; [unrolled: 1-line block ×4, first 2 shown]
	s_clause 0x3
	buffer_load_dword v131, off, s[0:3], 0 offset:368
	buffer_load_dword v132, off, s[0:3], 0 offset:360
	;; [unrolled: 1-line block ×4, first 2 shown]
	v_add_f32_e32 v3, v3, v144
	v_add_f32_e32 v2, v2, v135
	;; [unrolled: 1-line block ×3, first 2 shown]
	s_clause 0x3
	buffer_load_dword v133, off, s[0:3], 0 offset:400
	buffer_load_dword v135, off, s[0:3], 0 offset:392
	;; [unrolled: 1-line block ×4, first 2 shown]
	v_add_f32_e32 v2, v2, v123
	v_add_f32_e32 v3, v3, v134
	buffer_load_dword v134, off, s[0:3], 0 offset:56
	v_add_f32_e32 v2, v2, v7
	v_add_f32_e32 v3, v3, v136
	;; [unrolled: 1-line block ×4, first 2 shown]
	ds_read_b128 v[2:5], v1 offset:704
	v_add_f32_e32 v7, v7, v127
	v_add_f32_e32 v112, v112, v125
	;; [unrolled: 1-line block ×4, first 2 shown]
	ds_read_b128 v[112:115], v1 offset:720
	v_add_f32_e32 v7, v7, v116
	v_add_f32_e32 v6, v6, v141
	;; [unrolled: 1-line block ×8, first 2 shown]
	s_waitcnt vmcnt(27) lgkmcnt(1)
	v_mul_f32_e32 v137, v4, v150
	v_mul_f32_e32 v117, v5, v150
	v_fmac_f32_e32 v137, v5, v118
	v_fma_f32 v141, v4, v118, -v117
	s_waitcnt vmcnt(25)
	v_mul_f32_e32 v136, v2, v121
	v_mul_f32_e32 v116, v3, v121
	v_fmac_f32_e32 v136, v3, v119
	v_add_f32_e32 v3, v7, v126
	v_fma_f32 v138, v2, v119, -v116
	s_waitcnt vmcnt(24) lgkmcnt(0)
	v_mul_f32_e32 v145, v112, v129
	v_add_f32_e32 v7, v3, v155
	ds_read_b128 v[2:5], v1 offset:736
	ds_read_b128 v[116:119], v1 offset:752
	v_mul_f32_e32 v124, v113, v129
	v_mul_f32_e32 v129, v114, v151
	v_fmac_f32_e32 v145, v113, v170
	v_add_f32_e32 v7, v7, v149
	v_mul_f32_e32 v149, v115, v151
	v_add_f32_e32 v151, v6, v168
	v_fma_f32 v150, v112, v170, -v124
	ds_read_b128 v[120:123], v1 offset:768
	ds_read_b128 v[124:127], v1 offset:784
	v_add_f32_e32 v7, v7, v157
	v_add_f32_e32 v151, v151, v171
	s_waitcnt vmcnt(20)
	v_fma_f32 v149, v114, v161, -v149
	v_fmac_f32_e32 v129, v115, v161
	v_add_f32_e32 v7, v7, v169
	v_add_f32_e32 v136, v151, v136
	s_waitcnt vmcnt(19) lgkmcnt(3)
	v_mul_f32_e32 v153, v2, v146
	v_add_f32_e32 v152, v7, v172
	v_add_f32_e32 v136, v136, v137
	v_mul_f32_e32 v146, v3, v146
	s_waitcnt vmcnt(18)
	v_mul_f32_e32 v154, v4, v162
	v_fmac_f32_e32 v153, v3, v159
	v_add_f32_e32 v138, v152, v138
	v_add_f32_e32 v136, v136, v145
	v_mul_f32_e32 v152, v5, v162
	v_fma_f32 v2, v2, v159, -v146
	s_waitcnt vmcnt(17) lgkmcnt(2)
	v_mul_f32_e32 v151, v116, v128
	v_add_f32_e32 v138, v138, v141
	v_add_f32_e32 v129, v136, v129
	v_mul_f32_e32 v128, v117, v128
	v_fma_f32 v4, v4, v158, -v152
	v_fmac_f32_e32 v154, v5, v158
	v_add_f32_e32 v138, v138, v150
	v_add_f32_e32 v5, v129, v153
	s_waitcnt vmcnt(16)
	v_mul_f32_e32 v129, v119, v139
	v_fmac_f32_e32 v151, v117, v8
	v_fma_f32 v8, v116, v8, -v128
	v_add_f32_e32 v138, v138, v149
	v_mul_f32_e32 v141, v118, v139
	ds_read_b128 v[112:115], v1 offset:800
	ds_read_b64 v[6:7], v1 offset:816
	s_waitcnt vmcnt(5)
	v_fma_f32 v116, v118, v165, -v129
	s_waitcnt lgkmcnt(3)
	v_mul_f32_e32 v155, v120, v147
	v_add_f32_e32 v2, v138, v2
	v_fmac_f32_e32 v141, v119, v165
	v_mul_f32_e32 v137, v122, v163
	s_waitcnt lgkmcnt(2)
	v_mul_f32_e32 v150, v124, v164
	v_fmac_f32_e32 v155, v121, v143
	v_add_f32_e32 v2, v2, v4
	v_add_f32_e32 v4, v5, v154
	v_mul_f32_e32 v5, v121, v147
	v_fmac_f32_e32 v137, v123, v132
	v_mul_f32_e32 v3, v126, v142
	v_add_f32_e32 v2, v2, v8
	v_add_f32_e32 v4, v4, v151
	v_mul_f32_e32 v8, v123, v163
	v_fma_f32 v5, v120, v143, -v5
	v_fmac_f32_e32 v150, v125, v131
	v_add_f32_e32 v2, v2, v116
	v_add_f32_e32 v4, v4, v141
	v_mul_f32_e32 v116, v125, v164
	v_fma_f32 v8, v122, v132, -v8
	s_waitcnt lgkmcnt(1)
	v_mul_f32_e32 v145, v112, v148
	v_add_f32_e32 v2, v2, v5
	v_add_f32_e32 v4, v4, v155
	v_mul_f32_e32 v5, v127, v142
	v_fma_f32 v116, v124, v131, -v116
	s_waitcnt vmcnt(1)
	v_fmac_f32_e32 v3, v127, v166
	v_add_f32_e32 v2, v2, v8
	v_add_f32_e32 v4, v4, v137
	v_mul_f32_e32 v8, v113, v148
	v_fma_f32 v5, v126, v166, -v5
	v_mul_f32_e32 v146, v114, v130
	v_add_f32_e32 v2, v2, v116
	v_add_f32_e32 v4, v4, v150
	v_mul_f32_e32 v116, v115, v130
	v_fma_f32 v8, v112, v144, -v8
	v_fmac_f32_e32 v145, v113, v144
	v_add_f32_e32 v2, v2, v5
	v_add_f32_e32 v3, v4, v3
	s_waitcnt lgkmcnt(0)
	v_mul_f32_e32 v4, v7, v140
	v_fma_f32 v5, v114, v135, -v116
	v_mul_f32_e32 v136, v6, v140
	v_add_f32_e32 v2, v2, v8
	v_fmac_f32_e32 v146, v115, v135
	v_add_f32_e32 v3, v3, v145
	v_fma_f32 v4, v6, v133, -v4
	v_fmac_f32_e32 v136, v7, v133
	v_add_f32_e32 v2, v2, v5
	v_add_f32_e32 v3, v3, v146
	;; [unrolled: 1-line block ×4, first 2 shown]
	s_waitcnt vmcnt(0)
	v_sub_f32_e32 v2, v134, v2
	v_sub_f32_e32 v3, v160, v3
	buffer_store_dword v2, off, s[0:3], 0 offset:56
	buffer_store_dword v3, off, s[0:3], 0 offset:60
	v_cmpx_lt_u32_e32 6, v0
	s_cbranch_execz .LBB50_307
; %bb.306:
	s_clause 0x1
	buffer_load_dword v2, off, s[0:3], 0 offset:48
	buffer_load_dword v3, off, s[0:3], 0 offset:52
	buffer_store_dword v1, off, s[0:3], 0 offset:48
	buffer_store_dword v1, off, s[0:3], 0 offset:52
	s_waitcnt vmcnt(0)
	ds_write_b64 v111, v[2:3]
.LBB50_307:
	s_or_b32 exec_lo, exec_lo, s4
	s_waitcnt lgkmcnt(0)
	s_waitcnt_vscnt null, 0x0
	s_barrier
	buffer_gl0_inv
	s_clause 0x2c
	buffer_load_dword v150, off, s[0:3], 0 offset:60
	buffer_load_dword v151, off, s[0:3], 0 offset:68
	;; [unrolled: 1-line block ×45, first 2 shown]
	ds_read2_b64 v[142:145], v1 offset0:59 offset1:60
	ds_read2_b64 v[146:149], v1 offset0:61 offset1:62
	buffer_load_dword v160, off, s[0:3], 0 offset:52
	s_mov_b32 s4, exec_lo
	s_waitcnt vmcnt(45) lgkmcnt(1)
	v_mul_f32_e32 v158, v143, v150
	v_mul_f32_e32 v150, v142, v150
	s_waitcnt vmcnt(44)
	v_mul_f32_e32 v159, v144, v151
	v_mul_f32_e32 v151, v145, v151
	s_waitcnt vmcnt(41)
	v_fma_f32 v158, v142, v140, -v158
	v_fmac_f32_e32 v150, v143, v140
	v_fmac_f32_e32 v159, v145, v136
	v_fma_f32 v151, v144, v136, -v151
	ds_read2_b64 v[142:145], v1 offset0:63 offset1:64
	s_waitcnt vmcnt(40) lgkmcnt(1)
	v_mul_f32_e32 v161, v146, v135
	v_mul_f32_e32 v135, v147, v135
	s_waitcnt vmcnt(39)
	v_mul_f32_e32 v162, v148, v133
	v_mul_f32_e32 v133, v149, v133
	v_fmac_f32_e32 v161, v147, v122
	v_fma_f32 v122, v146, v122, -v135
	s_waitcnt vmcnt(35)
	v_fmac_f32_e32 v162, v149, v141
	v_fma_f32 v163, v148, v141, -v133
	ds_read2_b64 v[146:149], v1 offset0:65 offset1:66
	s_waitcnt vmcnt(34) lgkmcnt(1)
	v_mul_f32_e32 v164, v142, v139
	v_mul_f32_e32 v133, v143, v139
	s_waitcnt vmcnt(33)
	v_mul_f32_e32 v165, v144, v138
	v_mul_f32_e32 v135, v145, v138
	ds_read2_b64 v[138:141], v1 offset0:67 offset1:68
	v_fmac_f32_e32 v164, v143, v130
	v_fma_f32 v130, v142, v130, -v133
	v_fmac_f32_e32 v165, v145, v125
	v_fma_f32 v166, v144, v125, -v135
	ds_read2_b64 v[142:145], v1 offset0:69 offset1:70
	s_waitcnt vmcnt(32) lgkmcnt(2)
	v_mul_f32_e32 v167, v146, v129
	v_mul_f32_e32 v125, v147, v129
	s_waitcnt vmcnt(31)
	v_mul_f32_e32 v129, v148, v127
	v_mul_f32_e32 v127, v149, v127
	v_fmac_f32_e32 v167, v147, v112
	v_fma_f32 v146, v146, v112, -v125
	s_waitcnt vmcnt(27)
	v_fmac_f32_e32 v129, v149, v137
	v_fma_f32 v147, v148, v137, -v127
	s_waitcnt vmcnt(26) lgkmcnt(1)
	v_mul_f32_e32 v148, v138, v134
	v_mul_f32_e32 v112, v139, v134
	s_waitcnt vmcnt(25)
	v_mul_f32_e32 v149, v140, v132
	v_mul_f32_e32 v125, v141, v132
	ds_read2_b64 v[132:135], v1 offset0:71 offset1:72
	v_fmac_f32_e32 v148, v139, v123
	v_fma_f32 v123, v138, v123, -v112
	ds_read2_b64 v[136:139], v1 offset0:73 offset1:74
	v_fmac_f32_e32 v149, v141, v117
	v_fma_f32 v140, v140, v117, -v125
	s_waitcnt vmcnt(24) lgkmcnt(2)
	v_mul_f32_e32 v141, v142, v121
	v_mul_f32_e32 v112, v143, v121
	s_waitcnt vmcnt(23)
	v_mul_f32_e32 v121, v144, v119
	v_mul_f32_e32 v117, v145, v119
	v_fmac_f32_e32 v141, v143, v4
	v_fma_f32 v142, v142, v4, -v112
	s_waitcnt vmcnt(19)
	v_fmac_f32_e32 v121, v145, v131
	v_fma_f32 v131, v144, v131, -v117
	s_waitcnt vmcnt(18) lgkmcnt(1)
	v_mul_f32_e32 v143, v132, v128
	v_mul_f32_e32 v4, v133, v128
	s_waitcnt vmcnt(17)
	v_mul_f32_e32 v144, v134, v126
	v_mul_f32_e32 v112, v135, v126
	ds_read2_b64 v[125:128], v1 offset0:75 offset1:76
	v_fmac_f32_e32 v143, v133, v116
	v_fma_f32 v132, v132, v116, -v4
	v_fmac_f32_e32 v144, v135, v113
	v_fma_f32 v133, v134, v113, -v112
	s_waitcnt vmcnt(15) lgkmcnt(1)
	v_mul_f32_e32 v135, v138, v114
	v_mul_f32_e32 v112, v139, v114
	;; [unrolled: 1-line block ×4, first 2 shown]
	s_waitcnt vmcnt(11)
	v_fmac_f32_e32 v135, v139, v124
	v_fma_f32 v124, v138, v124, -v112
	ds_read2_b64 v[112:115], v1 offset0:77 offset1:78
	v_fmac_f32_e32 v134, v137, v3
	v_fma_f32 v136, v136, v3, -v4
	s_waitcnt vmcnt(10) lgkmcnt(1)
	v_mul_f32_e32 v137, v125, v120
	v_mul_f32_e32 v3, v126, v120
	s_waitcnt vmcnt(9)
	v_mul_f32_e32 v120, v127, v118
	v_mul_f32_e32 v4, v128, v118
	ds_read2_b64 v[116:119], v1 offset0:79 offset1:80
	v_fmac_f32_e32 v137, v126, v8
	v_fma_f32 v8, v125, v8, -v3
	v_fmac_f32_e32 v120, v128, v5
	v_fma_f32 v125, v127, v5, -v4
	s_waitcnt vmcnt(8) lgkmcnt(1)
	v_mul_f32_e32 v126, v112, v7
	v_mul_f32_e32 v3, v113, v7
	s_waitcnt vmcnt(7)
	v_mul_f32_e32 v7, v114, v6
	v_mul_f32_e32 v4, v115, v6
	buffer_load_dword v6, off, s[0:3], 0 offset:236
	v_fmac_f32_e32 v126, v113, v2
	v_fma_f32 v127, v112, v2, -v3
	s_waitcnt vmcnt(4)
	v_fmac_f32_e32 v7, v115, v155
	v_fma_f32 v128, v114, v155, -v4
	buffer_load_dword v114, off, s[0:3], 0 offset:244
	ds_read2_b64 v[2:5], v1 offset0:81 offset1:82
	s_waitcnt vmcnt(4) lgkmcnt(1)
	v_mul_f32_e32 v138, v116, v156
	v_mul_f32_e32 v112, v117, v156
	s_waitcnt vmcnt(3)
	v_mul_f32_e32 v139, v118, v157
	v_mul_f32_e32 v113, v119, v157
	v_fmac_f32_e32 v138, v117, v154
	v_fma_f32 v116, v116, v154, -v112
	v_fmac_f32_e32 v139, v119, v153
	v_fma_f32 v117, v118, v153, -v113
	s_clause 0x4
	buffer_load_dword v118, off, s[0:3], 0 offset:264
	buffer_load_dword v119, off, s[0:3], 0 offset:256
	;; [unrolled: 1-line block ×5, first 2 shown]
	s_waitcnt vmcnt(6) lgkmcnt(0)
	v_mul_f32_e32 v154, v2, v6
	v_mul_f32_e32 v6, v3, v6
	v_fmac_f32_e32 v154, v3, v152
	v_fma_f32 v6, v2, v152, -v6
	s_waitcnt vmcnt(5)
	v_mul_f32_e32 v152, v4, v114
	v_mul_f32_e32 v2, v5, v114
	s_waitcnt vmcnt(1)
	v_fmac_f32_e32 v152, v5, v112
	v_fma_f32 v155, v4, v112, -v2
	ds_read2_b64 v[2:5], v1 offset0:83 offset1:84
	ds_read2_b64 v[112:115], v1 offset0:85 offset1:86
	s_waitcnt vmcnt(0) lgkmcnt(1)
	v_mul_f32_e32 v156, v2, v153
	v_mul_f32_e32 v153, v3, v153
	v_fmac_f32_e32 v156, v3, v145
	v_fma_f32 v145, v2, v145, -v153
	s_clause 0x1
	buffer_load_dword v2, off, s[0:3], 0 offset:260
	buffer_load_dword v3, off, s[0:3], 0 offset:268
	s_waitcnt vmcnt(1)
	v_mul_f32_e32 v153, v4, v2
	v_mul_f32_e32 v2, v5, v2
	v_fmac_f32_e32 v153, v5, v119
	v_fma_f32 v157, v4, v119, -v2
	v_add_f32_e32 v2, 0, v158
	buffer_load_dword v5, off, s[0:3], 0 offset:276
	v_add_f32_e32 v4, 0, v150
	v_add_f32_e32 v2, v2, v151
	;; [unrolled: 1-line block ×4, first 2 shown]
	s_clause 0x3
	buffer_load_dword v122, off, s[0:3], 0 offset:296
	buffer_load_dword v119, off, s[0:3], 0 offset:288
	buffer_load_dword v150, off, s[0:3], 0 offset:280
	buffer_load_dword v151, off, s[0:3], 0 offset:272
	v_add_f32_e32 v4, v4, v161
	s_clause 0x1
	buffer_load_dword v158, off, s[0:3], 0 offset:292
	buffer_load_dword v159, off, s[0:3], 0 offset:300
	v_add_f32_e32 v2, v2, v163
	s_waitcnt vmcnt(7) lgkmcnt(0)
	v_mul_f32_e32 v161, v112, v3
	v_add_f32_e32 v4, v4, v162
	v_mul_f32_e32 v3, v113, v3
	v_add_f32_e32 v2, v2, v130
	buffer_load_dword v130, off, s[0:3], 0 offset:284
	v_add_f32_e32 v4, v4, v164
	v_fma_f32 v162, v112, v118, -v3
	v_fmac_f32_e32 v161, v113, v118
	v_add_f32_e32 v2, v2, v166
	v_add_f32_e32 v4, v4, v165
	;; [unrolled: 1-line block ×3, first 2 shown]
	buffer_load_dword v146, off, s[0:3], 0 offset:308
	v_add_f32_e32 v4, v4, v167
	v_add_f32_e32 v2, v2, v147
	;; [unrolled: 1-line block ×3, first 2 shown]
	s_clause 0x5
	buffer_load_dword v147, off, s[0:3], 0 offset:328
	buffer_load_dword v163, off, s[0:3], 0 offset:320
	;; [unrolled: 1-line block ×6, first 2 shown]
	v_add_f32_e32 v2, v2, v123
	v_add_f32_e32 v3, v3, v148
	;; [unrolled: 1-line block ×4, first 2 shown]
	s_clause 0x1
	buffer_load_dword v140, off, s[0:3], 0 offset:324
	buffer_load_dword v149, off, s[0:3], 0 offset:332
	v_add_f32_e32 v2, v2, v142
	v_add_f32_e32 v3, v3, v141
	s_clause 0x6
	buffer_load_dword v141, off, s[0:3], 0 offset:348
	buffer_load_dword v142, off, s[0:3], 0 offset:356
	;; [unrolled: 1-line block ×7, first 2 shown]
	v_add_f32_e32 v2, v2, v131
	v_add_f32_e32 v3, v3, v121
	;; [unrolled: 1-line block ×4, first 2 shown]
	buffer_load_dword v132, off, s[0:3], 0 offset:404
	v_add_f32_e32 v2, v2, v133
	v_add_f32_e32 v3, v3, v144
	s_clause 0x3
	buffer_load_dword v133, off, s[0:3], 0 offset:360
	buffer_load_dword v143, off, s[0:3], 0 offset:352
	;; [unrolled: 1-line block ×4, first 2 shown]
	v_add_f32_e32 v2, v2, v136
	v_add_f32_e32 v3, v3, v134
	;; [unrolled: 1-line block ×4, first 2 shown]
	s_clause 0x3
	buffer_load_dword v134, off, s[0:3], 0 offset:392
	buffer_load_dword v135, off, s[0:3], 0 offset:384
	;; [unrolled: 1-line block ×4, first 2 shown]
	v_add_f32_e32 v2, v2, v8
	buffer_load_dword v8, off, s[0:3], 0 offset:400
	v_add_f32_e32 v3, v3, v137
	buffer_load_dword v137, off, s[0:3], 0 offset:48
	v_add_f32_e32 v2, v2, v125
	v_add_f32_e32 v3, v3, v120
	;; [unrolled: 1-line block ×20, first 2 shown]
	s_waitcnt vmcnt(34)
	v_mul_f32_e32 v148, v114, v5
	v_mul_f32_e32 v4, v115, v5
	s_waitcnt vmcnt(30)
	v_fmac_f32_e32 v148, v115, v151
	v_fma_f32 v151, v114, v151, -v4
	ds_read2_b64 v[2:5], v1 offset0:87 offset1:88
	ds_read2_b64 v[112:115], v1 offset0:89 offset1:90
	v_add_f32_e32 v7, v7, v148
	v_add_f32_e32 v6, v6, v151
	s_waitcnt vmcnt(27) lgkmcnt(1)
	v_mul_f32_e32 v138, v2, v130
	v_mul_f32_e32 v117, v3, v130
	;; [unrolled: 1-line block ×4, first 2 shown]
	s_waitcnt lgkmcnt(0)
	v_mul_f32_e32 v154, v112, v159
	v_fmac_f32_e32 v138, v3, v150
	v_fma_f32 v128, v2, v150, -v117
	v_fmac_f32_e32 v139, v5, v119
	v_fma_f32 v150, v4, v119, -v118
	ds_read2_b64 v[2:5], v1 offset0:91 offset1:92
	ds_read2_b64 v[116:119], v1 offset0:93 offset1:94
	v_mul_f32_e32 v120, v113, v159
	s_waitcnt vmcnt(26)
	v_mul_f32_e32 v145, v114, v146
	v_mul_f32_e32 v121, v115, v146
	v_fmac_f32_e32 v154, v113, v122
	v_fma_f32 v146, v112, v122, -v120
	s_waitcnt vmcnt(22)
	v_fmac_f32_e32 v145, v115, v164
	v_fma_f32 v152, v114, v164, -v121
	ds_read2_b64 v[112:115], v1 offset0:95 offset1:96
	ds_read2_b64 v[120:123], v1 offset0:97 offset1:98
	;; [unrolled: 1-line block ×3, first 2 shown]
	s_waitcnt vmcnt(21) lgkmcnt(4)
	v_mul_f32_e32 v153, v2, v165
	v_mul_f32_e32 v130, v3, v165
	v_fmac_f32_e32 v153, v3, v129
	v_add_f32_e32 v3, v6, v128
	v_fma_f32 v2, v2, v129, -v130
	ds_read2_b64 v[128:131], v1 offset0:101 offset1:102
	v_add_f32_e32 v1, v7, v138
	s_waitcnt vmcnt(19)
	v_mul_f32_e32 v7, v5, v140
	v_add_f32_e32 v3, v3, v150
	v_mul_f32_e32 v6, v4, v140
	s_waitcnt vmcnt(18) lgkmcnt(4)
	v_mul_f32_e32 v140, v117, v149
	v_add_f32_e32 v1, v1, v139
	v_fma_f32 v4, v4, v163, -v7
	v_add_f32_e32 v3, v3, v146
	v_mul_f32_e32 v138, v116, v149
	v_fmac_f32_e32 v6, v5, v163
	v_add_f32_e32 v1, v1, v154
	v_fma_f32 v116, v116, v147, -v140
	v_add_f32_e32 v3, v3, v152
	v_mul_f32_e32 v139, v118, v166
	v_fmac_f32_e32 v138, v117, v147
	v_add_f32_e32 v1, v1, v145
	v_mul_f32_e32 v145, v119, v166
	v_add_f32_e32 v2, v3, v2
	s_waitcnt vmcnt(17) lgkmcnt(3)
	v_mul_f32_e32 v5, v112, v141
	s_waitcnt vmcnt(6)
	v_fmac_f32_e32 v139, v119, v172
	v_add_f32_e32 v1, v1, v153
	v_mul_f32_e32 v7, v114, v142
	v_add_f32_e32 v2, v2, v4
	v_mul_f32_e32 v4, v113, v141
	v_fmac_f32_e32 v5, v113, v144
	v_add_f32_e32 v1, v1, v6
	v_fma_f32 v6, v118, v172, -v145
	v_add_f32_e32 v2, v2, v116
	v_mul_f32_e32 v116, v115, v142
	v_fma_f32 v4, v112, v144, -v4
	v_add_f32_e32 v1, v1, v138
	s_waitcnt lgkmcnt(2)
	v_mul_f32_e32 v146, v120, v167
	v_add_f32_e32 v2, v2, v6
	v_mul_f32_e32 v6, v121, v167
	v_fma_f32 v112, v114, v143, -v116
	v_add_f32_e32 v1, v1, v139
	v_fmac_f32_e32 v7, v115, v143
	v_add_f32_e32 v2, v2, v4
	v_mul_f32_e32 v4, v123, v168
	v_mul_f32_e32 v148, v122, v168
	v_add_f32_e32 v1, v1, v5
	v_fma_f32 v5, v120, v133, -v6
	v_add_f32_e32 v2, v2, v112
	v_fmac_f32_e32 v146, v121, v133
	s_waitcnt lgkmcnt(1)
	v_mul_f32_e32 v6, v125, v169
	v_add_f32_e32 v1, v1, v7
	s_waitcnt vmcnt(2)
	v_fma_f32 v4, v122, v173, -v4
	v_add_f32_e32 v2, v2, v5
	v_mul_f32_e32 v149, v124, v169
	v_fmac_f32_e32 v148, v123, v173
	v_add_f32_e32 v1, v1, v146
	v_mul_f32_e32 v5, v127, v170
	v_fma_f32 v6, v124, v136, -v6
	v_add_f32_e32 v2, v2, v4
	v_mul_f32_e32 v150, v126, v170
	v_fmac_f32_e32 v149, v125, v136
	v_add_f32_e32 v1, v1, v148
	s_waitcnt lgkmcnt(0)
	v_mul_f32_e32 v4, v129, v171
	v_fma_f32 v5, v126, v135, -v5
	v_add_f32_e32 v2, v2, v6
	v_mul_f32_e32 v151, v128, v171
	v_fmac_f32_e32 v150, v127, v135
	v_add_f32_e32 v1, v1, v149
	v_mul_f32_e32 v6, v131, v132
	v_fma_f32 v4, v128, v134, -v4
	v_add_f32_e32 v2, v2, v5
	v_mul_f32_e32 v3, v130, v132
	v_fmac_f32_e32 v151, v129, v134
	v_add_f32_e32 v1, v1, v150
	s_waitcnt vmcnt(1)
	v_fma_f32 v5, v130, v8, -v6
	v_add_f32_e32 v2, v2, v4
	v_fmac_f32_e32 v3, v131, v8
	v_add_f32_e32 v1, v1, v151
	v_add_f32_e32 v2, v2, v5
	;; [unrolled: 1-line block ×3, first 2 shown]
	s_waitcnt vmcnt(0)
	v_sub_f32_e32 v2, v137, v2
	v_sub_f32_e32 v1, v160, v1
	buffer_store_dword v2, off, s[0:3], 0 offset:48
	buffer_store_dword v1, off, s[0:3], 0 offset:52
	v_cmpx_lt_u32_e32 5, v0
	s_cbranch_execz .LBB50_309
; %bb.308:
	s_clause 0x1
	buffer_load_dword v1, off, s[0:3], 0 offset:40
	buffer_load_dword v2, off, s[0:3], 0 offset:44
	v_mov_b32_e32 v3, 0
	buffer_store_dword v3, off, s[0:3], 0 offset:40
	buffer_store_dword v3, off, s[0:3], 0 offset:44
	s_waitcnt vmcnt(0)
	ds_write_b64 v111, v[1:2]
.LBB50_309:
	s_or_b32 exec_lo, exec_lo, s4
	s_waitcnt lgkmcnt(0)
	s_waitcnt_vscnt null, 0x0
	s_barrier
	buffer_gl0_inv
	s_clause 0x2c
	buffer_load_dword v150, off, s[0:3], 0 offset:52
	buffer_load_dword v151, off, s[0:3], 0 offset:60
	;; [unrolled: 1-line block ×45, first 2 shown]
	v_mov_b32_e32 v1, 0
	ds_read_b128 v[142:145], v1 offset:464
	ds_read_b128 v[146:149], v1 offset:480
	buffer_load_dword v160, off, s[0:3], 0 offset:44
	s_mov_b32 s4, exec_lo
	s_waitcnt vmcnt(45) lgkmcnt(1)
	v_mul_f32_e32 v158, v143, v150
	v_mul_f32_e32 v150, v142, v150
	s_waitcnt vmcnt(44)
	v_mul_f32_e32 v159, v144, v151
	v_mul_f32_e32 v151, v145, v151
	s_waitcnt vmcnt(41)
	v_fma_f32 v158, v142, v139, -v158
	v_fmac_f32_e32 v150, v143, v139
	v_fmac_f32_e32 v159, v145, v135
	v_fma_f32 v151, v144, v135, -v151
	ds_read_b128 v[142:145], v1 offset:496
	s_waitcnt vmcnt(40) lgkmcnt(1)
	v_mul_f32_e32 v161, v146, v134
	v_mul_f32_e32 v134, v147, v134
	s_waitcnt vmcnt(39)
	v_mul_f32_e32 v162, v148, v132
	v_mul_f32_e32 v132, v149, v132
	v_fmac_f32_e32 v161, v147, v121
	v_fma_f32 v121, v146, v121, -v134
	s_waitcnt vmcnt(35)
	v_fmac_f32_e32 v162, v149, v140
	v_fma_f32 v163, v148, v140, -v132
	ds_read_b128 v[146:149], v1 offset:512
	s_waitcnt vmcnt(34) lgkmcnt(1)
	v_mul_f32_e32 v164, v142, v138
	v_mul_f32_e32 v132, v143, v138
	s_waitcnt vmcnt(33)
	v_mul_f32_e32 v165, v144, v137
	v_mul_f32_e32 v134, v145, v137
	ds_read_b128 v[137:140], v1 offset:528
	v_fmac_f32_e32 v164, v143, v129
	v_fma_f32 v129, v142, v129, -v132
	v_fmac_f32_e32 v165, v145, v124
	v_fma_f32 v166, v144, v124, -v134
	ds_read_b128 v[142:145], v1 offset:544
	s_waitcnt vmcnt(32) lgkmcnt(2)
	v_mul_f32_e32 v167, v146, v128
	v_mul_f32_e32 v124, v147, v128
	s_waitcnt vmcnt(31)
	v_mul_f32_e32 v128, v148, v126
	v_mul_f32_e32 v126, v149, v126
	v_fmac_f32_e32 v167, v147, v8
	v_fma_f32 v8, v146, v8, -v124
	s_waitcnt vmcnt(27)
	v_fmac_f32_e32 v128, v149, v136
	v_fma_f32 v146, v148, v136, -v126
	buffer_load_dword v149, off, s[0:3], 0 offset:236
	s_waitcnt vmcnt(27) lgkmcnt(1)
	v_mul_f32_e32 v147, v137, v133
	v_mul_f32_e32 v124, v138, v133
	s_waitcnt vmcnt(26)
	v_mul_f32_e32 v148, v139, v131
	v_mul_f32_e32 v126, v140, v131
	ds_read_b128 v[131:134], v1 offset:560
	v_fmac_f32_e32 v147, v138, v122
	v_fma_f32 v122, v137, v122, -v124
	v_fmac_f32_e32 v148, v140, v116
	v_fma_f32 v139, v139, v116, -v126
	s_waitcnt vmcnt(25) lgkmcnt(1)
	v_mul_f32_e32 v140, v142, v120
	v_mul_f32_e32 v116, v143, v120
	s_waitcnt vmcnt(24)
	v_mul_f32_e32 v120, v144, v118
	v_mul_f32_e32 v118, v145, v118
	ds_read_b128 v[135:138], v1 offset:576
	v_fmac_f32_e32 v140, v143, v4
	v_fma_f32 v142, v142, v4, -v116
	s_waitcnt vmcnt(20)
	v_fmac_f32_e32 v120, v145, v130
	v_fma_f32 v130, v144, v130, -v118
	s_waitcnt vmcnt(19) lgkmcnt(1)
	v_mul_f32_e32 v143, v131, v127
	v_mul_f32_e32 v4, v132, v127
	s_waitcnt vmcnt(18)
	v_mul_f32_e32 v144, v133, v125
	v_mul_f32_e32 v116, v134, v125
	ds_read_b128 v[124:127], v1 offset:592
	v_fmac_f32_e32 v143, v132, v115
	v_fma_f32 v131, v131, v115, -v4
	v_fmac_f32_e32 v144, v134, v112
	v_fma_f32 v132, v133, v112, -v116
	s_waitcnt vmcnt(17) lgkmcnt(1)
	v_mul_f32_e32 v133, v135, v114
	s_waitcnt vmcnt(16)
	v_mul_f32_e32 v134, v137, v113
	v_mul_f32_e32 v112, v138, v113
	;; [unrolled: 1-line block ×3, first 2 shown]
	v_fmac_f32_e32 v133, v136, v3
	s_waitcnt vmcnt(12)
	v_fmac_f32_e32 v134, v138, v123
	v_fma_f32 v123, v137, v123, -v112
	ds_read_b128 v[112:115], v1 offset:608
	v_fma_f32 v135, v135, v3, -v4
	s_waitcnt vmcnt(11) lgkmcnt(1)
	v_mul_f32_e32 v136, v124, v119
	v_mul_f32_e32 v3, v125, v119
	s_waitcnt vmcnt(10)
	v_mul_f32_e32 v137, v126, v117
	v_mul_f32_e32 v4, v127, v117
	ds_read_b128 v[116:119], v1 offset:624
	v_fmac_f32_e32 v136, v125, v7
	buffer_load_dword v125, off, s[0:3], 0 offset:228
	v_fma_f32 v7, v124, v7, -v3
	v_fma_f32 v124, v126, v5, -v4
	v_fmac_f32_e32 v137, v127, v5
	s_waitcnt vmcnt(10) lgkmcnt(1)
	v_mul_f32_e32 v126, v112, v6
	v_mul_f32_e32 v3, v113, v6
	s_waitcnt vmcnt(9)
	v_mul_f32_e32 v4, v115, v141
	v_mul_f32_e32 v6, v114, v141
	v_fmac_f32_e32 v126, v113, v2
	v_fma_f32 v127, v112, v2, -v3
	s_waitcnt vmcnt(5)
	v_fma_f32 v138, v114, v155, -v4
	ds_read_b128 v[2:5], v1 offset:640
	v_fmac_f32_e32 v6, v115, v155
	s_waitcnt vmcnt(4) lgkmcnt(1)
	v_mul_f32_e32 v141, v116, v156
	v_mul_f32_e32 v112, v117, v156
	s_waitcnt vmcnt(3)
	v_mul_f32_e32 v145, v118, v157
	v_mul_f32_e32 v113, v119, v157
	v_fmac_f32_e32 v141, v117, v154
	v_fma_f32 v116, v116, v154, -v112
	v_fmac_f32_e32 v145, v119, v153
	v_fma_f32 v117, v118, v153, -v113
	s_clause 0x5
	buffer_load_dword v118, off, s[0:3], 0 offset:256
	buffer_load_dword v119, off, s[0:3], 0 offset:248
	;; [unrolled: 1-line block ×6, first 2 shown]
	v_add_f32_e32 v112, 0, v158
	v_add_f32_e32 v113, 0, v150
	buffer_load_dword v150, off, s[0:3], 0 offset:260
	v_add_f32_e32 v112, v112, v151
	buffer_load_dword v151, off, s[0:3], 0 offset:268
	v_add_f32_e32 v113, v113, v159
	v_add_f32_e32 v112, v112, v121
	s_clause 0x3
	buffer_load_dword v121, off, s[0:3], 0 offset:288
	buffer_load_dword v157, off, s[0:3], 0 offset:280
	;; [unrolled: 1-line block ×4, first 2 shown]
	v_add_f32_e32 v113, v113, v161
	v_add_f32_e32 v112, v112, v163
	;; [unrolled: 1-line block ×4, first 2 shown]
	buffer_load_dword v129, off, s[0:3], 0 offset:276
	v_add_f32_e32 v113, v113, v164
	v_add_f32_e32 v112, v112, v166
	s_waitcnt vmcnt(13) lgkmcnt(0)
	v_mul_f32_e32 v161, v2, v125
	v_mul_f32_e32 v114, v3, v125
	v_fmac_f32_e32 v161, v3, v152
	v_fma_f32 v125, v2, v152, -v114
	v_add_f32_e32 v2, v113, v165
	v_add_f32_e32 v3, v112, v8
	ds_read_b128 v[112:115], v1 offset:656
	buffer_load_dword v8, off, s[0:3], 0 offset:284
	v_add_f32_e32 v2, v2, v167
	v_add_f32_e32 v3, v3, v146
	v_mul_f32_e32 v146, v4, v149
	v_mul_f32_e32 v149, v5, v149
	v_add_f32_e32 v2, v2, v128
	v_add_f32_e32 v3, v3, v122
	s_clause 0x1
	buffer_load_dword v128, off, s[0:3], 0 offset:292
	buffer_load_dword v122, off, s[0:3], 0 offset:300
	v_add_f32_e32 v147, v2, v147
	v_add_f32_e32 v139, v3, v139
	s_waitcnt vmcnt(12)
	v_fmac_f32_e32 v146, v5, v154
	v_fma_f32 v149, v4, v154, -v149
	ds_read_b128 v[2:5], v1 offset:672
	v_add_f32_e32 v147, v147, v148
	s_waitcnt vmcnt(11) lgkmcnt(1)
	v_mul_f32_e32 v152, v112, v155
	v_mul_f32_e32 v154, v113, v155
	v_add_f32_e32 v139, v139, v142
	s_clause 0x3
	buffer_load_dword v142, off, s[0:3], 0 offset:320
	buffer_load_dword v148, off, s[0:3], 0 offset:312
	;; [unrolled: 1-line block ×4, first 2 shown]
	v_fmac_f32_e32 v152, v113, v153
	v_fma_f32 v153, v112, v153, -v154
	v_add_f32_e32 v112, v147, v140
	v_add_f32_e32 v113, v139, v130
	s_waitcnt vmcnt(14)
	v_mul_f32_e32 v130, v114, v156
	v_mul_f32_e32 v139, v115, v156
	s_clause 0x1
	buffer_load_dword v140, off, s[0:3], 0 offset:308
	buffer_load_dword v147, off, s[0:3], 0 offset:316
	v_add_f32_e32 v112, v112, v120
	v_add_f32_e32 v113, v113, v131
	v_fmac_f32_e32 v130, v115, v119
	v_fma_f32 v120, v114, v119, -v139
	buffer_load_dword v154, off, s[0:3], 0 offset:324
	v_add_f32_e32 v119, v112, v143
	v_add_f32_e32 v132, v113, v132
	s_clause 0x3
	buffer_load_dword v131, off, s[0:3], 0 offset:332
	buffer_load_dword v139, off, s[0:3], 0 offset:340
	;; [unrolled: 1-line block ×4, first 2 shown]
	ds_read_b128 v[112:115], v1 offset:688
	v_add_f32_e32 v119, v119, v144
	s_waitcnt vmcnt(20) lgkmcnt(1)
	v_mul_f32_e32 v144, v2, v150
	v_mul_f32_e32 v150, v3, v150
	v_add_f32_e32 v132, v132, v135
	s_waitcnt vmcnt(19)
	v_mul_f32_e32 v135, v4, v151
	v_add_f32_e32 v119, v119, v133
	v_mul_f32_e32 v133, v5, v151
	v_fmac_f32_e32 v144, v3, v118
	v_fma_f32 v150, v2, v118, -v150
	v_add_f32_e32 v2, v132, v123
	v_add_f32_e32 v3, v119, v134
	s_clause 0x3
	buffer_load_dword v132, off, s[0:3], 0 offset:364
	buffer_load_dword v134, off, s[0:3], 0 offset:372
	buffer_load_dword v151, off, s[0:3], 0 offset:380
	buffer_load_dword v163, off, s[0:3], 0 offset:388
	s_waitcnt vmcnt(19)
	v_fmac_f32_e32 v135, v5, v159
	v_fma_f32 v133, v4, v159, -v133
	buffer_load_dword v159, off, s[0:3], 0 offset:396
	v_add_f32_e32 v3, v3, v136
	s_clause 0x4
	buffer_load_dword v136, off, s[0:3], 0 offset:352
	buffer_load_dword v164, off, s[0:3], 0 offset:344
	;; [unrolled: 1-line block ×5, first 2 shown]
	v_add_f32_e32 v2, v2, v7
	s_waitcnt vmcnt(24) lgkmcnt(0)
	v_mul_f32_e32 v119, v113, v129
	v_add_f32_e32 v7, v3, v137
	v_mul_f32_e32 v137, v112, v129
	v_add_f32_e32 v2, v2, v124
	v_fma_f32 v124, v112, v158, -v119
	v_add_f32_e32 v7, v7, v126
	v_fmac_f32_e32 v137, v113, v158
	v_add_f32_e32 v118, v2, v127
	ds_read_b128 v[2:5], v1 offset:704
	v_add_f32_e32 v6, v7, v6
	v_add_f32_e32 v118, v118, v138
	s_clause 0x3
	buffer_load_dword v129, off, s[0:3], 0 offset:384
	buffer_load_dword v138, off, s[0:3], 0 offset:376
	buffer_load_dword v158, off, s[0:3], 0 offset:368
	buffer_load_dword v168, off, s[0:3], 0 offset:360
	v_add_f32_e32 v6, v6, v141
	s_clause 0x1
	buffer_load_dword v141, off, s[0:3], 0 offset:400
	buffer_load_dword v169, off, s[0:3], 0 offset:392
	v_add_f32_e32 v7, v118, v116
	v_add_f32_e32 v6, v6, v145
	buffer_load_dword v145, off, s[0:3], 0 offset:40
	v_add_f32_e32 v7, v7, v117
	ds_read_b128 v[116:119], v1 offset:736
	v_add_f32_e32 v6, v6, v161
	v_add_f32_e32 v7, v7, v125
	;; [unrolled: 1-line block ×14, first 2 shown]
	s_waitcnt vmcnt(30)
	v_mul_f32_e32 v170, v114, v8
	v_mul_f32_e32 v8, v115, v8
	v_fmac_f32_e32 v170, v115, v157
	v_fma_f32 v8, v114, v157, -v8
	ds_read_b128 v[112:115], v1 offset:720
	s_waitcnt vmcnt(29) lgkmcnt(2)
	v_mul_f32_e32 v123, v3, v128
	v_mul_f32_e32 v146, v2, v128
	s_waitcnt vmcnt(28)
	v_mul_f32_e32 v128, v4, v122
	v_mul_f32_e32 v122, v5, v122
	v_add_f32_e32 v8, v7, v8
	v_fma_f32 v149, v2, v121, -v123
	v_fmac_f32_e32 v146, v3, v121
	v_add_f32_e32 v135, v135, v170
	v_add_f32_e32 v8, v8, v149
	v_add_f32_e32 v135, v135, v146
	s_waitcnt vmcnt(24)
	v_fma_f32 v152, v4, v162, -v122
	v_fmac_f32_e32 v128, v5, v162
	ds_read_b128 v[2:5], v1 offset:752
	ds_read_b128 v[120:123], v1 offset:768
	ds_read_b64 v[6:7], v1 offset:816
	v_add_f32_e32 v8, v8, v152
	v_add_f32_e32 v128, v135, v128
	s_waitcnt vmcnt(23) lgkmcnt(3)
	v_mul_f32_e32 v125, v113, v140
	v_mul_f32_e32 v130, v112, v140
	s_waitcnt vmcnt(22)
	v_mul_f32_e32 v140, v114, v147
	v_mul_f32_e32 v133, v115, v147
	v_fma_f32 v144, v112, v155, -v125
	v_fmac_f32_e32 v130, v113, v155
	v_fmac_f32_e32 v140, v115, v148
	v_fma_f32 v133, v114, v148, -v133
	s_waitcnt vmcnt(21)
	v_mul_f32_e32 v148, v117, v154
	v_add_f32_e32 v8, v8, v144
	v_mul_f32_e32 v137, v116, v154
	v_add_f32_e32 v128, v128, v130
	s_waitcnt vmcnt(20)
	v_mul_f32_e32 v147, v118, v131
	v_mul_f32_e32 v131, v119, v131
	v_fma_f32 v116, v116, v142, -v148
	v_add_f32_e32 v8, v8, v133
	v_fmac_f32_e32 v137, v117, v142
	v_add_f32_e32 v128, v128, v140
	ds_read_b128 v[124:127], v1 offset:784
	ds_read_b128 v[112:115], v1 offset:800
	s_waitcnt vmcnt(19) lgkmcnt(4)
	v_mul_f32_e32 v146, v2, v139
	v_mul_f32_e32 v139, v3, v139
	v_add_f32_e32 v8, v8, v116
	v_add_f32_e32 v116, v128, v137
	s_waitcnt vmcnt(18)
	v_mul_f32_e32 v149, v4, v143
	s_waitcnt vmcnt(9)
	v_fmac_f32_e32 v146, v3, v165
	s_waitcnt vmcnt(8)
	v_fma_f32 v118, v118, v166, -v131
	v_fmac_f32_e32 v147, v119, v166
	v_mul_f32_e32 v119, v5, v143
	v_fma_f32 v2, v2, v165, -v139
	s_waitcnt lgkmcnt(3)
	v_mul_f32_e32 v150, v120, v156
	v_add_f32_e32 v3, v8, v118
	v_add_f32_e32 v8, v116, v147
	v_mul_f32_e32 v116, v121, v156
	v_fma_f32 v4, v4, v164, -v119
	v_fmac_f32_e32 v149, v5, v164
	v_add_f32_e32 v2, v3, v2
	v_add_f32_e32 v3, v8, v146
	v_mul_f32_e32 v5, v123, v132
	v_fma_f32 v8, v120, v136, -v116
	v_mul_f32_e32 v135, v122, v132
	v_add_f32_e32 v2, v2, v4
	v_fmac_f32_e32 v150, v121, v136
	v_add_f32_e32 v3, v3, v149
	s_waitcnt lgkmcnt(1)
	v_mul_f32_e32 v4, v125, v134
	s_waitcnt vmcnt(3)
	v_fma_f32 v5, v122, v168, -v5
	v_add_f32_e32 v2, v2, v8
	v_mul_f32_e32 v144, v124, v134
	v_fmac_f32_e32 v135, v123, v168
	v_add_f32_e32 v3, v3, v150
	v_mul_f32_e32 v8, v127, v151
	v_fma_f32 v4, v124, v158, -v4
	v_add_f32_e32 v2, v2, v5
	v_mul_f32_e32 v117, v126, v151
	v_fmac_f32_e32 v144, v125, v158
	v_add_f32_e32 v3, v3, v135
	s_waitcnt lgkmcnt(0)
	v_mul_f32_e32 v5, v113, v163
	v_fma_f32 v8, v126, v138, -v8
	v_add_f32_e32 v2, v2, v4
	v_mul_f32_e32 v130, v112, v163
	v_fmac_f32_e32 v117, v127, v138
	v_add_f32_e32 v3, v3, v144
	v_mul_f32_e32 v4, v115, v159
	v_fma_f32 v5, v112, v129, -v5
	v_add_f32_e32 v2, v2, v8
	v_mul_f32_e32 v133, v114, v159
	v_fmac_f32_e32 v130, v113, v129
	v_add_f32_e32 v3, v3, v117
	v_mul_f32_e32 v8, v7, v167
	s_waitcnt vmcnt(1)
	v_fma_f32 v4, v114, v169, -v4
	v_add_f32_e32 v2, v2, v5
	v_mul_f32_e32 v140, v6, v167
	v_fmac_f32_e32 v133, v115, v169
	v_add_f32_e32 v3, v3, v130
	v_fma_f32 v5, v6, v141, -v8
	v_add_f32_e32 v2, v2, v4
	v_fmac_f32_e32 v140, v7, v141
	v_add_f32_e32 v3, v3, v133
	v_add_f32_e32 v2, v2, v5
	;; [unrolled: 1-line block ×3, first 2 shown]
	s_waitcnt vmcnt(0)
	v_sub_f32_e32 v2, v145, v2
	v_sub_f32_e32 v3, v160, v3
	buffer_store_dword v2, off, s[0:3], 0 offset:40
	buffer_store_dword v3, off, s[0:3], 0 offset:44
	v_cmpx_lt_u32_e32 4, v0
	s_cbranch_execz .LBB50_311
; %bb.310:
	s_clause 0x1
	buffer_load_dword v2, off, s[0:3], 0 offset:32
	buffer_load_dword v3, off, s[0:3], 0 offset:36
	buffer_store_dword v1, off, s[0:3], 0 offset:32
	buffer_store_dword v1, off, s[0:3], 0 offset:36
	s_waitcnt vmcnt(0)
	ds_write_b64 v111, v[2:3]
.LBB50_311:
	s_or_b32 exec_lo, exec_lo, s4
	s_waitcnt lgkmcnt(0)
	s_waitcnt_vscnt null, 0x0
	s_barrier
	buffer_gl0_inv
	s_clause 0x2c
	buffer_load_dword v142, off, s[0:3], 0 offset:44
	buffer_load_dword v143, off, s[0:3], 0 offset:52
	;; [unrolled: 1-line block ×45, first 2 shown]
	ds_read2_b64 v[148:151], v1 offset0:57 offset1:58
	ds_read2_b64 v[152:155], v1 offset0:59 offset1:60
	buffer_load_dword v160, off, s[0:3], 0 offset:36
	s_mov_b32 s4, exec_lo
	s_waitcnt vmcnt(45) lgkmcnt(1)
	v_mul_f32_e32 v145, v148, v142
	v_mul_f32_e32 v159, v149, v142
	s_waitcnt vmcnt(44)
	v_mul_f32_e32 v142, v150, v143
	v_mul_f32_e32 v143, v151, v143
	s_waitcnt vmcnt(41)
	v_fmac_f32_e32 v145, v149, v113
	v_fma_f32 v159, v148, v113, -v159
	v_fmac_f32_e32 v142, v151, v7
	v_fma_f32 v143, v150, v7, -v143
	ds_read2_b64 v[148:151], v1 offset0:61 offset1:62
	s_waitcnt vmcnt(40) lgkmcnt(1)
	v_mul_f32_e32 v161, v152, v4
	s_waitcnt vmcnt(39)
	v_mul_f32_e32 v162, v154, v5
	v_mul_f32_e32 v4, v153, v4
	;; [unrolled: 1-line block ×3, first 2 shown]
	v_fmac_f32_e32 v161, v153, v2
	s_waitcnt vmcnt(35)
	v_fmac_f32_e32 v162, v155, v116
	v_fma_f32 v163, v152, v2, -v4
	v_fma_f32 v116, v154, v116, -v5
	ds_read2_b64 v[152:155], v1 offset0:63 offset1:64
	s_waitcnt vmcnt(34) lgkmcnt(1)
	v_mul_f32_e32 v164, v148, v115
	s_waitcnt vmcnt(33)
	v_mul_f32_e32 v165, v150, v114
	v_mul_f32_e32 v4, v151, v114
	;; [unrolled: 1-line block ×3, first 2 shown]
	v_fmac_f32_e32 v164, v149, v112
	v_fmac_f32_e32 v165, v151, v6
	v_fma_f32 v149, v150, v6, -v4
	ds_read2_b64 v[4:7], v1 offset0:65 offset1:66
	v_fma_f32 v148, v148, v112, -v2
	s_waitcnt vmcnt(32) lgkmcnt(1)
	v_mul_f32_e32 v150, v152, v8
	v_mul_f32_e32 v2, v153, v8
	s_waitcnt vmcnt(31)
	v_mul_f32_e32 v8, v154, v117
	v_mul_f32_e32 v112, v155, v117
	v_fmac_f32_e32 v150, v153, v3
	v_fma_f32 v117, v152, v3, -v2
	s_waitcnt vmcnt(27)
	v_fmac_f32_e32 v8, v155, v125
	v_fma_f32 v125, v154, v125, -v112
	ds_read2_b64 v[112:115], v1 offset0:67 offset1:68
	buffer_load_dword v155, off, s[0:3], 0 offset:228
	s_waitcnt vmcnt(27) lgkmcnt(1)
	v_mul_f32_e32 v151, v4, v123
	v_mul_f32_e32 v2, v5, v123
	s_waitcnt vmcnt(26)
	v_mul_f32_e32 v3, v7, v122
	v_mul_f32_e32 v123, v6, v122
	v_fmac_f32_e32 v151, v5, v121
	v_fma_f32 v121, v4, v121, -v2
	v_fma_f32 v6, v6, v119, -v3
	ds_read2_b64 v[2:5], v1 offset0:69 offset1:70
	v_fmac_f32_e32 v123, v7, v119
	s_waitcnt vmcnt(25) lgkmcnt(1)
	v_mul_f32_e32 v7, v112, v120
	v_mul_f32_e32 v119, v113, v120
	s_waitcnt vmcnt(24)
	v_mul_f32_e32 v120, v114, v124
	v_mul_f32_e32 v122, v115, v124
	v_fmac_f32_e32 v7, v113, v118
	v_fma_f32 v118, v112, v118, -v119
	s_waitcnt vmcnt(20)
	v_fmac_f32_e32 v120, v115, v133
	v_fma_f32 v119, v114, v133, -v122
	ds_read2_b64 v[112:115], v1 offset0:71 offset1:72
	s_waitcnt vmcnt(19) lgkmcnt(1)
	v_mul_f32_e32 v122, v2, v131
	v_mul_f32_e32 v124, v3, v131
	s_waitcnt vmcnt(18)
	v_mul_f32_e32 v131, v4, v130
	v_mul_f32_e32 v130, v5, v130
	v_fmac_f32_e32 v122, v3, v129
	v_fma_f32 v124, v2, v129, -v124
	v_fmac_f32_e32 v131, v5, v127
	v_fma_f32 v127, v4, v127, -v130
	ds_read2_b64 v[2:5], v1 offset0:73 offset1:74
	s_waitcnt vmcnt(17) lgkmcnt(1)
	v_mul_f32_e32 v129, v112, v128
	v_mul_f32_e32 v128, v113, v128
	s_waitcnt vmcnt(16)
	v_mul_f32_e32 v130, v114, v132
	v_mul_f32_e32 v132, v115, v132
	v_fmac_f32_e32 v129, v113, v126
	v_fma_f32 v126, v112, v126, -v128
	s_waitcnt vmcnt(12)
	v_fmac_f32_e32 v130, v115, v141
	v_fma_f32 v128, v114, v141, -v132
	ds_read2_b64 v[112:115], v1 offset0:75 offset1:76
	buffer_load_dword v141, off, s[0:3], 0 offset:220
	s_waitcnt vmcnt(12) lgkmcnt(1)
	v_mul_f32_e32 v132, v2, v139
	v_mul_f32_e32 v133, v3, v139
	s_waitcnt vmcnt(11)
	v_mul_f32_e32 v139, v4, v138
	v_mul_f32_e32 v138, v5, v138
	v_fmac_f32_e32 v132, v3, v137
	v_fma_f32 v133, v2, v137, -v133
	v_fmac_f32_e32 v139, v5, v135
	v_fma_f32 v135, v4, v135, -v138
	ds_read2_b64 v[2:5], v1 offset0:77 offset1:78
	s_waitcnt vmcnt(10) lgkmcnt(1)
	v_mul_f32_e32 v137, v112, v136
	v_mul_f32_e32 v136, v113, v136
	s_waitcnt vmcnt(9)
	v_mul_f32_e32 v138, v114, v140
	v_mul_f32_e32 v140, v115, v140
	v_fmac_f32_e32 v137, v113, v134
	v_fma_f32 v134, v112, v134, -v136
	s_waitcnt vmcnt(5)
	v_fmac_f32_e32 v138, v115, v156
	v_fma_f32 v136, v114, v156, -v140
	ds_read2_b64 v[112:115], v1 offset0:79 offset1:80
	s_waitcnt vmcnt(4) lgkmcnt(1)
	v_mul_f32_e32 v140, v2, v157
	v_mul_f32_e32 v152, v3, v157
	s_waitcnt vmcnt(3)
	v_mul_f32_e32 v153, v4, v158
	v_mul_f32_e32 v154, v5, v158
	v_fmac_f32_e32 v140, v3, v147
	v_fma_f32 v147, v2, v147, -v152
	v_fmac_f32_e32 v153, v5, v146
	v_fma_f32 v146, v4, v146, -v154
	s_clause 0x5
	buffer_load_dword v152, off, s[0:3], 0 offset:248
	buffer_load_dword v154, off, s[0:3], 0 offset:240
	;; [unrolled: 1-line block ×6, first 2 shown]
	v_add_f32_e32 v2, 0, v145
	v_add_f32_e32 v3, 0, v159
	;; [unrolled: 1-line block ×3, first 2 shown]
	buffer_load_dword v142, off, s[0:3], 0 offset:252
	v_add_f32_e32 v3, v3, v143
	buffer_load_dword v143, off, s[0:3], 0 offset:260
	v_add_f32_e32 v2, v2, v161
	v_add_f32_e32 v3, v3, v163
	;; [unrolled: 1-line block ×4, first 2 shown]
	s_clause 0x4
	buffer_load_dword v145, off, s[0:3], 0 offset:280
	buffer_load_dword v116, off, s[0:3], 0 offset:272
	;; [unrolled: 1-line block ×5, first 2 shown]
	v_add_f32_e32 v2, v2, v164
	v_add_f32_e32 v3, v3, v148
	s_clause 0x1
	buffer_load_dword v148, off, s[0:3], 0 offset:276
	buffer_load_dword v163, off, s[0:3], 0 offset:284
	v_add_f32_e32 v2, v2, v165
	v_add_f32_e32 v3, v3, v149
	;; [unrolled: 1-line block ×10, first 2 shown]
	s_waitcnt vmcnt(16) lgkmcnt(0)
	v_mul_f32_e32 v117, v115, v155
	s_waitcnt vmcnt(15)
	v_mul_f32_e32 v149, v112, v141
	v_mul_f32_e32 v4, v113, v141
	;; [unrolled: 1-line block ×3, first 2 shown]
	v_fmac_f32_e32 v149, v113, v144
	v_fma_f32 v144, v112, v144, -v4
	v_add_f32_e32 v112, v3, v125
	ds_read2_b64 v[2:5], v1 offset0:81 offset1:82
	v_add_f32_e32 v112, v112, v121
	s_clause 0x4
	buffer_load_dword v121, off, s[0:3], 0 offset:292
	buffer_load_dword v150, off, s[0:3], 0 offset:312
	;; [unrolled: 1-line block ×5, first 2 shown]
	v_add_f32_e32 v6, v112, v6
	v_add_f32_e32 v6, v6, v118
	;; [unrolled: 1-line block ×5, first 2 shown]
	s_waitcnt vmcnt(16)
	v_fmac_f32_e32 v141, v115, v157
	v_fma_f32 v117, v114, v157, -v117
	s_clause 0x2
	buffer_load_dword v8, off, s[0:3], 0 offset:300
	buffer_load_dword v157, off, s[0:3], 0 offset:308
	;; [unrolled: 1-line block ×3, first 2 shown]
	ds_read2_b64 v[112:115], v1 offset0:83 offset1:84
	s_waitcnt vmcnt(18) lgkmcnt(1)
	v_mul_f32_e32 v118, v2, v158
	v_mul_f32_e32 v119, v3, v158
	s_waitcnt vmcnt(17)
	v_mul_f32_e32 v120, v4, v166
	v_mul_f32_e32 v122, v5, v166
	v_fmac_f32_e32 v118, v3, v156
	v_add_f32_e32 v3, v7, v131
	v_fma_f32 v7, v2, v156, -v119
	v_fmac_f32_e32 v120, v5, v154
	v_fma_f32 v122, v4, v154, -v122
	v_add_f32_e32 v2, v3, v129
	v_add_f32_e32 v3, v6, v126
	s_clause 0x7
	buffer_load_dword v6, off, s[0:3], 0 offset:324
	buffer_load_dword v154, off, s[0:3], 0 offset:332
	;; [unrolled: 1-line block ×8, first 2 shown]
	v_add_f32_e32 v2, v2, v130
	v_add_f32_e32 v3, v3, v128
	s_waitcnt vmcnt(24) lgkmcnt(0)
	v_mul_f32_e32 v123, v112, v142
	v_mul_f32_e32 v4, v113, v142
	v_add_f32_e32 v2, v2, v132
	s_clause 0x3
	buffer_load_dword v142, off, s[0:3], 0 offset:356
	buffer_load_dword v169, off, s[0:3], 0 offset:364
	;; [unrolled: 1-line block ×4, first 2 shown]
	s_waitcnt vmcnt(27)
	v_mul_f32_e32 v126, v114, v143
	v_fmac_f32_e32 v123, v113, v152
	v_fma_f32 v124, v112, v152, -v4
	v_add_f32_e32 v112, v3, v133
	v_add_f32_e32 v113, v2, v139
	v_mul_f32_e32 v3, v115, v143
	s_clause 0x2
	buffer_load_dword v132, off, s[0:3], 0 offset:388
	buffer_load_dword v152, off, s[0:3], 0 offset:396
	;; [unrolled: 1-line block ×3, first 2 shown]
	v_add_f32_e32 v112, v112, v135
	v_add_f32_e32 v113, v113, v137
	s_waitcnt vmcnt(26)
	v_fma_f32 v127, v114, v161, -v3
	ds_read2_b64 v[2:5], v1 offset0:85 offset1:86
	v_fmac_f32_e32 v126, v115, v161
	v_add_f32_e32 v112, v112, v134
	v_add_f32_e32 v113, v113, v138
	s_clause 0x3
	buffer_load_dword v134, off, s[0:3], 0 offset:376
	buffer_load_dword v135, off, s[0:3], 0 offset:368
	buffer_load_dword v137, off, s[0:3], 0 offset:360
	buffer_load_dword v138, off, s[0:3], 0 offset:352
	v_add_f32_e32 v112, v112, v136
	v_add_f32_e32 v119, v113, v140
	;; [unrolled: 1-line block ×3, first 2 shown]
	ds_read2_b64 v[112:115], v1 offset0:87 offset1:88
	s_clause 0x3
	buffer_load_dword v136, off, s[0:3], 0 offset:400
	buffer_load_dword v139, off, s[0:3], 0 offset:392
	;; [unrolled: 1-line block ×4, first 2 shown]
	v_add_f32_e32 v119, v119, v153
	s_waitcnt vmcnt(33) lgkmcnt(1)
	v_mul_f32_e32 v130, v3, v162
	v_mul_f32_e32 v129, v2, v162
	v_fma_f32 v130, v2, v159, -v130
	v_add_f32_e32 v2, v128, v146
	v_fmac_f32_e32 v129, v3, v159
	v_add_f32_e32 v3, v119, v149
	s_waitcnt vmcnt(32)
	v_mul_f32_e32 v128, v4, v148
	v_mul_f32_e32 v119, v5, v148
	v_add_f32_e32 v2, v2, v144
	v_add_f32_e32 v3, v3, v141
	v_fmac_f32_e32 v128, v5, v116
	v_fma_f32 v131, v4, v116, -v119
	v_add_f32_e32 v117, v2, v117
	s_waitcnt vmcnt(31) lgkmcnt(0)
	v_mul_f32_e32 v144, v113, v163
	v_add_f32_e32 v141, v3, v118
	ds_read2_b64 v[2:5], v1 offset0:89 offset1:90
	v_add_f32_e32 v7, v117, v7
	ds_read2_b64 v[116:119], v1 offset0:91 offset1:92
	v_add_f32_e32 v120, v141, v120
	v_mul_f32_e32 v141, v112, v163
	v_fma_f32 v144, v112, v145, -v144
	v_add_f32_e32 v7, v7, v122
	v_fmac_f32_e32 v141, v113, v145
	v_add_f32_e32 v145, v120, v123
	v_add_f32_e32 v7, v7, v124
	;; [unrolled: 1-line block ×8, first 2 shown]
	s_waitcnt vmcnt(30)
	v_mul_f32_e32 v146, v114, v121
	v_mul_f32_e32 v121, v115, v121
	s_waitcnt vmcnt(26)
	v_fmac_f32_e32 v146, v115, v155
	v_fma_f32 v147, v114, v155, -v121
	ds_read2_b64 v[112:115], v1 offset0:93 offset1:94
	ds_read2_b64 v[120:123], v1 offset0:95 offset1:96
	s_waitcnt vmcnt(25) lgkmcnt(3)
	v_mul_f32_e32 v145, v2, v8
	s_waitcnt vmcnt(24)
	v_mul_f32_e32 v148, v4, v157
	v_mul_f32_e32 v8, v3, v8
	;; [unrolled: 1-line block ×3, first 2 shown]
	s_waitcnt vmcnt(23) lgkmcnt(2)
	v_mul_f32_e32 v149, v116, v164
	v_mul_f32_e32 v129, v117, v164
	v_fmac_f32_e32 v145, v3, v151
	v_fmac_f32_e32 v148, v5, v125
	v_fma_f32 v8, v2, v151, -v8
	v_fma_f32 v151, v4, v125, -v126
	ds_read2_b64 v[2:5], v1 offset0:97 offset1:98
	ds_read2_b64 v[124:127], v1 offset0:99 offset1:100
	v_fmac_f32_e32 v149, v117, v150
	v_fma_f32 v116, v116, v150, -v129
	v_add_f32_e32 v117, v128, v141
	ds_read2_b64 v[128:131], v1 offset0:101 offset1:102
	v_add_f32_e32 v1, v7, v144
	s_waitcnt vmcnt(22)
	v_mul_f32_e32 v7, v118, v6
	v_mul_f32_e32 v6, v119, v6
	v_add_f32_e32 v117, v117, v146
	s_waitcnt vmcnt(21) lgkmcnt(4)
	v_mul_f32_e32 v146, v113, v154
	v_add_f32_e32 v1, v1, v147
	v_mul_f32_e32 v141, v112, v154
	s_waitcnt vmcnt(15)
	v_fma_f32 v6, v118, v168, -v6
	v_fmac_f32_e32 v7, v119, v168
	v_fma_f32 v112, v112, v167, -v146
	v_add_f32_e32 v1, v1, v8
	v_add_f32_e32 v8, v117, v145
	v_mul_f32_e32 v144, v114, v156
	v_fmac_f32_e32 v141, v113, v167
	s_waitcnt lgkmcnt(3)
	v_mul_f32_e32 v118, v120, v158
	v_add_f32_e32 v1, v1, v151
	v_add_f32_e32 v8, v8, v148
	v_mul_f32_e32 v148, v115, v156
	v_fmac_f32_e32 v144, v115, v166
	s_waitcnt vmcnt(14)
	v_mul_f32_e32 v119, v122, v142
	v_add_f32_e32 v1, v1, v116
	v_add_f32_e32 v8, v8, v149
	v_fmac_f32_e32 v118, v121, v165
	s_waitcnt vmcnt(13) lgkmcnt(2)
	v_mul_f32_e32 v117, v2, v169
	s_waitcnt vmcnt(12)
	v_mul_f32_e32 v145, v4, v170
	v_add_f32_e32 v1, v1, v6
	v_add_f32_e32 v6, v8, v7
	v_mul_f32_e32 v7, v121, v158
	v_fma_f32 v8, v114, v166, -v148
	s_waitcnt vmcnt(4)
	v_fmac_f32_e32 v119, v123, v138
	v_add_f32_e32 v1, v1, v112
	v_add_f32_e32 v6, v6, v141
	v_mul_f32_e32 v112, v123, v142
	v_fma_f32 v7, v120, v165, -v7
	v_fmac_f32_e32 v117, v3, v137
	v_add_f32_e32 v1, v1, v8
	v_add_f32_e32 v6, v6, v144
	v_mul_f32_e32 v8, v3, v169
	v_fma_f32 v112, v122, v138, -v112
	s_waitcnt lgkmcnt(1)
	v_mul_f32_e32 v147, v124, v171
	v_add_f32_e32 v1, v1, v7
	v_add_f32_e32 v6, v6, v118
	v_mul_f32_e32 v7, v5, v170
	v_fma_f32 v2, v2, v137, -v8
	v_fmac_f32_e32 v145, v5, v135
	v_add_f32_e32 v1, v1, v112
	v_add_f32_e32 v3, v6, v119
	v_mul_f32_e32 v6, v125, v171
	v_fma_f32 v4, v4, v135, -v7
	v_mul_f32_e32 v150, v126, v132
	v_add_f32_e32 v1, v1, v2
	v_add_f32_e32 v2, v3, v117
	v_mul_f32_e32 v3, v127, v132
	v_fma_f32 v5, v124, v134, -v6
	v_fmac_f32_e32 v147, v125, v134
	v_add_f32_e32 v1, v1, v4
	v_add_f32_e32 v2, v2, v145
	s_waitcnt lgkmcnt(0)
	v_mul_f32_e32 v4, v129, v152
	s_waitcnt vmcnt(1)
	v_fma_f32 v3, v126, v140, -v3
	v_mul_f32_e32 v151, v128, v152
	v_add_f32_e32 v1, v1, v5
	v_fmac_f32_e32 v150, v127, v140
	v_add_f32_e32 v2, v2, v147
	v_mul_f32_e32 v5, v131, v133
	v_fma_f32 v4, v128, v139, -v4
	v_add_f32_e32 v1, v1, v3
	v_mul_f32_e32 v116, v130, v133
	v_fmac_f32_e32 v151, v129, v139
	v_add_f32_e32 v2, v2, v150
	v_fma_f32 v3, v130, v136, -v5
	v_add_f32_e32 v1, v1, v4
	v_fmac_f32_e32 v116, v131, v136
	v_add_f32_e32 v2, v2, v151
	v_add_f32_e32 v1, v1, v3
	;; [unrolled: 1-line block ×3, first 2 shown]
	s_waitcnt vmcnt(0)
	v_sub_f32_e32 v1, v143, v1
	v_sub_f32_e32 v2, v160, v2
	buffer_store_dword v1, off, s[0:3], 0 offset:32
	buffer_store_dword v2, off, s[0:3], 0 offset:36
	v_cmpx_lt_u32_e32 3, v0
	s_cbranch_execz .LBB50_313
; %bb.312:
	s_clause 0x1
	buffer_load_dword v1, off, s[0:3], 0 offset:24
	buffer_load_dword v2, off, s[0:3], 0 offset:28
	v_mov_b32_e32 v3, 0
	buffer_store_dword v3, off, s[0:3], 0 offset:24
	buffer_store_dword v3, off, s[0:3], 0 offset:28
	s_waitcnt vmcnt(0)
	ds_write_b64 v111, v[1:2]
.LBB50_313:
	s_or_b32 exec_lo, exec_lo, s4
	s_waitcnt lgkmcnt(0)
	s_waitcnt_vscnt null, 0x0
	s_barrier
	buffer_gl0_inv
	s_clause 0x2c
	buffer_load_dword v142, off, s[0:3], 0 offset:36
	buffer_load_dword v143, off, s[0:3], 0 offset:44
	;; [unrolled: 1-line block ×45, first 2 shown]
	v_mov_b32_e32 v1, 0
	ds_read_b128 v[151:154], v1 offset:448
	ds_read_b128 v[155:158], v1 offset:464
	buffer_load_dword v160, off, s[0:3], 0 offset:28
	s_mov_b32 s4, exec_lo
	s_waitcnt vmcnt(45) lgkmcnt(1)
	v_mul_f32_e32 v144, v151, v142
	v_mul_f32_e32 v159, v152, v142
	s_waitcnt vmcnt(44)
	v_mul_f32_e32 v142, v153, v143
	v_mul_f32_e32 v143, v154, v143
	s_waitcnt vmcnt(41)
	v_fmac_f32_e32 v144, v152, v113
	v_fma_f32 v159, v151, v113, -v159
	v_fmac_f32_e32 v142, v154, v7
	v_fma_f32 v143, v153, v7, -v143
	ds_read_b128 v[151:154], v1 offset:480
	s_waitcnt vmcnt(40) lgkmcnt(1)
	v_mul_f32_e32 v161, v155, v4
	s_waitcnt vmcnt(39)
	v_mul_f32_e32 v162, v157, v5
	v_mul_f32_e32 v4, v156, v4
	;; [unrolled: 1-line block ×3, first 2 shown]
	v_fmac_f32_e32 v161, v156, v2
	s_waitcnt vmcnt(35)
	v_fmac_f32_e32 v162, v158, v116
	v_fma_f32 v163, v155, v2, -v4
	v_fma_f32 v116, v157, v116, -v5
	ds_read_b128 v[155:158], v1 offset:496
	s_waitcnt vmcnt(34) lgkmcnt(1)
	v_mul_f32_e32 v164, v151, v115
	s_waitcnt vmcnt(33)
	v_mul_f32_e32 v165, v153, v114
	v_mul_f32_e32 v4, v154, v114
	;; [unrolled: 1-line block ×3, first 2 shown]
	v_fmac_f32_e32 v164, v152, v112
	v_fmac_f32_e32 v165, v154, v6
	v_fma_f32 v152, v153, v6, -v4
	ds_read_b128 v[4:7], v1 offset:512
	v_fma_f32 v151, v151, v112, -v2
	s_waitcnt vmcnt(32) lgkmcnt(1)
	v_mul_f32_e32 v153, v155, v8
	v_mul_f32_e32 v2, v156, v8
	s_waitcnt vmcnt(31)
	v_mul_f32_e32 v8, v157, v117
	v_mul_f32_e32 v112, v158, v117
	v_fmac_f32_e32 v153, v156, v3
	v_fma_f32 v117, v155, v3, -v2
	s_waitcnt vmcnt(27)
	v_fmac_f32_e32 v8, v158, v125
	v_fma_f32 v125, v157, v125, -v112
	ds_read_b128 v[112:115], v1 offset:528
	buffer_load_dword v155, off, s[0:3], 0 offset:220
	s_waitcnt vmcnt(27) lgkmcnt(1)
	v_mul_f32_e32 v154, v4, v123
	v_mul_f32_e32 v2, v5, v123
	s_waitcnt vmcnt(26)
	v_mul_f32_e32 v3, v7, v122
	v_mul_f32_e32 v123, v6, v122
	v_fmac_f32_e32 v154, v5, v121
	v_fma_f32 v121, v4, v121, -v2
	v_fma_f32 v6, v6, v119, -v3
	ds_read_b128 v[2:5], v1 offset:544
	v_fmac_f32_e32 v123, v7, v119
	s_waitcnt vmcnt(25) lgkmcnt(1)
	v_mul_f32_e32 v7, v112, v120
	v_mul_f32_e32 v119, v113, v120
	s_waitcnt vmcnt(24)
	v_mul_f32_e32 v120, v114, v124
	v_mul_f32_e32 v122, v115, v124
	v_fmac_f32_e32 v7, v113, v118
	v_fma_f32 v118, v112, v118, -v119
	s_waitcnt vmcnt(20)
	v_fmac_f32_e32 v120, v115, v133
	v_fma_f32 v119, v114, v133, -v122
	ds_read_b128 v[112:115], v1 offset:560
	s_waitcnt vmcnt(19) lgkmcnt(1)
	v_mul_f32_e32 v122, v2, v131
	v_mul_f32_e32 v124, v3, v131
	s_waitcnt vmcnt(18)
	v_mul_f32_e32 v131, v4, v130
	v_mul_f32_e32 v130, v5, v130
	v_fmac_f32_e32 v122, v3, v129
	v_fma_f32 v124, v2, v129, -v124
	v_fmac_f32_e32 v131, v5, v127
	v_fma_f32 v127, v4, v127, -v130
	ds_read_b128 v[2:5], v1 offset:576
	s_waitcnt vmcnt(17) lgkmcnt(1)
	v_mul_f32_e32 v129, v112, v128
	v_mul_f32_e32 v128, v113, v128
	s_waitcnt vmcnt(16)
	v_mul_f32_e32 v130, v114, v132
	v_mul_f32_e32 v132, v115, v132
	v_fmac_f32_e32 v129, v113, v126
	v_fma_f32 v126, v112, v126, -v128
	s_waitcnt vmcnt(12)
	v_fmac_f32_e32 v130, v115, v140
	v_fma_f32 v128, v114, v140, -v132
	ds_read_b128 v[112:115], v1 offset:592
	s_waitcnt vmcnt(11) lgkmcnt(1)
	v_mul_f32_e32 v132, v2, v139
	v_mul_f32_e32 v133, v3, v139
	s_waitcnt vmcnt(10)
	v_mul_f32_e32 v139, v4, v138
	v_mul_f32_e32 v138, v5, v138
	v_fmac_f32_e32 v132, v3, v137
	v_fma_f32 v133, v2, v137, -v133
	v_fmac_f32_e32 v139, v5, v135
	v_fma_f32 v135, v4, v135, -v138
	ds_read_b128 v[2:5], v1 offset:608
	s_waitcnt vmcnt(8) lgkmcnt(1)
	v_mul_f32_e32 v138, v114, v141
	v_mul_f32_e32 v140, v115, v141
	buffer_load_dword v141, off, s[0:3], 0 offset:212
	v_mul_f32_e32 v137, v112, v136
	v_mul_f32_e32 v136, v113, v136
	s_waitcnt vmcnt(5)
	v_fmac_f32_e32 v138, v115, v150
	v_fmac_f32_e32 v137, v113, v134
	v_fma_f32 v134, v112, v134, -v136
	v_fma_f32 v136, v114, v150, -v140
	ds_read_b128 v[112:115], v1 offset:624
	s_waitcnt vmcnt(4) lgkmcnt(1)
	v_mul_f32_e32 v140, v2, v149
	v_mul_f32_e32 v149, v3, v149
	s_waitcnt vmcnt(3)
	v_mul_f32_e32 v150, v4, v148
	v_mul_f32_e32 v148, v5, v148
	v_fmac_f32_e32 v140, v3, v147
	v_fma_f32 v147, v2, v147, -v149
	v_fmac_f32_e32 v150, v5, v146
	v_fma_f32 v146, v4, v146, -v148
	s_clause 0x4
	buffer_load_dword v148, off, s[0:3], 0 offset:240
	buffer_load_dword v149, off, s[0:3], 0 offset:232
	;; [unrolled: 1-line block ×5, first 2 shown]
	s_waitcnt vmcnt(5) lgkmcnt(0)
	v_mul_f32_e32 v158, v112, v141
	v_mul_f32_e32 v3, v113, v141
	v_fmac_f32_e32 v158, v113, v145
	v_fma_f32 v141, v112, v145, -v3
	v_mul_f32_e32 v145, v114, v155
	v_mul_f32_e32 v3, v115, v155
	s_waitcnt vmcnt(1)
	v_fmac_f32_e32 v145, v115, v2
	v_fma_f32 v155, v114, v2, -v3
	ds_read_b128 v[2:5], v1 offset:640
	ds_read_b128 v[112:115], v1 offset:656
	s_waitcnt vmcnt(0) lgkmcnt(1)
	v_mul_f32_e32 v166, v2, v157
	v_mul_f32_e32 v157, v3, v157
	v_fmac_f32_e32 v166, v3, v156
	v_fma_f32 v156, v2, v156, -v157
	buffer_load_dword v2, off, s[0:3], 0 offset:236
	s_waitcnt vmcnt(0)
	v_mul_f32_e32 v157, v4, v2
	v_mul_f32_e32 v2, v5, v2
	v_fmac_f32_e32 v157, v5, v149
	v_fma_f32 v149, v4, v149, -v2
	buffer_load_dword v2, off, s[0:3], 0 offset:244
	s_waitcnt vmcnt(0) lgkmcnt(0)
	v_mul_f32_e32 v167, v112, v2
	v_mul_f32_e32 v2, v113, v2
	v_fmac_f32_e32 v167, v113, v148
	v_fma_f32 v148, v112, v148, -v2
	s_clause 0x5
	buffer_load_dword v2, off, s[0:3], 0 offset:252
	buffer_load_dword v168, off, s[0:3], 0 offset:272
	;; [unrolled: 1-line block ×6, first 2 shown]
	s_waitcnt vmcnt(5)
	v_mul_f32_e32 v171, v114, v2
	v_mul_f32_e32 v2, v115, v2
	s_waitcnt vmcnt(1)
	v_fmac_f32_e32 v171, v115, v3
	v_fma_f32 v172, v114, v3, -v2
	ds_read_b128 v[2:5], v1 offset:672
	ds_read_b128 v[112:115], v1 offset:688
	s_waitcnt vmcnt(0) lgkmcnt(1)
	v_mul_f32_e32 v174, v2, v173
	v_mul_f32_e32 v173, v3, v173
	v_fmac_f32_e32 v174, v3, v170
	v_fma_f32 v170, v2, v170, -v173
	buffer_load_dword v2, off, s[0:3], 0 offset:268
	s_waitcnt vmcnt(0)
	v_mul_f32_e32 v173, v4, v2
	v_mul_f32_e32 v2, v5, v2
	v_fmac_f32_e32 v173, v5, v169
	v_fma_f32 v169, v4, v169, -v2
	buffer_load_dword v2, off, s[0:3], 0 offset:276
	s_waitcnt vmcnt(0) lgkmcnt(0)
	v_mul_f32_e32 v175, v112, v2
	v_mul_f32_e32 v2, v113, v2
	v_fmac_f32_e32 v175, v113, v168
	v_fma_f32 v168, v112, v168, -v2
	s_clause 0x4
	buffer_load_dword v2, off, s[0:3], 0 offset:284
	buffer_load_dword v176, off, s[0:3], 0 offset:304
	;; [unrolled: 1-line block ×5, first 2 shown]
	s_waitcnt vmcnt(4)
	v_mul_f32_e32 v179, v114, v2
	v_mul_f32_e32 v2, v115, v2
	s_waitcnt vmcnt(0)
	v_fmac_f32_e32 v179, v115, v3
	v_fma_f32 v180, v114, v3, -v2
	v_add_f32_e32 v2, 0, v144
	v_add_f32_e32 v3, 0, v159
	;; [unrolled: 1-line block ×8, first 2 shown]
	buffer_load_dword v116, off, s[0:3], 0 offset:292
	v_add_f32_e32 v2, v2, v164
	v_add_f32_e32 v3, v3, v151
	;; [unrolled: 1-line block ×6, first 2 shown]
	buffer_load_dword v117, off, s[0:3], 0 offset:300
	v_add_f32_e32 v2, v2, v8
	v_add_f32_e32 v3, v3, v125
	s_clause 0x1
	buffer_load_dword v8, off, s[0:3], 0 offset:308
	buffer_load_dword v125, off, s[0:3], 0 offset:316
	v_add_f32_e32 v2, v2, v154
	v_add_f32_e32 v3, v3, v121
	;; [unrolled: 1-line block ×4, first 2 shown]
	s_clause 0x6
	buffer_load_dword v142, off, s[0:3], 0 offset:336
	buffer_load_dword v143, off, s[0:3], 0 offset:328
	;; [unrolled: 1-line block ×7, first 2 shown]
	v_add_f32_e32 v2, v2, v7
	v_add_f32_e32 v3, v3, v118
	;; [unrolled: 1-line block ×8, first 2 shown]
	s_clause 0x3
	buffer_load_dword v131, off, s[0:3], 0 offset:348
	buffer_load_dword v154, off, s[0:3], 0 offset:356
	buffer_load_dword v159, off, s[0:3], 0 offset:364
	buffer_load_dword v161, off, s[0:3], 0 offset:372
	v_add_f32_e32 v2, v2, v129
	v_add_f32_e32 v3, v3, v126
	s_clause 0x1
	buffer_load_dword v129, off, s[0:3], 0 offset:380
	buffer_load_dword v162, off, s[0:3], 0 offset:388
	v_add_f32_e32 v2, v2, v130
	v_add_f32_e32 v3, v3, v128
	s_clause 0x1
	buffer_load_dword v130, off, s[0:3], 0 offset:396
	buffer_load_dword v163, off, s[0:3], 0 offset:404
	v_add_f32_e32 v2, v2, v132
	v_add_f32_e32 v3, v3, v133
	;; [unrolled: 1-line block ×3, first 2 shown]
	s_clause 0x3
	buffer_load_dword v128, off, s[0:3], 0 offset:368
	buffer_load_dword v132, off, s[0:3], 0 offset:360
	;; [unrolled: 1-line block ×4, first 2 shown]
	v_add_f32_e32 v3, v3, v135
	v_add_f32_e32 v2, v2, v137
	;; [unrolled: 1-line block ×4, first 2 shown]
	s_clause 0x3
	buffer_load_dword v134, off, s[0:3], 0 offset:400
	buffer_load_dword v135, off, s[0:3], 0 offset:392
	;; [unrolled: 1-line block ×4, first 2 shown]
	v_add_f32_e32 v3, v3, v136
	buffer_load_dword v136, off, s[0:3], 0 offset:24
	v_add_f32_e32 v2, v2, v140
	v_add_f32_e32 v3, v3, v147
	;; [unrolled: 1-line block ×4, first 2 shown]
	ds_read_b128 v[2:5], v1 offset:704
	v_add_f32_e32 v7, v7, v158
	v_add_f32_e32 v112, v112, v141
	;; [unrolled: 1-line block ×6, first 2 shown]
	ds_read_b128 v[112:115], v1 offset:720
	v_add_f32_e32 v7, v7, v157
	v_add_f32_e32 v118, v118, v149
	;; [unrolled: 1-line block ×8, first 2 shown]
	s_waitcnt vmcnt(27) lgkmcnt(1)
	v_mul_f32_e32 v140, v2, v116
	v_mul_f32_e32 v116, v3, v116
	v_fmac_f32_e32 v140, v3, v178
	v_add_f32_e32 v3, v118, v148
	v_fma_f32 v145, v2, v178, -v116
	v_add_f32_e32 v140, v150, v140
	v_add_f32_e32 v124, v3, v172
	s_waitcnt vmcnt(26)
	v_mul_f32_e32 v141, v4, v117
	v_add_f32_e32 v124, v124, v170
	v_mul_f32_e32 v117, v5, v117
	s_waitcnt vmcnt(25) lgkmcnt(0)
	v_mul_f32_e32 v147, v112, v8
	v_mul_f32_e32 v8, v113, v8
	v_add_f32_e32 v124, v124, v169
	v_fmac_f32_e32 v141, v5, v177
	v_fma_f32 v146, v4, v177, -v117
	ds_read_b128 v[2:5], v1 offset:736
	ds_read_b128 v[116:119], v1 offset:752
	v_fma_f32 v8, v112, v176, -v8
	v_add_f32_e32 v112, v124, v168
	s_waitcnt vmcnt(24)
	v_mul_f32_e32 v149, v115, v125
	v_mul_f32_e32 v148, v114, v125
	v_fmac_f32_e32 v147, v113, v176
	v_add_f32_e32 v140, v140, v141
	v_add_f32_e32 v155, v112, v180
	ds_read_b128 v[120:123], v1 offset:768
	ds_read_b128 v[124:127], v1 offset:784
	s_waitcnt vmcnt(20)
	v_fma_f32 v149, v114, v6, -v149
	v_fmac_f32_e32 v148, v115, v6
	v_add_f32_e32 v145, v155, v145
	v_add_f32_e32 v140, v140, v147
	ds_read_b128 v[112:115], v1 offset:800
	ds_read_b64 v[6:7], v1 offset:816
	v_add_f32_e32 v145, v145, v146
	v_add_f32_e32 v140, v140, v148
	s_waitcnt vmcnt(19) lgkmcnt(5)
	v_mul_f32_e32 v156, v2, v151
	v_mul_f32_e32 v151, v3, v151
	s_waitcnt vmcnt(18)
	v_mul_f32_e32 v157, v4, v152
	v_add_f32_e32 v8, v145, v8
	v_mul_f32_e32 v152, v5, v152
	v_fmac_f32_e32 v156, v3, v144
	v_fma_f32 v2, v2, v144, -v151
	s_waitcnt vmcnt(17) lgkmcnt(4)
	v_mul_f32_e32 v150, v116, v153
	v_add_f32_e32 v8, v8, v149
	v_mul_f32_e32 v149, v117, v153
	v_fma_f32 v4, v4, v143, -v152
	v_fmac_f32_e32 v157, v5, v143
	v_add_f32_e32 v5, v140, v156
	v_add_f32_e32 v2, v8, v2
	s_waitcnt vmcnt(16)
	v_mul_f32_e32 v8, v119, v131
	v_fma_f32 v116, v116, v142, -v149
	v_mul_f32_e32 v146, v118, v131
	v_fmac_f32_e32 v150, v117, v142
	v_add_f32_e32 v2, v2, v4
	v_add_f32_e32 v4, v5, v157
	s_waitcnt vmcnt(15) lgkmcnt(3)
	v_mul_f32_e32 v5, v121, v154
	v_mul_f32_e32 v155, v120, v154
	s_waitcnt vmcnt(14)
	v_mul_f32_e32 v141, v122, v159
	v_add_f32_e32 v2, v2, v116
	v_add_f32_e32 v4, v4, v150
	s_waitcnt vmcnt(5)
	v_fma_f32 v8, v118, v139, -v8
	v_fmac_f32_e32 v146, v119, v139
	v_mul_f32_e32 v116, v123, v159
	v_fma_f32 v5, v120, v133, -v5
	v_fmac_f32_e32 v155, v121, v133
	v_add_f32_e32 v2, v2, v8
	v_add_f32_e32 v4, v4, v146
	s_waitcnt lgkmcnt(2)
	v_mul_f32_e32 v8, v125, v161
	v_fma_f32 v116, v122, v132, -v116
	v_mul_f32_e32 v145, v124, v161
	v_add_f32_e32 v2, v2, v5
	v_fmac_f32_e32 v141, v123, v132
	v_add_f32_e32 v4, v4, v155
	v_mul_f32_e32 v5, v127, v129
	v_fma_f32 v8, v124, v128, -v8
	v_add_f32_e32 v2, v2, v116
	v_mul_f32_e32 v3, v126, v129
	v_fmac_f32_e32 v145, v125, v128
	v_add_f32_e32 v4, v4, v141
	s_waitcnt lgkmcnt(1)
	v_mul_f32_e32 v116, v113, v162
	s_waitcnt vmcnt(1)
	v_fma_f32 v5, v126, v138, -v5
	v_add_f32_e32 v2, v2, v8
	v_mul_f32_e32 v144, v112, v162
	v_fmac_f32_e32 v3, v127, v138
	v_add_f32_e32 v4, v4, v145
	v_mul_f32_e32 v8, v115, v130
	v_fma_f32 v112, v112, v137, -v116
	v_add_f32_e32 v2, v2, v5
	v_mul_f32_e32 v147, v114, v130
	v_fmac_f32_e32 v144, v113, v137
	v_add_f32_e32 v3, v4, v3
	s_waitcnt lgkmcnt(0)
	v_mul_f32_e32 v4, v7, v163
	v_fma_f32 v5, v114, v135, -v8
	v_add_f32_e32 v2, v2, v112
	v_mul_f32_e32 v148, v6, v163
	v_fmac_f32_e32 v147, v115, v135
	v_add_f32_e32 v3, v3, v144
	v_fma_f32 v4, v6, v134, -v4
	v_add_f32_e32 v2, v2, v5
	v_fmac_f32_e32 v148, v7, v134
	v_add_f32_e32 v3, v3, v147
	v_add_f32_e32 v2, v2, v4
	;; [unrolled: 1-line block ×3, first 2 shown]
	s_waitcnt vmcnt(0)
	v_sub_f32_e32 v2, v136, v2
	v_sub_f32_e32 v3, v160, v3
	buffer_store_dword v2, off, s[0:3], 0 offset:24
	buffer_store_dword v3, off, s[0:3], 0 offset:28
	v_cmpx_lt_u32_e32 2, v0
	s_cbranch_execz .LBB50_315
; %bb.314:
	s_clause 0x1
	buffer_load_dword v2, off, s[0:3], 0 offset:16
	buffer_load_dword v3, off, s[0:3], 0 offset:20
	buffer_store_dword v1, off, s[0:3], 0 offset:16
	buffer_store_dword v1, off, s[0:3], 0 offset:20
	s_waitcnt vmcnt(0)
	ds_write_b64 v111, v[2:3]
.LBB50_315:
	s_or_b32 exec_lo, exec_lo, s4
	s_waitcnt lgkmcnt(0)
	s_waitcnt_vscnt null, 0x0
	s_barrier
	buffer_gl0_inv
	s_clause 0x2c
	buffer_load_dword v142, off, s[0:3], 0 offset:28
	buffer_load_dword v143, off, s[0:3], 0 offset:36
	;; [unrolled: 1-line block ×45, first 2 shown]
	ds_read2_b64 v[151:154], v1 offset0:55 offset1:56
	ds_read2_b64 v[155:158], v1 offset0:57 offset1:58
	s_mov_b32 s4, exec_lo
	s_waitcnt vmcnt(44) lgkmcnt(1)
	v_mul_f32_e32 v144, v151, v142
	v_mul_f32_e32 v159, v152, v142
	s_waitcnt vmcnt(43)
	v_mul_f32_e32 v142, v153, v143
	v_mul_f32_e32 v160, v154, v143
	buffer_load_dword v143, off, s[0:3], 0 offset:20
	s_waitcnt vmcnt(41)
	v_fmac_f32_e32 v144, v152, v113
	v_fma_f32 v159, v151, v113, -v159
	v_fmac_f32_e32 v142, v154, v7
	v_fma_f32 v160, v153, v7, -v160
	ds_read2_b64 v[151:154], v1 offset0:59 offset1:60
	s_waitcnt vmcnt(40) lgkmcnt(1)
	v_mul_f32_e32 v161, v155, v4
	s_waitcnt vmcnt(39)
	v_mul_f32_e32 v162, v157, v5
	v_mul_f32_e32 v4, v156, v4
	;; [unrolled: 1-line block ×3, first 2 shown]
	v_fmac_f32_e32 v161, v156, v2
	s_waitcnt vmcnt(35)
	v_fmac_f32_e32 v162, v158, v116
	v_fma_f32 v163, v155, v2, -v4
	v_fma_f32 v116, v157, v116, -v5
	ds_read2_b64 v[155:158], v1 offset0:61 offset1:62
	s_waitcnt vmcnt(34) lgkmcnt(1)
	v_mul_f32_e32 v164, v151, v115
	s_waitcnt vmcnt(33)
	v_mul_f32_e32 v165, v153, v114
	v_mul_f32_e32 v4, v154, v114
	;; [unrolled: 1-line block ×3, first 2 shown]
	v_fmac_f32_e32 v164, v152, v112
	v_fmac_f32_e32 v165, v154, v6
	v_fma_f32 v152, v153, v6, -v4
	ds_read2_b64 v[4:7], v1 offset0:63 offset1:64
	v_fma_f32 v151, v151, v112, -v2
	s_waitcnt vmcnt(32) lgkmcnt(1)
	v_mul_f32_e32 v153, v155, v8
	v_mul_f32_e32 v2, v156, v8
	s_waitcnt vmcnt(31)
	v_mul_f32_e32 v8, v157, v117
	v_mul_f32_e32 v112, v158, v117
	v_fmac_f32_e32 v153, v156, v3
	v_fma_f32 v117, v155, v3, -v2
	s_waitcnt vmcnt(27)
	v_fmac_f32_e32 v8, v158, v125
	v_fma_f32 v125, v157, v125, -v112
	ds_read2_b64 v[112:115], v1 offset0:65 offset1:66
	buffer_load_dword v155, off, s[0:3], 0 offset:212
	s_waitcnt vmcnt(27) lgkmcnt(1)
	v_mul_f32_e32 v154, v4, v123
	v_mul_f32_e32 v2, v5, v123
	s_waitcnt vmcnt(26)
	v_mul_f32_e32 v3, v7, v122
	v_mul_f32_e32 v123, v6, v122
	v_fmac_f32_e32 v154, v5, v121
	v_fma_f32 v121, v4, v121, -v2
	v_fma_f32 v6, v6, v119, -v3
	ds_read2_b64 v[2:5], v1 offset0:67 offset1:68
	v_fmac_f32_e32 v123, v7, v119
	s_waitcnt vmcnt(25) lgkmcnt(1)
	v_mul_f32_e32 v7, v112, v120
	v_mul_f32_e32 v119, v113, v120
	s_waitcnt vmcnt(24)
	v_mul_f32_e32 v120, v114, v124
	v_mul_f32_e32 v122, v115, v124
	v_fmac_f32_e32 v7, v113, v118
	v_fma_f32 v118, v112, v118, -v119
	s_waitcnt vmcnt(20)
	v_fmac_f32_e32 v120, v115, v133
	v_fma_f32 v119, v114, v133, -v122
	ds_read2_b64 v[112:115], v1 offset0:69 offset1:70
	s_waitcnt vmcnt(19) lgkmcnt(1)
	v_mul_f32_e32 v122, v2, v131
	v_mul_f32_e32 v124, v3, v131
	s_waitcnt vmcnt(18)
	v_mul_f32_e32 v131, v4, v130
	v_mul_f32_e32 v130, v5, v130
	v_fmac_f32_e32 v122, v3, v129
	v_fma_f32 v124, v2, v129, -v124
	v_fmac_f32_e32 v131, v5, v127
	v_fma_f32 v127, v4, v127, -v130
	ds_read2_b64 v[2:5], v1 offset0:71 offset1:72
	s_waitcnt vmcnt(17) lgkmcnt(1)
	v_mul_f32_e32 v129, v112, v128
	v_mul_f32_e32 v128, v113, v128
	s_waitcnt vmcnt(16)
	v_mul_f32_e32 v130, v114, v132
	v_mul_f32_e32 v132, v115, v132
	v_fmac_f32_e32 v129, v113, v126
	v_fma_f32 v126, v112, v126, -v128
	s_waitcnt vmcnt(12)
	v_fmac_f32_e32 v130, v115, v141
	v_fma_f32 v128, v114, v141, -v132
	ds_read2_b64 v[112:115], v1 offset0:73 offset1:74
	buffer_load_dword v141, off, s[0:3], 0 offset:204
	s_waitcnt vmcnt(12) lgkmcnt(1)
	v_mul_f32_e32 v132, v2, v139
	v_mul_f32_e32 v133, v3, v139
	s_waitcnt vmcnt(11)
	v_mul_f32_e32 v139, v4, v138
	v_mul_f32_e32 v138, v5, v138
	v_fmac_f32_e32 v132, v3, v137
	v_fma_f32 v133, v2, v137, -v133
	v_fmac_f32_e32 v139, v5, v135
	v_fma_f32 v135, v4, v135, -v138
	ds_read2_b64 v[2:5], v1 offset0:75 offset1:76
	s_waitcnt vmcnt(10) lgkmcnt(1)
	v_mul_f32_e32 v137, v112, v136
	v_mul_f32_e32 v136, v113, v136
	s_waitcnt vmcnt(9)
	v_mul_f32_e32 v138, v114, v140
	v_mul_f32_e32 v140, v115, v140
	v_fmac_f32_e32 v137, v113, v134
	v_fma_f32 v134, v112, v134, -v136
	s_waitcnt vmcnt(5)
	v_fmac_f32_e32 v138, v115, v150
	v_fma_f32 v136, v114, v150, -v140
	ds_read2_b64 v[112:115], v1 offset0:77 offset1:78
	s_waitcnt vmcnt(4) lgkmcnt(1)
	v_mul_f32_e32 v140, v2, v149
	v_mul_f32_e32 v149, v3, v149
	s_waitcnt vmcnt(3)
	v_mul_f32_e32 v150, v4, v148
	v_mul_f32_e32 v148, v5, v148
	v_fmac_f32_e32 v140, v3, v147
	v_fma_f32 v147, v2, v147, -v149
	v_fmac_f32_e32 v150, v5, v146
	v_fma_f32 v146, v4, v146, -v148
	s_clause 0x4
	buffer_load_dword v148, off, s[0:3], 0 offset:232
	buffer_load_dword v149, off, s[0:3], 0 offset:224
	;; [unrolled: 1-line block ×5, first 2 shown]
	s_waitcnt vmcnt(5) lgkmcnt(0)
	v_mul_f32_e32 v158, v112, v141
	v_mul_f32_e32 v3, v113, v141
	v_fmac_f32_e32 v158, v113, v145
	v_fma_f32 v141, v112, v145, -v3
	v_mul_f32_e32 v145, v114, v155
	v_mul_f32_e32 v3, v115, v155
	s_waitcnt vmcnt(1)
	v_fmac_f32_e32 v145, v115, v2
	v_fma_f32 v155, v114, v2, -v3
	ds_read2_b64 v[2:5], v1 offset0:79 offset1:80
	ds_read2_b64 v[112:115], v1 offset0:81 offset1:82
	s_waitcnt vmcnt(0) lgkmcnt(1)
	v_mul_f32_e32 v166, v2, v157
	v_mul_f32_e32 v157, v3, v157
	v_fmac_f32_e32 v166, v3, v156
	v_fma_f32 v156, v2, v156, -v157
	buffer_load_dword v2, off, s[0:3], 0 offset:228
	s_waitcnt vmcnt(0)
	v_mul_f32_e32 v157, v4, v2
	v_mul_f32_e32 v2, v5, v2
	v_fmac_f32_e32 v157, v5, v149
	v_fma_f32 v149, v4, v149, -v2
	buffer_load_dword v2, off, s[0:3], 0 offset:236
	s_waitcnt vmcnt(0) lgkmcnt(0)
	v_mul_f32_e32 v167, v112, v2
	v_mul_f32_e32 v2, v113, v2
	v_fmac_f32_e32 v167, v113, v148
	v_fma_f32 v148, v112, v148, -v2
	s_clause 0x5
	buffer_load_dword v2, off, s[0:3], 0 offset:244
	buffer_load_dword v168, off, s[0:3], 0 offset:264
	;; [unrolled: 1-line block ×6, first 2 shown]
	s_waitcnt vmcnt(5)
	v_mul_f32_e32 v171, v114, v2
	v_mul_f32_e32 v2, v115, v2
	s_waitcnt vmcnt(1)
	v_fmac_f32_e32 v171, v115, v3
	v_fma_f32 v172, v114, v3, -v2
	ds_read2_b64 v[2:5], v1 offset0:83 offset1:84
	ds_read2_b64 v[112:115], v1 offset0:85 offset1:86
	s_waitcnt vmcnt(0) lgkmcnt(1)
	v_mul_f32_e32 v174, v2, v173
	v_mul_f32_e32 v173, v3, v173
	v_fmac_f32_e32 v174, v3, v170
	v_fma_f32 v170, v2, v170, -v173
	buffer_load_dword v2, off, s[0:3], 0 offset:260
	v_add_f32_e32 v3, 0, v159
	v_add_f32_e32 v3, v3, v160
	v_add_f32_e32 v3, v3, v163
	v_add_f32_e32 v3, v3, v116
	v_add_f32_e32 v3, v3, v151
	v_add_f32_e32 v3, v3, v152
	v_add_f32_e32 v3, v3, v117
	v_add_f32_e32 v3, v3, v125
	v_add_f32_e32 v3, v3, v121
	v_add_f32_e32 v3, v3, v6
	v_add_f32_e32 v3, v3, v118
	v_add_f32_e32 v3, v3, v119
	v_add_f32_e32 v3, v3, v124
	v_add_f32_e32 v3, v3, v127
	v_add_f32_e32 v3, v3, v126
	v_add_f32_e32 v3, v3, v128
	v_add_f32_e32 v3, v3, v133
	v_add_f32_e32 v3, v3, v135
	v_add_f32_e32 v3, v3, v134
	v_add_f32_e32 v3, v3, v136
	v_add_f32_e32 v3, v3, v147
	v_add_f32_e32 v3, v3, v146
	s_waitcnt vmcnt(0)
	v_mul_f32_e32 v173, v4, v2
	v_mul_f32_e32 v2, v5, v2
	v_fmac_f32_e32 v173, v5, v169
	v_fma_f32 v169, v4, v169, -v2
	s_clause 0x1
	buffer_load_dword v4, off, s[0:3], 0 offset:268
	buffer_load_dword v5, off, s[0:3], 0 offset:276
	v_add_f32_e32 v2, 0, v144
	v_add_f32_e32 v2, v2, v142
	;; [unrolled: 1-line block ×8, first 2 shown]
	s_clause 0x6
	buffer_load_dword v8, off, s[0:3], 0 offset:296
	buffer_load_dword v116, off, s[0:3], 0 offset:288
	buffer_load_dword v117, off, s[0:3], 0 offset:280
	buffer_load_dword v125, off, s[0:3], 0 offset:272
	buffer_load_dword v142, off, s[0:3], 0 offset:284
	buffer_load_dword v121, off, s[0:3], 0 offset:292
	buffer_load_dword v6, off, s[0:3], 0 offset:300
	v_add_f32_e32 v2, v2, v154
	v_add_f32_e32 v2, v2, v123
	;; [unrolled: 1-line block ×3, first 2 shown]
	buffer_load_dword v7, off, s[0:3], 0 offset:308
	v_add_f32_e32 v2, v2, v120
	s_clause 0x7
	buffer_load_dword v151, off, s[0:3], 0 offset:328
	buffer_load_dword v152, off, s[0:3], 0 offset:320
	;; [unrolled: 1-line block ×8, first 2 shown]
	v_add_f32_e32 v2, v2, v122
	s_clause 0x2
	buffer_load_dword v162, off, s[0:3], 0 offset:348
	buffer_load_dword v163, off, s[0:3], 0 offset:356
	;; [unrolled: 1-line block ×3, first 2 shown]
	v_add_f32_e32 v2, v2, v131
	v_add_f32_e32 v2, v2, v129
	;; [unrolled: 1-line block ×9, first 2 shown]
	s_waitcnt vmcnt(20) lgkmcnt(0)
	v_mul_f32_e32 v123, v112, v4
	v_mul_f32_e32 v4, v113, v4
	s_waitcnt vmcnt(19)
	v_mul_f32_e32 v124, v114, v5
	v_fmac_f32_e32 v123, v113, v168
	v_fma_f32 v144, v112, v168, -v4
	s_clause 0xe
	buffer_load_dword v165, off, s[0:3], 0 offset:372
	buffer_load_dword v168, off, s[0:3], 0 offset:380
	;; [unrolled: 1-line block ×15, first 2 shown]
	v_mul_f32_e32 v4, v115, v5
	v_add_f32_e32 v112, v2, v158
	v_add_f32_e32 v113, v3, v141
	;; [unrolled: 1-line block ×8, first 2 shown]
	s_waitcnt vmcnt(30)
	v_fma_f32 v131, v114, v125, -v4
	ds_read2_b64 v[2:5], v1 offset0:87 offset1:88
	v_fmac_f32_e32 v124, v115, v125
	ds_read2_b64 v[112:115], v1 offset0:89 offset1:90
	s_waitcnt vmcnt(29) lgkmcnt(1)
	v_mul_f32_e32 v128, v2, v142
	v_mul_f32_e32 v122, v3, v142
	s_waitcnt vmcnt(28)
	v_mul_f32_e32 v141, v4, v121
	v_mul_f32_e32 v121, v5, v121
	s_waitcnt vmcnt(27) lgkmcnt(0)
	v_mul_f32_e32 v146, v112, v6
	v_fmac_f32_e32 v128, v3, v117
	v_fma_f32 v142, v2, v117, -v122
	v_add_f32_e32 v117, v118, v167
	v_fma_f32 v145, v4, v116, -v121
	v_add_f32_e32 v121, v119, v148
	v_fmac_f32_e32 v141, v5, v116
	ds_read2_b64 v[2:5], v1 offset0:91 offset1:92
	v_add_f32_e32 v122, v117, v171
	v_mul_f32_e32 v6, v113, v6
	v_add_f32_e32 v121, v121, v172
	v_fmac_f32_e32 v146, v113, v8
	ds_read2_b64 v[116:119], v1 offset0:93 offset1:94
	v_add_f32_e32 v122, v122, v174
	v_fma_f32 v6, v112, v8, -v6
	v_add_f32_e32 v121, v121, v170
	s_waitcnt vmcnt(26)
	v_mul_f32_e32 v148, v114, v7
	v_mul_f32_e32 v7, v115, v7
	v_add_f32_e32 v113, v122, v173
	v_add_f32_e32 v8, v121, v169
	s_waitcnt vmcnt(22)
	v_fmac_f32_e32 v148, v115, v120
	v_fma_f32 v7, v114, v120, -v7
	v_add_f32_e32 v125, v113, v123
	ds_read2_b64 v[112:115], v1 offset0:95 offset1:96
	ds_read2_b64 v[120:123], v1 offset0:97 offset1:98
	v_add_f32_e32 v8, v8, v144
	s_waitcnt vmcnt(21) lgkmcnt(3)
	v_mul_f32_e32 v144, v2, v154
	v_mul_f32_e32 v129, v3, v154
	v_add_f32_e32 v130, v125, v124
	v_add_f32_e32 v8, v8, v131
	ds_read2_b64 v[124:127], v1 offset0:99 offset1:100
	v_fmac_f32_e32 v144, v3, v153
	v_fma_f32 v2, v2, v153, -v129
	v_add_f32_e32 v3, v130, v128
	ds_read2_b64 v[128:131], v1 offset0:101 offset1:102
	v_add_f32_e32 v1, v8, v142
	s_waitcnt vmcnt(20)
	v_mul_f32_e32 v142, v5, v159
	v_mul_f32_e32 v8, v4, v159
	v_add_f32_e32 v3, v3, v141
	s_waitcnt vmcnt(19) lgkmcnt(4)
	v_mul_f32_e32 v149, v117, v160
	v_add_f32_e32 v1, v1, v145
	v_fma_f32 v4, v4, v152, -v142
	v_mul_f32_e32 v141, v116, v160
	v_add_f32_e32 v3, v3, v146
	v_fmac_f32_e32 v8, v5, v152
	v_add_f32_e32 v1, v1, v6
	v_fma_f32 v116, v116, v151, -v149
	s_waitcnt vmcnt(18)
	v_mul_f32_e32 v145, v118, v161
	v_add_f32_e32 v3, v3, v148
	v_fmac_f32_e32 v141, v117, v151
	v_add_f32_e32 v1, v1, v7
	v_mul_f32_e32 v7, v119, v161
	s_waitcnt vmcnt(17) lgkmcnt(3)
	v_mul_f32_e32 v5, v112, v162
	s_waitcnt vmcnt(16)
	v_mul_f32_e32 v142, v114, v163
	s_waitcnt vmcnt(15) lgkmcnt(2)
	v_mul_f32_e32 v6, v120, v164
	v_add_f32_e32 v1, v1, v2
	v_add_f32_e32 v2, v3, v144
	;; [unrolled: 1-line block ×4, first 2 shown]
	v_mul_f32_e32 v4, v113, v162
	v_mul_f32_e32 v8, v115, v163
	v_add_f32_e32 v1, v1, v116
	v_add_f32_e32 v2, v2, v141
	s_waitcnt vmcnt(14)
	v_mul_f32_e32 v146, v122, v165
	s_waitcnt vmcnt(13) lgkmcnt(1)
	v_mul_f32_e32 v150, v124, v168
	s_waitcnt vmcnt(9)
	v_fmac_f32_e32 v6, v121, v133
	s_waitcnt vmcnt(8)
	v_fma_f32 v8, v114, v135, -v8
	s_waitcnt vmcnt(7)
	v_fma_f32 v4, v112, v139, -v4
	;; [unrolled: 2-line block ×3, first 2 shown]
	v_fmac_f32_e32 v145, v119, v177
	v_fmac_f32_e32 v5, v113, v139
	v_fmac_f32_e32 v142, v115, v135
	s_waitcnt vmcnt(2)
	v_fmac_f32_e32 v146, v123, v138
	v_add_f32_e32 v1, v1, v7
	v_add_f32_e32 v2, v2, v145
	v_mul_f32_e32 v7, v121, v164
	v_mul_f32_e32 v148, v126, v175
	v_fmac_f32_e32 v150, v125, v137
	v_add_f32_e32 v1, v1, v4
	v_add_f32_e32 v2, v2, v5
	v_mul_f32_e32 v4, v123, v165
	v_fma_f32 v5, v120, v133, -v7
	v_mul_f32_e32 v7, v125, v168
	v_add_f32_e32 v1, v1, v8
	v_add_f32_e32 v2, v2, v142
	v_fma_f32 v4, v122, v138, -v4
	s_waitcnt lgkmcnt(0)
	v_mul_f32_e32 v152, v128, v176
	v_fmac_f32_e32 v148, v127, v136
	v_add_f32_e32 v1, v1, v5
	v_add_f32_e32 v2, v2, v6
	v_mul_f32_e32 v5, v127, v175
	v_fma_f32 v6, v124, v137, -v7
	v_mul_f32_e32 v3, v130, v132
	v_add_f32_e32 v1, v1, v4
	v_add_f32_e32 v2, v2, v146
	v_mul_f32_e32 v4, v129, v176
	v_fma_f32 v5, v126, v136, -v5
	v_fmac_f32_e32 v152, v129, v134
	v_add_f32_e32 v1, v1, v6
	v_add_f32_e32 v2, v2, v150
	v_mul_f32_e32 v6, v131, v132
	v_fma_f32 v4, v128, v134, -v4
	s_waitcnt vmcnt(1)
	v_fmac_f32_e32 v3, v131, v140
	v_add_f32_e32 v1, v1, v5
	v_add_f32_e32 v2, v2, v148
	v_fma_f32 v5, v130, v140, -v6
	v_add_f32_e32 v1, v1, v4
	v_add_f32_e32 v2, v2, v152
	;; [unrolled: 1-line block ×4, first 2 shown]
	s_waitcnt vmcnt(0)
	v_sub_f32_e32 v1, v147, v1
	v_sub_f32_e32 v2, v143, v2
	buffer_store_dword v1, off, s[0:3], 0 offset:16
	buffer_store_dword v2, off, s[0:3], 0 offset:20
	v_cmpx_lt_u32_e32 1, v0
	s_cbranch_execz .LBB50_317
; %bb.316:
	s_clause 0x1
	buffer_load_dword v1, off, s[0:3], 0 offset:8
	buffer_load_dword v2, off, s[0:3], 0 offset:12
	v_mov_b32_e32 v3, 0
	buffer_store_dword v3, off, s[0:3], 0 offset:8
	buffer_store_dword v3, off, s[0:3], 0 offset:12
	s_waitcnt vmcnt(0)
	ds_write_b64 v111, v[1:2]
.LBB50_317:
	s_or_b32 exec_lo, exec_lo, s4
	s_waitcnt lgkmcnt(0)
	s_waitcnt_vscnt null, 0x0
	s_barrier
	buffer_gl0_inv
	s_clause 0x2c
	buffer_load_dword v142, off, s[0:3], 0 offset:20
	buffer_load_dword v143, off, s[0:3], 0 offset:28
	;; [unrolled: 1-line block ×45, first 2 shown]
	v_mov_b32_e32 v1, 0
	ds_read_b128 v[151:154], v1 offset:432
	ds_read_b128 v[155:158], v1 offset:448
	s_mov_b32 s4, exec_lo
	s_waitcnt vmcnt(44) lgkmcnt(1)
	v_mul_f32_e32 v144, v151, v142
	v_mul_f32_e32 v159, v152, v142
	s_waitcnt vmcnt(43)
	v_mul_f32_e32 v142, v153, v143
	v_mul_f32_e32 v160, v154, v143
	buffer_load_dword v143, off, s[0:3], 0 offset:12
	s_waitcnt vmcnt(41)
	v_fmac_f32_e32 v144, v152, v113
	v_fma_f32 v159, v151, v113, -v159
	v_fmac_f32_e32 v142, v154, v7
	v_fma_f32 v160, v153, v7, -v160
	ds_read_b128 v[151:154], v1 offset:464
	s_waitcnt vmcnt(40) lgkmcnt(1)
	v_mul_f32_e32 v161, v155, v4
	s_waitcnt vmcnt(39)
	v_mul_f32_e32 v162, v157, v5
	v_mul_f32_e32 v4, v156, v4
	;; [unrolled: 1-line block ×3, first 2 shown]
	v_fmac_f32_e32 v161, v156, v2
	s_waitcnt vmcnt(35)
	v_fmac_f32_e32 v162, v158, v116
	v_fma_f32 v163, v155, v2, -v4
	v_fma_f32 v116, v157, v116, -v5
	ds_read_b128 v[155:158], v1 offset:480
	s_waitcnt vmcnt(34) lgkmcnt(1)
	v_mul_f32_e32 v164, v151, v115
	s_waitcnt vmcnt(33)
	v_mul_f32_e32 v165, v153, v114
	v_mul_f32_e32 v4, v154, v114
	;; [unrolled: 1-line block ×3, first 2 shown]
	v_fmac_f32_e32 v164, v152, v112
	v_fmac_f32_e32 v165, v154, v6
	v_fma_f32 v152, v153, v6, -v4
	ds_read_b128 v[4:7], v1 offset:496
	v_fma_f32 v151, v151, v112, -v2
	s_waitcnt vmcnt(32) lgkmcnt(1)
	v_mul_f32_e32 v153, v155, v8
	v_mul_f32_e32 v2, v156, v8
	s_waitcnt vmcnt(31)
	v_mul_f32_e32 v8, v157, v117
	v_mul_f32_e32 v112, v158, v117
	v_fmac_f32_e32 v153, v156, v3
	v_fma_f32 v117, v155, v3, -v2
	s_waitcnt vmcnt(27)
	v_fmac_f32_e32 v8, v158, v125
	v_fma_f32 v125, v157, v125, -v112
	ds_read_b128 v[112:115], v1 offset:512
	buffer_load_dword v155, off, s[0:3], 0 offset:204
	s_waitcnt vmcnt(27) lgkmcnt(1)
	v_mul_f32_e32 v154, v4, v123
	v_mul_f32_e32 v2, v5, v123
	s_waitcnt vmcnt(26)
	v_mul_f32_e32 v3, v7, v122
	v_mul_f32_e32 v123, v6, v122
	v_fmac_f32_e32 v154, v5, v121
	v_fma_f32 v121, v4, v121, -v2
	v_fma_f32 v6, v6, v119, -v3
	ds_read_b128 v[2:5], v1 offset:528
	v_fmac_f32_e32 v123, v7, v119
	s_waitcnt vmcnt(25) lgkmcnt(1)
	v_mul_f32_e32 v7, v112, v120
	v_mul_f32_e32 v119, v113, v120
	s_waitcnt vmcnt(24)
	v_mul_f32_e32 v120, v114, v124
	v_mul_f32_e32 v122, v115, v124
	v_fmac_f32_e32 v7, v113, v118
	v_fma_f32 v118, v112, v118, -v119
	s_waitcnt vmcnt(20)
	v_fmac_f32_e32 v120, v115, v133
	v_fma_f32 v119, v114, v133, -v122
	ds_read_b128 v[112:115], v1 offset:544
	s_waitcnt vmcnt(19) lgkmcnt(1)
	v_mul_f32_e32 v122, v2, v131
	v_mul_f32_e32 v124, v3, v131
	s_waitcnt vmcnt(18)
	v_mul_f32_e32 v131, v4, v130
	v_mul_f32_e32 v130, v5, v130
	v_fmac_f32_e32 v122, v3, v129
	v_fma_f32 v124, v2, v129, -v124
	v_fmac_f32_e32 v131, v5, v127
	v_fma_f32 v127, v4, v127, -v130
	ds_read_b128 v[2:5], v1 offset:560
	s_waitcnt vmcnt(17) lgkmcnt(1)
	v_mul_f32_e32 v129, v112, v128
	v_mul_f32_e32 v128, v113, v128
	s_waitcnt vmcnt(16)
	v_mul_f32_e32 v130, v114, v132
	v_mul_f32_e32 v132, v115, v132
	v_fmac_f32_e32 v129, v113, v126
	v_fma_f32 v126, v112, v126, -v128
	s_waitcnt vmcnt(12)
	v_fmac_f32_e32 v130, v115, v140
	v_fma_f32 v128, v114, v140, -v132
	ds_read_b128 v[112:115], v1 offset:576
	s_waitcnt vmcnt(11) lgkmcnt(1)
	v_mul_f32_e32 v132, v2, v139
	v_mul_f32_e32 v133, v3, v139
	s_waitcnt vmcnt(10)
	v_mul_f32_e32 v139, v4, v138
	v_mul_f32_e32 v138, v5, v138
	v_fmac_f32_e32 v132, v3, v137
	v_fma_f32 v133, v2, v137, -v133
	v_fmac_f32_e32 v139, v5, v135
	v_fma_f32 v135, v4, v135, -v138
	ds_read_b128 v[2:5], v1 offset:592
	s_waitcnt vmcnt(8) lgkmcnt(1)
	v_mul_f32_e32 v138, v114, v141
	v_mul_f32_e32 v140, v115, v141
	buffer_load_dword v141, off, s[0:3], 0 offset:196
	v_mul_f32_e32 v137, v112, v136
	v_mul_f32_e32 v136, v113, v136
	s_waitcnt vmcnt(5)
	v_fmac_f32_e32 v138, v115, v150
	v_fmac_f32_e32 v137, v113, v134
	v_fma_f32 v134, v112, v134, -v136
	v_fma_f32 v136, v114, v150, -v140
	ds_read_b128 v[112:115], v1 offset:608
	s_waitcnt vmcnt(4) lgkmcnt(1)
	v_mul_f32_e32 v140, v2, v149
	v_mul_f32_e32 v149, v3, v149
	s_waitcnt vmcnt(3)
	v_mul_f32_e32 v150, v4, v148
	v_mul_f32_e32 v148, v5, v148
	v_fmac_f32_e32 v140, v3, v147
	v_fma_f32 v147, v2, v147, -v149
	v_fmac_f32_e32 v150, v5, v146
	v_fma_f32 v146, v4, v146, -v148
	s_clause 0x4
	buffer_load_dword v148, off, s[0:3], 0 offset:224
	buffer_load_dword v149, off, s[0:3], 0 offset:216
	;; [unrolled: 1-line block ×5, first 2 shown]
	s_waitcnt vmcnt(5) lgkmcnt(0)
	v_mul_f32_e32 v158, v112, v141
	v_mul_f32_e32 v3, v113, v141
	v_fmac_f32_e32 v158, v113, v145
	v_fma_f32 v141, v112, v145, -v3
	v_mul_f32_e32 v145, v114, v155
	v_mul_f32_e32 v3, v115, v155
	s_waitcnt vmcnt(1)
	v_fmac_f32_e32 v145, v115, v2
	v_fma_f32 v155, v114, v2, -v3
	ds_read_b128 v[2:5], v1 offset:624
	ds_read_b128 v[112:115], v1 offset:640
	s_waitcnt vmcnt(0) lgkmcnt(1)
	v_mul_f32_e32 v166, v2, v157
	v_mul_f32_e32 v157, v3, v157
	v_fmac_f32_e32 v166, v3, v156
	v_fma_f32 v156, v2, v156, -v157
	s_clause 0x1
	buffer_load_dword v2, off, s[0:3], 0 offset:220
	buffer_load_dword v3, off, s[0:3], 0 offset:228
	s_waitcnt vmcnt(1)
	v_mul_f32_e32 v157, v4, v2
	v_mul_f32_e32 v2, v5, v2
	v_fmac_f32_e32 v157, v5, v149
	v_fma_f32 v149, v4, v149, -v2
	v_add_f32_e32 v4, 0, v159
	v_add_f32_e32 v2, 0, v144
	;; [unrolled: 1-line block ×4, first 2 shown]
	buffer_load_dword v142, off, s[0:3], 0 offset:236
	v_add_f32_e32 v4, v4, v163
	v_add_f32_e32 v2, v2, v161
	v_add_f32_e32 v4, v4, v116
	s_clause 0x4
	buffer_load_dword v116, off, s[0:3], 0 offset:256
	buffer_load_dword v144, off, s[0:3], 0 offset:248
	;; [unrolled: 1-line block ×5, first 2 shown]
	v_add_f32_e32 v2, v2, v162
	buffer_load_dword v162, off, s[0:3], 0 offset:260
	v_add_f32_e32 v4, v4, v151
	buffer_load_dword v151, off, s[0:3], 0 offset:252
	v_add_f32_e32 v2, v2, v164
	v_add_f32_e32 v4, v4, v152
	buffer_load_dword v152, off, s[0:3], 0 offset:268
	v_add_f32_e32 v2, v2, v165
	v_add_f32_e32 v4, v4, v117
	;; [unrolled: 1-line block ×5, first 2 shown]
	s_clause 0x3
	buffer_load_dword v8, off, s[0:3], 0 offset:288
	buffer_load_dword v117, off, s[0:3], 0 offset:280
	;; [unrolled: 1-line block ×4, first 2 shown]
	v_add_f32_e32 v4, v4, v121
	s_waitcnt vmcnt(13) lgkmcnt(0)
	v_mul_f32_e32 v121, v112, v3
	v_mul_f32_e32 v3, v113, v3
	v_add_f32_e32 v2, v2, v154
	buffer_load_dword v154, off, s[0:3], 0 offset:276
	v_add_f32_e32 v6, v4, v6
	v_fmac_f32_e32 v121, v113, v148
	v_add_f32_e32 v2, v2, v123
	v_fma_f32 v123, v112, v148, -v3
	v_add_f32_e32 v6, v6, v118
	buffer_load_dword v118, off, s[0:3], 0 offset:284
	v_add_f32_e32 v7, v2, v7
	ds_read_b128 v[2:5], v1 offset:656
	v_add_f32_e32 v6, v6, v119
	buffer_load_dword v119, off, s[0:3], 0 offset:292
	v_add_f32_e32 v7, v7, v120
	v_add_f32_e32 v6, v6, v124
	;; [unrolled: 1-line block ×3, first 2 shown]
	buffer_load_dword v122, off, s[0:3], 0 offset:300
	v_add_f32_e32 v6, v6, v127
	v_add_f32_e32 v7, v7, v131
	;; [unrolled: 1-line block ×3, first 2 shown]
	s_waitcnt vmcnt(16)
	v_mul_f32_e32 v120, v114, v142
	v_mul_f32_e32 v112, v115, v142
	s_waitcnt vmcnt(12)
	v_fmac_f32_e32 v120, v115, v160
	v_fma_f32 v142, v114, v160, -v112
	ds_read_b128 v[112:115], v1 offset:672
	s_waitcnt vmcnt(11) lgkmcnt(1)
	v_mul_f32_e32 v131, v3, v161
	v_mul_f32_e32 v124, v2, v161
	s_clause 0x3
	buffer_load_dword v129, off, s[0:3], 0 offset:320
	buffer_load_dword v148, off, s[0:3], 0 offset:312
	;; [unrolled: 1-line block ×4, first 2 shown]
	v_fma_f32 v131, v2, v159, -v131
	v_add_f32_e32 v2, v6, v126
	s_clause 0x1
	buffer_load_dword v6, off, s[0:3], 0 offset:308
	buffer_load_dword v126, off, s[0:3], 0 offset:316
	v_fmac_f32_e32 v124, v3, v159
	v_add_f32_e32 v3, v7, v130
	s_waitcnt vmcnt(15)
	v_mul_f32_e32 v7, v4, v151
	v_add_f32_e32 v2, v2, v128
	buffer_load_dword v128, off, s[0:3], 0 offset:324
	v_mul_f32_e32 v130, v5, v151
	v_add_f32_e32 v3, v3, v132
	v_fmac_f32_e32 v7, v5, v144
	v_add_f32_e32 v132, v2, v133
	v_fma_f32 v130, v4, v144, -v130
	v_add_f32_e32 v139, v3, v139
	s_waitcnt lgkmcnt(0)
	v_mul_f32_e32 v161, v113, v162
	v_add_f32_e32 v132, v132, v135
	v_mul_f32_e32 v135, v112, v162
	s_clause 0x3
	buffer_load_dword v133, off, s[0:3], 0 offset:332
	buffer_load_dword v144, off, s[0:3], 0 offset:340
	;; [unrolled: 1-line block ×4, first 2 shown]
	v_add_f32_e32 v137, v139, v137
	ds_read_b128 v[2:5], v1 offset:688
	v_add_f32_e32 v132, v132, v134
	s_waitcnt vmcnt(19)
	v_mul_f32_e32 v139, v114, v152
	v_mul_f32_e32 v134, v115, v152
	v_fma_f32 v152, v112, v116, -v161
	v_add_f32_e32 v112, v137, v138
	v_fmac_f32_e32 v135, v113, v116
	v_add_f32_e32 v113, v132, v136
	s_clause 0x3
	buffer_load_dword v132, off, s[0:3], 0 offset:364
	buffer_load_dword v136, off, s[0:3], 0 offset:372
	buffer_load_dword v137, off, s[0:3], 0 offset:380
	buffer_load_dword v138, off, s[0:3], 0 offset:388
	s_waitcnt vmcnt(19)
	v_fmac_f32_e32 v139, v115, v153
	v_add_f32_e32 v112, v112, v140
	v_fma_f32 v134, v114, v153, -v134
	buffer_load_dword v153, off, s[0:3], 0 offset:396
	v_add_f32_e32 v113, v113, v147
	s_clause 0x4
	buffer_load_dword v140, off, s[0:3], 0 offset:352
	buffer_load_dword v147, off, s[0:3], 0 offset:344
	;; [unrolled: 1-line block ×5, first 2 shown]
	v_add_f32_e32 v112, v112, v150
	v_add_f32_e32 v116, v113, v146
	;; [unrolled: 1-line block ×3, first 2 shown]
	s_waitcnt vmcnt(24) lgkmcnt(0)
	v_mul_f32_e32 v150, v3, v154
	ds_read_b128 v[112:115], v1 offset:704
	v_add_f32_e32 v116, v116, v141
	v_mul_f32_e32 v141, v2, v154
	v_add_f32_e32 v145, v146, v145
	v_fmac_f32_e32 v141, v3, v125
	v_fma_f32 v125, v2, v125, -v150
	v_add_f32_e32 v3, v145, v166
	s_clause 0x3
	buffer_load_dword v145, off, s[0:3], 0 offset:384
	buffer_load_dword v146, off, s[0:3], 0 offset:376
	;; [unrolled: 1-line block ×4, first 2 shown]
	v_add_f32_e32 v2, v116, v155
	v_add_f32_e32 v3, v3, v157
	s_waitcnt vmcnt(27)
	v_mul_f32_e32 v157, v4, v118
	v_add_f32_e32 v2, v2, v156
	s_clause 0x1
	buffer_load_dword v155, off, s[0:3], 0 offset:400
	buffer_load_dword v156, off, s[0:3], 0 offset:392
	v_add_f32_e32 v116, v3, v121
	v_mul_f32_e32 v3, v5, v118
	v_add_f32_e32 v2, v2, v149
	buffer_load_dword v149, off, s[0:3], 0 offset:8
	v_fmac_f32_e32 v157, v5, v117
	v_add_f32_e32 v116, v116, v120
	v_fma_f32 v158, v4, v117, -v3
	v_add_f32_e32 v118, v2, v123
	ds_read_b128 v[2:5], v1 offset:720
	s_waitcnt vmcnt(29) lgkmcnt(1)
	v_mul_f32_e32 v120, v113, v119
	v_add_f32_e32 v121, v116, v124
	s_waitcnt vmcnt(28)
	v_mul_f32_e32 v164, v114, v122
	v_add_f32_e32 v117, v118, v142
	v_mul_f32_e32 v142, v112, v119
	v_mul_f32_e32 v122, v115, v122
	v_add_f32_e32 v7, v121, v7
	v_add_f32_e32 v123, v117, v131
	ds_read_b128 v[116:119], v1 offset:736
	v_fmac_f32_e32 v142, v113, v8
	v_add_f32_e32 v7, v7, v135
	v_fma_f32 v8, v112, v8, -v120
	v_add_f32_e32 v124, v123, v130
	v_add_f32_e32 v124, v124, v152
	;; [unrolled: 1-line block ×3, first 2 shown]
	s_waitcnt vmcnt(24)
	v_fma_f32 v130, v114, v160, -v122
	v_fmac_f32_e32 v164, v115, v160
	ds_read_b128 v[112:115], v1 offset:752
	ds_read_b128 v[120:123], v1 offset:768
	s_waitcnt vmcnt(23) lgkmcnt(3)
	v_mul_f32_e32 v131, v2, v6
	v_mul_f32_e32 v6, v3, v6
	s_waitcnt vmcnt(22)
	v_mul_f32_e32 v135, v4, v126
	v_mul_f32_e32 v134, v5, v126
	v_fmac_f32_e32 v131, v3, v127
	v_fma_f32 v152, v2, v127, -v6
	v_add_f32_e32 v2, v7, v139
	v_add_f32_e32 v6, v124, v125
	v_fmac_f32_e32 v135, v5, v148
	v_fma_f32 v134, v4, v148, -v134
	s_waitcnt vmcnt(21) lgkmcnt(2)
	v_mul_f32_e32 v148, v116, v128
	v_add_f32_e32 v139, v2, v141
	v_add_f32_e32 v141, v6, v158
	v_mul_f32_e32 v128, v117, v128
	ds_read_b128 v[124:127], v1 offset:784
	ds_read_b128 v[2:5], v1 offset:800
	v_add_f32_e32 v139, v139, v157
	v_add_f32_e32 v8, v141, v8
	v_fma_f32 v116, v116, v129, -v128
	s_waitcnt vmcnt(20)
	v_mul_f32_e32 v157, v118, v133
	v_mul_f32_e32 v133, v119, v133
	v_add_f32_e32 v139, v139, v142
	v_add_f32_e32 v8, v8, v130
	v_fmac_f32_e32 v148, v117, v129
	s_waitcnt vmcnt(19) lgkmcnt(3)
	v_mul_f32_e32 v141, v112, v144
	s_waitcnt vmcnt(18)
	v_mul_f32_e32 v130, v114, v151
	v_add_f32_e32 v139, v139, v164
	v_add_f32_e32 v8, v8, v152
	s_waitcnt vmcnt(17) lgkmcnt(2)
	v_mul_f32_e32 v142, v120, v159
	s_waitcnt vmcnt(16)
	v_mul_f32_e32 v158, v122, v132
	s_waitcnt vmcnt(9)
	v_fmac_f32_e32 v141, v113, v161
	v_add_f32_e32 v128, v139, v131
	v_add_f32_e32 v8, v8, v134
	v_mul_f32_e32 v134, v113, v144
	s_waitcnt vmcnt(8)
	v_fma_f32 v118, v118, v162, -v133
	v_fmac_f32_e32 v157, v119, v162
	v_add_f32_e32 v128, v128, v135
	v_add_f32_e32 v8, v8, v116
	v_mul_f32_e32 v119, v115, v151
	v_fma_f32 v112, v112, v161, -v134
	v_fmac_f32_e32 v130, v115, v147
	v_add_f32_e32 v116, v128, v148
	v_add_f32_e32 v8, v8, v118
	v_fma_f32 v114, v114, v147, -v119
	v_fmac_f32_e32 v142, v121, v140
	ds_read_b64 v[6:7], v1 offset:816
	v_add_f32_e32 v113, v116, v157
	v_mul_f32_e32 v116, v121, v159
	v_add_f32_e32 v8, v8, v112
	s_waitcnt lgkmcnt(2)
	v_mul_f32_e32 v152, v124, v136
	s_waitcnt vmcnt(3)
	v_fmac_f32_e32 v158, v123, v154
	v_add_f32_e32 v112, v113, v141
	v_mul_f32_e32 v113, v123, v132
	v_fma_f32 v115, v120, v140, -v116
	v_add_f32_e32 v8, v8, v114
	v_mul_f32_e32 v114, v125, v136
	v_add_f32_e32 v112, v112, v130
	v_fma_f32 v113, v122, v154, -v113
	v_mul_f32_e32 v117, v126, v137
	v_add_f32_e32 v8, v8, v115
	v_mul_f32_e32 v115, v127, v137
	v_add_f32_e32 v112, v112, v142
	v_fma_f32 v114, v124, v150, -v114
	v_fmac_f32_e32 v152, v125, v150
	v_add_f32_e32 v8, v8, v113
	s_waitcnt lgkmcnt(1)
	v_mul_f32_e32 v129, v2, v138
	v_add_f32_e32 v112, v112, v158
	v_mul_f32_e32 v113, v3, v138
	v_fma_f32 v115, v126, v146, -v115
	v_add_f32_e32 v8, v8, v114
	v_fmac_f32_e32 v117, v127, v146
	v_add_f32_e32 v112, v112, v152
	v_mul_f32_e32 v114, v5, v153
	v_fmac_f32_e32 v129, v3, v145
	v_fma_f32 v2, v2, v145, -v113
	v_add_f32_e32 v3, v8, v115
	v_mul_f32_e32 v131, v4, v153
	v_add_f32_e32 v8, v112, v117
	s_waitcnt lgkmcnt(0)
	v_mul_f32_e32 v112, v7, v163
	s_waitcnt vmcnt(1)
	v_fma_f32 v4, v4, v156, -v114
	v_add_f32_e32 v2, v3, v2
	v_mul_f32_e32 v135, v6, v163
	v_fmac_f32_e32 v131, v5, v156
	v_add_f32_e32 v3, v8, v129
	v_fma_f32 v5, v6, v155, -v112
	v_add_f32_e32 v2, v2, v4
	v_fmac_f32_e32 v135, v7, v155
	v_add_f32_e32 v3, v3, v131
	v_add_f32_e32 v2, v2, v5
	;; [unrolled: 1-line block ×3, first 2 shown]
	s_waitcnt vmcnt(0)
	v_sub_f32_e32 v2, v149, v2
	v_sub_f32_e32 v3, v143, v3
	buffer_store_dword v2, off, s[0:3], 0 offset:8
	buffer_store_dword v3, off, s[0:3], 0 offset:12
	v_cmpx_ne_u32_e32 0, v0
	s_cbranch_execz .LBB50_319
; %bb.318:
	s_clause 0x1
	buffer_load_dword v2, off, s[0:3], 0
	buffer_load_dword v3, off, s[0:3], 0 offset:4
	buffer_store_dword v1, off, s[0:3], 0
	buffer_store_dword v1, off, s[0:3], 0 offset:4
	s_waitcnt vmcnt(0)
	ds_write_b64 v111, v[2:3]
.LBB50_319:
	s_or_b32 exec_lo, exec_lo, s4
	s_waitcnt lgkmcnt(0)
	s_waitcnt_vscnt null, 0x0
	s_barrier
	buffer_gl0_inv
	s_clause 0x2c
	buffer_load_dword v141, off, s[0:3], 0 offset:12
	buffer_load_dword v0, off, s[0:3], 0 offset:24
	;; [unrolled: 1-line block ×45, first 2 shown]
	ds_read2_b64 v[149:152], v1 offset0:53 offset1:54
	ds_read2_b64 v[153:156], v1 offset0:55 offset1:56
	;; [unrolled: 1-line block ×3, first 2 shown]
	s_and_b32 vcc_lo, exec_lo, s22
	s_waitcnt vmcnt(44) lgkmcnt(2)
	v_mul_f32_e32 v142, v149, v141
	v_mul_f32_e32 v161, v150, v141
	buffer_load_dword v141, off, s[0:3], 0 offset:4
	s_waitcnt vmcnt(41)
	v_mul_f32_e32 v162, v151, v8
	v_mul_f32_e32 v8, v152, v8
	v_fmac_f32_e32 v142, v150, v111
	v_fma_f32 v161, v149, v111, -v161
	s_waitcnt vmcnt(40) lgkmcnt(1)
	v_mul_f32_e32 v163, v153, v6
	v_fmac_f32_e32 v162, v152, v4
	v_fma_f32 v8, v151, v4, -v8
	ds_read2_b64 v[149:152], v1 offset0:59 offset1:60
	v_mul_f32_e32 v4, v154, v6
	s_waitcnt vmcnt(39)
	v_mul_f32_e32 v164, v155, v3
	v_mul_f32_e32 v3, v156, v3
	v_fmac_f32_e32 v163, v154, v0
	s_waitcnt vmcnt(34) lgkmcnt(1)
	v_mul_f32_e32 v166, v157, v114
	v_fma_f32 v0, v153, v0, -v4
	v_fmac_f32_e32 v164, v156, v115
	v_fma_f32 v165, v155, v115, -v3
	v_mul_f32_e32 v3, v158, v114
	ds_read2_b64 v[153:156], v1 offset0:61 offset1:62
	v_fmac_f32_e32 v166, v158, v112
	s_waitcnt vmcnt(33)
	v_mul_f32_e32 v158, v159, v113
	v_fma_f32 v157, v157, v112, -v3
	v_mul_f32_e32 v3, v160, v113
	ds_read2_b64 v[111:114], v1 offset0:65 offset1:66
	v_fmac_f32_e32 v158, v160, v5
	v_fma_f32 v159, v159, v5, -v3
	s_waitcnt vmcnt(32) lgkmcnt(2)
	v_mul_f32_e32 v160, v149, v7
	v_mul_f32_e32 v7, v150, v7
	ds_read2_b64 v[3:6], v1 offset0:63 offset1:64
	v_fmac_f32_e32 v160, v150, v2
	v_fma_f32 v7, v149, v2, -v7
	s_waitcnt vmcnt(31)
	v_mul_f32_e32 v149, v151, v116
	v_mul_f32_e32 v2, v152, v116
	s_waitcnt vmcnt(26) lgkmcnt(2)
	v_mul_f32_e32 v150, v153, v123
	v_fmac_f32_e32 v149, v152, v124
	v_fma_f32 v124, v151, v124, -v2
	v_mul_f32_e32 v2, v154, v123
	s_waitcnt vmcnt(25)
	v_mul_f32_e32 v151, v155, v121
	v_fmac_f32_e32 v150, v154, v120
	v_fma_f32 v123, v153, v120, -v2
	v_mul_f32_e32 v2, v156, v121
	v_fmac_f32_e32 v151, v156, v118
	s_waitcnt vmcnt(24) lgkmcnt(0)
	v_mul_f32_e32 v153, v3, v119
	v_fma_f32 v152, v155, v118, -v2
	v_mul_f32_e32 v2, v4, v119
	ds_read2_b64 v[118:121], v1 offset0:67 offset1:68
	s_waitcnt vmcnt(23)
	v_mul_f32_e32 v155, v5, v122
	s_waitcnt vmcnt(18)
	v_mul_f32_e32 v115, v112, v131
	v_fmac_f32_e32 v153, v4, v117
	v_fma_f32 v154, v3, v117, -v2
	v_mul_f32_e32 v2, v6, v122
	v_mul_f32_e32 v122, v111, v131
	v_fmac_f32_e32 v155, v6, v132
	s_waitcnt vmcnt(17)
	v_mul_f32_e32 v131, v113, v129
	v_fma_f32 v6, v5, v132, -v2
	ds_read2_b64 v[2:5], v1 offset0:69 offset1:70
	v_fmac_f32_e32 v122, v112, v128
	v_fma_f32 v128, v111, v128, -v115
	v_mul_f32_e32 v111, v114, v129
	v_fmac_f32_e32 v131, v114, v126
	v_fma_f32 v126, v113, v126, -v111
	s_waitcnt vmcnt(16) lgkmcnt(1)
	v_mul_f32_e32 v129, v118, v127
	v_mul_f32_e32 v115, v119, v127
	ds_read2_b64 v[111:114], v1 offset0:71 offset1:72
	v_fmac_f32_e32 v129, v119, v125
	v_fma_f32 v119, v118, v125, -v115
	s_waitcnt vmcnt(15)
	v_mul_f32_e32 v115, v121, v130
	v_mul_f32_e32 v125, v120, v130
	s_waitcnt vmcnt(10) lgkmcnt(1)
	v_mul_f32_e32 v127, v3, v138
	v_fma_f32 v120, v120, v139, -v115
	ds_read2_b64 v[115:118], v1 offset0:73 offset1:74
	v_fmac_f32_e32 v125, v121, v139
	v_mul_f32_e32 v121, v2, v138
	v_fma_f32 v127, v2, v136, -v127
	s_waitcnt vmcnt(9)
	v_mul_f32_e32 v130, v4, v137
	v_mul_f32_e32 v2, v5, v137
	v_fmac_f32_e32 v121, v3, v136
	buffer_load_dword v136, off, s[0:3], 0 offset:188
	s_waitcnt vmcnt(8) lgkmcnt(1)
	v_mul_f32_e32 v3, v114, v140
	v_fmac_f32_e32 v130, v5, v134
	v_fma_f32 v132, v4, v134, -v2
	v_mul_f32_e32 v134, v111, v135
	v_mul_f32_e32 v2, v112, v135
	;; [unrolled: 1-line block ×3, first 2 shown]
	s_waitcnt vmcnt(4)
	v_fma_f32 v137, v113, v148, -v3
	buffer_load_dword v113, off, s[0:3], 0 offset:196
	v_fmac_f32_e32 v134, v112, v133
	v_fma_f32 v133, v111, v133, -v2
	ds_read2_b64 v[2:5], v1 offset0:75 offset1:76
	s_waitcnt vmcnt(4) lgkmcnt(1)
	v_mul_f32_e32 v138, v115, v147
	v_mul_f32_e32 v111, v116, v147
	s_waitcnt vmcnt(3)
	v_mul_f32_e32 v139, v117, v146
	v_mul_f32_e32 v112, v118, v146
	v_fmac_f32_e32 v135, v114, v148
	v_fmac_f32_e32 v138, v116, v145
	v_fma_f32 v115, v115, v145, -v111
	v_fmac_f32_e32 v139, v118, v144
	v_fma_f32 v116, v117, v144, -v112
	s_clause 0x4
	buffer_load_dword v117, off, s[0:3], 0 offset:216
	buffer_load_dword v118, off, s[0:3], 0 offset:208
	;; [unrolled: 1-line block ×5, first 2 shown]
	s_waitcnt vmcnt(6) lgkmcnt(0)
	v_mul_f32_e32 v145, v2, v136
	v_mul_f32_e32 v112, v3, v136
	v_fmac_f32_e32 v145, v3, v143
	v_fma_f32 v143, v2, v143, -v112
	s_waitcnt vmcnt(5)
	v_mul_f32_e32 v136, v4, v113
	v_mul_f32_e32 v113, v5, v113
	s_waitcnt vmcnt(1)
	v_fmac_f32_e32 v136, v5, v111
	v_fma_f32 v146, v4, v111, -v113
	ds_read2_b64 v[2:5], v1 offset0:77 offset1:78
	ds_read2_b64 v[111:114], v1 offset0:79 offset1:80
	s_waitcnt vmcnt(0) lgkmcnt(1)
	v_mul_f32_e32 v147, v2, v144
	v_mul_f32_e32 v144, v3, v144
	v_fmac_f32_e32 v147, v3, v140
	v_fma_f32 v140, v2, v140, -v144
	buffer_load_dword v2, off, s[0:3], 0 offset:212
	v_add_f32_e32 v3, 0, v161
	v_add_f32_e32 v3, v3, v8
	;; [unrolled: 1-line block ×25, first 2 shown]
	s_waitcnt vmcnt(0)
	v_mul_f32_e32 v144, v4, v2
	v_mul_f32_e32 v2, v5, v2
	v_fmac_f32_e32 v144, v5, v118
	v_fma_f32 v118, v4, v118, -v2
	s_clause 0x1
	buffer_load_dword v4, off, s[0:3], 0 offset:220
	buffer_load_dword v5, off, s[0:3], 0 offset:228
	v_add_f32_e32 v2, 0, v142
	s_clause 0x6
	buffer_load_dword v8, off, s[0:3], 0 offset:248
	buffer_load_dword v142, off, s[0:3], 0 offset:240
	;; [unrolled: 1-line block ×7, first 2 shown]
	v_add_f32_e32 v2, v2, v162
	v_add_f32_e32 v0, v0, v118
	;; [unrolled: 1-line block ×6, first 2 shown]
	buffer_load_dword v158, off, s[0:3], 0 offset:260
	v_add_f32_e32 v2, v2, v160
	v_add_f32_e32 v2, v2, v149
	s_clause 0x4
	buffer_load_dword v7, off, s[0:3], 0 offset:280
	buffer_load_dword v149, off, s[0:3], 0 offset:272
	;; [unrolled: 1-line block ×5, first 2 shown]
	v_add_f32_e32 v2, v2, v150
	s_clause 0x1
	buffer_load_dword v123, off, s[0:3], 0 offset:276
	buffer_load_dword v150, off, s[0:3], 0 offset:284
	v_add_f32_e32 v2, v2, v151
	buffer_load_dword v151, off, s[0:3], 0 offset:292
	v_add_f32_e32 v2, v2, v153
	s_waitcnt vmcnt(17) lgkmcnt(0)
	v_mul_f32_e32 v152, v111, v4
	v_mul_f32_e32 v4, v112, v4
	s_waitcnt vmcnt(16)
	v_mul_f32_e32 v153, v113, v5
	v_mul_f32_e32 v5, v114, v5
	v_fmac_f32_e32 v152, v112, v117
	v_fma_f32 v117, v111, v117, -v4
	v_add_f32_e32 v111, v2, v155
	s_waitcnt vmcnt(12)
	v_fmac_f32_e32 v153, v114, v3
	v_fma_f32 v154, v113, v3, -v5
	ds_read2_b64 v[2:5], v1 offset0:81 offset1:82
	v_add_f32_e32 v0, v0, v117
	v_add_f32_e32 v6, v111, v122
	s_clause 0x4
	buffer_load_dword v155, off, s[0:3], 0 offset:312
	buffer_load_dword v162, off, s[0:3], 0 offset:304
	;; [unrolled: 1-line block ×5, first 2 shown]
	v_add_f32_e32 v0, v0, v154
	v_add_f32_e32 v6, v6, v131
	s_clause 0x1
	buffer_load_dword v128, off, s[0:3], 0 offset:308
	buffer_load_dword v131, off, s[0:3], 0 offset:316
	ds_read2_b64 v[111:114], v1 offset0:83 offset1:84
	v_add_f32_e32 v6, v6, v129
	v_add_f32_e32 v6, v6, v125
	s_waitcnt vmcnt(18) lgkmcnt(1)
	v_mul_f32_e32 v119, v2, v156
	v_mul_f32_e32 v125, v3, v156
	s_waitcnt vmcnt(17)
	v_mul_f32_e32 v120, v4, v161
	v_mul_f32_e32 v129, v5, v161
	v_fmac_f32_e32 v119, v3, v148
	v_add_f32_e32 v3, v6, v121
	v_fma_f32 v6, v2, v148, -v125
	v_fmac_f32_e32 v120, v5, v142
	v_fma_f32 v121, v4, v142, -v129
	s_clause 0x7
	buffer_load_dword v142, off, s[0:3], 0 offset:324
	buffer_load_dword v148, off, s[0:3], 0 offset:332
	;; [unrolled: 1-line block ×8, first 2 shown]
	v_add_f32_e32 v2, v3, v130
	s_waitcnt vmcnt(24) lgkmcnt(0)
	v_mul_f32_e32 v125, v111, v157
	v_mul_f32_e32 v3, v112, v157
	buffer_load_dword v132, off, s[0:3], 0 offset:356
	s_waitcnt vmcnt(24)
	v_mul_f32_e32 v127, v113, v158
	v_add_f32_e32 v2, v2, v134
	v_fmac_f32_e32 v125, v112, v8
	v_fma_f32 v8, v111, v8, -v3
	v_add_f32_e32 v0, v0, v6
	s_waitcnt vmcnt(20)
	v_fmac_f32_e32 v127, v114, v160
	v_add_f32_e32 v2, v2, v135
	s_clause 0x4
	buffer_load_dword v133, off, s[0:3], 0 offset:364
	buffer_load_dword v134, off, s[0:3], 0 offset:372
	;; [unrolled: 1-line block ×5, first 2 shown]
	v_add_f32_e32 v0, v0, v121
	v_add_f32_e32 v111, v2, v138
	v_mul_f32_e32 v2, v114, v158
	buffer_load_dword v138, off, s[0:3], 0 offset:404
	v_add_f32_e32 v0, v0, v8
	v_add_f32_e32 v111, v111, v139
	v_fma_f32 v129, v113, v160, -v2
	ds_read2_b64 v[2:5], v1 offset0:85 offset1:86
	v_add_f32_e32 v111, v111, v145
	s_clause 0x3
	buffer_load_dword v139, off, s[0:3], 0 offset:376
	buffer_load_dword v143, off, s[0:3], 0 offset:368
	;; [unrolled: 1-line block ×4, first 2 shown]
	v_add_f32_e32 v0, v0, v129
	v_add_f32_e32 v111, v111, v136
	;; [unrolled: 1-line block ×3, first 2 shown]
	ds_read2_b64 v[111:114], v1 offset0:87 offset1:88
	s_waitcnt vmcnt(29) lgkmcnt(1)
	v_mul_f32_e32 v116, v3, v124
	v_mul_f32_e32 v130, v2, v124
	s_waitcnt vmcnt(28)
	v_mul_f32_e32 v147, v4, v123
	v_fma_f32 v124, v2, v159, -v116
	v_add_f32_e32 v2, v115, v144
	s_clause 0x3
	buffer_load_dword v136, off, s[0:3], 0 offset:400
	buffer_load_dword v140, off, s[0:3], 0 offset:392
	buffer_load_dword v144, off, s[0:3], 0 offset:384
	buffer_load_dword v146, off, s[0:3], 0
	v_fmac_f32_e32 v130, v3, v159
	v_mul_f32_e32 v3, v5, v123
	v_add_f32_e32 v2, v2, v152
	v_fmac_f32_e32 v147, v5, v149
	v_add_f32_e32 v0, v0, v124
	s_waitcnt vmcnt(31) lgkmcnt(0)
	v_mul_f32_e32 v152, v111, v150
	v_fma_f32 v149, v4, v149, -v3
	v_add_f32_e32 v115, v2, v153
	ds_read2_b64 v[2:5], v1 offset0:89 offset1:90
	v_fmac_f32_e32 v152, v112, v7
	v_add_f32_e32 v0, v0, v149
	v_add_f32_e32 v115, v115, v119
	v_mul_f32_e32 v119, v112, v150
	s_waitcnt vmcnt(30)
	v_mul_f32_e32 v150, v113, v151
	v_add_f32_e32 v6, v115, v120
	ds_read2_b64 v[115:118], v1 offset0:91 offset1:92
	v_mul_f32_e32 v120, v114, v151
	v_fma_f32 v7, v111, v7, -v119
	v_add_f32_e32 v6, v6, v125
	v_add_f32_e32 v0, v0, v7
	;; [unrolled: 1-line block ×3, first 2 shown]
	s_waitcnt vmcnt(26)
	v_fma_f32 v151, v113, v122, -v120
	s_waitcnt vmcnt(25) lgkmcnt(1)
	v_mul_f32_e32 v8, v2, v126
	v_mul_f32_e32 v123, v3, v126
	v_fmac_f32_e32 v150, v114, v122
	s_waitcnt vmcnt(24)
	v_mul_f32_e32 v153, v4, v128
	v_mul_f32_e32 v125, v5, v128
	v_fmac_f32_e32 v8, v3, v163
	v_add_f32_e32 v3, v6, v130
	ds_read2_b64 v[111:114], v1 offset0:93 offset1:94
	ds_read2_b64 v[119:122], v1 offset0:95 offset1:96
	v_fmac_f32_e32 v153, v5, v162
	v_fma_f32 v6, v2, v163, -v123
	v_fma_f32 v154, v4, v162, -v125
	v_add_f32_e32 v147, v3, v147
	ds_read2_b64 v[2:5], v1 offset0:97 offset1:98
	ds_read2_b64 v[123:126], v1 offset0:99 offset1:100
	ds_read2_b64 v[127:130], v1 offset0:101 offset1:102
	v_add_f32_e32 v0, v0, v151
	v_add_f32_e32 v1, v147, v152
	s_waitcnt vmcnt(23) lgkmcnt(5)
	v_mul_f32_e32 v147, v115, v131
	v_mul_f32_e32 v131, v116, v131
	v_add_f32_e32 v0, v0, v6
	s_waitcnt vmcnt(22)
	v_mul_f32_e32 v7, v117, v142
	v_add_f32_e32 v1, v1, v150
	v_mul_f32_e32 v142, v118, v142
	v_fma_f32 v115, v115, v155, -v131
	v_add_f32_e32 v0, v0, v154
	v_fmac_f32_e32 v147, v116, v155
	v_add_f32_e32 v1, v1, v8
	s_waitcnt vmcnt(21) lgkmcnt(4)
	v_mul_f32_e32 v149, v111, v148
	v_mul_f32_e32 v148, v112, v148
	s_waitcnt vmcnt(15)
	v_fma_f32 v117, v117, v167, -v142
	v_add_f32_e32 v0, v0, v115
	v_add_f32_e32 v1, v1, v153
	v_fmac_f32_e32 v7, v118, v167
	v_mul_f32_e32 v152, v114, v156
	v_fma_f32 v111, v111, v166, -v148
	v_add_f32_e32 v0, v0, v117
	v_add_f32_e32 v1, v1, v147
	v_mul_f32_e32 v116, v113, v156
	v_fmac_f32_e32 v149, v112, v166
	v_fma_f32 v112, v113, v165, -v152
	v_add_f32_e32 v0, v0, v111
	v_add_f32_e32 v1, v1, v7
	s_waitcnt lgkmcnt(3)
	v_mul_f32_e32 v7, v120, v161
	v_mul_f32_e32 v131, v119, v161
	v_fmac_f32_e32 v116, v114, v165
	s_waitcnt vmcnt(14)
	v_mul_f32_e32 v111, v122, v132
	v_add_f32_e32 v1, v1, v149
	v_fma_f32 v7, v119, v164, -v7
	v_add_f32_e32 v0, v0, v112
	v_mul_f32_e32 v8, v121, v132
	v_fmac_f32_e32 v131, v120, v164
	v_add_f32_e32 v1, v1, v116
	s_waitcnt vmcnt(13) lgkmcnt(2)
	v_mul_f32_e32 v112, v3, v133
	s_waitcnt vmcnt(4)
	v_fma_f32 v111, v121, v158, -v111
	v_add_f32_e32 v0, v0, v7
	v_mul_f32_e32 v6, v2, v133
	v_fmac_f32_e32 v8, v122, v158
	v_add_f32_e32 v1, v1, v131
	v_mul_f32_e32 v7, v5, v134
	v_fma_f32 v2, v2, v145, -v112
	v_add_f32_e32 v0, v0, v111
	v_mul_f32_e32 v118, v4, v134
	v_fmac_f32_e32 v6, v3, v145
	v_add_f32_e32 v1, v1, v8
	s_waitcnt lgkmcnt(1)
	v_mul_f32_e32 v3, v124, v135
	v_fma_f32 v4, v4, v143, -v7
	v_add_f32_e32 v0, v0, v2
	v_mul_f32_e32 v142, v123, v135
	v_fmac_f32_e32 v118, v5, v143
	v_add_f32_e32 v1, v1, v6
	v_mul_f32_e32 v2, v126, v137
	v_fma_f32 v3, v123, v139, -v3
	v_add_f32_e32 v0, v0, v4
	v_mul_f32_e32 v150, v125, v137
	v_fmac_f32_e32 v142, v124, v139
	v_add_f32_e32 v1, v1, v118
	s_waitcnt lgkmcnt(0)
	v_mul_f32_e32 v4, v128, v157
	s_waitcnt vmcnt(1)
	v_fma_f32 v2, v125, v144, -v2
	v_add_f32_e32 v0, v0, v3
	v_mul_f32_e32 v151, v127, v157
	v_fmac_f32_e32 v150, v126, v144
	v_add_f32_e32 v1, v1, v142
	v_mul_f32_e32 v3, v130, v138
	v_fma_f32 v4, v127, v140, -v4
	v_add_f32_e32 v0, v0, v2
	v_mul_f32_e32 v115, v129, v138
	v_fmac_f32_e32 v151, v128, v140
	v_add_f32_e32 v1, v1, v150
	v_fma_f32 v2, v129, v136, -v3
	v_add_f32_e32 v0, v0, v4
	v_fmac_f32_e32 v115, v130, v136
	v_add_f32_e32 v1, v1, v151
	v_add_f32_e32 v0, v0, v2
	;; [unrolled: 1-line block ×3, first 2 shown]
	s_waitcnt vmcnt(0)
	v_sub_f32_e32 v0, v146, v0
	v_sub_f32_e32 v1, v141, v1
	buffer_store_dword v0, off, s[0:3], 0
	buffer_store_dword v1, off, s[0:3], 0 offset:4
	s_cbranch_vccz .LBB50_420
; %bb.320:
	v_mov_b32_e32 v0, 0
	global_load_dword v1, v0, s[20:21] offset:196
	s_waitcnt vmcnt(0)
	v_add_nc_u32_e32 v1, -1, v1
	v_cmp_ne_u32_e32 vcc_lo, 49, v1
	s_cbranch_vccz .LBB50_322
; %bb.321:
	v_lshlrev_b32_e32 v1, 3, v1
	s_clause 0x3
	buffer_load_dword v2, v1, s[0:3], 0 offen
	buffer_load_dword v3, v1, s[0:3], 0 offen offset:4
	buffer_load_dword v4, off, s[0:3], 0 offset:392
	buffer_load_dword v5, off, s[0:3], 0 offset:396
	s_waitcnt vmcnt(3)
	buffer_store_dword v2, off, s[0:3], 0 offset:392
	s_waitcnt vmcnt(2)
	buffer_store_dword v3, off, s[0:3], 0 offset:396
	s_waitcnt vmcnt(1)
	buffer_store_dword v4, v1, s[0:3], 0 offen
	s_waitcnt vmcnt(0)
	buffer_store_dword v5, v1, s[0:3], 0 offen offset:4
.LBB50_322:
	global_load_dword v0, v0, s[20:21] offset:192
	s_waitcnt vmcnt(0)
	v_add_nc_u32_e32 v0, -1, v0
	v_cmp_eq_u32_e32 vcc_lo, 48, v0
	s_cbranch_vccnz .LBB50_324
; %bb.323:
	v_lshlrev_b32_e32 v0, 3, v0
	s_clause 0x3
	buffer_load_dword v1, v0, s[0:3], 0 offen
	buffer_load_dword v2, v0, s[0:3], 0 offen offset:4
	buffer_load_dword v3, off, s[0:3], 0 offset:388
	buffer_load_dword v4, off, s[0:3], 0 offset:384
	s_waitcnt vmcnt(3)
	buffer_store_dword v1, off, s[0:3], 0 offset:384
	s_waitcnt vmcnt(2)
	buffer_store_dword v2, off, s[0:3], 0 offset:388
	s_waitcnt vmcnt(1)
	buffer_store_dword v3, v0, s[0:3], 0 offen offset:4
	s_waitcnt vmcnt(0)
	buffer_store_dword v4, v0, s[0:3], 0 offen
.LBB50_324:
	v_mov_b32_e32 v0, 0
	global_load_dword v1, v0, s[20:21] offset:188
	s_waitcnt vmcnt(0)
	v_add_nc_u32_e32 v1, -1, v1
	v_cmp_eq_u32_e32 vcc_lo, 47, v1
	s_cbranch_vccnz .LBB50_326
; %bb.325:
	v_lshlrev_b32_e32 v1, 3, v1
	s_clause 0x3
	buffer_load_dword v2, v1, s[0:3], 0 offen
	buffer_load_dword v3, v1, s[0:3], 0 offen offset:4
	buffer_load_dword v4, off, s[0:3], 0 offset:376
	buffer_load_dword v5, off, s[0:3], 0 offset:380
	s_waitcnt vmcnt(3)
	buffer_store_dword v2, off, s[0:3], 0 offset:376
	s_waitcnt vmcnt(2)
	buffer_store_dword v3, off, s[0:3], 0 offset:380
	s_waitcnt vmcnt(1)
	buffer_store_dword v4, v1, s[0:3], 0 offen
	s_waitcnt vmcnt(0)
	buffer_store_dword v5, v1, s[0:3], 0 offen offset:4
.LBB50_326:
	global_load_dword v0, v0, s[20:21] offset:184
	s_waitcnt vmcnt(0)
	v_add_nc_u32_e32 v0, -1, v0
	v_cmp_eq_u32_e32 vcc_lo, 46, v0
	s_cbranch_vccnz .LBB50_328
; %bb.327:
	v_lshlrev_b32_e32 v0, 3, v0
	s_clause 0x3
	buffer_load_dword v1, v0, s[0:3], 0 offen
	buffer_load_dword v2, v0, s[0:3], 0 offen offset:4
	buffer_load_dword v3, off, s[0:3], 0 offset:372
	buffer_load_dword v4, off, s[0:3], 0 offset:368
	s_waitcnt vmcnt(3)
	buffer_store_dword v1, off, s[0:3], 0 offset:368
	s_waitcnt vmcnt(2)
	buffer_store_dword v2, off, s[0:3], 0 offset:372
	s_waitcnt vmcnt(1)
	buffer_store_dword v3, v0, s[0:3], 0 offen offset:4
	s_waitcnt vmcnt(0)
	buffer_store_dword v4, v0, s[0:3], 0 offen
.LBB50_328:
	v_mov_b32_e32 v0, 0
	global_load_dword v1, v0, s[20:21] offset:180
	s_waitcnt vmcnt(0)
	v_add_nc_u32_e32 v1, -1, v1
	v_cmp_eq_u32_e32 vcc_lo, 45, v1
	s_cbranch_vccnz .LBB50_330
; %bb.329:
	v_lshlrev_b32_e32 v1, 3, v1
	s_clause 0x3
	buffer_load_dword v2, v1, s[0:3], 0 offen
	buffer_load_dword v3, v1, s[0:3], 0 offen offset:4
	buffer_load_dword v4, off, s[0:3], 0 offset:360
	buffer_load_dword v5, off, s[0:3], 0 offset:364
	s_waitcnt vmcnt(3)
	buffer_store_dword v2, off, s[0:3], 0 offset:360
	s_waitcnt vmcnt(2)
	buffer_store_dword v3, off, s[0:3], 0 offset:364
	s_waitcnt vmcnt(1)
	buffer_store_dword v4, v1, s[0:3], 0 offen
	s_waitcnt vmcnt(0)
	buffer_store_dword v5, v1, s[0:3], 0 offen offset:4
.LBB50_330:
	;; [unrolled: 43-line block ×24, first 2 shown]
	global_load_dword v0, v0, s[20:21]
	s_waitcnt vmcnt(0)
	v_add_nc_u32_e32 v0, -1, v0
	v_cmp_eq_u32_e32 vcc_lo, 0, v0
	s_cbranch_vccnz .LBB50_420
; %bb.419:
	v_lshlrev_b32_e32 v0, 3, v0
	s_clause 0x3
	buffer_load_dword v1, v0, s[0:3], 0 offen
	buffer_load_dword v2, v0, s[0:3], 0 offen offset:4
	buffer_load_dword v3, off, s[0:3], 0 offset:4
	buffer_load_dword v4, off, s[0:3], 0
	s_waitcnt vmcnt(3)
	buffer_store_dword v1, off, s[0:3], 0
	s_waitcnt vmcnt(2)
	buffer_store_dword v2, off, s[0:3], 0 offset:4
	s_waitcnt vmcnt(1)
	buffer_store_dword v3, v0, s[0:3], 0 offen offset:4
	s_waitcnt vmcnt(0)
	buffer_store_dword v4, v0, s[0:3], 0 offen
.LBB50_420:
	s_clause 0x3e
	buffer_load_dword v0, off, s[0:3], 0
	buffer_load_dword v1, off, s[0:3], 0 offset:4
	buffer_load_dword v2, off, s[0:3], 0 offset:8
	;; [unrolled: 1-line block ×62, first 2 shown]
	s_clause 0x26
	buffer_load_dword v166, off, s[0:3], 0 offset:252
	buffer_load_dword v167, off, s[0:3], 0 offset:256
	;; [unrolled: 1-line block ×39, first 2 shown]
	s_waitcnt vmcnt(62)
	global_store_dwordx2 v[95:96], v[0:1], off
	global_store_dwordx2 v[97:98], v[2:3], off
	;; [unrolled: 1-line block ×20, first 2 shown]
	s_waitcnt vmcnt(60)
	global_store_dwordx2 v[45:46], v[143:144], off
	s_waitcnt vmcnt(58)
	global_store_dwordx2 v[47:48], v[145:146], off
	;; [unrolled: 2-line block ×31, first 2 shown]
	s_endpgm
	.section	.rodata,"a",@progbits
	.p2align	6, 0x0
	.amdhsa_kernel _ZN9rocsolver6v33100L18getri_kernel_smallILi51E19rocblas_complex_numIfEPS3_EEvT1_iilPiilS6_bb
		.amdhsa_group_segment_fixed_size 824
		.amdhsa_private_segment_fixed_size 416
		.amdhsa_kernarg_size 60
		.amdhsa_user_sgpr_count 6
		.amdhsa_user_sgpr_private_segment_buffer 1
		.amdhsa_user_sgpr_dispatch_ptr 0
		.amdhsa_user_sgpr_queue_ptr 0
		.amdhsa_user_sgpr_kernarg_segment_ptr 1
		.amdhsa_user_sgpr_dispatch_id 0
		.amdhsa_user_sgpr_flat_scratch_init 0
		.amdhsa_user_sgpr_private_segment_size 0
		.amdhsa_wavefront_size32 1
		.amdhsa_uses_dynamic_stack 0
		.amdhsa_system_sgpr_private_segment_wavefront_offset 1
		.amdhsa_system_sgpr_workgroup_id_x 1
		.amdhsa_system_sgpr_workgroup_id_y 0
		.amdhsa_system_sgpr_workgroup_id_z 0
		.amdhsa_system_sgpr_workgroup_info 0
		.amdhsa_system_vgpr_workitem_id 0
		.amdhsa_next_free_vgpr 252
		.amdhsa_next_free_sgpr 23
		.amdhsa_reserve_vcc 1
		.amdhsa_reserve_flat_scratch 0
		.amdhsa_float_round_mode_32 0
		.amdhsa_float_round_mode_16_64 0
		.amdhsa_float_denorm_mode_32 3
		.amdhsa_float_denorm_mode_16_64 3
		.amdhsa_dx10_clamp 1
		.amdhsa_ieee_mode 1
		.amdhsa_fp16_overflow 0
		.amdhsa_workgroup_processor_mode 1
		.amdhsa_memory_ordered 1
		.amdhsa_forward_progress 1
		.amdhsa_shared_vgpr_count 0
		.amdhsa_exception_fp_ieee_invalid_op 0
		.amdhsa_exception_fp_denorm_src 0
		.amdhsa_exception_fp_ieee_div_zero 0
		.amdhsa_exception_fp_ieee_overflow 0
		.amdhsa_exception_fp_ieee_underflow 0
		.amdhsa_exception_fp_ieee_inexact 0
		.amdhsa_exception_int_div_zero 0
	.end_amdhsa_kernel
	.section	.text._ZN9rocsolver6v33100L18getri_kernel_smallILi51E19rocblas_complex_numIfEPS3_EEvT1_iilPiilS6_bb,"axG",@progbits,_ZN9rocsolver6v33100L18getri_kernel_smallILi51E19rocblas_complex_numIfEPS3_EEvT1_iilPiilS6_bb,comdat
.Lfunc_end50:
	.size	_ZN9rocsolver6v33100L18getri_kernel_smallILi51E19rocblas_complex_numIfEPS3_EEvT1_iilPiilS6_bb, .Lfunc_end50-_ZN9rocsolver6v33100L18getri_kernel_smallILi51E19rocblas_complex_numIfEPS3_EEvT1_iilPiilS6_bb
                                        ; -- End function
	.set _ZN9rocsolver6v33100L18getri_kernel_smallILi51E19rocblas_complex_numIfEPS3_EEvT1_iilPiilS6_bb.num_vgpr, 252
	.set _ZN9rocsolver6v33100L18getri_kernel_smallILi51E19rocblas_complex_numIfEPS3_EEvT1_iilPiilS6_bb.num_agpr, 0
	.set _ZN9rocsolver6v33100L18getri_kernel_smallILi51E19rocblas_complex_numIfEPS3_EEvT1_iilPiilS6_bb.numbered_sgpr, 23
	.set _ZN9rocsolver6v33100L18getri_kernel_smallILi51E19rocblas_complex_numIfEPS3_EEvT1_iilPiilS6_bb.num_named_barrier, 0
	.set _ZN9rocsolver6v33100L18getri_kernel_smallILi51E19rocblas_complex_numIfEPS3_EEvT1_iilPiilS6_bb.private_seg_size, 416
	.set _ZN9rocsolver6v33100L18getri_kernel_smallILi51E19rocblas_complex_numIfEPS3_EEvT1_iilPiilS6_bb.uses_vcc, 1
	.set _ZN9rocsolver6v33100L18getri_kernel_smallILi51E19rocblas_complex_numIfEPS3_EEvT1_iilPiilS6_bb.uses_flat_scratch, 0
	.set _ZN9rocsolver6v33100L18getri_kernel_smallILi51E19rocblas_complex_numIfEPS3_EEvT1_iilPiilS6_bb.has_dyn_sized_stack, 0
	.set _ZN9rocsolver6v33100L18getri_kernel_smallILi51E19rocblas_complex_numIfEPS3_EEvT1_iilPiilS6_bb.has_recursion, 0
	.set _ZN9rocsolver6v33100L18getri_kernel_smallILi51E19rocblas_complex_numIfEPS3_EEvT1_iilPiilS6_bb.has_indirect_call, 0
	.section	.AMDGPU.csdata,"",@progbits
; Kernel info:
; codeLenInByte = 100168
; TotalNumSgprs: 25
; NumVgprs: 252
; ScratchSize: 416
; MemoryBound: 0
; FloatMode: 240
; IeeeMode: 1
; LDSByteSize: 824 bytes/workgroup (compile time only)
; SGPRBlocks: 0
; VGPRBlocks: 31
; NumSGPRsForWavesPerEU: 25
; NumVGPRsForWavesPerEU: 252
; Occupancy: 4
; WaveLimiterHint : 1
; COMPUTE_PGM_RSRC2:SCRATCH_EN: 1
; COMPUTE_PGM_RSRC2:USER_SGPR: 6
; COMPUTE_PGM_RSRC2:TRAP_HANDLER: 0
; COMPUTE_PGM_RSRC2:TGID_X_EN: 1
; COMPUTE_PGM_RSRC2:TGID_Y_EN: 0
; COMPUTE_PGM_RSRC2:TGID_Z_EN: 0
; COMPUTE_PGM_RSRC2:TIDIG_COMP_CNT: 0
	.section	.text._ZN9rocsolver6v33100L18getri_kernel_smallILi52E19rocblas_complex_numIfEPS3_EEvT1_iilPiilS6_bb,"axG",@progbits,_ZN9rocsolver6v33100L18getri_kernel_smallILi52E19rocblas_complex_numIfEPS3_EEvT1_iilPiilS6_bb,comdat
	.globl	_ZN9rocsolver6v33100L18getri_kernel_smallILi52E19rocblas_complex_numIfEPS3_EEvT1_iilPiilS6_bb ; -- Begin function _ZN9rocsolver6v33100L18getri_kernel_smallILi52E19rocblas_complex_numIfEPS3_EEvT1_iilPiilS6_bb
	.p2align	8
	.type	_ZN9rocsolver6v33100L18getri_kernel_smallILi52E19rocblas_complex_numIfEPS3_EEvT1_iilPiilS6_bb,@function
_ZN9rocsolver6v33100L18getri_kernel_smallILi52E19rocblas_complex_numIfEPS3_EEvT1_iilPiilS6_bb: ; @_ZN9rocsolver6v33100L18getri_kernel_smallILi52E19rocblas_complex_numIfEPS3_EEvT1_iilPiilS6_bb
; %bb.0:
	s_add_u32 s0, s0, s7
	s_addc_u32 s1, s1, 0
	s_mov_b32 s7, exec_lo
	v_cmpx_gt_u32_e32 52, v0
	s_cbranch_execz .LBB51_222
; %bb.1:
	s_clause 0x2
	s_load_dword s7, s[4:5], 0x38
	s_load_dwordx4 s[16:19], s[4:5], 0x10
	s_load_dwordx4 s[8:11], s[4:5], 0x28
                                        ; implicit-def: $sgpr20_sgpr21
	s_waitcnt lgkmcnt(0)
	s_bitcmp1_b32 s7, 8
	s_cselect_b32 s22, -1, 0
	s_bfe_u32 s12, s7, 0x10008
	s_ashr_i32 s7, s6, 31
	s_cmp_eq_u32 s12, 0
	s_cbranch_scc1 .LBB51_3
; %bb.2:
	s_load_dword s12, s[4:5], 0x20
	s_mul_i32 s13, s8, s7
	s_mul_hi_u32 s14, s8, s6
	s_mul_i32 s9, s9, s6
	s_add_i32 s13, s14, s13
	s_mul_i32 s8, s8, s6
	s_add_i32 s9, s13, s9
	s_lshl_b64 s[8:9], s[8:9], 2
	s_waitcnt lgkmcnt(0)
	s_ashr_i32 s13, s12, 31
	s_add_u32 s14, s18, s8
	s_addc_u32 s15, s19, s9
	s_lshl_b64 s[8:9], s[12:13], 2
	s_add_u32 s20, s14, s8
	s_addc_u32 s21, s15, s9
.LBB51_3:
	s_clause 0x1
	s_load_dwordx4 s[12:15], s[4:5], 0x0
	s_load_dword s8, s[4:5], 0x38
	s_mul_i32 s4, s16, s7
	s_mul_hi_u32 s5, s16, s6
	s_mul_i32 s9, s17, s6
	s_add_i32 s5, s5, s4
	s_mul_i32 s4, s16, s6
	s_add_i32 s5, s5, s9
	s_lshl_b64 s[4:5], s[4:5], 3
	s_waitcnt lgkmcnt(0)
	v_add3_u32 v1, s15, s15, v0
	s_ashr_i32 s17, s14, 31
	s_mov_b32 s16, s14
	s_add_u32 s9, s12, s4
	s_addc_u32 s12, s13, s5
	v_add_nc_u32_e32 v3, s15, v1
	v_ashrrev_i32_e32 v2, 31, v1
	s_lshl_b64 s[4:5], s[16:17], 3
	s_add_u32 s4, s9, s4
	v_add_nc_u32_e32 v5, s15, v3
	v_ashrrev_i32_e32 v4, 31, v3
	v_lshlrev_b64 v[1:2], 3, v[1:2]
	s_addc_u32 s5, s12, s5
	s_ashr_i32 s13, s15, 31
	v_ashrrev_i32_e32 v6, 31, v5
	v_add_nc_u32_e32 v7, s15, v5
	v_lshlrev_b64 v[3:4], 3, v[3:4]
	v_add_co_u32 v9, vcc_lo, s4, v1
	v_add_co_ci_u32_e64 v10, null, s5, v2, vcc_lo
	v_lshlrev_b64 v[1:2], 3, v[5:6]
	v_ashrrev_i32_e32 v8, 31, v7
	v_add_nc_u32_e32 v5, s15, v7
	v_add_co_u32 v11, vcc_lo, s4, v3
	v_add_co_ci_u32_e64 v12, null, s5, v4, vcc_lo
	v_lshlrev_b64 v[3:4], 3, v[7:8]
	v_ashrrev_i32_e32 v6, 31, v5
	v_add_nc_u32_e32 v7, s15, v5
	;; [unrolled: 5-line block ×37, first 2 shown]
	v_add_co_u32 v83, vcc_lo, s4, v3
	v_add_co_ci_u32_e64 v84, null, s5, v4, vcc_lo
	v_lshlrev_b64 v[3:4], 3, v[7:8]
	v_add_nc_u32_e32 v7, s15, v5
	v_ashrrev_i32_e32 v6, 31, v5
	v_add_co_u32 v85, vcc_lo, s4, v1
	v_add_co_ci_u32_e64 v86, null, s5, v2, vcc_lo
	v_ashrrev_i32_e32 v8, 31, v7
	v_lshlrev_b64 v[1:2], 3, v[5:6]
	v_add_co_u32 v87, vcc_lo, s4, v3
	v_add_co_ci_u32_e64 v88, null, s5, v4, vcc_lo
	v_lshlrev_b64 v[3:4], 3, v[7:8]
	v_add_co_u32 v89, vcc_lo, s4, v1
	v_add_nc_u32_e32 v1, s15, v7
	v_add_co_ci_u32_e64 v90, null, s5, v2, vcc_lo
	v_add_co_u32 v91, vcc_lo, s4, v3
	v_add_co_ci_u32_e64 v92, null, s5, v4, vcc_lo
	v_add_nc_u32_e32 v4, s15, v1
	v_lshlrev_b32_e32 v3, 3, v0
	v_ashrrev_i32_e32 v2, 31, v1
	s_mov_b32 s12, s15
	v_add_nc_u32_e32 v6, s15, v4
	v_ashrrev_i32_e32 v5, 31, v4
	v_add_co_u32 v95, s9, s4, v3
	v_lshlrev_b64 v[1:2], 3, v[1:2]
	v_add_nc_u32_e32 v103, s15, v6
	v_ashrrev_i32_e32 v7, 31, v6
	v_add_co_ci_u32_e64 v96, null, s5, 0, s9
	s_lshl_b64 s[12:13], s[12:13], 3
	v_add_nc_u32_e32 v105, s15, v103
	v_ashrrev_i32_e32 v104, 31, v103
	v_lshlrev_b64 v[4:5], 3, v[4:5]
	v_add_co_u32 v97, vcc_lo, v95, s12
	v_add_nc_u32_e32 v107, s15, v105
	v_ashrrev_i32_e32 v106, 31, v105
	v_lshlrev_b64 v[6:7], 3, v[6:7]
	v_add_co_ci_u32_e64 v98, null, s13, v96, vcc_lo
	v_add_nc_u32_e32 v109, s15, v107
	v_ashrrev_i32_e32 v108, 31, v107
	v_add_co_u32 v93, vcc_lo, s4, v1
	v_lshlrev_b64 v[103:104], 3, v[103:104]
	v_add_nc_u32_e32 v111, s15, v109
	v_ashrrev_i32_e32 v110, 31, v109
	v_add_co_ci_u32_e64 v94, null, s5, v2, vcc_lo
	v_add_co_u32 v99, vcc_lo, s4, v4
	v_lshlrev_b64 v[105:106], 3, v[105:106]
	v_ashrrev_i32_e32 v112, 31, v111
	v_add_co_ci_u32_e64 v100, null, s5, v5, vcc_lo
	v_add_co_u32 v101, vcc_lo, s4, v6
	v_lshlrev_b64 v[107:108], 3, v[107:108]
	v_add_co_ci_u32_e64 v102, null, s5, v7, vcc_lo
	v_add_co_u32 v103, vcc_lo, s4, v103
	v_lshlrev_b64 v[109:110], 3, v[109:110]
	;; [unrolled: 3-line block ×3, first 2 shown]
	v_add_co_ci_u32_e64 v106, null, s5, v106, vcc_lo
	v_add_co_u32 v107, vcc_lo, s4, v107
	v_add_co_ci_u32_e64 v108, null, s5, v108, vcc_lo
	v_add_co_u32 v109, vcc_lo, s4, v109
	;; [unrolled: 2-line block ×3, first 2 shown]
	v_add_co_ci_u32_e64 v112, null, s5, v112, vcc_lo
	s_clause 0x33
	global_load_dwordx2 v[113:114], v3, s[4:5]
	global_load_dwordx2 v[115:116], v[97:98], off
	global_load_dwordx2 v[117:118], v[9:10], off
	;; [unrolled: 1-line block ×51, first 2 shown]
	s_mov_b32 s5, -1
	s_bitcmp0_b32 s8, 0
	s_waitcnt vmcnt(51)
	buffer_store_dword v114, off, s[0:3], 0 offset:4
	buffer_store_dword v113, off, s[0:3], 0
	s_waitcnt vmcnt(50)
	buffer_store_dword v116, off, s[0:3], 0 offset:12
	buffer_store_dword v115, off, s[0:3], 0 offset:8
	s_waitcnt vmcnt(49)
	buffer_store_dword v118, off, s[0:3], 0 offset:20
	buffer_store_dword v117, off, s[0:3], 0 offset:16
	;; [unrolled: 3-line block ×51, first 2 shown]
	s_cbranch_scc1 .LBB51_220
; %bb.4:
	v_cmp_eq_u32_e64 s4, 0, v0
	s_and_saveexec_b32 s5, s4
; %bb.5:
	v_mov_b32_e32 v1, 0
	ds_write_b32 v1, v1 offset:832
; %bb.6:
	s_or_b32 exec_lo, exec_lo, s5
	v_lshl_add_u32 v5, v0, 3, 0
	s_waitcnt lgkmcnt(0)
	s_waitcnt_vscnt null, 0x0
	s_barrier
	buffer_gl0_inv
	s_clause 0x1
	buffer_load_dword v1, v5, s[0:3], 0 offen
	buffer_load_dword v2, v5, s[0:3], 0 offen offset:4
	s_waitcnt vmcnt(1)
	v_cmp_eq_f32_e32 vcc_lo, 0, v1
	s_waitcnt vmcnt(0)
	v_cmp_eq_f32_e64 s5, 0, v2
	s_and_b32 s5, vcc_lo, s5
	s_and_saveexec_b32 s8, s5
	s_cbranch_execz .LBB51_10
; %bb.7:
	v_mov_b32_e32 v1, 0
	s_mov_b32 s9, 0
	ds_read_b32 v2, v1 offset:832
	s_waitcnt lgkmcnt(0)
	v_readfirstlane_b32 s5, v2
	v_add_nc_u32_e32 v2, 1, v0
	s_cmp_eq_u32 s5, 0
	v_cmp_gt_i32_e32 vcc_lo, s5, v2
	s_cselect_b32 s12, -1, 0
	s_or_b32 s12, s12, vcc_lo
	s_and_b32 exec_lo, exec_lo, s12
	s_cbranch_execz .LBB51_10
; %bb.8:
	v_mov_b32_e32 v4, s5
.LBB51_9:                               ; =>This Inner Loop Header: Depth=1
	ds_cmpst_rtn_b32 v4, v1, v4, v2 offset:832
	s_waitcnt lgkmcnt(0)
	v_cmp_ne_u32_e32 vcc_lo, 0, v4
	v_cmp_le_i32_e64 s5, v4, v2
	s_and_b32 s5, vcc_lo, s5
	s_and_b32 s5, exec_lo, s5
	s_or_b32 s9, s5, s9
	s_andn2_b32 exec_lo, exec_lo, s9
	s_cbranch_execnz .LBB51_9
.LBB51_10:
	s_or_b32 exec_lo, exec_lo, s8
	v_mov_b32_e32 v1, 0
	s_barrier
	buffer_gl0_inv
	ds_read_b32 v2, v1 offset:832
	s_and_saveexec_b32 s5, s4
	s_cbranch_execz .LBB51_12
; %bb.11:
	s_lshl_b64 s[8:9], s[6:7], 2
	s_add_u32 s8, s10, s8
	s_addc_u32 s9, s11, s9
	s_waitcnt lgkmcnt(0)
	global_store_dword v1, v2, s[8:9]
.LBB51_12:
	s_or_b32 exec_lo, exec_lo, s5
	s_waitcnt lgkmcnt(0)
	v_cmp_ne_u32_e32 vcc_lo, 0, v2
	s_mov_b32 s5, 0
	s_cbranch_vccnz .LBB51_220
; %bb.13:
	s_clause 0x1
	buffer_load_dword v2, v5, s[0:3], 0 offen
	buffer_load_dword v4, v5, s[0:3], 0 offen offset:4
                                        ; implicit-def: $vgpr7
                                        ; implicit-def: $vgpr6
                                        ; implicit-def: $vgpr1
	s_waitcnt vmcnt(0)
	v_cmp_ngt_f32_e64 s5, |v2|, |v4|
	s_and_saveexec_b32 s8, s5
	s_xor_b32 s5, exec_lo, s8
	s_cbranch_execz .LBB51_15
; %bb.14:
	v_div_scale_f32 v1, null, v4, v4, v2
	v_div_scale_f32 v8, vcc_lo, v2, v4, v2
	v_rcp_f32_e32 v6, v1
	v_fma_f32 v7, -v1, v6, 1.0
	v_fmac_f32_e32 v6, v7, v6
	v_mul_f32_e32 v7, v8, v6
	v_fma_f32 v113, -v1, v7, v8
	v_fmac_f32_e32 v7, v113, v6
	v_fma_f32 v1, -v1, v7, v8
	v_div_fmas_f32 v1, v1, v6, v7
	v_div_fixup_f32 v1, v1, v4, v2
	v_fmac_f32_e32 v4, v2, v1
	v_div_scale_f32 v2, null, v4, v4, 1.0
	v_rcp_f32_e32 v6, v2
	v_fma_f32 v7, -v2, v6, 1.0
	v_fmac_f32_e32 v6, v7, v6
	v_div_scale_f32 v7, vcc_lo, 1.0, v4, 1.0
	v_mul_f32_e32 v8, v7, v6
	v_fma_f32 v113, -v2, v8, v7
	v_fmac_f32_e32 v8, v113, v6
	v_fma_f32 v2, -v2, v8, v7
	v_div_fmas_f32 v2, v2, v6, v8
	v_div_fixup_f32 v2, v2, v4, 1.0
                                        ; implicit-def: $vgpr4
	v_mul_f32_e32 v7, v1, v2
	v_xor_b32_e32 v6, 0x80000000, v2
                                        ; implicit-def: $vgpr2
	v_xor_b32_e32 v1, 0x80000000, v7
.LBB51_15:
	s_andn2_saveexec_b32 s5, s5
	s_cbranch_execz .LBB51_17
; %bb.16:
	v_div_scale_f32 v1, null, v2, v2, v4
	v_div_scale_f32 v8, vcc_lo, v4, v2, v4
	v_rcp_f32_e32 v6, v1
	v_fma_f32 v7, -v1, v6, 1.0
	v_fmac_f32_e32 v6, v7, v6
	v_mul_f32_e32 v7, v8, v6
	v_fma_f32 v113, -v1, v7, v8
	v_fmac_f32_e32 v7, v113, v6
	v_fma_f32 v1, -v1, v7, v8
	v_div_fmas_f32 v1, v1, v6, v7
	v_div_fixup_f32 v6, v1, v2, v4
	v_fmac_f32_e32 v2, v4, v6
	v_div_scale_f32 v1, null, v2, v2, 1.0
	v_div_scale_f32 v8, vcc_lo, 1.0, v2, 1.0
	v_rcp_f32_e32 v4, v1
	v_fma_f32 v7, -v1, v4, 1.0
	v_fmac_f32_e32 v4, v7, v4
	v_mul_f32_e32 v7, v8, v4
	v_fma_f32 v113, -v1, v7, v8
	v_fmac_f32_e32 v7, v113, v4
	v_fma_f32 v1, -v1, v7, v8
	v_div_fmas_f32 v1, v1, v4, v7
	v_div_fixup_f32 v7, v1, v2, 1.0
	v_xor_b32_e32 v1, 0x80000000, v7
	v_mul_f32_e64 v6, v6, -v7
.LBB51_17:
	s_or_b32 exec_lo, exec_lo, s5
	buffer_store_dword v7, v5, s[0:3], 0 offen
	buffer_store_dword v6, v5, s[0:3], 0 offen offset:4
	s_clause 0x1
	buffer_load_dword v8, off, s[0:3], 0 offset:12
	buffer_load_dword v7, off, s[0:3], 0 offset:8
	v_xor_b32_e32 v2, 0x80000000, v6
	v_add_nc_u32_e32 v4, 0x1a0, v3
	s_waitcnt vmcnt(0)
	ds_write2_b64 v3, v[1:2], v[7:8] offset1:52
	s_waitcnt lgkmcnt(0)
	s_waitcnt_vscnt null, 0x0
	s_barrier
	buffer_gl0_inv
	s_and_saveexec_b32 s5, s4
	s_cbranch_execz .LBB51_19
; %bb.18:
	s_clause 0x1
	buffer_load_dword v8, v5, s[0:3], 0 offen offset:4
	buffer_load_dword v113, v5, s[0:3], 0 offen
	ds_read_b64 v[1:2], v4
	v_mov_b32_e32 v6, 0
	ds_read_b64 v[6:7], v6 offset:8
	s_waitcnt vmcnt(1) lgkmcnt(1)
	v_mul_f32_e32 v114, v1, v8
	v_mul_f32_e32 v8, v2, v8
	s_waitcnt vmcnt(0)
	v_fmac_f32_e32 v114, v2, v113
	v_fma_f32 v1, v1, v113, -v8
	v_add_f32_e32 v2, 0, v114
	v_add_f32_e32 v1, 0, v1
	s_waitcnt lgkmcnt(0)
	v_mul_f32_e32 v8, v2, v7
	v_mul_f32_e32 v7, v1, v7
	v_fma_f32 v1, v1, v6, -v8
	v_fmac_f32_e32 v7, v2, v6
	buffer_store_dword v1, off, s[0:3], 0 offset:8
	buffer_store_dword v7, off, s[0:3], 0 offset:12
.LBB51_19:
	s_or_b32 exec_lo, exec_lo, s5
	s_waitcnt_vscnt null, 0x0
	s_barrier
	buffer_gl0_inv
	s_clause 0x1
	buffer_load_dword v1, off, s[0:3], 0 offset:16
	buffer_load_dword v2, off, s[0:3], 0 offset:20
	s_mov_b32 s5, exec_lo
	s_waitcnt vmcnt(0)
	ds_write_b64 v4, v[1:2]
	s_waitcnt lgkmcnt(0)
	s_barrier
	buffer_gl0_inv
	v_cmpx_gt_u32_e32 2, v0
	s_cbranch_execz .LBB51_23
; %bb.20:
	s_clause 0x1
	buffer_load_dword v6, v5, s[0:3], 0 offen offset:4
	buffer_load_dword v5, v5, s[0:3], 0 offen
	ds_read_b64 v[1:2], v4
	s_waitcnt vmcnt(1) lgkmcnt(0)
	v_mul_f32_e32 v7, v2, v6
	v_mul_f32_e32 v6, v1, v6
	s_waitcnt vmcnt(0)
	v_fma_f32 v1, v1, v5, -v7
	v_fmac_f32_e32 v6, v2, v5
	v_add_f32_e32 v2, 0, v1
	v_add_f32_e32 v1, 0, v6
	s_and_saveexec_b32 s8, s4
	s_cbranch_execz .LBB51_22
; %bb.21:
	s_clause 0x1
	buffer_load_dword v7, off, s[0:3], 0 offset:12
	buffer_load_dword v8, off, s[0:3], 0 offset:8
	v_mov_b32_e32 v5, 0
	ds_read_b64 v[5:6], v5 offset:424
	s_waitcnt vmcnt(1) lgkmcnt(0)
	v_mul_f32_e32 v113, v5, v7
	v_mul_f32_e32 v7, v6, v7
	s_waitcnt vmcnt(0)
	v_fmac_f32_e32 v113, v6, v8
	v_fma_f32 v5, v5, v8, -v7
	v_add_f32_e32 v1, v1, v113
	v_add_f32_e32 v2, v2, v5
.LBB51_22:
	s_or_b32 exec_lo, exec_lo, s8
	v_mov_b32_e32 v5, 0
	ds_read_b64 v[5:6], v5 offset:16
	s_waitcnt lgkmcnt(0)
	v_mul_f32_e32 v7, v1, v6
	v_mul_f32_e32 v6, v2, v6
	v_fma_f32 v2, v2, v5, -v7
	v_fmac_f32_e32 v6, v1, v5
	buffer_store_dword v2, off, s[0:3], 0 offset:16
	buffer_store_dword v6, off, s[0:3], 0 offset:20
.LBB51_23:
	s_or_b32 exec_lo, exec_lo, s5
	s_waitcnt_vscnt null, 0x0
	s_barrier
	buffer_gl0_inv
	s_clause 0x1
	buffer_load_dword v5, off, s[0:3], 0 offset:24
	buffer_load_dword v6, off, s[0:3], 0 offset:28
	v_add_nc_u32_e32 v1, -1, v0
	s_mov_b32 s4, exec_lo
	s_waitcnt vmcnt(0)
	ds_write_b64 v4, v[5:6]
	s_waitcnt lgkmcnt(0)
	s_barrier
	buffer_gl0_inv
	v_cmpx_gt_u32_e32 3, v0
	s_cbranch_execz .LBB51_27
; %bb.24:
	v_add_nc_u32_e32 v5, -1, v0
	v_add_nc_u32_e32 v6, 0x1a0, v3
	v_mov_b32_e32 v7, v3
	v_mov_b32_e32 v2, 0
	;; [unrolled: 1-line block ×3, first 2 shown]
	s_mov_b32 s5, 0
	.p2align	6
.LBB51_25:                              ; =>This Inner Loop Header: Depth=1
	s_clause 0x1
	buffer_load_dword v115, v7, s[0:3], 0 offen offset:4
	buffer_load_dword v116, v7, s[0:3], 0 offen
	ds_read_b64 v[113:114], v6
	v_add_nc_u32_e32 v5, 1, v5
	v_add_nc_u32_e32 v6, 8, v6
	;; [unrolled: 1-line block ×3, first 2 shown]
	v_cmp_lt_u32_e32 vcc_lo, 1, v5
	s_or_b32 s5, vcc_lo, s5
	s_waitcnt vmcnt(1) lgkmcnt(0)
	v_mul_f32_e32 v117, v114, v115
	v_mul_f32_e32 v115, v113, v115
	s_waitcnt vmcnt(0)
	v_fma_f32 v113, v113, v116, -v117
	v_fmac_f32_e32 v115, v114, v116
	v_add_f32_e32 v8, v8, v113
	v_add_f32_e32 v2, v2, v115
	s_andn2_b32 exec_lo, exec_lo, s5
	s_cbranch_execnz .LBB51_25
; %bb.26:
	s_or_b32 exec_lo, exec_lo, s5
	v_mov_b32_e32 v5, 0
	ds_read_b64 v[5:6], v5 offset:24
	s_waitcnt lgkmcnt(0)
	v_mul_f32_e32 v7, v2, v6
	v_mul_f32_e32 v6, v8, v6
	v_fma_f32 v7, v8, v5, -v7
	v_fmac_f32_e32 v6, v2, v5
	buffer_store_dword v7, off, s[0:3], 0 offset:24
	buffer_store_dword v6, off, s[0:3], 0 offset:28
.LBB51_27:
	s_or_b32 exec_lo, exec_lo, s4
	s_waitcnt_vscnt null, 0x0
	s_barrier
	buffer_gl0_inv
	s_clause 0x1
	buffer_load_dword v5, off, s[0:3], 0 offset:32
	buffer_load_dword v6, off, s[0:3], 0 offset:36
	s_mov_b32 s4, exec_lo
	s_waitcnt vmcnt(0)
	ds_write_b64 v4, v[5:6]
	s_waitcnt lgkmcnt(0)
	s_barrier
	buffer_gl0_inv
	v_cmpx_gt_u32_e32 4, v0
	s_cbranch_execz .LBB51_31
; %bb.28:
	v_add_nc_u32_e32 v5, -1, v0
	v_add_nc_u32_e32 v6, 0x1a0, v3
	v_mov_b32_e32 v7, v3
	v_mov_b32_e32 v2, 0
	;; [unrolled: 1-line block ×3, first 2 shown]
	s_mov_b32 s5, 0
	.p2align	6
.LBB51_29:                              ; =>This Inner Loop Header: Depth=1
	s_clause 0x1
	buffer_load_dword v115, v7, s[0:3], 0 offen offset:4
	buffer_load_dword v116, v7, s[0:3], 0 offen
	ds_read_b64 v[113:114], v6
	v_add_nc_u32_e32 v5, 1, v5
	v_add_nc_u32_e32 v6, 8, v6
	;; [unrolled: 1-line block ×3, first 2 shown]
	v_cmp_lt_u32_e32 vcc_lo, 2, v5
	s_or_b32 s5, vcc_lo, s5
	s_waitcnt vmcnt(1) lgkmcnt(0)
	v_mul_f32_e32 v117, v114, v115
	v_mul_f32_e32 v115, v113, v115
	s_waitcnt vmcnt(0)
	v_fma_f32 v113, v113, v116, -v117
	v_fmac_f32_e32 v115, v114, v116
	v_add_f32_e32 v8, v8, v113
	v_add_f32_e32 v2, v2, v115
	s_andn2_b32 exec_lo, exec_lo, s5
	s_cbranch_execnz .LBB51_29
; %bb.30:
	s_or_b32 exec_lo, exec_lo, s5
	v_mov_b32_e32 v5, 0
	ds_read_b64 v[5:6], v5 offset:32
	s_waitcnt lgkmcnt(0)
	v_mul_f32_e32 v7, v2, v6
	v_mul_f32_e32 v6, v8, v6
	v_fma_f32 v7, v8, v5, -v7
	v_fmac_f32_e32 v6, v2, v5
	buffer_store_dword v7, off, s[0:3], 0 offset:32
	buffer_store_dword v6, off, s[0:3], 0 offset:36
.LBB51_31:
	s_or_b32 exec_lo, exec_lo, s4
	s_waitcnt_vscnt null, 0x0
	s_barrier
	buffer_gl0_inv
	s_clause 0x1
	buffer_load_dword v5, off, s[0:3], 0 offset:40
	buffer_load_dword v6, off, s[0:3], 0 offset:44
	s_mov_b32 s4, exec_lo
	s_waitcnt vmcnt(0)
	ds_write_b64 v4, v[5:6]
	s_waitcnt lgkmcnt(0)
	s_barrier
	buffer_gl0_inv
	v_cmpx_gt_u32_e32 5, v0
	s_cbranch_execz .LBB51_35
; %bb.32:
	v_add_nc_u32_e32 v5, -1, v0
	v_add_nc_u32_e32 v6, 0x1a0, v3
	v_mov_b32_e32 v7, v3
	v_mov_b32_e32 v2, 0
	;; [unrolled: 1-line block ×3, first 2 shown]
	s_mov_b32 s5, 0
	.p2align	6
.LBB51_33:                              ; =>This Inner Loop Header: Depth=1
	s_clause 0x1
	buffer_load_dword v115, v7, s[0:3], 0 offen offset:4
	buffer_load_dword v116, v7, s[0:3], 0 offen
	ds_read_b64 v[113:114], v6
	v_add_nc_u32_e32 v5, 1, v5
	v_add_nc_u32_e32 v6, 8, v6
	v_add_nc_u32_e32 v7, 8, v7
	v_cmp_lt_u32_e32 vcc_lo, 3, v5
	s_or_b32 s5, vcc_lo, s5
	s_waitcnt vmcnt(1) lgkmcnt(0)
	v_mul_f32_e32 v117, v114, v115
	v_mul_f32_e32 v115, v113, v115
	s_waitcnt vmcnt(0)
	v_fma_f32 v113, v113, v116, -v117
	v_fmac_f32_e32 v115, v114, v116
	v_add_f32_e32 v8, v8, v113
	v_add_f32_e32 v2, v2, v115
	s_andn2_b32 exec_lo, exec_lo, s5
	s_cbranch_execnz .LBB51_33
; %bb.34:
	s_or_b32 exec_lo, exec_lo, s5
	v_mov_b32_e32 v5, 0
	ds_read_b64 v[5:6], v5 offset:40
	s_waitcnt lgkmcnt(0)
	v_mul_f32_e32 v7, v2, v6
	v_mul_f32_e32 v6, v8, v6
	v_fma_f32 v7, v8, v5, -v7
	v_fmac_f32_e32 v6, v2, v5
	buffer_store_dword v7, off, s[0:3], 0 offset:40
	buffer_store_dword v6, off, s[0:3], 0 offset:44
.LBB51_35:
	s_or_b32 exec_lo, exec_lo, s4
	s_waitcnt_vscnt null, 0x0
	s_barrier
	buffer_gl0_inv
	s_clause 0x1
	buffer_load_dword v5, off, s[0:3], 0 offset:48
	buffer_load_dword v6, off, s[0:3], 0 offset:52
	s_mov_b32 s4, exec_lo
	s_waitcnt vmcnt(0)
	ds_write_b64 v4, v[5:6]
	s_waitcnt lgkmcnt(0)
	s_barrier
	buffer_gl0_inv
	v_cmpx_gt_u32_e32 6, v0
	s_cbranch_execz .LBB51_39
; %bb.36:
	v_add_nc_u32_e32 v5, -1, v0
	v_add_nc_u32_e32 v6, 0x1a0, v3
	v_mov_b32_e32 v7, v3
	v_mov_b32_e32 v2, 0
	;; [unrolled: 1-line block ×3, first 2 shown]
	s_mov_b32 s5, 0
	.p2align	6
.LBB51_37:                              ; =>This Inner Loop Header: Depth=1
	s_clause 0x1
	buffer_load_dword v115, v7, s[0:3], 0 offen offset:4
	buffer_load_dword v116, v7, s[0:3], 0 offen
	ds_read_b64 v[113:114], v6
	v_add_nc_u32_e32 v5, 1, v5
	v_add_nc_u32_e32 v6, 8, v6
	;; [unrolled: 1-line block ×3, first 2 shown]
	v_cmp_lt_u32_e32 vcc_lo, 4, v5
	s_or_b32 s5, vcc_lo, s5
	s_waitcnt vmcnt(1) lgkmcnt(0)
	v_mul_f32_e32 v117, v114, v115
	v_mul_f32_e32 v115, v113, v115
	s_waitcnt vmcnt(0)
	v_fma_f32 v113, v113, v116, -v117
	v_fmac_f32_e32 v115, v114, v116
	v_add_f32_e32 v8, v8, v113
	v_add_f32_e32 v2, v2, v115
	s_andn2_b32 exec_lo, exec_lo, s5
	s_cbranch_execnz .LBB51_37
; %bb.38:
	s_or_b32 exec_lo, exec_lo, s5
	v_mov_b32_e32 v5, 0
	ds_read_b64 v[5:6], v5 offset:48
	s_waitcnt lgkmcnt(0)
	v_mul_f32_e32 v7, v2, v6
	v_mul_f32_e32 v6, v8, v6
	v_fma_f32 v7, v8, v5, -v7
	v_fmac_f32_e32 v6, v2, v5
	buffer_store_dword v7, off, s[0:3], 0 offset:48
	buffer_store_dword v6, off, s[0:3], 0 offset:52
.LBB51_39:
	s_or_b32 exec_lo, exec_lo, s4
	s_waitcnt_vscnt null, 0x0
	s_barrier
	buffer_gl0_inv
	s_clause 0x1
	buffer_load_dword v5, off, s[0:3], 0 offset:56
	buffer_load_dword v6, off, s[0:3], 0 offset:60
	s_mov_b32 s4, exec_lo
	s_waitcnt vmcnt(0)
	ds_write_b64 v4, v[5:6]
	s_waitcnt lgkmcnt(0)
	s_barrier
	buffer_gl0_inv
	v_cmpx_gt_u32_e32 7, v0
	s_cbranch_execz .LBB51_43
; %bb.40:
	v_add_nc_u32_e32 v5, -1, v0
	v_add_nc_u32_e32 v6, 0x1a0, v3
	v_mov_b32_e32 v7, v3
	v_mov_b32_e32 v2, 0
	v_mov_b32_e32 v8, 0
	s_mov_b32 s5, 0
	.p2align	6
.LBB51_41:                              ; =>This Inner Loop Header: Depth=1
	s_clause 0x1
	buffer_load_dword v115, v7, s[0:3], 0 offen offset:4
	buffer_load_dword v116, v7, s[0:3], 0 offen
	ds_read_b64 v[113:114], v6
	v_add_nc_u32_e32 v5, 1, v5
	v_add_nc_u32_e32 v6, 8, v6
	;; [unrolled: 1-line block ×3, first 2 shown]
	v_cmp_lt_u32_e32 vcc_lo, 5, v5
	s_or_b32 s5, vcc_lo, s5
	s_waitcnt vmcnt(1) lgkmcnt(0)
	v_mul_f32_e32 v117, v114, v115
	v_mul_f32_e32 v115, v113, v115
	s_waitcnt vmcnt(0)
	v_fma_f32 v113, v113, v116, -v117
	v_fmac_f32_e32 v115, v114, v116
	v_add_f32_e32 v8, v8, v113
	v_add_f32_e32 v2, v2, v115
	s_andn2_b32 exec_lo, exec_lo, s5
	s_cbranch_execnz .LBB51_41
; %bb.42:
	s_or_b32 exec_lo, exec_lo, s5
	v_mov_b32_e32 v5, 0
	ds_read_b64 v[5:6], v5 offset:56
	s_waitcnt lgkmcnt(0)
	v_mul_f32_e32 v7, v2, v6
	v_mul_f32_e32 v6, v8, v6
	v_fma_f32 v7, v8, v5, -v7
	v_fmac_f32_e32 v6, v2, v5
	buffer_store_dword v7, off, s[0:3], 0 offset:56
	buffer_store_dword v6, off, s[0:3], 0 offset:60
.LBB51_43:
	s_or_b32 exec_lo, exec_lo, s4
	s_waitcnt_vscnt null, 0x0
	s_barrier
	buffer_gl0_inv
	s_clause 0x1
	buffer_load_dword v5, off, s[0:3], 0 offset:64
	buffer_load_dword v6, off, s[0:3], 0 offset:68
	s_mov_b32 s4, exec_lo
	s_waitcnt vmcnt(0)
	ds_write_b64 v4, v[5:6]
	s_waitcnt lgkmcnt(0)
	s_barrier
	buffer_gl0_inv
	v_cmpx_gt_u32_e32 8, v0
	s_cbranch_execz .LBB51_47
; %bb.44:
	v_add_nc_u32_e32 v5, -1, v0
	v_add_nc_u32_e32 v6, 0x1a0, v3
	v_mov_b32_e32 v7, v3
	v_mov_b32_e32 v2, 0
	;; [unrolled: 1-line block ×3, first 2 shown]
	s_mov_b32 s5, 0
	.p2align	6
.LBB51_45:                              ; =>This Inner Loop Header: Depth=1
	s_clause 0x1
	buffer_load_dword v115, v7, s[0:3], 0 offen offset:4
	buffer_load_dword v116, v7, s[0:3], 0 offen
	ds_read_b64 v[113:114], v6
	v_add_nc_u32_e32 v5, 1, v5
	v_add_nc_u32_e32 v6, 8, v6
	;; [unrolled: 1-line block ×3, first 2 shown]
	v_cmp_lt_u32_e32 vcc_lo, 6, v5
	s_or_b32 s5, vcc_lo, s5
	s_waitcnt vmcnt(1) lgkmcnt(0)
	v_mul_f32_e32 v117, v114, v115
	v_mul_f32_e32 v115, v113, v115
	s_waitcnt vmcnt(0)
	v_fma_f32 v113, v113, v116, -v117
	v_fmac_f32_e32 v115, v114, v116
	v_add_f32_e32 v8, v8, v113
	v_add_f32_e32 v2, v2, v115
	s_andn2_b32 exec_lo, exec_lo, s5
	s_cbranch_execnz .LBB51_45
; %bb.46:
	s_or_b32 exec_lo, exec_lo, s5
	v_mov_b32_e32 v5, 0
	ds_read_b64 v[5:6], v5 offset:64
	s_waitcnt lgkmcnt(0)
	v_mul_f32_e32 v7, v2, v6
	v_mul_f32_e32 v6, v8, v6
	v_fma_f32 v7, v8, v5, -v7
	v_fmac_f32_e32 v6, v2, v5
	buffer_store_dword v7, off, s[0:3], 0 offset:64
	buffer_store_dword v6, off, s[0:3], 0 offset:68
.LBB51_47:
	s_or_b32 exec_lo, exec_lo, s4
	s_waitcnt_vscnt null, 0x0
	s_barrier
	buffer_gl0_inv
	s_clause 0x1
	buffer_load_dword v5, off, s[0:3], 0 offset:72
	buffer_load_dword v6, off, s[0:3], 0 offset:76
	s_mov_b32 s4, exec_lo
	s_waitcnt vmcnt(0)
	ds_write_b64 v4, v[5:6]
	s_waitcnt lgkmcnt(0)
	s_barrier
	buffer_gl0_inv
	v_cmpx_gt_u32_e32 9, v0
	s_cbranch_execz .LBB51_51
; %bb.48:
	v_add_nc_u32_e32 v5, -1, v0
	v_add_nc_u32_e32 v6, 0x1a0, v3
	v_mov_b32_e32 v7, v3
	v_mov_b32_e32 v2, 0
	;; [unrolled: 1-line block ×3, first 2 shown]
	s_mov_b32 s5, 0
	.p2align	6
.LBB51_49:                              ; =>This Inner Loop Header: Depth=1
	s_clause 0x1
	buffer_load_dword v115, v7, s[0:3], 0 offen offset:4
	buffer_load_dword v116, v7, s[0:3], 0 offen
	ds_read_b64 v[113:114], v6
	v_add_nc_u32_e32 v5, 1, v5
	v_add_nc_u32_e32 v6, 8, v6
	v_add_nc_u32_e32 v7, 8, v7
	v_cmp_lt_u32_e32 vcc_lo, 7, v5
	s_or_b32 s5, vcc_lo, s5
	s_waitcnt vmcnt(1) lgkmcnt(0)
	v_mul_f32_e32 v117, v114, v115
	v_mul_f32_e32 v115, v113, v115
	s_waitcnt vmcnt(0)
	v_fma_f32 v113, v113, v116, -v117
	v_fmac_f32_e32 v115, v114, v116
	v_add_f32_e32 v8, v8, v113
	v_add_f32_e32 v2, v2, v115
	s_andn2_b32 exec_lo, exec_lo, s5
	s_cbranch_execnz .LBB51_49
; %bb.50:
	s_or_b32 exec_lo, exec_lo, s5
	v_mov_b32_e32 v5, 0
	ds_read_b64 v[5:6], v5 offset:72
	s_waitcnt lgkmcnt(0)
	v_mul_f32_e32 v7, v2, v6
	v_mul_f32_e32 v6, v8, v6
	v_fma_f32 v7, v8, v5, -v7
	v_fmac_f32_e32 v6, v2, v5
	buffer_store_dword v7, off, s[0:3], 0 offset:72
	buffer_store_dword v6, off, s[0:3], 0 offset:76
.LBB51_51:
	s_or_b32 exec_lo, exec_lo, s4
	s_waitcnt_vscnt null, 0x0
	s_barrier
	buffer_gl0_inv
	s_clause 0x1
	buffer_load_dword v5, off, s[0:3], 0 offset:80
	buffer_load_dword v6, off, s[0:3], 0 offset:84
	s_mov_b32 s4, exec_lo
	s_waitcnt vmcnt(0)
	ds_write_b64 v4, v[5:6]
	s_waitcnt lgkmcnt(0)
	s_barrier
	buffer_gl0_inv
	v_cmpx_gt_u32_e32 10, v0
	s_cbranch_execz .LBB51_55
; %bb.52:
	v_add_nc_u32_e32 v5, -1, v0
	v_add_nc_u32_e32 v6, 0x1a0, v3
	v_mov_b32_e32 v7, v3
	v_mov_b32_e32 v2, 0
	v_mov_b32_e32 v8, 0
	s_mov_b32 s5, 0
	.p2align	6
.LBB51_53:                              ; =>This Inner Loop Header: Depth=1
	s_clause 0x1
	buffer_load_dword v115, v7, s[0:3], 0 offen offset:4
	buffer_load_dword v116, v7, s[0:3], 0 offen
	ds_read_b64 v[113:114], v6
	v_add_nc_u32_e32 v5, 1, v5
	v_add_nc_u32_e32 v6, 8, v6
	;; [unrolled: 1-line block ×3, first 2 shown]
	v_cmp_lt_u32_e32 vcc_lo, 8, v5
	s_or_b32 s5, vcc_lo, s5
	s_waitcnt vmcnt(1) lgkmcnt(0)
	v_mul_f32_e32 v117, v114, v115
	v_mul_f32_e32 v115, v113, v115
	s_waitcnt vmcnt(0)
	v_fma_f32 v113, v113, v116, -v117
	v_fmac_f32_e32 v115, v114, v116
	v_add_f32_e32 v8, v8, v113
	v_add_f32_e32 v2, v2, v115
	s_andn2_b32 exec_lo, exec_lo, s5
	s_cbranch_execnz .LBB51_53
; %bb.54:
	s_or_b32 exec_lo, exec_lo, s5
	v_mov_b32_e32 v5, 0
	ds_read_b64 v[5:6], v5 offset:80
	s_waitcnt lgkmcnt(0)
	v_mul_f32_e32 v7, v2, v6
	v_mul_f32_e32 v6, v8, v6
	v_fma_f32 v7, v8, v5, -v7
	v_fmac_f32_e32 v6, v2, v5
	buffer_store_dword v7, off, s[0:3], 0 offset:80
	buffer_store_dword v6, off, s[0:3], 0 offset:84
.LBB51_55:
	s_or_b32 exec_lo, exec_lo, s4
	s_waitcnt_vscnt null, 0x0
	s_barrier
	buffer_gl0_inv
	s_clause 0x1
	buffer_load_dword v5, off, s[0:3], 0 offset:88
	buffer_load_dword v6, off, s[0:3], 0 offset:92
	s_mov_b32 s4, exec_lo
	s_waitcnt vmcnt(0)
	ds_write_b64 v4, v[5:6]
	s_waitcnt lgkmcnt(0)
	s_barrier
	buffer_gl0_inv
	v_cmpx_gt_u32_e32 11, v0
	s_cbranch_execz .LBB51_59
; %bb.56:
	v_add_nc_u32_e32 v5, -1, v0
	v_add_nc_u32_e32 v6, 0x1a0, v3
	v_mov_b32_e32 v7, v3
	v_mov_b32_e32 v2, 0
	v_mov_b32_e32 v8, 0
	s_mov_b32 s5, 0
	.p2align	6
.LBB51_57:                              ; =>This Inner Loop Header: Depth=1
	s_clause 0x1
	buffer_load_dword v115, v7, s[0:3], 0 offen offset:4
	buffer_load_dword v116, v7, s[0:3], 0 offen
	ds_read_b64 v[113:114], v6
	v_add_nc_u32_e32 v5, 1, v5
	v_add_nc_u32_e32 v6, 8, v6
	;; [unrolled: 1-line block ×3, first 2 shown]
	v_cmp_lt_u32_e32 vcc_lo, 9, v5
	s_or_b32 s5, vcc_lo, s5
	s_waitcnt vmcnt(1) lgkmcnt(0)
	v_mul_f32_e32 v117, v114, v115
	v_mul_f32_e32 v115, v113, v115
	s_waitcnt vmcnt(0)
	v_fma_f32 v113, v113, v116, -v117
	v_fmac_f32_e32 v115, v114, v116
	v_add_f32_e32 v8, v8, v113
	v_add_f32_e32 v2, v2, v115
	s_andn2_b32 exec_lo, exec_lo, s5
	s_cbranch_execnz .LBB51_57
; %bb.58:
	s_or_b32 exec_lo, exec_lo, s5
	v_mov_b32_e32 v5, 0
	ds_read_b64 v[5:6], v5 offset:88
	s_waitcnt lgkmcnt(0)
	v_mul_f32_e32 v7, v2, v6
	v_mul_f32_e32 v6, v8, v6
	v_fma_f32 v7, v8, v5, -v7
	v_fmac_f32_e32 v6, v2, v5
	buffer_store_dword v7, off, s[0:3], 0 offset:88
	buffer_store_dword v6, off, s[0:3], 0 offset:92
.LBB51_59:
	s_or_b32 exec_lo, exec_lo, s4
	s_waitcnt_vscnt null, 0x0
	s_barrier
	buffer_gl0_inv
	s_clause 0x1
	buffer_load_dword v5, off, s[0:3], 0 offset:96
	buffer_load_dword v6, off, s[0:3], 0 offset:100
	s_mov_b32 s4, exec_lo
	s_waitcnt vmcnt(0)
	ds_write_b64 v4, v[5:6]
	s_waitcnt lgkmcnt(0)
	s_barrier
	buffer_gl0_inv
	v_cmpx_gt_u32_e32 12, v0
	s_cbranch_execz .LBB51_63
; %bb.60:
	v_add_nc_u32_e32 v5, -1, v0
	v_add_nc_u32_e32 v6, 0x1a0, v3
	v_mov_b32_e32 v7, v3
	v_mov_b32_e32 v2, 0
	;; [unrolled: 1-line block ×3, first 2 shown]
	s_mov_b32 s5, 0
	.p2align	6
.LBB51_61:                              ; =>This Inner Loop Header: Depth=1
	s_clause 0x1
	buffer_load_dword v115, v7, s[0:3], 0 offen offset:4
	buffer_load_dword v116, v7, s[0:3], 0 offen
	ds_read_b64 v[113:114], v6
	v_add_nc_u32_e32 v5, 1, v5
	v_add_nc_u32_e32 v6, 8, v6
	;; [unrolled: 1-line block ×3, first 2 shown]
	v_cmp_lt_u32_e32 vcc_lo, 10, v5
	s_or_b32 s5, vcc_lo, s5
	s_waitcnt vmcnt(1) lgkmcnt(0)
	v_mul_f32_e32 v117, v114, v115
	v_mul_f32_e32 v115, v113, v115
	s_waitcnt vmcnt(0)
	v_fma_f32 v113, v113, v116, -v117
	v_fmac_f32_e32 v115, v114, v116
	v_add_f32_e32 v8, v8, v113
	v_add_f32_e32 v2, v2, v115
	s_andn2_b32 exec_lo, exec_lo, s5
	s_cbranch_execnz .LBB51_61
; %bb.62:
	s_or_b32 exec_lo, exec_lo, s5
	v_mov_b32_e32 v5, 0
	ds_read_b64 v[5:6], v5 offset:96
	s_waitcnt lgkmcnt(0)
	v_mul_f32_e32 v7, v2, v6
	v_mul_f32_e32 v6, v8, v6
	v_fma_f32 v7, v8, v5, -v7
	v_fmac_f32_e32 v6, v2, v5
	buffer_store_dword v7, off, s[0:3], 0 offset:96
	buffer_store_dword v6, off, s[0:3], 0 offset:100
.LBB51_63:
	s_or_b32 exec_lo, exec_lo, s4
	s_waitcnt_vscnt null, 0x0
	s_barrier
	buffer_gl0_inv
	s_clause 0x1
	buffer_load_dword v5, off, s[0:3], 0 offset:104
	buffer_load_dword v6, off, s[0:3], 0 offset:108
	s_mov_b32 s4, exec_lo
	s_waitcnt vmcnt(0)
	ds_write_b64 v4, v[5:6]
	s_waitcnt lgkmcnt(0)
	s_barrier
	buffer_gl0_inv
	v_cmpx_gt_u32_e32 13, v0
	s_cbranch_execz .LBB51_67
; %bb.64:
	v_add_nc_u32_e32 v5, -1, v0
	v_add_nc_u32_e32 v6, 0x1a0, v3
	v_mov_b32_e32 v7, v3
	v_mov_b32_e32 v2, 0
	;; [unrolled: 1-line block ×3, first 2 shown]
	s_mov_b32 s5, 0
	.p2align	6
.LBB51_65:                              ; =>This Inner Loop Header: Depth=1
	s_clause 0x1
	buffer_load_dword v115, v7, s[0:3], 0 offen offset:4
	buffer_load_dword v116, v7, s[0:3], 0 offen
	ds_read_b64 v[113:114], v6
	v_add_nc_u32_e32 v5, 1, v5
	v_add_nc_u32_e32 v6, 8, v6
	;; [unrolled: 1-line block ×3, first 2 shown]
	v_cmp_lt_u32_e32 vcc_lo, 11, v5
	s_or_b32 s5, vcc_lo, s5
	s_waitcnt vmcnt(1) lgkmcnt(0)
	v_mul_f32_e32 v117, v114, v115
	v_mul_f32_e32 v115, v113, v115
	s_waitcnt vmcnt(0)
	v_fma_f32 v113, v113, v116, -v117
	v_fmac_f32_e32 v115, v114, v116
	v_add_f32_e32 v8, v8, v113
	v_add_f32_e32 v2, v2, v115
	s_andn2_b32 exec_lo, exec_lo, s5
	s_cbranch_execnz .LBB51_65
; %bb.66:
	s_or_b32 exec_lo, exec_lo, s5
	v_mov_b32_e32 v5, 0
	ds_read_b64 v[5:6], v5 offset:104
	s_waitcnt lgkmcnt(0)
	v_mul_f32_e32 v7, v2, v6
	v_mul_f32_e32 v6, v8, v6
	v_fma_f32 v7, v8, v5, -v7
	v_fmac_f32_e32 v6, v2, v5
	buffer_store_dword v7, off, s[0:3], 0 offset:104
	buffer_store_dword v6, off, s[0:3], 0 offset:108
.LBB51_67:
	s_or_b32 exec_lo, exec_lo, s4
	s_waitcnt_vscnt null, 0x0
	s_barrier
	buffer_gl0_inv
	s_clause 0x1
	buffer_load_dword v5, off, s[0:3], 0 offset:112
	buffer_load_dword v6, off, s[0:3], 0 offset:116
	s_mov_b32 s4, exec_lo
	s_waitcnt vmcnt(0)
	ds_write_b64 v4, v[5:6]
	s_waitcnt lgkmcnt(0)
	s_barrier
	buffer_gl0_inv
	v_cmpx_gt_u32_e32 14, v0
	s_cbranch_execz .LBB51_71
; %bb.68:
	v_add_nc_u32_e32 v5, -1, v0
	v_add_nc_u32_e32 v6, 0x1a0, v3
	v_mov_b32_e32 v7, v3
	v_mov_b32_e32 v2, 0
	;; [unrolled: 1-line block ×3, first 2 shown]
	s_mov_b32 s5, 0
	.p2align	6
.LBB51_69:                              ; =>This Inner Loop Header: Depth=1
	s_clause 0x1
	buffer_load_dword v115, v7, s[0:3], 0 offen offset:4
	buffer_load_dword v116, v7, s[0:3], 0 offen
	ds_read_b64 v[113:114], v6
	v_add_nc_u32_e32 v5, 1, v5
	v_add_nc_u32_e32 v6, 8, v6
	;; [unrolled: 1-line block ×3, first 2 shown]
	v_cmp_lt_u32_e32 vcc_lo, 12, v5
	s_or_b32 s5, vcc_lo, s5
	s_waitcnt vmcnt(1) lgkmcnt(0)
	v_mul_f32_e32 v117, v114, v115
	v_mul_f32_e32 v115, v113, v115
	s_waitcnt vmcnt(0)
	v_fma_f32 v113, v113, v116, -v117
	v_fmac_f32_e32 v115, v114, v116
	v_add_f32_e32 v8, v8, v113
	v_add_f32_e32 v2, v2, v115
	s_andn2_b32 exec_lo, exec_lo, s5
	s_cbranch_execnz .LBB51_69
; %bb.70:
	s_or_b32 exec_lo, exec_lo, s5
	v_mov_b32_e32 v5, 0
	ds_read_b64 v[5:6], v5 offset:112
	s_waitcnt lgkmcnt(0)
	v_mul_f32_e32 v7, v2, v6
	v_mul_f32_e32 v6, v8, v6
	v_fma_f32 v7, v8, v5, -v7
	v_fmac_f32_e32 v6, v2, v5
	buffer_store_dword v7, off, s[0:3], 0 offset:112
	buffer_store_dword v6, off, s[0:3], 0 offset:116
.LBB51_71:
	s_or_b32 exec_lo, exec_lo, s4
	s_waitcnt_vscnt null, 0x0
	s_barrier
	buffer_gl0_inv
	s_clause 0x1
	buffer_load_dword v5, off, s[0:3], 0 offset:120
	buffer_load_dword v6, off, s[0:3], 0 offset:124
	s_mov_b32 s4, exec_lo
	s_waitcnt vmcnt(0)
	ds_write_b64 v4, v[5:6]
	s_waitcnt lgkmcnt(0)
	s_barrier
	buffer_gl0_inv
	v_cmpx_gt_u32_e32 15, v0
	s_cbranch_execz .LBB51_75
; %bb.72:
	v_add_nc_u32_e32 v5, -1, v0
	v_add_nc_u32_e32 v6, 0x1a0, v3
	v_mov_b32_e32 v7, v3
	v_mov_b32_e32 v2, 0
	;; [unrolled: 1-line block ×3, first 2 shown]
	s_mov_b32 s5, 0
	.p2align	6
.LBB51_73:                              ; =>This Inner Loop Header: Depth=1
	s_clause 0x1
	buffer_load_dword v115, v7, s[0:3], 0 offen offset:4
	buffer_load_dword v116, v7, s[0:3], 0 offen
	ds_read_b64 v[113:114], v6
	v_add_nc_u32_e32 v5, 1, v5
	v_add_nc_u32_e32 v6, 8, v6
	v_add_nc_u32_e32 v7, 8, v7
	v_cmp_lt_u32_e32 vcc_lo, 13, v5
	s_or_b32 s5, vcc_lo, s5
	s_waitcnt vmcnt(1) lgkmcnt(0)
	v_mul_f32_e32 v117, v114, v115
	v_mul_f32_e32 v115, v113, v115
	s_waitcnt vmcnt(0)
	v_fma_f32 v113, v113, v116, -v117
	v_fmac_f32_e32 v115, v114, v116
	v_add_f32_e32 v8, v8, v113
	v_add_f32_e32 v2, v2, v115
	s_andn2_b32 exec_lo, exec_lo, s5
	s_cbranch_execnz .LBB51_73
; %bb.74:
	s_or_b32 exec_lo, exec_lo, s5
	v_mov_b32_e32 v5, 0
	ds_read_b64 v[5:6], v5 offset:120
	s_waitcnt lgkmcnt(0)
	v_mul_f32_e32 v7, v2, v6
	v_mul_f32_e32 v6, v8, v6
	v_fma_f32 v7, v8, v5, -v7
	v_fmac_f32_e32 v6, v2, v5
	buffer_store_dword v7, off, s[0:3], 0 offset:120
	buffer_store_dword v6, off, s[0:3], 0 offset:124
.LBB51_75:
	s_or_b32 exec_lo, exec_lo, s4
	s_waitcnt_vscnt null, 0x0
	s_barrier
	buffer_gl0_inv
	s_clause 0x1
	buffer_load_dword v5, off, s[0:3], 0 offset:128
	buffer_load_dword v6, off, s[0:3], 0 offset:132
	s_mov_b32 s4, exec_lo
	s_waitcnt vmcnt(0)
	ds_write_b64 v4, v[5:6]
	s_waitcnt lgkmcnt(0)
	s_barrier
	buffer_gl0_inv
	v_cmpx_gt_u32_e32 16, v0
	s_cbranch_execz .LBB51_79
; %bb.76:
	v_add_nc_u32_e32 v5, -1, v0
	v_add_nc_u32_e32 v6, 0x1a0, v3
	v_mov_b32_e32 v7, v3
	v_mov_b32_e32 v2, 0
	;; [unrolled: 1-line block ×3, first 2 shown]
	s_mov_b32 s5, 0
	.p2align	6
.LBB51_77:                              ; =>This Inner Loop Header: Depth=1
	s_clause 0x1
	buffer_load_dword v115, v7, s[0:3], 0 offen offset:4
	buffer_load_dword v116, v7, s[0:3], 0 offen
	ds_read_b64 v[113:114], v6
	v_add_nc_u32_e32 v5, 1, v5
	v_add_nc_u32_e32 v6, 8, v6
	;; [unrolled: 1-line block ×3, first 2 shown]
	v_cmp_lt_u32_e32 vcc_lo, 14, v5
	s_or_b32 s5, vcc_lo, s5
	s_waitcnt vmcnt(1) lgkmcnt(0)
	v_mul_f32_e32 v117, v114, v115
	v_mul_f32_e32 v115, v113, v115
	s_waitcnt vmcnt(0)
	v_fma_f32 v113, v113, v116, -v117
	v_fmac_f32_e32 v115, v114, v116
	v_add_f32_e32 v8, v8, v113
	v_add_f32_e32 v2, v2, v115
	s_andn2_b32 exec_lo, exec_lo, s5
	s_cbranch_execnz .LBB51_77
; %bb.78:
	s_or_b32 exec_lo, exec_lo, s5
	v_mov_b32_e32 v5, 0
	ds_read_b64 v[5:6], v5 offset:128
	s_waitcnt lgkmcnt(0)
	v_mul_f32_e32 v7, v2, v6
	v_mul_f32_e32 v6, v8, v6
	v_fma_f32 v7, v8, v5, -v7
	v_fmac_f32_e32 v6, v2, v5
	buffer_store_dword v7, off, s[0:3], 0 offset:128
	buffer_store_dword v6, off, s[0:3], 0 offset:132
.LBB51_79:
	s_or_b32 exec_lo, exec_lo, s4
	s_waitcnt_vscnt null, 0x0
	s_barrier
	buffer_gl0_inv
	s_clause 0x1
	buffer_load_dword v5, off, s[0:3], 0 offset:136
	buffer_load_dword v6, off, s[0:3], 0 offset:140
	s_mov_b32 s4, exec_lo
	s_waitcnt vmcnt(0)
	ds_write_b64 v4, v[5:6]
	s_waitcnt lgkmcnt(0)
	s_barrier
	buffer_gl0_inv
	v_cmpx_gt_u32_e32 17, v0
	s_cbranch_execz .LBB51_83
; %bb.80:
	v_add_nc_u32_e32 v5, -1, v0
	v_add_nc_u32_e32 v6, 0x1a0, v3
	v_mov_b32_e32 v7, v3
	v_mov_b32_e32 v2, 0
	;; [unrolled: 1-line block ×3, first 2 shown]
	s_mov_b32 s5, 0
	.p2align	6
.LBB51_81:                              ; =>This Inner Loop Header: Depth=1
	s_clause 0x1
	buffer_load_dword v115, v7, s[0:3], 0 offen offset:4
	buffer_load_dword v116, v7, s[0:3], 0 offen
	ds_read_b64 v[113:114], v6
	v_add_nc_u32_e32 v5, 1, v5
	v_add_nc_u32_e32 v6, 8, v6
	;; [unrolled: 1-line block ×3, first 2 shown]
	v_cmp_lt_u32_e32 vcc_lo, 15, v5
	s_or_b32 s5, vcc_lo, s5
	s_waitcnt vmcnt(1) lgkmcnt(0)
	v_mul_f32_e32 v117, v114, v115
	v_mul_f32_e32 v115, v113, v115
	s_waitcnt vmcnt(0)
	v_fma_f32 v113, v113, v116, -v117
	v_fmac_f32_e32 v115, v114, v116
	v_add_f32_e32 v8, v8, v113
	v_add_f32_e32 v2, v2, v115
	s_andn2_b32 exec_lo, exec_lo, s5
	s_cbranch_execnz .LBB51_81
; %bb.82:
	s_or_b32 exec_lo, exec_lo, s5
	v_mov_b32_e32 v5, 0
	ds_read_b64 v[5:6], v5 offset:136
	s_waitcnt lgkmcnt(0)
	v_mul_f32_e32 v7, v2, v6
	v_mul_f32_e32 v6, v8, v6
	v_fma_f32 v7, v8, v5, -v7
	v_fmac_f32_e32 v6, v2, v5
	buffer_store_dword v7, off, s[0:3], 0 offset:136
	buffer_store_dword v6, off, s[0:3], 0 offset:140
.LBB51_83:
	s_or_b32 exec_lo, exec_lo, s4
	s_waitcnt_vscnt null, 0x0
	s_barrier
	buffer_gl0_inv
	s_clause 0x1
	buffer_load_dword v5, off, s[0:3], 0 offset:144
	buffer_load_dword v6, off, s[0:3], 0 offset:148
	s_mov_b32 s4, exec_lo
	s_waitcnt vmcnt(0)
	ds_write_b64 v4, v[5:6]
	s_waitcnt lgkmcnt(0)
	s_barrier
	buffer_gl0_inv
	v_cmpx_gt_u32_e32 18, v0
	s_cbranch_execz .LBB51_87
; %bb.84:
	v_add_nc_u32_e32 v5, -1, v0
	v_add_nc_u32_e32 v6, 0x1a0, v3
	v_mov_b32_e32 v7, v3
	v_mov_b32_e32 v2, 0
	;; [unrolled: 1-line block ×3, first 2 shown]
	s_mov_b32 s5, 0
	.p2align	6
.LBB51_85:                              ; =>This Inner Loop Header: Depth=1
	s_clause 0x1
	buffer_load_dword v115, v7, s[0:3], 0 offen offset:4
	buffer_load_dword v116, v7, s[0:3], 0 offen
	ds_read_b64 v[113:114], v6
	v_add_nc_u32_e32 v5, 1, v5
	v_add_nc_u32_e32 v6, 8, v6
	;; [unrolled: 1-line block ×3, first 2 shown]
	v_cmp_lt_u32_e32 vcc_lo, 16, v5
	s_or_b32 s5, vcc_lo, s5
	s_waitcnt vmcnt(1) lgkmcnt(0)
	v_mul_f32_e32 v117, v114, v115
	v_mul_f32_e32 v115, v113, v115
	s_waitcnt vmcnt(0)
	v_fma_f32 v113, v113, v116, -v117
	v_fmac_f32_e32 v115, v114, v116
	v_add_f32_e32 v8, v8, v113
	v_add_f32_e32 v2, v2, v115
	s_andn2_b32 exec_lo, exec_lo, s5
	s_cbranch_execnz .LBB51_85
; %bb.86:
	s_or_b32 exec_lo, exec_lo, s5
	v_mov_b32_e32 v5, 0
	ds_read_b64 v[5:6], v5 offset:144
	s_waitcnt lgkmcnt(0)
	v_mul_f32_e32 v7, v2, v6
	v_mul_f32_e32 v6, v8, v6
	v_fma_f32 v7, v8, v5, -v7
	v_fmac_f32_e32 v6, v2, v5
	buffer_store_dword v7, off, s[0:3], 0 offset:144
	buffer_store_dword v6, off, s[0:3], 0 offset:148
.LBB51_87:
	s_or_b32 exec_lo, exec_lo, s4
	s_waitcnt_vscnt null, 0x0
	s_barrier
	buffer_gl0_inv
	s_clause 0x1
	buffer_load_dword v5, off, s[0:3], 0 offset:152
	buffer_load_dword v6, off, s[0:3], 0 offset:156
	s_mov_b32 s4, exec_lo
	s_waitcnt vmcnt(0)
	ds_write_b64 v4, v[5:6]
	s_waitcnt lgkmcnt(0)
	s_barrier
	buffer_gl0_inv
	v_cmpx_gt_u32_e32 19, v0
	s_cbranch_execz .LBB51_91
; %bb.88:
	v_add_nc_u32_e32 v5, -1, v0
	v_add_nc_u32_e32 v6, 0x1a0, v3
	v_mov_b32_e32 v7, v3
	v_mov_b32_e32 v2, 0
	;; [unrolled: 1-line block ×3, first 2 shown]
	s_mov_b32 s5, 0
	.p2align	6
.LBB51_89:                              ; =>This Inner Loop Header: Depth=1
	s_clause 0x1
	buffer_load_dword v115, v7, s[0:3], 0 offen offset:4
	buffer_load_dword v116, v7, s[0:3], 0 offen
	ds_read_b64 v[113:114], v6
	v_add_nc_u32_e32 v5, 1, v5
	v_add_nc_u32_e32 v6, 8, v6
	;; [unrolled: 1-line block ×3, first 2 shown]
	v_cmp_lt_u32_e32 vcc_lo, 17, v5
	s_or_b32 s5, vcc_lo, s5
	s_waitcnt vmcnt(1) lgkmcnt(0)
	v_mul_f32_e32 v117, v114, v115
	v_mul_f32_e32 v115, v113, v115
	s_waitcnt vmcnt(0)
	v_fma_f32 v113, v113, v116, -v117
	v_fmac_f32_e32 v115, v114, v116
	v_add_f32_e32 v8, v8, v113
	v_add_f32_e32 v2, v2, v115
	s_andn2_b32 exec_lo, exec_lo, s5
	s_cbranch_execnz .LBB51_89
; %bb.90:
	s_or_b32 exec_lo, exec_lo, s5
	v_mov_b32_e32 v5, 0
	ds_read_b64 v[5:6], v5 offset:152
	s_waitcnt lgkmcnt(0)
	v_mul_f32_e32 v7, v2, v6
	v_mul_f32_e32 v6, v8, v6
	v_fma_f32 v7, v8, v5, -v7
	v_fmac_f32_e32 v6, v2, v5
	buffer_store_dword v7, off, s[0:3], 0 offset:152
	buffer_store_dword v6, off, s[0:3], 0 offset:156
.LBB51_91:
	s_or_b32 exec_lo, exec_lo, s4
	s_waitcnt_vscnt null, 0x0
	s_barrier
	buffer_gl0_inv
	s_clause 0x1
	buffer_load_dword v5, off, s[0:3], 0 offset:160
	buffer_load_dword v6, off, s[0:3], 0 offset:164
	s_mov_b32 s4, exec_lo
	s_waitcnt vmcnt(0)
	ds_write_b64 v4, v[5:6]
	s_waitcnt lgkmcnt(0)
	s_barrier
	buffer_gl0_inv
	v_cmpx_gt_u32_e32 20, v0
	s_cbranch_execz .LBB51_95
; %bb.92:
	v_add_nc_u32_e32 v5, -1, v0
	v_add_nc_u32_e32 v6, 0x1a0, v3
	v_mov_b32_e32 v7, v3
	v_mov_b32_e32 v2, 0
	;; [unrolled: 1-line block ×3, first 2 shown]
	s_mov_b32 s5, 0
	.p2align	6
.LBB51_93:                              ; =>This Inner Loop Header: Depth=1
	s_clause 0x1
	buffer_load_dword v115, v7, s[0:3], 0 offen offset:4
	buffer_load_dword v116, v7, s[0:3], 0 offen
	ds_read_b64 v[113:114], v6
	v_add_nc_u32_e32 v5, 1, v5
	v_add_nc_u32_e32 v6, 8, v6
	;; [unrolled: 1-line block ×3, first 2 shown]
	v_cmp_lt_u32_e32 vcc_lo, 18, v5
	s_or_b32 s5, vcc_lo, s5
	s_waitcnt vmcnt(1) lgkmcnt(0)
	v_mul_f32_e32 v117, v114, v115
	v_mul_f32_e32 v115, v113, v115
	s_waitcnt vmcnt(0)
	v_fma_f32 v113, v113, v116, -v117
	v_fmac_f32_e32 v115, v114, v116
	v_add_f32_e32 v8, v8, v113
	v_add_f32_e32 v2, v2, v115
	s_andn2_b32 exec_lo, exec_lo, s5
	s_cbranch_execnz .LBB51_93
; %bb.94:
	s_or_b32 exec_lo, exec_lo, s5
	v_mov_b32_e32 v5, 0
	ds_read_b64 v[5:6], v5 offset:160
	s_waitcnt lgkmcnt(0)
	v_mul_f32_e32 v7, v2, v6
	v_mul_f32_e32 v6, v8, v6
	v_fma_f32 v7, v8, v5, -v7
	v_fmac_f32_e32 v6, v2, v5
	buffer_store_dword v7, off, s[0:3], 0 offset:160
	buffer_store_dword v6, off, s[0:3], 0 offset:164
.LBB51_95:
	s_or_b32 exec_lo, exec_lo, s4
	s_waitcnt_vscnt null, 0x0
	s_barrier
	buffer_gl0_inv
	s_clause 0x1
	buffer_load_dword v5, off, s[0:3], 0 offset:168
	buffer_load_dword v6, off, s[0:3], 0 offset:172
	s_mov_b32 s4, exec_lo
	s_waitcnt vmcnt(0)
	ds_write_b64 v4, v[5:6]
	s_waitcnt lgkmcnt(0)
	s_barrier
	buffer_gl0_inv
	v_cmpx_gt_u32_e32 21, v0
	s_cbranch_execz .LBB51_99
; %bb.96:
	v_add_nc_u32_e32 v5, -1, v0
	v_add_nc_u32_e32 v6, 0x1a0, v3
	v_mov_b32_e32 v7, v3
	v_mov_b32_e32 v2, 0
	;; [unrolled: 1-line block ×3, first 2 shown]
	s_mov_b32 s5, 0
	.p2align	6
.LBB51_97:                              ; =>This Inner Loop Header: Depth=1
	s_clause 0x1
	buffer_load_dword v115, v7, s[0:3], 0 offen offset:4
	buffer_load_dword v116, v7, s[0:3], 0 offen
	ds_read_b64 v[113:114], v6
	v_add_nc_u32_e32 v5, 1, v5
	v_add_nc_u32_e32 v6, 8, v6
	;; [unrolled: 1-line block ×3, first 2 shown]
	v_cmp_lt_u32_e32 vcc_lo, 19, v5
	s_or_b32 s5, vcc_lo, s5
	s_waitcnt vmcnt(1) lgkmcnt(0)
	v_mul_f32_e32 v117, v114, v115
	v_mul_f32_e32 v115, v113, v115
	s_waitcnt vmcnt(0)
	v_fma_f32 v113, v113, v116, -v117
	v_fmac_f32_e32 v115, v114, v116
	v_add_f32_e32 v8, v8, v113
	v_add_f32_e32 v2, v2, v115
	s_andn2_b32 exec_lo, exec_lo, s5
	s_cbranch_execnz .LBB51_97
; %bb.98:
	s_or_b32 exec_lo, exec_lo, s5
	v_mov_b32_e32 v5, 0
	ds_read_b64 v[5:6], v5 offset:168
	s_waitcnt lgkmcnt(0)
	v_mul_f32_e32 v7, v2, v6
	v_mul_f32_e32 v6, v8, v6
	v_fma_f32 v7, v8, v5, -v7
	v_fmac_f32_e32 v6, v2, v5
	buffer_store_dword v7, off, s[0:3], 0 offset:168
	buffer_store_dword v6, off, s[0:3], 0 offset:172
.LBB51_99:
	s_or_b32 exec_lo, exec_lo, s4
	s_waitcnt_vscnt null, 0x0
	s_barrier
	buffer_gl0_inv
	s_clause 0x1
	buffer_load_dword v5, off, s[0:3], 0 offset:176
	buffer_load_dword v6, off, s[0:3], 0 offset:180
	s_mov_b32 s4, exec_lo
	s_waitcnt vmcnt(0)
	ds_write_b64 v4, v[5:6]
	s_waitcnt lgkmcnt(0)
	s_barrier
	buffer_gl0_inv
	v_cmpx_gt_u32_e32 22, v0
	s_cbranch_execz .LBB51_103
; %bb.100:
	v_add_nc_u32_e32 v5, -1, v0
	v_add_nc_u32_e32 v6, 0x1a0, v3
	v_mov_b32_e32 v7, v3
	v_mov_b32_e32 v2, 0
	;; [unrolled: 1-line block ×3, first 2 shown]
	s_mov_b32 s5, 0
	.p2align	6
.LBB51_101:                             ; =>This Inner Loop Header: Depth=1
	s_clause 0x1
	buffer_load_dword v115, v7, s[0:3], 0 offen offset:4
	buffer_load_dword v116, v7, s[0:3], 0 offen
	ds_read_b64 v[113:114], v6
	v_add_nc_u32_e32 v5, 1, v5
	v_add_nc_u32_e32 v6, 8, v6
	;; [unrolled: 1-line block ×3, first 2 shown]
	v_cmp_lt_u32_e32 vcc_lo, 20, v5
	s_or_b32 s5, vcc_lo, s5
	s_waitcnt vmcnt(1) lgkmcnt(0)
	v_mul_f32_e32 v117, v114, v115
	v_mul_f32_e32 v115, v113, v115
	s_waitcnt vmcnt(0)
	v_fma_f32 v113, v113, v116, -v117
	v_fmac_f32_e32 v115, v114, v116
	v_add_f32_e32 v8, v8, v113
	v_add_f32_e32 v2, v2, v115
	s_andn2_b32 exec_lo, exec_lo, s5
	s_cbranch_execnz .LBB51_101
; %bb.102:
	s_or_b32 exec_lo, exec_lo, s5
	v_mov_b32_e32 v5, 0
	ds_read_b64 v[5:6], v5 offset:176
	s_waitcnt lgkmcnt(0)
	v_mul_f32_e32 v7, v2, v6
	v_mul_f32_e32 v6, v8, v6
	v_fma_f32 v7, v8, v5, -v7
	v_fmac_f32_e32 v6, v2, v5
	buffer_store_dword v7, off, s[0:3], 0 offset:176
	buffer_store_dword v6, off, s[0:3], 0 offset:180
.LBB51_103:
	s_or_b32 exec_lo, exec_lo, s4
	s_waitcnt_vscnt null, 0x0
	s_barrier
	buffer_gl0_inv
	s_clause 0x1
	buffer_load_dword v5, off, s[0:3], 0 offset:184
	buffer_load_dword v6, off, s[0:3], 0 offset:188
	s_mov_b32 s4, exec_lo
	s_waitcnt vmcnt(0)
	ds_write_b64 v4, v[5:6]
	s_waitcnt lgkmcnt(0)
	s_barrier
	buffer_gl0_inv
	v_cmpx_gt_u32_e32 23, v0
	s_cbranch_execz .LBB51_107
; %bb.104:
	v_add_nc_u32_e32 v5, -1, v0
	v_add_nc_u32_e32 v6, 0x1a0, v3
	v_mov_b32_e32 v7, v3
	v_mov_b32_e32 v2, 0
	;; [unrolled: 1-line block ×3, first 2 shown]
	s_mov_b32 s5, 0
	.p2align	6
.LBB51_105:                             ; =>This Inner Loop Header: Depth=1
	s_clause 0x1
	buffer_load_dword v115, v7, s[0:3], 0 offen offset:4
	buffer_load_dword v116, v7, s[0:3], 0 offen
	ds_read_b64 v[113:114], v6
	v_add_nc_u32_e32 v5, 1, v5
	v_add_nc_u32_e32 v6, 8, v6
	;; [unrolled: 1-line block ×3, first 2 shown]
	v_cmp_lt_u32_e32 vcc_lo, 21, v5
	s_or_b32 s5, vcc_lo, s5
	s_waitcnt vmcnt(1) lgkmcnt(0)
	v_mul_f32_e32 v117, v114, v115
	v_mul_f32_e32 v115, v113, v115
	s_waitcnt vmcnt(0)
	v_fma_f32 v113, v113, v116, -v117
	v_fmac_f32_e32 v115, v114, v116
	v_add_f32_e32 v8, v8, v113
	v_add_f32_e32 v2, v2, v115
	s_andn2_b32 exec_lo, exec_lo, s5
	s_cbranch_execnz .LBB51_105
; %bb.106:
	s_or_b32 exec_lo, exec_lo, s5
	v_mov_b32_e32 v5, 0
	ds_read_b64 v[5:6], v5 offset:184
	s_waitcnt lgkmcnt(0)
	v_mul_f32_e32 v7, v2, v6
	v_mul_f32_e32 v6, v8, v6
	v_fma_f32 v7, v8, v5, -v7
	v_fmac_f32_e32 v6, v2, v5
	buffer_store_dword v7, off, s[0:3], 0 offset:184
	buffer_store_dword v6, off, s[0:3], 0 offset:188
.LBB51_107:
	s_or_b32 exec_lo, exec_lo, s4
	s_waitcnt_vscnt null, 0x0
	s_barrier
	buffer_gl0_inv
	s_clause 0x1
	buffer_load_dword v5, off, s[0:3], 0 offset:192
	buffer_load_dword v6, off, s[0:3], 0 offset:196
	s_mov_b32 s4, exec_lo
	s_waitcnt vmcnt(0)
	ds_write_b64 v4, v[5:6]
	s_waitcnt lgkmcnt(0)
	s_barrier
	buffer_gl0_inv
	v_cmpx_gt_u32_e32 24, v0
	s_cbranch_execz .LBB51_111
; %bb.108:
	v_add_nc_u32_e32 v5, -1, v0
	v_add_nc_u32_e32 v6, 0x1a0, v3
	v_mov_b32_e32 v7, v3
	v_mov_b32_e32 v2, 0
	;; [unrolled: 1-line block ×3, first 2 shown]
	s_mov_b32 s5, 0
	.p2align	6
.LBB51_109:                             ; =>This Inner Loop Header: Depth=1
	s_clause 0x1
	buffer_load_dword v115, v7, s[0:3], 0 offen offset:4
	buffer_load_dword v116, v7, s[0:3], 0 offen
	ds_read_b64 v[113:114], v6
	v_add_nc_u32_e32 v5, 1, v5
	v_add_nc_u32_e32 v6, 8, v6
	;; [unrolled: 1-line block ×3, first 2 shown]
	v_cmp_lt_u32_e32 vcc_lo, 22, v5
	s_or_b32 s5, vcc_lo, s5
	s_waitcnt vmcnt(1) lgkmcnt(0)
	v_mul_f32_e32 v117, v114, v115
	v_mul_f32_e32 v115, v113, v115
	s_waitcnt vmcnt(0)
	v_fma_f32 v113, v113, v116, -v117
	v_fmac_f32_e32 v115, v114, v116
	v_add_f32_e32 v8, v8, v113
	v_add_f32_e32 v2, v2, v115
	s_andn2_b32 exec_lo, exec_lo, s5
	s_cbranch_execnz .LBB51_109
; %bb.110:
	s_or_b32 exec_lo, exec_lo, s5
	v_mov_b32_e32 v5, 0
	ds_read_b64 v[5:6], v5 offset:192
	s_waitcnt lgkmcnt(0)
	v_mul_f32_e32 v7, v2, v6
	v_mul_f32_e32 v6, v8, v6
	v_fma_f32 v7, v8, v5, -v7
	v_fmac_f32_e32 v6, v2, v5
	buffer_store_dword v7, off, s[0:3], 0 offset:192
	buffer_store_dword v6, off, s[0:3], 0 offset:196
.LBB51_111:
	s_or_b32 exec_lo, exec_lo, s4
	s_waitcnt_vscnt null, 0x0
	s_barrier
	buffer_gl0_inv
	s_clause 0x1
	buffer_load_dword v5, off, s[0:3], 0 offset:200
	buffer_load_dword v6, off, s[0:3], 0 offset:204
	s_mov_b32 s4, exec_lo
	s_waitcnt vmcnt(0)
	ds_write_b64 v4, v[5:6]
	s_waitcnt lgkmcnt(0)
	s_barrier
	buffer_gl0_inv
	v_cmpx_gt_u32_e32 25, v0
	s_cbranch_execz .LBB51_115
; %bb.112:
	v_add_nc_u32_e32 v5, -1, v0
	v_add_nc_u32_e32 v6, 0x1a0, v3
	v_mov_b32_e32 v7, v3
	v_mov_b32_e32 v2, 0
	;; [unrolled: 1-line block ×3, first 2 shown]
	s_mov_b32 s5, 0
	.p2align	6
.LBB51_113:                             ; =>This Inner Loop Header: Depth=1
	s_clause 0x1
	buffer_load_dword v115, v7, s[0:3], 0 offen offset:4
	buffer_load_dword v116, v7, s[0:3], 0 offen
	ds_read_b64 v[113:114], v6
	v_add_nc_u32_e32 v5, 1, v5
	v_add_nc_u32_e32 v6, 8, v6
	;; [unrolled: 1-line block ×3, first 2 shown]
	v_cmp_lt_u32_e32 vcc_lo, 23, v5
	s_or_b32 s5, vcc_lo, s5
	s_waitcnt vmcnt(1) lgkmcnt(0)
	v_mul_f32_e32 v117, v114, v115
	v_mul_f32_e32 v115, v113, v115
	s_waitcnt vmcnt(0)
	v_fma_f32 v113, v113, v116, -v117
	v_fmac_f32_e32 v115, v114, v116
	v_add_f32_e32 v8, v8, v113
	v_add_f32_e32 v2, v2, v115
	s_andn2_b32 exec_lo, exec_lo, s5
	s_cbranch_execnz .LBB51_113
; %bb.114:
	s_or_b32 exec_lo, exec_lo, s5
	v_mov_b32_e32 v5, 0
	ds_read_b64 v[5:6], v5 offset:200
	s_waitcnt lgkmcnt(0)
	v_mul_f32_e32 v7, v2, v6
	v_mul_f32_e32 v6, v8, v6
	v_fma_f32 v7, v8, v5, -v7
	v_fmac_f32_e32 v6, v2, v5
	buffer_store_dword v7, off, s[0:3], 0 offset:200
	buffer_store_dword v6, off, s[0:3], 0 offset:204
.LBB51_115:
	s_or_b32 exec_lo, exec_lo, s4
	s_waitcnt_vscnt null, 0x0
	s_barrier
	buffer_gl0_inv
	s_clause 0x1
	buffer_load_dword v5, off, s[0:3], 0 offset:208
	buffer_load_dword v6, off, s[0:3], 0 offset:212
	s_mov_b32 s4, exec_lo
	s_waitcnt vmcnt(0)
	ds_write_b64 v4, v[5:6]
	s_waitcnt lgkmcnt(0)
	s_barrier
	buffer_gl0_inv
	v_cmpx_gt_u32_e32 26, v0
	s_cbranch_execz .LBB51_119
; %bb.116:
	v_add_nc_u32_e32 v5, -1, v0
	v_add_nc_u32_e32 v6, 0x1a0, v3
	v_mov_b32_e32 v7, v3
	v_mov_b32_e32 v2, 0
	;; [unrolled: 1-line block ×3, first 2 shown]
	s_mov_b32 s5, 0
	.p2align	6
.LBB51_117:                             ; =>This Inner Loop Header: Depth=1
	s_clause 0x1
	buffer_load_dword v115, v7, s[0:3], 0 offen offset:4
	buffer_load_dword v116, v7, s[0:3], 0 offen
	ds_read_b64 v[113:114], v6
	v_add_nc_u32_e32 v5, 1, v5
	v_add_nc_u32_e32 v6, 8, v6
	;; [unrolled: 1-line block ×3, first 2 shown]
	v_cmp_lt_u32_e32 vcc_lo, 24, v5
	s_or_b32 s5, vcc_lo, s5
	s_waitcnt vmcnt(1) lgkmcnt(0)
	v_mul_f32_e32 v117, v114, v115
	v_mul_f32_e32 v115, v113, v115
	s_waitcnt vmcnt(0)
	v_fma_f32 v113, v113, v116, -v117
	v_fmac_f32_e32 v115, v114, v116
	v_add_f32_e32 v8, v8, v113
	v_add_f32_e32 v2, v2, v115
	s_andn2_b32 exec_lo, exec_lo, s5
	s_cbranch_execnz .LBB51_117
; %bb.118:
	s_or_b32 exec_lo, exec_lo, s5
	v_mov_b32_e32 v5, 0
	ds_read_b64 v[5:6], v5 offset:208
	s_waitcnt lgkmcnt(0)
	v_mul_f32_e32 v7, v2, v6
	v_mul_f32_e32 v6, v8, v6
	v_fma_f32 v7, v8, v5, -v7
	v_fmac_f32_e32 v6, v2, v5
	buffer_store_dword v7, off, s[0:3], 0 offset:208
	buffer_store_dword v6, off, s[0:3], 0 offset:212
.LBB51_119:
	s_or_b32 exec_lo, exec_lo, s4
	s_waitcnt_vscnt null, 0x0
	s_barrier
	buffer_gl0_inv
	s_clause 0x1
	buffer_load_dword v5, off, s[0:3], 0 offset:216
	buffer_load_dword v6, off, s[0:3], 0 offset:220
	s_mov_b32 s4, exec_lo
	s_waitcnt vmcnt(0)
	ds_write_b64 v4, v[5:6]
	s_waitcnt lgkmcnt(0)
	s_barrier
	buffer_gl0_inv
	v_cmpx_gt_u32_e32 27, v0
	s_cbranch_execz .LBB51_123
; %bb.120:
	v_add_nc_u32_e32 v5, -1, v0
	v_add_nc_u32_e32 v6, 0x1a0, v3
	v_mov_b32_e32 v7, v3
	v_mov_b32_e32 v2, 0
	;; [unrolled: 1-line block ×3, first 2 shown]
	s_mov_b32 s5, 0
	.p2align	6
.LBB51_121:                             ; =>This Inner Loop Header: Depth=1
	s_clause 0x1
	buffer_load_dword v115, v7, s[0:3], 0 offen offset:4
	buffer_load_dword v116, v7, s[0:3], 0 offen
	ds_read_b64 v[113:114], v6
	v_add_nc_u32_e32 v5, 1, v5
	v_add_nc_u32_e32 v6, 8, v6
	;; [unrolled: 1-line block ×3, first 2 shown]
	v_cmp_lt_u32_e32 vcc_lo, 25, v5
	s_or_b32 s5, vcc_lo, s5
	s_waitcnt vmcnt(1) lgkmcnt(0)
	v_mul_f32_e32 v117, v114, v115
	v_mul_f32_e32 v115, v113, v115
	s_waitcnt vmcnt(0)
	v_fma_f32 v113, v113, v116, -v117
	v_fmac_f32_e32 v115, v114, v116
	v_add_f32_e32 v8, v8, v113
	v_add_f32_e32 v2, v2, v115
	s_andn2_b32 exec_lo, exec_lo, s5
	s_cbranch_execnz .LBB51_121
; %bb.122:
	s_or_b32 exec_lo, exec_lo, s5
	v_mov_b32_e32 v5, 0
	ds_read_b64 v[5:6], v5 offset:216
	s_waitcnt lgkmcnt(0)
	v_mul_f32_e32 v7, v2, v6
	v_mul_f32_e32 v6, v8, v6
	v_fma_f32 v7, v8, v5, -v7
	v_fmac_f32_e32 v6, v2, v5
	buffer_store_dword v7, off, s[0:3], 0 offset:216
	buffer_store_dword v6, off, s[0:3], 0 offset:220
.LBB51_123:
	s_or_b32 exec_lo, exec_lo, s4
	s_waitcnt_vscnt null, 0x0
	s_barrier
	buffer_gl0_inv
	s_clause 0x1
	buffer_load_dword v5, off, s[0:3], 0 offset:224
	buffer_load_dword v6, off, s[0:3], 0 offset:228
	s_mov_b32 s4, exec_lo
	s_waitcnt vmcnt(0)
	ds_write_b64 v4, v[5:6]
	s_waitcnt lgkmcnt(0)
	s_barrier
	buffer_gl0_inv
	v_cmpx_gt_u32_e32 28, v0
	s_cbranch_execz .LBB51_127
; %bb.124:
	v_add_nc_u32_e32 v5, -1, v0
	v_add_nc_u32_e32 v6, 0x1a0, v3
	v_mov_b32_e32 v7, v3
	v_mov_b32_e32 v2, 0
	;; [unrolled: 1-line block ×3, first 2 shown]
	s_mov_b32 s5, 0
	.p2align	6
.LBB51_125:                             ; =>This Inner Loop Header: Depth=1
	s_clause 0x1
	buffer_load_dword v115, v7, s[0:3], 0 offen offset:4
	buffer_load_dword v116, v7, s[0:3], 0 offen
	ds_read_b64 v[113:114], v6
	v_add_nc_u32_e32 v5, 1, v5
	v_add_nc_u32_e32 v6, 8, v6
	;; [unrolled: 1-line block ×3, first 2 shown]
	v_cmp_lt_u32_e32 vcc_lo, 26, v5
	s_or_b32 s5, vcc_lo, s5
	s_waitcnt vmcnt(1) lgkmcnt(0)
	v_mul_f32_e32 v117, v114, v115
	v_mul_f32_e32 v115, v113, v115
	s_waitcnt vmcnt(0)
	v_fma_f32 v113, v113, v116, -v117
	v_fmac_f32_e32 v115, v114, v116
	v_add_f32_e32 v8, v8, v113
	v_add_f32_e32 v2, v2, v115
	s_andn2_b32 exec_lo, exec_lo, s5
	s_cbranch_execnz .LBB51_125
; %bb.126:
	s_or_b32 exec_lo, exec_lo, s5
	v_mov_b32_e32 v5, 0
	ds_read_b64 v[5:6], v5 offset:224
	s_waitcnt lgkmcnt(0)
	v_mul_f32_e32 v7, v2, v6
	v_mul_f32_e32 v6, v8, v6
	v_fma_f32 v7, v8, v5, -v7
	v_fmac_f32_e32 v6, v2, v5
	buffer_store_dword v7, off, s[0:3], 0 offset:224
	buffer_store_dword v6, off, s[0:3], 0 offset:228
.LBB51_127:
	s_or_b32 exec_lo, exec_lo, s4
	s_waitcnt_vscnt null, 0x0
	s_barrier
	buffer_gl0_inv
	s_clause 0x1
	buffer_load_dword v5, off, s[0:3], 0 offset:232
	buffer_load_dword v6, off, s[0:3], 0 offset:236
	s_mov_b32 s4, exec_lo
	s_waitcnt vmcnt(0)
	ds_write_b64 v4, v[5:6]
	s_waitcnt lgkmcnt(0)
	s_barrier
	buffer_gl0_inv
	v_cmpx_gt_u32_e32 29, v0
	s_cbranch_execz .LBB51_131
; %bb.128:
	v_add_nc_u32_e32 v5, -1, v0
	v_add_nc_u32_e32 v6, 0x1a0, v3
	v_mov_b32_e32 v7, v3
	v_mov_b32_e32 v2, 0
	;; [unrolled: 1-line block ×3, first 2 shown]
	s_mov_b32 s5, 0
	.p2align	6
.LBB51_129:                             ; =>This Inner Loop Header: Depth=1
	s_clause 0x1
	buffer_load_dword v115, v7, s[0:3], 0 offen offset:4
	buffer_load_dword v116, v7, s[0:3], 0 offen
	ds_read_b64 v[113:114], v6
	v_add_nc_u32_e32 v5, 1, v5
	v_add_nc_u32_e32 v6, 8, v6
	;; [unrolled: 1-line block ×3, first 2 shown]
	v_cmp_lt_u32_e32 vcc_lo, 27, v5
	s_or_b32 s5, vcc_lo, s5
	s_waitcnt vmcnt(1) lgkmcnt(0)
	v_mul_f32_e32 v117, v114, v115
	v_mul_f32_e32 v115, v113, v115
	s_waitcnt vmcnt(0)
	v_fma_f32 v113, v113, v116, -v117
	v_fmac_f32_e32 v115, v114, v116
	v_add_f32_e32 v8, v8, v113
	v_add_f32_e32 v2, v2, v115
	s_andn2_b32 exec_lo, exec_lo, s5
	s_cbranch_execnz .LBB51_129
; %bb.130:
	s_or_b32 exec_lo, exec_lo, s5
	v_mov_b32_e32 v5, 0
	ds_read_b64 v[5:6], v5 offset:232
	s_waitcnt lgkmcnt(0)
	v_mul_f32_e32 v7, v2, v6
	v_mul_f32_e32 v6, v8, v6
	v_fma_f32 v7, v8, v5, -v7
	v_fmac_f32_e32 v6, v2, v5
	buffer_store_dword v7, off, s[0:3], 0 offset:232
	buffer_store_dword v6, off, s[0:3], 0 offset:236
.LBB51_131:
	s_or_b32 exec_lo, exec_lo, s4
	s_waitcnt_vscnt null, 0x0
	s_barrier
	buffer_gl0_inv
	s_clause 0x1
	buffer_load_dword v5, off, s[0:3], 0 offset:240
	buffer_load_dword v6, off, s[0:3], 0 offset:244
	s_mov_b32 s4, exec_lo
	s_waitcnt vmcnt(0)
	ds_write_b64 v4, v[5:6]
	s_waitcnt lgkmcnt(0)
	s_barrier
	buffer_gl0_inv
	v_cmpx_gt_u32_e32 30, v0
	s_cbranch_execz .LBB51_135
; %bb.132:
	v_add_nc_u32_e32 v5, -1, v0
	v_add_nc_u32_e32 v6, 0x1a0, v3
	v_mov_b32_e32 v7, v3
	v_mov_b32_e32 v2, 0
	;; [unrolled: 1-line block ×3, first 2 shown]
	s_mov_b32 s5, 0
	.p2align	6
.LBB51_133:                             ; =>This Inner Loop Header: Depth=1
	s_clause 0x1
	buffer_load_dword v115, v7, s[0:3], 0 offen offset:4
	buffer_load_dword v116, v7, s[0:3], 0 offen
	ds_read_b64 v[113:114], v6
	v_add_nc_u32_e32 v5, 1, v5
	v_add_nc_u32_e32 v6, 8, v6
	;; [unrolled: 1-line block ×3, first 2 shown]
	v_cmp_lt_u32_e32 vcc_lo, 28, v5
	s_or_b32 s5, vcc_lo, s5
	s_waitcnt vmcnt(1) lgkmcnt(0)
	v_mul_f32_e32 v117, v114, v115
	v_mul_f32_e32 v115, v113, v115
	s_waitcnt vmcnt(0)
	v_fma_f32 v113, v113, v116, -v117
	v_fmac_f32_e32 v115, v114, v116
	v_add_f32_e32 v8, v8, v113
	v_add_f32_e32 v2, v2, v115
	s_andn2_b32 exec_lo, exec_lo, s5
	s_cbranch_execnz .LBB51_133
; %bb.134:
	s_or_b32 exec_lo, exec_lo, s5
	v_mov_b32_e32 v5, 0
	ds_read_b64 v[5:6], v5 offset:240
	s_waitcnt lgkmcnt(0)
	v_mul_f32_e32 v7, v2, v6
	v_mul_f32_e32 v6, v8, v6
	v_fma_f32 v7, v8, v5, -v7
	v_fmac_f32_e32 v6, v2, v5
	buffer_store_dword v7, off, s[0:3], 0 offset:240
	buffer_store_dword v6, off, s[0:3], 0 offset:244
.LBB51_135:
	s_or_b32 exec_lo, exec_lo, s4
	s_waitcnt_vscnt null, 0x0
	s_barrier
	buffer_gl0_inv
	s_clause 0x1
	buffer_load_dword v5, off, s[0:3], 0 offset:248
	buffer_load_dword v6, off, s[0:3], 0 offset:252
	s_mov_b32 s4, exec_lo
	s_waitcnt vmcnt(0)
	ds_write_b64 v4, v[5:6]
	s_waitcnt lgkmcnt(0)
	s_barrier
	buffer_gl0_inv
	v_cmpx_gt_u32_e32 31, v0
	s_cbranch_execz .LBB51_139
; %bb.136:
	v_add_nc_u32_e32 v5, -1, v0
	v_add_nc_u32_e32 v6, 0x1a0, v3
	v_mov_b32_e32 v7, v3
	v_mov_b32_e32 v2, 0
	;; [unrolled: 1-line block ×3, first 2 shown]
	s_mov_b32 s5, 0
	.p2align	6
.LBB51_137:                             ; =>This Inner Loop Header: Depth=1
	s_clause 0x1
	buffer_load_dword v115, v7, s[0:3], 0 offen offset:4
	buffer_load_dword v116, v7, s[0:3], 0 offen
	ds_read_b64 v[113:114], v6
	v_add_nc_u32_e32 v5, 1, v5
	v_add_nc_u32_e32 v6, 8, v6
	;; [unrolled: 1-line block ×3, first 2 shown]
	v_cmp_lt_u32_e32 vcc_lo, 29, v5
	s_or_b32 s5, vcc_lo, s5
	s_waitcnt vmcnt(1) lgkmcnt(0)
	v_mul_f32_e32 v117, v114, v115
	v_mul_f32_e32 v115, v113, v115
	s_waitcnt vmcnt(0)
	v_fma_f32 v113, v113, v116, -v117
	v_fmac_f32_e32 v115, v114, v116
	v_add_f32_e32 v8, v8, v113
	v_add_f32_e32 v2, v2, v115
	s_andn2_b32 exec_lo, exec_lo, s5
	s_cbranch_execnz .LBB51_137
; %bb.138:
	s_or_b32 exec_lo, exec_lo, s5
	v_mov_b32_e32 v5, 0
	ds_read_b64 v[5:6], v5 offset:248
	s_waitcnt lgkmcnt(0)
	v_mul_f32_e32 v7, v2, v6
	v_mul_f32_e32 v6, v8, v6
	v_fma_f32 v7, v8, v5, -v7
	v_fmac_f32_e32 v6, v2, v5
	buffer_store_dword v7, off, s[0:3], 0 offset:248
	buffer_store_dword v6, off, s[0:3], 0 offset:252
.LBB51_139:
	s_or_b32 exec_lo, exec_lo, s4
	s_waitcnt_vscnt null, 0x0
	s_barrier
	buffer_gl0_inv
	s_clause 0x1
	buffer_load_dword v5, off, s[0:3], 0 offset:256
	buffer_load_dword v6, off, s[0:3], 0 offset:260
	s_mov_b32 s4, exec_lo
	s_waitcnt vmcnt(0)
	ds_write_b64 v4, v[5:6]
	s_waitcnt lgkmcnt(0)
	s_barrier
	buffer_gl0_inv
	v_cmpx_gt_u32_e32 32, v0
	s_cbranch_execz .LBB51_143
; %bb.140:
	v_add_nc_u32_e32 v5, -1, v0
	v_add_nc_u32_e32 v6, 0x1a0, v3
	v_mov_b32_e32 v7, v3
	v_mov_b32_e32 v2, 0
	;; [unrolled: 1-line block ×3, first 2 shown]
	s_mov_b32 s5, 0
	.p2align	6
.LBB51_141:                             ; =>This Inner Loop Header: Depth=1
	s_clause 0x1
	buffer_load_dword v115, v7, s[0:3], 0 offen offset:4
	buffer_load_dword v116, v7, s[0:3], 0 offen
	ds_read_b64 v[113:114], v6
	v_add_nc_u32_e32 v5, 1, v5
	v_add_nc_u32_e32 v6, 8, v6
	v_add_nc_u32_e32 v7, 8, v7
	v_cmp_lt_u32_e32 vcc_lo, 30, v5
	s_or_b32 s5, vcc_lo, s5
	s_waitcnt vmcnt(1) lgkmcnt(0)
	v_mul_f32_e32 v117, v114, v115
	v_mul_f32_e32 v115, v113, v115
	s_waitcnt vmcnt(0)
	v_fma_f32 v113, v113, v116, -v117
	v_fmac_f32_e32 v115, v114, v116
	v_add_f32_e32 v8, v8, v113
	v_add_f32_e32 v2, v2, v115
	s_andn2_b32 exec_lo, exec_lo, s5
	s_cbranch_execnz .LBB51_141
; %bb.142:
	s_or_b32 exec_lo, exec_lo, s5
	v_mov_b32_e32 v5, 0
	ds_read_b64 v[5:6], v5 offset:256
	s_waitcnt lgkmcnt(0)
	v_mul_f32_e32 v7, v2, v6
	v_mul_f32_e32 v6, v8, v6
	v_fma_f32 v7, v8, v5, -v7
	v_fmac_f32_e32 v6, v2, v5
	buffer_store_dword v7, off, s[0:3], 0 offset:256
	buffer_store_dword v6, off, s[0:3], 0 offset:260
.LBB51_143:
	s_or_b32 exec_lo, exec_lo, s4
	s_waitcnt_vscnt null, 0x0
	s_barrier
	buffer_gl0_inv
	s_clause 0x1
	buffer_load_dword v5, off, s[0:3], 0 offset:264
	buffer_load_dword v6, off, s[0:3], 0 offset:268
	s_mov_b32 s4, exec_lo
	s_waitcnt vmcnt(0)
	ds_write_b64 v4, v[5:6]
	s_waitcnt lgkmcnt(0)
	s_barrier
	buffer_gl0_inv
	v_cmpx_gt_u32_e32 33, v0
	s_cbranch_execz .LBB51_147
; %bb.144:
	v_add_nc_u32_e32 v5, -1, v0
	v_add_nc_u32_e32 v6, 0x1a0, v3
	v_mov_b32_e32 v7, v3
	v_mov_b32_e32 v2, 0
	;; [unrolled: 1-line block ×3, first 2 shown]
	s_mov_b32 s5, 0
	.p2align	6
.LBB51_145:                             ; =>This Inner Loop Header: Depth=1
	s_clause 0x1
	buffer_load_dword v115, v7, s[0:3], 0 offen offset:4
	buffer_load_dword v116, v7, s[0:3], 0 offen
	ds_read_b64 v[113:114], v6
	v_add_nc_u32_e32 v5, 1, v5
	v_add_nc_u32_e32 v6, 8, v6
	;; [unrolled: 1-line block ×3, first 2 shown]
	v_cmp_lt_u32_e32 vcc_lo, 31, v5
	s_or_b32 s5, vcc_lo, s5
	s_waitcnt vmcnt(1) lgkmcnt(0)
	v_mul_f32_e32 v117, v114, v115
	v_mul_f32_e32 v115, v113, v115
	s_waitcnt vmcnt(0)
	v_fma_f32 v113, v113, v116, -v117
	v_fmac_f32_e32 v115, v114, v116
	v_add_f32_e32 v8, v8, v113
	v_add_f32_e32 v2, v2, v115
	s_andn2_b32 exec_lo, exec_lo, s5
	s_cbranch_execnz .LBB51_145
; %bb.146:
	s_or_b32 exec_lo, exec_lo, s5
	v_mov_b32_e32 v5, 0
	ds_read_b64 v[5:6], v5 offset:264
	s_waitcnt lgkmcnt(0)
	v_mul_f32_e32 v7, v2, v6
	v_mul_f32_e32 v6, v8, v6
	v_fma_f32 v7, v8, v5, -v7
	v_fmac_f32_e32 v6, v2, v5
	buffer_store_dword v7, off, s[0:3], 0 offset:264
	buffer_store_dword v6, off, s[0:3], 0 offset:268
.LBB51_147:
	s_or_b32 exec_lo, exec_lo, s4
	s_waitcnt_vscnt null, 0x0
	s_barrier
	buffer_gl0_inv
	s_clause 0x1
	buffer_load_dword v5, off, s[0:3], 0 offset:272
	buffer_load_dword v6, off, s[0:3], 0 offset:276
	s_mov_b32 s4, exec_lo
	s_waitcnt vmcnt(0)
	ds_write_b64 v4, v[5:6]
	s_waitcnt lgkmcnt(0)
	s_barrier
	buffer_gl0_inv
	v_cmpx_gt_u32_e32 34, v0
	s_cbranch_execz .LBB51_151
; %bb.148:
	v_add_nc_u32_e32 v5, -1, v0
	v_add_nc_u32_e32 v6, 0x1a0, v3
	v_mov_b32_e32 v7, v3
	v_mov_b32_e32 v2, 0
	;; [unrolled: 1-line block ×3, first 2 shown]
	s_mov_b32 s5, 0
	.p2align	6
.LBB51_149:                             ; =>This Inner Loop Header: Depth=1
	s_clause 0x1
	buffer_load_dword v115, v7, s[0:3], 0 offen offset:4
	buffer_load_dword v116, v7, s[0:3], 0 offen
	ds_read_b64 v[113:114], v6
	v_add_nc_u32_e32 v5, 1, v5
	v_add_nc_u32_e32 v6, 8, v6
	;; [unrolled: 1-line block ×3, first 2 shown]
	v_cmp_lt_u32_e32 vcc_lo, 32, v5
	s_or_b32 s5, vcc_lo, s5
	s_waitcnt vmcnt(1) lgkmcnt(0)
	v_mul_f32_e32 v117, v114, v115
	v_mul_f32_e32 v115, v113, v115
	s_waitcnt vmcnt(0)
	v_fma_f32 v113, v113, v116, -v117
	v_fmac_f32_e32 v115, v114, v116
	v_add_f32_e32 v8, v8, v113
	v_add_f32_e32 v2, v2, v115
	s_andn2_b32 exec_lo, exec_lo, s5
	s_cbranch_execnz .LBB51_149
; %bb.150:
	s_or_b32 exec_lo, exec_lo, s5
	v_mov_b32_e32 v5, 0
	ds_read_b64 v[5:6], v5 offset:272
	s_waitcnt lgkmcnt(0)
	v_mul_f32_e32 v7, v2, v6
	v_mul_f32_e32 v6, v8, v6
	v_fma_f32 v7, v8, v5, -v7
	v_fmac_f32_e32 v6, v2, v5
	buffer_store_dword v7, off, s[0:3], 0 offset:272
	buffer_store_dword v6, off, s[0:3], 0 offset:276
.LBB51_151:
	s_or_b32 exec_lo, exec_lo, s4
	s_waitcnt_vscnt null, 0x0
	s_barrier
	buffer_gl0_inv
	s_clause 0x1
	buffer_load_dword v5, off, s[0:3], 0 offset:280
	buffer_load_dword v6, off, s[0:3], 0 offset:284
	s_mov_b32 s4, exec_lo
	s_waitcnt vmcnt(0)
	ds_write_b64 v4, v[5:6]
	s_waitcnt lgkmcnt(0)
	s_barrier
	buffer_gl0_inv
	v_cmpx_gt_u32_e32 35, v0
	s_cbranch_execz .LBB51_155
; %bb.152:
	v_add_nc_u32_e32 v5, -1, v0
	v_add_nc_u32_e32 v6, 0x1a0, v3
	v_mov_b32_e32 v7, v3
	v_mov_b32_e32 v2, 0
	;; [unrolled: 1-line block ×3, first 2 shown]
	s_mov_b32 s5, 0
	.p2align	6
.LBB51_153:                             ; =>This Inner Loop Header: Depth=1
	s_clause 0x1
	buffer_load_dword v115, v7, s[0:3], 0 offen offset:4
	buffer_load_dword v116, v7, s[0:3], 0 offen
	ds_read_b64 v[113:114], v6
	v_add_nc_u32_e32 v5, 1, v5
	v_add_nc_u32_e32 v6, 8, v6
	;; [unrolled: 1-line block ×3, first 2 shown]
	v_cmp_lt_u32_e32 vcc_lo, 33, v5
	s_or_b32 s5, vcc_lo, s5
	s_waitcnt vmcnt(1) lgkmcnt(0)
	v_mul_f32_e32 v117, v114, v115
	v_mul_f32_e32 v115, v113, v115
	s_waitcnt vmcnt(0)
	v_fma_f32 v113, v113, v116, -v117
	v_fmac_f32_e32 v115, v114, v116
	v_add_f32_e32 v8, v8, v113
	v_add_f32_e32 v2, v2, v115
	s_andn2_b32 exec_lo, exec_lo, s5
	s_cbranch_execnz .LBB51_153
; %bb.154:
	s_or_b32 exec_lo, exec_lo, s5
	v_mov_b32_e32 v5, 0
	ds_read_b64 v[5:6], v5 offset:280
	s_waitcnt lgkmcnt(0)
	v_mul_f32_e32 v7, v2, v6
	v_mul_f32_e32 v6, v8, v6
	v_fma_f32 v7, v8, v5, -v7
	v_fmac_f32_e32 v6, v2, v5
	buffer_store_dword v7, off, s[0:3], 0 offset:280
	buffer_store_dword v6, off, s[0:3], 0 offset:284
.LBB51_155:
	s_or_b32 exec_lo, exec_lo, s4
	s_waitcnt_vscnt null, 0x0
	s_barrier
	buffer_gl0_inv
	s_clause 0x1
	buffer_load_dword v5, off, s[0:3], 0 offset:288
	buffer_load_dword v6, off, s[0:3], 0 offset:292
	s_mov_b32 s4, exec_lo
	s_waitcnt vmcnt(0)
	ds_write_b64 v4, v[5:6]
	s_waitcnt lgkmcnt(0)
	s_barrier
	buffer_gl0_inv
	v_cmpx_gt_u32_e32 36, v0
	s_cbranch_execz .LBB51_159
; %bb.156:
	v_add_nc_u32_e32 v5, -1, v0
	v_add_nc_u32_e32 v6, 0x1a0, v3
	v_mov_b32_e32 v7, v3
	v_mov_b32_e32 v2, 0
	;; [unrolled: 1-line block ×3, first 2 shown]
	s_mov_b32 s5, 0
	.p2align	6
.LBB51_157:                             ; =>This Inner Loop Header: Depth=1
	s_clause 0x1
	buffer_load_dword v115, v7, s[0:3], 0 offen offset:4
	buffer_load_dword v116, v7, s[0:3], 0 offen
	ds_read_b64 v[113:114], v6
	v_add_nc_u32_e32 v5, 1, v5
	v_add_nc_u32_e32 v6, 8, v6
	;; [unrolled: 1-line block ×3, first 2 shown]
	v_cmp_lt_u32_e32 vcc_lo, 34, v5
	s_or_b32 s5, vcc_lo, s5
	s_waitcnt vmcnt(1) lgkmcnt(0)
	v_mul_f32_e32 v117, v114, v115
	v_mul_f32_e32 v115, v113, v115
	s_waitcnt vmcnt(0)
	v_fma_f32 v113, v113, v116, -v117
	v_fmac_f32_e32 v115, v114, v116
	v_add_f32_e32 v8, v8, v113
	v_add_f32_e32 v2, v2, v115
	s_andn2_b32 exec_lo, exec_lo, s5
	s_cbranch_execnz .LBB51_157
; %bb.158:
	s_or_b32 exec_lo, exec_lo, s5
	v_mov_b32_e32 v5, 0
	ds_read_b64 v[5:6], v5 offset:288
	s_waitcnt lgkmcnt(0)
	v_mul_f32_e32 v7, v2, v6
	v_mul_f32_e32 v6, v8, v6
	v_fma_f32 v7, v8, v5, -v7
	v_fmac_f32_e32 v6, v2, v5
	buffer_store_dword v7, off, s[0:3], 0 offset:288
	buffer_store_dword v6, off, s[0:3], 0 offset:292
.LBB51_159:
	s_or_b32 exec_lo, exec_lo, s4
	s_waitcnt_vscnt null, 0x0
	s_barrier
	buffer_gl0_inv
	s_clause 0x1
	buffer_load_dword v5, off, s[0:3], 0 offset:296
	buffer_load_dword v6, off, s[0:3], 0 offset:300
	s_mov_b32 s4, exec_lo
	s_waitcnt vmcnt(0)
	ds_write_b64 v4, v[5:6]
	s_waitcnt lgkmcnt(0)
	s_barrier
	buffer_gl0_inv
	v_cmpx_gt_u32_e32 37, v0
	s_cbranch_execz .LBB51_163
; %bb.160:
	v_add_nc_u32_e32 v5, -1, v0
	v_add_nc_u32_e32 v6, 0x1a0, v3
	v_mov_b32_e32 v7, v3
	v_mov_b32_e32 v2, 0
	v_mov_b32_e32 v8, 0
	s_mov_b32 s5, 0
	.p2align	6
.LBB51_161:                             ; =>This Inner Loop Header: Depth=1
	s_clause 0x1
	buffer_load_dword v115, v7, s[0:3], 0 offen offset:4
	buffer_load_dword v116, v7, s[0:3], 0 offen
	ds_read_b64 v[113:114], v6
	v_add_nc_u32_e32 v5, 1, v5
	v_add_nc_u32_e32 v6, 8, v6
	;; [unrolled: 1-line block ×3, first 2 shown]
	v_cmp_lt_u32_e32 vcc_lo, 35, v5
	s_or_b32 s5, vcc_lo, s5
	s_waitcnt vmcnt(1) lgkmcnt(0)
	v_mul_f32_e32 v117, v114, v115
	v_mul_f32_e32 v115, v113, v115
	s_waitcnt vmcnt(0)
	v_fma_f32 v113, v113, v116, -v117
	v_fmac_f32_e32 v115, v114, v116
	v_add_f32_e32 v8, v8, v113
	v_add_f32_e32 v2, v2, v115
	s_andn2_b32 exec_lo, exec_lo, s5
	s_cbranch_execnz .LBB51_161
; %bb.162:
	s_or_b32 exec_lo, exec_lo, s5
	v_mov_b32_e32 v5, 0
	ds_read_b64 v[5:6], v5 offset:296
	s_waitcnt lgkmcnt(0)
	v_mul_f32_e32 v7, v2, v6
	v_mul_f32_e32 v6, v8, v6
	v_fma_f32 v7, v8, v5, -v7
	v_fmac_f32_e32 v6, v2, v5
	buffer_store_dword v7, off, s[0:3], 0 offset:296
	buffer_store_dword v6, off, s[0:3], 0 offset:300
.LBB51_163:
	s_or_b32 exec_lo, exec_lo, s4
	s_waitcnt_vscnt null, 0x0
	s_barrier
	buffer_gl0_inv
	s_clause 0x1
	buffer_load_dword v5, off, s[0:3], 0 offset:304
	buffer_load_dword v6, off, s[0:3], 0 offset:308
	s_mov_b32 s4, exec_lo
	s_waitcnt vmcnt(0)
	ds_write_b64 v4, v[5:6]
	s_waitcnt lgkmcnt(0)
	s_barrier
	buffer_gl0_inv
	v_cmpx_gt_u32_e32 38, v0
	s_cbranch_execz .LBB51_167
; %bb.164:
	v_add_nc_u32_e32 v5, -1, v0
	v_add_nc_u32_e32 v6, 0x1a0, v3
	v_mov_b32_e32 v7, v3
	v_mov_b32_e32 v2, 0
	;; [unrolled: 1-line block ×3, first 2 shown]
	s_mov_b32 s5, 0
	.p2align	6
.LBB51_165:                             ; =>This Inner Loop Header: Depth=1
	s_clause 0x1
	buffer_load_dword v115, v7, s[0:3], 0 offen offset:4
	buffer_load_dword v116, v7, s[0:3], 0 offen
	ds_read_b64 v[113:114], v6
	v_add_nc_u32_e32 v5, 1, v5
	v_add_nc_u32_e32 v6, 8, v6
	;; [unrolled: 1-line block ×3, first 2 shown]
	v_cmp_lt_u32_e32 vcc_lo, 36, v5
	s_or_b32 s5, vcc_lo, s5
	s_waitcnt vmcnt(1) lgkmcnt(0)
	v_mul_f32_e32 v117, v114, v115
	v_mul_f32_e32 v115, v113, v115
	s_waitcnt vmcnt(0)
	v_fma_f32 v113, v113, v116, -v117
	v_fmac_f32_e32 v115, v114, v116
	v_add_f32_e32 v8, v8, v113
	v_add_f32_e32 v2, v2, v115
	s_andn2_b32 exec_lo, exec_lo, s5
	s_cbranch_execnz .LBB51_165
; %bb.166:
	s_or_b32 exec_lo, exec_lo, s5
	v_mov_b32_e32 v5, 0
	ds_read_b64 v[5:6], v5 offset:304
	s_waitcnt lgkmcnt(0)
	v_mul_f32_e32 v7, v2, v6
	v_mul_f32_e32 v6, v8, v6
	v_fma_f32 v7, v8, v5, -v7
	v_fmac_f32_e32 v6, v2, v5
	buffer_store_dword v7, off, s[0:3], 0 offset:304
	buffer_store_dword v6, off, s[0:3], 0 offset:308
.LBB51_167:
	s_or_b32 exec_lo, exec_lo, s4
	s_waitcnt_vscnt null, 0x0
	s_barrier
	buffer_gl0_inv
	s_clause 0x1
	buffer_load_dword v5, off, s[0:3], 0 offset:312
	buffer_load_dword v6, off, s[0:3], 0 offset:316
	s_mov_b32 s4, exec_lo
	s_waitcnt vmcnt(0)
	ds_write_b64 v4, v[5:6]
	s_waitcnt lgkmcnt(0)
	s_barrier
	buffer_gl0_inv
	v_cmpx_gt_u32_e32 39, v0
	s_cbranch_execz .LBB51_171
; %bb.168:
	v_add_nc_u32_e32 v5, -1, v0
	v_add_nc_u32_e32 v6, 0x1a0, v3
	v_mov_b32_e32 v7, v3
	v_mov_b32_e32 v2, 0
	;; [unrolled: 1-line block ×3, first 2 shown]
	s_mov_b32 s5, 0
	.p2align	6
.LBB51_169:                             ; =>This Inner Loop Header: Depth=1
	s_clause 0x1
	buffer_load_dword v115, v7, s[0:3], 0 offen offset:4
	buffer_load_dword v116, v7, s[0:3], 0 offen
	ds_read_b64 v[113:114], v6
	v_add_nc_u32_e32 v5, 1, v5
	v_add_nc_u32_e32 v6, 8, v6
	;; [unrolled: 1-line block ×3, first 2 shown]
	v_cmp_lt_u32_e32 vcc_lo, 37, v5
	s_or_b32 s5, vcc_lo, s5
	s_waitcnt vmcnt(1) lgkmcnt(0)
	v_mul_f32_e32 v117, v114, v115
	v_mul_f32_e32 v115, v113, v115
	s_waitcnt vmcnt(0)
	v_fma_f32 v113, v113, v116, -v117
	v_fmac_f32_e32 v115, v114, v116
	v_add_f32_e32 v8, v8, v113
	v_add_f32_e32 v2, v2, v115
	s_andn2_b32 exec_lo, exec_lo, s5
	s_cbranch_execnz .LBB51_169
; %bb.170:
	s_or_b32 exec_lo, exec_lo, s5
	v_mov_b32_e32 v5, 0
	ds_read_b64 v[5:6], v5 offset:312
	s_waitcnt lgkmcnt(0)
	v_mul_f32_e32 v7, v2, v6
	v_mul_f32_e32 v6, v8, v6
	v_fma_f32 v7, v8, v5, -v7
	v_fmac_f32_e32 v6, v2, v5
	buffer_store_dword v7, off, s[0:3], 0 offset:312
	buffer_store_dword v6, off, s[0:3], 0 offset:316
.LBB51_171:
	s_or_b32 exec_lo, exec_lo, s4
	s_waitcnt_vscnt null, 0x0
	s_barrier
	buffer_gl0_inv
	s_clause 0x1
	buffer_load_dword v5, off, s[0:3], 0 offset:320
	buffer_load_dword v6, off, s[0:3], 0 offset:324
	s_mov_b32 s4, exec_lo
	s_waitcnt vmcnt(0)
	ds_write_b64 v4, v[5:6]
	s_waitcnt lgkmcnt(0)
	s_barrier
	buffer_gl0_inv
	v_cmpx_gt_u32_e32 40, v0
	s_cbranch_execz .LBB51_175
; %bb.172:
	v_add_nc_u32_e32 v5, -1, v0
	v_add_nc_u32_e32 v6, 0x1a0, v3
	v_mov_b32_e32 v7, v3
	v_mov_b32_e32 v2, 0
	;; [unrolled: 1-line block ×3, first 2 shown]
	s_mov_b32 s5, 0
	.p2align	6
.LBB51_173:                             ; =>This Inner Loop Header: Depth=1
	s_clause 0x1
	buffer_load_dword v115, v7, s[0:3], 0 offen offset:4
	buffer_load_dword v116, v7, s[0:3], 0 offen
	ds_read_b64 v[113:114], v6
	v_add_nc_u32_e32 v5, 1, v5
	v_add_nc_u32_e32 v6, 8, v6
	;; [unrolled: 1-line block ×3, first 2 shown]
	v_cmp_lt_u32_e32 vcc_lo, 38, v5
	s_or_b32 s5, vcc_lo, s5
	s_waitcnt vmcnt(1) lgkmcnt(0)
	v_mul_f32_e32 v117, v114, v115
	v_mul_f32_e32 v115, v113, v115
	s_waitcnt vmcnt(0)
	v_fma_f32 v113, v113, v116, -v117
	v_fmac_f32_e32 v115, v114, v116
	v_add_f32_e32 v8, v8, v113
	v_add_f32_e32 v2, v2, v115
	s_andn2_b32 exec_lo, exec_lo, s5
	s_cbranch_execnz .LBB51_173
; %bb.174:
	s_or_b32 exec_lo, exec_lo, s5
	v_mov_b32_e32 v5, 0
	ds_read_b64 v[5:6], v5 offset:320
	s_waitcnt lgkmcnt(0)
	v_mul_f32_e32 v7, v2, v6
	v_mul_f32_e32 v6, v8, v6
	v_fma_f32 v7, v8, v5, -v7
	v_fmac_f32_e32 v6, v2, v5
	buffer_store_dword v7, off, s[0:3], 0 offset:320
	buffer_store_dword v6, off, s[0:3], 0 offset:324
.LBB51_175:
	s_or_b32 exec_lo, exec_lo, s4
	s_waitcnt_vscnt null, 0x0
	s_barrier
	buffer_gl0_inv
	s_clause 0x1
	buffer_load_dword v5, off, s[0:3], 0 offset:328
	buffer_load_dword v6, off, s[0:3], 0 offset:332
	s_mov_b32 s4, exec_lo
	s_waitcnt vmcnt(0)
	ds_write_b64 v4, v[5:6]
	s_waitcnt lgkmcnt(0)
	s_barrier
	buffer_gl0_inv
	v_cmpx_gt_u32_e32 41, v0
	s_cbranch_execz .LBB51_179
; %bb.176:
	v_add_nc_u32_e32 v5, -1, v0
	v_add_nc_u32_e32 v6, 0x1a0, v3
	v_mov_b32_e32 v7, v3
	v_mov_b32_e32 v2, 0
	v_mov_b32_e32 v8, 0
	s_mov_b32 s5, 0
	.p2align	6
.LBB51_177:                             ; =>This Inner Loop Header: Depth=1
	s_clause 0x1
	buffer_load_dword v115, v7, s[0:3], 0 offen offset:4
	buffer_load_dword v116, v7, s[0:3], 0 offen
	ds_read_b64 v[113:114], v6
	v_add_nc_u32_e32 v5, 1, v5
	v_add_nc_u32_e32 v6, 8, v6
	;; [unrolled: 1-line block ×3, first 2 shown]
	v_cmp_lt_u32_e32 vcc_lo, 39, v5
	s_or_b32 s5, vcc_lo, s5
	s_waitcnt vmcnt(1) lgkmcnt(0)
	v_mul_f32_e32 v117, v114, v115
	v_mul_f32_e32 v115, v113, v115
	s_waitcnt vmcnt(0)
	v_fma_f32 v113, v113, v116, -v117
	v_fmac_f32_e32 v115, v114, v116
	v_add_f32_e32 v8, v8, v113
	v_add_f32_e32 v2, v2, v115
	s_andn2_b32 exec_lo, exec_lo, s5
	s_cbranch_execnz .LBB51_177
; %bb.178:
	s_or_b32 exec_lo, exec_lo, s5
	v_mov_b32_e32 v5, 0
	ds_read_b64 v[5:6], v5 offset:328
	s_waitcnt lgkmcnt(0)
	v_mul_f32_e32 v7, v2, v6
	v_mul_f32_e32 v6, v8, v6
	v_fma_f32 v7, v8, v5, -v7
	v_fmac_f32_e32 v6, v2, v5
	buffer_store_dword v7, off, s[0:3], 0 offset:328
	buffer_store_dword v6, off, s[0:3], 0 offset:332
.LBB51_179:
	s_or_b32 exec_lo, exec_lo, s4
	s_waitcnt_vscnt null, 0x0
	s_barrier
	buffer_gl0_inv
	s_clause 0x1
	buffer_load_dword v5, off, s[0:3], 0 offset:336
	buffer_load_dword v6, off, s[0:3], 0 offset:340
	s_mov_b32 s4, exec_lo
	s_waitcnt vmcnt(0)
	ds_write_b64 v4, v[5:6]
	s_waitcnt lgkmcnt(0)
	s_barrier
	buffer_gl0_inv
	v_cmpx_gt_u32_e32 42, v0
	s_cbranch_execz .LBB51_183
; %bb.180:
	v_add_nc_u32_e32 v5, -1, v0
	v_add_nc_u32_e32 v6, 0x1a0, v3
	v_mov_b32_e32 v7, v3
	v_mov_b32_e32 v2, 0
	;; [unrolled: 1-line block ×3, first 2 shown]
	s_mov_b32 s5, 0
	.p2align	6
.LBB51_181:                             ; =>This Inner Loop Header: Depth=1
	s_clause 0x1
	buffer_load_dword v115, v7, s[0:3], 0 offen offset:4
	buffer_load_dword v116, v7, s[0:3], 0 offen
	ds_read_b64 v[113:114], v6
	v_add_nc_u32_e32 v5, 1, v5
	v_add_nc_u32_e32 v6, 8, v6
	v_add_nc_u32_e32 v7, 8, v7
	v_cmp_lt_u32_e32 vcc_lo, 40, v5
	s_or_b32 s5, vcc_lo, s5
	s_waitcnt vmcnt(1) lgkmcnt(0)
	v_mul_f32_e32 v117, v114, v115
	v_mul_f32_e32 v115, v113, v115
	s_waitcnt vmcnt(0)
	v_fma_f32 v113, v113, v116, -v117
	v_fmac_f32_e32 v115, v114, v116
	v_add_f32_e32 v8, v8, v113
	v_add_f32_e32 v2, v2, v115
	s_andn2_b32 exec_lo, exec_lo, s5
	s_cbranch_execnz .LBB51_181
; %bb.182:
	s_or_b32 exec_lo, exec_lo, s5
	v_mov_b32_e32 v5, 0
	ds_read_b64 v[5:6], v5 offset:336
	s_waitcnt lgkmcnt(0)
	v_mul_f32_e32 v7, v2, v6
	v_mul_f32_e32 v6, v8, v6
	v_fma_f32 v7, v8, v5, -v7
	v_fmac_f32_e32 v6, v2, v5
	buffer_store_dword v7, off, s[0:3], 0 offset:336
	buffer_store_dword v6, off, s[0:3], 0 offset:340
.LBB51_183:
	s_or_b32 exec_lo, exec_lo, s4
	s_waitcnt_vscnt null, 0x0
	s_barrier
	buffer_gl0_inv
	s_clause 0x1
	buffer_load_dword v5, off, s[0:3], 0 offset:344
	buffer_load_dword v6, off, s[0:3], 0 offset:348
	s_mov_b32 s4, exec_lo
	s_waitcnt vmcnt(0)
	ds_write_b64 v4, v[5:6]
	s_waitcnt lgkmcnt(0)
	s_barrier
	buffer_gl0_inv
	v_cmpx_gt_u32_e32 43, v0
	s_cbranch_execz .LBB51_187
; %bb.184:
	v_add_nc_u32_e32 v5, -1, v0
	v_add_nc_u32_e32 v6, 0x1a0, v3
	v_mov_b32_e32 v7, v3
	v_mov_b32_e32 v2, 0
	;; [unrolled: 1-line block ×3, first 2 shown]
	s_mov_b32 s5, 0
	.p2align	6
.LBB51_185:                             ; =>This Inner Loop Header: Depth=1
	s_clause 0x1
	buffer_load_dword v115, v7, s[0:3], 0 offen offset:4
	buffer_load_dword v116, v7, s[0:3], 0 offen
	ds_read_b64 v[113:114], v6
	v_add_nc_u32_e32 v5, 1, v5
	v_add_nc_u32_e32 v6, 8, v6
	;; [unrolled: 1-line block ×3, first 2 shown]
	v_cmp_lt_u32_e32 vcc_lo, 41, v5
	s_or_b32 s5, vcc_lo, s5
	s_waitcnt vmcnt(1) lgkmcnt(0)
	v_mul_f32_e32 v117, v114, v115
	v_mul_f32_e32 v115, v113, v115
	s_waitcnt vmcnt(0)
	v_fma_f32 v113, v113, v116, -v117
	v_fmac_f32_e32 v115, v114, v116
	v_add_f32_e32 v8, v8, v113
	v_add_f32_e32 v2, v2, v115
	s_andn2_b32 exec_lo, exec_lo, s5
	s_cbranch_execnz .LBB51_185
; %bb.186:
	s_or_b32 exec_lo, exec_lo, s5
	v_mov_b32_e32 v5, 0
	ds_read_b64 v[5:6], v5 offset:344
	s_waitcnt lgkmcnt(0)
	v_mul_f32_e32 v7, v2, v6
	v_mul_f32_e32 v6, v8, v6
	v_fma_f32 v7, v8, v5, -v7
	v_fmac_f32_e32 v6, v2, v5
	buffer_store_dword v7, off, s[0:3], 0 offset:344
	buffer_store_dword v6, off, s[0:3], 0 offset:348
.LBB51_187:
	s_or_b32 exec_lo, exec_lo, s4
	s_waitcnt_vscnt null, 0x0
	s_barrier
	buffer_gl0_inv
	s_clause 0x1
	buffer_load_dword v5, off, s[0:3], 0 offset:352
	buffer_load_dword v6, off, s[0:3], 0 offset:356
	s_mov_b32 s4, exec_lo
	s_waitcnt vmcnt(0)
	ds_write_b64 v4, v[5:6]
	s_waitcnt lgkmcnt(0)
	s_barrier
	buffer_gl0_inv
	v_cmpx_gt_u32_e32 44, v0
	s_cbranch_execz .LBB51_191
; %bb.188:
	v_add_nc_u32_e32 v5, -1, v0
	v_add_nc_u32_e32 v6, 0x1a0, v3
	v_mov_b32_e32 v7, v3
	v_mov_b32_e32 v2, 0
	;; [unrolled: 1-line block ×3, first 2 shown]
	s_mov_b32 s5, 0
	.p2align	6
.LBB51_189:                             ; =>This Inner Loop Header: Depth=1
	s_clause 0x1
	buffer_load_dword v115, v7, s[0:3], 0 offen offset:4
	buffer_load_dword v116, v7, s[0:3], 0 offen
	ds_read_b64 v[113:114], v6
	v_add_nc_u32_e32 v5, 1, v5
	v_add_nc_u32_e32 v6, 8, v6
	;; [unrolled: 1-line block ×3, first 2 shown]
	v_cmp_lt_u32_e32 vcc_lo, 42, v5
	s_or_b32 s5, vcc_lo, s5
	s_waitcnt vmcnt(1) lgkmcnt(0)
	v_mul_f32_e32 v117, v114, v115
	v_mul_f32_e32 v115, v113, v115
	s_waitcnt vmcnt(0)
	v_fma_f32 v113, v113, v116, -v117
	v_fmac_f32_e32 v115, v114, v116
	v_add_f32_e32 v8, v8, v113
	v_add_f32_e32 v2, v2, v115
	s_andn2_b32 exec_lo, exec_lo, s5
	s_cbranch_execnz .LBB51_189
; %bb.190:
	s_or_b32 exec_lo, exec_lo, s5
	v_mov_b32_e32 v5, 0
	ds_read_b64 v[5:6], v5 offset:352
	s_waitcnt lgkmcnt(0)
	v_mul_f32_e32 v7, v2, v6
	v_mul_f32_e32 v6, v8, v6
	v_fma_f32 v7, v8, v5, -v7
	v_fmac_f32_e32 v6, v2, v5
	buffer_store_dword v7, off, s[0:3], 0 offset:352
	buffer_store_dword v6, off, s[0:3], 0 offset:356
.LBB51_191:
	s_or_b32 exec_lo, exec_lo, s4
	s_waitcnt_vscnt null, 0x0
	s_barrier
	buffer_gl0_inv
	s_clause 0x1
	buffer_load_dword v5, off, s[0:3], 0 offset:360
	buffer_load_dword v6, off, s[0:3], 0 offset:364
	s_mov_b32 s4, exec_lo
	s_waitcnt vmcnt(0)
	ds_write_b64 v4, v[5:6]
	s_waitcnt lgkmcnt(0)
	s_barrier
	buffer_gl0_inv
	v_cmpx_gt_u32_e32 45, v0
	s_cbranch_execz .LBB51_195
; %bb.192:
	v_add_nc_u32_e32 v5, -1, v0
	v_add_nc_u32_e32 v6, 0x1a0, v3
	v_mov_b32_e32 v7, v3
	v_mov_b32_e32 v2, 0
	v_mov_b32_e32 v8, 0
	s_mov_b32 s5, 0
	.p2align	6
.LBB51_193:                             ; =>This Inner Loop Header: Depth=1
	s_clause 0x1
	buffer_load_dword v115, v7, s[0:3], 0 offen offset:4
	buffer_load_dword v116, v7, s[0:3], 0 offen
	ds_read_b64 v[113:114], v6
	v_add_nc_u32_e32 v5, 1, v5
	v_add_nc_u32_e32 v6, 8, v6
	;; [unrolled: 1-line block ×3, first 2 shown]
	v_cmp_lt_u32_e32 vcc_lo, 43, v5
	s_or_b32 s5, vcc_lo, s5
	s_waitcnt vmcnt(1) lgkmcnt(0)
	v_mul_f32_e32 v117, v114, v115
	v_mul_f32_e32 v115, v113, v115
	s_waitcnt vmcnt(0)
	v_fma_f32 v113, v113, v116, -v117
	v_fmac_f32_e32 v115, v114, v116
	v_add_f32_e32 v8, v8, v113
	v_add_f32_e32 v2, v2, v115
	s_andn2_b32 exec_lo, exec_lo, s5
	s_cbranch_execnz .LBB51_193
; %bb.194:
	s_or_b32 exec_lo, exec_lo, s5
	v_mov_b32_e32 v5, 0
	ds_read_b64 v[5:6], v5 offset:360
	s_waitcnt lgkmcnt(0)
	v_mul_f32_e32 v7, v2, v6
	v_mul_f32_e32 v6, v8, v6
	v_fma_f32 v7, v8, v5, -v7
	v_fmac_f32_e32 v6, v2, v5
	buffer_store_dword v7, off, s[0:3], 0 offset:360
	buffer_store_dword v6, off, s[0:3], 0 offset:364
.LBB51_195:
	s_or_b32 exec_lo, exec_lo, s4
	s_waitcnt_vscnt null, 0x0
	s_barrier
	buffer_gl0_inv
	s_clause 0x1
	buffer_load_dword v5, off, s[0:3], 0 offset:368
	buffer_load_dword v6, off, s[0:3], 0 offset:372
	s_mov_b32 s4, exec_lo
	s_waitcnt vmcnt(0)
	ds_write_b64 v4, v[5:6]
	s_waitcnt lgkmcnt(0)
	s_barrier
	buffer_gl0_inv
	v_cmpx_gt_u32_e32 46, v0
	s_cbranch_execz .LBB51_199
; %bb.196:
	v_add_nc_u32_e32 v5, -1, v0
	v_add_nc_u32_e32 v6, 0x1a0, v3
	v_mov_b32_e32 v7, v3
	v_mov_b32_e32 v2, 0
	;; [unrolled: 1-line block ×3, first 2 shown]
	s_mov_b32 s5, 0
	.p2align	6
.LBB51_197:                             ; =>This Inner Loop Header: Depth=1
	s_clause 0x1
	buffer_load_dword v115, v7, s[0:3], 0 offen offset:4
	buffer_load_dword v116, v7, s[0:3], 0 offen
	ds_read_b64 v[113:114], v6
	v_add_nc_u32_e32 v5, 1, v5
	v_add_nc_u32_e32 v6, 8, v6
	;; [unrolled: 1-line block ×3, first 2 shown]
	v_cmp_lt_u32_e32 vcc_lo, 44, v5
	s_or_b32 s5, vcc_lo, s5
	s_waitcnt vmcnt(1) lgkmcnt(0)
	v_mul_f32_e32 v117, v114, v115
	v_mul_f32_e32 v115, v113, v115
	s_waitcnt vmcnt(0)
	v_fma_f32 v113, v113, v116, -v117
	v_fmac_f32_e32 v115, v114, v116
	v_add_f32_e32 v8, v8, v113
	v_add_f32_e32 v2, v2, v115
	s_andn2_b32 exec_lo, exec_lo, s5
	s_cbranch_execnz .LBB51_197
; %bb.198:
	s_or_b32 exec_lo, exec_lo, s5
	v_mov_b32_e32 v5, 0
	ds_read_b64 v[5:6], v5 offset:368
	s_waitcnt lgkmcnt(0)
	v_mul_f32_e32 v7, v2, v6
	v_mul_f32_e32 v6, v8, v6
	v_fma_f32 v7, v8, v5, -v7
	v_fmac_f32_e32 v6, v2, v5
	buffer_store_dword v7, off, s[0:3], 0 offset:368
	buffer_store_dword v6, off, s[0:3], 0 offset:372
.LBB51_199:
	s_or_b32 exec_lo, exec_lo, s4
	s_waitcnt_vscnt null, 0x0
	s_barrier
	buffer_gl0_inv
	s_clause 0x1
	buffer_load_dword v5, off, s[0:3], 0 offset:376
	buffer_load_dword v6, off, s[0:3], 0 offset:380
	s_mov_b32 s4, exec_lo
	s_waitcnt vmcnt(0)
	ds_write_b64 v4, v[5:6]
	s_waitcnt lgkmcnt(0)
	s_barrier
	buffer_gl0_inv
	v_cmpx_gt_u32_e32 47, v0
	s_cbranch_execz .LBB51_203
; %bb.200:
	v_add_nc_u32_e32 v5, -1, v0
	v_add_nc_u32_e32 v6, 0x1a0, v3
	v_mov_b32_e32 v7, v3
	v_mov_b32_e32 v2, 0
	;; [unrolled: 1-line block ×3, first 2 shown]
	s_mov_b32 s5, 0
	.p2align	6
.LBB51_201:                             ; =>This Inner Loop Header: Depth=1
	s_clause 0x1
	buffer_load_dword v115, v7, s[0:3], 0 offen offset:4
	buffer_load_dword v116, v7, s[0:3], 0 offen
	ds_read_b64 v[113:114], v6
	v_add_nc_u32_e32 v5, 1, v5
	v_add_nc_u32_e32 v6, 8, v6
	;; [unrolled: 1-line block ×3, first 2 shown]
	v_cmp_lt_u32_e32 vcc_lo, 45, v5
	s_or_b32 s5, vcc_lo, s5
	s_waitcnt vmcnt(1) lgkmcnt(0)
	v_mul_f32_e32 v117, v114, v115
	v_mul_f32_e32 v115, v113, v115
	s_waitcnt vmcnt(0)
	v_fma_f32 v113, v113, v116, -v117
	v_fmac_f32_e32 v115, v114, v116
	v_add_f32_e32 v8, v8, v113
	v_add_f32_e32 v2, v2, v115
	s_andn2_b32 exec_lo, exec_lo, s5
	s_cbranch_execnz .LBB51_201
; %bb.202:
	s_or_b32 exec_lo, exec_lo, s5
	v_mov_b32_e32 v5, 0
	ds_read_b64 v[5:6], v5 offset:376
	s_waitcnt lgkmcnt(0)
	v_mul_f32_e32 v7, v2, v6
	v_mul_f32_e32 v6, v8, v6
	v_fma_f32 v7, v8, v5, -v7
	v_fmac_f32_e32 v6, v2, v5
	buffer_store_dword v7, off, s[0:3], 0 offset:376
	buffer_store_dword v6, off, s[0:3], 0 offset:380
.LBB51_203:
	s_or_b32 exec_lo, exec_lo, s4
	s_waitcnt_vscnt null, 0x0
	s_barrier
	buffer_gl0_inv
	s_clause 0x1
	buffer_load_dword v5, off, s[0:3], 0 offset:384
	buffer_load_dword v6, off, s[0:3], 0 offset:388
	s_mov_b32 s4, exec_lo
	s_waitcnt vmcnt(0)
	ds_write_b64 v4, v[5:6]
	s_waitcnt lgkmcnt(0)
	s_barrier
	buffer_gl0_inv
	v_cmpx_gt_u32_e32 48, v0
	s_cbranch_execz .LBB51_207
; %bb.204:
	v_add_nc_u32_e32 v5, -1, v0
	v_add_nc_u32_e32 v6, 0x1a0, v3
	v_mov_b32_e32 v7, v3
	v_mov_b32_e32 v2, 0
	;; [unrolled: 1-line block ×3, first 2 shown]
	s_mov_b32 s5, 0
	.p2align	6
.LBB51_205:                             ; =>This Inner Loop Header: Depth=1
	s_clause 0x1
	buffer_load_dword v115, v7, s[0:3], 0 offen offset:4
	buffer_load_dword v116, v7, s[0:3], 0 offen
	ds_read_b64 v[113:114], v6
	v_add_nc_u32_e32 v5, 1, v5
	v_add_nc_u32_e32 v6, 8, v6
	;; [unrolled: 1-line block ×3, first 2 shown]
	v_cmp_lt_u32_e32 vcc_lo, 46, v5
	s_or_b32 s5, vcc_lo, s5
	s_waitcnt vmcnt(1) lgkmcnt(0)
	v_mul_f32_e32 v117, v114, v115
	v_mul_f32_e32 v115, v113, v115
	s_waitcnt vmcnt(0)
	v_fma_f32 v113, v113, v116, -v117
	v_fmac_f32_e32 v115, v114, v116
	v_add_f32_e32 v8, v8, v113
	v_add_f32_e32 v2, v2, v115
	s_andn2_b32 exec_lo, exec_lo, s5
	s_cbranch_execnz .LBB51_205
; %bb.206:
	s_or_b32 exec_lo, exec_lo, s5
	v_mov_b32_e32 v5, 0
	ds_read_b64 v[5:6], v5 offset:384
	s_waitcnt lgkmcnt(0)
	v_mul_f32_e32 v7, v2, v6
	v_mul_f32_e32 v6, v8, v6
	v_fma_f32 v7, v8, v5, -v7
	v_fmac_f32_e32 v6, v2, v5
	buffer_store_dword v7, off, s[0:3], 0 offset:384
	buffer_store_dword v6, off, s[0:3], 0 offset:388
.LBB51_207:
	s_or_b32 exec_lo, exec_lo, s4
	s_waitcnt_vscnt null, 0x0
	s_barrier
	buffer_gl0_inv
	s_clause 0x1
	buffer_load_dword v5, off, s[0:3], 0 offset:392
	buffer_load_dword v6, off, s[0:3], 0 offset:396
	s_mov_b32 s4, exec_lo
	s_waitcnt vmcnt(0)
	ds_write_b64 v4, v[5:6]
	s_waitcnt lgkmcnt(0)
	s_barrier
	buffer_gl0_inv
	v_cmpx_gt_u32_e32 49, v0
	s_cbranch_execz .LBB51_211
; %bb.208:
	v_add_nc_u32_e32 v5, -1, v0
	v_add_nc_u32_e32 v6, 0x1a0, v3
	v_mov_b32_e32 v7, v3
	v_mov_b32_e32 v2, 0
	;; [unrolled: 1-line block ×3, first 2 shown]
	s_mov_b32 s5, 0
	.p2align	6
.LBB51_209:                             ; =>This Inner Loop Header: Depth=1
	s_clause 0x1
	buffer_load_dword v115, v7, s[0:3], 0 offen offset:4
	buffer_load_dword v116, v7, s[0:3], 0 offen
	ds_read_b64 v[113:114], v6
	v_add_nc_u32_e32 v5, 1, v5
	v_add_nc_u32_e32 v6, 8, v6
	;; [unrolled: 1-line block ×3, first 2 shown]
	v_cmp_lt_u32_e32 vcc_lo, 47, v5
	s_or_b32 s5, vcc_lo, s5
	s_waitcnt vmcnt(1) lgkmcnt(0)
	v_mul_f32_e32 v117, v114, v115
	v_mul_f32_e32 v115, v113, v115
	s_waitcnt vmcnt(0)
	v_fma_f32 v113, v113, v116, -v117
	v_fmac_f32_e32 v115, v114, v116
	v_add_f32_e32 v8, v8, v113
	v_add_f32_e32 v2, v2, v115
	s_andn2_b32 exec_lo, exec_lo, s5
	s_cbranch_execnz .LBB51_209
; %bb.210:
	s_or_b32 exec_lo, exec_lo, s5
	v_mov_b32_e32 v5, 0
	ds_read_b64 v[5:6], v5 offset:392
	s_waitcnt lgkmcnt(0)
	v_mul_f32_e32 v7, v2, v6
	v_mul_f32_e32 v6, v8, v6
	v_fma_f32 v7, v8, v5, -v7
	v_fmac_f32_e32 v6, v2, v5
	buffer_store_dword v7, off, s[0:3], 0 offset:392
	buffer_store_dword v6, off, s[0:3], 0 offset:396
.LBB51_211:
	s_or_b32 exec_lo, exec_lo, s4
	s_waitcnt_vscnt null, 0x0
	s_barrier
	buffer_gl0_inv
	s_clause 0x1
	buffer_load_dword v5, off, s[0:3], 0 offset:400
	buffer_load_dword v6, off, s[0:3], 0 offset:404
	s_mov_b32 s4, exec_lo
	s_waitcnt vmcnt(0)
	ds_write_b64 v4, v[5:6]
	s_waitcnt lgkmcnt(0)
	s_barrier
	buffer_gl0_inv
	v_cmpx_gt_u32_e32 50, v0
	s_cbranch_execz .LBB51_215
; %bb.212:
	v_add_nc_u32_e32 v5, -1, v0
	v_add_nc_u32_e32 v6, 0x1a0, v3
	v_mov_b32_e32 v7, v3
	v_mov_b32_e32 v2, 0
	;; [unrolled: 1-line block ×3, first 2 shown]
	s_mov_b32 s5, 0
	.p2align	6
.LBB51_213:                             ; =>This Inner Loop Header: Depth=1
	s_clause 0x1
	buffer_load_dword v115, v7, s[0:3], 0 offen offset:4
	buffer_load_dword v116, v7, s[0:3], 0 offen
	ds_read_b64 v[113:114], v6
	v_add_nc_u32_e32 v5, 1, v5
	v_add_nc_u32_e32 v6, 8, v6
	;; [unrolled: 1-line block ×3, first 2 shown]
	v_cmp_lt_u32_e32 vcc_lo, 48, v5
	s_or_b32 s5, vcc_lo, s5
	s_waitcnt vmcnt(1) lgkmcnt(0)
	v_mul_f32_e32 v117, v114, v115
	v_mul_f32_e32 v115, v113, v115
	s_waitcnt vmcnt(0)
	v_fma_f32 v113, v113, v116, -v117
	v_fmac_f32_e32 v115, v114, v116
	v_add_f32_e32 v8, v8, v113
	v_add_f32_e32 v2, v2, v115
	s_andn2_b32 exec_lo, exec_lo, s5
	s_cbranch_execnz .LBB51_213
; %bb.214:
	s_or_b32 exec_lo, exec_lo, s5
	v_mov_b32_e32 v5, 0
	ds_read_b64 v[5:6], v5 offset:400
	s_waitcnt lgkmcnt(0)
	v_mul_f32_e32 v7, v2, v6
	v_mul_f32_e32 v6, v8, v6
	v_fma_f32 v7, v8, v5, -v7
	v_fmac_f32_e32 v6, v2, v5
	buffer_store_dword v7, off, s[0:3], 0 offset:400
	buffer_store_dword v6, off, s[0:3], 0 offset:404
.LBB51_215:
	s_or_b32 exec_lo, exec_lo, s4
	s_waitcnt_vscnt null, 0x0
	s_barrier
	buffer_gl0_inv
	s_clause 0x1
	buffer_load_dword v5, off, s[0:3], 0 offset:408
	buffer_load_dword v6, off, s[0:3], 0 offset:412
	s_mov_b32 s4, exec_lo
	s_waitcnt vmcnt(0)
	ds_write_b64 v4, v[5:6]
	s_waitcnt lgkmcnt(0)
	s_barrier
	buffer_gl0_inv
	v_cmpx_ne_u32_e32 51, v0
	s_cbranch_execz .LBB51_219
; %bb.216:
	v_mov_b32_e32 v2, 0
	v_mov_b32_e32 v5, 0
	s_mov_b32 s5, 0
	.p2align	6
.LBB51_217:                             ; =>This Inner Loop Header: Depth=1
	s_clause 0x1
	buffer_load_dword v8, v3, s[0:3], 0 offen offset:4
	buffer_load_dword v113, v3, s[0:3], 0 offen
	ds_read_b64 v[6:7], v4
	v_add_nc_u32_e32 v1, 1, v1
	v_add_nc_u32_e32 v4, 8, v4
	;; [unrolled: 1-line block ×3, first 2 shown]
	v_cmp_lt_u32_e32 vcc_lo, 49, v1
	s_or_b32 s5, vcc_lo, s5
	s_waitcnt vmcnt(1) lgkmcnt(0)
	v_mul_f32_e32 v114, v7, v8
	v_mul_f32_e32 v8, v6, v8
	s_waitcnt vmcnt(0)
	v_fma_f32 v6, v6, v113, -v114
	v_fmac_f32_e32 v8, v7, v113
	v_add_f32_e32 v5, v5, v6
	v_add_f32_e32 v2, v2, v8
	s_andn2_b32 exec_lo, exec_lo, s5
	s_cbranch_execnz .LBB51_217
; %bb.218:
	s_or_b32 exec_lo, exec_lo, s5
	v_mov_b32_e32 v1, 0
	ds_read_b64 v[3:4], v1 offset:408
	s_waitcnt lgkmcnt(0)
	v_mul_f32_e32 v1, v2, v4
	v_mul_f32_e32 v4, v5, v4
	v_fma_f32 v1, v5, v3, -v1
	v_fmac_f32_e32 v4, v2, v3
	buffer_store_dword v1, off, s[0:3], 0 offset:408
	buffer_store_dword v4, off, s[0:3], 0 offset:412
.LBB51_219:
	s_or_b32 exec_lo, exec_lo, s4
	s_mov_b32 s5, -1
	s_waitcnt_vscnt null, 0x0
	s_barrier
	buffer_gl0_inv
.LBB51_220:
	s_and_b32 vcc_lo, exec_lo, s5
	s_cbranch_vccz .LBB51_222
; %bb.221:
	s_lshl_b64 s[4:5], s[6:7], 2
	v_mov_b32_e32 v1, 0
	s_add_u32 s4, s10, s4
	s_addc_u32 s5, s11, s5
	global_load_dword v1, v1, s[4:5]
	s_waitcnt vmcnt(0)
	v_cmp_ne_u32_e32 vcc_lo, 0, v1
	s_cbranch_vccz .LBB51_223
.LBB51_222:
	s_endpgm
.LBB51_223:
	v_lshl_add_u32 v113, v0, 3, 0x1a0
	s_mov_b32 s4, exec_lo
	v_cmpx_eq_u32_e32 51, v0
	s_cbranch_execz .LBB51_225
; %bb.224:
	s_clause 0x1
	buffer_load_dword v1, off, s[0:3], 0 offset:400
	buffer_load_dword v2, off, s[0:3], 0 offset:404
	v_mov_b32_e32 v3, 0
	buffer_store_dword v3, off, s[0:3], 0 offset:400
	buffer_store_dword v3, off, s[0:3], 0 offset:404
	s_waitcnt vmcnt(0)
	ds_write_b64 v113, v[1:2]
.LBB51_225:
	s_or_b32 exec_lo, exec_lo, s4
	s_waitcnt lgkmcnt(0)
	s_waitcnt_vscnt null, 0x0
	s_barrier
	buffer_gl0_inv
	s_clause 0x3
	buffer_load_dword v4, off, s[0:3], 0 offset:412
	buffer_load_dword v5, off, s[0:3], 0 offset:408
	buffer_load_dword v6, off, s[0:3], 0 offset:400
	buffer_load_dword v7, off, s[0:3], 0 offset:404
	v_mov_b32_e32 v1, 0
	s_mov_b32 s4, exec_lo
	ds_read_b64 v[2:3], v1 offset:824
	s_waitcnt vmcnt(3) lgkmcnt(0)
	v_mul_f32_e32 v8, v3, v4
	v_mul_f32_e32 v4, v2, v4
	s_waitcnt vmcnt(2)
	v_fma_f32 v2, v2, v5, -v8
	v_fmac_f32_e32 v4, v3, v5
	v_add_f32_e32 v2, 0, v2
	v_add_f32_e32 v3, 0, v4
	s_waitcnt vmcnt(1)
	v_sub_f32_e32 v2, v6, v2
	s_waitcnt vmcnt(0)
	v_sub_f32_e32 v3, v7, v3
	buffer_store_dword v2, off, s[0:3], 0 offset:400
	buffer_store_dword v3, off, s[0:3], 0 offset:404
	v_cmpx_lt_u32_e32 49, v0
	s_cbranch_execz .LBB51_227
; %bb.226:
	s_clause 0x1
	buffer_load_dword v2, off, s[0:3], 0 offset:392
	buffer_load_dword v3, off, s[0:3], 0 offset:396
	buffer_store_dword v1, off, s[0:3], 0 offset:392
	buffer_store_dword v1, off, s[0:3], 0 offset:396
	s_waitcnt vmcnt(0)
	ds_write_b64 v113, v[2:3]
.LBB51_227:
	s_or_b32 exec_lo, exec_lo, s4
	s_waitcnt lgkmcnt(0)
	s_waitcnt_vscnt null, 0x0
	s_barrier
	buffer_gl0_inv
	s_clause 0x5
	buffer_load_dword v5, off, s[0:3], 0 offset:404
	buffer_load_dword v6, off, s[0:3], 0 offset:412
	;; [unrolled: 1-line block ×6, first 2 shown]
	ds_read_b128 v[1:4], v1 offset:816
	s_mov_b32 s4, exec_lo
	s_waitcnt vmcnt(5) lgkmcnt(0)
	v_mul_f32_e32 v116, v2, v5
	v_mul_f32_e32 v5, v1, v5
	s_waitcnt vmcnt(4)
	v_mul_f32_e32 v117, v3, v6
	v_mul_f32_e32 v6, v4, v6
	s_waitcnt vmcnt(3)
	v_fma_f32 v1, v1, v7, -v116
	v_fmac_f32_e32 v5, v2, v7
	s_waitcnt vmcnt(2)
	v_fmac_f32_e32 v117, v4, v8
	v_fma_f32 v2, v3, v8, -v6
	v_add_f32_e32 v1, 0, v1
	v_add_f32_e32 v3, 0, v5
	;; [unrolled: 1-line block ×4, first 2 shown]
	s_waitcnt vmcnt(1)
	v_sub_f32_e32 v1, v114, v1
	s_waitcnt vmcnt(0)
	v_sub_f32_e32 v2, v115, v2
	buffer_store_dword v1, off, s[0:3], 0 offset:392
	buffer_store_dword v2, off, s[0:3], 0 offset:396
	v_cmpx_lt_u32_e32 48, v0
	s_cbranch_execz .LBB51_229
; %bb.228:
	s_clause 0x1
	buffer_load_dword v1, off, s[0:3], 0 offset:384
	buffer_load_dword v2, off, s[0:3], 0 offset:388
	v_mov_b32_e32 v3, 0
	buffer_store_dword v3, off, s[0:3], 0 offset:384
	buffer_store_dword v3, off, s[0:3], 0 offset:388
	s_waitcnt vmcnt(0)
	ds_write_b64 v113, v[1:2]
.LBB51_229:
	s_or_b32 exec_lo, exec_lo, s4
	s_waitcnt lgkmcnt(0)
	s_waitcnt_vscnt null, 0x0
	s_barrier
	buffer_gl0_inv
	s_clause 0x7
	buffer_load_dword v8, off, s[0:3], 0 offset:396
	buffer_load_dword v114, off, s[0:3], 0 offset:404
	;; [unrolled: 1-line block ×8, first 2 shown]
	v_mov_b32_e32 v1, 0
	ds_read2_b64 v[2:5], v1 offset0:101 offset1:102
	ds_read_b64 v[6:7], v1 offset:824
	s_mov_b32 s4, exec_lo
	s_waitcnt vmcnt(7) lgkmcnt(1)
	v_mul_f32_e32 v121, v3, v8
	v_mul_f32_e32 v8, v2, v8
	s_waitcnt vmcnt(6)
	v_mul_f32_e32 v122, v4, v114
	v_mul_f32_e32 v114, v5, v114
	s_waitcnt vmcnt(5) lgkmcnt(0)
	v_mul_f32_e32 v123, v6, v115
	s_waitcnt vmcnt(4)
	v_fma_f32 v2, v2, v116, -v121
	v_fmac_f32_e32 v8, v3, v116
	v_mul_f32_e32 v3, v7, v115
	s_waitcnt vmcnt(3)
	v_fma_f32 v4, v4, v117, -v114
	v_fmac_f32_e32 v122, v5, v117
	v_add_f32_e32 v2, 0, v2
	v_add_f32_e32 v5, 0, v8
	s_waitcnt vmcnt(2)
	v_fma_f32 v3, v6, v118, -v3
	v_fmac_f32_e32 v123, v7, v118
	v_add_f32_e32 v2, v2, v4
	v_add_f32_e32 v4, v5, v122
	;; [unrolled: 1-line block ×4, first 2 shown]
	s_waitcnt vmcnt(1)
	v_sub_f32_e32 v2, v119, v2
	s_waitcnt vmcnt(0)
	v_sub_f32_e32 v3, v120, v3
	buffer_store_dword v2, off, s[0:3], 0 offset:384
	buffer_store_dword v3, off, s[0:3], 0 offset:388
	v_cmpx_lt_u32_e32 47, v0
	s_cbranch_execz .LBB51_231
; %bb.230:
	s_clause 0x1
	buffer_load_dword v2, off, s[0:3], 0 offset:376
	buffer_load_dword v3, off, s[0:3], 0 offset:380
	buffer_store_dword v1, off, s[0:3], 0 offset:376
	buffer_store_dword v1, off, s[0:3], 0 offset:380
	s_waitcnt vmcnt(0)
	ds_write_b64 v113, v[2:3]
.LBB51_231:
	s_or_b32 exec_lo, exec_lo, s4
	s_waitcnt lgkmcnt(0)
	s_waitcnt_vscnt null, 0x0
	s_barrier
	buffer_gl0_inv
	s_clause 0x9
	buffer_load_dword v6, off, s[0:3], 0 offset:388
	buffer_load_dword v7, off, s[0:3], 0 offset:396
	;; [unrolled: 1-line block ×10, first 2 shown]
	ds_read_b128 v[2:5], v1 offset:800
	ds_read_b128 v[114:117], v1 offset:816
	s_mov_b32 s4, exec_lo
	s_waitcnt vmcnt(9) lgkmcnt(1)
	v_mul_f32_e32 v1, v2, v6
	v_mul_f32_e32 v6, v3, v6
	s_waitcnt vmcnt(8)
	v_mul_f32_e32 v125, v4, v7
	v_mul_f32_e32 v7, v5, v7
	s_waitcnt vmcnt(7) lgkmcnt(0)
	v_mul_f32_e32 v126, v114, v8
	s_waitcnt vmcnt(5)
	v_fmac_f32_e32 v1, v3, v119
	v_fma_f32 v2, v2, v119, -v6
	v_mul_f32_e32 v3, v115, v8
	s_waitcnt vmcnt(4)
	v_fma_f32 v4, v4, v120, -v7
	v_fmac_f32_e32 v125, v5, v120
	v_add_f32_e32 v1, 0, v1
	v_add_f32_e32 v2, 0, v2
	v_mul_f32_e32 v5, v117, v118
	s_waitcnt vmcnt(3)
	v_fma_f32 v3, v114, v121, -v3
	v_mul_f32_e32 v127, v116, v118
	v_fmac_f32_e32 v126, v115, v121
	v_add_f32_e32 v2, v2, v4
	v_add_f32_e32 v1, v1, v125
	s_waitcnt vmcnt(2)
	v_fma_f32 v4, v116, v122, -v5
	v_fmac_f32_e32 v127, v117, v122
	v_add_f32_e32 v2, v2, v3
	v_add_f32_e32 v1, v1, v126
	;; [unrolled: 1-line block ×4, first 2 shown]
	s_waitcnt vmcnt(1)
	v_sub_f32_e32 v2, v123, v2
	s_waitcnt vmcnt(0)
	v_sub_f32_e32 v1, v124, v1
	buffer_store_dword v2, off, s[0:3], 0 offset:376
	buffer_store_dword v1, off, s[0:3], 0 offset:380
	v_cmpx_lt_u32_e32 46, v0
	s_cbranch_execz .LBB51_233
; %bb.232:
	s_clause 0x1
	buffer_load_dword v1, off, s[0:3], 0 offset:368
	buffer_load_dword v2, off, s[0:3], 0 offset:372
	v_mov_b32_e32 v3, 0
	buffer_store_dword v3, off, s[0:3], 0 offset:368
	buffer_store_dword v3, off, s[0:3], 0 offset:372
	s_waitcnt vmcnt(0)
	ds_write_b64 v113, v[1:2]
.LBB51_233:
	s_or_b32 exec_lo, exec_lo, s4
	s_waitcnt lgkmcnt(0)
	s_waitcnt_vscnt null, 0x0
	s_barrier
	buffer_gl0_inv
	s_clause 0xb
	buffer_load_dword v8, off, s[0:3], 0 offset:380
	buffer_load_dword v118, off, s[0:3], 0 offset:388
	;; [unrolled: 1-line block ×12, first 2 shown]
	v_mov_b32_e32 v1, 0
	ds_read2_b64 v[2:5], v1 offset0:99 offset1:100
	ds_read2_b64 v[114:117], v1 offset0:101 offset1:102
	ds_read_b64 v[6:7], v1 offset:824
	s_mov_b32 s4, exec_lo
	s_waitcnt vmcnt(11) lgkmcnt(2)
	v_mul_f32_e32 v129, v2, v8
	v_mul_f32_e32 v8, v3, v8
	s_waitcnt vmcnt(10)
	v_mul_f32_e32 v130, v4, v118
	v_mul_f32_e32 v118, v5, v118
	s_waitcnt vmcnt(9) lgkmcnt(1)
	v_mul_f32_e32 v131, v114, v119
	s_waitcnt vmcnt(6)
	v_fmac_f32_e32 v129, v3, v122
	v_fma_f32 v2, v2, v122, -v8
	v_mul_f32_e32 v3, v115, v119
	s_waitcnt vmcnt(5)
	v_fma_f32 v4, v4, v123, -v118
	v_fmac_f32_e32 v130, v5, v123
	v_add_f32_e32 v5, 0, v129
	v_add_f32_e32 v2, 0, v2
	v_mul_f32_e32 v8, v117, v120
	s_waitcnt vmcnt(4)
	v_fma_f32 v3, v114, v124, -v3
	v_mul_f32_e32 v132, v116, v120
	v_fmac_f32_e32 v131, v115, v124
	v_add_f32_e32 v2, v2, v4
	v_add_f32_e32 v4, v5, v130
	s_waitcnt lgkmcnt(0)
	v_mul_f32_e32 v5, v7, v121
	s_waitcnt vmcnt(3)
	v_fma_f32 v8, v116, v125, -v8
	v_mul_f32_e32 v133, v6, v121
	v_add_f32_e32 v2, v2, v3
	v_fmac_f32_e32 v132, v117, v125
	v_add_f32_e32 v3, v4, v131
	s_waitcnt vmcnt(2)
	v_fma_f32 v4, v6, v126, -v5
	v_fmac_f32_e32 v133, v7, v126
	v_add_f32_e32 v2, v2, v8
	v_add_f32_e32 v3, v3, v132
	;; [unrolled: 1-line block ×4, first 2 shown]
	s_waitcnt vmcnt(1)
	v_sub_f32_e32 v2, v127, v2
	s_waitcnt vmcnt(0)
	v_sub_f32_e32 v3, v128, v3
	buffer_store_dword v2, off, s[0:3], 0 offset:368
	buffer_store_dword v3, off, s[0:3], 0 offset:372
	v_cmpx_lt_u32_e32 45, v0
	s_cbranch_execz .LBB51_235
; %bb.234:
	s_clause 0x1
	buffer_load_dword v2, off, s[0:3], 0 offset:360
	buffer_load_dword v3, off, s[0:3], 0 offset:364
	buffer_store_dword v1, off, s[0:3], 0 offset:360
	buffer_store_dword v1, off, s[0:3], 0 offset:364
	s_waitcnt vmcnt(0)
	ds_write_b64 v113, v[2:3]
.LBB51_235:
	s_or_b32 exec_lo, exec_lo, s4
	s_waitcnt lgkmcnt(0)
	s_waitcnt_vscnt null, 0x0
	s_barrier
	buffer_gl0_inv
	s_clause 0xd
	buffer_load_dword v6, off, s[0:3], 0 offset:372
	buffer_load_dword v7, off, s[0:3], 0 offset:380
	;; [unrolled: 1-line block ×14, first 2 shown]
	ds_read_b128 v[2:5], v1 offset:784
	ds_read_b128 v[114:117], v1 offset:800
	;; [unrolled: 1-line block ×3, first 2 shown]
	s_mov_b32 s4, exec_lo
	s_waitcnt vmcnt(13) lgkmcnt(2)
	v_mul_f32_e32 v1, v2, v6
	v_mul_f32_e32 v6, v3, v6
	s_waitcnt vmcnt(12)
	v_mul_f32_e32 v133, v4, v7
	v_mul_f32_e32 v7, v5, v7
	s_waitcnt vmcnt(11) lgkmcnt(1)
	v_mul_f32_e32 v134, v114, v8
	s_waitcnt vmcnt(10)
	v_mul_f32_e32 v135, v116, v122
	s_waitcnt vmcnt(7)
	v_fma_f32 v2, v2, v125, -v6
	v_fmac_f32_e32 v1, v3, v125
	v_mul_f32_e32 v3, v115, v8
	s_waitcnt vmcnt(6)
	v_fma_f32 v4, v4, v126, -v7
	v_fmac_f32_e32 v133, v5, v126
	v_add_f32_e32 v2, 0, v2
	v_add_f32_e32 v1, 0, v1
	v_mul_f32_e32 v5, v117, v122
	s_waitcnt vmcnt(5)
	v_fma_f32 v3, v114, v127, -v3
	v_fmac_f32_e32 v134, v115, v127
	v_add_f32_e32 v2, v2, v4
	v_add_f32_e32 v1, v1, v133
	s_waitcnt lgkmcnt(0)
	v_mul_f32_e32 v4, v119, v123
	s_waitcnt vmcnt(4)
	v_fma_f32 v5, v116, v128, -v5
	v_mul_f32_e32 v136, v118, v123
	v_add_f32_e32 v2, v2, v3
	v_fmac_f32_e32 v135, v117, v128
	v_add_f32_e32 v1, v1, v134
	v_mul_f32_e32 v3, v121, v124
	s_waitcnt vmcnt(3)
	v_fma_f32 v4, v118, v129, -v4
	v_add_f32_e32 v2, v2, v5
	v_mul_f32_e32 v137, v120, v124
	v_fmac_f32_e32 v136, v119, v129
	v_add_f32_e32 v1, v1, v135
	s_waitcnt vmcnt(2)
	v_fma_f32 v3, v120, v130, -v3
	v_add_f32_e32 v2, v2, v4
	v_fmac_f32_e32 v137, v121, v130
	v_add_f32_e32 v1, v1, v136
	v_add_f32_e32 v2, v2, v3
	v_add_f32_e32 v1, v1, v137
	s_waitcnt vmcnt(1)
	v_sub_f32_e32 v2, v131, v2
	s_waitcnt vmcnt(0)
	v_sub_f32_e32 v1, v132, v1
	buffer_store_dword v2, off, s[0:3], 0 offset:360
	buffer_store_dword v1, off, s[0:3], 0 offset:364
	v_cmpx_lt_u32_e32 44, v0
	s_cbranch_execz .LBB51_237
; %bb.236:
	s_clause 0x1
	buffer_load_dword v1, off, s[0:3], 0 offset:352
	buffer_load_dword v2, off, s[0:3], 0 offset:356
	v_mov_b32_e32 v3, 0
	buffer_store_dword v3, off, s[0:3], 0 offset:352
	buffer_store_dword v3, off, s[0:3], 0 offset:356
	s_waitcnt vmcnt(0)
	ds_write_b64 v113, v[1:2]
.LBB51_237:
	s_or_b32 exec_lo, exec_lo, s4
	s_waitcnt lgkmcnt(0)
	s_waitcnt_vscnt null, 0x0
	s_barrier
	buffer_gl0_inv
	s_clause 0xf
	buffer_load_dword v8, off, s[0:3], 0 offset:364
	buffer_load_dword v122, off, s[0:3], 0 offset:372
	;; [unrolled: 1-line block ×16, first 2 shown]
	v_mov_b32_e32 v1, 0
	ds_read2_b64 v[2:5], v1 offset0:97 offset1:98
	ds_read2_b64 v[114:117], v1 offset0:99 offset1:100
	;; [unrolled: 1-line block ×3, first 2 shown]
	ds_read_b64 v[6:7], v1 offset:824
	s_mov_b32 s4, exec_lo
	s_waitcnt vmcnt(15) lgkmcnt(3)
	v_mul_f32_e32 v137, v2, v8
	v_mul_f32_e32 v8, v3, v8
	s_waitcnt vmcnt(14)
	v_mul_f32_e32 v138, v4, v122
	v_mul_f32_e32 v122, v5, v122
	s_waitcnt vmcnt(13) lgkmcnt(2)
	v_mul_f32_e32 v139, v114, v123
	s_waitcnt vmcnt(12)
	v_mul_f32_e32 v140, v116, v124
	s_waitcnt vmcnt(11) lgkmcnt(1)
	v_mul_f32_e32 v141, v118, v125
	s_waitcnt vmcnt(8)
	v_fma_f32 v2, v2, v128, -v8
	v_fmac_f32_e32 v137, v3, v128
	v_mul_f32_e32 v3, v115, v123
	s_waitcnt vmcnt(7)
	v_fma_f32 v4, v4, v129, -v122
	v_fmac_f32_e32 v138, v5, v129
	v_add_f32_e32 v2, 0, v2
	v_add_f32_e32 v5, 0, v137
	v_mul_f32_e32 v8, v117, v124
	s_waitcnt vmcnt(6)
	v_fma_f32 v3, v114, v130, -v3
	v_fmac_f32_e32 v139, v115, v130
	v_add_f32_e32 v2, v2, v4
	v_add_f32_e32 v4, v5, v138
	;; [unrolled: 6-line block ×3, first 2 shown]
	v_mul_f32_e32 v4, v121, v126
	s_waitcnt vmcnt(4)
	v_fma_f32 v5, v118, v132, -v5
	v_mul_f32_e32 v142, v120, v126
	v_add_f32_e32 v2, v2, v8
	v_fmac_f32_e32 v141, v119, v132
	v_add_f32_e32 v3, v3, v140
	s_waitcnt lgkmcnt(0)
	v_mul_f32_e32 v8, v7, v127
	s_waitcnt vmcnt(3)
	v_fma_f32 v4, v120, v133, -v4
	v_add_f32_e32 v2, v2, v5
	v_mul_f32_e32 v143, v6, v127
	v_fmac_f32_e32 v142, v121, v133
	v_add_f32_e32 v3, v3, v141
	s_waitcnt vmcnt(2)
	v_fma_f32 v5, v6, v134, -v8
	v_add_f32_e32 v2, v2, v4
	v_fmac_f32_e32 v143, v7, v134
	v_add_f32_e32 v3, v3, v142
	v_add_f32_e32 v2, v2, v5
	;; [unrolled: 1-line block ×3, first 2 shown]
	s_waitcnt vmcnt(1)
	v_sub_f32_e32 v2, v135, v2
	s_waitcnt vmcnt(0)
	v_sub_f32_e32 v3, v136, v3
	buffer_store_dword v2, off, s[0:3], 0 offset:352
	buffer_store_dword v3, off, s[0:3], 0 offset:356
	v_cmpx_lt_u32_e32 43, v0
	s_cbranch_execz .LBB51_239
; %bb.238:
	s_clause 0x1
	buffer_load_dword v2, off, s[0:3], 0 offset:344
	buffer_load_dword v3, off, s[0:3], 0 offset:348
	buffer_store_dword v1, off, s[0:3], 0 offset:344
	buffer_store_dword v1, off, s[0:3], 0 offset:348
	s_waitcnt vmcnt(0)
	ds_write_b64 v113, v[2:3]
.LBB51_239:
	s_or_b32 exec_lo, exec_lo, s4
	s_waitcnt lgkmcnt(0)
	s_waitcnt_vscnt null, 0x0
	s_barrier
	buffer_gl0_inv
	s_clause 0x11
	buffer_load_dword v6, off, s[0:3], 0 offset:356
	buffer_load_dword v7, off, s[0:3], 0 offset:364
	;; [unrolled: 1-line block ×18, first 2 shown]
	ds_read_b128 v[2:5], v1 offset:768
	ds_read_b128 v[114:117], v1 offset:784
	;; [unrolled: 1-line block ×4, first 2 shown]
	s_mov_b32 s4, exec_lo
	s_waitcnt vmcnt(17) lgkmcnt(3)
	v_mul_f32_e32 v1, v2, v6
	v_mul_f32_e32 v6, v3, v6
	s_waitcnt vmcnt(16)
	v_mul_f32_e32 v141, v4, v7
	v_mul_f32_e32 v7, v5, v7
	s_waitcnt vmcnt(15) lgkmcnt(2)
	v_mul_f32_e32 v142, v114, v8
	s_waitcnt vmcnt(14)
	v_mul_f32_e32 v143, v116, v126
	s_waitcnt vmcnt(13) lgkmcnt(1)
	v_mul_f32_e32 v144, v118, v127
	s_waitcnt vmcnt(12)
	v_mul_f32_e32 v145, v120, v128
	s_waitcnt vmcnt(9)
	v_fma_f32 v2, v2, v131, -v6
	v_fmac_f32_e32 v1, v3, v131
	v_mul_f32_e32 v3, v115, v8
	s_waitcnt vmcnt(8)
	v_fma_f32 v4, v4, v132, -v7
	v_fmac_f32_e32 v141, v5, v132
	v_add_f32_e32 v2, 0, v2
	v_add_f32_e32 v1, 0, v1
	v_mul_f32_e32 v5, v117, v126
	s_waitcnt vmcnt(7)
	v_fma_f32 v3, v114, v133, -v3
	v_fmac_f32_e32 v142, v115, v133
	v_add_f32_e32 v2, v2, v4
	v_add_f32_e32 v1, v1, v141
	;; [unrolled: 6-line block ×4, first 2 shown]
	s_waitcnt lgkmcnt(0)
	v_mul_f32_e32 v5, v123, v129
	s_waitcnt vmcnt(4)
	v_fma_f32 v3, v120, v136, -v3
	v_mul_f32_e32 v146, v122, v129
	v_add_f32_e32 v2, v2, v4
	v_fmac_f32_e32 v145, v121, v136
	v_add_f32_e32 v1, v1, v144
	v_mul_f32_e32 v4, v125, v130
	s_waitcnt vmcnt(3)
	v_fma_f32 v5, v122, v137, -v5
	v_add_f32_e32 v2, v2, v3
	v_mul_f32_e32 v147, v124, v130
	v_fmac_f32_e32 v146, v123, v137
	v_add_f32_e32 v1, v1, v145
	s_waitcnt vmcnt(2)
	v_fma_f32 v3, v124, v138, -v4
	v_add_f32_e32 v2, v2, v5
	v_fmac_f32_e32 v147, v125, v138
	v_add_f32_e32 v1, v1, v146
	v_add_f32_e32 v2, v2, v3
	;; [unrolled: 1-line block ×3, first 2 shown]
	s_waitcnt vmcnt(1)
	v_sub_f32_e32 v2, v139, v2
	s_waitcnt vmcnt(0)
	v_sub_f32_e32 v1, v140, v1
	buffer_store_dword v2, off, s[0:3], 0 offset:344
	buffer_store_dword v1, off, s[0:3], 0 offset:348
	v_cmpx_lt_u32_e32 42, v0
	s_cbranch_execz .LBB51_241
; %bb.240:
	s_clause 0x1
	buffer_load_dword v1, off, s[0:3], 0 offset:336
	buffer_load_dword v2, off, s[0:3], 0 offset:340
	v_mov_b32_e32 v3, 0
	buffer_store_dword v3, off, s[0:3], 0 offset:336
	buffer_store_dword v3, off, s[0:3], 0 offset:340
	s_waitcnt vmcnt(0)
	ds_write_b64 v113, v[1:2]
.LBB51_241:
	s_or_b32 exec_lo, exec_lo, s4
	s_waitcnt lgkmcnt(0)
	s_waitcnt_vscnt null, 0x0
	s_barrier
	buffer_gl0_inv
	s_clause 0x13
	buffer_load_dword v8, off, s[0:3], 0 offset:348
	buffer_load_dword v126, off, s[0:3], 0 offset:356
	buffer_load_dword v127, off, s[0:3], 0 offset:364
	buffer_load_dword v128, off, s[0:3], 0 offset:372
	buffer_load_dword v129, off, s[0:3], 0 offset:380
	buffer_load_dword v130, off, s[0:3], 0 offset:388
	buffer_load_dword v131, off, s[0:3], 0 offset:396
	buffer_load_dword v132, off, s[0:3], 0 offset:404
	buffer_load_dword v133, off, s[0:3], 0 offset:412
	buffer_load_dword v134, off, s[0:3], 0 offset:344
	buffer_load_dword v135, off, s[0:3], 0 offset:352
	buffer_load_dword v136, off, s[0:3], 0 offset:360
	buffer_load_dword v137, off, s[0:3], 0 offset:368
	buffer_load_dword v138, off, s[0:3], 0 offset:376
	buffer_load_dword v139, off, s[0:3], 0 offset:384
	buffer_load_dword v140, off, s[0:3], 0 offset:392
	buffer_load_dword v141, off, s[0:3], 0 offset:400
	buffer_load_dword v142, off, s[0:3], 0 offset:408
	buffer_load_dword v143, off, s[0:3], 0 offset:336
	buffer_load_dword v144, off, s[0:3], 0 offset:340
	v_mov_b32_e32 v1, 0
	ds_read2_b64 v[2:5], v1 offset0:95 offset1:96
	ds_read2_b64 v[114:117], v1 offset0:97 offset1:98
	;; [unrolled: 1-line block ×4, first 2 shown]
	ds_read_b64 v[6:7], v1 offset:824
	s_mov_b32 s4, exec_lo
	s_waitcnt vmcnt(19) lgkmcnt(4)
	v_mul_f32_e32 v145, v2, v8
	v_mul_f32_e32 v8, v3, v8
	s_waitcnt vmcnt(18)
	v_mul_f32_e32 v146, v4, v126
	v_mul_f32_e32 v126, v5, v126
	s_waitcnt vmcnt(17) lgkmcnt(3)
	v_mul_f32_e32 v147, v114, v127
	s_waitcnt vmcnt(16)
	v_mul_f32_e32 v148, v116, v128
	s_waitcnt vmcnt(15) lgkmcnt(2)
	v_mul_f32_e32 v149, v118, v129
	s_waitcnt vmcnt(14)
	;; [unrolled: 4-line block ×3, first 2 shown]
	v_fma_f32 v2, v2, v134, -v8
	v_fmac_f32_e32 v145, v3, v134
	v_mul_f32_e32 v3, v115, v127
	s_waitcnt vmcnt(9)
	v_fma_f32 v4, v4, v135, -v126
	v_fmac_f32_e32 v146, v5, v135
	v_add_f32_e32 v2, 0, v2
	v_add_f32_e32 v5, 0, v145
	v_mul_f32_e32 v8, v117, v128
	s_waitcnt vmcnt(8)
	v_fma_f32 v3, v114, v136, -v3
	v_fmac_f32_e32 v147, v115, v136
	v_add_f32_e32 v2, v2, v4
	v_add_f32_e32 v4, v5, v146
	;; [unrolled: 6-line block ×5, first 2 shown]
	v_mul_f32_e32 v5, v125, v132
	s_waitcnt vmcnt(4)
	v_fma_f32 v8, v122, v140, -v8
	v_mul_f32_e32 v152, v124, v132
	v_add_f32_e32 v2, v2, v4
	v_fmac_f32_e32 v151, v123, v140
	v_add_f32_e32 v3, v3, v150
	s_waitcnt lgkmcnt(0)
	v_mul_f32_e32 v4, v7, v133
	s_waitcnt vmcnt(3)
	v_fma_f32 v5, v124, v141, -v5
	v_add_f32_e32 v2, v2, v8
	v_mul_f32_e32 v153, v6, v133
	v_fmac_f32_e32 v152, v125, v141
	v_add_f32_e32 v3, v3, v151
	s_waitcnt vmcnt(2)
	v_fma_f32 v4, v6, v142, -v4
	v_add_f32_e32 v2, v2, v5
	v_fmac_f32_e32 v153, v7, v142
	v_add_f32_e32 v3, v3, v152
	v_add_f32_e32 v2, v2, v4
	;; [unrolled: 1-line block ×3, first 2 shown]
	s_waitcnt vmcnt(1)
	v_sub_f32_e32 v2, v143, v2
	s_waitcnt vmcnt(0)
	v_sub_f32_e32 v3, v144, v3
	buffer_store_dword v2, off, s[0:3], 0 offset:336
	buffer_store_dword v3, off, s[0:3], 0 offset:340
	v_cmpx_lt_u32_e32 41, v0
	s_cbranch_execz .LBB51_243
; %bb.242:
	s_clause 0x1
	buffer_load_dword v2, off, s[0:3], 0 offset:328
	buffer_load_dword v3, off, s[0:3], 0 offset:332
	buffer_store_dword v1, off, s[0:3], 0 offset:328
	buffer_store_dword v1, off, s[0:3], 0 offset:332
	s_waitcnt vmcnt(0)
	ds_write_b64 v113, v[2:3]
.LBB51_243:
	s_or_b32 exec_lo, exec_lo, s4
	s_waitcnt lgkmcnt(0)
	s_waitcnt_vscnt null, 0x0
	s_barrier
	buffer_gl0_inv
	s_clause 0x15
	buffer_load_dword v6, off, s[0:3], 0 offset:340
	buffer_load_dword v7, off, s[0:3], 0 offset:348
	;; [unrolled: 1-line block ×22, first 2 shown]
	ds_read_b128 v[2:5], v1 offset:752
	ds_read_b128 v[114:117], v1 offset:768
	;; [unrolled: 1-line block ×5, first 2 shown]
	s_mov_b32 s4, exec_lo
	s_waitcnt vmcnt(21) lgkmcnt(4)
	v_mul_f32_e32 v1, v2, v6
	v_mul_f32_e32 v6, v3, v6
	s_waitcnt vmcnt(20)
	v_mul_f32_e32 v149, v4, v7
	v_mul_f32_e32 v7, v5, v7
	s_waitcnt vmcnt(19) lgkmcnt(3)
	v_mul_f32_e32 v150, v114, v8
	s_waitcnt vmcnt(18)
	v_mul_f32_e32 v151, v116, v130
	s_waitcnt vmcnt(17) lgkmcnt(2)
	v_mul_f32_e32 v152, v118, v131
	s_waitcnt vmcnt(16)
	;; [unrolled: 4-line block ×3, first 2 shown]
	v_mul_f32_e32 v155, v124, v134
	s_waitcnt vmcnt(11)
	v_fma_f32 v2, v2, v137, -v6
	v_fmac_f32_e32 v1, v3, v137
	v_mul_f32_e32 v3, v115, v8
	s_waitcnt vmcnt(10)
	v_fma_f32 v4, v4, v138, -v7
	v_fmac_f32_e32 v149, v5, v138
	v_add_f32_e32 v2, 0, v2
	v_add_f32_e32 v1, 0, v1
	v_mul_f32_e32 v5, v117, v130
	s_waitcnt vmcnt(9)
	v_fma_f32 v3, v114, v139, -v3
	v_fmac_f32_e32 v150, v115, v139
	v_add_f32_e32 v2, v2, v4
	v_add_f32_e32 v1, v1, v149
	v_mul_f32_e32 v4, v119, v131
	s_waitcnt vmcnt(8)
	v_fma_f32 v5, v116, v140, -v5
	v_fmac_f32_e32 v151, v117, v140
	v_add_f32_e32 v2, v2, v3
	v_add_f32_e32 v1, v1, v150
	v_mul_f32_e32 v3, v121, v132
	s_waitcnt vmcnt(7)
	v_fma_f32 v4, v118, v141, -v4
	v_fmac_f32_e32 v152, v119, v141
	v_add_f32_e32 v2, v2, v5
	v_add_f32_e32 v1, v1, v151
	v_mul_f32_e32 v5, v123, v133
	s_waitcnt vmcnt(6)
	v_fma_f32 v3, v120, v142, -v3
	v_fmac_f32_e32 v153, v121, v142
	v_add_f32_e32 v2, v2, v4
	v_add_f32_e32 v1, v1, v152
	v_mul_f32_e32 v4, v125, v134
	s_waitcnt vmcnt(5)
	v_fma_f32 v5, v122, v143, -v5
	v_fmac_f32_e32 v154, v123, v143
	v_add_f32_e32 v2, v2, v3
	v_add_f32_e32 v1, v1, v153
	s_waitcnt lgkmcnt(0)
	v_mul_f32_e32 v3, v127, v135
	s_waitcnt vmcnt(4)
	v_fma_f32 v4, v124, v144, -v4
	v_mul_f32_e32 v156, v126, v135
	v_add_f32_e32 v2, v2, v5
	v_fmac_f32_e32 v155, v125, v144
	v_add_f32_e32 v1, v1, v154
	v_mul_f32_e32 v5, v129, v136
	s_waitcnt vmcnt(3)
	v_fma_f32 v3, v126, v145, -v3
	v_add_f32_e32 v2, v2, v4
	v_mul_f32_e32 v157, v128, v136
	v_fmac_f32_e32 v156, v127, v145
	v_add_f32_e32 v1, v1, v155
	s_waitcnt vmcnt(2)
	v_fma_f32 v4, v128, v146, -v5
	v_add_f32_e32 v2, v2, v3
	v_fmac_f32_e32 v157, v129, v146
	v_add_f32_e32 v1, v1, v156
	v_add_f32_e32 v2, v2, v4
	;; [unrolled: 1-line block ×3, first 2 shown]
	s_waitcnt vmcnt(1)
	v_sub_f32_e32 v2, v147, v2
	s_waitcnt vmcnt(0)
	v_sub_f32_e32 v1, v148, v1
	buffer_store_dword v2, off, s[0:3], 0 offset:328
	buffer_store_dword v1, off, s[0:3], 0 offset:332
	v_cmpx_lt_u32_e32 40, v0
	s_cbranch_execz .LBB51_245
; %bb.244:
	s_clause 0x1
	buffer_load_dword v1, off, s[0:3], 0 offset:320
	buffer_load_dword v2, off, s[0:3], 0 offset:324
	v_mov_b32_e32 v3, 0
	buffer_store_dword v3, off, s[0:3], 0 offset:320
	buffer_store_dword v3, off, s[0:3], 0 offset:324
	s_waitcnt vmcnt(0)
	ds_write_b64 v113, v[1:2]
.LBB51_245:
	s_or_b32 exec_lo, exec_lo, s4
	s_waitcnt lgkmcnt(0)
	s_waitcnt_vscnt null, 0x0
	s_barrier
	buffer_gl0_inv
	s_clause 0x17
	buffer_load_dword v8, off, s[0:3], 0 offset:332
	buffer_load_dword v130, off, s[0:3], 0 offset:340
	;; [unrolled: 1-line block ×24, first 2 shown]
	v_mov_b32_e32 v1, 0
	ds_read2_b64 v[2:5], v1 offset0:93 offset1:94
	ds_read2_b64 v[114:117], v1 offset0:95 offset1:96
	ds_read2_b64 v[118:121], v1 offset0:97 offset1:98
	ds_read2_b64 v[122:125], v1 offset0:99 offset1:100
	ds_read2_b64 v[126:129], v1 offset0:101 offset1:102
	ds_read_b64 v[6:7], v1 offset:824
	s_mov_b32 s4, exec_lo
	s_waitcnt vmcnt(23) lgkmcnt(5)
	v_mul_f32_e32 v153, v2, v8
	v_mul_f32_e32 v8, v3, v8
	s_waitcnt vmcnt(22)
	v_mul_f32_e32 v154, v4, v130
	v_mul_f32_e32 v130, v5, v130
	s_waitcnt vmcnt(21) lgkmcnt(4)
	v_mul_f32_e32 v155, v114, v131
	s_waitcnt vmcnt(20)
	v_mul_f32_e32 v156, v116, v132
	s_waitcnt vmcnt(19) lgkmcnt(3)
	v_mul_f32_e32 v157, v118, v133
	s_waitcnt vmcnt(18)
	;; [unrolled: 4-line block ×4, first 2 shown]
	v_fma_f32 v2, v2, v140, -v8
	v_fmac_f32_e32 v153, v3, v140
	v_mul_f32_e32 v3, v115, v131
	s_waitcnt vmcnt(11)
	v_fma_f32 v4, v4, v141, -v130
	v_fmac_f32_e32 v154, v5, v141
	v_add_f32_e32 v2, 0, v2
	v_add_f32_e32 v5, 0, v153
	v_mul_f32_e32 v8, v117, v132
	s_waitcnt vmcnt(10)
	v_fma_f32 v3, v114, v142, -v3
	v_fmac_f32_e32 v155, v115, v142
	v_add_f32_e32 v2, v2, v4
	v_add_f32_e32 v4, v5, v154
	v_mul_f32_e32 v5, v119, v133
	s_waitcnt vmcnt(9)
	v_fma_f32 v8, v116, v143, -v8
	v_fmac_f32_e32 v156, v117, v143
	v_add_f32_e32 v2, v2, v3
	v_add_f32_e32 v3, v4, v155
	v_mul_f32_e32 v4, v121, v134
	s_waitcnt vmcnt(8)
	v_fma_f32 v5, v118, v144, -v5
	v_fmac_f32_e32 v157, v119, v144
	v_add_f32_e32 v2, v2, v8
	v_add_f32_e32 v3, v3, v156
	v_mul_f32_e32 v8, v123, v135
	s_waitcnt vmcnt(7)
	v_fma_f32 v4, v120, v145, -v4
	v_fmac_f32_e32 v158, v121, v145
	v_add_f32_e32 v2, v2, v5
	v_add_f32_e32 v3, v3, v157
	v_mul_f32_e32 v5, v125, v136
	s_waitcnt vmcnt(6)
	v_fma_f32 v8, v122, v146, -v8
	v_fmac_f32_e32 v159, v123, v146
	v_add_f32_e32 v2, v2, v4
	v_add_f32_e32 v3, v3, v158
	v_mul_f32_e32 v4, v127, v137
	s_waitcnt vmcnt(5)
	v_fma_f32 v5, v124, v147, -v5
	v_fmac_f32_e32 v160, v125, v147
	v_add_f32_e32 v2, v2, v8
	v_add_f32_e32 v3, v3, v159
	v_mul_f32_e32 v8, v129, v138
	s_waitcnt vmcnt(4)
	v_fma_f32 v4, v126, v148, -v4
	v_mul_f32_e32 v162, v128, v138
	v_add_f32_e32 v2, v2, v5
	v_fmac_f32_e32 v161, v127, v148
	v_add_f32_e32 v3, v3, v160
	s_waitcnt lgkmcnt(0)
	v_mul_f32_e32 v5, v7, v139
	s_waitcnt vmcnt(3)
	v_fma_f32 v8, v128, v149, -v8
	v_add_f32_e32 v2, v2, v4
	v_mul_f32_e32 v163, v6, v139
	v_fmac_f32_e32 v162, v129, v149
	v_add_f32_e32 v3, v3, v161
	s_waitcnt vmcnt(2)
	v_fma_f32 v4, v6, v150, -v5
	v_add_f32_e32 v2, v2, v8
	v_fmac_f32_e32 v163, v7, v150
	v_add_f32_e32 v3, v3, v162
	v_add_f32_e32 v2, v2, v4
	v_add_f32_e32 v3, v3, v163
	s_waitcnt vmcnt(1)
	v_sub_f32_e32 v2, v151, v2
	s_waitcnt vmcnt(0)
	v_sub_f32_e32 v3, v152, v3
	buffer_store_dword v2, off, s[0:3], 0 offset:320
	buffer_store_dword v3, off, s[0:3], 0 offset:324
	v_cmpx_lt_u32_e32 39, v0
	s_cbranch_execz .LBB51_247
; %bb.246:
	s_clause 0x1
	buffer_load_dword v2, off, s[0:3], 0 offset:312
	buffer_load_dword v3, off, s[0:3], 0 offset:316
	buffer_store_dword v1, off, s[0:3], 0 offset:312
	buffer_store_dword v1, off, s[0:3], 0 offset:316
	s_waitcnt vmcnt(0)
	ds_write_b64 v113, v[2:3]
.LBB51_247:
	s_or_b32 exec_lo, exec_lo, s4
	s_waitcnt lgkmcnt(0)
	s_waitcnt_vscnt null, 0x0
	s_barrier
	buffer_gl0_inv
	s_clause 0x19
	buffer_load_dword v6, off, s[0:3], 0 offset:324
	buffer_load_dword v7, off, s[0:3], 0 offset:332
	;; [unrolled: 1-line block ×26, first 2 shown]
	ds_read_b128 v[2:5], v1 offset:736
	ds_read_b128 v[114:117], v1 offset:752
	ds_read_b128 v[118:121], v1 offset:768
	ds_read_b128 v[122:125], v1 offset:784
	ds_read_b128 v[126:129], v1 offset:800
	ds_read_b128 v[130:133], v1 offset:816
	s_mov_b32 s4, exec_lo
	s_waitcnt vmcnt(25) lgkmcnt(5)
	v_mul_f32_e32 v1, v2, v6
	v_mul_f32_e32 v6, v3, v6
	s_waitcnt vmcnt(24)
	v_mul_f32_e32 v157, v4, v7
	v_mul_f32_e32 v7, v5, v7
	s_waitcnt vmcnt(23) lgkmcnt(4)
	v_mul_f32_e32 v158, v114, v8
	s_waitcnt vmcnt(22)
	v_mul_f32_e32 v159, v116, v134
	s_waitcnt vmcnt(21) lgkmcnt(3)
	v_mul_f32_e32 v160, v118, v135
	s_waitcnt vmcnt(20)
	;; [unrolled: 4-line block ×4, first 2 shown]
	v_mul_f32_e32 v165, v128, v140
	s_waitcnt vmcnt(13)
	v_fma_f32 v2, v2, v143, -v6
	v_fmac_f32_e32 v1, v3, v143
	v_mul_f32_e32 v3, v115, v8
	s_waitcnt vmcnt(12)
	v_fma_f32 v4, v4, v144, -v7
	v_fmac_f32_e32 v157, v5, v144
	v_add_f32_e32 v2, 0, v2
	v_add_f32_e32 v1, 0, v1
	v_mul_f32_e32 v5, v117, v134
	s_waitcnt vmcnt(11)
	v_fma_f32 v3, v114, v145, -v3
	v_fmac_f32_e32 v158, v115, v145
	v_add_f32_e32 v2, v2, v4
	v_add_f32_e32 v1, v1, v157
	;; [unrolled: 6-line block ×8, first 2 shown]
	s_waitcnt lgkmcnt(0)
	v_mul_f32_e32 v4, v131, v141
	s_waitcnt vmcnt(4)
	v_fma_f32 v5, v128, v152, -v5
	v_mul_f32_e32 v166, v130, v141
	v_add_f32_e32 v2, v2, v3
	v_fmac_f32_e32 v165, v129, v152
	v_add_f32_e32 v1, v1, v164
	v_mul_f32_e32 v3, v133, v142
	s_waitcnt vmcnt(3)
	v_fma_f32 v4, v130, v153, -v4
	v_add_f32_e32 v2, v2, v5
	v_mul_f32_e32 v167, v132, v142
	v_fmac_f32_e32 v166, v131, v153
	v_add_f32_e32 v1, v1, v165
	s_waitcnt vmcnt(2)
	v_fma_f32 v3, v132, v154, -v3
	v_add_f32_e32 v2, v2, v4
	v_fmac_f32_e32 v167, v133, v154
	v_add_f32_e32 v1, v1, v166
	v_add_f32_e32 v2, v2, v3
	;; [unrolled: 1-line block ×3, first 2 shown]
	s_waitcnt vmcnt(1)
	v_sub_f32_e32 v2, v155, v2
	s_waitcnt vmcnt(0)
	v_sub_f32_e32 v1, v156, v1
	buffer_store_dword v2, off, s[0:3], 0 offset:312
	buffer_store_dword v1, off, s[0:3], 0 offset:316
	v_cmpx_lt_u32_e32 38, v0
	s_cbranch_execz .LBB51_249
; %bb.248:
	s_clause 0x1
	buffer_load_dword v1, off, s[0:3], 0 offset:304
	buffer_load_dword v2, off, s[0:3], 0 offset:308
	v_mov_b32_e32 v3, 0
	buffer_store_dword v3, off, s[0:3], 0 offset:304
	buffer_store_dword v3, off, s[0:3], 0 offset:308
	s_waitcnt vmcnt(0)
	ds_write_b64 v113, v[1:2]
.LBB51_249:
	s_or_b32 exec_lo, exec_lo, s4
	s_waitcnt lgkmcnt(0)
	s_waitcnt_vscnt null, 0x0
	s_barrier
	buffer_gl0_inv
	s_clause 0x1b
	buffer_load_dword v8, off, s[0:3], 0 offset:316
	buffer_load_dword v134, off, s[0:3], 0 offset:324
	;; [unrolled: 1-line block ×28, first 2 shown]
	v_mov_b32_e32 v1, 0
	ds_read2_b64 v[2:5], v1 offset0:91 offset1:92
	ds_read2_b64 v[114:117], v1 offset0:93 offset1:94
	;; [unrolled: 1-line block ×6, first 2 shown]
	ds_read_b64 v[6:7], v1 offset:824
	s_mov_b32 s4, exec_lo
	s_waitcnt vmcnt(27) lgkmcnt(6)
	v_mul_f32_e32 v161, v2, v8
	v_mul_f32_e32 v8, v3, v8
	s_waitcnt vmcnt(26)
	v_mul_f32_e32 v162, v4, v134
	v_mul_f32_e32 v134, v5, v134
	s_waitcnt vmcnt(25) lgkmcnt(5)
	v_mul_f32_e32 v163, v114, v135
	s_waitcnt vmcnt(24)
	v_mul_f32_e32 v164, v116, v136
	s_waitcnt vmcnt(23) lgkmcnt(4)
	v_mul_f32_e32 v165, v118, v137
	s_waitcnt vmcnt(22)
	;; [unrolled: 4-line block ×5, first 2 shown]
	v_fma_f32 v2, v2, v146, -v8
	v_fmac_f32_e32 v161, v3, v146
	v_mul_f32_e32 v3, v115, v135
	s_waitcnt vmcnt(13)
	v_fma_f32 v4, v4, v147, -v134
	v_fmac_f32_e32 v162, v5, v147
	v_add_f32_e32 v2, 0, v2
	v_add_f32_e32 v5, 0, v161
	v_mul_f32_e32 v8, v117, v136
	s_waitcnt vmcnt(12)
	v_fma_f32 v3, v114, v148, -v3
	v_fmac_f32_e32 v163, v115, v148
	v_add_f32_e32 v2, v2, v4
	v_add_f32_e32 v4, v5, v162
	;; [unrolled: 6-line block ×9, first 2 shown]
	v_mul_f32_e32 v4, v133, v144
	s_waitcnt vmcnt(4)
	v_fma_f32 v5, v130, v156, -v5
	v_mul_f32_e32 v172, v132, v144
	v_add_f32_e32 v2, v2, v8
	v_fmac_f32_e32 v171, v131, v156
	v_add_f32_e32 v3, v3, v170
	s_waitcnt lgkmcnt(0)
	v_mul_f32_e32 v8, v7, v145
	s_waitcnt vmcnt(3)
	v_fma_f32 v4, v132, v157, -v4
	v_add_f32_e32 v2, v2, v5
	v_mul_f32_e32 v173, v6, v145
	v_fmac_f32_e32 v172, v133, v157
	v_add_f32_e32 v3, v3, v171
	s_waitcnt vmcnt(2)
	v_fma_f32 v5, v6, v158, -v8
	v_add_f32_e32 v2, v2, v4
	v_fmac_f32_e32 v173, v7, v158
	v_add_f32_e32 v3, v3, v172
	v_add_f32_e32 v2, v2, v5
	;; [unrolled: 1-line block ×3, first 2 shown]
	s_waitcnt vmcnt(1)
	v_sub_f32_e32 v2, v159, v2
	s_waitcnt vmcnt(0)
	v_sub_f32_e32 v3, v160, v3
	buffer_store_dword v2, off, s[0:3], 0 offset:304
	buffer_store_dword v3, off, s[0:3], 0 offset:308
	v_cmpx_lt_u32_e32 37, v0
	s_cbranch_execz .LBB51_251
; %bb.250:
	s_clause 0x1
	buffer_load_dword v2, off, s[0:3], 0 offset:296
	buffer_load_dword v3, off, s[0:3], 0 offset:300
	buffer_store_dword v1, off, s[0:3], 0 offset:296
	buffer_store_dword v1, off, s[0:3], 0 offset:300
	s_waitcnt vmcnt(0)
	ds_write_b64 v113, v[2:3]
.LBB51_251:
	s_or_b32 exec_lo, exec_lo, s4
	s_waitcnt lgkmcnt(0)
	s_waitcnt_vscnt null, 0x0
	s_barrier
	buffer_gl0_inv
	s_clause 0x1d
	buffer_load_dword v6, off, s[0:3], 0 offset:308
	buffer_load_dword v7, off, s[0:3], 0 offset:316
	;; [unrolled: 1-line block ×30, first 2 shown]
	ds_read_b128 v[2:5], v1 offset:720
	ds_read_b128 v[114:117], v1 offset:736
	;; [unrolled: 1-line block ×7, first 2 shown]
	s_mov_b32 s4, exec_lo
	s_waitcnt vmcnt(29) lgkmcnt(6)
	v_mul_f32_e32 v1, v2, v6
	v_mul_f32_e32 v6, v3, v6
	s_waitcnt vmcnt(28)
	v_mul_f32_e32 v165, v4, v7
	v_mul_f32_e32 v7, v5, v7
	s_waitcnt vmcnt(27) lgkmcnt(5)
	v_mul_f32_e32 v166, v114, v8
	s_waitcnt vmcnt(26)
	v_mul_f32_e32 v167, v116, v138
	s_waitcnt vmcnt(25) lgkmcnt(4)
	v_mul_f32_e32 v168, v118, v139
	s_waitcnt vmcnt(24)
	;; [unrolled: 4-line block ×5, first 2 shown]
	v_mul_f32_e32 v175, v132, v146
	s_waitcnt vmcnt(15)
	v_fma_f32 v2, v2, v149, -v6
	v_fmac_f32_e32 v1, v3, v149
	v_mul_f32_e32 v3, v115, v8
	s_waitcnt vmcnt(14)
	v_fma_f32 v4, v4, v150, -v7
	v_fmac_f32_e32 v165, v5, v150
	v_add_f32_e32 v2, 0, v2
	v_add_f32_e32 v1, 0, v1
	v_mul_f32_e32 v5, v117, v138
	s_waitcnt vmcnt(13)
	v_fma_f32 v3, v114, v151, -v3
	v_fmac_f32_e32 v166, v115, v151
	v_add_f32_e32 v2, v2, v4
	v_add_f32_e32 v1, v1, v165
	;; [unrolled: 6-line block ×10, first 2 shown]
	s_waitcnt lgkmcnt(0)
	v_mul_f32_e32 v5, v135, v147
	s_waitcnt vmcnt(4)
	v_fma_f32 v3, v132, v160, -v3
	v_mul_f32_e32 v176, v134, v147
	v_add_f32_e32 v2, v2, v4
	v_fmac_f32_e32 v175, v133, v160
	v_add_f32_e32 v1, v1, v174
	v_mul_f32_e32 v4, v137, v148
	s_waitcnt vmcnt(3)
	v_fma_f32 v5, v134, v161, -v5
	v_add_f32_e32 v2, v2, v3
	v_mul_f32_e32 v177, v136, v148
	v_fmac_f32_e32 v176, v135, v161
	v_add_f32_e32 v1, v1, v175
	s_waitcnt vmcnt(2)
	v_fma_f32 v3, v136, v162, -v4
	v_add_f32_e32 v2, v2, v5
	v_fmac_f32_e32 v177, v137, v162
	v_add_f32_e32 v1, v1, v176
	v_add_f32_e32 v2, v2, v3
	;; [unrolled: 1-line block ×3, first 2 shown]
	s_waitcnt vmcnt(1)
	v_sub_f32_e32 v2, v163, v2
	s_waitcnt vmcnt(0)
	v_sub_f32_e32 v1, v164, v1
	buffer_store_dword v2, off, s[0:3], 0 offset:296
	buffer_store_dword v1, off, s[0:3], 0 offset:300
	v_cmpx_lt_u32_e32 36, v0
	s_cbranch_execz .LBB51_253
; %bb.252:
	s_clause 0x1
	buffer_load_dword v1, off, s[0:3], 0 offset:288
	buffer_load_dword v2, off, s[0:3], 0 offset:292
	v_mov_b32_e32 v3, 0
	buffer_store_dword v3, off, s[0:3], 0 offset:288
	buffer_store_dword v3, off, s[0:3], 0 offset:292
	s_waitcnt vmcnt(0)
	ds_write_b64 v113, v[1:2]
.LBB51_253:
	s_or_b32 exec_lo, exec_lo, s4
	s_waitcnt lgkmcnt(0)
	s_waitcnt_vscnt null, 0x0
	s_barrier
	buffer_gl0_inv
	s_clause 0x1f
	buffer_load_dword v8, off, s[0:3], 0 offset:300
	buffer_load_dword v138, off, s[0:3], 0 offset:308
	;; [unrolled: 1-line block ×32, first 2 shown]
	v_mov_b32_e32 v1, 0
	ds_read2_b64 v[2:5], v1 offset0:89 offset1:90
	ds_read2_b64 v[114:117], v1 offset0:91 offset1:92
	;; [unrolled: 1-line block ×7, first 2 shown]
	ds_read_b64 v[6:7], v1 offset:824
	s_mov_b32 s4, exec_lo
	s_waitcnt vmcnt(31) lgkmcnt(7)
	v_mul_f32_e32 v169, v2, v8
	v_mul_f32_e32 v8, v3, v8
	s_waitcnt vmcnt(30)
	v_mul_f32_e32 v170, v4, v138
	v_mul_f32_e32 v138, v5, v138
	s_waitcnt vmcnt(29) lgkmcnt(6)
	v_mul_f32_e32 v171, v114, v139
	s_waitcnt vmcnt(28)
	v_mul_f32_e32 v172, v116, v140
	s_waitcnt vmcnt(27) lgkmcnt(5)
	v_mul_f32_e32 v173, v118, v141
	s_waitcnt vmcnt(26)
	;; [unrolled: 4-line block ×6, first 2 shown]
	v_fma_f32 v2, v2, v152, -v8
	v_fmac_f32_e32 v169, v3, v152
	v_mul_f32_e32 v3, v115, v139
	s_waitcnt vmcnt(15)
	v_fma_f32 v4, v4, v153, -v138
	v_fmac_f32_e32 v170, v5, v153
	v_add_f32_e32 v2, 0, v2
	v_add_f32_e32 v5, 0, v169
	v_mul_f32_e32 v8, v117, v140
	s_waitcnt vmcnt(14)
	v_fma_f32 v3, v114, v154, -v3
	v_fmac_f32_e32 v171, v115, v154
	v_add_f32_e32 v2, v2, v4
	v_add_f32_e32 v4, v5, v170
	;; [unrolled: 6-line block ×11, first 2 shown]
	v_mul_f32_e32 v5, v137, v150
	s_waitcnt vmcnt(4)
	v_fma_f32 v8, v134, v164, -v8
	v_mul_f32_e32 v182, v136, v150
	v_add_f32_e32 v2, v2, v4
	v_fmac_f32_e32 v181, v135, v164
	v_add_f32_e32 v3, v3, v180
	s_waitcnt lgkmcnt(0)
	v_mul_f32_e32 v4, v7, v151
	s_waitcnt vmcnt(3)
	v_fma_f32 v5, v136, v165, -v5
	v_add_f32_e32 v2, v2, v8
	v_mul_f32_e32 v183, v6, v151
	v_fmac_f32_e32 v182, v137, v165
	v_add_f32_e32 v3, v3, v181
	s_waitcnt vmcnt(2)
	v_fma_f32 v4, v6, v166, -v4
	v_add_f32_e32 v2, v2, v5
	v_fmac_f32_e32 v183, v7, v166
	v_add_f32_e32 v3, v3, v182
	v_add_f32_e32 v2, v2, v4
	;; [unrolled: 1-line block ×3, first 2 shown]
	s_waitcnt vmcnt(1)
	v_sub_f32_e32 v2, v167, v2
	s_waitcnt vmcnt(0)
	v_sub_f32_e32 v3, v168, v3
	buffer_store_dword v2, off, s[0:3], 0 offset:288
	buffer_store_dword v3, off, s[0:3], 0 offset:292
	v_cmpx_lt_u32_e32 35, v0
	s_cbranch_execz .LBB51_255
; %bb.254:
	s_clause 0x1
	buffer_load_dword v2, off, s[0:3], 0 offset:280
	buffer_load_dword v3, off, s[0:3], 0 offset:284
	buffer_store_dword v1, off, s[0:3], 0 offset:280
	buffer_store_dword v1, off, s[0:3], 0 offset:284
	s_waitcnt vmcnt(0)
	ds_write_b64 v113, v[2:3]
.LBB51_255:
	s_or_b32 exec_lo, exec_lo, s4
	s_waitcnt lgkmcnt(0)
	s_waitcnt_vscnt null, 0x0
	s_barrier
	buffer_gl0_inv
	s_clause 0x21
	buffer_load_dword v6, off, s[0:3], 0 offset:292
	buffer_load_dword v7, off, s[0:3], 0 offset:300
	;; [unrolled: 1-line block ×34, first 2 shown]
	ds_read_b128 v[2:5], v1 offset:704
	ds_read_b128 v[114:117], v1 offset:720
	;; [unrolled: 1-line block ×8, first 2 shown]
	s_mov_b32 s4, exec_lo
	s_waitcnt vmcnt(33) lgkmcnt(7)
	v_mul_f32_e32 v1, v2, v6
	v_mul_f32_e32 v6, v3, v6
	s_waitcnt vmcnt(32)
	v_mul_f32_e32 v173, v4, v7
	v_mul_f32_e32 v7, v5, v7
	s_waitcnt vmcnt(31) lgkmcnt(6)
	v_mul_f32_e32 v174, v114, v8
	s_waitcnt vmcnt(30)
	v_mul_f32_e32 v175, v116, v142
	s_waitcnt vmcnt(29) lgkmcnt(5)
	v_mul_f32_e32 v176, v118, v143
	s_waitcnt vmcnt(28)
	;; [unrolled: 4-line block ×6, first 2 shown]
	v_mul_f32_e32 v185, v136, v152
	s_waitcnt vmcnt(17)
	v_fma_f32 v2, v2, v155, -v6
	v_fmac_f32_e32 v1, v3, v155
	v_mul_f32_e32 v3, v115, v8
	s_waitcnt vmcnt(16)
	v_fma_f32 v4, v4, v156, -v7
	v_fmac_f32_e32 v173, v5, v156
	v_add_f32_e32 v2, 0, v2
	v_add_f32_e32 v1, 0, v1
	v_mul_f32_e32 v5, v117, v142
	s_waitcnt vmcnt(15)
	v_fma_f32 v3, v114, v157, -v3
	v_fmac_f32_e32 v174, v115, v157
	v_add_f32_e32 v2, v2, v4
	v_add_f32_e32 v1, v1, v173
	;; [unrolled: 6-line block ×12, first 2 shown]
	s_waitcnt lgkmcnt(0)
	v_mul_f32_e32 v3, v139, v153
	s_waitcnt vmcnt(4)
	v_fma_f32 v4, v136, v168, -v4
	v_mul_f32_e32 v186, v138, v153
	v_add_f32_e32 v2, v2, v5
	v_fmac_f32_e32 v185, v137, v168
	v_add_f32_e32 v1, v1, v184
	v_mul_f32_e32 v5, v141, v154
	s_waitcnt vmcnt(3)
	v_fma_f32 v3, v138, v169, -v3
	v_add_f32_e32 v2, v2, v4
	v_mul_f32_e32 v187, v140, v154
	v_fmac_f32_e32 v186, v139, v169
	v_add_f32_e32 v1, v1, v185
	s_waitcnt vmcnt(2)
	v_fma_f32 v4, v140, v170, -v5
	v_add_f32_e32 v2, v2, v3
	v_fmac_f32_e32 v187, v141, v170
	v_add_f32_e32 v1, v1, v186
	v_add_f32_e32 v2, v2, v4
	;; [unrolled: 1-line block ×3, first 2 shown]
	s_waitcnt vmcnt(1)
	v_sub_f32_e32 v2, v171, v2
	s_waitcnt vmcnt(0)
	v_sub_f32_e32 v1, v172, v1
	buffer_store_dword v2, off, s[0:3], 0 offset:280
	buffer_store_dword v1, off, s[0:3], 0 offset:284
	v_cmpx_lt_u32_e32 34, v0
	s_cbranch_execz .LBB51_257
; %bb.256:
	s_clause 0x1
	buffer_load_dword v1, off, s[0:3], 0 offset:272
	buffer_load_dword v2, off, s[0:3], 0 offset:276
	v_mov_b32_e32 v3, 0
	buffer_store_dword v3, off, s[0:3], 0 offset:272
	buffer_store_dword v3, off, s[0:3], 0 offset:276
	s_waitcnt vmcnt(0)
	ds_write_b64 v113, v[1:2]
.LBB51_257:
	s_or_b32 exec_lo, exec_lo, s4
	s_waitcnt lgkmcnt(0)
	s_waitcnt_vscnt null, 0x0
	s_barrier
	buffer_gl0_inv
	s_clause 0x23
	buffer_load_dword v8, off, s[0:3], 0 offset:284
	buffer_load_dword v142, off, s[0:3], 0 offset:292
	;; [unrolled: 1-line block ×36, first 2 shown]
	v_mov_b32_e32 v1, 0
	ds_read2_b64 v[2:5], v1 offset0:87 offset1:88
	ds_read2_b64 v[114:117], v1 offset0:89 offset1:90
	;; [unrolled: 1-line block ×8, first 2 shown]
	ds_read_b64 v[6:7], v1 offset:824
	s_mov_b32 s4, exec_lo
	s_waitcnt vmcnt(35) lgkmcnt(8)
	v_mul_f32_e32 v177, v2, v8
	v_mul_f32_e32 v8, v3, v8
	s_waitcnt vmcnt(34)
	v_mul_f32_e32 v178, v4, v142
	v_mul_f32_e32 v142, v5, v142
	s_waitcnt vmcnt(33) lgkmcnt(7)
	v_mul_f32_e32 v179, v114, v143
	s_waitcnt vmcnt(32)
	v_mul_f32_e32 v180, v116, v144
	s_waitcnt vmcnt(31) lgkmcnt(6)
	v_mul_f32_e32 v181, v118, v145
	s_waitcnt vmcnt(30)
	;; [unrolled: 4-line block ×7, first 2 shown]
	v_fma_f32 v2, v2, v158, -v8
	v_fmac_f32_e32 v177, v3, v158
	v_mul_f32_e32 v3, v115, v143
	s_waitcnt vmcnt(17)
	v_fma_f32 v4, v4, v159, -v142
	v_fmac_f32_e32 v178, v5, v159
	v_add_f32_e32 v2, 0, v2
	v_add_f32_e32 v5, 0, v177
	v_mul_f32_e32 v8, v117, v144
	s_waitcnt vmcnt(16)
	v_fma_f32 v3, v114, v160, -v3
	v_fmac_f32_e32 v179, v115, v160
	v_add_f32_e32 v2, v2, v4
	v_add_f32_e32 v4, v5, v178
	;; [unrolled: 6-line block ×13, first 2 shown]
	v_mul_f32_e32 v8, v141, v156
	s_waitcnt vmcnt(4)
	v_fma_f32 v4, v138, v172, -v4
	v_mul_f32_e32 v192, v140, v156
	v_add_f32_e32 v2, v2, v5
	v_fmac_f32_e32 v191, v139, v172
	v_add_f32_e32 v3, v3, v190
	s_waitcnt lgkmcnt(0)
	v_mul_f32_e32 v5, v7, v157
	s_waitcnt vmcnt(3)
	v_fma_f32 v8, v140, v173, -v8
	v_add_f32_e32 v2, v2, v4
	v_mul_f32_e32 v193, v6, v157
	v_fmac_f32_e32 v192, v141, v173
	v_add_f32_e32 v3, v3, v191
	s_waitcnt vmcnt(2)
	v_fma_f32 v4, v6, v174, -v5
	v_add_f32_e32 v2, v2, v8
	v_fmac_f32_e32 v193, v7, v174
	v_add_f32_e32 v3, v3, v192
	v_add_f32_e32 v2, v2, v4
	;; [unrolled: 1-line block ×3, first 2 shown]
	s_waitcnt vmcnt(1)
	v_sub_f32_e32 v2, v175, v2
	s_waitcnt vmcnt(0)
	v_sub_f32_e32 v3, v176, v3
	buffer_store_dword v2, off, s[0:3], 0 offset:272
	buffer_store_dword v3, off, s[0:3], 0 offset:276
	v_cmpx_lt_u32_e32 33, v0
	s_cbranch_execz .LBB51_259
; %bb.258:
	s_clause 0x1
	buffer_load_dword v2, off, s[0:3], 0 offset:264
	buffer_load_dword v3, off, s[0:3], 0 offset:268
	buffer_store_dword v1, off, s[0:3], 0 offset:264
	buffer_store_dword v1, off, s[0:3], 0 offset:268
	s_waitcnt vmcnt(0)
	ds_write_b64 v113, v[2:3]
.LBB51_259:
	s_or_b32 exec_lo, exec_lo, s4
	s_waitcnt lgkmcnt(0)
	s_waitcnt_vscnt null, 0x0
	s_barrier
	buffer_gl0_inv
	s_clause 0x25
	buffer_load_dword v6, off, s[0:3], 0 offset:276
	buffer_load_dword v7, off, s[0:3], 0 offset:284
	;; [unrolled: 1-line block ×38, first 2 shown]
	ds_read_b128 v[2:5], v1 offset:688
	ds_read_b128 v[114:117], v1 offset:704
	;; [unrolled: 1-line block ×9, first 2 shown]
	s_mov_b32 s4, exec_lo
	s_waitcnt vmcnt(37) lgkmcnt(8)
	v_mul_f32_e32 v1, v2, v6
	v_mul_f32_e32 v6, v3, v6
	s_waitcnt vmcnt(36)
	v_mul_f32_e32 v181, v4, v7
	v_mul_f32_e32 v7, v5, v7
	s_waitcnt vmcnt(35) lgkmcnt(7)
	v_mul_f32_e32 v182, v114, v8
	s_waitcnt vmcnt(34)
	v_mul_f32_e32 v183, v116, v146
	s_waitcnt vmcnt(33) lgkmcnt(6)
	v_mul_f32_e32 v184, v118, v147
	s_waitcnt vmcnt(32)
	;; [unrolled: 4-line block ×7, first 2 shown]
	v_mul_f32_e32 v195, v140, v158
	s_waitcnt vmcnt(19)
	v_fma_f32 v2, v2, v161, -v6
	v_fmac_f32_e32 v1, v3, v161
	v_mul_f32_e32 v3, v115, v8
	s_waitcnt vmcnt(18)
	v_fma_f32 v4, v4, v162, -v7
	v_fmac_f32_e32 v181, v5, v162
	v_add_f32_e32 v2, 0, v2
	v_add_f32_e32 v1, 0, v1
	v_mul_f32_e32 v5, v117, v146
	s_waitcnt vmcnt(17)
	v_fma_f32 v3, v114, v163, -v3
	v_fmac_f32_e32 v182, v115, v163
	v_add_f32_e32 v2, v2, v4
	v_add_f32_e32 v1, v1, v181
	;; [unrolled: 6-line block ×14, first 2 shown]
	s_waitcnt lgkmcnt(0)
	v_mul_f32_e32 v4, v143, v159
	s_waitcnt vmcnt(4)
	v_fma_f32 v5, v140, v176, -v5
	v_mul_f32_e32 v196, v142, v159
	v_add_f32_e32 v2, v2, v3
	v_fmac_f32_e32 v195, v141, v176
	v_add_f32_e32 v1, v1, v194
	v_mul_f32_e32 v3, v145, v160
	s_waitcnt vmcnt(3)
	v_fma_f32 v4, v142, v177, -v4
	v_add_f32_e32 v2, v2, v5
	v_mul_f32_e32 v197, v144, v160
	v_fmac_f32_e32 v196, v143, v177
	v_add_f32_e32 v1, v1, v195
	s_waitcnt vmcnt(2)
	v_fma_f32 v3, v144, v178, -v3
	v_add_f32_e32 v2, v2, v4
	v_fmac_f32_e32 v197, v145, v178
	v_add_f32_e32 v1, v1, v196
	v_add_f32_e32 v2, v2, v3
	;; [unrolled: 1-line block ×3, first 2 shown]
	s_waitcnt vmcnt(1)
	v_sub_f32_e32 v2, v179, v2
	s_waitcnt vmcnt(0)
	v_sub_f32_e32 v1, v180, v1
	buffer_store_dword v2, off, s[0:3], 0 offset:264
	buffer_store_dword v1, off, s[0:3], 0 offset:268
	v_cmpx_lt_u32_e32 32, v0
	s_cbranch_execz .LBB51_261
; %bb.260:
	s_clause 0x1
	buffer_load_dword v1, off, s[0:3], 0 offset:256
	buffer_load_dword v2, off, s[0:3], 0 offset:260
	v_mov_b32_e32 v3, 0
	buffer_store_dword v3, off, s[0:3], 0 offset:256
	buffer_store_dword v3, off, s[0:3], 0 offset:260
	s_waitcnt vmcnt(0)
	ds_write_b64 v113, v[1:2]
.LBB51_261:
	s_or_b32 exec_lo, exec_lo, s4
	s_waitcnt lgkmcnt(0)
	s_waitcnt_vscnt null, 0x0
	s_barrier
	buffer_gl0_inv
	s_clause 0x27
	buffer_load_dword v8, off, s[0:3], 0 offset:268
	buffer_load_dword v146, off, s[0:3], 0 offset:276
	;; [unrolled: 1-line block ×40, first 2 shown]
	v_mov_b32_e32 v1, 0
	ds_read2_b64 v[2:5], v1 offset0:85 offset1:86
	ds_read2_b64 v[114:117], v1 offset0:87 offset1:88
	;; [unrolled: 1-line block ×9, first 2 shown]
	ds_read_b64 v[6:7], v1 offset:824
	s_mov_b32 s4, exec_lo
	s_waitcnt vmcnt(39) lgkmcnt(9)
	v_mul_f32_e32 v185, v2, v8
	v_mul_f32_e32 v8, v3, v8
	s_waitcnt vmcnt(38)
	v_mul_f32_e32 v186, v4, v146
	v_mul_f32_e32 v146, v5, v146
	s_waitcnt vmcnt(37) lgkmcnt(8)
	v_mul_f32_e32 v187, v114, v147
	s_waitcnt vmcnt(36)
	v_mul_f32_e32 v188, v116, v148
	s_waitcnt vmcnt(35) lgkmcnt(7)
	v_mul_f32_e32 v189, v118, v149
	s_waitcnt vmcnt(34)
	;; [unrolled: 4-line block ×8, first 2 shown]
	v_fma_f32 v2, v2, v164, -v8
	v_fmac_f32_e32 v185, v3, v164
	v_mul_f32_e32 v3, v115, v147
	s_waitcnt vmcnt(19)
	v_fma_f32 v4, v4, v165, -v146
	v_fmac_f32_e32 v186, v5, v165
	v_add_f32_e32 v2, 0, v2
	v_add_f32_e32 v5, 0, v185
	v_mul_f32_e32 v8, v117, v148
	s_waitcnt vmcnt(18)
	v_fma_f32 v3, v114, v166, -v3
	v_fmac_f32_e32 v187, v115, v166
	v_add_f32_e32 v2, v2, v4
	v_add_f32_e32 v4, v5, v186
	;; [unrolled: 6-line block ×15, first 2 shown]
	v_mul_f32_e32 v4, v145, v162
	s_waitcnt vmcnt(4)
	v_fma_f32 v5, v142, v180, -v5
	v_mul_f32_e32 v202, v144, v162
	v_add_f32_e32 v2, v2, v8
	v_fmac_f32_e32 v201, v143, v180
	v_add_f32_e32 v3, v3, v200
	s_waitcnt lgkmcnt(0)
	v_mul_f32_e32 v8, v7, v163
	s_waitcnt vmcnt(3)
	v_fma_f32 v4, v144, v181, -v4
	v_add_f32_e32 v2, v2, v5
	v_mul_f32_e32 v203, v6, v163
	v_fmac_f32_e32 v202, v145, v181
	v_add_f32_e32 v3, v3, v201
	s_waitcnt vmcnt(2)
	v_fma_f32 v5, v6, v182, -v8
	v_add_f32_e32 v2, v2, v4
	v_fmac_f32_e32 v203, v7, v182
	v_add_f32_e32 v3, v3, v202
	v_add_f32_e32 v2, v2, v5
	;; [unrolled: 1-line block ×3, first 2 shown]
	s_waitcnt vmcnt(1)
	v_sub_f32_e32 v2, v183, v2
	s_waitcnt vmcnt(0)
	v_sub_f32_e32 v3, v184, v3
	buffer_store_dword v2, off, s[0:3], 0 offset:256
	buffer_store_dword v3, off, s[0:3], 0 offset:260
	v_cmpx_lt_u32_e32 31, v0
	s_cbranch_execz .LBB51_263
; %bb.262:
	s_clause 0x1
	buffer_load_dword v2, off, s[0:3], 0 offset:248
	buffer_load_dword v3, off, s[0:3], 0 offset:252
	buffer_store_dword v1, off, s[0:3], 0 offset:248
	buffer_store_dword v1, off, s[0:3], 0 offset:252
	s_waitcnt vmcnt(0)
	ds_write_b64 v113, v[2:3]
.LBB51_263:
	s_or_b32 exec_lo, exec_lo, s4
	s_waitcnt lgkmcnt(0)
	s_waitcnt_vscnt null, 0x0
	s_barrier
	buffer_gl0_inv
	s_clause 0x29
	buffer_load_dword v6, off, s[0:3], 0 offset:260
	buffer_load_dword v7, off, s[0:3], 0 offset:268
	;; [unrolled: 1-line block ×42, first 2 shown]
	ds_read_b128 v[2:5], v1 offset:672
	ds_read_b128 v[114:117], v1 offset:688
	;; [unrolled: 1-line block ×10, first 2 shown]
	s_mov_b32 s4, exec_lo
	s_waitcnt vmcnt(41) lgkmcnt(9)
	v_mul_f32_e32 v1, v2, v6
	v_mul_f32_e32 v6, v3, v6
	s_waitcnt vmcnt(40)
	v_mul_f32_e32 v189, v4, v7
	v_mul_f32_e32 v7, v5, v7
	s_waitcnt vmcnt(39) lgkmcnt(8)
	v_mul_f32_e32 v190, v114, v8
	s_waitcnt vmcnt(38)
	v_mul_f32_e32 v191, v116, v150
	s_waitcnt vmcnt(37) lgkmcnt(7)
	v_mul_f32_e32 v192, v118, v151
	s_waitcnt vmcnt(36)
	;; [unrolled: 4-line block ×8, first 2 shown]
	v_mul_f32_e32 v205, v144, v164
	s_waitcnt vmcnt(21)
	v_fma_f32 v2, v2, v167, -v6
	v_fmac_f32_e32 v1, v3, v167
	v_mul_f32_e32 v3, v115, v8
	s_waitcnt vmcnt(20)
	v_fma_f32 v4, v4, v168, -v7
	v_fmac_f32_e32 v189, v5, v168
	v_add_f32_e32 v2, 0, v2
	v_add_f32_e32 v1, 0, v1
	v_mul_f32_e32 v5, v117, v150
	s_waitcnt vmcnt(19)
	v_fma_f32 v3, v114, v169, -v3
	v_fmac_f32_e32 v190, v115, v169
	v_add_f32_e32 v2, v2, v4
	v_add_f32_e32 v1, v1, v189
	;; [unrolled: 6-line block ×16, first 2 shown]
	s_waitcnt lgkmcnt(0)
	v_mul_f32_e32 v5, v147, v165
	s_waitcnt vmcnt(4)
	v_fma_f32 v3, v144, v184, -v3
	v_mul_f32_e32 v206, v146, v165
	v_add_f32_e32 v2, v2, v4
	v_fmac_f32_e32 v205, v145, v184
	v_add_f32_e32 v1, v1, v204
	v_mul_f32_e32 v4, v149, v166
	s_waitcnt vmcnt(3)
	v_fma_f32 v5, v146, v185, -v5
	v_add_f32_e32 v2, v2, v3
	v_mul_f32_e32 v207, v148, v166
	v_fmac_f32_e32 v206, v147, v185
	v_add_f32_e32 v1, v1, v205
	s_waitcnt vmcnt(2)
	v_fma_f32 v3, v148, v186, -v4
	v_add_f32_e32 v2, v2, v5
	v_fmac_f32_e32 v207, v149, v186
	v_add_f32_e32 v1, v1, v206
	v_add_f32_e32 v2, v2, v3
	;; [unrolled: 1-line block ×3, first 2 shown]
	s_waitcnt vmcnt(1)
	v_sub_f32_e32 v2, v187, v2
	s_waitcnt vmcnt(0)
	v_sub_f32_e32 v1, v188, v1
	buffer_store_dword v2, off, s[0:3], 0 offset:248
	buffer_store_dword v1, off, s[0:3], 0 offset:252
	v_cmpx_lt_u32_e32 30, v0
	s_cbranch_execz .LBB51_265
; %bb.264:
	s_clause 0x1
	buffer_load_dword v1, off, s[0:3], 0 offset:240
	buffer_load_dword v2, off, s[0:3], 0 offset:244
	v_mov_b32_e32 v3, 0
	buffer_store_dword v3, off, s[0:3], 0 offset:240
	buffer_store_dword v3, off, s[0:3], 0 offset:244
	s_waitcnt vmcnt(0)
	ds_write_b64 v113, v[1:2]
.LBB51_265:
	s_or_b32 exec_lo, exec_lo, s4
	s_waitcnt lgkmcnt(0)
	s_waitcnt_vscnt null, 0x0
	s_barrier
	buffer_gl0_inv
	s_clause 0x2b
	buffer_load_dword v8, off, s[0:3], 0 offset:252
	buffer_load_dword v150, off, s[0:3], 0 offset:260
	;; [unrolled: 1-line block ×44, first 2 shown]
	v_mov_b32_e32 v1, 0
	ds_read2_b64 v[2:5], v1 offset0:83 offset1:84
	ds_read2_b64 v[114:117], v1 offset0:85 offset1:86
	ds_read2_b64 v[118:121], v1 offset0:87 offset1:88
	ds_read2_b64 v[122:125], v1 offset0:89 offset1:90
	ds_read2_b64 v[126:129], v1 offset0:91 offset1:92
	ds_read2_b64 v[130:133], v1 offset0:93 offset1:94
	ds_read2_b64 v[134:137], v1 offset0:95 offset1:96
	ds_read2_b64 v[138:141], v1 offset0:97 offset1:98
	ds_read2_b64 v[142:145], v1 offset0:99 offset1:100
	ds_read2_b64 v[146:149], v1 offset0:101 offset1:102
	ds_read_b64 v[6:7], v1 offset:824
	s_mov_b32 s4, exec_lo
	s_waitcnt vmcnt(43) lgkmcnt(10)
	v_mul_f32_e32 v193, v2, v8
	v_mul_f32_e32 v8, v3, v8
	s_waitcnt vmcnt(42)
	v_mul_f32_e32 v194, v4, v150
	v_mul_f32_e32 v150, v5, v150
	s_waitcnt vmcnt(41) lgkmcnt(9)
	v_mul_f32_e32 v195, v114, v151
	s_waitcnt vmcnt(40)
	v_mul_f32_e32 v196, v116, v152
	s_waitcnt vmcnt(39) lgkmcnt(8)
	v_mul_f32_e32 v197, v118, v153
	s_waitcnt vmcnt(38)
	;; [unrolled: 4-line block ×9, first 2 shown]
	v_fma_f32 v2, v2, v170, -v8
	v_fmac_f32_e32 v193, v3, v170
	v_mul_f32_e32 v3, v115, v151
	s_waitcnt vmcnt(21)
	v_fma_f32 v4, v4, v171, -v150
	v_fmac_f32_e32 v194, v5, v171
	v_add_f32_e32 v2, 0, v2
	v_add_f32_e32 v5, 0, v193
	v_mul_f32_e32 v8, v117, v152
	s_waitcnt vmcnt(20)
	v_fma_f32 v3, v114, v172, -v3
	v_fmac_f32_e32 v195, v115, v172
	v_add_f32_e32 v2, v2, v4
	v_add_f32_e32 v4, v5, v194
	;; [unrolled: 6-line block ×17, first 2 shown]
	v_mul_f32_e32 v5, v149, v168
	s_waitcnt vmcnt(4)
	v_fma_f32 v8, v146, v188, -v8
	v_mul_f32_e32 v212, v148, v168
	v_add_f32_e32 v2, v2, v4
	v_fmac_f32_e32 v211, v147, v188
	v_add_f32_e32 v3, v3, v210
	s_waitcnt lgkmcnt(0)
	v_mul_f32_e32 v4, v7, v169
	s_waitcnt vmcnt(3)
	v_fma_f32 v5, v148, v189, -v5
	v_add_f32_e32 v2, v2, v8
	v_mul_f32_e32 v213, v6, v169
	v_fmac_f32_e32 v212, v149, v189
	v_add_f32_e32 v3, v3, v211
	s_waitcnt vmcnt(2)
	v_fma_f32 v4, v6, v190, -v4
	v_add_f32_e32 v2, v2, v5
	v_fmac_f32_e32 v213, v7, v190
	v_add_f32_e32 v3, v3, v212
	v_add_f32_e32 v2, v2, v4
	;; [unrolled: 1-line block ×3, first 2 shown]
	s_waitcnt vmcnt(1)
	v_sub_f32_e32 v2, v191, v2
	s_waitcnt vmcnt(0)
	v_sub_f32_e32 v3, v192, v3
	buffer_store_dword v2, off, s[0:3], 0 offset:240
	buffer_store_dword v3, off, s[0:3], 0 offset:244
	v_cmpx_lt_u32_e32 29, v0
	s_cbranch_execz .LBB51_267
; %bb.266:
	s_clause 0x1
	buffer_load_dword v2, off, s[0:3], 0 offset:232
	buffer_load_dword v3, off, s[0:3], 0 offset:236
	buffer_store_dword v1, off, s[0:3], 0 offset:232
	buffer_store_dword v1, off, s[0:3], 0 offset:236
	s_waitcnt vmcnt(0)
	ds_write_b64 v113, v[2:3]
.LBB51_267:
	s_or_b32 exec_lo, exec_lo, s4
	s_waitcnt lgkmcnt(0)
	s_waitcnt_vscnt null, 0x0
	s_barrier
	buffer_gl0_inv
	s_clause 0x2d
	buffer_load_dword v6, off, s[0:3], 0 offset:244
	buffer_load_dword v7, off, s[0:3], 0 offset:252
	;; [unrolled: 1-line block ×46, first 2 shown]
	ds_read_b128 v[2:5], v1 offset:656
	ds_read_b128 v[114:117], v1 offset:672
	;; [unrolled: 1-line block ×11, first 2 shown]
	s_mov_b32 s4, exec_lo
	s_waitcnt vmcnt(45) lgkmcnt(10)
	v_mul_f32_e32 v1, v2, v6
	v_mul_f32_e32 v6, v3, v6
	s_waitcnt vmcnt(44)
	v_mul_f32_e32 v197, v4, v7
	v_mul_f32_e32 v7, v5, v7
	s_waitcnt vmcnt(43) lgkmcnt(9)
	v_mul_f32_e32 v198, v114, v8
	s_waitcnt vmcnt(42)
	v_mul_f32_e32 v199, v116, v154
	s_waitcnt vmcnt(41) lgkmcnt(8)
	v_mul_f32_e32 v200, v118, v155
	s_waitcnt vmcnt(40)
	;; [unrolled: 4-line block ×9, first 2 shown]
	v_mul_f32_e32 v215, v148, v170
	s_waitcnt vmcnt(23)
	v_fma_f32 v2, v2, v173, -v6
	v_fmac_f32_e32 v1, v3, v173
	v_mul_f32_e32 v3, v115, v8
	s_waitcnt vmcnt(22)
	v_fma_f32 v4, v4, v174, -v7
	v_fmac_f32_e32 v197, v5, v174
	v_add_f32_e32 v2, 0, v2
	v_add_f32_e32 v1, 0, v1
	v_mul_f32_e32 v5, v117, v154
	s_waitcnt vmcnt(21)
	v_fma_f32 v3, v114, v175, -v3
	v_fmac_f32_e32 v198, v115, v175
	v_add_f32_e32 v2, v2, v4
	v_add_f32_e32 v1, v1, v197
	;; [unrolled: 6-line block ×18, first 2 shown]
	s_waitcnt lgkmcnt(0)
	v_mul_f32_e32 v3, v151, v171
	s_waitcnt vmcnt(4)
	v_fma_f32 v4, v148, v192, -v4
	v_mul_f32_e32 v216, v150, v171
	v_add_f32_e32 v2, v2, v5
	v_fmac_f32_e32 v215, v149, v192
	v_add_f32_e32 v1, v1, v214
	v_mul_f32_e32 v5, v153, v172
	s_waitcnt vmcnt(3)
	v_fma_f32 v3, v150, v193, -v3
	v_add_f32_e32 v2, v2, v4
	v_mul_f32_e32 v217, v152, v172
	v_fmac_f32_e32 v216, v151, v193
	v_add_f32_e32 v1, v1, v215
	s_waitcnt vmcnt(2)
	v_fma_f32 v4, v152, v194, -v5
	v_add_f32_e32 v2, v2, v3
	v_fmac_f32_e32 v217, v153, v194
	v_add_f32_e32 v1, v1, v216
	v_add_f32_e32 v2, v2, v4
	v_add_f32_e32 v1, v1, v217
	s_waitcnt vmcnt(1)
	v_sub_f32_e32 v2, v195, v2
	s_waitcnt vmcnt(0)
	v_sub_f32_e32 v1, v196, v1
	buffer_store_dword v2, off, s[0:3], 0 offset:232
	buffer_store_dword v1, off, s[0:3], 0 offset:236
	v_cmpx_lt_u32_e32 28, v0
	s_cbranch_execz .LBB51_269
; %bb.268:
	s_clause 0x1
	buffer_load_dword v1, off, s[0:3], 0 offset:224
	buffer_load_dword v2, off, s[0:3], 0 offset:228
	v_mov_b32_e32 v3, 0
	buffer_store_dword v3, off, s[0:3], 0 offset:224
	buffer_store_dword v3, off, s[0:3], 0 offset:228
	s_waitcnt vmcnt(0)
	ds_write_b64 v113, v[1:2]
.LBB51_269:
	s_or_b32 exec_lo, exec_lo, s4
	s_waitcnt lgkmcnt(0)
	s_waitcnt_vscnt null, 0x0
	s_barrier
	buffer_gl0_inv
	s_clause 0x2f
	buffer_load_dword v8, off, s[0:3], 0 offset:236
	buffer_load_dword v154, off, s[0:3], 0 offset:244
	buffer_load_dword v155, off, s[0:3], 0 offset:252
	buffer_load_dword v156, off, s[0:3], 0 offset:260
	buffer_load_dword v157, off, s[0:3], 0 offset:268
	buffer_load_dword v158, off, s[0:3], 0 offset:276
	buffer_load_dword v159, off, s[0:3], 0 offset:284
	buffer_load_dword v160, off, s[0:3], 0 offset:292
	buffer_load_dword v161, off, s[0:3], 0 offset:300
	buffer_load_dword v162, off, s[0:3], 0 offset:308
	buffer_load_dword v163, off, s[0:3], 0 offset:316
	buffer_load_dword v164, off, s[0:3], 0 offset:324
	buffer_load_dword v165, off, s[0:3], 0 offset:332
	buffer_load_dword v166, off, s[0:3], 0 offset:340
	buffer_load_dword v167, off, s[0:3], 0 offset:348
	buffer_load_dword v168, off, s[0:3], 0 offset:356
	buffer_load_dword v169, off, s[0:3], 0 offset:364
	buffer_load_dword v170, off, s[0:3], 0 offset:372
	buffer_load_dword v171, off, s[0:3], 0 offset:380
	buffer_load_dword v172, off, s[0:3], 0 offset:388
	buffer_load_dword v173, off, s[0:3], 0 offset:396
	buffer_load_dword v174, off, s[0:3], 0 offset:404
	buffer_load_dword v175, off, s[0:3], 0 offset:412
	buffer_load_dword v176, off, s[0:3], 0 offset:232
	buffer_load_dword v177, off, s[0:3], 0 offset:240
	buffer_load_dword v178, off, s[0:3], 0 offset:248
	buffer_load_dword v179, off, s[0:3], 0 offset:256
	buffer_load_dword v180, off, s[0:3], 0 offset:264
	buffer_load_dword v181, off, s[0:3], 0 offset:272
	buffer_load_dword v182, off, s[0:3], 0 offset:280
	buffer_load_dword v183, off, s[0:3], 0 offset:288
	buffer_load_dword v184, off, s[0:3], 0 offset:296
	buffer_load_dword v185, off, s[0:3], 0 offset:304
	buffer_load_dword v186, off, s[0:3], 0 offset:312
	buffer_load_dword v187, off, s[0:3], 0 offset:320
	buffer_load_dword v188, off, s[0:3], 0 offset:328
	buffer_load_dword v189, off, s[0:3], 0 offset:336
	buffer_load_dword v190, off, s[0:3], 0 offset:344
	buffer_load_dword v191, off, s[0:3], 0 offset:352
	buffer_load_dword v192, off, s[0:3], 0 offset:360
	buffer_load_dword v193, off, s[0:3], 0 offset:368
	buffer_load_dword v194, off, s[0:3], 0 offset:376
	buffer_load_dword v195, off, s[0:3], 0 offset:384
	buffer_load_dword v196, off, s[0:3], 0 offset:392
	buffer_load_dword v197, off, s[0:3], 0 offset:400
	buffer_load_dword v198, off, s[0:3], 0 offset:408
	buffer_load_dword v199, off, s[0:3], 0 offset:224
	buffer_load_dword v200, off, s[0:3], 0 offset:228
	v_mov_b32_e32 v1, 0
	ds_read2_b64 v[2:5], v1 offset0:81 offset1:82
	ds_read2_b64 v[114:117], v1 offset0:83 offset1:84
	;; [unrolled: 1-line block ×11, first 2 shown]
	ds_read_b64 v[6:7], v1 offset:824
	s_mov_b32 s4, exec_lo
	s_waitcnt vmcnt(47) lgkmcnt(11)
	v_mul_f32_e32 v201, v2, v8
	v_mul_f32_e32 v8, v3, v8
	s_waitcnt vmcnt(46)
	v_mul_f32_e32 v202, v4, v154
	v_mul_f32_e32 v154, v5, v154
	s_waitcnt vmcnt(45) lgkmcnt(10)
	v_mul_f32_e32 v203, v114, v155
	s_waitcnt vmcnt(44)
	v_mul_f32_e32 v204, v116, v156
	s_waitcnt vmcnt(43) lgkmcnt(9)
	v_mul_f32_e32 v205, v118, v157
	s_waitcnt vmcnt(42)
	;; [unrolled: 4-line block ×10, first 2 shown]
	v_fma_f32 v2, v2, v176, -v8
	v_fmac_f32_e32 v201, v3, v176
	v_mul_f32_e32 v3, v115, v155
	s_waitcnt vmcnt(23)
	v_fma_f32 v4, v4, v177, -v154
	v_fmac_f32_e32 v202, v5, v177
	v_add_f32_e32 v2, 0, v2
	v_add_f32_e32 v5, 0, v201
	v_mul_f32_e32 v8, v117, v156
	s_waitcnt vmcnt(22)
	v_fma_f32 v3, v114, v178, -v3
	v_fmac_f32_e32 v203, v115, v178
	v_add_f32_e32 v2, v2, v4
	v_add_f32_e32 v4, v5, v202
	;; [unrolled: 6-line block ×19, first 2 shown]
	v_mul_f32_e32 v8, v153, v174
	s_waitcnt vmcnt(4)
	v_fma_f32 v4, v150, v196, -v4
	v_mul_f32_e32 v222, v152, v174
	v_add_f32_e32 v2, v2, v5
	v_fmac_f32_e32 v221, v151, v196
	v_add_f32_e32 v3, v3, v220
	s_waitcnt lgkmcnt(0)
	v_mul_f32_e32 v5, v7, v175
	s_waitcnt vmcnt(3)
	v_fma_f32 v8, v152, v197, -v8
	v_add_f32_e32 v2, v2, v4
	v_mul_f32_e32 v223, v6, v175
	v_fmac_f32_e32 v222, v153, v197
	v_add_f32_e32 v3, v3, v221
	s_waitcnt vmcnt(2)
	v_fma_f32 v4, v6, v198, -v5
	v_add_f32_e32 v2, v2, v8
	v_fmac_f32_e32 v223, v7, v198
	v_add_f32_e32 v3, v3, v222
	v_add_f32_e32 v2, v2, v4
	v_add_f32_e32 v3, v3, v223
	s_waitcnt vmcnt(1)
	v_sub_f32_e32 v2, v199, v2
	s_waitcnt vmcnt(0)
	v_sub_f32_e32 v3, v200, v3
	buffer_store_dword v2, off, s[0:3], 0 offset:224
	buffer_store_dword v3, off, s[0:3], 0 offset:228
	v_cmpx_lt_u32_e32 27, v0
	s_cbranch_execz .LBB51_271
; %bb.270:
	s_clause 0x1
	buffer_load_dword v2, off, s[0:3], 0 offset:216
	buffer_load_dword v3, off, s[0:3], 0 offset:220
	buffer_store_dword v1, off, s[0:3], 0 offset:216
	buffer_store_dword v1, off, s[0:3], 0 offset:220
	s_waitcnt vmcnt(0)
	ds_write_b64 v113, v[2:3]
.LBB51_271:
	s_or_b32 exec_lo, exec_lo, s4
	s_waitcnt lgkmcnt(0)
	s_waitcnt_vscnt null, 0x0
	s_barrier
	buffer_gl0_inv
	s_clause 0x31
	buffer_load_dword v6, off, s[0:3], 0 offset:228
	buffer_load_dword v7, off, s[0:3], 0 offset:236
	;; [unrolled: 1-line block ×50, first 2 shown]
	ds_read_b128 v[2:5], v1 offset:640
	ds_read_b128 v[114:117], v1 offset:656
	;; [unrolled: 1-line block ×12, first 2 shown]
	s_mov_b32 s4, exec_lo
	s_waitcnt vmcnt(49) lgkmcnt(11)
	v_mul_f32_e32 v1, v2, v6
	v_mul_f32_e32 v6, v3, v6
	s_waitcnt vmcnt(48)
	v_mul_f32_e32 v205, v4, v7
	v_mul_f32_e32 v7, v5, v7
	s_waitcnt vmcnt(47) lgkmcnt(10)
	v_mul_f32_e32 v206, v114, v8
	s_waitcnt vmcnt(46)
	v_mul_f32_e32 v207, v116, v158
	s_waitcnt vmcnt(45) lgkmcnt(9)
	v_mul_f32_e32 v208, v118, v159
	s_waitcnt vmcnt(44)
	;; [unrolled: 4-line block ×10, first 2 shown]
	v_mul_f32_e32 v225, v152, v176
	s_waitcnt vmcnt(25)
	v_fma_f32 v2, v2, v179, -v6
	v_fmac_f32_e32 v1, v3, v179
	v_mul_f32_e32 v3, v115, v8
	s_waitcnt vmcnt(24)
	v_fma_f32 v4, v4, v180, -v7
	v_fmac_f32_e32 v205, v5, v180
	v_add_f32_e32 v2, 0, v2
	v_add_f32_e32 v1, 0, v1
	v_mul_f32_e32 v5, v117, v158
	s_waitcnt vmcnt(23)
	v_fma_f32 v3, v114, v181, -v3
	v_fmac_f32_e32 v206, v115, v181
	v_add_f32_e32 v2, v2, v4
	v_add_f32_e32 v1, v1, v205
	;; [unrolled: 6-line block ×20, first 2 shown]
	s_waitcnt lgkmcnt(0)
	v_mul_f32_e32 v4, v155, v177
	s_waitcnt vmcnt(4)
	v_fma_f32 v5, v152, v200, -v5
	v_mul_f32_e32 v226, v154, v177
	v_add_f32_e32 v2, v2, v3
	v_fmac_f32_e32 v225, v153, v200
	v_add_f32_e32 v1, v1, v224
	v_mul_f32_e32 v3, v157, v178
	s_waitcnt vmcnt(3)
	v_fma_f32 v4, v154, v201, -v4
	v_add_f32_e32 v2, v2, v5
	v_mul_f32_e32 v227, v156, v178
	v_fmac_f32_e32 v226, v155, v201
	v_add_f32_e32 v1, v1, v225
	s_waitcnt vmcnt(2)
	v_fma_f32 v3, v156, v202, -v3
	v_add_f32_e32 v2, v2, v4
	v_fmac_f32_e32 v227, v157, v202
	v_add_f32_e32 v1, v1, v226
	v_add_f32_e32 v2, v2, v3
	;; [unrolled: 1-line block ×3, first 2 shown]
	s_waitcnt vmcnt(1)
	v_sub_f32_e32 v2, v203, v2
	s_waitcnt vmcnt(0)
	v_sub_f32_e32 v1, v204, v1
	buffer_store_dword v2, off, s[0:3], 0 offset:216
	buffer_store_dword v1, off, s[0:3], 0 offset:220
	v_cmpx_lt_u32_e32 26, v0
	s_cbranch_execz .LBB51_273
; %bb.272:
	s_clause 0x1
	buffer_load_dword v1, off, s[0:3], 0 offset:208
	buffer_load_dword v2, off, s[0:3], 0 offset:212
	v_mov_b32_e32 v3, 0
	buffer_store_dword v3, off, s[0:3], 0 offset:208
	buffer_store_dword v3, off, s[0:3], 0 offset:212
	s_waitcnt vmcnt(0)
	ds_write_b64 v113, v[1:2]
.LBB51_273:
	s_or_b32 exec_lo, exec_lo, s4
	s_waitcnt lgkmcnt(0)
	s_waitcnt_vscnt null, 0x0
	s_barrier
	buffer_gl0_inv
	s_clause 0x33
	buffer_load_dword v8, off, s[0:3], 0 offset:220
	buffer_load_dword v158, off, s[0:3], 0 offset:228
	;; [unrolled: 1-line block ×52, first 2 shown]
	v_mov_b32_e32 v1, 0
	ds_read2_b64 v[2:5], v1 offset0:79 offset1:80
	ds_read2_b64 v[114:117], v1 offset0:81 offset1:82
	;; [unrolled: 1-line block ×12, first 2 shown]
	ds_read_b64 v[6:7], v1 offset:824
	s_mov_b32 s4, exec_lo
	s_waitcnt vmcnt(51) lgkmcnt(12)
	v_mul_f32_e32 v209, v2, v8
	v_mul_f32_e32 v8, v3, v8
	s_waitcnt vmcnt(50)
	v_mul_f32_e32 v210, v4, v158
	v_mul_f32_e32 v158, v5, v158
	s_waitcnt vmcnt(49) lgkmcnt(11)
	v_mul_f32_e32 v211, v114, v159
	s_waitcnt vmcnt(48)
	v_mul_f32_e32 v212, v116, v160
	s_waitcnt vmcnt(47) lgkmcnt(10)
	v_mul_f32_e32 v213, v118, v161
	s_waitcnt vmcnt(46)
	;; [unrolled: 4-line block ×11, first 2 shown]
	v_fma_f32 v2, v2, v182, -v8
	v_fmac_f32_e32 v209, v3, v182
	v_mul_f32_e32 v3, v115, v159
	s_waitcnt vmcnt(25)
	v_fma_f32 v4, v4, v183, -v158
	v_fmac_f32_e32 v210, v5, v183
	v_add_f32_e32 v2, 0, v2
	v_add_f32_e32 v5, 0, v209
	v_mul_f32_e32 v8, v117, v160
	s_waitcnt vmcnt(24)
	v_fma_f32 v3, v114, v184, -v3
	v_fmac_f32_e32 v211, v115, v184
	v_add_f32_e32 v2, v2, v4
	v_add_f32_e32 v4, v5, v210
	;; [unrolled: 6-line block ×21, first 2 shown]
	v_mul_f32_e32 v4, v157, v180
	s_waitcnt vmcnt(4)
	v_fma_f32 v5, v154, v204, -v5
	v_mul_f32_e32 v232, v156, v180
	v_add_f32_e32 v2, v2, v8
	v_fmac_f32_e32 v231, v155, v204
	v_add_f32_e32 v3, v3, v230
	s_waitcnt lgkmcnt(0)
	v_mul_f32_e32 v8, v7, v181
	s_waitcnt vmcnt(3)
	v_fma_f32 v4, v156, v205, -v4
	v_add_f32_e32 v2, v2, v5
	v_mul_f32_e32 v233, v6, v181
	v_fmac_f32_e32 v232, v157, v205
	v_add_f32_e32 v3, v3, v231
	s_waitcnt vmcnt(2)
	v_fma_f32 v5, v6, v206, -v8
	v_add_f32_e32 v2, v2, v4
	v_fmac_f32_e32 v233, v7, v206
	v_add_f32_e32 v3, v3, v232
	v_add_f32_e32 v2, v2, v5
	;; [unrolled: 1-line block ×3, first 2 shown]
	s_waitcnt vmcnt(1)
	v_sub_f32_e32 v2, v207, v2
	s_waitcnt vmcnt(0)
	v_sub_f32_e32 v3, v208, v3
	buffer_store_dword v2, off, s[0:3], 0 offset:208
	buffer_store_dword v3, off, s[0:3], 0 offset:212
	v_cmpx_lt_u32_e32 25, v0
	s_cbranch_execz .LBB51_275
; %bb.274:
	s_clause 0x1
	buffer_load_dword v2, off, s[0:3], 0 offset:200
	buffer_load_dword v3, off, s[0:3], 0 offset:204
	buffer_store_dword v1, off, s[0:3], 0 offset:200
	buffer_store_dword v1, off, s[0:3], 0 offset:204
	s_waitcnt vmcnt(0)
	ds_write_b64 v113, v[2:3]
.LBB51_275:
	s_or_b32 exec_lo, exec_lo, s4
	s_waitcnt lgkmcnt(0)
	s_waitcnt_vscnt null, 0x0
	s_barrier
	buffer_gl0_inv
	s_clause 0x35
	buffer_load_dword v6, off, s[0:3], 0 offset:212
	buffer_load_dword v7, off, s[0:3], 0 offset:220
	;; [unrolled: 1-line block ×54, first 2 shown]
	ds_read_b128 v[2:5], v1 offset:624
	ds_read_b128 v[114:117], v1 offset:640
	;; [unrolled: 1-line block ×13, first 2 shown]
	s_mov_b32 s4, exec_lo
	s_waitcnt vmcnt(53) lgkmcnt(12)
	v_mul_f32_e32 v1, v2, v6
	v_mul_f32_e32 v6, v3, v6
	s_waitcnt vmcnt(52)
	v_mul_f32_e32 v213, v4, v7
	v_mul_f32_e32 v7, v5, v7
	s_waitcnt vmcnt(51) lgkmcnt(11)
	v_mul_f32_e32 v214, v114, v8
	s_waitcnt vmcnt(50)
	v_mul_f32_e32 v215, v116, v162
	s_waitcnt vmcnt(49) lgkmcnt(10)
	v_mul_f32_e32 v216, v118, v163
	s_waitcnt vmcnt(48)
	;; [unrolled: 4-line block ×11, first 2 shown]
	v_mul_f32_e32 v235, v156, v182
	s_waitcnt vmcnt(27)
	v_fma_f32 v2, v2, v185, -v6
	v_fmac_f32_e32 v1, v3, v185
	v_mul_f32_e32 v3, v115, v8
	s_waitcnt vmcnt(26)
	v_fma_f32 v4, v4, v186, -v7
	v_fmac_f32_e32 v213, v5, v186
	v_add_f32_e32 v2, 0, v2
	v_add_f32_e32 v1, 0, v1
	v_mul_f32_e32 v5, v117, v162
	s_waitcnt vmcnt(25)
	v_fma_f32 v3, v114, v187, -v3
	v_fmac_f32_e32 v214, v115, v187
	v_add_f32_e32 v2, v2, v4
	v_add_f32_e32 v1, v1, v213
	;; [unrolled: 6-line block ×22, first 2 shown]
	s_waitcnt lgkmcnt(0)
	v_mul_f32_e32 v5, v159, v183
	s_waitcnt vmcnt(4)
	v_fma_f32 v3, v156, v208, -v3
	v_mul_f32_e32 v236, v158, v183
	v_add_f32_e32 v2, v2, v4
	v_fmac_f32_e32 v235, v157, v208
	v_add_f32_e32 v1, v1, v234
	v_mul_f32_e32 v4, v161, v184
	s_waitcnt vmcnt(3)
	v_fma_f32 v5, v158, v209, -v5
	v_add_f32_e32 v2, v2, v3
	v_mul_f32_e32 v237, v160, v184
	v_fmac_f32_e32 v236, v159, v209
	v_add_f32_e32 v1, v1, v235
	s_waitcnt vmcnt(2)
	v_fma_f32 v3, v160, v210, -v4
	v_add_f32_e32 v2, v2, v5
	v_fmac_f32_e32 v237, v161, v210
	v_add_f32_e32 v1, v1, v236
	v_add_f32_e32 v2, v2, v3
	;; [unrolled: 1-line block ×3, first 2 shown]
	s_waitcnt vmcnt(1)
	v_sub_f32_e32 v2, v211, v2
	s_waitcnt vmcnt(0)
	v_sub_f32_e32 v1, v212, v1
	buffer_store_dword v2, off, s[0:3], 0 offset:200
	buffer_store_dword v1, off, s[0:3], 0 offset:204
	v_cmpx_lt_u32_e32 24, v0
	s_cbranch_execz .LBB51_277
; %bb.276:
	s_clause 0x1
	buffer_load_dword v1, off, s[0:3], 0 offset:192
	buffer_load_dword v2, off, s[0:3], 0 offset:196
	v_mov_b32_e32 v3, 0
	buffer_store_dword v3, off, s[0:3], 0 offset:192
	buffer_store_dword v3, off, s[0:3], 0 offset:196
	s_waitcnt vmcnt(0)
	ds_write_b64 v113, v[1:2]
.LBB51_277:
	s_or_b32 exec_lo, exec_lo, s4
	s_waitcnt lgkmcnt(0)
	s_waitcnt_vscnt null, 0x0
	s_barrier
	buffer_gl0_inv
	s_clause 0x37
	buffer_load_dword v8, off, s[0:3], 0 offset:204
	buffer_load_dword v162, off, s[0:3], 0 offset:212
	;; [unrolled: 1-line block ×56, first 2 shown]
	v_mov_b32_e32 v1, 0
	ds_read2_b64 v[2:5], v1 offset0:77 offset1:78
	ds_read2_b64 v[114:117], v1 offset0:79 offset1:80
	ds_read2_b64 v[118:121], v1 offset0:81 offset1:82
	ds_read2_b64 v[122:125], v1 offset0:83 offset1:84
	ds_read2_b64 v[126:129], v1 offset0:85 offset1:86
	ds_read2_b64 v[130:133], v1 offset0:87 offset1:88
	ds_read2_b64 v[134:137], v1 offset0:89 offset1:90
	ds_read2_b64 v[138:141], v1 offset0:91 offset1:92
	ds_read2_b64 v[142:145], v1 offset0:93 offset1:94
	ds_read2_b64 v[146:149], v1 offset0:95 offset1:96
	ds_read2_b64 v[150:153], v1 offset0:97 offset1:98
	ds_read2_b64 v[154:157], v1 offset0:99 offset1:100
	ds_read2_b64 v[158:161], v1 offset0:101 offset1:102
	ds_read_b64 v[6:7], v1 offset:824
	s_mov_b32 s4, exec_lo
	s_waitcnt vmcnt(55) lgkmcnt(13)
	v_mul_f32_e32 v217, v2, v8
	v_mul_f32_e32 v8, v3, v8
	s_waitcnt vmcnt(54)
	v_mul_f32_e32 v218, v4, v162
	v_mul_f32_e32 v162, v5, v162
	s_waitcnt vmcnt(53) lgkmcnt(12)
	v_mul_f32_e32 v219, v114, v163
	s_waitcnt vmcnt(52)
	v_mul_f32_e32 v220, v116, v164
	s_waitcnt vmcnt(51) lgkmcnt(11)
	v_mul_f32_e32 v221, v118, v165
	s_waitcnt vmcnt(50)
	;; [unrolled: 4-line block ×12, first 2 shown]
	v_fma_f32 v2, v2, v188, -v8
	v_fmac_f32_e32 v217, v3, v188
	v_mul_f32_e32 v3, v115, v163
	s_waitcnt vmcnt(27)
	v_fma_f32 v4, v4, v189, -v162
	v_fmac_f32_e32 v218, v5, v189
	v_add_f32_e32 v2, 0, v2
	v_add_f32_e32 v5, 0, v217
	v_mul_f32_e32 v8, v117, v164
	s_waitcnt vmcnt(26)
	v_fma_f32 v3, v114, v190, -v3
	v_fmac_f32_e32 v219, v115, v190
	v_add_f32_e32 v2, v2, v4
	v_add_f32_e32 v4, v5, v218
	v_mul_f32_e32 v5, v119, v165
	s_waitcnt vmcnt(25)
	v_fma_f32 v8, v116, v191, -v8
	v_fmac_f32_e32 v220, v117, v191
	v_add_f32_e32 v2, v2, v3
	v_add_f32_e32 v3, v4, v219
	v_mul_f32_e32 v4, v121, v166
	s_waitcnt vmcnt(24)
	v_fma_f32 v5, v118, v192, -v5
	v_fmac_f32_e32 v221, v119, v192
	v_add_f32_e32 v2, v2, v8
	v_add_f32_e32 v3, v3, v220
	v_mul_f32_e32 v8, v123, v167
	s_waitcnt vmcnt(23)
	v_fma_f32 v4, v120, v193, -v4
	v_fmac_f32_e32 v222, v121, v193
	v_add_f32_e32 v2, v2, v5
	v_add_f32_e32 v3, v3, v221
	v_mul_f32_e32 v5, v125, v168
	s_waitcnt vmcnt(22)
	v_fma_f32 v8, v122, v194, -v8
	v_fmac_f32_e32 v223, v123, v194
	v_add_f32_e32 v2, v2, v4
	v_add_f32_e32 v3, v3, v222
	v_mul_f32_e32 v4, v127, v169
	s_waitcnt vmcnt(21)
	v_fma_f32 v5, v124, v195, -v5
	v_fmac_f32_e32 v224, v125, v195
	v_add_f32_e32 v2, v2, v8
	v_add_f32_e32 v3, v3, v223
	v_mul_f32_e32 v8, v129, v170
	s_waitcnt vmcnt(20)
	v_fma_f32 v4, v126, v196, -v4
	v_fmac_f32_e32 v225, v127, v196
	v_add_f32_e32 v2, v2, v5
	v_add_f32_e32 v3, v3, v224
	v_mul_f32_e32 v5, v131, v171
	s_waitcnt vmcnt(19)
	v_fma_f32 v8, v128, v197, -v8
	v_fmac_f32_e32 v226, v129, v197
	v_add_f32_e32 v2, v2, v4
	v_add_f32_e32 v3, v3, v225
	v_mul_f32_e32 v4, v133, v172
	s_waitcnt vmcnt(18)
	v_fma_f32 v5, v130, v198, -v5
	v_fmac_f32_e32 v227, v131, v198
	v_add_f32_e32 v2, v2, v8
	v_add_f32_e32 v3, v3, v226
	v_mul_f32_e32 v8, v135, v173
	s_waitcnt vmcnt(17)
	v_fma_f32 v4, v132, v199, -v4
	v_fmac_f32_e32 v228, v133, v199
	v_add_f32_e32 v2, v2, v5
	v_add_f32_e32 v3, v3, v227
	v_mul_f32_e32 v5, v137, v174
	s_waitcnt vmcnt(16)
	v_fma_f32 v8, v134, v200, -v8
	v_fmac_f32_e32 v229, v135, v200
	v_add_f32_e32 v2, v2, v4
	v_add_f32_e32 v3, v3, v228
	v_mul_f32_e32 v4, v139, v175
	s_waitcnt vmcnt(15)
	v_fma_f32 v5, v136, v201, -v5
	v_fmac_f32_e32 v230, v137, v201
	v_add_f32_e32 v2, v2, v8
	v_add_f32_e32 v3, v3, v229
	v_mul_f32_e32 v8, v141, v176
	s_waitcnt vmcnt(14)
	v_fma_f32 v4, v138, v202, -v4
	v_fmac_f32_e32 v231, v139, v202
	v_add_f32_e32 v2, v2, v5
	v_add_f32_e32 v3, v3, v230
	v_mul_f32_e32 v5, v143, v177
	s_waitcnt vmcnt(13)
	v_fma_f32 v8, v140, v203, -v8
	v_fmac_f32_e32 v232, v141, v203
	v_add_f32_e32 v2, v2, v4
	v_add_f32_e32 v3, v3, v231
	v_mul_f32_e32 v4, v145, v178
	s_waitcnt vmcnt(12)
	v_fma_f32 v5, v142, v204, -v5
	v_fmac_f32_e32 v233, v143, v204
	v_add_f32_e32 v2, v2, v8
	v_add_f32_e32 v3, v3, v232
	v_mul_f32_e32 v8, v147, v179
	s_waitcnt vmcnt(11)
	v_fma_f32 v4, v144, v205, -v4
	v_fmac_f32_e32 v234, v145, v205
	v_add_f32_e32 v2, v2, v5
	v_add_f32_e32 v3, v3, v233
	v_mul_f32_e32 v5, v149, v180
	s_waitcnt vmcnt(10)
	v_fma_f32 v8, v146, v206, -v8
	v_fmac_f32_e32 v235, v147, v206
	v_add_f32_e32 v2, v2, v4
	v_add_f32_e32 v3, v3, v234
	v_mul_f32_e32 v4, v151, v181
	s_waitcnt vmcnt(9)
	v_fma_f32 v5, v148, v207, -v5
	v_fmac_f32_e32 v236, v149, v207
	v_add_f32_e32 v2, v2, v8
	v_add_f32_e32 v3, v3, v235
	v_mul_f32_e32 v8, v153, v182
	s_waitcnt vmcnt(8)
	v_fma_f32 v4, v150, v208, -v4
	v_fmac_f32_e32 v237, v151, v208
	v_add_f32_e32 v2, v2, v5
	v_add_f32_e32 v3, v3, v236
	v_mul_f32_e32 v5, v155, v183
	s_waitcnt vmcnt(7)
	v_fma_f32 v8, v152, v209, -v8
	v_fmac_f32_e32 v238, v153, v209
	v_add_f32_e32 v2, v2, v4
	v_add_f32_e32 v3, v3, v237
	v_mul_f32_e32 v4, v157, v184
	s_waitcnt vmcnt(6)
	v_fma_f32 v5, v154, v210, -v5
	v_fmac_f32_e32 v239, v155, v210
	v_add_f32_e32 v2, v2, v8
	v_add_f32_e32 v3, v3, v238
	v_mul_f32_e32 v8, v159, v185
	s_waitcnt vmcnt(5)
	v_fma_f32 v4, v156, v211, -v4
	v_fmac_f32_e32 v240, v157, v211
	v_add_f32_e32 v2, v2, v5
	v_add_f32_e32 v3, v3, v239
	v_mul_f32_e32 v5, v161, v186
	s_waitcnt vmcnt(4)
	v_fma_f32 v8, v158, v212, -v8
	v_mul_f32_e32 v242, v160, v186
	v_add_f32_e32 v2, v2, v4
	v_fmac_f32_e32 v241, v159, v212
	v_add_f32_e32 v3, v3, v240
	s_waitcnt lgkmcnt(0)
	v_mul_f32_e32 v4, v7, v187
	s_waitcnt vmcnt(3)
	v_fma_f32 v5, v160, v213, -v5
	v_add_f32_e32 v2, v2, v8
	v_mul_f32_e32 v243, v6, v187
	v_fmac_f32_e32 v242, v161, v213
	v_add_f32_e32 v3, v3, v241
	s_waitcnt vmcnt(2)
	v_fma_f32 v4, v6, v214, -v4
	v_add_f32_e32 v2, v2, v5
	v_fmac_f32_e32 v243, v7, v214
	v_add_f32_e32 v3, v3, v242
	v_add_f32_e32 v2, v2, v4
	v_add_f32_e32 v3, v3, v243
	s_waitcnt vmcnt(1)
	v_sub_f32_e32 v2, v215, v2
	s_waitcnt vmcnt(0)
	v_sub_f32_e32 v3, v216, v3
	buffer_store_dword v2, off, s[0:3], 0 offset:192
	buffer_store_dword v3, off, s[0:3], 0 offset:196
	v_cmpx_lt_u32_e32 23, v0
	s_cbranch_execz .LBB51_279
; %bb.278:
	s_clause 0x1
	buffer_load_dword v2, off, s[0:3], 0 offset:184
	buffer_load_dword v3, off, s[0:3], 0 offset:188
	buffer_store_dword v1, off, s[0:3], 0 offset:184
	buffer_store_dword v1, off, s[0:3], 0 offset:188
	s_waitcnt vmcnt(0)
	ds_write_b64 v113, v[2:3]
.LBB51_279:
	s_or_b32 exec_lo, exec_lo, s4
	s_waitcnt lgkmcnt(0)
	s_waitcnt_vscnt null, 0x0
	s_barrier
	buffer_gl0_inv
	s_clause 0x39
	buffer_load_dword v6, off, s[0:3], 0 offset:196
	buffer_load_dword v7, off, s[0:3], 0 offset:204
	;; [unrolled: 1-line block ×58, first 2 shown]
	ds_read_b128 v[2:5], v1 offset:608
	ds_read_b128 v[114:117], v1 offset:624
	ds_read_b128 v[118:121], v1 offset:640
	ds_read_b128 v[122:125], v1 offset:656
	ds_read_b128 v[126:129], v1 offset:672
	ds_read_b128 v[130:133], v1 offset:688
	ds_read_b128 v[134:137], v1 offset:704
	ds_read_b128 v[138:141], v1 offset:720
	ds_read_b128 v[142:145], v1 offset:736
	ds_read_b128 v[146:149], v1 offset:752
	ds_read_b128 v[150:153], v1 offset:768
	ds_read_b128 v[154:157], v1 offset:784
	ds_read_b128 v[158:161], v1 offset:800
	ds_read_b128 v[162:165], v1 offset:816
	s_mov_b32 s4, exec_lo
	s_waitcnt vmcnt(57) lgkmcnt(13)
	v_mul_f32_e32 v1, v2, v6
	v_mul_f32_e32 v6, v3, v6
	s_waitcnt vmcnt(56)
	v_mul_f32_e32 v221, v4, v7
	v_mul_f32_e32 v7, v5, v7
	s_waitcnt vmcnt(55) lgkmcnt(12)
	v_mul_f32_e32 v222, v114, v8
	s_waitcnt vmcnt(54)
	v_mul_f32_e32 v223, v116, v166
	s_waitcnt vmcnt(53) lgkmcnt(11)
	v_mul_f32_e32 v224, v118, v167
	s_waitcnt vmcnt(52)
	;; [unrolled: 4-line block ×12, first 2 shown]
	v_mul_f32_e32 v245, v160, v188
	s_waitcnt vmcnt(29)
	v_fma_f32 v2, v2, v191, -v6
	v_fmac_f32_e32 v1, v3, v191
	v_mul_f32_e32 v3, v115, v8
	s_waitcnt vmcnt(28)
	v_fma_f32 v4, v4, v192, -v7
	v_fmac_f32_e32 v221, v5, v192
	v_add_f32_e32 v2, 0, v2
	v_add_f32_e32 v1, 0, v1
	v_mul_f32_e32 v5, v117, v166
	s_waitcnt vmcnt(27)
	v_fma_f32 v3, v114, v193, -v3
	v_fmac_f32_e32 v222, v115, v193
	v_add_f32_e32 v2, v2, v4
	v_add_f32_e32 v1, v1, v221
	;; [unrolled: 6-line block ×24, first 2 shown]
	s_waitcnt lgkmcnt(0)
	v_mul_f32_e32 v3, v163, v189
	s_waitcnt vmcnt(4)
	v_fma_f32 v4, v160, v216, -v4
	v_mul_f32_e32 v246, v162, v189
	v_add_f32_e32 v2, v2, v5
	v_fmac_f32_e32 v245, v161, v216
	v_add_f32_e32 v1, v1, v244
	v_mul_f32_e32 v5, v165, v190
	s_waitcnt vmcnt(3)
	v_fma_f32 v3, v162, v217, -v3
	v_add_f32_e32 v2, v2, v4
	v_mul_f32_e32 v247, v164, v190
	v_fmac_f32_e32 v246, v163, v217
	v_add_f32_e32 v1, v1, v245
	s_waitcnt vmcnt(2)
	v_fma_f32 v4, v164, v218, -v5
	v_add_f32_e32 v2, v2, v3
	v_fmac_f32_e32 v247, v165, v218
	v_add_f32_e32 v1, v1, v246
	v_add_f32_e32 v2, v2, v4
	;; [unrolled: 1-line block ×3, first 2 shown]
	s_waitcnt vmcnt(1)
	v_sub_f32_e32 v2, v219, v2
	s_waitcnt vmcnt(0)
	v_sub_f32_e32 v1, v220, v1
	buffer_store_dword v2, off, s[0:3], 0 offset:184
	buffer_store_dword v1, off, s[0:3], 0 offset:188
	v_cmpx_lt_u32_e32 22, v0
	s_cbranch_execz .LBB51_281
; %bb.280:
	s_clause 0x1
	buffer_load_dword v1, off, s[0:3], 0 offset:176
	buffer_load_dword v2, off, s[0:3], 0 offset:180
	v_mov_b32_e32 v3, 0
	buffer_store_dword v3, off, s[0:3], 0 offset:176
	buffer_store_dword v3, off, s[0:3], 0 offset:180
	s_waitcnt vmcnt(0)
	ds_write_b64 v113, v[1:2]
.LBB51_281:
	s_or_b32 exec_lo, exec_lo, s4
	s_waitcnt lgkmcnt(0)
	s_waitcnt_vscnt null, 0x0
	s_barrier
	buffer_gl0_inv
	s_clause 0x3b
	buffer_load_dword v8, off, s[0:3], 0 offset:188
	buffer_load_dword v166, off, s[0:3], 0 offset:196
	;; [unrolled: 1-line block ×60, first 2 shown]
	v_mov_b32_e32 v1, 0
	ds_read2_b64 v[2:5], v1 offset0:75 offset1:76
	ds_read2_b64 v[114:117], v1 offset0:77 offset1:78
	ds_read2_b64 v[118:121], v1 offset0:79 offset1:80
	ds_read2_b64 v[122:125], v1 offset0:81 offset1:82
	ds_read2_b64 v[126:129], v1 offset0:83 offset1:84
	ds_read2_b64 v[130:133], v1 offset0:85 offset1:86
	ds_read2_b64 v[134:137], v1 offset0:87 offset1:88
	ds_read2_b64 v[138:141], v1 offset0:89 offset1:90
	ds_read2_b64 v[142:145], v1 offset0:91 offset1:92
	ds_read2_b64 v[146:149], v1 offset0:93 offset1:94
	ds_read2_b64 v[150:153], v1 offset0:95 offset1:96
	ds_read2_b64 v[154:157], v1 offset0:97 offset1:98
	ds_read2_b64 v[158:161], v1 offset0:99 offset1:100
	ds_read2_b64 v[162:165], v1 offset0:101 offset1:102
	ds_read_b64 v[6:7], v1 offset:824
	s_mov_b32 s4, exec_lo
	s_waitcnt vmcnt(59) lgkmcnt(14)
	v_mul_f32_e32 v225, v2, v8
	v_mul_f32_e32 v8, v3, v8
	s_waitcnt vmcnt(58)
	v_mul_f32_e32 v226, v4, v166
	v_mul_f32_e32 v166, v5, v166
	s_waitcnt vmcnt(57) lgkmcnt(13)
	v_mul_f32_e32 v227, v114, v167
	s_waitcnt vmcnt(56)
	v_mul_f32_e32 v228, v116, v168
	s_waitcnt vmcnt(55) lgkmcnt(12)
	v_mul_f32_e32 v229, v118, v169
	s_waitcnt vmcnt(54)
	;; [unrolled: 4-line block ×13, first 2 shown]
	v_fma_f32 v2, v2, v194, -v8
	v_fmac_f32_e32 v225, v3, v194
	v_mul_f32_e32 v3, v115, v167
	s_waitcnt vmcnt(29)
	v_fma_f32 v4, v4, v195, -v166
	v_fmac_f32_e32 v226, v5, v195
	v_add_f32_e32 v2, 0, v2
	v_add_f32_e32 v5, 0, v225
	v_mul_f32_e32 v8, v117, v168
	s_waitcnt vmcnt(28)
	v_fma_f32 v3, v114, v196, -v3
	v_fmac_f32_e32 v227, v115, v196
	v_add_f32_e32 v2, v2, v4
	v_add_f32_e32 v4, v5, v226
	;; [unrolled: 6-line block ×25, first 2 shown]
	v_mul_f32_e32 v8, v165, v192
	s_waitcnt vmcnt(4)
	v_fma_f32 v4, v162, v220, -v4
	v_mul_f32_e32 v252, v164, v192
	v_add_f32_e32 v2, v2, v5
	v_fmac_f32_e32 v251, v163, v220
	v_add_f32_e32 v3, v3, v250
	s_waitcnt lgkmcnt(0)
	v_mul_f32_e32 v5, v7, v193
	s_waitcnt vmcnt(3)
	v_fma_f32 v8, v164, v221, -v8
	v_add_f32_e32 v2, v2, v4
	v_mul_f32_e32 v253, v6, v193
	v_fmac_f32_e32 v252, v165, v221
	v_add_f32_e32 v3, v3, v251
	s_waitcnt vmcnt(2)
	v_fma_f32 v4, v6, v222, -v5
	v_add_f32_e32 v2, v2, v8
	v_fmac_f32_e32 v253, v7, v222
	v_add_f32_e32 v3, v3, v252
	v_add_f32_e32 v2, v2, v4
	;; [unrolled: 1-line block ×3, first 2 shown]
	s_waitcnt vmcnt(1)
	v_sub_f32_e32 v2, v223, v2
	s_waitcnt vmcnt(0)
	v_sub_f32_e32 v3, v224, v3
	buffer_store_dword v2, off, s[0:3], 0 offset:176
	buffer_store_dword v3, off, s[0:3], 0 offset:180
	v_cmpx_lt_u32_e32 21, v0
	s_cbranch_execz .LBB51_283
; %bb.282:
	s_clause 0x1
	buffer_load_dword v2, off, s[0:3], 0 offset:168
	buffer_load_dword v3, off, s[0:3], 0 offset:172
	buffer_store_dword v1, off, s[0:3], 0 offset:168
	buffer_store_dword v1, off, s[0:3], 0 offset:172
	s_waitcnt vmcnt(0)
	ds_write_b64 v113, v[2:3]
.LBB51_283:
	s_or_b32 exec_lo, exec_lo, s4
	s_waitcnt lgkmcnt(0)
	s_waitcnt_vscnt null, 0x0
	s_barrier
	buffer_gl0_inv
	s_clause 0x1b
	buffer_load_dword v3, off, s[0:3], 0 offset:180
	buffer_load_dword v4, off, s[0:3], 0 offset:188
	;; [unrolled: 1-line block ×28, first 2 shown]
	ds_read_b128 v[137:140], v1 offset:592
	ds_read_b128 v[141:144], v1 offset:608
	s_clause 0x1
	buffer_load_dword v133, off, s[0:3], 0 offset:284
	buffer_load_dword v130, off, s[0:3], 0 offset:292
	ds_read_b128 v[145:148], v1 offset:624
	ds_read_b128 v[149:152], v1 offset:640
	ds_read_b128 v[153:156], v1 offset:656
	buffer_load_dword v157, off, s[0:3], 0 offset:172
	s_mov_b32 s4, exec_lo
	s_waitcnt vmcnt(30) lgkmcnt(4)
	v_mul_f32_e32 v158, v137, v3
	s_waitcnt vmcnt(29)
	v_mul_f32_e32 v159, v139, v4
	v_mul_f32_e32 v3, v138, v3
	;; [unrolled: 1-line block ×3, first 2 shown]
	s_waitcnt vmcnt(28) lgkmcnt(3)
	v_mul_f32_e32 v160, v141, v5
	v_mul_f32_e32 v5, v142, v5
	s_waitcnt vmcnt(24)
	v_fmac_f32_e32 v158, v138, v8
	v_fmac_f32_e32 v159, v140, v7
	v_fma_f32 v8, v137, v8, -v3
	v_fma_f32 v7, v139, v7, -v4
	s_clause 0x7
	buffer_load_dword v137, off, s[0:3], 0 offset:300
	buffer_load_dword v138, off, s[0:3], 0 offset:304
	buffer_load_dword v139, off, s[0:3], 0 offset:308
	buffer_load_dword v140, off, s[0:3], 0 offset:316
	buffer_load_dword v162, off, s[0:3], 0 offset:324
	buffer_load_dword v163, off, s[0:3], 0 offset:320
	buffer_load_dword v164, off, s[0:3], 0 offset:312
	buffer_load_dword v165, off, s[0:3], 0 offset:296
	v_mul_f32_e32 v161, v143, v6
	v_mul_f32_e32 v6, v144, v6
	v_fmac_f32_e32 v160, v142, v2
	v_fma_f32 v141, v141, v2, -v5
	ds_read_b128 v[2:5], v1 offset:672
	s_waitcnt vmcnt(28)
	v_fmac_f32_e32 v161, v144, v121
	v_fma_f32 v6, v143, v121, -v6
	s_waitcnt vmcnt(27) lgkmcnt(3)
	v_mul_f32_e32 v121, v145, v119
	v_mul_f32_e32 v119, v146, v119
	s_waitcnt vmcnt(26)
	v_mul_f32_e32 v142, v147, v120
	v_mul_f32_e32 v120, v148, v120
	s_waitcnt vmcnt(25) lgkmcnt(2)
	v_mul_f32_e32 v143, v149, v118
	v_mul_f32_e32 v118, v150, v118
	v_fmac_f32_e32 v121, v146, v116
	v_fma_f32 v116, v145, v116, -v119
	s_waitcnt vmcnt(24)
	v_mul_f32_e32 v119, v151, v117
	v_mul_f32_e32 v117, v152, v117
	v_fmac_f32_e32 v142, v148, v115
	v_fma_f32 v120, v147, v115, -v120
	s_waitcnt vmcnt(23) lgkmcnt(1)
	v_mul_f32_e32 v144, v153, v122
	s_waitcnt vmcnt(22)
	v_mul_f32_e32 v145, v155, v125
	v_mul_f32_e32 v115, v154, v122
	;; [unrolled: 1-line block ×3, first 2 shown]
	v_fmac_f32_e32 v143, v150, v114
	v_fma_f32 v118, v149, v114, -v118
	s_waitcnt vmcnt(18)
	v_fmac_f32_e32 v119, v152, v132
	v_fma_f32 v125, v151, v132, -v117
	s_clause 0x7
	buffer_load_dword v146, off, s[0:3], 0 offset:332
	buffer_load_dword v147, off, s[0:3], 0 offset:336
	;; [unrolled: 1-line block ×8, first 2 shown]
	v_fmac_f32_e32 v145, v156, v128
	v_fma_f32 v122, v155, v128, -v122
	s_waitcnt vmcnt(25) lgkmcnt(0)
	v_mul_f32_e32 v128, v2, v127
	v_mul_f32_e32 v114, v3, v127
	v_fmac_f32_e32 v144, v154, v129
	v_fma_f32 v129, v153, v129, -v115
	v_add_f32_e32 v115, 0, v158
	v_fmac_f32_e32 v128, v3, v123
	v_fma_f32 v123, v2, v123, -v114
	s_waitcnt vmcnt(24)
	v_mul_f32_e32 v127, v4, v126
	v_mul_f32_e32 v2, v5, v126
	v_add_f32_e32 v8, 0, v8
	s_clause 0x5
	buffer_load_dword v153, off, s[0:3], 0 offset:364
	buffer_load_dword v154, off, s[0:3], 0 offset:372
	;; [unrolled: 1-line block ×6, first 2 shown]
	v_add_f32_e32 v114, v115, v159
	s_waitcnt vmcnt(26)
	v_fmac_f32_e32 v127, v5, v136
	v_fma_f32 v126, v4, v136, -v2
	ds_read_b128 v[2:5], v1 offset:688
	v_add_f32_e32 v7, v8, v7
	buffer_load_dword v158, off, s[0:3], 0 offset:412
	v_add_f32_e32 v8, v114, v160
	v_add_f32_e32 v7, v7, v141
	s_clause 0x3
	buffer_load_dword v136, off, s[0:3], 0 offset:384
	buffer_load_dword v141, off, s[0:3], 0 offset:376
	;; [unrolled: 1-line block ×4, first 2 shown]
	v_add_f32_e32 v8, v8, v161
	v_add_f32_e32 v6, v7, v6
	;; [unrolled: 1-line block ×4, first 2 shown]
	ds_read_b128 v[114:117], v1 offset:704
	v_add_f32_e32 v7, v7, v142
	s_waitcnt vmcnt(30) lgkmcnt(1)
	v_mul_f32_e32 v8, v2, v135
	v_mul_f32_e32 v121, v3, v135
	s_waitcnt vmcnt(29)
	v_mul_f32_e32 v142, v4, v133
	v_fmac_f32_e32 v8, v3, v134
	v_fma_f32 v132, v2, v134, -v121
	v_add_f32_e32 v2, v6, v120
	v_add_f32_e32 v3, v7, v143
	s_clause 0x3
	buffer_load_dword v6, off, s[0:3], 0 offset:408
	buffer_load_dword v7, off, s[0:3], 0 offset:400
	;; [unrolled: 1-line block ×4, first 2 shown]
	v_fmac_f32_e32 v142, v5, v131
	v_add_f32_e32 v2, v2, v118
	v_add_f32_e32 v3, v3, v119
	v_mul_f32_e32 v118, v5, v133
	v_add_f32_e32 v119, v2, v125
	v_add_f32_e32 v125, v3, v144
	v_fma_f32 v131, v4, v131, -v118
	ds_read_b128 v[2:5], v1 offset:720
	s_waitcnt vmcnt(32) lgkmcnt(1)
	v_mul_f32_e32 v133, v114, v130
	v_add_f32_e32 v129, v119, v129
	ds_read_b128 v[118:121], v1 offset:736
	v_add_f32_e32 v125, v125, v145
	v_mul_f32_e32 v130, v115, v130
	v_fmac_f32_e32 v133, v115, v124
	v_add_f32_e32 v122, v129, v122
	v_add_f32_e32 v128, v125, v128
	;; [unrolled: 1-line block ×6, first 2 shown]
	s_waitcnt vmcnt(30)
	v_mul_f32_e32 v129, v117, v137
	v_mul_f32_e32 v143, v116, v137
	v_fma_f32 v137, v114, v124, -v130
	s_waitcnt vmcnt(28) lgkmcnt(1)
	v_mul_f32_e32 v145, v2, v139
	s_waitcnt vmcnt(27)
	v_mul_f32_e32 v161, v4, v140
	v_mul_f32_e32 v128, v3, v139
	s_waitcnt vmcnt(26) lgkmcnt(0)
	v_mul_f32_e32 v130, v119, v162
	s_waitcnt vmcnt(23)
	v_fma_f32 v144, v116, v165, -v129
	v_add_f32_e32 v129, v122, v123
	v_fmac_f32_e32 v143, v117, v165
	ds_read_b128 v[114:117], v1 offset:752
	ds_read_b128 v[122:125], v1 offset:768
	v_mul_f32_e32 v139, v118, v162
	v_fmac_f32_e32 v145, v3, v138
	v_add_f32_e32 v126, v129, v126
	v_mul_f32_e32 v129, v5, v140
	v_fmac_f32_e32 v161, v5, v164
	v_fma_f32 v138, v2, v138, -v128
	v_fma_f32 v118, v118, v163, -v130
	v_add_f32_e32 v132, v126, v132
	v_fma_f32 v140, v4, v164, -v129
	ds_read_b128 v[2:5], v1 offset:784
	ds_read_b128 v[126:129], v1 offset:800
	v_add_f32_e32 v8, v8, v143
	v_fmac_f32_e32 v139, v119, v163
	v_add_f32_e32 v142, v132, v131
	ds_read_b128 v[130:133], v1 offset:816
	v_add_f32_e32 v8, v8, v145
	v_add_f32_e32 v1, v142, v137
	s_waitcnt vmcnt(22)
	v_mul_f32_e32 v137, v121, v146
	v_mul_f32_e32 v119, v120, v146
	v_add_f32_e32 v8, v8, v161
	s_waitcnt vmcnt(20) lgkmcnt(4)
	v_mul_f32_e32 v142, v114, v148
	v_add_f32_e32 v1, v1, v144
	v_mul_f32_e32 v144, v115, v148
	s_waitcnt vmcnt(15)
	v_fma_f32 v120, v120, v166, -v137
	v_fmac_f32_e32 v119, v121, v166
	v_add_f32_e32 v8, v8, v139
	v_add_f32_e32 v1, v1, v138
	v_fma_f32 v114, v114, v147, -v144
	v_mul_f32_e32 v143, v116, v149
	v_fmac_f32_e32 v142, v115, v147
	v_add_f32_e32 v8, v8, v119
	v_add_f32_e32 v1, v1, v140
	v_mul_f32_e32 v140, v117, v149
	s_waitcnt lgkmcnt(3)
	v_mul_f32_e32 v115, v123, v150
	v_mul_f32_e32 v121, v122, v150
	v_fmac_f32_e32 v143, v117, v152
	v_add_f32_e32 v1, v1, v118
	v_fma_f32 v116, v116, v152, -v140
	v_add_f32_e32 v8, v8, v142
	v_fma_f32 v115, v122, v151, -v115
	s_waitcnt vmcnt(14)
	v_mul_f32_e32 v137, v124, v153
	v_add_f32_e32 v1, v1, v120
	v_fmac_f32_e32 v121, v123, v151
	v_add_f32_e32 v8, v8, v143
	s_waitcnt vmcnt(13) lgkmcnt(2)
	v_mul_f32_e32 v138, v2, v154
	s_waitcnt vmcnt(12)
	v_mul_f32_e32 v145, v4, v155
	v_add_f32_e32 v1, v1, v114
	v_mul_f32_e32 v114, v125, v153
	s_waitcnt vmcnt(4)
	v_fmac_f32_e32 v137, v125, v160
	v_add_f32_e32 v8, v8, v121
	v_fmac_f32_e32 v138, v3, v159
	v_add_f32_e32 v1, v1, v116
	v_mul_f32_e32 v116, v3, v154
	v_fma_f32 v114, v124, v160, -v114
	v_add_f32_e32 v3, v8, v137
	s_waitcnt lgkmcnt(1)
	v_mul_f32_e32 v8, v127, v156
	v_add_f32_e32 v1, v1, v115
	v_mul_f32_e32 v115, v5, v155
	v_fma_f32 v2, v2, v159, -v116
	v_mul_f32_e32 v146, v126, v156
	v_fmac_f32_e32 v145, v5, v141
	v_add_f32_e32 v1, v1, v114
	v_fma_f32 v4, v4, v141, -v115
	v_fma_f32 v5, v126, v136, -v8
	v_mul_f32_e32 v148, v128, v167
	v_fmac_f32_e32 v146, v127, v136
	v_add_f32_e32 v1, v1, v2
	v_add_f32_e32 v2, v3, v138
	v_mul_f32_e32 v3, v129, v167
	s_waitcnt lgkmcnt(0)
	v_mul_f32_e32 v149, v130, v168
	s_waitcnt vmcnt(1)
	v_fmac_f32_e32 v148, v129, v134
	v_add_f32_e32 v1, v1, v4
	v_add_f32_e32 v2, v2, v145
	v_mul_f32_e32 v4, v131, v168
	v_fma_f32 v3, v128, v134, -v3
	v_mul_f32_e32 v118, v132, v158
	v_add_f32_e32 v1, v1, v5
	v_add_f32_e32 v2, v2, v146
	v_mul_f32_e32 v5, v133, v158
	v_fma_f32 v4, v130, v7, -v4
	v_fmac_f32_e32 v149, v131, v7
	v_add_f32_e32 v1, v1, v3
	v_add_f32_e32 v2, v2, v148
	v_fma_f32 v3, v132, v6, -v5
	v_fmac_f32_e32 v118, v133, v6
	v_add_f32_e32 v1, v1, v4
	v_add_f32_e32 v2, v2, v149
	;; [unrolled: 1-line block ×4, first 2 shown]
	s_waitcnt vmcnt(0)
	v_sub_f32_e32 v1, v135, v1
	v_sub_f32_e32 v2, v157, v2
	buffer_store_dword v1, off, s[0:3], 0 offset:168
	buffer_store_dword v2, off, s[0:3], 0 offset:172
	v_cmpx_lt_u32_e32 20, v0
	s_cbranch_execz .LBB51_285
; %bb.284:
	s_clause 0x1
	buffer_load_dword v1, off, s[0:3], 0 offset:160
	buffer_load_dword v2, off, s[0:3], 0 offset:164
	v_mov_b32_e32 v3, 0
	buffer_store_dword v3, off, s[0:3], 0 offset:160
	buffer_store_dword v3, off, s[0:3], 0 offset:164
	s_waitcnt vmcnt(0)
	ds_write_b64 v113, v[1:2]
.LBB51_285:
	s_or_b32 exec_lo, exec_lo, s4
	s_waitcnt lgkmcnt(0)
	s_waitcnt_vscnt null, 0x0
	s_barrier
	buffer_gl0_inv
	s_clause 0x23
	buffer_load_dword v3, off, s[0:3], 0 offset:172
	buffer_load_dword v4, off, s[0:3], 0 offset:180
	;; [unrolled: 1-line block ×36, first 2 shown]
	v_mov_b32_e32 v1, 0
	ds_read2_b64 v[138:141], v1 offset0:73 offset1:74
	ds_read2_b64 v[142:145], v1 offset0:75 offset1:76
	;; [unrolled: 1-line block ×3, first 2 shown]
	s_clause 0x3
	buffer_load_dword v159, off, s[0:3], 0 offset:300
	buffer_load_dword v160, off, s[0:3], 0 offset:308
	;; [unrolled: 1-line block ×4, first 2 shown]
	ds_read2_b64 v[150:153], v1 offset0:79 offset1:80
	s_mov_b32 s4, exec_lo
	s_waitcnt vmcnt(39) lgkmcnt(3)
	v_mul_f32_e32 v163, v138, v3
	v_mul_f32_e32 v3, v139, v3
	s_waitcnt vmcnt(38)
	v_mul_f32_e32 v164, v140, v4
	v_mul_f32_e32 v4, v141, v4
	s_waitcnt vmcnt(35)
	v_fmac_f32_e32 v163, v139, v114
	v_fma_f32 v165, v138, v114, -v3
	s_waitcnt vmcnt(34) lgkmcnt(2)
	v_mul_f32_e32 v166, v142, v8
	v_mul_f32_e32 v3, v143, v8
	v_fmac_f32_e32 v164, v141, v5
	v_fma_f32 v8, v140, v5, -v4
	ds_read2_b64 v[138:141], v1 offset0:81 offset1:82
	s_waitcnt vmcnt(33)
	v_mul_f32_e32 v4, v145, v6
	v_mul_f32_e32 v167, v144, v6
	v_fmac_f32_e32 v166, v143, v2
	v_fma_f32 v6, v142, v2, -v3
	s_waitcnt vmcnt(32) lgkmcnt(2)
	v_mul_f32_e32 v142, v146, v7
	s_waitcnt vmcnt(28)
	v_fma_f32 v143, v144, v121, -v4
	ds_read2_b64 v[2:5], v1 offset0:83 offset1:84
	v_mul_f32_e32 v7, v147, v7
	s_waitcnt vmcnt(27)
	v_mul_f32_e32 v114, v149, v120
	v_mul_f32_e32 v144, v148, v120
	v_fmac_f32_e32 v167, v145, v121
	s_waitcnt vmcnt(26) lgkmcnt(2)
	v_mul_f32_e32 v145, v150, v117
	v_fma_f32 v7, v146, v119, -v7
	v_fma_f32 v146, v148, v116, -v114
	v_mul_f32_e32 v114, v151, v117
	v_fmac_f32_e32 v144, v149, v116
	v_fmac_f32_e32 v142, v147, v119
	s_waitcnt vmcnt(25)
	v_mul_f32_e32 v147, v152, v118
	v_mul_f32_e32 v116, v153, v118
	v_fma_f32 v149, v150, v115, -v114
	s_waitcnt vmcnt(19) lgkmcnt(1)
	v_mul_f32_e32 v150, v140, v128
	v_mul_f32_e32 v128, v141, v128
	;; [unrolled: 1-line block ×4, first 2 shown]
	v_fmac_f32_e32 v145, v151, v115
	v_fmac_f32_e32 v150, v141, v124
	v_fma_f32 v124, v140, v124, -v128
	s_waitcnt vmcnt(17) lgkmcnt(0)
	v_mul_f32_e32 v128, v4, v125
	v_mul_f32_e32 v125, v5, v125
	v_fmac_f32_e32 v147, v153, v129
	v_fma_f32 v129, v152, v129, -v116
	ds_read2_b64 v[114:117], v1 offset0:85 offset1:86
	ds_read2_b64 v[118:121], v1 offset0:87 offset1:88
	v_fmac_f32_e32 v148, v139, v126
	v_fma_f32 v122, v138, v126, -v122
	s_waitcnt vmcnt(13)
	v_fmac_f32_e32 v128, v5, v137
	v_fma_f32 v125, v4, v137, -v125
	s_clause 0x6
	buffer_load_dword v137, off, s[0:3], 0 offset:320
	buffer_load_dword v138, off, s[0:3], 0 offset:332
	buffer_load_dword v139, off, s[0:3], 0 offset:340
	buffer_load_dword v140, off, s[0:3], 0 offset:348
	buffer_load_dword v141, off, s[0:3], 0 offset:344
	buffer_load_dword v151, off, s[0:3], 0 offset:336
	buffer_load_dword v152, off, s[0:3], 0 offset:328
	v_mul_f32_e32 v126, v2, v127
	v_mul_f32_e32 v127, v3, v127
	v_fmac_f32_e32 v126, v3, v123
	v_fma_f32 v123, v2, v123, -v127
	s_waitcnt vmcnt(19) lgkmcnt(1)
	v_mul_f32_e32 v127, v114, v136
	v_mul_f32_e32 v2, v115, v136
	s_waitcnt vmcnt(16) lgkmcnt(0)
	v_mul_f32_e32 v170, v120, v134
	v_mul_f32_e32 v136, v116, v135
	;; [unrolled: 1-line block ×3, first 2 shown]
	v_fmac_f32_e32 v127, v115, v132
	v_fma_f32 v132, v114, v132, -v2
	v_mul_f32_e32 v2, v121, v134
	s_waitcnt vmcnt(11)
	v_fmac_f32_e32 v170, v121, v158
	v_mul_f32_e32 v135, v118, v133
	v_mul_f32_e32 v4, v119, v133
	s_clause 0x3
	buffer_load_dword v133, off, s[0:3], 0 offset:356
	buffer_load_dword v153, off, s[0:3], 0 offset:364
	;; [unrolled: 1-line block ×4, first 2 shown]
	v_fma_f32 v158, v120, v158, -v2
	v_add_f32_e32 v2, 0, v163
	s_clause 0x3
	buffer_load_dword v134, off, s[0:3], 0 offset:388
	buffer_load_dword v171, off, s[0:3], 0 offset:396
	;; [unrolled: 1-line block ×4, first 2 shown]
	v_fmac_f32_e32 v136, v117, v131
	v_fma_f32 v131, v116, v131, -v3
	v_add_f32_e32 v2, v2, v164
	s_clause 0x3
	buffer_load_dword v163, off, s[0:3], 0 offset:376
	buffer_load_dword v164, off, s[0:3], 0 offset:368
	;; [unrolled: 1-line block ×4, first 2 shown]
	v_add_f32_e32 v3, 0, v165
	v_fmac_f32_e32 v135, v119, v130
	v_fma_f32 v130, v118, v130, -v4
	v_add_f32_e32 v2, v2, v166
	v_add_f32_e32 v3, v3, v8
	;; [unrolled: 1-line block ×3, first 2 shown]
	s_clause 0x3
	buffer_load_dword v8, off, s[0:3], 0 offset:408
	buffer_load_dword v165, off, s[0:3], 0 offset:400
	;; [unrolled: 1-line block ×4, first 2 shown]
	v_add_f32_e32 v3, v3, v6
	ds_read2_b64 v[114:117], v1 offset0:91 offset1:92
	v_add_f32_e32 v2, v2, v142
	v_add_f32_e32 v3, v3, v143
	buffer_load_dword v143, off, s[0:3], 0 offset:160
	v_add_f32_e32 v6, v2, v144
	v_add_f32_e32 v3, v3, v7
	;; [unrolled: 1-line block ×4, first 2 shown]
	ds_read2_b64 v[2:5], v1 offset0:89 offset1:90
	v_add_f32_e32 v6, v6, v147
	v_add_f32_e32 v7, v7, v149
	s_waitcnt vmcnt(25) lgkmcnt(1)
	v_mul_f32_e32 v147, v116, v161
	v_add_f32_e32 v6, v6, v148
	v_add_f32_e32 v7, v7, v129
	;; [unrolled: 1-line block ×5, first 2 shown]
	v_mul_f32_e32 v126, v115, v155
	v_add_f32_e32 v7, v7, v124
	s_waitcnt lgkmcnt(0)
	v_mul_f32_e32 v142, v2, v159
	v_mul_f32_e32 v118, v3, v159
	v_add_f32_e32 v6, v6, v128
	v_mul_f32_e32 v144, v4, v160
	v_mul_f32_e32 v119, v5, v160
	v_fmac_f32_e32 v142, v3, v157
	v_add_f32_e32 v3, v7, v123
	v_add_f32_e32 v6, v6, v127
	v_fma_f32 v145, v2, v157, -v118
	v_fmac_f32_e32 v144, v5, v156
	v_fma_f32 v146, v4, v156, -v119
	v_add_f32_e32 v7, v3, v125
	v_add_f32_e32 v6, v6, v136
	ds_read2_b64 v[2:5], v1 offset0:93 offset1:94
	ds_read2_b64 v[118:121], v1 offset0:95 offset1:96
	v_fma_f32 v148, v114, v154, -v126
	ds_read2_b64 v[122:125], v1 offset0:97 offset1:98
	ds_read2_b64 v[126:129], v1 offset0:99 offset1:100
	v_add_f32_e32 v7, v7, v132
	v_mul_f32_e32 v132, v114, v155
	v_add_f32_e32 v7, v7, v131
	v_mul_f32_e32 v131, v117, v161
	v_fmac_f32_e32 v132, v115, v154
	v_add_f32_e32 v7, v7, v130
	s_waitcnt vmcnt(23)
	v_fma_f32 v130, v116, v137, -v131
	v_add_f32_e32 v131, v6, v135
	v_add_f32_e32 v135, v7, v158
	s_waitcnt vmcnt(22) lgkmcnt(3)
	v_mul_f32_e32 v136, v2, v138
	v_mul_f32_e32 v138, v3, v138
	v_fmac_f32_e32 v147, v117, v137
	v_add_f32_e32 v131, v131, v170
	v_add_f32_e32 v135, v135, v145
	s_waitcnt vmcnt(21)
	v_mul_f32_e32 v137, v4, v139
	v_mul_f32_e32 v139, v5, v139
	s_waitcnt vmcnt(17)
	v_fma_f32 v2, v2, v152, -v138
	v_add_f32_e32 v131, v131, v142
	v_add_f32_e32 v135, v135, v146
	v_fmac_f32_e32 v136, v3, v152
	s_waitcnt lgkmcnt(2)
	v_mul_f32_e32 v138, v119, v140
	v_fma_f32 v4, v4, v151, -v139
	v_add_f32_e32 v131, v131, v144
	v_add_f32_e32 v135, v135, v148
	v_mul_f32_e32 v142, v118, v140
	v_fmac_f32_e32 v137, v5, v151
	v_fma_f32 v118, v118, v141, -v138
	v_add_f32_e32 v131, v131, v132
	v_add_f32_e32 v130, v135, v130
	v_fmac_f32_e32 v142, v119, v141
	ds_read2_b64 v[114:117], v1 offset0:101 offset1:102
	ds_read_b64 v[6:7], v1 offset:824
	v_add_f32_e32 v131, v131, v147
	v_add_f32_e32 v2, v130, v2
	s_waitcnt vmcnt(16)
	v_mul_f32_e32 v130, v121, v133
	v_mul_f32_e32 v145, v120, v133
	s_waitcnt vmcnt(15) lgkmcnt(3)
	v_mul_f32_e32 v146, v122, v153
	v_add_f32_e32 v5, v131, v136
	v_add_f32_e32 v2, v2, v4
	s_waitcnt vmcnt(14)
	v_mul_f32_e32 v144, v124, v168
	s_waitcnt vmcnt(13) lgkmcnt(2)
	v_mul_f32_e32 v148, v126, v169
	s_waitcnt vmcnt(12)
	v_mul_f32_e32 v3, v128, v134
	v_add_f32_e32 v4, v5, v137
	v_mul_f32_e32 v5, v123, v153
	v_add_f32_e32 v2, v2, v118
	s_waitcnt vmcnt(5)
	v_fma_f32 v119, v120, v175, -v130
	v_fmac_f32_e32 v145, v121, v175
	v_add_f32_e32 v4, v4, v142
	v_mul_f32_e32 v118, v125, v168
	v_fma_f32 v5, v122, v174, -v5
	v_add_f32_e32 v2, v2, v119
	v_fmac_f32_e32 v146, v123, v174
	v_add_f32_e32 v4, v4, v145
	v_mul_f32_e32 v119, v127, v169
	v_fma_f32 v118, v124, v164, -v118
	v_add_f32_e32 v2, v2, v5
	v_fmac_f32_e32 v144, v125, v164
	v_add_f32_e32 v4, v4, v146
	v_mul_f32_e32 v5, v129, v134
	v_fma_f32 v119, v126, v163, -v119
	v_add_f32_e32 v2, v2, v118
	v_fmac_f32_e32 v148, v127, v163
	v_add_f32_e32 v4, v4, v144
	s_waitcnt lgkmcnt(1)
	v_mul_f32_e32 v118, v115, v171
	s_waitcnt vmcnt(1)
	v_fma_f32 v5, v128, v167, -v5
	v_add_f32_e32 v2, v2, v119
	v_mul_f32_e32 v132, v114, v171
	v_fmac_f32_e32 v3, v129, v167
	v_add_f32_e32 v4, v4, v148
	v_mul_f32_e32 v119, v117, v172
	v_fma_f32 v114, v114, v166, -v118
	v_add_f32_e32 v2, v2, v5
	v_mul_f32_e32 v135, v116, v172
	v_fmac_f32_e32 v132, v115, v166
	v_add_f32_e32 v3, v4, v3
	s_waitcnt lgkmcnt(0)
	v_mul_f32_e32 v4, v7, v173
	v_fma_f32 v5, v116, v165, -v119
	v_add_f32_e32 v2, v2, v114
	v_mul_f32_e32 v140, v6, v173
	v_fmac_f32_e32 v135, v117, v165
	v_add_f32_e32 v3, v3, v132
	v_fma_f32 v4, v6, v8, -v4
	v_add_f32_e32 v2, v2, v5
	v_fmac_f32_e32 v140, v7, v8
	v_add_f32_e32 v3, v3, v135
	v_add_f32_e32 v2, v2, v4
	;; [unrolled: 1-line block ×3, first 2 shown]
	s_waitcnt vmcnt(0)
	v_sub_f32_e32 v2, v143, v2
	v_sub_f32_e32 v3, v162, v3
	buffer_store_dword v2, off, s[0:3], 0 offset:160
	buffer_store_dword v3, off, s[0:3], 0 offset:164
	v_cmpx_lt_u32_e32 19, v0
	s_cbranch_execz .LBB51_287
; %bb.286:
	s_clause 0x1
	buffer_load_dword v2, off, s[0:3], 0 offset:152
	buffer_load_dword v3, off, s[0:3], 0 offset:156
	buffer_store_dword v1, off, s[0:3], 0 offset:152
	buffer_store_dword v1, off, s[0:3], 0 offset:156
	s_waitcnt vmcnt(0)
	ds_write_b64 v113, v[2:3]
.LBB51_287:
	s_or_b32 exec_lo, exec_lo, s4
	s_waitcnt lgkmcnt(0)
	s_waitcnt_vscnt null, 0x0
	s_barrier
	buffer_gl0_inv
	s_clause 0x23
	buffer_load_dword v3, off, s[0:3], 0 offset:164
	buffer_load_dword v4, off, s[0:3], 0 offset:172
	;; [unrolled: 1-line block ×36, first 2 shown]
	ds_read_b128 v[138:141], v1 offset:576
	ds_read_b128 v[142:145], v1 offset:592
	s_clause 0x1
	buffer_load_dword v159, off, s[0:3], 0 offset:292
	buffer_load_dword v160, off, s[0:3], 0 offset:300
	ds_read_b128 v[146:149], v1 offset:608
	ds_read_b128 v[150:153], v1 offset:624
	buffer_load_dword v161, off, s[0:3], 0 offset:156
	s_mov_b32 s4, exec_lo
	s_waitcnt vmcnt(38) lgkmcnt(3)
	v_mul_f32_e32 v162, v138, v3
	v_mul_f32_e32 v3, v139, v3
	s_waitcnt vmcnt(37)
	v_mul_f32_e32 v163, v140, v4
	v_mul_f32_e32 v4, v141, v4
	s_waitcnt vmcnt(36) lgkmcnt(2)
	v_mul_f32_e32 v164, v142, v5
	s_waitcnt vmcnt(33)
	v_fmac_f32_e32 v162, v139, v8
	v_fma_f32 v8, v138, v8, -v3
	v_mul_f32_e32 v3, v143, v5
	s_waitcnt vmcnt(32)
	v_mul_f32_e32 v5, v145, v7
	v_mul_f32_e32 v165, v144, v7
	v_fmac_f32_e32 v163, v141, v6
	v_fma_f32 v6, v140, v6, -v4
	v_fmac_f32_e32 v164, v143, v2
	v_fma_f32 v7, v142, v2, -v3
	s_waitcnt vmcnt(28)
	v_fma_f32 v142, v144, v121, -v5
	ds_read_b128 v[2:5], v1 offset:640
	ds_read_b128 v[138:141], v1 offset:656
	s_waitcnt vmcnt(27) lgkmcnt(3)
	v_mul_f32_e32 v143, v146, v120
	v_mul_f32_e32 v120, v147, v120
	v_fmac_f32_e32 v165, v145, v121
	s_waitcnt vmcnt(26)
	v_mul_f32_e32 v144, v148, v119
	v_mul_f32_e32 v119, v149, v119
	s_waitcnt vmcnt(25) lgkmcnt(2)
	v_mul_f32_e32 v145, v150, v117
	v_fmac_f32_e32 v143, v147, v116
	v_fma_f32 v146, v146, v116, -v120
	s_waitcnt vmcnt(24)
	v_mul_f32_e32 v147, v152, v118
	v_mul_f32_e32 v116, v151, v117
	;; [unrolled: 1-line block ×3, first 2 shown]
	v_fmac_f32_e32 v144, v149, v115
	v_fma_f32 v148, v148, v115, -v119
	v_fmac_f32_e32 v145, v151, v114
	s_waitcnt vmcnt(20)
	v_fmac_f32_e32 v147, v153, v129
	v_fma_f32 v149, v150, v114, -v116
	v_fma_f32 v129, v152, v129, -v117
	ds_read_b128 v[114:117], v1 offset:672
	ds_read_b128 v[118:121], v1 offset:688
	s_waitcnt vmcnt(19) lgkmcnt(3)
	v_mul_f32_e32 v150, v2, v127
	s_waitcnt vmcnt(18)
	v_mul_f32_e32 v151, v4, v128
	v_mul_f32_e32 v127, v3, v127
	;; [unrolled: 1-line block ×3, first 2 shown]
	buffer_load_dword v152, off, s[0:3], 0 offset:316
	v_fmac_f32_e32 v150, v3, v126
	v_fmac_f32_e32 v151, v5, v125
	v_fma_f32 v126, v2, v126, -v127
	v_fma_f32 v125, v4, v125, -v128
	s_clause 0x3
	buffer_load_dword v153, off, s[0:3], 0 offset:336
	buffer_load_dword v166, off, s[0:3], 0 offset:328
	;; [unrolled: 1-line block ×4, first 2 shown]
	s_waitcnt vmcnt(22) lgkmcnt(2)
	v_mul_f32_e32 v128, v138, v124
	v_mul_f32_e32 v2, v139, v124
	s_waitcnt vmcnt(21)
	v_mul_f32_e32 v3, v141, v123
	v_mul_f32_e32 v124, v140, v123
	v_fmac_f32_e32 v128, v139, v122
	v_fma_f32 v122, v138, v122, -v2
	buffer_load_dword v138, off, s[0:3], 0 offset:324
	s_waitcnt vmcnt(18)
	v_fma_f32 v123, v140, v137, -v3
	s_waitcnt vmcnt(17) lgkmcnt(1)
	v_mul_f32_e32 v140, v114, v135
	v_mul_f32_e32 v2, v115, v135
	v_fmac_f32_e32 v124, v141, v137
	s_clause 0x1
	buffer_load_dword v137, off, s[0:3], 0 offset:332
	buffer_load_dword v139, off, s[0:3], 0 offset:340
	s_waitcnt vmcnt(18)
	v_mul_f32_e32 v141, v116, v136
	v_mul_f32_e32 v3, v117, v136
	v_fmac_f32_e32 v140, v115, v133
	v_fma_f32 v133, v114, v133, -v2
	s_waitcnt vmcnt(16) lgkmcnt(0)
	v_mul_f32_e32 v2, v121, v132
	v_fmac_f32_e32 v141, v117, v131
	v_fma_f32 v131, v116, v131, -v3
	v_mul_f32_e32 v170, v120, v132
	v_add_f32_e32 v3, 0, v8
	s_waitcnt vmcnt(11)
	v_fma_f32 v132, v120, v158, -v2
	v_add_f32_e32 v2, 0, v162
	v_mul_f32_e32 v135, v118, v134
	v_mul_f32_e32 v4, v119, v134
	s_clause 0x5
	buffer_load_dword v134, off, s[0:3], 0 offset:348
	buffer_load_dword v136, off, s[0:3], 0 offset:356
	;; [unrolled: 1-line block ×6, first 2 shown]
	v_fmac_f32_e32 v170, v121, v158
	s_clause 0x2
	buffer_load_dword v158, off, s[0:3], 0 offset:396
	buffer_load_dword v173, off, s[0:3], 0 offset:404
	;; [unrolled: 1-line block ×3, first 2 shown]
	v_add_f32_e32 v2, v2, v163
	v_add_f32_e32 v3, v3, v6
	s_clause 0x3
	buffer_load_dword v6, off, s[0:3], 0 offset:368
	buffer_load_dword v162, off, s[0:3], 0 offset:360
	;; [unrolled: 1-line block ×4, first 2 shown]
	v_fmac_f32_e32 v135, v119, v130
	v_fma_f32 v130, v118, v130, -v4
	v_add_f32_e32 v2, v2, v164
	v_add_f32_e32 v3, v3, v7
	;; [unrolled: 1-line block ×4, first 2 shown]
	s_clause 0x3
	buffer_load_dword v7, off, s[0:3], 0 offset:400
	buffer_load_dword v142, off, s[0:3], 0 offset:392
	buffer_load_dword v164, off, s[0:3], 0 offset:384
	buffer_load_dword v165, off, s[0:3], 0 offset:376
	v_add_f32_e32 v2, v2, v143
	buffer_load_dword v143, off, s[0:3], 0 offset:408
	v_add_f32_e32 v3, v3, v146
	buffer_load_dword v146, off, s[0:3], 0 offset:152
	v_add_f32_e32 v2, v2, v144
	v_add_f32_e32 v3, v3, v148
	;; [unrolled: 1-line block ×4, first 2 shown]
	ds_read_b128 v[2:5], v1 offset:704
	v_add_f32_e32 v114, v114, v147
	v_add_f32_e32 v115, v115, v129
	;; [unrolled: 1-line block ×4, first 2 shown]
	ds_read_b128 v[114:117], v1 offset:720
	v_add_f32_e32 v118, v118, v151
	v_add_f32_e32 v119, v119, v125
	;; [unrolled: 1-line block ×4, first 2 shown]
	s_waitcnt vmcnt(29) lgkmcnt(1)
	v_mul_f32_e32 v144, v2, v159
	v_mul_f32_e32 v120, v3, v159
	s_waitcnt vmcnt(28)
	v_mul_f32_e32 v145, v4, v160
	v_mul_f32_e32 v121, v5, v160
	v_add_f32_e32 v124, v118, v124
	v_fmac_f32_e32 v144, v3, v157
	v_fma_f32 v147, v2, v157, -v120
	v_fmac_f32_e32 v145, v5, v156
	v_fma_f32 v148, v4, v156, -v121
	ds_read_b128 v[2:5], v1 offset:736
	ds_read_b128 v[118:121], v1 offset:752
	v_add_f32_e32 v122, v122, v123
	s_waitcnt lgkmcnt(2)
	v_mul_f32_e32 v149, v114, v155
	v_add_f32_e32 v123, v124, v140
	v_mul_f32_e32 v124, v115, v155
	v_add_f32_e32 v122, v122, v133
	v_fmac_f32_e32 v149, v115, v154
	v_add_f32_e32 v115, v123, v141
	v_fma_f32 v140, v114, v154, -v124
	v_add_f32_e32 v126, v122, v131
	v_add_f32_e32 v130, v126, v130
	s_waitcnt vmcnt(26)
	v_mul_f32_e32 v150, v116, v152
	v_mul_f32_e32 v125, v117, v152
	s_waitcnt vmcnt(22)
	v_fmac_f32_e32 v150, v117, v127
	v_fma_f32 v141, v116, v127, -v125
	v_add_f32_e32 v127, v115, v135
	ds_read_b128 v[114:117], v1 offset:768
	ds_read_b128 v[122:125], v1 offset:784
	v_add_f32_e32 v133, v127, v170
	s_waitcnt vmcnt(21) lgkmcnt(3)
	v_mul_f32_e32 v135, v2, v138
	v_mul_f32_e32 v131, v3, v138
	v_add_f32_e32 v138, v130, v132
	ds_read_b128 v[126:129], v1 offset:800
	v_fmac_f32_e32 v135, v3, v167
	v_fma_f32 v2, v2, v167, -v131
	v_add_f32_e32 v3, v133, v144
	ds_read_b128 v[130:133], v1 offset:816
	v_add_f32_e32 v1, v138, v147
	s_waitcnt vmcnt(20)
	v_mul_f32_e32 v138, v4, v137
	v_mul_f32_e32 v137, v5, v137
	v_add_f32_e32 v3, v3, v145
	s_waitcnt vmcnt(19) lgkmcnt(4)
	v_mul_f32_e32 v144, v118, v139
	v_add_f32_e32 v1, v1, v148
	v_mul_f32_e32 v139, v119, v139
	v_fma_f32 v4, v4, v166, -v137
	v_add_f32_e32 v3, v3, v149
	v_fmac_f32_e32 v138, v5, v166
	v_add_f32_e32 v1, v1, v140
	s_waitcnt vmcnt(18)
	v_mul_f32_e32 v145, v120, v134
	v_mul_f32_e32 v134, v121, v134
	v_add_f32_e32 v3, v3, v150
	v_fma_f32 v118, v118, v153, -v139
	v_add_f32_e32 v1, v1, v141
	v_fmac_f32_e32 v144, v119, v153
	s_waitcnt vmcnt(6)
	v_fma_f32 v119, v120, v174, -v134
	s_waitcnt lgkmcnt(3)
	v_mul_f32_e32 v5, v114, v136
	v_fmac_f32_e32 v145, v121, v174
	v_add_f32_e32 v1, v1, v2
	v_add_f32_e32 v2, v3, v135
	v_mul_f32_e32 v137, v116, v168
	v_fmac_f32_e32 v5, v115, v163
	s_waitcnt lgkmcnt(2)
	v_mul_f32_e32 v140, v122, v169
	v_add_f32_e32 v1, v1, v4
	v_add_f32_e32 v2, v2, v138
	v_mul_f32_e32 v4, v115, v136
	v_fmac_f32_e32 v137, v117, v162
	v_mul_f32_e32 v147, v124, v171
	v_add_f32_e32 v1, v1, v118
	v_add_f32_e32 v2, v2, v144
	v_mul_f32_e32 v118, v117, v168
	v_fma_f32 v4, v114, v163, -v4
	v_mul_f32_e32 v114, v123, v169
	v_add_f32_e32 v1, v1, v119
	v_add_f32_e32 v2, v2, v145
	v_fma_f32 v115, v116, v162, -v118
	v_fmac_f32_e32 v140, v123, v6
	s_waitcnt lgkmcnt(1)
	v_mul_f32_e32 v148, v126, v172
	v_add_f32_e32 v1, v1, v4
	v_add_f32_e32 v2, v2, v5
	v_mul_f32_e32 v4, v125, v171
	v_fma_f32 v5, v122, v6, -v114
	v_mul_f32_e32 v6, v127, v172
	v_add_f32_e32 v1, v1, v115
	v_add_f32_e32 v2, v2, v137
	s_waitcnt vmcnt(2)
	v_fma_f32 v4, v124, v165, -v4
	v_fmac_f32_e32 v147, v125, v165
	v_fma_f32 v6, v126, v164, -v6
	v_add_f32_e32 v1, v1, v5
	v_add_f32_e32 v2, v2, v140
	v_mul_f32_e32 v5, v129, v158
	v_mul_f32_e32 v141, v128, v158
	v_fmac_f32_e32 v148, v127, v164
	v_add_f32_e32 v1, v1, v4
	v_add_f32_e32 v2, v2, v147
	s_waitcnt lgkmcnt(0)
	v_mul_f32_e32 v4, v131, v173
	v_fma_f32 v5, v128, v142, -v5
	v_mul_f32_e32 v149, v130, v173
	v_add_f32_e32 v1, v1, v6
	v_fmac_f32_e32 v141, v129, v142
	v_add_f32_e32 v2, v2, v148
	v_mul_f32_e32 v6, v133, v8
	v_fma_f32 v4, v130, v7, -v4
	v_add_f32_e32 v1, v1, v5
	v_mul_f32_e32 v3, v132, v8
	v_fmac_f32_e32 v149, v131, v7
	v_add_f32_e32 v2, v2, v141
	s_waitcnt vmcnt(1)
	v_fma_f32 v5, v132, v143, -v6
	v_add_f32_e32 v1, v1, v4
	v_fmac_f32_e32 v3, v133, v143
	v_add_f32_e32 v2, v2, v149
	v_add_f32_e32 v1, v1, v5
	;; [unrolled: 1-line block ×3, first 2 shown]
	s_waitcnt vmcnt(0)
	v_sub_f32_e32 v1, v146, v1
	v_sub_f32_e32 v2, v161, v2
	buffer_store_dword v1, off, s[0:3], 0 offset:152
	buffer_store_dword v2, off, s[0:3], 0 offset:156
	v_cmpx_lt_u32_e32 18, v0
	s_cbranch_execz .LBB51_289
; %bb.288:
	s_clause 0x1
	buffer_load_dword v1, off, s[0:3], 0 offset:144
	buffer_load_dword v2, off, s[0:3], 0 offset:148
	v_mov_b32_e32 v3, 0
	buffer_store_dword v3, off, s[0:3], 0 offset:144
	buffer_store_dword v3, off, s[0:3], 0 offset:148
	s_waitcnt vmcnt(0)
	ds_write_b64 v113, v[1:2]
.LBB51_289:
	s_or_b32 exec_lo, exec_lo, s4
	s_waitcnt lgkmcnt(0)
	s_waitcnt_vscnt null, 0x0
	s_barrier
	buffer_gl0_inv
	s_clause 0x23
	buffer_load_dword v115, off, s[0:3], 0 offset:156
	buffer_load_dword v117, off, s[0:3], 0 offset:164
	;; [unrolled: 1-line block ×36, first 2 shown]
	v_mov_b32_e32 v114, 0
	ds_read2_b64 v[5:8], v114 offset0:71 offset1:72
	ds_read2_b64 v[1:4], v114 offset0:73 offset1:74
	buffer_load_dword v159, off, s[0:3], 0 offset:148
	ds_read2_b64 v[151:154], v114 offset0:75 offset1:76
	ds_read2_b64 v[155:158], v114 offset0:77 offset1:78
	s_mov_b32 s4, exec_lo
	s_waitcnt vmcnt(36) lgkmcnt(3)
	v_mul_f32_e32 v160, v5, v115
	s_waitcnt vmcnt(35)
	v_mul_f32_e32 v161, v7, v117
	v_mul_f32_e32 v115, v6, v115
	;; [unrolled: 1-line block ×3, first 2 shown]
	s_waitcnt vmcnt(34) lgkmcnt(2)
	v_mul_f32_e32 v162, v1, v118
	v_mul_f32_e32 v118, v2, v118
	s_waitcnt vmcnt(30)
	v_mul_f32_e32 v163, v3, v119
	v_mul_f32_e32 v119, v4, v119
	v_fmac_f32_e32 v160, v6, v121
	v_fmac_f32_e32 v161, v8, v120
	v_fma_f32 v121, v5, v121, -v115
	v_fma_f32 v120, v7, v120, -v117
	ds_read2_b64 v[5:8], v114 offset0:79 offset1:80
	v_fmac_f32_e32 v162, v2, v116
	v_fma_f32 v164, v1, v116, -v118
	ds_read2_b64 v[115:118], v114 offset0:81 offset1:82
	s_waitcnt vmcnt(26)
	v_fmac_f32_e32 v163, v4, v130
	v_fma_f32 v119, v3, v130, -v119
	s_waitcnt vmcnt(25) lgkmcnt(3)
	v_mul_f32_e32 v130, v151, v128
	s_waitcnt vmcnt(24)
	v_mul_f32_e32 v165, v153, v129
	v_mul_f32_e32 v1, v152, v128
	;; [unrolled: 1-line block ×3, first 2 shown]
	s_clause 0x1
	buffer_load_dword v128, off, s[0:3], 0 offset:292
	buffer_load_dword v129, off, s[0:3], 0 offset:300
	v_fmac_f32_e32 v130, v152, v125
	v_fmac_f32_e32 v165, v154, v123
	v_fma_f32 v125, v151, v125, -v1
	v_fma_f32 v123, v153, v123, -v2
	ds_read2_b64 v[1:4], v114 offset0:83 offset1:84
	s_waitcnt vmcnt(25) lgkmcnt(3)
	v_mul_f32_e32 v151, v155, v126
	v_mul_f32_e32 v126, v156, v126
	s_waitcnt vmcnt(24)
	v_mul_f32_e32 v152, v157, v124
	v_mul_f32_e32 v124, v158, v124
	s_waitcnt vmcnt(23) lgkmcnt(2)
	v_mul_f32_e32 v153, v5, v127
	v_fmac_f32_e32 v151, v156, v122
	v_fma_f32 v122, v155, v122, -v126
	s_waitcnt vmcnt(22)
	v_mul_f32_e32 v126, v7, v131
	v_mul_f32_e32 v127, v6, v127
	;; [unrolled: 1-line block ×3, first 2 shown]
	s_waitcnt vmcnt(18)
	v_fma_f32 v124, v157, v138, -v124
	v_fmac_f32_e32 v153, v6, v136
	v_fmac_f32_e32 v126, v8, v135
	v_fma_f32 v127, v5, v136, -v127
	v_fma_f32 v131, v7, v135, -v131
	s_clause 0x5
	buffer_load_dword v135, off, s[0:3], 0 offset:308
	buffer_load_dword v136, off, s[0:3], 0 offset:316
	;; [unrolled: 1-line block ×6, first 2 shown]
	v_fmac_f32_e32 v152, v158, v138
	s_waitcnt vmcnt(23) lgkmcnt(1)
	v_mul_f32_e32 v138, v115, v137
	v_mul_f32_e32 v137, v116, v137
	s_waitcnt vmcnt(22)
	v_mul_f32_e32 v158, v117, v133
	v_mul_f32_e32 v133, v118, v133
	ds_read2_b64 v[5:8], v114 offset0:85 offset1:86
	v_fmac_f32_e32 v138, v116, v132
	v_fma_f32 v115, v115, v132, -v137
	s_waitcnt vmcnt(18)
	v_fmac_f32_e32 v158, v118, v149
	v_fma_f32 v116, v117, v149, -v133
	s_waitcnt vmcnt(17) lgkmcnt(1)
	v_mul_f32_e32 v117, v1, v147
	v_mul_f32_e32 v118, v2, v147
	s_clause 0x1
	buffer_load_dword v137, off, s[0:3], 0 offset:324
	buffer_load_dword v147, off, s[0:3], 0 offset:332
	v_add_f32_e32 v121, 0, v121
	s_waitcnt vmcnt(18)
	v_mul_f32_e32 v132, v3, v148
	v_mul_f32_e32 v133, v4, v148
	v_fma_f32 v118, v1, v144, -v118
	v_add_f32_e32 v1, 0, v160
	v_add_f32_e32 v120, v121, v120
	v_fmac_f32_e32 v117, v2, v144
	v_fmac_f32_e32 v132, v4, v143
	v_fma_f32 v133, v3, v143, -v133
	v_add_f32_e32 v160, v1, v161
	s_clause 0x3
	buffer_load_dword v143, off, s[0:3], 0 offset:340
	buffer_load_dword v144, off, s[0:3], 0 offset:348
	;; [unrolled: 1-line block ×4, first 2 shown]
	ds_read2_b64 v[1:4], v114 offset0:87 offset1:88
	s_waitcnt vmcnt(21) lgkmcnt(1)
	v_mul_f32_e32 v161, v5, v142
	v_mul_f32_e32 v121, v6, v142
	v_add_f32_e32 v142, v160, v162
	s_waitcnt vmcnt(20)
	v_mul_f32_e32 v160, v7, v141
	v_mul_f32_e32 v141, v8, v141
	v_fmac_f32_e32 v161, v6, v139
	v_fma_f32 v139, v5, v139, -v121
	v_add_f32_e32 v5, v142, v163
	v_add_f32_e32 v120, v120, v164
	s_clause 0x3
	buffer_load_dword v142, off, s[0:3], 0 offset:372
	buffer_load_dword v162, off, s[0:3], 0 offset:380
	;; [unrolled: 1-line block ×4, first 2 shown]
	s_waitcnt vmcnt(20)
	v_fmac_f32_e32 v160, v8, v150
	v_fma_f32 v141, v7, v150, -v141
	v_add_f32_e32 v5, v5, v130
	s_clause 0x5
	buffer_load_dword v150, off, s[0:3], 0 offset:404
	buffer_load_dword v130, off, s[0:3], 0 offset:360
	;; [unrolled: 1-line block ×6, first 2 shown]
	v_add_f32_e32 v6, v120, v119
	v_add_f32_e32 v5, v5, v165
	s_waitcnt vmcnt(25) lgkmcnt(0)
	v_mul_f32_e32 v121, v2, v146
	v_add_f32_e32 v6, v6, v125
	v_add_f32_e32 v120, v5, v151
	v_mul_f32_e32 v151, v1, v146
	v_add_f32_e32 v119, v6, v123
	ds_read2_b64 v[5:8], v114 offset0:89 offset1:90
	v_add_f32_e32 v120, v120, v152
	v_fmac_f32_e32 v151, v2, v145
	v_fma_f32 v123, v1, v145, -v121
	v_add_f32_e32 v119, v119, v122
	v_add_f32_e32 v2, v120, v153
	s_clause 0x5
	buffer_load_dword v145, off, s[0:3], 0 offset:392
	buffer_load_dword v146, off, s[0:3], 0 offset:384
	;; [unrolled: 1-line block ×6, first 2 shown]
	v_add_f32_e32 v1, v119, v124
	v_add_f32_e32 v2, v2, v126
	;; [unrolled: 1-line block ×5, first 2 shown]
	buffer_load_dword v131, off, s[0:3], 0 offset:144
	v_add_f32_e32 v119, v119, v158
	v_add_f32_e32 v115, v1, v115
	;; [unrolled: 1-line block ×6, first 2 shown]
	ds_read2_b64 v[115:118], v114 offset0:93 offset1:94
	v_add_f32_e32 v125, v125, v161
	v_add_f32_e32 v124, v121, v133
	;; [unrolled: 1-line block ×4, first 2 shown]
	s_waitcnt vmcnt(30)
	v_mul_f32_e32 v138, v3, v128
	v_mul_f32_e32 v2, v4, v128
	s_waitcnt vmcnt(29) lgkmcnt(1)
	v_mul_f32_e32 v120, v6, v129
	v_fmac_f32_e32 v138, v4, v140
	v_fma_f32 v127, v3, v140, -v2
	ds_read2_b64 v[1:4], v114 offset0:91 offset1:92
	v_mul_f32_e32 v140, v5, v129
	v_fmac_f32_e32 v140, v6, v134
	v_fma_f32 v134, v5, v134, -v120
	s_waitcnt vmcnt(28)
	v_mul_f32_e32 v129, v7, v135
	v_mul_f32_e32 v122, v8, v135
	s_waitcnt vmcnt(23)
	v_fmac_f32_e32 v129, v8, v157
	v_fma_f32 v133, v7, v157, -v122
	ds_read2_b64 v[5:8], v114 offset0:95 offset1:96
	ds_read2_b64 v[119:122], v114 offset0:97 offset1:98
	s_waitcnt lgkmcnt(2)
	v_mul_f32_e32 v126, v2, v136
	v_mul_f32_e32 v132, v1, v136
	v_fma_f32 v136, v1, v156, -v126
	v_add_f32_e32 v1, v125, v160
	s_waitcnt vmcnt(22)
	v_mul_f32_e32 v135, v3, v137
	v_mul_f32_e32 v128, v4, v137
	v_add_f32_e32 v137, v124, v123
	v_fmac_f32_e32 v132, v2, v156
	v_add_f32_e32 v141, v1, v151
	v_fmac_f32_e32 v135, v4, v155
	v_fma_f32 v139, v3, v155, -v128
	v_add_f32_e32 v137, v137, v127
	s_waitcnt vmcnt(21)
	v_mul_f32_e32 v151, v115, v147
	v_add_f32_e32 v138, v141, v138
	s_waitcnt vmcnt(20)
	v_mul_f32_e32 v141, v117, v143
	v_mul_f32_e32 v143, v118, v143
	v_add_f32_e32 v134, v137, v134
	v_mul_f32_e32 v137, v116, v147
	v_add_f32_e32 v138, v138, v140
	v_fmac_f32_e32 v151, v116, v154
	ds_read2_b64 v[123:126], v114 offset0:99 offset1:100
	ds_read2_b64 v[1:4], v114 offset0:101 offset1:102
	v_add_f32_e32 v133, v134, v133
	v_add_f32_e32 v129, v138, v129
	v_fma_f32 v115, v115, v154, -v137
	s_waitcnt vmcnt(19) lgkmcnt(3)
	v_mul_f32_e32 v140, v5, v144
	s_waitcnt vmcnt(18)
	v_mul_f32_e32 v134, v7, v148
	v_add_f32_e32 v133, v133, v136
	v_add_f32_e32 v129, v129, v132
	s_waitcnt vmcnt(17) lgkmcnt(2)
	v_mul_f32_e32 v147, v119, v149
	s_waitcnt vmcnt(9)
	v_fmac_f32_e32 v140, v6, v167
	s_waitcnt vmcnt(8)
	v_fma_f32 v117, v117, v168, -v143
	v_add_f32_e32 v133, v133, v139
	v_add_f32_e32 v129, v129, v135
	v_mul_f32_e32 v139, v6, v144
	v_fmac_f32_e32 v141, v118, v168
	v_fmac_f32_e32 v134, v8, v166
	v_add_f32_e32 v115, v133, v115
	v_add_f32_e32 v118, v129, v151
	v_mul_f32_e32 v129, v8, v148
	v_fma_f32 v5, v5, v167, -v139
	v_mul_f32_e32 v8, v122, v142
	v_add_f32_e32 v6, v115, v117
	v_add_f32_e32 v115, v118, v141
	v_mul_f32_e32 v117, v120, v149
	v_fma_f32 v7, v7, v166, -v129
	v_mul_f32_e32 v138, v121, v142
	v_add_f32_e32 v5, v6, v5
	v_add_f32_e32 v6, v115, v140
	v_fma_f32 v115, v119, v130, -v117
	v_fmac_f32_e32 v147, v120, v130
	ds_read_b64 v[127:128], v114 offset:824
	v_add_f32_e32 v5, v5, v7
	v_add_f32_e32 v6, v6, v134
	s_waitcnt lgkmcnt(2)
	v_mul_f32_e32 v7, v124, v162
	s_waitcnt vmcnt(3)
	v_fma_f32 v8, v121, v153, -v8
	v_mul_f32_e32 v136, v123, v162
	v_add_f32_e32 v5, v5, v115
	v_fmac_f32_e32 v138, v122, v153
	v_add_f32_e32 v6, v6, v147
	v_mul_f32_e32 v115, v126, v163
	v_fma_f32 v7, v123, v152, -v7
	v_add_f32_e32 v5, v5, v8
	v_mul_f32_e32 v116, v125, v163
	v_fmac_f32_e32 v136, v124, v152
	v_add_f32_e32 v6, v6, v138
	s_waitcnt lgkmcnt(1)
	v_mul_f32_e32 v132, v1, v164
	v_mul_f32_e32 v8, v2, v164
	v_fma_f32 v115, v125, v146, -v115
	v_add_f32_e32 v5, v5, v7
	v_fmac_f32_e32 v116, v126, v146
	v_add_f32_e32 v6, v6, v136
	v_mul_f32_e32 v7, v4, v150
	v_fmac_f32_e32 v132, v2, v145
	v_fma_f32 v1, v1, v145, -v8
	v_add_f32_e32 v2, v5, v115
	v_mul_f32_e32 v137, v3, v150
	v_add_f32_e32 v5, v6, v116
	s_waitcnt lgkmcnt(0)
	v_mul_f32_e32 v6, v128, v169
	s_waitcnt vmcnt(1)
	v_fma_f32 v3, v3, v170, -v7
	v_add_f32_e32 v1, v2, v1
	v_mul_f32_e32 v135, v127, v169
	v_fmac_f32_e32 v137, v4, v170
	v_add_f32_e32 v2, v5, v132
	v_fma_f32 v4, v127, v165, -v6
	v_add_f32_e32 v1, v1, v3
	v_fmac_f32_e32 v135, v128, v165
	v_add_f32_e32 v2, v2, v137
	v_add_f32_e32 v1, v1, v4
	;; [unrolled: 1-line block ×3, first 2 shown]
	s_waitcnt vmcnt(0)
	v_sub_f32_e32 v1, v131, v1
	v_sub_f32_e32 v2, v159, v2
	buffer_store_dword v1, off, s[0:3], 0 offset:144
	buffer_store_dword v2, off, s[0:3], 0 offset:148
	v_cmpx_lt_u32_e32 17, v0
	s_cbranch_execz .LBB51_291
; %bb.290:
	s_clause 0x1
	buffer_load_dword v1, off, s[0:3], 0 offset:136
	buffer_load_dword v2, off, s[0:3], 0 offset:140
	buffer_store_dword v114, off, s[0:3], 0 offset:136
	buffer_store_dword v114, off, s[0:3], 0 offset:140
	s_waitcnt vmcnt(0)
	ds_write_b64 v113, v[1:2]
.LBB51_291:
	s_or_b32 exec_lo, exec_lo, s4
	s_waitcnt lgkmcnt(0)
	s_waitcnt_vscnt null, 0x0
	s_barrier
	buffer_gl0_inv
	s_clause 0x23
	buffer_load_dword v149, off, s[0:3], 0 offset:148
	buffer_load_dword v150, off, s[0:3], 0 offset:156
	;; [unrolled: 1-line block ×36, first 2 shown]
	ds_read_b128 v[5:8], v114 offset:560
	ds_read_b128 v[1:4], v114 offset:576
	;; [unrolled: 1-line block ×3, first 2 shown]
	s_clause 0x1
	buffer_load_dword v159, off, s[0:3], 0 offset:284
	buffer_load_dword v160, off, s[0:3], 0 offset:292
	ds_read_b128 v[155:158], v114 offset:608
	buffer_load_dword v163, off, s[0:3], 0 offset:140
	s_mov_b32 s4, exec_lo
	s_waitcnt vmcnt(38) lgkmcnt(3)
	v_mul_f32_e32 v161, v5, v149
	s_waitcnt vmcnt(37)
	v_mul_f32_e32 v162, v7, v150
	v_mul_f32_e32 v149, v6, v149
	;; [unrolled: 1-line block ×3, first 2 shown]
	s_waitcnt vmcnt(34)
	v_fmac_f32_e32 v161, v6, v121
	v_fmac_f32_e32 v162, v8, v120
	v_fma_f32 v121, v5, v121, -v149
	v_fma_f32 v120, v7, v120, -v150
	ds_read_b128 v[5:8], v114 offset:624
	s_waitcnt vmcnt(33) lgkmcnt(3)
	v_mul_f32_e32 v149, v1, v118
	v_mul_f32_e32 v118, v2, v118
	s_waitcnt vmcnt(32)
	v_mul_f32_e32 v150, v3, v117
	v_mul_f32_e32 v117, v4, v117
	s_waitcnt vmcnt(31) lgkmcnt(2)
	v_mul_f32_e32 v164, v151, v116
	v_fmac_f32_e32 v149, v2, v115
	v_fma_f32 v165, v1, v115, -v118
	s_waitcnt vmcnt(30)
	v_mul_f32_e32 v166, v153, v119
	v_mul_f32_e32 v115, v152, v116
	;; [unrolled: 1-line block ×3, first 2 shown]
	s_waitcnt vmcnt(26)
	v_fmac_f32_e32 v150, v4, v127
	v_fma_f32 v119, v3, v127, -v117
	ds_read_b128 v[1:4], v114 offset:640
	v_fmac_f32_e32 v164, v152, v126
	v_fma_f32 v126, v151, v126, -v115
	s_waitcnt vmcnt(25) lgkmcnt(2)
	v_mul_f32_e32 v127, v155, v123
	s_waitcnt vmcnt(24)
	v_mul_f32_e32 v151, v157, v124
	v_mul_f32_e32 v123, v156, v123
	;; [unrolled: 1-line block ×3, first 2 shown]
	v_fmac_f32_e32 v166, v154, v125
	v_fma_f32 v125, v153, v125, -v116
	ds_read_b128 v[115:118], v114 offset:656
	v_fmac_f32_e32 v127, v156, v122
	s_waitcnt vmcnt(19)
	v_fmac_f32_e32 v151, v158, v138
	v_fma_f32 v122, v155, v122, -v123
	v_fma_f32 v123, v157, v138, -v124
	s_clause 0x4
	buffer_load_dword v124, off, s[0:3], 0 offset:300
	buffer_load_dword v138, off, s[0:3], 0 offset:320
	;; [unrolled: 1-line block ×5, first 2 shown]
	s_waitcnt lgkmcnt(2)
	v_mul_f32_e32 v152, v5, v128
	v_mul_f32_e32 v128, v6, v128
	s_waitcnt vmcnt(23)
	v_mul_f32_e32 v156, v7, v134
	v_mul_f32_e32 v134, v8, v134
	v_fmac_f32_e32 v152, v6, v133
	v_fma_f32 v5, v5, v133, -v128
	s_waitcnt vmcnt(22) lgkmcnt(1)
	v_mul_f32_e32 v128, v1, v131
	v_fmac_f32_e32 v156, v8, v130
	v_fma_f32 v130, v7, v130, -v134
	s_waitcnt vmcnt(21)
	v_mul_f32_e32 v133, v3, v132
	v_mul_f32_e32 v6, v2, v131
	;; [unrolled: 1-line block ×3, first 2 shown]
	s_clause 0x2
	buffer_load_dword v131, off, s[0:3], 0 offset:308
	buffer_load_dword v132, off, s[0:3], 0 offset:316
	buffer_load_dword v134, off, s[0:3], 0 offset:324
	v_fmac_f32_e32 v128, v2, v129
	s_waitcnt vmcnt(20)
	v_fmac_f32_e32 v133, v4, v147
	v_fma_f32 v129, v1, v129, -v6
	v_fma_f32 v147, v3, v147, -v7
	ds_read_b128 v[1:4], v114 offset:672
	v_add_f32_e32 v6, 0, v161
	v_add_f32_e32 v7, 0, v121
	s_waitcnt vmcnt(19) lgkmcnt(1)
	v_mul_f32_e32 v157, v115, v144
	s_waitcnt vmcnt(18)
	v_mul_f32_e32 v158, v117, v145
	v_mul_f32_e32 v8, v116, v144
	v_add_f32_e32 v6, v6, v162
	v_mul_f32_e32 v121, v118, v145
	v_add_f32_e32 v7, v7, v120
	v_fmac_f32_e32 v157, v116, v142
	v_fmac_f32_e32 v158, v118, v141
	v_add_f32_e32 v6, v6, v149
	v_fma_f32 v115, v115, v142, -v8
	v_fma_f32 v120, v117, v141, -v121
	v_add_f32_e32 v7, v7, v165
	s_clause 0x7
	buffer_load_dword v141, off, s[0:3], 0 offset:332
	buffer_load_dword v142, off, s[0:3], 0 offset:340
	;; [unrolled: 1-line block ×8, first 2 shown]
	v_add_f32_e32 v6, v6, v150
	v_add_f32_e32 v7, v7, v119
	s_waitcnt vmcnt(25) lgkmcnt(0)
	v_mul_f32_e32 v8, v2, v139
	v_mul_f32_e32 v121, v1, v139
	s_clause 0x3
	buffer_load_dword v139, off, s[0:3], 0 offset:364
	buffer_load_dword v150, off, s[0:3], 0 offset:372
	;; [unrolled: 1-line block ×4, first 2 shown]
	v_fma_f32 v119, v1, v136, -v8
	v_add_f32_e32 v1, v6, v164
	v_fmac_f32_e32 v121, v2, v136
	v_add_f32_e32 v6, v7, v126
	s_waitcnt vmcnt(28)
	v_mul_f32_e32 v126, v3, v137
	v_mul_f32_e32 v2, v4, v137
	v_add_f32_e32 v7, v1, v166
	s_clause 0x2
	buffer_load_dword v136, off, s[0:3], 0 offset:396
	buffer_load_dword v164, off, s[0:3], 0 offset:404
	;; [unrolled: 1-line block ×3, first 2 shown]
	s_waitcnt vmcnt(27)
	v_fmac_f32_e32 v126, v4, v148
	v_fma_f32 v148, v3, v148, -v2
	ds_read_b128 v[1:4], v114 offset:688
	v_add_f32_e32 v7, v7, v127
	v_add_f32_e32 v6, v6, v125
	;; [unrolled: 1-line block ×3, first 2 shown]
	s_clause 0x3
	buffer_load_dword v151, off, s[0:3], 0 offset:384
	buffer_load_dword v166, off, s[0:3], 0 offset:376
	;; [unrolled: 1-line block ×4, first 2 shown]
	v_add_f32_e32 v6, v6, v122
	v_add_f32_e32 v116, v7, v152
	;; [unrolled: 1-line block ×5, first 2 shown]
	ds_read_b128 v[5:8], v114 offset:704
	s_waitcnt vmcnt(30) lgkmcnt(1)
	v_mul_f32_e32 v123, v1, v146
	v_mul_f32_e32 v118, v2, v146
	s_waitcnt vmcnt(29)
	v_mul_f32_e32 v127, v3, v159
	v_fmac_f32_e32 v123, v2, v143
	v_fma_f32 v125, v1, v143, -v118
	s_clause 0x3
	buffer_load_dword v143, off, s[0:3], 0 offset:408
	buffer_load_dword v146, off, s[0:3], 0 offset:400
	;; [unrolled: 1-line block ×4, first 2 shown]
	v_add_f32_e32 v1, v117, v130
	v_add_f32_e32 v2, v116, v128
	v_mul_f32_e32 v116, v4, v159
	v_fmac_f32_e32 v127, v4, v140
	v_add_f32_e32 v1, v1, v129
	v_add_f32_e32 v2, v2, v133
	v_fma_f32 v128, v3, v140, -v116
	v_add_f32_e32 v117, v1, v147
	v_add_f32_e32 v122, v2, v157
	ds_read_b128 v[1:4], v114 offset:720
	s_waitcnt vmcnt(32) lgkmcnt(1)
	v_mul_f32_e32 v130, v5, v160
	v_mul_f32_e32 v133, v6, v160
	v_add_f32_e32 v129, v117, v115
	ds_read_b128 v[115:118], v114 offset:736
	v_add_f32_e32 v122, v122, v158
	v_fmac_f32_e32 v130, v6, v135
	v_fma_f32 v133, v5, v135, -v133
	v_add_f32_e32 v120, v129, v120
	v_add_f32_e32 v129, v122, v121
	;; [unrolled: 1-line block ×5, first 2 shown]
	s_waitcnt vmcnt(30)
	v_mul_f32_e32 v140, v7, v124
	v_mul_f32_e32 v124, v8, v124
	s_waitcnt vmcnt(26)
	v_fmac_f32_e32 v140, v8, v155
	v_fma_f32 v135, v7, v155, -v124
	v_add_f32_e32 v124, v120, v119
	ds_read_b128 v[5:8], v114 offset:752
	ds_read_b128 v[119:122], v114 offset:768
	v_add_f32_e32 v124, v124, v148
	s_waitcnt vmcnt(25) lgkmcnt(3)
	v_mul_f32_e32 v147, v1, v131
	v_mul_f32_e32 v129, v2, v131
	s_waitcnt vmcnt(24)
	v_mul_f32_e32 v148, v3, v132
	v_mul_f32_e32 v131, v4, v132
	s_waitcnt vmcnt(23) lgkmcnt(2)
	v_mul_f32_e32 v132, v115, v134
	v_fmac_f32_e32 v147, v2, v154
	v_fma_f32 v154, v1, v154, -v129
	v_add_f32_e32 v129, v124, v125
	v_fmac_f32_e32 v148, v4, v153
	v_fma_f32 v131, v3, v153, -v131
	v_mul_f32_e32 v134, v116, v134
	ds_read_b128 v[1:4], v114 offset:784
	ds_read_b128 v[123:126], v114 offset:800
	v_add_f32_e32 v153, v129, v128
	v_fmac_f32_e32 v132, v116, v138
	v_add_f32_e32 v116, v127, v130
	ds_read_b128 v[127:130], v114 offset:816
	v_fma_f32 v115, v115, v138, -v134
	v_add_f32_e32 v114, v153, v133
	s_waitcnt vmcnt(22)
	v_mul_f32_e32 v134, v118, v141
	v_add_f32_e32 v116, v116, v140
	v_mul_f32_e32 v133, v117, v141
	s_waitcnt vmcnt(21) lgkmcnt(4)
	v_mul_f32_e32 v138, v5, v142
	v_add_f32_e32 v114, v114, v135
	v_mul_f32_e32 v140, v6, v142
	v_add_f32_e32 v116, v116, v147
	s_waitcnt vmcnt(15)
	v_fma_f32 v117, v117, v165, -v134
	v_fmac_f32_e32 v133, v118, v165
	v_add_f32_e32 v114, v114, v154
	v_fmac_f32_e32 v138, v6, v162
	v_add_f32_e32 v116, v116, v148
	v_fma_f32 v5, v5, v162, -v140
	v_mul_f32_e32 v135, v7, v144
	v_add_f32_e32 v114, v114, v131
	v_mul_f32_e32 v131, v8, v144
	s_waitcnt lgkmcnt(3)
	v_mul_f32_e32 v118, v119, v145
	s_waitcnt vmcnt(14)
	v_mul_f32_e32 v134, v121, v139
	v_fmac_f32_e32 v135, v8, v161
	v_add_f32_e32 v114, v114, v115
	v_add_f32_e32 v115, v116, v132
	v_fma_f32 v7, v7, v161, -v131
	v_mul_f32_e32 v8, v122, v139
	v_fmac_f32_e32 v118, v120, v149
	v_add_f32_e32 v6, v114, v117
	v_add_f32_e32 v114, v115, v133
	v_mul_f32_e32 v115, v120, v145
	s_waitcnt vmcnt(13) lgkmcnt(2)
	v_mul_f32_e32 v141, v1, v150
	s_waitcnt vmcnt(12)
	v_mul_f32_e32 v142, v3, v167
	v_add_f32_e32 v5, v6, v5
	v_add_f32_e32 v6, v114, v138
	v_fma_f32 v114, v119, v149, -v115
	s_waitcnt vmcnt(4)
	v_fma_f32 v8, v121, v170, -v8
	v_fmac_f32_e32 v134, v122, v170
	v_add_f32_e32 v5, v5, v7
	v_add_f32_e32 v6, v6, v135
	v_mul_f32_e32 v7, v2, v150
	v_fmac_f32_e32 v141, v2, v169
	s_waitcnt lgkmcnt(1)
	v_mul_f32_e32 v147, v123, v168
	v_add_f32_e32 v5, v5, v114
	v_add_f32_e32 v6, v6, v118
	v_mul_f32_e32 v114, v4, v167
	v_fma_f32 v1, v1, v169, -v7
	v_fmac_f32_e32 v142, v4, v166
	v_add_f32_e32 v2, v5, v8
	v_add_f32_e32 v5, v6, v134
	v_mul_f32_e32 v6, v124, v168
	v_fma_f32 v3, v3, v166, -v114
	v_mul_f32_e32 v4, v126, v136
	v_add_f32_e32 v1, v2, v1
	v_add_f32_e32 v2, v5, v141
	v_fma_f32 v5, v123, v151, -v6
	v_mul_f32_e32 v144, v125, v136
	v_fmac_f32_e32 v147, v124, v151
	v_add_f32_e32 v1, v1, v3
	v_add_f32_e32 v2, v2, v142
	s_waitcnt lgkmcnt(0)
	v_mul_f32_e32 v3, v128, v164
	s_waitcnt vmcnt(1)
	v_fma_f32 v4, v125, v152, -v4
	v_mul_f32_e32 v148, v127, v164
	v_add_f32_e32 v1, v1, v5
	v_fmac_f32_e32 v144, v126, v152
	v_add_f32_e32 v2, v2, v147
	v_mul_f32_e32 v5, v130, v137
	v_fma_f32 v3, v127, v146, -v3
	v_add_f32_e32 v1, v1, v4
	v_mul_f32_e32 v116, v129, v137
	v_fmac_f32_e32 v148, v128, v146
	v_add_f32_e32 v2, v2, v144
	v_fma_f32 v4, v129, v143, -v5
	v_add_f32_e32 v1, v1, v3
	v_fmac_f32_e32 v116, v130, v143
	v_add_f32_e32 v2, v2, v148
	v_add_f32_e32 v1, v1, v4
	;; [unrolled: 1-line block ×3, first 2 shown]
	s_waitcnt vmcnt(0)
	v_sub_f32_e32 v1, v156, v1
	v_sub_f32_e32 v2, v163, v2
	buffer_store_dword v1, off, s[0:3], 0 offset:136
	buffer_store_dword v2, off, s[0:3], 0 offset:140
	v_cmpx_lt_u32_e32 16, v0
	s_cbranch_execz .LBB51_293
; %bb.292:
	s_clause 0x1
	buffer_load_dword v1, off, s[0:3], 0 offset:128
	buffer_load_dword v2, off, s[0:3], 0 offset:132
	v_mov_b32_e32 v3, 0
	buffer_store_dword v3, off, s[0:3], 0 offset:128
	buffer_store_dword v3, off, s[0:3], 0 offset:132
	s_waitcnt vmcnt(0)
	ds_write_b64 v113, v[1:2]
.LBB51_293:
	s_or_b32 exec_lo, exec_lo, s4
	s_waitcnt lgkmcnt(0)
	s_waitcnt_vscnt null, 0x0
	s_barrier
	buffer_gl0_inv
	s_clause 0x2a
	buffer_load_dword v7, off, s[0:3], 0 offset:140
	buffer_load_dword v8, off, s[0:3], 0 offset:148
	;; [unrolled: 1-line block ×43, first 2 shown]
	v_mov_b32_e32 v1, 0
	ds_read2_b64 v[146:149], v1 offset0:69 offset1:70
	ds_read2_b64 v[150:153], v1 offset0:71 offset1:72
	;; [unrolled: 1-line block ×3, first 2 shown]
	buffer_load_dword v164, off, s[0:3], 0 offset:132
	s_mov_b32 s4, exec_lo
	s_waitcnt vmcnt(43) lgkmcnt(2)
	v_mul_f32_e32 v162, v146, v7
	s_waitcnt vmcnt(42)
	v_mul_f32_e32 v163, v148, v8
	v_mul_f32_e32 v7, v147, v7
	;; [unrolled: 1-line block ×3, first 2 shown]
	s_waitcnt vmcnt(39)
	v_fmac_f32_e32 v162, v147, v6
	v_fmac_f32_e32 v163, v149, v5
	v_fma_f32 v165, v146, v6, -v7
	v_fma_f32 v166, v148, v5, -v8
	ds_read2_b64 v[5:8], v1 offset0:75 offset1:76
	ds_read2_b64 v[146:149], v1 offset0:77 offset1:78
	s_waitcnt vmcnt(38) lgkmcnt(3)
	v_mul_f32_e32 v167, v150, v3
	v_mul_f32_e32 v3, v151, v3
	s_waitcnt vmcnt(37)
	v_mul_f32_e32 v168, v152, v4
	v_mul_f32_e32 v4, v153, v4
	s_waitcnt vmcnt(32) lgkmcnt(2)
	v_mul_f32_e32 v170, v154, v121
	v_fmac_f32_e32 v167, v151, v2
	v_fma_f32 v169, v150, v2, -v3
	v_mul_f32_e32 v2, v155, v121
	s_waitcnt vmcnt(31)
	v_mul_f32_e32 v171, v156, v120
	v_mul_f32_e32 v3, v157, v120
	v_fmac_f32_e32 v168, v153, v122
	v_fma_f32 v122, v152, v122, -v4
	v_fmac_f32_e32 v170, v155, v117
	v_fma_f32 v154, v154, v117, -v2
	;; [unrolled: 2-line block ×3, first 2 shown]
	ds_read2_b64 v[150:153], v1 offset0:79 offset1:80
	s_waitcnt vmcnt(30) lgkmcnt(2)
	v_mul_f32_e32 v155, v5, v118
	v_mul_f32_e32 v2, v6, v118
	s_waitcnt vmcnt(29)
	v_mul_f32_e32 v157, v7, v116
	v_mul_f32_e32 v3, v8, v116
	s_waitcnt vmcnt(28) lgkmcnt(1)
	v_mul_f32_e32 v172, v146, v119
	v_fmac_f32_e32 v155, v6, v114
	v_fma_f32 v6, v5, v114, -v2
	s_waitcnt vmcnt(24)
	v_fmac_f32_e32 v157, v8, v129
	v_fma_f32 v7, v7, v129, -v3
	s_waitcnt vmcnt(23)
	v_mul_f32_e32 v8, v148, v128
	v_mul_f32_e32 v114, v147, v119
	v_mul_f32_e32 v115, v149, v128
	ds_read2_b64 v[2:5], v1 offset0:81 offset1:82
	v_fmac_f32_e32 v172, v147, v127
	v_fmac_f32_e32 v8, v149, v124
	v_fma_f32 v127, v146, v127, -v114
	v_fma_f32 v124, v148, v124, -v115
	ds_read2_b64 v[114:117], v1 offset0:83 offset1:84
	s_waitcnt vmcnt(22) lgkmcnt(2)
	v_mul_f32_e32 v128, v150, v126
	v_mul_f32_e32 v118, v151, v126
	s_waitcnt vmcnt(21)
	v_mul_f32_e32 v126, v152, v125
	v_mul_f32_e32 v119, v153, v125
	buffer_load_dword v125, off, s[0:3], 0 offset:300
	v_fmac_f32_e32 v128, v151, v123
	v_fma_f32 v123, v150, v123, -v118
	s_waitcnt vmcnt(18)
	v_fmac_f32_e32 v126, v153, v137
	v_fma_f32 v129, v152, v137, -v119
	s_waitcnt vmcnt(17) lgkmcnt(1)
	v_mul_f32_e32 v137, v2, v135
	s_waitcnt vmcnt(16)
	v_mul_f32_e32 v146, v4, v136
	v_mul_f32_e32 v118, v3, v135
	;; [unrolled: 1-line block ×3, first 2 shown]
	v_fmac_f32_e32 v137, v3, v132
	v_fmac_f32_e32 v146, v5, v131
	v_fma_f32 v132, v2, v132, -v118
	v_fma_f32 v131, v4, v131, -v119
	ds_read2_b64 v[2:5], v1 offset0:85 offset1:86
	s_waitcnt vmcnt(15) lgkmcnt(1)
	v_mul_f32_e32 v135, v114, v134
	v_mul_f32_e32 v120, v115, v134
	s_waitcnt vmcnt(14)
	v_mul_f32_e32 v134, v116, v133
	v_mul_f32_e32 v133, v117, v133
	v_fmac_f32_e32 v135, v115, v130
	v_fma_f32 v130, v114, v130, -v120
	ds_read2_b64 v[118:121], v1 offset0:87 offset1:88
	s_waitcnt vmcnt(10)
	v_fmac_f32_e32 v134, v117, v145
	v_fma_f32 v133, v116, v145, -v133
	s_clause 0x1
	buffer_load_dword v136, off, s[0:3], 0 offset:308
	buffer_load_dword v145, off, s[0:3], 0 offset:316
	s_waitcnt vmcnt(11) lgkmcnt(1)
	v_mul_f32_e32 v147, v2, v144
	v_mul_f32_e32 v114, v3, v144
	s_waitcnt vmcnt(10)
	v_mul_f32_e32 v148, v4, v143
	v_mul_f32_e32 v115, v5, v143
	buffer_load_dword v144, off, s[0:3], 0 offset:324
	v_fmac_f32_e32 v147, v3, v141
	v_fma_f32 v141, v2, v141, -v114
	v_fmac_f32_e32 v148, v5, v139
	s_waitcnt vmcnt(10) lgkmcnt(0)
	v_mul_f32_e32 v143, v118, v142
	v_mul_f32_e32 v2, v119, v142
	s_waitcnt vmcnt(9)
	v_mul_f32_e32 v3, v121, v140
	s_clause 0x3
	buffer_load_dword v142, off, s[0:3], 0 offset:344
	buffer_load_dword v149, off, s[0:3], 0 offset:336
	;; [unrolled: 1-line block ×4, first 2 shown]
	v_mul_f32_e32 v152, v120, v140
	v_fmac_f32_e32 v143, v119, v138
	v_fma_f32 v138, v118, v138, -v2
	v_add_f32_e32 v2, 0, v162
	s_clause 0x1
	buffer_load_dword v140, off, s[0:3], 0 offset:332
	buffer_load_dword v162, off, s[0:3], 0 offset:348
	s_waitcnt vmcnt(11)
	v_fma_f32 v153, v120, v161, -v3
	v_add_f32_e32 v3, 0, v165
	v_add_f32_e32 v2, v2, v163
	v_fmac_f32_e32 v152, v121, v161
	s_clause 0x4
	buffer_load_dword v161, off, s[0:3], 0 offset:340
	buffer_load_dword v163, off, s[0:3], 0 offset:356
	;; [unrolled: 1-line block ×5, first 2 shown]
	v_add_f32_e32 v3, v3, v166
	v_add_f32_e32 v2, v2, v167
	s_clause 0x1
	buffer_load_dword v166, off, s[0:3], 0 offset:388
	buffer_load_dword v167, off, s[0:3], 0 offset:396
	v_fma_f32 v139, v4, v139, -v115
	v_add_f32_e32 v3, v3, v169
	v_add_f32_e32 v2, v2, v168
	s_clause 0x1
	buffer_load_dword v168, off, s[0:3], 0 offset:404
	buffer_load_dword v169, off, s[0:3], 0 offset:412
	v_add_f32_e32 v3, v3, v122
	v_add_f32_e32 v2, v2, v170
	;; [unrolled: 1-line block ×4, first 2 shown]
	s_clause 0x3
	buffer_load_dword v154, off, s[0:3], 0 offset:376
	buffer_load_dword v170, off, s[0:3], 0 offset:368
	;; [unrolled: 1-line block ×4, first 2 shown]
	v_add_f32_e32 v3, v3, v156
	v_add_f32_e32 v2, v2, v155
	;; [unrolled: 1-line block ×4, first 2 shown]
	s_clause 0x4
	buffer_load_dword v155, off, s[0:3], 0 offset:408
	buffer_load_dword v156, off, s[0:3], 0 offset:400
	;; [unrolled: 1-line block ×5, first 2 shown]
	ds_read2_b64 v[114:117], v1 offset0:91 offset1:92
	v_add_f32_e32 v3, v3, v7
	v_add_f32_e32 v2, v2, v172
	;; [unrolled: 1-line block ×5, first 2 shown]
	ds_read2_b64 v[2:5], v1 offset0:89 offset1:90
	v_add_f32_e32 v6, v6, v128
	v_add_f32_e32 v7, v7, v123
	;; [unrolled: 1-line block ×14, first 2 shown]
	s_waitcnt vmcnt(27) lgkmcnt(0)
	v_mul_f32_e32 v8, v2, v125
	v_mul_f32_e32 v118, v3, v125
	v_fmac_f32_e32 v8, v3, v160
	v_add_f32_e32 v3, v7, v130
	v_fma_f32 v130, v2, v160, -v118
	v_add_f32_e32 v8, v137, v8
	v_add_f32_e32 v7, v3, v133
	;; [unrolled: 1-line block ×5, first 2 shown]
	s_waitcnt vmcnt(26)
	v_mul_f32_e32 v131, v4, v136
	v_mul_f32_e32 v119, v5, v136
	v_add_f32_e32 v138, v7, v153
	s_waitcnt vmcnt(25)
	v_mul_f32_e32 v126, v115, v145
	v_mul_f32_e32 v133, v114, v145
	v_fmac_f32_e32 v131, v5, v159
	v_fma_f32 v132, v4, v159, -v119
	ds_read2_b64 v[2:5], v1 offset0:93 offset1:94
	ds_read2_b64 v[118:121], v1 offset0:95 offset1:96
	v_add_f32_e32 v130, v138, v130
	v_fma_f32 v136, v114, v158, -v126
	v_fmac_f32_e32 v133, v115, v158
	v_add_f32_e32 v8, v8, v131
	ds_read2_b64 v[122:125], v1 offset0:97 offset1:98
	ds_read2_b64 v[126:129], v1 offset0:99 offset1:100
	s_waitcnt vmcnt(24)
	v_mul_f32_e32 v135, v117, v144
	v_add_f32_e32 v130, v130, v132
	v_mul_f32_e32 v134, v116, v144
	v_add_f32_e32 v8, v8, v133
	v_add_f32_e32 v130, v130, v136
	s_waitcnt vmcnt(20)
	v_fma_f32 v135, v116, v151, -v135
	v_fmac_f32_e32 v134, v117, v151
	ds_read2_b64 v[114:117], v1 offset0:101 offset1:102
	ds_read_b64 v[6:7], v1 offset:824
	s_waitcnt vmcnt(19) lgkmcnt(5)
	v_mul_f32_e32 v138, v3, v140
	v_mul_f32_e32 v139, v2, v140
	v_add_f32_e32 v130, v130, v135
	v_add_f32_e32 v8, v8, v134
	s_waitcnt vmcnt(18) lgkmcnt(4)
	v_mul_f32_e32 v137, v118, v162
	v_fma_f32 v2, v2, v150, -v138
	s_waitcnt vmcnt(17)
	v_mul_f32_e32 v140, v5, v161
	v_mul_f32_e32 v141, v4, v161
	v_fmac_f32_e32 v139, v3, v150
	v_mul_f32_e32 v138, v119, v162
	v_add_f32_e32 v2, v130, v2
	v_fma_f32 v4, v4, v149, -v140
	v_fmac_f32_e32 v141, v5, v149
	v_add_f32_e32 v5, v8, v139
	s_waitcnt vmcnt(16)
	v_mul_f32_e32 v8, v121, v163
	v_fma_f32 v118, v118, v142, -v138
	v_add_f32_e32 v2, v2, v4
	v_mul_f32_e32 v132, v120, v163
	v_fmac_f32_e32 v137, v119, v142
	v_add_f32_e32 v4, v5, v141
	s_waitcnt vmcnt(15) lgkmcnt(3)
	v_mul_f32_e32 v5, v123, v165
	v_add_f32_e32 v2, v2, v118
	v_mul_f32_e32 v143, v122, v165
	s_waitcnt vmcnt(14)
	v_mul_f32_e32 v118, v125, v173
	v_add_f32_e32 v4, v4, v137
	s_waitcnt vmcnt(5)
	v_fma_f32 v8, v120, v175, -v8
	v_fmac_f32_e32 v132, v121, v175
	v_fma_f32 v5, v122, v171, -v5
	v_mul_f32_e32 v131, v124, v173
	v_fmac_f32_e32 v143, v123, v171
	v_add_f32_e32 v2, v2, v8
	v_add_f32_e32 v4, v4, v132
	s_waitcnt lgkmcnt(2)
	v_mul_f32_e32 v8, v127, v174
	v_fma_f32 v118, v124, v170, -v118
	v_mul_f32_e32 v136, v126, v174
	v_add_f32_e32 v2, v2, v5
	v_fmac_f32_e32 v131, v125, v170
	v_add_f32_e32 v4, v4, v143
	v_mul_f32_e32 v5, v129, v166
	v_fma_f32 v8, v126, v154, -v8
	v_add_f32_e32 v2, v2, v118
	v_mul_f32_e32 v3, v128, v166
	v_fmac_f32_e32 v136, v127, v154
	v_add_f32_e32 v4, v4, v131
	s_waitcnt lgkmcnt(1)
	v_mul_f32_e32 v118, v115, v167
	s_waitcnt vmcnt(1)
	v_fma_f32 v5, v128, v176, -v5
	v_add_f32_e32 v2, v2, v8
	v_mul_f32_e32 v133, v114, v167
	v_fmac_f32_e32 v3, v129, v176
	v_add_f32_e32 v4, v4, v136
	v_mul_f32_e32 v8, v117, v168
	v_fma_f32 v114, v114, v157, -v118
	v_add_f32_e32 v2, v2, v5
	v_mul_f32_e32 v135, v116, v168
	v_fmac_f32_e32 v133, v115, v157
	v_add_f32_e32 v3, v4, v3
	s_waitcnt lgkmcnt(0)
	v_mul_f32_e32 v4, v7, v169
	v_fma_f32 v5, v116, v156, -v8
	v_add_f32_e32 v2, v2, v114
	v_mul_f32_e32 v134, v6, v169
	v_fmac_f32_e32 v135, v117, v156
	v_add_f32_e32 v3, v3, v133
	v_fma_f32 v4, v6, v155, -v4
	v_add_f32_e32 v2, v2, v5
	v_fmac_f32_e32 v134, v7, v155
	v_add_f32_e32 v3, v3, v135
	v_add_f32_e32 v2, v2, v4
	;; [unrolled: 1-line block ×3, first 2 shown]
	s_waitcnt vmcnt(0)
	v_sub_f32_e32 v2, v177, v2
	v_sub_f32_e32 v3, v164, v3
	buffer_store_dword v2, off, s[0:3], 0 offset:128
	buffer_store_dword v3, off, s[0:3], 0 offset:132
	v_cmpx_lt_u32_e32 15, v0
	s_cbranch_execz .LBB51_295
; %bb.294:
	s_clause 0x1
	buffer_load_dword v2, off, s[0:3], 0 offset:120
	buffer_load_dword v3, off, s[0:3], 0 offset:124
	buffer_store_dword v1, off, s[0:3], 0 offset:120
	buffer_store_dword v1, off, s[0:3], 0 offset:124
	s_waitcnt vmcnt(0)
	ds_write_b64 v113, v[2:3]
.LBB51_295:
	s_or_b32 exec_lo, exec_lo, s4
	s_waitcnt lgkmcnt(0)
	s_waitcnt_vscnt null, 0x0
	s_barrier
	buffer_gl0_inv
	s_clause 0x2a
	buffer_load_dword v8, off, s[0:3], 0 offset:132
	buffer_load_dword v114, off, s[0:3], 0 offset:140
	;; [unrolled: 1-line block ×43, first 2 shown]
	ds_read_b128 v[146:149], v1 offset:544
	ds_read_b128 v[150:153], v1 offset:560
	ds_read_b128 v[154:157], v1 offset:576
	buffer_load_dword v164, off, s[0:3], 0 offset:124
	s_mov_b32 s4, exec_lo
	s_waitcnt vmcnt(43) lgkmcnt(2)
	v_mul_f32_e32 v162, v146, v8
	s_waitcnt vmcnt(42)
	v_mul_f32_e32 v163, v148, v114
	v_mul_f32_e32 v8, v147, v8
	;; [unrolled: 1-line block ×3, first 2 shown]
	s_waitcnt vmcnt(39)
	v_fmac_f32_e32 v162, v147, v6
	v_fmac_f32_e32 v163, v149, v5
	v_fma_f32 v6, v146, v6, -v8
	v_fma_f32 v8, v148, v5, -v114
	ds_read_b128 v[146:149], v1 offset:592
	s_waitcnt vmcnt(38) lgkmcnt(2)
	v_mul_f32_e32 v165, v150, v3
	s_waitcnt vmcnt(37)
	v_mul_f32_e32 v166, v152, v4
	v_mul_f32_e32 v3, v151, v3
	;; [unrolled: 1-line block ×3, first 2 shown]
	s_waitcnt vmcnt(32) lgkmcnt(1)
	v_mul_f32_e32 v114, v155, v119
	v_fmac_f32_e32 v165, v151, v2
	v_fmac_f32_e32 v166, v153, v121
	v_fma_f32 v150, v150, v2, -v3
	v_fma_f32 v151, v152, v121, -v4
	ds_read_b128 v[2:5], v1 offset:608
	v_mul_f32_e32 v152, v154, v119
	s_waitcnt vmcnt(31)
	v_mul_f32_e32 v153, v156, v120
	v_mul_f32_e32 v119, v157, v120
	v_fma_f32 v154, v154, v118, -v114
	v_fmac_f32_e32 v152, v155, v118
	v_fmac_f32_e32 v153, v157, v115
	v_fma_f32 v155, v156, v115, -v119
	ds_read_b128 v[118:121], v1 offset:624
	s_waitcnt vmcnt(30) lgkmcnt(2)
	v_mul_f32_e32 v156, v146, v116
	s_waitcnt vmcnt(29)
	v_mul_f32_e32 v157, v148, v117
	v_mul_f32_e32 v114, v147, v116
	;; [unrolled: 1-line block ×3, first 2 shown]
	v_fmac_f32_e32 v156, v147, v7
	s_waitcnt vmcnt(25)
	v_fmac_f32_e32 v157, v149, v129
	v_fma_f32 v7, v146, v7, -v114
	v_fma_f32 v129, v148, v129, -v115
	ds_read_b128 v[114:117], v1 offset:640
	s_waitcnt vmcnt(24) lgkmcnt(2)
	v_mul_f32_e32 v146, v2, v127
	s_waitcnt vmcnt(23)
	v_mul_f32_e32 v147, v4, v128
	v_mul_f32_e32 v127, v3, v127
	;; [unrolled: 1-line block ×3, first 2 shown]
	v_fmac_f32_e32 v146, v3, v126
	v_fmac_f32_e32 v147, v5, v123
	v_fma_f32 v126, v2, v126, -v127
	v_fma_f32 v123, v4, v123, -v128
	ds_read_b128 v[2:5], v1 offset:656
	s_waitcnt vmcnt(22) lgkmcnt(2)
	v_mul_f32_e32 v127, v118, v124
	s_waitcnt vmcnt(21)
	v_mul_f32_e32 v128, v120, v125
	v_mul_f32_e32 v124, v119, v124
	;; [unrolled: 1-line block ×3, first 2 shown]
	v_fmac_f32_e32 v127, v119, v122
	s_waitcnt vmcnt(17)
	v_fmac_f32_e32 v128, v121, v137
	v_fma_f32 v122, v118, v122, -v124
	v_fma_f32 v124, v120, v137, -v125
	s_waitcnt vmcnt(16) lgkmcnt(1)
	v_mul_f32_e32 v125, v114, v135
	v_mul_f32_e32 v135, v115, v135
	ds_read_b128 v[118:121], v1 offset:672
	s_waitcnt vmcnt(15)
	v_mul_f32_e32 v137, v116, v136
	v_mul_f32_e32 v136, v117, v136
	v_fmac_f32_e32 v125, v115, v134
	v_fma_f32 v114, v114, v134, -v135
	s_clause 0x1
	buffer_load_dword v134, off, s[0:3], 0 offset:292
	buffer_load_dword v135, off, s[0:3], 0 offset:300
	v_fmac_f32_e32 v137, v117, v131
	v_fma_f32 v131, v116, v131, -v136
	s_waitcnt vmcnt(16) lgkmcnt(1)
	v_mul_f32_e32 v136, v2, v132
	s_waitcnt vmcnt(15)
	v_mul_f32_e32 v148, v4, v133
	v_mul_f32_e32 v115, v3, v132
	;; [unrolled: 1-line block ×3, first 2 shown]
	buffer_load_dword v133, off, s[0:3], 0 offset:308
	v_fmac_f32_e32 v136, v3, v130
	s_waitcnt vmcnt(12)
	v_fmac_f32_e32 v148, v5, v145
	v_fma_f32 v130, v2, v130, -v115
	v_fma_f32 v132, v4, v145, -v116
	ds_read_b128 v[2:5], v1 offset:688
	s_waitcnt vmcnt(11) lgkmcnt(1)
	v_mul_f32_e32 v145, v118, v143
	s_waitcnt vmcnt(10)
	v_mul_f32_e32 v149, v120, v144
	v_mul_f32_e32 v115, v119, v143
	;; [unrolled: 1-line block ×3, first 2 shown]
	s_clause 0x5
	buffer_load_dword v143, off, s[0:3], 0 offset:316
	buffer_load_dword v144, off, s[0:3], 0 offset:336
	;; [unrolled: 1-line block ×6, first 2 shown]
	v_fmac_f32_e32 v145, v119, v142
	v_fma_f32 v142, v118, v142, -v115
	v_fmac_f32_e32 v149, v121, v141
	v_fma_f32 v141, v120, v141, -v116
	s_waitcnt vmcnt(15) lgkmcnt(0)
	v_mul_f32_e32 v170, v2, v140
	v_mul_f32_e32 v115, v3, v140
	v_fmac_f32_e32 v170, v3, v138
	v_add_f32_e32 v3, 0, v162
	v_fma_f32 v138, v2, v138, -v115
	v_add_f32_e32 v2, 0, v6
	s_waitcnt vmcnt(14)
	v_mul_f32_e32 v6, v4, v139
	v_mul_f32_e32 v115, v5, v139
	v_add_f32_e32 v3, v3, v163
	buffer_load_dword v139, off, s[0:3], 0 offset:332
	v_add_f32_e32 v2, v2, v8
	buffer_load_dword v8, off, s[0:3], 0 offset:340
	s_waitcnt vmcnt(12)
	v_fmac_f32_e32 v6, v5, v161
	v_add_f32_e32 v3, v3, v165
	v_fma_f32 v140, v4, v161, -v115
	v_add_f32_e32 v2, v2, v150
	s_clause 0x3
	buffer_load_dword v161, off, s[0:3], 0 offset:348
	buffer_load_dword v150, off, s[0:3], 0 offset:356
	;; [unrolled: 1-line block ×4, first 2 shown]
	v_add_f32_e32 v3, v3, v166
	v_add_f32_e32 v2, v2, v151
	s_clause 0x3
	buffer_load_dword v151, off, s[0:3], 0 offset:380
	buffer_load_dword v165, off, s[0:3], 0 offset:388
	;; [unrolled: 1-line block ×4, first 2 shown]
	v_add_f32_e32 v3, v3, v152
	buffer_load_dword v152, off, s[0:3], 0 offset:412
	v_add_f32_e32 v2, v2, v154
	v_add_f32_e32 v3, v3, v153
	;; [unrolled: 1-line block ×3, first 2 shown]
	s_clause 0x3
	buffer_load_dword v153, off, s[0:3], 0 offset:368
	buffer_load_dword v154, off, s[0:3], 0 offset:360
	;; [unrolled: 1-line block ×4, first 2 shown]
	v_add_f32_e32 v3, v3, v156
	v_add_f32_e32 v2, v2, v7
	;; [unrolled: 1-line block ×3, first 2 shown]
	s_clause 0x4
	buffer_load_dword v7, off, s[0:3], 0 offset:400
	buffer_load_dword v156, off, s[0:3], 0 offset:392
	buffer_load_dword v157, off, s[0:3], 0 offset:384
	buffer_load_dword v174, off, s[0:3], 0 offset:376
	buffer_load_dword v175, off, s[0:3], 0 offset:120
	v_add_f32_e32 v2, v2, v129
	v_add_f32_e32 v3, v3, v146
	buffer_load_dword v146, off, s[0:3], 0 offset:408
	v_add_f32_e32 v2, v2, v126
	v_add_f32_e32 v3, v3, v147
	;; [unrolled: 1-line block ×5, first 2 shown]
	ds_read_b128 v[2:5], v1 offset:704
	v_add_f32_e32 v115, v115, v128
	v_add_f32_e32 v116, v116, v124
	;; [unrolled: 1-line block ×4, first 2 shown]
	ds_read_b128 v[114:117], v1 offset:720
	v_add_f32_e32 v118, v118, v137
	v_add_f32_e32 v119, v119, v131
	;; [unrolled: 1-line block ×11, first 2 shown]
	s_waitcnt vmcnt(29) lgkmcnt(1)
	v_mul_f32_e32 v137, v2, v134
	v_mul_f32_e32 v120, v3, v134
	s_waitcnt vmcnt(28)
	v_mul_f32_e32 v134, v4, v135
	v_mul_f32_e32 v121, v5, v135
	v_fmac_f32_e32 v137, v3, v160
	v_fma_f32 v135, v2, v160, -v120
	v_fmac_f32_e32 v134, v5, v159
	v_fma_f32 v136, v4, v159, -v121
	ds_read_b128 v[2:5], v1 offset:736
	ds_read_b128 v[118:121], v1 offset:752
	s_waitcnt vmcnt(27) lgkmcnt(2)
	v_mul_f32_e32 v147, v114, v133
	v_mul_f32_e32 v124, v115, v133
	v_fmac_f32_e32 v147, v115, v158
	v_add_f32_e32 v115, v123, v149
	v_fma_f32 v142, v114, v158, -v124
	s_waitcnt vmcnt(26)
	v_mul_f32_e32 v148, v116, v143
	v_mul_f32_e32 v125, v117, v143
	v_add_f32_e32 v127, v115, v170
	s_waitcnt vmcnt(22)
	v_fmac_f32_e32 v148, v117, v169
	v_fma_f32 v141, v116, v169, -v125
	v_add_f32_e32 v6, v127, v6
	ds_read_b128 v[114:117], v1 offset:768
	ds_read_b128 v[122:125], v1 offset:784
	s_waitcnt vmcnt(21) lgkmcnt(3)
	v_mul_f32_e32 v131, v3, v171
	v_mul_f32_e32 v138, v2, v171
	ds_read_b128 v[126:129], v1 offset:800
	v_fma_f32 v2, v2, v168, -v131
	ds_read_b128 v[130:133], v1 offset:816
	v_add_f32_e32 v1, v140, v135
	v_fmac_f32_e32 v138, v3, v168
	v_add_f32_e32 v3, v6, v137
	v_add_f32_e32 v1, v1, v136
	;; [unrolled: 1-line block ×3, first 2 shown]
	s_waitcnt vmcnt(20)
	v_mul_f32_e32 v135, v5, v139
	v_add_f32_e32 v1, v1, v142
	v_mul_f32_e32 v6, v4, v139
	v_add_f32_e32 v3, v3, v147
	s_waitcnt vmcnt(19) lgkmcnt(4)
	v_mul_f32_e32 v134, v118, v8
	v_mul_f32_e32 v8, v119, v8
	v_add_f32_e32 v1, v1, v141
	v_fma_f32 v4, v4, v167, -v135
	v_add_f32_e32 v3, v3, v148
	v_fmac_f32_e32 v6, v5, v167
	s_waitcnt vmcnt(18)
	v_mul_f32_e32 v141, v121, v161
	v_add_f32_e32 v1, v1, v2
	v_fma_f32 v8, v118, v144, -v8
	v_add_f32_e32 v2, v3, v138
	v_mul_f32_e32 v136, v120, v161
	v_fmac_f32_e32 v134, v119, v144
	v_add_f32_e32 v1, v1, v4
	s_waitcnt vmcnt(17) lgkmcnt(3)
	v_mul_f32_e32 v4, v115, v150
	v_add_f32_e32 v2, v2, v6
	v_mul_f32_e32 v5, v114, v150
	s_waitcnt vmcnt(16)
	v_mul_f32_e32 v135, v116, v162
	v_add_f32_e32 v1, v1, v8
	s_waitcnt vmcnt(6)
	v_fma_f32 v6, v120, v173, -v141
	v_fmac_f32_e32 v136, v121, v173
	v_add_f32_e32 v2, v2, v134
	v_mul_f32_e32 v8, v117, v162
	v_fma_f32 v4, v114, v155, -v4
	v_add_f32_e32 v1, v1, v6
	v_fmac_f32_e32 v5, v115, v155
	v_add_f32_e32 v2, v2, v136
	s_waitcnt lgkmcnt(2)
	v_mul_f32_e32 v6, v123, v163
	v_fma_f32 v8, v116, v154, -v8
	v_add_f32_e32 v1, v1, v4
	v_mul_f32_e32 v137, v122, v163
	v_fmac_f32_e32 v135, v117, v154
	v_add_f32_e32 v2, v2, v5
	v_mul_f32_e32 v4, v125, v151
	v_fma_f32 v5, v122, v153, -v6
	v_add_f32_e32 v1, v1, v8
	v_mul_f32_e32 v139, v124, v151
	v_fmac_f32_e32 v137, v123, v153
	v_add_f32_e32 v2, v2, v135
	s_waitcnt lgkmcnt(1)
	v_mul_f32_e32 v6, v127, v165
	s_waitcnt vmcnt(2)
	v_fma_f32 v4, v124, v174, -v4
	v_add_f32_e32 v1, v1, v5
	v_mul_f32_e32 v140, v126, v165
	v_fmac_f32_e32 v139, v125, v174
	v_add_f32_e32 v2, v2, v137
	v_mul_f32_e32 v5, v129, v166
	v_fma_f32 v6, v126, v157, -v6
	v_add_f32_e32 v1, v1, v4
	v_mul_f32_e32 v142, v128, v166
	v_fmac_f32_e32 v140, v127, v157
	v_add_f32_e32 v2, v2, v139
	s_waitcnt lgkmcnt(0)
	v_mul_f32_e32 v4, v131, v172
	v_fma_f32 v5, v128, v156, -v5
	v_add_f32_e32 v1, v1, v6
	v_mul_f32_e32 v143, v130, v172
	v_fmac_f32_e32 v142, v129, v156
	v_add_f32_e32 v2, v2, v140
	v_mul_f32_e32 v6, v133, v152
	v_fma_f32 v4, v130, v7, -v4
	v_add_f32_e32 v1, v1, v5
	v_mul_f32_e32 v3, v132, v152
	v_fmac_f32_e32 v143, v131, v7
	v_add_f32_e32 v2, v2, v142
	s_waitcnt vmcnt(0)
	v_fma_f32 v5, v132, v146, -v6
	v_add_f32_e32 v1, v1, v4
	v_fmac_f32_e32 v3, v133, v146
	v_add_f32_e32 v2, v2, v143
	v_add_f32_e32 v1, v1, v5
	;; [unrolled: 1-line block ×3, first 2 shown]
	v_sub_f32_e32 v1, v175, v1
	v_sub_f32_e32 v2, v164, v2
	buffer_store_dword v1, off, s[0:3], 0 offset:120
	buffer_store_dword v2, off, s[0:3], 0 offset:124
	v_cmpx_lt_u32_e32 14, v0
	s_cbranch_execz .LBB51_297
; %bb.296:
	s_clause 0x1
	buffer_load_dword v1, off, s[0:3], 0 offset:112
	buffer_load_dword v2, off, s[0:3], 0 offset:116
	v_mov_b32_e32 v3, 0
	buffer_store_dword v3, off, s[0:3], 0 offset:112
	buffer_store_dword v3, off, s[0:3], 0 offset:116
	s_waitcnt vmcnt(0)
	ds_write_b64 v113, v[1:2]
.LBB51_297:
	s_or_b32 exec_lo, exec_lo, s4
	s_waitcnt lgkmcnt(0)
	s_waitcnt_vscnt null, 0x0
	s_barrier
	buffer_gl0_inv
	s_clause 0x2b
	buffer_load_dword v6, off, s[0:3], 0 offset:124
	buffer_load_dword v7, off, s[0:3], 0 offset:136
	;; [unrolled: 1-line block ×44, first 2 shown]
	v_mov_b32_e32 v1, 0
	ds_read2_b64 v[2:5], v1 offset0:67 offset1:68
	ds_read2_b64 v[114:117], v1 offset0:69 offset1:70
	;; [unrolled: 1-line block ×3, first 2 shown]
	buffer_load_dword v164, off, s[0:3], 0 offset:116
	s_mov_b32 s4, exec_lo
	s_waitcnt vmcnt(44) lgkmcnt(2)
	v_mul_f32_e32 v163, v3, v6
	v_mul_f32_e32 v6, v2, v6
	s_waitcnt vmcnt(41)
	v_fma_f32 v163, v2, v122, -v163
	v_fmac_f32_e32 v6, v3, v122
	s_waitcnt vmcnt(40)
	v_mul_f32_e32 v122, v4, v123
	v_mul_f32_e32 v2, v5, v123
	s_waitcnt vmcnt(39) lgkmcnt(1)
	v_mul_f32_e32 v123, v114, v124
	v_mul_f32_e32 v124, v115, v124
	v_add_f32_e32 v6, 0, v6
	v_fmac_f32_e32 v122, v5, v8
	v_fma_f32 v8, v4, v8, -v2
	ds_read2_b64 v[2:5], v1 offset0:73 offset1:74
	v_fmac_f32_e32 v123, v115, v7
	v_fma_f32 v7, v114, v7, -v124
	s_waitcnt vmcnt(38)
	v_mul_f32_e32 v124, v116, v125
	v_mul_f32_e32 v114, v117, v125
	v_add_f32_e32 v6, v6, v122
	s_waitcnt vmcnt(34)
	v_fmac_f32_e32 v124, v117, v129
	v_fma_f32 v125, v116, v129, -v114
	s_waitcnt vmcnt(33) lgkmcnt(1)
	v_mul_f32_e32 v129, v118, v130
	v_mul_f32_e32 v130, v119, v130
	ds_read2_b64 v[114:117], v1 offset0:75 offset1:76
	v_add_f32_e32 v6, v6, v123
	v_fmac_f32_e32 v129, v119, v128
	v_fma_f32 v128, v118, v128, -v130
	s_waitcnt vmcnt(32)
	v_mul_f32_e32 v130, v120, v131
	v_mul_f32_e32 v118, v121, v131
	v_add_f32_e32 v6, v6, v124
	s_waitcnt vmcnt(31) lgkmcnt(1)
	v_mul_f32_e32 v131, v2, v132
	v_mul_f32_e32 v132, v3, v132
	v_fmac_f32_e32 v130, v121, v127
	v_fma_f32 v127, v120, v127, -v118
	ds_read2_b64 v[118:121], v1 offset0:77 offset1:78
	v_fmac_f32_e32 v131, v3, v126
	v_fma_f32 v126, v2, v126, -v132
	s_waitcnt vmcnt(30)
	v_mul_f32_e32 v132, v4, v133
	v_mul_f32_e32 v2, v5, v133
	v_add_f32_e32 v6, v6, v129
	s_waitcnt vmcnt(26)
	v_fmac_f32_e32 v132, v5, v137
	v_fma_f32 v133, v4, v137, -v2
	ds_read2_b64 v[2:5], v1 offset0:79 offset1:80
	s_waitcnt vmcnt(25) lgkmcnt(2)
	v_mul_f32_e32 v137, v114, v138
	v_mul_f32_e32 v138, v115, v138
	v_add_f32_e32 v6, v6, v130
	v_fmac_f32_e32 v137, v115, v136
	v_fma_f32 v136, v114, v136, -v138
	s_waitcnt vmcnt(24)
	v_mul_f32_e32 v138, v116, v139
	v_mul_f32_e32 v114, v117, v139
	s_waitcnt vmcnt(23) lgkmcnt(1)
	v_mul_f32_e32 v139, v118, v140
	v_mul_f32_e32 v140, v119, v140
	v_add_f32_e32 v6, v6, v131
	v_fmac_f32_e32 v138, v117, v135
	v_fma_f32 v135, v116, v135, -v114
	ds_read2_b64 v[114:117], v1 offset0:81 offset1:82
	v_fmac_f32_e32 v139, v119, v134
	v_fma_f32 v134, v118, v134, -v140
	s_waitcnt vmcnt(22)
	v_mul_f32_e32 v140, v120, v141
	v_mul_f32_e32 v118, v121, v141
	s_waitcnt vmcnt(18)
	v_fmac_f32_e32 v140, v121, v145
	v_fma_f32 v141, v120, v145, -v118
	s_waitcnt vmcnt(17) lgkmcnt(1)
	v_mul_f32_e32 v145, v2, v146
	v_mul_f32_e32 v118, v3, v146
	s_waitcnt vmcnt(16)
	v_mul_f32_e32 v146, v4, v147
	v_mul_f32_e32 v147, v5, v147
	v_fmac_f32_e32 v145, v3, v144
	v_fma_f32 v144, v2, v144, -v118
	ds_read2_b64 v[118:121], v1 offset0:83 offset1:84
	v_fmac_f32_e32 v146, v5, v143
	v_fma_f32 v143, v4, v143, -v147
	s_clause 0x1
	buffer_load_dword v147, off, s[0:3], 0 offset:292
	buffer_load_dword v165, off, s[0:3], 0 offset:300
	v_add_f32_e32 v4, 0, v163
	s_waitcnt vmcnt(17) lgkmcnt(1)
	v_mul_f32_e32 v166, v114, v148
	v_mul_f32_e32 v2, v115, v148
	s_waitcnt vmcnt(16)
	v_mul_f32_e32 v3, v117, v149
	v_mul_f32_e32 v148, v116, v149
	v_add_f32_e32 v8, v4, v8
	v_fmac_f32_e32 v166, v115, v142
	v_fma_f32 v142, v114, v142, -v2
	s_waitcnt vmcnt(12)
	v_fma_f32 v149, v116, v153, -v3
	ds_read2_b64 v[2:5], v1 offset0:85 offset1:86
	v_add_f32_e32 v7, v8, v7
	buffer_load_dword v167, off, s[0:3], 0 offset:308
	v_fmac_f32_e32 v148, v117, v153
	v_add_f32_e32 v7, v7, v125
	s_waitcnt vmcnt(12) lgkmcnt(1)
	v_mul_f32_e32 v153, v118, v154
	v_mul_f32_e32 v114, v119, v154
	s_clause 0x3
	buffer_load_dword v8, off, s[0:3], 0 offset:328
	buffer_load_dword v154, off, s[0:3], 0 offset:320
	buffer_load_dword v163, off, s[0:3], 0 offset:312
	buffer_load_dword v122, off, s[0:3], 0 offset:304
	s_waitcnt vmcnt(15)
	v_mul_f32_e32 v123, v120, v155
	v_add_f32_e32 v7, v7, v128
	v_fmac_f32_e32 v153, v119, v152
	v_fma_f32 v118, v118, v152, -v114
	s_clause 0x1
	buffer_load_dword v152, off, s[0:3], 0 offset:316
	buffer_load_dword v168, off, s[0:3], 0 offset:324
	v_mul_f32_e32 v114, v121, v155
	buffer_load_dword v155, off, s[0:3], 0 offset:332
	v_add_f32_e32 v7, v7, v127
	v_fmac_f32_e32 v123, v121, v151
	s_waitcnt vmcnt(17) lgkmcnt(0)
	v_mul_f32_e32 v127, v2, v156
	v_mul_f32_e32 v119, v3, v156
	v_add_f32_e32 v7, v7, v126
	v_fma_f32 v124, v120, v151, -v114
	s_waitcnt vmcnt(16)
	v_mul_f32_e32 v126, v4, v157
	v_mul_f32_e32 v120, v5, v157
	v_fmac_f32_e32 v127, v3, v150
	v_fma_f32 v128, v2, v150, -v119
	v_add_f32_e32 v2, v7, v133
	v_add_f32_e32 v3, v6, v132
	s_clause 0x3
	buffer_load_dword v151, off, s[0:3], 0 offset:340
	buffer_load_dword v169, off, s[0:3], 0 offset:348
	;; [unrolled: 1-line block ×4, first 2 shown]
	ds_read2_b64 v[114:117], v1 offset0:87 offset1:88
	s_clause 0x3
	buffer_load_dword v130, off, s[0:3], 0 offset:372
	buffer_load_dword v131, off, s[0:3], 0 offset:380
	buffer_load_dword v132, off, s[0:3], 0 offset:388
	buffer_load_dword v133, off, s[0:3], 0 offset:396
	s_waitcnt vmcnt(20)
	v_fmac_f32_e32 v126, v5, v161
	v_fma_f32 v6, v4, v161, -v120
	buffer_load_dword v150, off, s[0:3], 0 offset:404
	v_add_f32_e32 v2, v2, v136
	v_add_f32_e32 v3, v3, v137
	s_clause 0x4
	buffer_load_dword v136, off, s[0:3], 0 offset:360
	buffer_load_dword v137, off, s[0:3], 0 offset:352
	;; [unrolled: 1-line block ×5, first 2 shown]
	v_add_f32_e32 v2, v2, v135
	v_add_f32_e32 v7, v3, v138
	;; [unrolled: 1-line block ×4, first 2 shown]
	ds_read2_b64 v[2:5], v1 offset0:89 offset1:90
	s_waitcnt vmcnt(25) lgkmcnt(1)
	v_mul_f32_e32 v120, v115, v162
	v_add_f32_e32 v7, v7, v140
	s_clause 0x3
	buffer_load_dword v135, off, s[0:3], 0 offset:392
	buffer_load_dword v138, off, s[0:3], 0 offset:384
	;; [unrolled: 1-line block ×4, first 2 shown]
	v_add_f32_e32 v119, v119, v141
	v_mul_f32_e32 v134, v114, v162
	v_fma_f32 v129, v114, v160, -v120
	v_add_f32_e32 v7, v7, v145
	v_add_f32_e32 v114, v119, v144
	v_fmac_f32_e32 v134, v115, v160
	v_add_f32_e32 v7, v7, v146
	v_add_f32_e32 v114, v114, v143
	s_clause 0x2
	buffer_load_dword v141, off, s[0:3], 0 offset:408
	buffer_load_dword v143, off, s[0:3], 0 offset:400
	;; [unrolled: 1-line block ×3, first 2 shown]
	v_add_f32_e32 v7, v7, v166
	v_add_f32_e32 v119, v114, v142
	;; [unrolled: 1-line block ×6, first 2 shown]
	ds_read2_b64 v[118:121], v1 offset0:93 offset1:94
	v_add_f32_e32 v7, v7, v123
	v_add_f32_e32 v148, v148, v124
	;; [unrolled: 1-line block ×8, first 2 shown]
	s_waitcnt vmcnt(30)
	v_mul_f32_e32 v142, v116, v147
	v_mul_f32_e32 v114, v117, v147
	s_waitcnt vmcnt(29) lgkmcnt(1)
	v_mul_f32_e32 v125, v3, v165
	v_mul_f32_e32 v146, v2, v165
	v_fmac_f32_e32 v142, v117, v159
	v_fma_f32 v145, v116, v159, -v114
	ds_read2_b64 v[114:117], v1 offset0:91 offset1:92
	v_fma_f32 v153, v2, v158, -v125
	v_fmac_f32_e32 v146, v3, v158
	v_add_f32_e32 v134, v134, v142
	v_add_f32_e32 v145, v6, v145
	s_waitcnt vmcnt(28)
	v_mul_f32_e32 v149, v5, v167
	v_mul_f32_e32 v147, v4, v167
	v_add_f32_e32 v134, v134, v146
	v_add_f32_e32 v145, v145, v153
	s_waitcnt vmcnt(24)
	v_fma_f32 v149, v4, v122, -v149
	v_fmac_f32_e32 v147, v5, v122
	ds_read2_b64 v[2:5], v1 offset0:95 offset1:96
	ds_read2_b64 v[122:125], v1 offset0:97 offset1:98
	;; [unrolled: 1-line block ×3, first 2 shown]
	ds_read_b64 v[6:7], v1 offset:824
	v_add_f32_e32 v145, v145, v149
	v_add_f32_e32 v134, v134, v147
	s_waitcnt vmcnt(23) lgkmcnt(4)
	v_mul_f32_e32 v148, v114, v152
	v_mul_f32_e32 v152, v115, v152
	s_waitcnt vmcnt(22)
	v_mul_f32_e32 v158, v116, v168
	v_mul_f32_e32 v159, v117, v168
	s_waitcnt vmcnt(21)
	v_mul_f32_e32 v153, v119, v155
	v_fmac_f32_e32 v148, v115, v163
	v_fma_f32 v152, v114, v163, -v152
	v_fmac_f32_e32 v158, v117, v154
	v_fma_f32 v154, v116, v154, -v159
	v_mul_f32_e32 v159, v118, v155
	ds_read2_b64 v[114:117], v1 offset0:101 offset1:102
	v_add_f32_e32 v145, v145, v152
	s_waitcnt vmcnt(20)
	v_mul_f32_e32 v142, v120, v151
	v_mul_f32_e32 v151, v121, v151
	v_fmac_f32_e32 v159, v119, v8
	v_add_f32_e32 v119, v134, v148
	v_fma_f32 v8, v118, v8, -v153
	v_add_f32_e32 v145, v145, v154
	s_waitcnt vmcnt(19) lgkmcnt(4)
	v_mul_f32_e32 v146, v2, v169
	v_mul_f32_e32 v153, v3, v169
	v_add_f32_e32 v119, v119, v158
	s_waitcnt vmcnt(8)
	v_fma_f32 v120, v120, v157, -v151
	v_add_f32_e32 v8, v145, v8
	v_fmac_f32_e32 v142, v121, v157
	v_mul_f32_e32 v121, v5, v170
	v_add_f32_e32 v119, v119, v159
	v_fmac_f32_e32 v146, v3, v156
	v_fma_f32 v2, v2, v156, -v153
	v_add_f32_e32 v3, v8, v120
	v_mul_f32_e32 v149, v4, v170
	v_add_f32_e32 v8, v119, v142
	s_waitcnt lgkmcnt(3)
	v_mul_f32_e32 v119, v123, v171
	v_fma_f32 v4, v4, v137, -v121
	v_add_f32_e32 v2, v3, v2
	v_mul_f32_e32 v155, v122, v171
	v_fmac_f32_e32 v149, v5, v137
	v_add_f32_e32 v3, v8, v146
	v_mul_f32_e32 v5, v125, v130
	v_fma_f32 v8, v122, v136, -v119
	v_add_f32_e32 v2, v2, v4
	v_mul_f32_e32 v147, v124, v130
	v_fmac_f32_e32 v155, v123, v136
	v_add_f32_e32 v3, v3, v149
	s_waitcnt lgkmcnt(2)
	v_mul_f32_e32 v4, v127, v131
	s_waitcnt vmcnt(3)
	v_fma_f32 v5, v124, v140, -v5
	v_add_f32_e32 v2, v2, v8
	v_mul_f32_e32 v152, v126, v131
	v_fmac_f32_e32 v147, v125, v140
	v_add_f32_e32 v3, v3, v155
	v_mul_f32_e32 v8, v129, v132
	v_fma_f32 v4, v126, v139, -v4
	v_add_f32_e32 v2, v2, v5
	v_mul_f32_e32 v118, v128, v132
	v_fmac_f32_e32 v152, v127, v139
	v_add_f32_e32 v3, v3, v147
	s_waitcnt lgkmcnt(0)
	v_mul_f32_e32 v5, v115, v133
	v_fma_f32 v8, v128, v138, -v8
	v_add_f32_e32 v2, v2, v4
	v_mul_f32_e32 v134, v114, v133
	v_fmac_f32_e32 v118, v129, v138
	v_add_f32_e32 v3, v3, v152
	v_mul_f32_e32 v4, v117, v150
	v_fma_f32 v5, v114, v135, -v5
	v_add_f32_e32 v2, v2, v8
	v_mul_f32_e32 v148, v116, v150
	v_fmac_f32_e32 v134, v115, v135
	v_add_f32_e32 v3, v3, v118
	v_mul_f32_e32 v8, v7, v161
	s_waitcnt vmcnt(1)
	v_fma_f32 v4, v116, v143, -v4
	v_add_f32_e32 v2, v2, v5
	v_mul_f32_e32 v154, v6, v161
	v_fmac_f32_e32 v148, v117, v143
	v_add_f32_e32 v3, v3, v134
	v_fma_f32 v5, v6, v141, -v8
	v_add_f32_e32 v2, v2, v4
	v_fmac_f32_e32 v154, v7, v141
	v_add_f32_e32 v3, v3, v148
	v_add_f32_e32 v2, v2, v5
	;; [unrolled: 1-line block ×3, first 2 shown]
	s_waitcnt vmcnt(0)
	v_sub_f32_e32 v2, v144, v2
	v_sub_f32_e32 v3, v164, v3
	buffer_store_dword v2, off, s[0:3], 0 offset:112
	buffer_store_dword v3, off, s[0:3], 0 offset:116
	v_cmpx_lt_u32_e32 13, v0
	s_cbranch_execz .LBB51_299
; %bb.298:
	s_clause 0x1
	buffer_load_dword v2, off, s[0:3], 0 offset:104
	buffer_load_dword v3, off, s[0:3], 0 offset:108
	buffer_store_dword v1, off, s[0:3], 0 offset:104
	buffer_store_dword v1, off, s[0:3], 0 offset:108
	s_waitcnt vmcnt(0)
	ds_write_b64 v113, v[2:3]
.LBB51_299:
	s_or_b32 exec_lo, exec_lo, s4
	s_waitcnt lgkmcnt(0)
	s_waitcnt_vscnt null, 0x0
	s_barrier
	buffer_gl0_inv
	s_clause 0x2b
	buffer_load_dword v6, off, s[0:3], 0 offset:116
	buffer_load_dword v7, off, s[0:3], 0 offset:128
	;; [unrolled: 1-line block ×44, first 2 shown]
	ds_read_b128 v[2:5], v1 offset:528
	ds_read_b128 v[114:117], v1 offset:544
	;; [unrolled: 1-line block ×3, first 2 shown]
	buffer_load_dword v164, off, s[0:3], 0 offset:108
	s_mov_b32 s4, exec_lo
	s_waitcnt vmcnt(44) lgkmcnt(2)
	v_mul_f32_e32 v163, v3, v6
	v_mul_f32_e32 v6, v2, v6
	s_waitcnt vmcnt(41)
	v_fma_f32 v163, v2, v122, -v163
	v_fmac_f32_e32 v6, v3, v122
	s_waitcnt vmcnt(40)
	v_mul_f32_e32 v122, v4, v123
	v_mul_f32_e32 v2, v5, v123
	s_waitcnt vmcnt(39) lgkmcnt(1)
	v_mul_f32_e32 v123, v114, v124
	v_mul_f32_e32 v124, v115, v124
	v_add_f32_e32 v6, 0, v6
	v_fmac_f32_e32 v122, v5, v8
	v_fma_f32 v8, v4, v8, -v2
	ds_read_b128 v[2:5], v1 offset:576
	v_fmac_f32_e32 v123, v115, v7
	v_fma_f32 v7, v114, v7, -v124
	s_waitcnt vmcnt(38)
	v_mul_f32_e32 v124, v116, v125
	v_mul_f32_e32 v114, v117, v125
	v_add_f32_e32 v6, v6, v122
	s_waitcnt vmcnt(34)
	v_fmac_f32_e32 v124, v117, v129
	v_fma_f32 v125, v116, v129, -v114
	s_waitcnt vmcnt(33) lgkmcnt(1)
	v_mul_f32_e32 v129, v118, v130
	v_mul_f32_e32 v130, v119, v130
	ds_read_b128 v[114:117], v1 offset:592
	v_add_f32_e32 v6, v6, v123
	v_fmac_f32_e32 v129, v119, v128
	v_fma_f32 v128, v118, v128, -v130
	s_waitcnt vmcnt(32)
	v_mul_f32_e32 v130, v120, v131
	v_mul_f32_e32 v118, v121, v131
	v_add_f32_e32 v6, v6, v124
	s_waitcnt vmcnt(31) lgkmcnt(1)
	v_mul_f32_e32 v131, v2, v132
	v_mul_f32_e32 v132, v3, v132
	v_fmac_f32_e32 v130, v121, v127
	v_fma_f32 v127, v120, v127, -v118
	ds_read_b128 v[118:121], v1 offset:608
	v_fmac_f32_e32 v131, v3, v126
	v_fma_f32 v126, v2, v126, -v132
	s_waitcnt vmcnt(30)
	v_mul_f32_e32 v132, v4, v133
	v_mul_f32_e32 v2, v5, v133
	v_add_f32_e32 v6, v6, v129
	s_waitcnt vmcnt(26)
	v_fmac_f32_e32 v132, v5, v137
	v_fma_f32 v133, v4, v137, -v2
	s_waitcnt vmcnt(25) lgkmcnt(1)
	v_mul_f32_e32 v137, v114, v138
	v_mul_f32_e32 v2, v115, v138
	s_waitcnt vmcnt(24)
	v_mul_f32_e32 v138, v116, v139
	v_mul_f32_e32 v139, v117, v139
	v_add_f32_e32 v6, v6, v130
	v_fmac_f32_e32 v137, v115, v136
	v_fma_f32 v136, v114, v136, -v2
	ds_read_b128 v[2:5], v1 offset:624
	v_fmac_f32_e32 v138, v117, v135
	v_fma_f32 v135, v116, v135, -v139
	ds_read_b128 v[114:117], v1 offset:640
	s_waitcnt vmcnt(23) lgkmcnt(2)
	v_mul_f32_e32 v139, v118, v140
	v_mul_f32_e32 v140, v119, v140
	v_fmac_f32_e32 v139, v119, v134
	v_fma_f32 v118, v118, v134, -v140
	s_waitcnt vmcnt(22)
	v_mul_f32_e32 v119, v120, v141
	v_mul_f32_e32 v134, v121, v141
	s_waitcnt vmcnt(18)
	v_fmac_f32_e32 v119, v121, v145
	v_fma_f32 v120, v120, v145, -v134
	s_clause 0x1
	buffer_load_dword v121, off, s[0:3], 0 offset:284
	buffer_load_dword v134, off, s[0:3], 0 offset:292
	s_waitcnt vmcnt(19) lgkmcnt(1)
	v_mul_f32_e32 v140, v2, v146
	v_mul_f32_e32 v141, v3, v146
	s_waitcnt vmcnt(18)
	v_mul_f32_e32 v145, v4, v147
	v_mul_f32_e32 v146, v5, v147
	s_waitcnt vmcnt(17) lgkmcnt(0)
	v_mul_f32_e32 v147, v114, v148
	v_mul_f32_e32 v148, v115, v148
	v_fmac_f32_e32 v140, v3, v144
	v_fma_f32 v141, v2, v144, -v141
	v_fmac_f32_e32 v145, v5, v143
	v_fmac_f32_e32 v147, v115, v142
	v_fma_f32 v142, v114, v142, -v148
	v_add_f32_e32 v114, 0, v163
	v_fma_f32 v143, v4, v143, -v146
	ds_read_b128 v[2:5], v1 offset:656
	s_waitcnt vmcnt(16)
	v_mul_f32_e32 v144, v116, v149
	v_mul_f32_e32 v149, v117, v149
	v_add_f32_e32 v8, v114, v8
	s_waitcnt vmcnt(12)
	v_fmac_f32_e32 v144, v117, v153
	v_fma_f32 v146, v116, v153, -v149
	s_clause 0x4
	buffer_load_dword v148, off, s[0:3], 0 offset:300
	buffer_load_dword v149, off, s[0:3], 0 offset:320
	;; [unrolled: 1-line block ×5, first 2 shown]
	v_add_f32_e32 v7, v8, v7
	s_clause 0x2
	buffer_load_dword v8, off, s[0:3], 0 offset:308
	buffer_load_dword v166, off, s[0:3], 0 offset:316
	;; [unrolled: 1-line block ×3, first 2 shown]
	ds_read_b128 v[114:117], v1 offset:672
	v_add_f32_e32 v7, v7, v125
	v_add_f32_e32 v7, v7, v128
	s_waitcnt vmcnt(19) lgkmcnt(1)
	v_mul_f32_e32 v122, v2, v154
	v_mul_f32_e32 v123, v3, v154
	s_waitcnt vmcnt(18)
	v_mul_f32_e32 v124, v4, v155
	v_mul_f32_e32 v125, v5, v155
	v_fmac_f32_e32 v122, v3, v152
	v_add_f32_e32 v3, v7, v127
	v_fma_f32 v7, v2, v152, -v123
	v_fmac_f32_e32 v124, v5, v151
	v_fma_f32 v123, v4, v151, -v125
	v_add_f32_e32 v2, v3, v126
	v_add_f32_e32 v3, v6, v131
	s_clause 0x7
	buffer_load_dword v6, off, s[0:3], 0 offset:332
	buffer_load_dword v151, off, s[0:3], 0 offset:340
	;; [unrolled: 1-line block ×8, first 2 shown]
	s_waitcnt vmcnt(25) lgkmcnt(0)
	v_mul_f32_e32 v4, v115, v156
	v_mul_f32_e32 v125, v114, v156
	v_add_f32_e32 v2, v2, v133
	v_add_f32_e32 v3, v3, v132
	s_clause 0x3
	buffer_load_dword v156, off, s[0:3], 0 offset:364
	buffer_load_dword v171, off, s[0:3], 0 offset:372
	;; [unrolled: 1-line block ×4, first 2 shown]
	v_fma_f32 v126, v114, v150, -v4
	v_fmac_f32_e32 v125, v115, v150
	v_add_f32_e32 v2, v2, v136
	v_add_f32_e32 v114, v3, v137
	s_waitcnt vmcnt(28)
	v_mul_f32_e32 v3, v117, v157
	s_clause 0x1
	buffer_load_dword v136, off, s[0:3], 0 offset:396
	buffer_load_dword v150, off, s[0:3], 0 offset:404
	v_mul_f32_e32 v127, v116, v157
	v_add_f32_e32 v115, v2, v135
	v_add_f32_e32 v114, v114, v138
	s_waitcnt vmcnt(26)
	v_fma_f32 v128, v116, v161, -v3
	ds_read_b128 v[2:5], v1 offset:688
	buffer_load_dword v135, off, s[0:3], 0 offset:412
	v_add_f32_e32 v115, v115, v118
	v_add_f32_e32 v114, v114, v139
	s_clause 0x3
	buffer_load_dword v137, off, s[0:3], 0 offset:384
	buffer_load_dword v138, off, s[0:3], 0 offset:376
	;; [unrolled: 1-line block ×4, first 2 shown]
	v_fmac_f32_e32 v127, v117, v161
	v_add_f32_e32 v115, v115, v120
	v_add_f32_e32 v114, v114, v119
	;; [unrolled: 1-line block ×4, first 2 shown]
	ds_read_b128 v[114:117], v1 offset:704
	v_add_f32_e32 v118, v118, v143
	s_waitcnt vmcnt(30) lgkmcnt(1)
	v_mul_f32_e32 v129, v2, v162
	v_mul_f32_e32 v120, v3, v162
	v_fmac_f32_e32 v129, v3, v160
	v_add_f32_e32 v3, v118, v142
	s_clause 0x3
	buffer_load_dword v140, off, s[0:3], 0 offset:408
	buffer_load_dword v141, off, s[0:3], 0 offset:400
	;; [unrolled: 1-line block ×4, first 2 shown]
	v_fma_f32 v130, v2, v160, -v120
	v_add_f32_e32 v2, v119, v145
	v_add_f32_e32 v3, v3, v146
	;; [unrolled: 1-line block ×13, first 2 shown]
	s_waitcnt vmcnt(32)
	v_mul_f32_e32 v131, v4, v121
	v_mul_f32_e32 v118, v5, v121
	s_waitcnt vmcnt(31) lgkmcnt(0)
	v_mul_f32_e32 v144, v114, v134
	v_mul_f32_e32 v123, v115, v134
	v_fmac_f32_e32 v131, v5, v159
	v_fma_f32 v132, v4, v159, -v118
	ds_read_b128 v[2:5], v1 offset:720
	ds_read_b128 v[118:121], v1 offset:736
	v_fmac_f32_e32 v144, v115, v158
	v_fma_f32 v133, v114, v158, -v123
	v_add_f32_e32 v158, v126, v129
	v_add_f32_e32 v7, v7, v132
	;; [unrolled: 1-line block ×4, first 2 shown]
	s_waitcnt vmcnt(30)
	v_mul_f32_e32 v124, v117, v148
	v_mul_f32_e32 v134, v116, v148
	s_waitcnt vmcnt(26)
	v_fma_f32 v145, v116, v165, -v124
	v_fmac_f32_e32 v134, v117, v165
	s_waitcnt vmcnt(25) lgkmcnt(1)
	v_mul_f32_e32 v146, v2, v8
	v_mul_f32_e32 v8, v3, v8
	s_waitcnt vmcnt(24)
	v_mul_f32_e32 v147, v4, v166
	v_mul_f32_e32 v127, v5, v166
	s_waitcnt vmcnt(23) lgkmcnt(0)
	v_mul_f32_e32 v130, v119, v167
	ds_read_b128 v[114:117], v1 offset:752
	ds_read_b128 v[122:125], v1 offset:768
	v_mul_f32_e32 v148, v118, v167
	v_fmac_f32_e32 v146, v3, v163
	v_fma_f32 v8, v2, v163, -v8
	v_fmac_f32_e32 v147, v5, v153
	v_fma_f32 v153, v4, v153, -v127
	ds_read_b128 v[2:5], v1 offset:784
	ds_read_b128 v[126:129], v1 offset:800
	v_fma_f32 v118, v118, v149, -v130
	ds_read_b128 v[130:133], v1 offset:816
	v_add_f32_e32 v1, v158, v144
	v_add_f32_e32 v7, v7, v145
	v_fmac_f32_e32 v148, v119, v149
	s_waitcnt vmcnt(22)
	v_mul_f32_e32 v119, v120, v6
	v_mul_f32_e32 v6, v121, v6
	v_add_f32_e32 v1, v1, v134
	v_add_f32_e32 v7, v7, v8
	s_waitcnt vmcnt(15)
	v_fmac_f32_e32 v119, v121, v170
	v_fma_f32 v6, v120, v170, -v6
	v_add_f32_e32 v1, v1, v146
	v_add_f32_e32 v7, v7, v153
	s_waitcnt lgkmcnt(4)
	v_mul_f32_e32 v145, v115, v151
	v_mul_f32_e32 v144, v114, v151
	;; [unrolled: 1-line block ×3, first 2 shown]
	v_add_f32_e32 v1, v1, v147
	v_add_f32_e32 v7, v7, v118
	v_mul_f32_e32 v147, v117, v152
	v_fma_f32 v114, v114, v169, -v145
	v_fmac_f32_e32 v144, v115, v169
	v_add_f32_e32 v1, v1, v148
	v_add_f32_e32 v6, v7, v6
	s_waitcnt lgkmcnt(3)
	v_mul_f32_e32 v7, v123, v154
	v_fma_f32 v115, v116, v168, -v147
	v_mul_f32_e32 v120, v122, v154
	v_add_f32_e32 v1, v1, v119
	v_add_f32_e32 v6, v6, v114
	v_fmac_f32_e32 v134, v117, v168
	s_waitcnt vmcnt(14)
	v_mul_f32_e32 v114, v125, v156
	v_fma_f32 v7, v122, v155, -v7
	v_add_f32_e32 v1, v1, v144
	v_add_f32_e32 v6, v6, v115
	v_mul_f32_e32 v121, v124, v156
	v_fmac_f32_e32 v120, v123, v155
	s_waitcnt vmcnt(13) lgkmcnt(2)
	v_mul_f32_e32 v8, v2, v171
	v_add_f32_e32 v1, v1, v134
	v_mul_f32_e32 v115, v3, v171
	s_waitcnt vmcnt(4)
	v_fma_f32 v114, v124, v157, -v114
	v_add_f32_e32 v6, v6, v7
	v_fmac_f32_e32 v121, v125, v157
	v_add_f32_e32 v1, v1, v120
	v_mul_f32_e32 v7, v5, v172
	v_fmac_f32_e32 v8, v3, v139
	v_fma_f32 v2, v2, v139, -v115
	v_add_f32_e32 v3, v6, v114
	v_mul_f32_e32 v146, v4, v172
	v_add_f32_e32 v1, v1, v121
	s_waitcnt lgkmcnt(1)
	v_mul_f32_e32 v6, v127, v173
	v_fma_f32 v4, v4, v138, -v7
	v_add_f32_e32 v2, v3, v2
	v_mul_f32_e32 v149, v126, v173
	v_fmac_f32_e32 v146, v5, v138
	v_add_f32_e32 v1, v1, v8
	v_mul_f32_e32 v3, v129, v136
	v_fma_f32 v5, v126, v137, -v6
	v_add_f32_e32 v2, v2, v4
	v_mul_f32_e32 v151, v128, v136
	v_fmac_f32_e32 v149, v127, v137
	v_add_f32_e32 v1, v1, v146
	s_waitcnt lgkmcnt(0)
	v_mul_f32_e32 v4, v131, v150
	s_waitcnt vmcnt(1)
	v_fma_f32 v3, v128, v142, -v3
	v_add_f32_e32 v2, v2, v5
	v_mul_f32_e32 v152, v130, v150
	v_fmac_f32_e32 v151, v129, v142
	v_add_f32_e32 v1, v1, v149
	v_mul_f32_e32 v5, v133, v135
	v_fma_f32 v4, v130, v141, -v4
	v_add_f32_e32 v2, v2, v3
	v_mul_f32_e32 v118, v132, v135
	v_fmac_f32_e32 v152, v131, v141
	v_add_f32_e32 v1, v1, v151
	v_fma_f32 v3, v132, v140, -v5
	v_add_f32_e32 v2, v2, v4
	v_fmac_f32_e32 v118, v133, v140
	v_add_f32_e32 v1, v1, v152
	v_add_f32_e32 v2, v2, v3
	;; [unrolled: 1-line block ×3, first 2 shown]
	s_waitcnt vmcnt(0)
	v_sub_f32_e32 v2, v143, v2
	v_sub_f32_e32 v1, v164, v1
	buffer_store_dword v2, off, s[0:3], 0 offset:104
	buffer_store_dword v1, off, s[0:3], 0 offset:108
	v_cmpx_lt_u32_e32 12, v0
	s_cbranch_execz .LBB51_301
; %bb.300:
	s_clause 0x1
	buffer_load_dword v1, off, s[0:3], 0 offset:96
	buffer_load_dword v2, off, s[0:3], 0 offset:100
	v_mov_b32_e32 v3, 0
	buffer_store_dword v3, off, s[0:3], 0 offset:96
	buffer_store_dword v3, off, s[0:3], 0 offset:100
	s_waitcnt vmcnt(0)
	ds_write_b64 v113, v[1:2]
.LBB51_301:
	s_or_b32 exec_lo, exec_lo, s4
	s_waitcnt lgkmcnt(0)
	s_waitcnt_vscnt null, 0x0
	s_barrier
	buffer_gl0_inv
	s_clause 0x2c
	buffer_load_dword v6, off, s[0:3], 0 offset:108
	buffer_load_dword v7, off, s[0:3], 0 offset:116
	;; [unrolled: 1-line block ×45, first 2 shown]
	v_mov_b32_e32 v1, 0
	ds_read2_b64 v[2:5], v1 offset0:65 offset1:66
	ds_read2_b64 v[114:117], v1 offset0:67 offset1:68
	s_clause 0x2
	buffer_load_dword v162, off, s[0:3], 0 offset:100
	buffer_load_dword v163, off, s[0:3], 0 offset:284
	;; [unrolled: 1-line block ×3, first 2 shown]
	s_mov_b32 s4, exec_lo
	s_waitcnt vmcnt(47) lgkmcnt(1)
	v_mul_f32_e32 v160, v3, v6
	v_mul_f32_e32 v6, v2, v6
	s_waitcnt vmcnt(46)
	v_mul_f32_e32 v161, v4, v7
	v_mul_f32_e32 v7, v5, v7
	s_waitcnt vmcnt(43)
	v_fma_f32 v160, v2, v119, -v160
	v_fmac_f32_e32 v6, v3, v119
	v_fmac_f32_e32 v161, v5, v118
	v_fma_f32 v7, v4, v118, -v7
	ds_read2_b64 v[2:5], v1 offset0:69 offset1:70
	s_waitcnt vmcnt(42) lgkmcnt(1)
	v_mul_f32_e32 v118, v114, v120
	v_mul_f32_e32 v119, v115, v120
	s_waitcnt vmcnt(41)
	v_mul_f32_e32 v120, v116, v121
	v_mul_f32_e32 v121, v117, v121
	v_fmac_f32_e32 v118, v115, v8
	v_fma_f32 v8, v114, v8, -v119
	s_waitcnt vmcnt(37)
	v_fmac_f32_e32 v120, v117, v125
	v_fma_f32 v119, v116, v125, -v121
	ds_read2_b64 v[114:117], v1 offset0:71 offset1:72
	s_waitcnt vmcnt(36) lgkmcnt(1)
	v_mul_f32_e32 v121, v2, v126
	v_mul_f32_e32 v125, v3, v126
	s_waitcnt vmcnt(35)
	v_mul_f32_e32 v126, v4, v127
	v_mul_f32_e32 v127, v5, v127
	v_fmac_f32_e32 v121, v3, v124
	v_fma_f32 v124, v2, v124, -v125
	v_fmac_f32_e32 v126, v5, v123
	v_fma_f32 v123, v4, v123, -v127
	ds_read2_b64 v[2:5], v1 offset0:73 offset1:74
	s_waitcnt vmcnt(34) lgkmcnt(1)
	v_mul_f32_e32 v125, v114, v128
	v_mul_f32_e32 v127, v115, v128
	s_waitcnt vmcnt(33)
	v_mul_f32_e32 v128, v116, v129
	v_mul_f32_e32 v129, v117, v129
	v_fmac_f32_e32 v125, v115, v122
	v_fma_f32 v122, v114, v122, -v127
	s_waitcnt vmcnt(29)
	v_fmac_f32_e32 v128, v117, v133
	v_fma_f32 v127, v116, v133, -v129
	ds_read2_b64 v[114:117], v1 offset0:75 offset1:76
	s_waitcnt vmcnt(28) lgkmcnt(1)
	v_mul_f32_e32 v129, v2, v134
	v_mul_f32_e32 v133, v3, v134
	s_waitcnt vmcnt(27)
	v_mul_f32_e32 v134, v4, v135
	v_mul_f32_e32 v135, v5, v135
	v_fmac_f32_e32 v129, v3, v132
	v_fma_f32 v132, v2, v132, -v133
	;; [unrolled: 23-line block ×5, first 2 shown]
	v_fmac_f32_e32 v158, v5, v155
	v_fma_f32 v155, v4, v155, -v159
	s_clause 0x3
	buffer_load_dword v157, off, s[0:3], 0 offset:312
	buffer_load_dword v159, off, s[0:3], 0 offset:304
	;; [unrolled: 1-line block ×4, first 2 shown]
	s_waitcnt vmcnt(5) lgkmcnt(0)
	v_mul_f32_e32 v166, v114, v163
	v_mul_f32_e32 v3, v115, v163
	s_waitcnt vmcnt(4)
	v_mul_f32_e32 v163, v116, v164
	v_mul_f32_e32 v4, v117, v164
	s_clause 0x1
	buffer_load_dword v164, off, s[0:3], 0 offset:300
	buffer_load_dword v168, off, s[0:3], 0 offset:308
	v_fmac_f32_e32 v166, v115, v154
	v_fma_f32 v154, v114, v154, -v3
	v_add_f32_e32 v3, 0, v6
	buffer_load_dword v6, off, s[0:3], 0 offset:324
	v_add_f32_e32 v3, v3, v161
	v_add_f32_e32 v3, v3, v118
	;; [unrolled: 1-line block ×17, first 2 shown]
	s_waitcnt vmcnt(3)
	v_fmac_f32_e32 v163, v117, v2
	v_fma_f32 v167, v116, v2, -v4
	v_add_f32_e32 v2, 0, v160
	buffer_load_dword v160, off, s[0:3], 0 offset:316
	v_add_f32_e32 v2, v2, v7
	v_add_f32_e32 v2, v2, v8
	s_clause 0xa
	buffer_load_dword v8, off, s[0:3], 0 offset:344
	buffer_load_dword v161, off, s[0:3], 0 offset:336
	;; [unrolled: 1-line block ×11, first 2 shown]
	v_add_f32_e32 v2, v2, v119
	s_clause 0x3
	buffer_load_dword v177, off, s[0:3], 0 offset:388
	buffer_load_dword v178, off, s[0:3], 0 offset:396
	;; [unrolled: 1-line block ×4, first 2 shown]
	v_add_f32_e32 v2, v2, v124
	v_add_f32_e32 v2, v2, v123
	;; [unrolled: 1-line block ×9, first 2 shown]
	s_clause 0x3
	buffer_load_dword v131, off, s[0:3], 0 offset:376
	buffer_load_dword v132, off, s[0:3], 0 offset:368
	;; [unrolled: 1-line block ×4, first 2 shown]
	v_add_f32_e32 v2, v2, v130
	v_add_f32_e32 v2, v2, v135
	s_clause 0x4
	buffer_load_dword v130, off, s[0:3], 0 offset:408
	buffer_load_dword v133, off, s[0:3], 0 offset:400
	;; [unrolled: 1-line block ×5, first 2 shown]
	v_add_f32_e32 v2, v2, v140
	v_add_f32_e32 v114, v2, v139
	ds_read2_b64 v[2:5], v1 offset0:89 offset1:90
	v_add_f32_e32 v114, v114, v138
	v_add_f32_e32 v114, v114, v143
	;; [unrolled: 1-line block ×3, first 2 shown]
	ds_read2_b64 v[114:117], v1 offset0:91 offset1:92
	v_add_f32_e32 v119, v119, v147
	s_waitcnt vmcnt(27) lgkmcnt(1)
	v_mul_f32_e32 v137, v2, v164
	v_mul_f32_e32 v120, v3, v164
	s_waitcnt vmcnt(26)
	v_mul_f32_e32 v138, v4, v168
	v_mul_f32_e32 v121, v5, v168
	v_fmac_f32_e32 v137, v3, v165
	v_add_f32_e32 v3, v119, v146
	v_fma_f32 v139, v2, v165, -v120
	v_fmac_f32_e32 v138, v5, v159
	v_fma_f32 v140, v4, v159, -v121
	v_add_f32_e32 v126, v3, v151
	ds_read2_b64 v[2:5], v1 offset0:93 offset1:94
	ds_read2_b64 v[118:121], v1 offset0:95 offset1:96
	;; [unrolled: 1-line block ×3, first 2 shown]
	s_waitcnt vmcnt(25) lgkmcnt(3)
	v_mul_f32_e32 v142, v116, v6
	v_add_f32_e32 v126, v126, v156
	v_mul_f32_e32 v6, v117, v6
	v_add_f32_e32 v126, v126, v155
	s_waitcnt vmcnt(24)
	v_mul_f32_e32 v128, v115, v160
	v_mul_f32_e32 v141, v114, v160
	v_fma_f32 v143, v114, v157, -v128
	v_add_f32_e32 v114, v127, v158
	v_fmac_f32_e32 v141, v115, v157
	v_add_f32_e32 v115, v126, v154
	ds_read2_b64 v[126:129], v1 offset0:99 offset1:100
	s_waitcnt vmcnt(20)
	v_fma_f32 v144, v116, v7, -v6
	v_add_f32_e32 v145, v114, v166
	v_fmac_f32_e32 v142, v117, v7
	v_add_f32_e32 v146, v115, v167
	s_waitcnt vmcnt(19) lgkmcnt(3)
	v_mul_f32_e32 v147, v2, v170
	s_waitcnt vmcnt(18)
	v_mul_f32_e32 v149, v5, v171
	v_add_f32_e32 v145, v145, v163
	v_mul_f32_e32 v148, v4, v171
	v_add_f32_e32 v139, v146, v139
	v_mul_f32_e32 v146, v3, v170
	v_fmac_f32_e32 v147, v3, v169
	v_add_f32_e32 v137, v145, v137
	s_waitcnt vmcnt(17) lgkmcnt(2)
	v_mul_f32_e32 v145, v118, v172
	v_add_f32_e32 v139, v139, v140
	v_fma_f32 v2, v2, v169, -v146
	v_mul_f32_e32 v146, v119, v172
	v_add_f32_e32 v137, v137, v138
	v_fma_f32 v4, v4, v161, -v149
	v_add_f32_e32 v139, v139, v143
	v_fmac_f32_e32 v148, v5, v161
	v_fmac_f32_e32 v145, v119, v8
	v_add_f32_e32 v137, v137, v141
	v_fma_f32 v8, v118, v8, -v146
	v_add_f32_e32 v139, v139, v144
	s_waitcnt vmcnt(16)
	v_mul_f32_e32 v140, v120, v173
	ds_read2_b64 v[114:117], v1 offset0:101 offset1:102
	ds_read_b64 v[6:7], v1 offset:824
	v_add_f32_e32 v137, v137, v142
	s_waitcnt vmcnt(15) lgkmcnt(3)
	v_mul_f32_e32 v150, v122, v174
	v_add_f32_e32 v2, v139, v2
	s_waitcnt vmcnt(14)
	v_mul_f32_e32 v138, v124, v175
	s_waitcnt vmcnt(13) lgkmcnt(2)
	v_mul_f32_e32 v143, v126, v176
	v_add_f32_e32 v5, v137, v147
	v_mul_f32_e32 v137, v121, v173
	v_add_f32_e32 v2, v2, v4
	s_waitcnt vmcnt(6)
	v_fmac_f32_e32 v150, v123, v181
	s_waitcnt vmcnt(5)
	v_fmac_f32_e32 v140, v121, v182
	v_add_f32_e32 v4, v5, v148
	v_mul_f32_e32 v5, v123, v174
	v_fma_f32 v118, v120, v182, -v137
	v_add_f32_e32 v2, v2, v8
	v_mul_f32_e32 v8, v125, v175
	v_add_f32_e32 v4, v4, v145
	v_fma_f32 v5, v122, v181, -v5
	v_fmac_f32_e32 v138, v125, v132
	v_add_f32_e32 v2, v2, v118
	v_mul_f32_e32 v118, v127, v176
	v_add_f32_e32 v4, v4, v140
	v_fma_f32 v8, v124, v132, -v8
	v_mul_f32_e32 v3, v128, v177
	v_add_f32_e32 v2, v2, v5
	v_mul_f32_e32 v5, v129, v177
	v_add_f32_e32 v4, v4, v150
	v_fma_f32 v118, v126, v131, -v118
	v_fmac_f32_e32 v143, v127, v131
	v_add_f32_e32 v2, v2, v8
	s_waitcnt lgkmcnt(1)
	v_mul_f32_e32 v8, v115, v178
	v_add_f32_e32 v4, v4, v138
	s_waitcnt vmcnt(1)
	v_fma_f32 v5, v128, v135, -v5
	v_mul_f32_e32 v141, v114, v178
	v_add_f32_e32 v2, v2, v118
	v_fmac_f32_e32 v3, v129, v135
	v_add_f32_e32 v4, v4, v143
	v_mul_f32_e32 v118, v117, v179
	v_fma_f32 v8, v114, v134, -v8
	v_add_f32_e32 v2, v2, v5
	v_mul_f32_e32 v144, v116, v179
	v_fmac_f32_e32 v141, v115, v134
	v_add_f32_e32 v3, v4, v3
	s_waitcnt lgkmcnt(0)
	v_mul_f32_e32 v4, v7, v180
	v_fma_f32 v5, v116, v133, -v118
	v_add_f32_e32 v2, v2, v8
	v_mul_f32_e32 v142, v6, v180
	v_fmac_f32_e32 v144, v117, v133
	v_add_f32_e32 v3, v3, v141
	v_fma_f32 v4, v6, v130, -v4
	v_add_f32_e32 v2, v2, v5
	v_fmac_f32_e32 v142, v7, v130
	v_add_f32_e32 v3, v3, v144
	v_add_f32_e32 v2, v2, v4
	;; [unrolled: 1-line block ×3, first 2 shown]
	s_waitcnt vmcnt(0)
	v_sub_f32_e32 v2, v136, v2
	v_sub_f32_e32 v3, v162, v3
	buffer_store_dword v2, off, s[0:3], 0 offset:96
	buffer_store_dword v3, off, s[0:3], 0 offset:100
	v_cmpx_lt_u32_e32 11, v0
	s_cbranch_execz .LBB51_303
; %bb.302:
	s_clause 0x1
	buffer_load_dword v2, off, s[0:3], 0 offset:88
	buffer_load_dword v3, off, s[0:3], 0 offset:92
	buffer_store_dword v1, off, s[0:3], 0 offset:88
	buffer_store_dword v1, off, s[0:3], 0 offset:92
	s_waitcnt vmcnt(0)
	ds_write_b64 v113, v[2:3]
.LBB51_303:
	s_or_b32 exec_lo, exec_lo, s4
	s_waitcnt lgkmcnt(0)
	s_waitcnt_vscnt null, 0x0
	s_barrier
	buffer_gl0_inv
	s_clause 0x2c
	buffer_load_dword v6, off, s[0:3], 0 offset:100
	buffer_load_dword v7, off, s[0:3], 0 offset:108
	;; [unrolled: 1-line block ×45, first 2 shown]
	ds_read_b128 v[2:5], v1 offset:512
	ds_read_b128 v[114:117], v1 offset:528
	s_clause 0x2
	buffer_load_dword v162, off, s[0:3], 0 offset:92
	buffer_load_dword v163, off, s[0:3], 0 offset:276
	;; [unrolled: 1-line block ×3, first 2 shown]
	s_mov_b32 s4, exec_lo
	s_waitcnt vmcnt(47) lgkmcnt(1)
	v_mul_f32_e32 v160, v3, v6
	v_mul_f32_e32 v6, v2, v6
	s_waitcnt vmcnt(46)
	v_mul_f32_e32 v161, v4, v7
	v_mul_f32_e32 v7, v5, v7
	s_waitcnt vmcnt(43)
	v_fma_f32 v160, v2, v119, -v160
	v_fmac_f32_e32 v6, v3, v119
	v_fmac_f32_e32 v161, v5, v118
	v_fma_f32 v7, v4, v118, -v7
	ds_read_b128 v[2:5], v1 offset:544
	s_waitcnt vmcnt(42) lgkmcnt(1)
	v_mul_f32_e32 v118, v114, v120
	v_mul_f32_e32 v119, v115, v120
	s_waitcnt vmcnt(41)
	v_mul_f32_e32 v120, v116, v121
	v_mul_f32_e32 v121, v117, v121
	v_fmac_f32_e32 v118, v115, v8
	v_fma_f32 v8, v114, v8, -v119
	s_waitcnt vmcnt(37)
	v_fmac_f32_e32 v120, v117, v125
	v_fma_f32 v119, v116, v125, -v121
	ds_read_b128 v[114:117], v1 offset:560
	s_waitcnt vmcnt(36) lgkmcnt(1)
	v_mul_f32_e32 v121, v2, v126
	v_mul_f32_e32 v125, v3, v126
	s_waitcnt vmcnt(35)
	v_mul_f32_e32 v126, v4, v127
	v_mul_f32_e32 v127, v5, v127
	v_fmac_f32_e32 v121, v3, v124
	v_fma_f32 v124, v2, v124, -v125
	v_fmac_f32_e32 v126, v5, v123
	v_fma_f32 v123, v4, v123, -v127
	ds_read_b128 v[2:5], v1 offset:576
	s_waitcnt vmcnt(34) lgkmcnt(1)
	v_mul_f32_e32 v125, v114, v128
	v_mul_f32_e32 v127, v115, v128
	s_waitcnt vmcnt(33)
	v_mul_f32_e32 v128, v116, v129
	v_mul_f32_e32 v129, v117, v129
	v_fmac_f32_e32 v125, v115, v122
	v_fma_f32 v122, v114, v122, -v127
	s_waitcnt vmcnt(29)
	v_fmac_f32_e32 v128, v117, v133
	v_fma_f32 v127, v116, v133, -v129
	ds_read_b128 v[114:117], v1 offset:592
	s_waitcnt vmcnt(28) lgkmcnt(1)
	v_mul_f32_e32 v129, v2, v134
	v_mul_f32_e32 v133, v3, v134
	s_waitcnt vmcnt(27)
	v_mul_f32_e32 v134, v4, v135
	v_mul_f32_e32 v135, v5, v135
	v_fmac_f32_e32 v129, v3, v132
	v_fma_f32 v132, v2, v132, -v133
	;; [unrolled: 23-line block ×5, first 2 shown]
	v_fmac_f32_e32 v158, v5, v155
	v_fma_f32 v155, v4, v155, -v159
	s_clause 0x5
	buffer_load_dword v157, off, s[0:3], 0 offset:304
	buffer_load_dword v159, off, s[0:3], 0 offset:296
	;; [unrolled: 1-line block ×6, first 2 shown]
	v_add_f32_e32 v4, 0, v6
	buffer_load_dword v6, off, s[0:3], 0 offset:308
	v_add_f32_e32 v3, 0, v160
	s_waitcnt vmcnt(8) lgkmcnt(0)
	v_mul_f32_e32 v5, v115, v163
	s_waitcnt vmcnt(7)
	v_mul_f32_e32 v170, v116, v164
	v_add_f32_e32 v4, v4, v161
	v_add_f32_e32 v3, v3, v7
	v_mul_f32_e32 v7, v114, v163
	v_add_f32_e32 v4, v4, v118
	v_add_f32_e32 v3, v3, v8
	s_clause 0x7
	buffer_load_dword v8, off, s[0:3], 0 offset:316
	buffer_load_dword v160, off, s[0:3], 0 offset:336
	;; [unrolled: 1-line block ×8, first 2 shown]
	v_add_f32_e32 v3, v3, v119
	v_add_f32_e32 v4, v4, v120
	v_fmac_f32_e32 v7, v115, v154
	v_fma_f32 v154, v114, v154, -v5
	v_mul_f32_e32 v5, v117, v164
	v_add_f32_e32 v3, v3, v124
	v_add_f32_e32 v4, v4, v121
	s_clause 0x7
	buffer_load_dword v164, off, s[0:3], 0 offset:332
	buffer_load_dword v173, off, s[0:3], 0 offset:356
	;; [unrolled: 1-line block ×8, first 2 shown]
	v_add_f32_e32 v3, v3, v123
	v_add_f32_e32 v4, v4, v126
	buffer_load_dword v180, off, s[0:3], 0 offset:412
	s_waitcnt vmcnt(20)
	v_fmac_f32_e32 v170, v117, v2
	v_fma_f32 v126, v116, v2, -v5
	v_add_f32_e32 v2, v3, v122
	v_add_f32_e32 v3, v4, v125
	v_add_f32_e32 v2, v2, v127
	v_add_f32_e32 v3, v3, v128
	v_add_f32_e32 v2, v2, v132
	v_add_f32_e32 v3, v3, v129
	v_add_f32_e32 v2, v2, v131
	v_add_f32_e32 v3, v3, v134
	s_clause 0x3
	buffer_load_dword v134, off, s[0:3], 0 offset:368
	buffer_load_dword v181, off, s[0:3], 0 offset:360
	;; [unrolled: 1-line block ×4, first 2 shown]
	v_add_f32_e32 v2, v2, v130
	v_add_f32_e32 v3, v3, v133
	;; [unrolled: 1-line block ×4, first 2 shown]
	s_clause 0x3
	buffer_load_dword v135, off, s[0:3], 0 offset:400
	buffer_load_dword v136, off, s[0:3], 0 offset:392
	;; [unrolled: 1-line block ×4, first 2 shown]
	v_add_f32_e32 v2, v2, v140
	buffer_load_dword v140, off, s[0:3], 0 offset:408
	v_add_f32_e32 v3, v3, v137
	buffer_load_dword v137, off, s[0:3], 0 offset:88
	v_add_f32_e32 v2, v2, v139
	v_add_f32_e32 v3, v3, v142
	;; [unrolled: 1-line block ×4, first 2 shown]
	ds_read_b128 v[2:5], v1 offset:704
	v_add_f32_e32 v114, v114, v143
	v_add_f32_e32 v115, v115, v144
	;; [unrolled: 1-line block ×4, first 2 shown]
	ds_read_b128 v[114:117], v1 offset:720
	v_add_f32_e32 v118, v118, v147
	v_add_f32_e32 v119, v119, v150
	;; [unrolled: 1-line block ×4, first 2 shown]
	s_waitcnt vmcnt(29) lgkmcnt(1)
	v_mul_f32_e32 v138, v2, v166
	v_mul_f32_e32 v120, v3, v166
	s_waitcnt vmcnt(28)
	v_mul_f32_e32 v139, v4, v167
	v_mul_f32_e32 v121, v5, v167
	v_add_f32_e32 v123, v118, v151
	v_fmac_f32_e32 v138, v3, v165
	v_fma_f32 v130, v2, v165, -v120
	v_fmac_f32_e32 v139, v5, v159
	v_fma_f32 v141, v4, v159, -v121
	ds_read_b128 v[2:5], v1 offset:736
	ds_read_b128 v[118:121], v1 offset:752
	v_add_f32_e32 v122, v122, v152
	s_waitcnt vmcnt(27) lgkmcnt(2)
	v_mul_f32_e32 v142, v114, v6
	v_add_f32_e32 v123, v123, v156
	v_mul_f32_e32 v6, v115, v6
	s_waitcnt vmcnt(26)
	v_mul_f32_e32 v143, v116, v8
	v_add_f32_e32 v122, v122, v153
	v_fmac_f32_e32 v142, v115, v157
	v_add_f32_e32 v115, v123, v155
	v_mul_f32_e32 v8, v117, v8
	v_fma_f32 v6, v114, v157, -v6
	v_add_f32_e32 v127, v122, v158
	s_waitcnt vmcnt(22)
	v_fmac_f32_e32 v143, v117, v168
	v_add_f32_e32 v128, v115, v154
	v_fma_f32 v8, v116, v168, -v8
	ds_read_b128 v[114:117], v1 offset:768
	ds_read_b128 v[122:125], v1 offset:784
	v_add_f32_e32 v7, v127, v7
	v_add_f32_e32 v132, v128, v126
	s_waitcnt vmcnt(21) lgkmcnt(3)
	v_mul_f32_e32 v144, v2, v169
	v_mul_f32_e32 v131, v3, v169
	v_add_f32_e32 v7, v7, v170
	ds_read_b128 v[126:129], v1 offset:800
	s_waitcnt vmcnt(20) lgkmcnt(3)
	v_mul_f32_e32 v145, v119, v171
	v_fmac_f32_e32 v144, v3, v163
	v_add_f32_e32 v3, v132, v130
	v_fma_f32 v2, v2, v163, -v131
	ds_read_b128 v[130:133], v1 offset:816
	v_add_f32_e32 v1, v7, v138
	s_waitcnt vmcnt(18)
	v_mul_f32_e32 v138, v5, v164
	v_add_f32_e32 v3, v3, v141
	v_mul_f32_e32 v7, v4, v164
	v_mul_f32_e32 v141, v118, v171
	v_add_f32_e32 v1, v1, v139
	v_fma_f32 v4, v4, v161, -v138
	v_add_f32_e32 v3, v3, v6
	v_fmac_f32_e32 v7, v5, v161
	v_fma_f32 v118, v118, v160, -v145
	v_add_f32_e32 v1, v1, v142
	v_mul_f32_e32 v139, v120, v172
	v_add_f32_e32 v3, v3, v8
	v_mul_f32_e32 v8, v121, v172
	v_fmac_f32_e32 v141, v119, v160
	v_add_f32_e32 v1, v1, v143
	s_waitcnt vmcnt(17) lgkmcnt(3)
	v_mul_f32_e32 v5, v114, v173
	v_add_f32_e32 v2, v3, v2
	s_waitcnt vmcnt(16)
	v_mul_f32_e32 v138, v116, v174
	s_waitcnt vmcnt(15) lgkmcnt(2)
	v_mul_f32_e32 v6, v122, v175
	v_add_f32_e32 v1, v1, v144
	s_waitcnt vmcnt(14)
	v_mul_f32_e32 v142, v124, v176
	v_add_f32_e32 v2, v2, v4
	v_mul_f32_e32 v4, v115, v173
	s_waitcnt vmcnt(13) lgkmcnt(1)
	v_mul_f32_e32 v146, v126, v177
	v_add_f32_e32 v1, v1, v7
	s_waitcnt vmcnt(12)
	v_mul_f32_e32 v143, v128, v178
	v_add_f32_e32 v2, v2, v118
	s_waitcnt vmcnt(11) lgkmcnt(0)
	v_mul_f32_e32 v147, v130, v179
	s_waitcnt vmcnt(10)
	v_mul_f32_e32 v3, v132, v180
	v_add_f32_e32 v1, v1, v141
	s_waitcnt vmcnt(9)
	v_fmac_f32_e32 v6, v123, v134
	s_waitcnt vmcnt(8)
	v_fmac_f32_e32 v138, v117, v181
	s_waitcnt vmcnt(7)
	v_fma_f32 v4, v114, v182, -v4
	s_waitcnt vmcnt(6)
	v_fma_f32 v7, v120, v183, -v8
	v_fmac_f32_e32 v139, v121, v183
	v_mul_f32_e32 v8, v117, v174
	v_fmac_f32_e32 v5, v115, v182
	v_add_f32_e32 v2, v2, v7
	v_add_f32_e32 v1, v1, v139
	v_mul_f32_e32 v7, v123, v175
	v_fma_f32 v8, v116, v181, -v8
	s_waitcnt vmcnt(3)
	v_fmac_f32_e32 v146, v127, v184
	v_add_f32_e32 v2, v2, v4
	v_add_f32_e32 v1, v1, v5
	v_mul_f32_e32 v4, v125, v176
	v_fma_f32 v5, v122, v134, -v7
	v_mul_f32_e32 v7, v127, v177
	v_add_f32_e32 v2, v2, v8
	v_add_f32_e32 v1, v1, v138
	s_waitcnt vmcnt(2)
	v_fma_f32 v4, v124, v185, -v4
	v_fmac_f32_e32 v142, v125, v185
	v_fmac_f32_e32 v143, v129, v136
	v_add_f32_e32 v2, v2, v5
	v_add_f32_e32 v1, v1, v6
	v_mul_f32_e32 v5, v129, v178
	v_fma_f32 v6, v126, v184, -v7
	v_fmac_f32_e32 v147, v131, v135
	v_add_f32_e32 v2, v2, v4
	v_add_f32_e32 v1, v1, v142
	v_mul_f32_e32 v4, v131, v179
	v_fma_f32 v5, v128, v136, -v5
	s_waitcnt vmcnt(1)
	v_fmac_f32_e32 v3, v133, v140
	v_add_f32_e32 v2, v2, v6
	v_add_f32_e32 v1, v1, v146
	v_mul_f32_e32 v6, v133, v180
	v_fma_f32 v4, v130, v135, -v4
	v_add_f32_e32 v2, v2, v5
	v_add_f32_e32 v1, v1, v143
	v_fma_f32 v5, v132, v140, -v6
	v_add_f32_e32 v2, v2, v4
	v_add_f32_e32 v1, v1, v147
	;; [unrolled: 1-line block ×4, first 2 shown]
	s_waitcnt vmcnt(0)
	v_sub_f32_e32 v2, v137, v2
	v_sub_f32_e32 v1, v162, v1
	buffer_store_dword v2, off, s[0:3], 0 offset:88
	buffer_store_dword v1, off, s[0:3], 0 offset:92
	v_cmpx_lt_u32_e32 10, v0
	s_cbranch_execz .LBB51_305
; %bb.304:
	s_clause 0x1
	buffer_load_dword v1, off, s[0:3], 0 offset:80
	buffer_load_dword v2, off, s[0:3], 0 offset:84
	v_mov_b32_e32 v3, 0
	buffer_store_dword v3, off, s[0:3], 0 offset:80
	buffer_store_dword v3, off, s[0:3], 0 offset:84
	s_waitcnt vmcnt(0)
	ds_write_b64 v113, v[1:2]
.LBB51_305:
	s_or_b32 exec_lo, exec_lo, s4
	s_waitcnt lgkmcnt(0)
	s_waitcnt_vscnt null, 0x0
	s_barrier
	buffer_gl0_inv
	s_clause 0x24
	buffer_load_dword v2, off, s[0:3], 0 offset:92
	buffer_load_dword v3, off, s[0:3], 0 offset:100
	;; [unrolled: 1-line block ×37, first 2 shown]
	v_mov_b32_e32 v1, 0
	ds_read2_b64 v[122:125], v1 offset0:63 offset1:64
	ds_read2_b64 v[126:129], v1 offset0:65 offset1:66
	;; [unrolled: 1-line block ×3, first 2 shown]
	s_clause 0x1
	buffer_load_dword v160, off, s[0:3], 0 offset:236
	buffer_load_dword v161, off, s[0:3], 0 offset:84
	ds_read2_b64 v[134:137], v1 offset0:69 offset1:70
	s_mov_b32 s4, exec_lo
	s_waitcnt vmcnt(38) lgkmcnt(3)
	v_mul_f32_e32 v162, v123, v2
	v_mul_f32_e32 v2, v122, v2
	s_waitcnt vmcnt(37)
	v_mul_f32_e32 v163, v124, v3
	v_mul_f32_e32 v3, v125, v3
	s_waitcnt vmcnt(34)
	v_fma_f32 v162, v122, v140, -v162
	v_fmac_f32_e32 v2, v123, v140
	v_fmac_f32_e32 v163, v125, v139
	v_fma_f32 v3, v124, v139, -v3
	ds_read2_b64 v[122:125], v1 offset0:71 offset1:72
	s_waitcnt vmcnt(33) lgkmcnt(3)
	v_mul_f32_e32 v139, v126, v141
	v_mul_f32_e32 v140, v127, v141
	s_waitcnt vmcnt(32)
	v_mul_f32_e32 v141, v128, v142
	v_mul_f32_e32 v142, v129, v142
	s_waitcnt vmcnt(31) lgkmcnt(2)
	v_mul_f32_e32 v164, v130, v143
	v_fmac_f32_e32 v139, v127, v138
	v_fma_f32 v138, v126, v138, -v140
	s_waitcnt vmcnt(26)
	v_fmac_f32_e32 v141, v129, v148
	v_fma_f32 v142, v128, v148, -v142
	ds_read2_b64 v[126:129], v1 offset0:73 offset1:74
	v_mul_f32_e32 v143, v131, v143
	v_mul_f32_e32 v140, v132, v144
	;; [unrolled: 1-line block ×3, first 2 shown]
	v_fmac_f32_e32 v164, v131, v147
	s_waitcnt vmcnt(24) lgkmcnt(2)
	v_mul_f32_e32 v148, v136, v150
	v_fma_f32 v143, v130, v147, -v143
	v_fmac_f32_e32 v140, v133, v146
	v_fma_f32 v144, v132, v146, -v144
	v_mul_f32_e32 v146, v134, v149
	v_mul_f32_e32 v147, v135, v149
	;; [unrolled: 1-line block ×3, first 2 shown]
	ds_read2_b64 v[130:133], v1 offset0:75 offset1:76
	s_waitcnt vmcnt(19)
	v_fmac_f32_e32 v148, v137, v153
	v_fmac_f32_e32 v146, v135, v145
	v_fma_f32 v134, v134, v145, -v147
	v_fma_f32 v135, v136, v153, -v149
	s_clause 0x4
	buffer_load_dword v136, off, s[0:3], 0 offset:244
	buffer_load_dword v137, off, s[0:3], 0 offset:264
	;; [unrolled: 1-line block ×5, first 2 shown]
	s_waitcnt lgkmcnt(2)
	v_mul_f32_e32 v150, v122, v151
	v_mul_f32_e32 v151, v123, v151
	s_waitcnt vmcnt(23)
	v_mul_f32_e32 v153, v124, v154
	v_mul_f32_e32 v154, v125, v154
	s_waitcnt vmcnt(21) lgkmcnt(1)
	v_mul_f32_e32 v165, v128, v156
	v_fmac_f32_e32 v150, v123, v152
	v_fma_f32 v151, v122, v152, -v151
	v_mul_f32_e32 v152, v126, v155
	v_mul_f32_e32 v122, v127, v155
	buffer_load_dword v155, off, s[0:3], 0 offset:252
	v_fmac_f32_e32 v153, v125, v119
	v_fma_f32 v154, v124, v119, -v154
	v_mul_f32_e32 v119, v129, v156
	v_fmac_f32_e32 v152, v127, v8
	v_fma_f32 v8, v126, v8, -v122
	ds_read2_b64 v[122:125], v1 offset0:77 offset1:78
	s_waitcnt vmcnt(18)
	v_fmac_f32_e32 v165, v129, v157
	v_fma_f32 v156, v128, v157, -v119
	ds_read2_b64 v[126:129], v1 offset0:79 offset1:80
	s_waitcnt vmcnt(17) lgkmcnt(2)
	v_mul_f32_e32 v157, v130, v158
	v_mul_f32_e32 v119, v131, v158
	s_waitcnt vmcnt(16)
	v_mul_f32_e32 v158, v132, v159
	v_mul_f32_e32 v159, v133, v159
	v_add_f32_e32 v2, 0, v2
	v_fmac_f32_e32 v157, v131, v120
	v_fma_f32 v130, v130, v120, -v119
	v_fmac_f32_e32 v158, v133, v114
	v_fma_f32 v131, v132, v114, -v159
	s_clause 0x2
	buffer_load_dword v132, off, s[0:3], 0 offset:260
	buffer_load_dword v133, off, s[0:3], 0 offset:268
	;; [unrolled: 1-line block ×3, first 2 shown]
	s_waitcnt vmcnt(18) lgkmcnt(1)
	v_mul_f32_e32 v159, v122, v116
	v_mul_f32_e32 v114, v123, v116
	s_waitcnt vmcnt(17)
	v_mul_f32_e32 v166, v124, v115
	v_mul_f32_e32 v115, v125, v115
	v_fmac_f32_e32 v159, v123, v5
	v_fma_f32 v123, v122, v5, -v114
	s_waitcnt vmcnt(13)
	v_fmac_f32_e32 v166, v125, v121
	s_waitcnt vmcnt(12) lgkmcnt(0)
	v_mul_f32_e32 v125, v126, v118
	v_mul_f32_e32 v5, v127, v118
	s_waitcnt vmcnt(11)
	v_mul_f32_e32 v118, v128, v117
	v_mul_f32_e32 v114, v129, v117
	v_fma_f32 v124, v124, v121, -v115
	ds_read2_b64 v[119:122], v1 offset0:81 offset1:82
	v_fmac_f32_e32 v125, v127, v7
	v_fma_f32 v7, v126, v7, -v5
	v_fmac_f32_e32 v118, v129, v6
	v_fma_f32 v6, v128, v6, -v114
	s_clause 0x4
	buffer_load_dword v126, off, s[0:3], 0 offset:296
	buffer_load_dword v127, off, s[0:3], 0 offset:288
	;; [unrolled: 1-line block ×5, first 2 shown]
	v_add_f32_e32 v5, 0, v162
	v_add_f32_e32 v3, v5, v3
	;; [unrolled: 1-line block ×3, first 2 shown]
	s_waitcnt vmcnt(15) lgkmcnt(0)
	v_mul_f32_e32 v162, v119, v160
	v_mul_f32_e32 v114, v120, v160
	v_add_f32_e32 v115, v115, v142
	v_fmac_f32_e32 v162, v120, v4
	buffer_load_dword v120, off, s[0:3], 0 offset:292
	v_fma_f32 v119, v119, v4, -v114
	v_add_f32_e32 v114, v2, v163
	ds_read2_b64 v[2:5], v1 offset0:83 offset1:84
	v_add_f32_e32 v115, v115, v143
	v_add_f32_e32 v114, v114, v139
	buffer_load_dword v139, off, s[0:3], 0 offset:308
	v_add_f32_e32 v114, v114, v141
	v_add_f32_e32 v141, v115, v144
	;; [unrolled: 1-line block ×3, first 2 shown]
	s_waitcnt vmcnt(15)
	v_mul_f32_e32 v138, v121, v136
	v_mul_f32_e32 v116, v122, v136
	buffer_load_dword v136, off, s[0:3], 0 offset:300
	s_waitcnt vmcnt(12)
	v_fmac_f32_e32 v138, v122, v149
	v_add_f32_e32 v122, v114, v164
	v_fma_f32 v121, v121, v149, -v116
	ds_read2_b64 v[114:117], v1 offset0:85 offset1:86
	v_add_f32_e32 v122, v122, v140
	s_clause 0x3
	buffer_load_dword v140, off, s[0:3], 0 offset:328
	buffer_load_dword v141, off, s[0:3], 0 offset:320
	;; [unrolled: 1-line block ×4, first 2 shown]
	s_waitcnt vmcnt(15) lgkmcnt(1)
	v_mul_f32_e32 v142, v2, v155
	v_mul_f32_e32 v143, v3, v155
	v_fmac_f32_e32 v142, v3, v147
	v_fma_f32 v143, v2, v147, -v143
	v_add_f32_e32 v2, v122, v146
	s_clause 0x1
	buffer_load_dword v146, off, s[0:3], 0 offset:316
	buffer_load_dword v147, off, s[0:3], 0 offset:324
	v_add_f32_e32 v3, v134, v135
	buffer_load_dword v134, off, s[0:3], 0 offset:332
	v_add_f32_e32 v2, v2, v148
	v_add_f32_e32 v3, v3, v151
	v_add_f32_e32 v135, v2, v150
	s_waitcnt vmcnt(17)
	v_mul_f32_e32 v122, v4, v132
	v_add_f32_e32 v154, v3, v154
	v_mul_f32_e32 v132, v5, v132
	v_add_f32_e32 v135, v135, v153
	s_waitcnt vmcnt(16) lgkmcnt(0)
	v_mul_f32_e32 v153, v114, v133
	v_add_f32_e32 v8, v154, v8
	v_mul_f32_e32 v133, v115, v133
	v_fmac_f32_e32 v122, v5, v145
	v_add_f32_e32 v135, v135, v152
	v_fma_f32 v132, v4, v145, -v132
	s_clause 0x3
	buffer_load_dword v145, off, s[0:3], 0 offset:340
	buffer_load_dword v148, off, s[0:3], 0 offset:348
	;; [unrolled: 1-line block ×4, first 2 shown]
	ds_read2_b64 v[2:5], v1 offset0:87 offset1:88
	v_add_f32_e32 v8, v8, v156
	s_waitcnt vmcnt(19)
	v_mul_f32_e32 v154, v116, v167
	v_mul_f32_e32 v152, v117, v167
	v_fma_f32 v133, v114, v137, -v133
	v_add_f32_e32 v114, v135, v165
	v_add_f32_e32 v8, v8, v130
	v_fmac_f32_e32 v153, v115, v137
	s_clause 0x3
	buffer_load_dword v135, off, s[0:3], 0 offset:372
	buffer_load_dword v137, off, s[0:3], 0 offset:380
	;; [unrolled: 1-line block ×4, first 2 shown]
	v_add_f32_e32 v114, v114, v157
	v_add_f32_e32 v8, v8, v131
	s_waitcnt vmcnt(19)
	v_fmac_f32_e32 v154, v117, v129
	v_fma_f32 v129, v116, v129, -v152
	s_clause 0x5
	buffer_load_dword v152, off, s[0:3], 0 offset:404
	buffer_load_dword v130, off, s[0:3], 0 offset:360
	;; [unrolled: 1-line block ×6, first 2 shown]
	v_add_f32_e32 v131, v114, v158
	v_add_f32_e32 v8, v8, v123
	ds_read2_b64 v[114:117], v1 offset0:89 offset1:90
	s_waitcnt vmcnt(24) lgkmcnt(1)
	v_mul_f32_e32 v158, v3, v168
	v_add_f32_e32 v123, v131, v159
	v_mul_f32_e32 v131, v2, v168
	v_add_f32_e32 v8, v8, v124
	v_fmac_f32_e32 v131, v3, v128
	v_fma_f32 v128, v2, v128, -v158
	v_add_f32_e32 v3, v8, v7
	s_clause 0x3
	buffer_load_dword v8, off, s[0:3], 0 offset:392
	buffer_load_dword v158, off, s[0:3], 0 offset:384
	;; [unrolled: 1-line block ×4, first 2 shown]
	v_add_f32_e32 v2, v123, v166
	s_clause 0x2
	buffer_load_dword v166, off, s[0:3], 0 offset:408
	buffer_load_dword v167, off, s[0:3], 0 offset:400
	;; [unrolled: 1-line block ×3, first 2 shown]
	v_add_f32_e32 v3, v3, v6
	s_waitcnt vmcnt(30)
	v_mul_f32_e32 v169, v4, v120
	v_add_f32_e32 v2, v2, v125
	v_add_f32_e32 v6, v3, v119
	v_mul_f32_e32 v3, v5, v120
	v_add_f32_e32 v2, v2, v118
	v_fmac_f32_e32 v169, v5, v127
	s_waitcnt vmcnt(29) lgkmcnt(0)
	v_mul_f32_e32 v124, v117, v139
	v_add_f32_e32 v6, v6, v121
	ds_read2_b64 v[118:121], v1 offset0:93 offset1:94
	v_add_f32_e32 v7, v2, v162
	v_fma_f32 v162, v4, v127, -v3
	ds_read2_b64 v[2:5], v1 offset0:91 offset1:92
	v_add_f32_e32 v6, v6, v143
	v_add_f32_e32 v7, v7, v138
	;; [unrolled: 1-line block ×9, first 2 shown]
	s_waitcnt vmcnt(28)
	v_mul_f32_e32 v138, v114, v136
	v_mul_f32_e32 v123, v115, v136
	;; [unrolled: 1-line block ×3, first 2 shown]
	v_fmac_f32_e32 v138, v115, v126
	v_fma_f32 v139, v114, v126, -v123
	s_waitcnt vmcnt(24)
	v_fma_f32 v132, v116, v149, -v124
	v_fmac_f32_e32 v136, v117, v149
	ds_read2_b64 v[114:117], v1 offset0:95 offset1:96
	ds_read2_b64 v[122:125], v1 offset0:97 offset1:98
	s_waitcnt vmcnt(23) lgkmcnt(2)
	v_mul_f32_e32 v133, v2, v146
	v_mul_f32_e32 v126, v3, v146
	s_waitcnt vmcnt(22)
	v_mul_f32_e32 v142, v4, v147
	v_mul_f32_e32 v143, v5, v147
	s_waitcnt vmcnt(21)
	v_mul_f32_e32 v146, v118, v134
	v_fmac_f32_e32 v133, v3, v144
	v_fma_f32 v144, v2, v144, -v126
	v_add_f32_e32 v2, v7, v154
	v_fmac_f32_e32 v142, v5, v141
	v_fma_f32 v141, v4, v141, -v143
	v_add_f32_e32 v143, v6, v162
	v_mul_f32_e32 v134, v119, v134
	v_add_f32_e32 v131, v2, v131
	v_fmac_f32_e32 v146, v119, v140
	ds_read2_b64 v[126:129], v1 offset0:99 offset1:100
	ds_read2_b64 v[2:5], v1 offset0:101 offset1:102
	v_add_f32_e32 v139, v143, v139
	v_add_f32_e32 v131, v131, v169
	v_fma_f32 v118, v118, v140, -v134
	s_waitcnt vmcnt(20)
	v_mul_f32_e32 v143, v121, v145
	v_mul_f32_e32 v147, v120, v145
	v_add_f32_e32 v132, v139, v132
	v_add_f32_e32 v131, v131, v138
	s_waitcnt vmcnt(19) lgkmcnt(3)
	v_mul_f32_e32 v138, v114, v148
	v_mul_f32_e32 v140, v115, v148
	s_waitcnt vmcnt(18)
	v_mul_f32_e32 v139, v116, v150
	v_add_f32_e32 v132, v132, v144
	v_add_f32_e32 v131, v131, v136
	s_waitcnt vmcnt(17) lgkmcnt(2)
	v_mul_f32_e32 v145, v122, v151
	s_waitcnt vmcnt(16)
	v_mul_f32_e32 v136, v124, v135
	ds_read_b64 v[6:7], v1 offset:824
	v_add_f32_e32 v132, v132, v141
	v_add_f32_e32 v131, v131, v133
	s_waitcnt vmcnt(15) lgkmcnt(2)
	v_mul_f32_e32 v144, v126, v137
	s_waitcnt vmcnt(11)
	v_fmac_f32_e32 v145, v123, v130
	v_add_f32_e32 v118, v132, v118
	v_add_f32_e32 v131, v131, v142
	s_waitcnt vmcnt(8)
	v_fma_f32 v120, v120, v163, -v143
	v_fmac_f32_e32 v147, v121, v163
	v_fmac_f32_e32 v138, v115, v160
	v_fma_f32 v114, v114, v160, -v140
	v_add_f32_e32 v121, v131, v146
	v_mul_f32_e32 v131, v117, v150
	v_add_f32_e32 v115, v118, v120
	v_mul_f32_e32 v120, v123, v151
	v_fmac_f32_e32 v139, v117, v157
	v_add_f32_e32 v118, v121, v147
	v_fma_f32 v116, v116, v157, -v131
	v_add_f32_e32 v114, v115, v114
	v_mul_f32_e32 v117, v125, v135
	v_mul_f32_e32 v119, v128, v155
	v_add_f32_e32 v115, v118, v138
	v_fma_f32 v118, v122, v130, -v120
	v_add_f32_e32 v114, v114, v116
	v_mul_f32_e32 v116, v127, v137
	s_waitcnt vmcnt(3)
	v_fma_f32 v117, v124, v165, -v117
	v_add_f32_e32 v115, v115, v139
	v_fmac_f32_e32 v136, v125, v165
	v_add_f32_e32 v114, v114, v118
	v_mul_f32_e32 v118, v129, v155
	v_fma_f32 v116, v126, v159, -v116
	v_add_f32_e32 v115, v115, v145
	v_fmac_f32_e32 v144, v127, v159
	v_add_f32_e32 v114, v114, v117
	s_waitcnt lgkmcnt(1)
	v_mul_f32_e32 v133, v2, v156
	v_mul_f32_e32 v117, v3, v156
	v_add_f32_e32 v115, v115, v136
	v_fma_f32 v118, v128, v158, -v118
	v_add_f32_e32 v114, v114, v116
	v_fmac_f32_e32 v119, v129, v158
	v_mul_f32_e32 v116, v5, v152
	v_add_f32_e32 v115, v115, v144
	v_fmac_f32_e32 v133, v3, v8
	v_fma_f32 v2, v2, v8, -v117
	v_add_f32_e32 v3, v114, v118
	v_mul_f32_e32 v134, v4, v152
	v_add_f32_e32 v8, v115, v119
	s_waitcnt lgkmcnt(0)
	v_mul_f32_e32 v114, v7, v164
	s_waitcnt vmcnt(1)
	v_fma_f32 v4, v4, v167, -v116
	v_add_f32_e32 v2, v3, v2
	v_mul_f32_e32 v141, v6, v164
	v_fmac_f32_e32 v134, v5, v167
	v_add_f32_e32 v3, v8, v133
	v_fma_f32 v5, v6, v166, -v114
	v_add_f32_e32 v2, v2, v4
	v_fmac_f32_e32 v141, v7, v166
	v_add_f32_e32 v3, v3, v134
	v_add_f32_e32 v2, v2, v5
	;; [unrolled: 1-line block ×3, first 2 shown]
	s_waitcnt vmcnt(0)
	v_sub_f32_e32 v2, v168, v2
	v_sub_f32_e32 v3, v161, v3
	buffer_store_dword v2, off, s[0:3], 0 offset:80
	buffer_store_dword v3, off, s[0:3], 0 offset:84
	v_cmpx_lt_u32_e32 9, v0
	s_cbranch_execz .LBB51_307
; %bb.306:
	s_clause 0x1
	buffer_load_dword v2, off, s[0:3], 0 offset:72
	buffer_load_dword v3, off, s[0:3], 0 offset:76
	buffer_store_dword v1, off, s[0:3], 0 offset:72
	buffer_store_dword v1, off, s[0:3], 0 offset:76
	s_waitcnt vmcnt(0)
	ds_write_b64 v113, v[2:3]
.LBB51_307:
	s_or_b32 exec_lo, exec_lo, s4
	s_waitcnt lgkmcnt(0)
	s_waitcnt_vscnt null, 0x0
	s_barrier
	buffer_gl0_inv
	s_clause 0x24
	buffer_load_dword v142, off, s[0:3], 0 offset:84
	buffer_load_dword v2, off, s[0:3], 0 offset:92
	;; [unrolled: 1-line block ×37, first 2 shown]
	ds_read_b128 v[126:129], v1 offset:496
	ds_read_b128 v[130:133], v1 offset:512
	;; [unrolled: 1-line block ×3, first 2 shown]
	s_clause 0x1
	buffer_load_dword v160, off, s[0:3], 0 offset:228
	buffer_load_dword v161, off, s[0:3], 0 offset:236
	ds_read_b128 v[138:141], v1 offset:544
	buffer_load_dword v163, off, s[0:3], 0 offset:76
	s_mov_b32 s4, exec_lo
	s_waitcnt vmcnt(39) lgkmcnt(3)
	v_mul_f32_e32 v162, v127, v142
	v_mul_f32_e32 v142, v126, v142
	s_waitcnt vmcnt(38)
	v_mul_f32_e32 v164, v128, v2
	v_mul_f32_e32 v2, v129, v2
	s_waitcnt vmcnt(35)
	v_fma_f32 v162, v126, v145, -v162
	v_fmac_f32_e32 v142, v127, v145
	v_fmac_f32_e32 v164, v129, v144
	v_fma_f32 v2, v128, v144, -v2
	s_waitcnt vmcnt(33) lgkmcnt(2)
	v_mul_f32_e32 v144, v132, v147
	v_mul_f32_e32 v127, v133, v147
	;; [unrolled: 1-line block ×4, first 2 shown]
	s_waitcnt vmcnt(32) lgkmcnt(1)
	v_mul_f32_e32 v146, v134, v148
	v_mul_f32_e32 v147, v135, v148
	s_waitcnt vmcnt(28)
	v_fmac_f32_e32 v144, v133, v151
	v_fma_f32 v148, v132, v151, -v127
	s_waitcnt vmcnt(27)
	v_mul_f32_e32 v151, v136, v152
	v_mul_f32_e32 v152, v137, v152
	v_fmac_f32_e32 v145, v131, v143
	v_fma_f32 v143, v130, v143, -v126
	ds_read_b128 v[126:129], v1 offset:560
	ds_read_b128 v[130:133], v1 offset:576
	v_fmac_f32_e32 v146, v135, v150
	v_fma_f32 v147, v134, v150, -v147
	s_waitcnt vmcnt(26) lgkmcnt(2)
	v_mul_f32_e32 v150, v138, v153
	v_mul_f32_e32 v134, v139, v153
	v_fmac_f32_e32 v151, v137, v149
	v_fma_f32 v149, v136, v149, -v152
	s_waitcnt vmcnt(25)
	v_mul_f32_e32 v152, v140, v154
	v_mul_f32_e32 v135, v141, v154
	s_clause 0x3
	buffer_load_dword v153, off, s[0:3], 0 offset:256
	buffer_load_dword v154, off, s[0:3], 0 offset:248
	;; [unrolled: 1-line block ×4, first 2 shown]
	v_fmac_f32_e32 v150, v139, v116
	v_fma_f32 v138, v138, v116, -v134
	s_waitcnt vmcnt(25)
	v_fmac_f32_e32 v152, v141, v155
	v_fma_f32 v139, v140, v155, -v135
	ds_read_b128 v[134:137], v1 offset:592
	s_clause 0x1
	buffer_load_dword v167, off, s[0:3], 0 offset:244
	buffer_load_dword v168, off, s[0:3], 0 offset:252
	s_waitcnt vmcnt(26) lgkmcnt(2)
	v_mul_f32_e32 v140, v126, v156
	v_mul_f32_e32 v116, v127, v156
	s_waitcnt vmcnt(25)
	v_mul_f32_e32 v141, v128, v157
	v_mul_f32_e32 v155, v129, v157
	s_waitcnt vmcnt(24) lgkmcnt(1)
	v_mul_f32_e32 v157, v130, v158
	v_fmac_f32_e32 v140, v127, v123
	v_fma_f32 v156, v126, v123, -v116
	v_fmac_f32_e32 v141, v129, v117
	v_fma_f32 v155, v128, v117, -v155
	ds_read_b128 v[126:129], v1 offset:608
	v_mul_f32_e32 v116, v131, v158
	s_waitcnt vmcnt(23)
	v_mul_f32_e32 v117, v133, v122
	v_mul_f32_e32 v158, v132, v122
	v_fmac_f32_e32 v157, v131, v6
	v_fma_f32 v6, v130, v6, -v116
	s_waitcnt vmcnt(19)
	v_fma_f32 v130, v132, v159, -v117
	s_waitcnt vmcnt(18) lgkmcnt(1)
	v_mul_f32_e32 v131, v134, v125
	v_mul_f32_e32 v116, v135, v125
	s_waitcnt vmcnt(17)
	v_mul_f32_e32 v132, v136, v124
	v_mul_f32_e32 v117, v137, v124
	ds_read_b128 v[122:125], v1 offset:624
	v_fmac_f32_e32 v158, v133, v159
	v_fmac_f32_e32 v131, v135, v118
	buffer_load_dword v133, off, s[0:3], 0 offset:260
	v_fma_f32 v118, v134, v118, -v116
	v_fmac_f32_e32 v132, v137, v8
	v_fma_f32 v8, v136, v8, -v117
	s_waitcnt vmcnt(16) lgkmcnt(1)
	v_mul_f32_e32 v135, v128, v114
	v_mul_f32_e32 v114, v129, v114
	;; [unrolled: 1-line block ×4, first 2 shown]
	s_waitcnt vmcnt(12)
	v_fmac_f32_e32 v135, v129, v121
	v_fma_f32 v121, v128, v121, -v114
	buffer_load_dword v128, off, s[0:3], 0 offset:268
	v_fmac_f32_e32 v134, v127, v4
	v_fma_f32 v126, v126, v4, -v115
	ds_read_b128 v[114:117], v1 offset:640
	s_waitcnt vmcnt(12) lgkmcnt(1)
	v_mul_f32_e32 v127, v122, v120
	v_mul_f32_e32 v4, v123, v120
	s_waitcnt vmcnt(11)
	v_mul_f32_e32 v120, v124, v119
	v_mul_f32_e32 v119, v125, v119
	v_fmac_f32_e32 v127, v123, v7
	v_fma_f32 v7, v122, v7, -v4
	v_fmac_f32_e32 v120, v125, v5
	v_fma_f32 v119, v124, v5, -v119
	s_clause 0x4
	buffer_load_dword v122, off, s[0:3], 0 offset:288
	buffer_load_dword v123, off, s[0:3], 0 offset:280
	;; [unrolled: 1-line block ×5, first 2 shown]
	v_add_f32_e32 v4, 0, v162
	v_add_f32_e32 v5, 0, v142
	s_clause 0x1
	buffer_load_dword v136, off, s[0:3], 0 offset:284
	buffer_load_dword v137, off, s[0:3], 0 offset:292
	v_add_f32_e32 v2, v4, v2
	v_add_f32_e32 v4, v5, v164
	s_waitcnt vmcnt(17) lgkmcnt(0)
	v_mul_f32_e32 v142, v114, v160
	v_mul_f32_e32 v5, v115, v160
	v_add_f32_e32 v2, v2, v143
	v_add_f32_e32 v4, v4, v145
	s_waitcnt vmcnt(16)
	v_mul_f32_e32 v145, v117, v161
	v_fmac_f32_e32 v142, v115, v3
	v_fma_f32 v159, v114, v3, -v5
	v_add_f32_e32 v114, v2, v148
	v_add_f32_e32 v115, v4, v144
	ds_read_b128 v[2:5], v1 offset:656
	v_mul_f32_e32 v143, v116, v161
	v_add_f32_e32 v114, v114, v147
	v_add_f32_e32 v115, v115, v146
	;; [unrolled: 1-line block ×10, first 2 shown]
	s_waitcnt vmcnt(11)
	v_fma_f32 v144, v116, v166, -v145
	s_clause 0x7
	buffer_load_dword v145, off, s[0:3], 0 offset:300
	buffer_load_dword v146, off, s[0:3], 0 offset:320
	;; [unrolled: 1-line block ×8, first 2 shown]
	v_fmac_f32_e32 v143, v117, v166
	ds_read_b128 v[114:117], v1 offset:672
	s_waitcnt vmcnt(18) lgkmcnt(1)
	v_mul_f32_e32 v152, v2, v167
	v_mul_f32_e32 v161, v3, v167
	s_waitcnt vmcnt(17)
	v_mul_f32_e32 v151, v4, v168
	v_mul_f32_e32 v156, v5, v168
	v_fmac_f32_e32 v152, v3, v165
	v_add_f32_e32 v3, v139, v155
	v_add_f32_e32 v139, v140, v141
	v_fma_f32 v140, v2, v165, -v161
	v_fmac_f32_e32 v151, v5, v154
	v_fma_f32 v141, v4, v154, -v156
	v_add_f32_e32 v2, v3, v6
	v_add_f32_e32 v3, v139, v157
	s_clause 0x7
	buffer_load_dword v6, off, s[0:3], 0 offset:332
	buffer_load_dword v139, off, s[0:3], 0 offset:340
	;; [unrolled: 1-line block ×8, first 2 shown]
	v_add_f32_e32 v2, v2, v130
	v_add_f32_e32 v3, v3, v158
	s_clause 0x3
	buffer_load_dword v158, off, s[0:3], 0 offset:364
	buffer_load_dword v165, off, s[0:3], 0 offset:372
	;; [unrolled: 1-line block ×4, first 2 shown]
	v_add_f32_e32 v2, v2, v118
	v_add_f32_e32 v8, v2, v8
	s_waitcnt vmcnt(28) lgkmcnt(0)
	v_mul_f32_e32 v4, v115, v133
	v_mul_f32_e32 v164, v114, v133
	v_add_f32_e32 v8, v8, v126
	v_fma_f32 v130, v114, v153, -v4
	v_add_f32_e32 v114, v3, v131
	v_fmac_f32_e32 v164, v115, v153
	s_clause 0x2
	buffer_load_dword v153, off, s[0:3], 0 offset:396
	buffer_load_dword v168, off, s[0:3], 0 offset:404
	;; [unrolled: 1-line block ×3, first 2 shown]
	v_add_f32_e32 v8, v8, v121
	v_add_f32_e32 v114, v114, v132
	s_waitcnt vmcnt(30)
	v_mul_f32_e32 v3, v117, v128
	v_mul_f32_e32 v131, v116, v128
	v_add_f32_e32 v7, v8, v7
	v_add_f32_e32 v114, v114, v134
	;; [unrolled: 1-line block ×4, first 2 shown]
	s_waitcnt vmcnt(26)
	v_fma_f32 v128, v116, v125, -v3
	ds_read_b128 v[2:5], v1 offset:688
	s_clause 0x3
	buffer_load_dword v134, off, s[0:3], 0 offset:384
	buffer_load_dword v170, off, s[0:3], 0 offset:376
	;; [unrolled: 1-line block ×4, first 2 shown]
	v_add_f32_e32 v8, v114, v127
	v_fmac_f32_e32 v131, v117, v125
	ds_read_b128 v[114:117], v1 offset:704
	s_waitcnt vmcnt(29) lgkmcnt(1)
	v_mul_f32_e32 v126, v2, v129
	v_mul_f32_e32 v118, v3, v129
	s_waitcnt vmcnt(28)
	v_mul_f32_e32 v132, v4, v136
	s_waitcnt vmcnt(27) lgkmcnt(0)
	v_mul_f32_e32 v125, v115, v137
	v_fmac_f32_e32 v126, v3, v124
	v_fma_f32 v127, v2, v124, -v118
	v_add_f32_e32 v2, v8, v120
	v_add_f32_e32 v3, v7, v159
	s_clause 0x2
	buffer_load_dword v7, off, s[0:3], 0 offset:408
	buffer_load_dword v8, off, s[0:3], 0 offset:400
	;; [unrolled: 1-line block ×3, first 2 shown]
	v_mul_f32_e32 v118, v5, v136
	v_fmac_f32_e32 v132, v5, v123
	v_add_f32_e32 v2, v2, v142
	buffer_load_dword v142, off, s[0:3], 0 offset:72
	v_add_f32_e32 v3, v3, v144
	v_fma_f32 v129, v4, v123, -v118
	v_mul_f32_e32 v136, v114, v137
	v_add_f32_e32 v119, v2, v143
	v_add_f32_e32 v123, v3, v140
	ds_read_b128 v[2:5], v1 offset:720
	v_fma_f32 v140, v114, v122, -v125
	v_add_f32_e32 v124, v119, v152
	ds_read_b128 v[118:121], v1 offset:736
	v_add_f32_e32 v123, v123, v141
	v_fmac_f32_e32 v136, v115, v122
	v_add_f32_e32 v124, v124, v151
	v_add_f32_e32 v130, v123, v130
	;; [unrolled: 1-line block ×4, first 2 shown]
	s_waitcnt vmcnt(30)
	v_mul_f32_e32 v133, v117, v145
	v_mul_f32_e32 v137, v116, v145
	s_waitcnt vmcnt(25) lgkmcnt(1)
	v_mul_f32_e32 v143, v2, v138
	v_mul_f32_e32 v130, v3, v138
	v_fma_f32 v141, v116, v160, -v133
	v_add_f32_e32 v133, v124, v164
	s_waitcnt vmcnt(23) lgkmcnt(0)
	v_mul_f32_e32 v144, v118, v150
	v_fmac_f32_e32 v143, v3, v148
	v_fma_f32 v148, v2, v148, -v130
	v_mul_f32_e32 v138, v4, v149
	v_add_f32_e32 v131, v133, v131
	v_mul_f32_e32 v133, v5, v149
	v_mul_f32_e32 v145, v119, v150
	v_fmac_f32_e32 v144, v119, v146
	v_fmac_f32_e32 v137, v117, v160
	v_add_f32_e32 v130, v131, v126
	v_add_f32_e32 v131, v127, v129
	ds_read_b128 v[114:117], v1 offset:752
	ds_read_b128 v[122:125], v1 offset:768
	v_fmac_f32_e32 v138, v5, v147
	v_fma_f32 v147, v4, v147, -v133
	v_add_f32_e32 v149, v130, v132
	v_add_f32_e32 v119, v131, v140
	ds_read_b128 v[2:5], v1 offset:784
	ds_read_b128 v[126:129], v1 offset:800
	;; [unrolled: 1-line block ×3, first 2 shown]
	v_fma_f32 v118, v118, v146, -v145
	v_add_f32_e32 v1, v149, v136
	v_add_f32_e32 v119, v119, v141
	s_waitcnt vmcnt(22)
	v_mul_f32_e32 v136, v120, v6
	v_mul_f32_e32 v6, v121, v6
	v_add_f32_e32 v1, v1, v137
	v_add_f32_e32 v119, v119, v148
	s_waitcnt vmcnt(15)
	v_fmac_f32_e32 v136, v121, v162
	v_fma_f32 v6, v120, v162, -v6
	v_add_f32_e32 v1, v1, v143
	v_add_f32_e32 v119, v119, v147
	s_waitcnt lgkmcnt(4)
	v_mul_f32_e32 v140, v114, v139
	v_mul_f32_e32 v139, v115, v139
	;; [unrolled: 1-line block ×3, first 2 shown]
	v_add_f32_e32 v1, v1, v138
	v_add_f32_e32 v118, v119, v118
	v_mul_f32_e32 v138, v117, v154
	v_fma_f32 v114, v114, v161, -v139
	v_fmac_f32_e32 v140, v115, v161
	v_add_f32_e32 v1, v1, v144
	v_add_f32_e32 v6, v118, v6
	s_waitcnt lgkmcnt(3)
	v_mul_f32_e32 v115, v123, v155
	v_fma_f32 v116, v116, v157, -v138
	v_mul_f32_e32 v120, v122, v155
	v_add_f32_e32 v1, v1, v136
	v_add_f32_e32 v6, v6, v114
	v_fmac_f32_e32 v137, v117, v157
	s_waitcnt vmcnt(14)
	v_mul_f32_e32 v114, v125, v158
	v_fma_f32 v115, v122, v156, -v115
	v_add_f32_e32 v1, v1, v140
	v_add_f32_e32 v6, v6, v116
	v_mul_f32_e32 v121, v124, v158
	v_fmac_f32_e32 v120, v123, v156
	s_waitcnt vmcnt(13) lgkmcnt(2)
	v_mul_f32_e32 v141, v2, v165
	v_add_f32_e32 v1, v1, v137
	v_mul_f32_e32 v116, v3, v165
	v_add_f32_e32 v6, v6, v115
	s_waitcnt vmcnt(4)
	v_fma_f32 v114, v124, v172, -v114
	v_fmac_f32_e32 v121, v125, v172
	v_add_f32_e32 v1, v1, v120
	v_mul_f32_e32 v115, v5, v166
	v_fmac_f32_e32 v141, v3, v171
	v_fma_f32 v2, v2, v171, -v116
	v_add_f32_e32 v3, v6, v114
	v_mul_f32_e32 v143, v4, v166
	v_add_f32_e32 v1, v1, v121
	s_waitcnt lgkmcnt(1)
	v_mul_f32_e32 v6, v127, v167
	v_fma_f32 v4, v4, v170, -v115
	v_add_f32_e32 v2, v3, v2
	v_mul_f32_e32 v145, v126, v167
	v_fmac_f32_e32 v143, v5, v170
	v_add_f32_e32 v1, v1, v141
	v_mul_f32_e32 v3, v129, v153
	v_fma_f32 v5, v126, v134, -v6
	v_add_f32_e32 v2, v2, v4
	v_mul_f32_e32 v146, v128, v153
	v_fmac_f32_e32 v145, v127, v134
	v_add_f32_e32 v1, v1, v143
	s_waitcnt lgkmcnt(0)
	v_mul_f32_e32 v4, v131, v168
	v_add_f32_e32 v2, v2, v5
	v_mul_f32_e32 v147, v130, v168
	v_mul_f32_e32 v5, v133, v169
	v_add_f32_e32 v1, v1, v145
	v_mul_f32_e32 v119, v132, v169
	s_waitcnt vmcnt(2)
	v_fma_f32 v4, v130, v8, -v4
	s_waitcnt vmcnt(1)
	v_fma_f32 v3, v128, v135, -v3
	v_fmac_f32_e32 v146, v129, v135
	v_fmac_f32_e32 v147, v131, v8
	;; [unrolled: 1-line block ×3, first 2 shown]
	v_add_f32_e32 v2, v2, v3
	v_add_f32_e32 v1, v1, v146
	v_fma_f32 v3, v132, v7, -v5
	v_add_f32_e32 v2, v2, v4
	v_add_f32_e32 v1, v1, v147
	;; [unrolled: 1-line block ×4, first 2 shown]
	s_waitcnt vmcnt(0)
	v_sub_f32_e32 v2, v142, v2
	v_sub_f32_e32 v1, v163, v1
	buffer_store_dword v2, off, s[0:3], 0 offset:72
	buffer_store_dword v1, off, s[0:3], 0 offset:76
	v_cmpx_lt_u32_e32 8, v0
	s_cbranch_execz .LBB51_309
; %bb.308:
	s_clause 0x1
	buffer_load_dword v1, off, s[0:3], 0 offset:64
	buffer_load_dword v2, off, s[0:3], 0 offset:68
	v_mov_b32_e32 v3, 0
	buffer_store_dword v3, off, s[0:3], 0 offset:64
	buffer_store_dword v3, off, s[0:3], 0 offset:68
	s_waitcnt vmcnt(0)
	ds_write_b64 v113, v[1:2]
.LBB51_309:
	s_or_b32 exec_lo, exec_lo, s4
	s_waitcnt lgkmcnt(0)
	s_waitcnt_vscnt null, 0x0
	s_barrier
	buffer_gl0_inv
	s_clause 0x2c
	buffer_load_dword v152, off, s[0:3], 0 offset:76
	buffer_load_dword v153, off, s[0:3], 0 offset:84
	;; [unrolled: 1-line block ×45, first 2 shown]
	v_mov_b32_e32 v1, 0
	ds_read2_b64 v[144:147], v1 offset0:61 offset1:62
	ds_read2_b64 v[148:151], v1 offset0:63 offset1:64
	buffer_load_dword v162, off, s[0:3], 0 offset:68
	s_mov_b32 s4, exec_lo
	s_waitcnt vmcnt(45) lgkmcnt(1)
	v_mul_f32_e32 v160, v145, v152
	v_mul_f32_e32 v152, v144, v152
	s_waitcnt vmcnt(44)
	v_mul_f32_e32 v161, v146, v153
	v_mul_f32_e32 v153, v147, v153
	s_waitcnt vmcnt(41)
	v_fma_f32 v160, v144, v141, -v160
	v_fmac_f32_e32 v152, v145, v141
	v_fmac_f32_e32 v161, v147, v137
	v_fma_f32 v153, v146, v137, -v153
	ds_read2_b64 v[144:147], v1 offset0:65 offset1:66
	s_waitcnt vmcnt(40) lgkmcnt(1)
	v_mul_f32_e32 v163, v148, v136
	v_mul_f32_e32 v136, v149, v136
	s_waitcnt vmcnt(39)
	v_mul_f32_e32 v164, v150, v134
	v_mul_f32_e32 v134, v151, v134
	v_fmac_f32_e32 v163, v149, v123
	v_fma_f32 v123, v148, v123, -v136
	s_waitcnt vmcnt(35)
	v_fmac_f32_e32 v164, v151, v142
	v_fma_f32 v165, v150, v142, -v134
	ds_read2_b64 v[148:151], v1 offset0:67 offset1:68
	s_waitcnt vmcnt(34) lgkmcnt(1)
	v_mul_f32_e32 v166, v144, v140
	v_mul_f32_e32 v134, v145, v140
	s_waitcnt vmcnt(33)
	v_mul_f32_e32 v167, v146, v139
	v_mul_f32_e32 v136, v147, v139
	ds_read2_b64 v[139:142], v1 offset0:69 offset1:70
	v_fmac_f32_e32 v166, v145, v131
	v_fma_f32 v131, v144, v131, -v134
	v_fmac_f32_e32 v167, v147, v126
	v_fma_f32 v168, v146, v126, -v136
	ds_read2_b64 v[144:147], v1 offset0:71 offset1:72
	s_waitcnt vmcnt(32) lgkmcnt(2)
	v_mul_f32_e32 v169, v148, v130
	v_mul_f32_e32 v126, v149, v130
	s_waitcnt vmcnt(31)
	v_mul_f32_e32 v130, v150, v128
	v_mul_f32_e32 v128, v151, v128
	v_fmac_f32_e32 v169, v149, v8
	v_fma_f32 v8, v148, v8, -v126
	s_waitcnt vmcnt(27)
	v_fmac_f32_e32 v130, v151, v138
	v_fma_f32 v148, v150, v138, -v128
	s_waitcnt vmcnt(26) lgkmcnt(1)
	v_mul_f32_e32 v149, v139, v135
	v_mul_f32_e32 v126, v140, v135
	s_waitcnt vmcnt(25)
	v_mul_f32_e32 v150, v141, v133
	v_mul_f32_e32 v128, v142, v133
	ds_read2_b64 v[133:136], v1 offset0:73 offset1:74
	v_fmac_f32_e32 v149, v140, v124
	v_fma_f32 v124, v139, v124, -v126
	ds_read2_b64 v[137:140], v1 offset0:75 offset1:76
	v_fmac_f32_e32 v150, v142, v118
	v_fma_f32 v141, v141, v118, -v128
	s_waitcnt vmcnt(24) lgkmcnt(2)
	v_mul_f32_e32 v142, v144, v122
	v_mul_f32_e32 v118, v145, v122
	s_waitcnt vmcnt(23)
	v_mul_f32_e32 v122, v146, v120
	v_mul_f32_e32 v120, v147, v120
	v_fmac_f32_e32 v142, v145, v4
	v_fma_f32 v144, v144, v4, -v118
	s_waitcnt vmcnt(19)
	v_fmac_f32_e32 v122, v147, v132
	v_fma_f32 v132, v146, v132, -v120
	s_waitcnt vmcnt(18) lgkmcnt(1)
	v_mul_f32_e32 v145, v133, v129
	v_mul_f32_e32 v4, v134, v129
	s_waitcnt vmcnt(17)
	v_mul_f32_e32 v146, v135, v127
	v_mul_f32_e32 v118, v136, v127
	ds_read2_b64 v[126:129], v1 offset0:77 offset1:78
	v_fmac_f32_e32 v145, v134, v117
	v_fma_f32 v133, v133, v117, -v4
	v_fmac_f32_e32 v146, v136, v114
	v_fma_f32 v134, v135, v114, -v118
	s_waitcnt vmcnt(15) lgkmcnt(1)
	v_mul_f32_e32 v136, v139, v115
	v_mul_f32_e32 v114, v140, v115
	;; [unrolled: 1-line block ×4, first 2 shown]
	s_waitcnt vmcnt(11)
	v_fmac_f32_e32 v136, v140, v125
	v_fma_f32 v125, v139, v125, -v114
	ds_read2_b64 v[114:117], v1 offset0:79 offset1:80
	v_fmac_f32_e32 v135, v138, v3
	v_fma_f32 v137, v137, v3, -v4
	s_waitcnt vmcnt(10) lgkmcnt(1)
	v_mul_f32_e32 v138, v126, v121
	v_mul_f32_e32 v3, v127, v121
	s_waitcnt vmcnt(9)
	v_mul_f32_e32 v139, v128, v119
	v_mul_f32_e32 v4, v129, v119
	ds_read2_b64 v[118:121], v1 offset0:81 offset1:82
	v_fmac_f32_e32 v138, v127, v7
	v_fma_f32 v7, v126, v7, -v3
	v_fmac_f32_e32 v139, v129, v5
	v_fma_f32 v126, v128, v5, -v4
	buffer_load_dword v128, off, s[0:3], 0 offset:252
	s_waitcnt vmcnt(8) lgkmcnt(1)
	v_mul_f32_e32 v4, v117, v143
	v_mul_f32_e32 v127, v114, v6
	v_mul_f32_e32 v3, v115, v6
	v_mul_f32_e32 v6, v116, v143
	s_waitcnt vmcnt(4)
	v_fma_f32 v140, v116, v157, -v4
	buffer_load_dword v116, off, s[0:3], 0 offset:260
	v_fmac_f32_e32 v127, v115, v2
	v_fma_f32 v129, v114, v2, -v3
	ds_read2_b64 v[2:5], v1 offset0:83 offset1:84
	v_fmac_f32_e32 v6, v117, v157
	s_waitcnt vmcnt(4) lgkmcnt(1)
	v_mul_f32_e32 v143, v118, v158
	v_mul_f32_e32 v114, v119, v158
	s_waitcnt vmcnt(3)
	v_mul_f32_e32 v147, v120, v159
	v_mul_f32_e32 v115, v121, v159
	v_fmac_f32_e32 v143, v119, v156
	v_fma_f32 v118, v118, v156, -v114
	v_fmac_f32_e32 v147, v121, v155
	v_fma_f32 v119, v120, v155, -v115
	s_clause 0x4
	buffer_load_dword v120, off, s[0:3], 0 offset:280
	buffer_load_dword v121, off, s[0:3], 0 offset:272
	;; [unrolled: 1-line block ×5, first 2 shown]
	s_waitcnt vmcnt(6) lgkmcnt(0)
	v_mul_f32_e32 v156, v2, v128
	v_mul_f32_e32 v115, v3, v128
	v_fmac_f32_e32 v156, v3, v154
	v_fma_f32 v128, v2, v154, -v115
	s_waitcnt vmcnt(5)
	v_mul_f32_e32 v154, v4, v116
	v_mul_f32_e32 v2, v5, v116
	s_waitcnt vmcnt(1)
	v_fmac_f32_e32 v154, v5, v114
	v_fma_f32 v157, v4, v114, -v2
	ds_read2_b64 v[2:5], v1 offset0:85 offset1:86
	ds_read2_b64 v[114:117], v1 offset0:87 offset1:88
	s_waitcnt vmcnt(0) lgkmcnt(1)
	v_mul_f32_e32 v158, v2, v155
	v_mul_f32_e32 v155, v3, v155
	v_fmac_f32_e32 v158, v3, v151
	v_fma_f32 v151, v2, v151, -v155
	buffer_load_dword v2, off, s[0:3], 0 offset:276
	s_waitcnt vmcnt(0)
	v_mul_f32_e32 v155, v4, v2
	v_mul_f32_e32 v2, v5, v2
	v_fmac_f32_e32 v155, v5, v121
	v_fma_f32 v159, v4, v121, -v2
	buffer_load_dword v2, off, s[0:3], 0 offset:284
	s_waitcnt vmcnt(0) lgkmcnt(0)
	v_mul_f32_e32 v170, v114, v2
	v_mul_f32_e32 v2, v115, v2
	v_fmac_f32_e32 v170, v115, v120
	v_fma_f32 v171, v114, v120, -v2
	s_clause 0x4
	buffer_load_dword v2, off, s[0:3], 0 offset:292
	buffer_load_dword v172, off, s[0:3], 0 offset:312
	;; [unrolled: 1-line block ×5, first 2 shown]
	s_waitcnt vmcnt(4)
	v_mul_f32_e32 v173, v116, v2
	v_mul_f32_e32 v2, v117, v2
	s_waitcnt vmcnt(0)
	v_fmac_f32_e32 v173, v117, v3
	v_fma_f32 v174, v116, v3, -v2
	v_add_f32_e32 v2, 0, v160
	v_add_f32_e32 v3, 0, v152
	buffer_load_dword v152, off, s[0:3], 0 offset:308
	v_add_f32_e32 v2, v2, v153
	v_add_f32_e32 v3, v3, v161
	buffer_load_dword v153, off, s[0:3], 0 offset:324
	v_add_f32_e32 v2, v2, v123
	buffer_load_dword v123, off, s[0:3], 0 offset:300
	v_add_f32_e32 v3, v3, v163
	v_add_f32_e32 v2, v2, v165
	;; [unrolled: 1-line block ×4, first 2 shown]
	buffer_load_dword v131, off, s[0:3], 0 offset:316
	v_add_f32_e32 v3, v3, v166
	v_add_f32_e32 v2, v2, v168
	;; [unrolled: 1-line block ×4, first 2 shown]
	s_clause 0x3
	buffer_load_dword v8, off, s[0:3], 0 offset:344
	buffer_load_dword v160, off, s[0:3], 0 offset:336
	;; [unrolled: 1-line block ×4, first 2 shown]
	v_add_f32_e32 v3, v3, v169
	v_add_f32_e32 v2, v2, v148
	s_clause 0x1
	buffer_load_dword v148, off, s[0:3], 0 offset:332
	buffer_load_dword v164, off, s[0:3], 0 offset:340
	v_add_f32_e32 v3, v3, v130
	buffer_load_dword v130, off, s[0:3], 0 offset:348
	v_add_f32_e32 v2, v2, v124
	v_add_f32_e32 v3, v3, v149
	;; [unrolled: 1-line block ×3, first 2 shown]
	s_clause 0x3
	buffer_load_dword v141, off, s[0:3], 0 offset:356
	buffer_load_dword v149, off, s[0:3], 0 offset:364
	;; [unrolled: 1-line block ×4, first 2 shown]
	v_add_f32_e32 v3, v3, v150
	v_add_f32_e32 v2, v2, v144
	s_clause 0x1
	buffer_load_dword v144, off, s[0:3], 0 offset:388
	buffer_load_dword v150, off, s[0:3], 0 offset:396
	v_add_f32_e32 v3, v3, v142
	v_add_f32_e32 v2, v2, v132
	s_clause 0x1
	buffer_load_dword v132, off, s[0:3], 0 offset:404
	buffer_load_dword v142, off, s[0:3], 0 offset:412
	v_add_f32_e32 v3, v3, v122
	v_add_f32_e32 v2, v2, v133
	;; [unrolled: 1-line block ×4, first 2 shown]
	s_clause 0x3
	buffer_load_dword v133, off, s[0:3], 0 offset:376
	buffer_load_dword v134, off, s[0:3], 0 offset:368
	;; [unrolled: 1-line block ×4, first 2 shown]
	v_add_f32_e32 v3, v3, v146
	v_add_f32_e32 v2, v2, v137
	;; [unrolled: 1-line block ×3, first 2 shown]
	s_clause 0x3
	buffer_load_dword v135, off, s[0:3], 0 offset:408
	buffer_load_dword v137, off, s[0:3], 0 offset:400
	;; [unrolled: 1-line block ×4, first 2 shown]
	v_add_f32_e32 v2, v2, v125
	v_add_f32_e32 v3, v3, v136
	buffer_load_dword v136, off, s[0:3], 0 offset:64
	v_add_f32_e32 v2, v2, v7
	v_add_f32_e32 v3, v3, v138
	;; [unrolled: 1-line block ×4, first 2 shown]
	ds_read2_b64 v[2:5], v1 offset0:89 offset1:90
	v_add_f32_e32 v7, v7, v129
	v_add_f32_e32 v114, v114, v127
	;; [unrolled: 1-line block ×4, first 2 shown]
	ds_read2_b64 v[114:117], v1 offset0:91 offset1:92
	v_add_f32_e32 v7, v7, v118
	v_add_f32_e32 v6, v6, v143
	;; [unrolled: 1-line block ×8, first 2 shown]
	s_waitcnt vmcnt(27) lgkmcnt(1)
	v_mul_f32_e32 v139, v4, v152
	v_mul_f32_e32 v119, v5, v152
	v_fmac_f32_e32 v139, v5, v120
	v_fma_f32 v143, v4, v120, -v119
	s_waitcnt vmcnt(25)
	v_mul_f32_e32 v138, v2, v123
	v_mul_f32_e32 v118, v3, v123
	v_fmac_f32_e32 v138, v3, v121
	v_add_f32_e32 v3, v7, v128
	v_fma_f32 v140, v2, v121, -v118
	s_waitcnt vmcnt(24) lgkmcnt(0)
	v_mul_f32_e32 v147, v114, v131
	v_add_f32_e32 v7, v3, v157
	ds_read2_b64 v[2:5], v1 offset0:93 offset1:94
	ds_read2_b64 v[118:121], v1 offset0:95 offset1:96
	v_mul_f32_e32 v126, v115, v131
	v_mul_f32_e32 v131, v116, v153
	v_fmac_f32_e32 v147, v115, v172
	v_add_f32_e32 v7, v7, v151
	v_mul_f32_e32 v151, v117, v153
	v_add_f32_e32 v153, v6, v170
	v_fma_f32 v152, v114, v172, -v126
	ds_read2_b64 v[122:125], v1 offset0:97 offset1:98
	ds_read2_b64 v[126:129], v1 offset0:99 offset1:100
	v_add_f32_e32 v7, v7, v159
	v_add_f32_e32 v153, v153, v173
	s_waitcnt vmcnt(20)
	v_fma_f32 v151, v116, v163, -v151
	v_fmac_f32_e32 v131, v117, v163
	v_add_f32_e32 v7, v7, v171
	v_add_f32_e32 v138, v153, v138
	s_waitcnt vmcnt(19) lgkmcnt(3)
	v_mul_f32_e32 v155, v2, v148
	v_add_f32_e32 v154, v7, v174
	v_add_f32_e32 v138, v138, v139
	v_mul_f32_e32 v148, v3, v148
	s_waitcnt vmcnt(18)
	v_mul_f32_e32 v156, v4, v164
	v_fmac_f32_e32 v155, v3, v161
	v_add_f32_e32 v140, v154, v140
	v_add_f32_e32 v138, v138, v147
	v_mul_f32_e32 v154, v5, v164
	v_fma_f32 v2, v2, v161, -v148
	s_waitcnt vmcnt(17) lgkmcnt(2)
	v_mul_f32_e32 v153, v118, v130
	v_add_f32_e32 v140, v140, v143
	v_add_f32_e32 v131, v138, v131
	v_mul_f32_e32 v130, v119, v130
	v_fma_f32 v4, v4, v160, -v154
	v_fmac_f32_e32 v156, v5, v160
	v_add_f32_e32 v140, v140, v152
	v_add_f32_e32 v5, v131, v155
	s_waitcnt vmcnt(16)
	v_mul_f32_e32 v131, v121, v141
	v_fmac_f32_e32 v153, v119, v8
	v_fma_f32 v8, v118, v8, -v130
	v_add_f32_e32 v140, v140, v151
	v_mul_f32_e32 v143, v120, v141
	ds_read2_b64 v[114:117], v1 offset0:101 offset1:102
	ds_read_b64 v[6:7], v1 offset:824
	s_waitcnt vmcnt(5)
	v_fma_f32 v118, v120, v167, -v131
	s_waitcnt lgkmcnt(3)
	v_mul_f32_e32 v157, v122, v149
	v_add_f32_e32 v2, v140, v2
	v_fmac_f32_e32 v143, v121, v167
	v_mul_f32_e32 v139, v124, v165
	s_waitcnt lgkmcnt(2)
	v_mul_f32_e32 v152, v126, v166
	v_fmac_f32_e32 v157, v123, v145
	v_add_f32_e32 v2, v2, v4
	v_add_f32_e32 v4, v5, v156
	v_mul_f32_e32 v5, v123, v149
	v_fmac_f32_e32 v139, v125, v134
	v_mul_f32_e32 v3, v128, v144
	v_add_f32_e32 v2, v2, v8
	v_add_f32_e32 v4, v4, v153
	v_mul_f32_e32 v8, v125, v165
	v_fma_f32 v5, v122, v145, -v5
	v_fmac_f32_e32 v152, v127, v133
	v_add_f32_e32 v2, v2, v118
	v_add_f32_e32 v4, v4, v143
	v_mul_f32_e32 v118, v127, v166
	v_fma_f32 v8, v124, v134, -v8
	s_waitcnt lgkmcnt(1)
	v_mul_f32_e32 v147, v114, v150
	v_add_f32_e32 v2, v2, v5
	v_add_f32_e32 v4, v4, v157
	v_mul_f32_e32 v5, v129, v144
	v_fma_f32 v118, v126, v133, -v118
	s_waitcnt vmcnt(1)
	v_fmac_f32_e32 v3, v129, v168
	v_add_f32_e32 v2, v2, v8
	v_add_f32_e32 v4, v4, v139
	v_mul_f32_e32 v8, v115, v150
	v_fma_f32 v5, v128, v168, -v5
	v_mul_f32_e32 v148, v116, v132
	v_add_f32_e32 v2, v2, v118
	v_add_f32_e32 v4, v4, v152
	v_mul_f32_e32 v118, v117, v132
	v_fma_f32 v8, v114, v146, -v8
	v_fmac_f32_e32 v147, v115, v146
	v_add_f32_e32 v2, v2, v5
	v_add_f32_e32 v3, v4, v3
	s_waitcnt lgkmcnt(0)
	v_mul_f32_e32 v4, v7, v142
	v_fma_f32 v5, v116, v137, -v118
	v_mul_f32_e32 v138, v6, v142
	v_add_f32_e32 v2, v2, v8
	v_fmac_f32_e32 v148, v117, v137
	v_add_f32_e32 v3, v3, v147
	v_fma_f32 v4, v6, v135, -v4
	v_fmac_f32_e32 v138, v7, v135
	v_add_f32_e32 v2, v2, v5
	v_add_f32_e32 v3, v3, v148
	;; [unrolled: 1-line block ×4, first 2 shown]
	s_waitcnt vmcnt(0)
	v_sub_f32_e32 v2, v136, v2
	v_sub_f32_e32 v3, v162, v3
	buffer_store_dword v2, off, s[0:3], 0 offset:64
	buffer_store_dword v3, off, s[0:3], 0 offset:68
	v_cmpx_lt_u32_e32 7, v0
	s_cbranch_execz .LBB51_311
; %bb.310:
	s_clause 0x1
	buffer_load_dword v2, off, s[0:3], 0 offset:56
	buffer_load_dword v3, off, s[0:3], 0 offset:60
	buffer_store_dword v1, off, s[0:3], 0 offset:56
	buffer_store_dword v1, off, s[0:3], 0 offset:60
	s_waitcnt vmcnt(0)
	ds_write_b64 v113, v[2:3]
.LBB51_311:
	s_or_b32 exec_lo, exec_lo, s4
	s_waitcnt lgkmcnt(0)
	s_waitcnt_vscnt null, 0x0
	s_barrier
	buffer_gl0_inv
	s_clause 0x2c
	buffer_load_dword v152, off, s[0:3], 0 offset:68
	buffer_load_dword v153, off, s[0:3], 0 offset:76
	;; [unrolled: 1-line block ×45, first 2 shown]
	ds_read_b128 v[144:147], v1 offset:480
	ds_read_b128 v[148:151], v1 offset:496
	buffer_load_dword v162, off, s[0:3], 0 offset:60
	s_mov_b32 s4, exec_lo
	s_waitcnt vmcnt(45) lgkmcnt(1)
	v_mul_f32_e32 v160, v145, v152
	v_mul_f32_e32 v152, v144, v152
	s_waitcnt vmcnt(44)
	v_mul_f32_e32 v161, v146, v153
	v_mul_f32_e32 v153, v147, v153
	s_waitcnt vmcnt(41)
	v_fma_f32 v160, v144, v142, -v160
	v_fmac_f32_e32 v152, v145, v142
	v_fmac_f32_e32 v161, v147, v138
	v_fma_f32 v153, v146, v138, -v153
	ds_read_b128 v[144:147], v1 offset:512
	s_waitcnt vmcnt(40) lgkmcnt(1)
	v_mul_f32_e32 v163, v148, v137
	v_mul_f32_e32 v137, v149, v137
	s_waitcnt vmcnt(39)
	v_mul_f32_e32 v164, v150, v135
	v_mul_f32_e32 v135, v151, v135
	v_fmac_f32_e32 v163, v149, v124
	v_fma_f32 v124, v148, v124, -v137
	s_waitcnt vmcnt(35)
	v_fmac_f32_e32 v164, v151, v143
	v_fma_f32 v165, v150, v143, -v135
	ds_read_b128 v[148:151], v1 offset:528
	s_waitcnt vmcnt(34) lgkmcnt(1)
	v_mul_f32_e32 v166, v144, v141
	v_mul_f32_e32 v135, v145, v141
	s_waitcnt vmcnt(33)
	v_mul_f32_e32 v167, v146, v140
	v_mul_f32_e32 v137, v147, v140
	ds_read_b128 v[140:143], v1 offset:544
	v_fmac_f32_e32 v166, v145, v132
	v_fma_f32 v132, v144, v132, -v135
	v_fmac_f32_e32 v167, v147, v127
	v_fma_f32 v168, v146, v127, -v137
	ds_read_b128 v[144:147], v1 offset:560
	s_waitcnt vmcnt(32) lgkmcnt(2)
	v_mul_f32_e32 v169, v148, v131
	v_mul_f32_e32 v127, v149, v131
	s_waitcnt vmcnt(31)
	v_mul_f32_e32 v131, v150, v129
	v_mul_f32_e32 v129, v151, v129
	v_fmac_f32_e32 v169, v149, v114
	v_fma_f32 v148, v148, v114, -v127
	s_waitcnt vmcnt(27)
	v_fmac_f32_e32 v131, v151, v139
	v_fma_f32 v149, v150, v139, -v129
	s_waitcnt vmcnt(26) lgkmcnt(1)
	v_mul_f32_e32 v150, v140, v136
	v_mul_f32_e32 v114, v141, v136
	s_waitcnt vmcnt(25)
	v_mul_f32_e32 v151, v142, v134
	v_mul_f32_e32 v127, v143, v134
	ds_read_b128 v[134:137], v1 offset:576
	v_fmac_f32_e32 v150, v141, v125
	v_fma_f32 v125, v140, v125, -v114
	ds_read_b128 v[138:141], v1 offset:592
	v_fmac_f32_e32 v151, v143, v119
	v_fma_f32 v142, v142, v119, -v127
	s_waitcnt vmcnt(24) lgkmcnt(2)
	v_mul_f32_e32 v143, v144, v123
	v_mul_f32_e32 v114, v145, v123
	s_waitcnt vmcnt(23)
	v_mul_f32_e32 v123, v146, v121
	v_mul_f32_e32 v119, v147, v121
	v_fmac_f32_e32 v143, v145, v4
	v_fma_f32 v144, v144, v4, -v114
	s_waitcnt vmcnt(19)
	v_fmac_f32_e32 v123, v147, v133
	v_fma_f32 v133, v146, v133, -v119
	s_waitcnt vmcnt(18) lgkmcnt(1)
	v_mul_f32_e32 v145, v134, v130
	v_mul_f32_e32 v4, v135, v130
	s_waitcnt vmcnt(17)
	v_mul_f32_e32 v146, v136, v128
	v_mul_f32_e32 v114, v137, v128
	ds_read_b128 v[127:130], v1 offset:608
	v_fmac_f32_e32 v145, v135, v118
	v_fma_f32 v134, v134, v118, -v4
	v_fmac_f32_e32 v146, v137, v115
	v_fma_f32 v135, v136, v115, -v114
	s_waitcnt vmcnt(15) lgkmcnt(1)
	v_mul_f32_e32 v137, v140, v116
	v_mul_f32_e32 v114, v141, v116
	;; [unrolled: 1-line block ×4, first 2 shown]
	s_waitcnt vmcnt(11)
	v_fmac_f32_e32 v137, v141, v126
	v_fma_f32 v126, v140, v126, -v114
	ds_read_b128 v[114:117], v1 offset:624
	v_fmac_f32_e32 v136, v139, v3
	v_fma_f32 v138, v138, v3, -v4
	s_waitcnt vmcnt(10) lgkmcnt(1)
	v_mul_f32_e32 v139, v127, v122
	v_mul_f32_e32 v3, v128, v122
	s_waitcnt vmcnt(9)
	v_mul_f32_e32 v122, v129, v120
	v_mul_f32_e32 v4, v130, v120
	ds_read_b128 v[118:121], v1 offset:640
	v_fmac_f32_e32 v139, v128, v8
	v_fma_f32 v8, v127, v8, -v3
	v_fmac_f32_e32 v122, v130, v5
	v_fma_f32 v127, v129, v5, -v4
	s_waitcnt vmcnt(8) lgkmcnt(1)
	v_mul_f32_e32 v128, v114, v7
	v_mul_f32_e32 v3, v115, v7
	s_waitcnt vmcnt(7)
	v_mul_f32_e32 v7, v116, v6
	v_mul_f32_e32 v4, v117, v6
	buffer_load_dword v6, off, s[0:3], 0 offset:244
	v_fmac_f32_e32 v128, v115, v2
	v_fma_f32 v129, v114, v2, -v3
	s_waitcnt vmcnt(4)
	v_fmac_f32_e32 v7, v117, v157
	v_fma_f32 v130, v116, v157, -v4
	buffer_load_dword v116, off, s[0:3], 0 offset:252
	ds_read_b128 v[2:5], v1 offset:656
	s_waitcnt vmcnt(4) lgkmcnt(1)
	v_mul_f32_e32 v140, v118, v158
	v_mul_f32_e32 v114, v119, v158
	s_waitcnt vmcnt(3)
	v_mul_f32_e32 v141, v120, v159
	v_mul_f32_e32 v115, v121, v159
	v_fmac_f32_e32 v140, v119, v156
	v_fma_f32 v118, v118, v156, -v114
	v_fmac_f32_e32 v141, v121, v155
	v_fma_f32 v119, v120, v155, -v115
	s_clause 0x4
	buffer_load_dword v120, off, s[0:3], 0 offset:272
	buffer_load_dword v121, off, s[0:3], 0 offset:264
	;; [unrolled: 1-line block ×5, first 2 shown]
	s_waitcnt vmcnt(6) lgkmcnt(0)
	v_mul_f32_e32 v156, v2, v6
	v_mul_f32_e32 v6, v3, v6
	v_fmac_f32_e32 v156, v3, v154
	v_fma_f32 v6, v2, v154, -v6
	s_waitcnt vmcnt(5)
	v_mul_f32_e32 v154, v4, v116
	v_mul_f32_e32 v2, v5, v116
	s_waitcnt vmcnt(1)
	v_fmac_f32_e32 v154, v5, v114
	v_fma_f32 v157, v4, v114, -v2
	ds_read_b128 v[2:5], v1 offset:672
	ds_read_b128 v[114:117], v1 offset:688
	s_waitcnt vmcnt(0) lgkmcnt(1)
	v_mul_f32_e32 v158, v2, v155
	v_mul_f32_e32 v155, v3, v155
	v_fmac_f32_e32 v158, v3, v147
	v_fma_f32 v147, v2, v147, -v155
	s_clause 0x1
	buffer_load_dword v2, off, s[0:3], 0 offset:268
	buffer_load_dword v3, off, s[0:3], 0 offset:276
	s_waitcnt vmcnt(1)
	v_mul_f32_e32 v155, v4, v2
	v_mul_f32_e32 v2, v5, v2
	v_fmac_f32_e32 v155, v5, v121
	v_fma_f32 v159, v4, v121, -v2
	v_add_f32_e32 v2, 0, v160
	buffer_load_dword v5, off, s[0:3], 0 offset:284
	v_add_f32_e32 v4, 0, v152
	v_add_f32_e32 v2, v2, v153
	;; [unrolled: 1-line block ×4, first 2 shown]
	s_clause 0x3
	buffer_load_dword v124, off, s[0:3], 0 offset:304
	buffer_load_dword v121, off, s[0:3], 0 offset:296
	;; [unrolled: 1-line block ×4, first 2 shown]
	v_add_f32_e32 v4, v4, v163
	s_clause 0x1
	buffer_load_dword v160, off, s[0:3], 0 offset:300
	buffer_load_dword v161, off, s[0:3], 0 offset:308
	v_add_f32_e32 v2, v2, v165
	s_waitcnt vmcnt(7) lgkmcnt(0)
	v_mul_f32_e32 v163, v114, v3
	v_add_f32_e32 v4, v4, v164
	v_mul_f32_e32 v3, v115, v3
	v_add_f32_e32 v2, v2, v132
	buffer_load_dword v132, off, s[0:3], 0 offset:292
	v_add_f32_e32 v4, v4, v166
	v_fma_f32 v164, v114, v120, -v3
	v_fmac_f32_e32 v163, v115, v120
	v_add_f32_e32 v2, v2, v168
	v_add_f32_e32 v4, v4, v167
	;; [unrolled: 1-line block ×3, first 2 shown]
	buffer_load_dword v148, off, s[0:3], 0 offset:316
	v_add_f32_e32 v4, v4, v169
	v_add_f32_e32 v2, v2, v149
	;; [unrolled: 1-line block ×3, first 2 shown]
	s_clause 0x5
	buffer_load_dword v149, off, s[0:3], 0 offset:336
	buffer_load_dword v165, off, s[0:3], 0 offset:328
	;; [unrolled: 1-line block ×6, first 2 shown]
	v_add_f32_e32 v2, v2, v125
	v_add_f32_e32 v3, v3, v150
	;; [unrolled: 1-line block ×4, first 2 shown]
	s_clause 0x1
	buffer_load_dword v142, off, s[0:3], 0 offset:332
	buffer_load_dword v151, off, s[0:3], 0 offset:340
	v_add_f32_e32 v2, v2, v144
	v_add_f32_e32 v3, v3, v143
	s_clause 0x6
	buffer_load_dword v143, off, s[0:3], 0 offset:356
	buffer_load_dword v144, off, s[0:3], 0 offset:364
	;; [unrolled: 1-line block ×7, first 2 shown]
	v_add_f32_e32 v2, v2, v133
	v_add_f32_e32 v3, v3, v123
	;; [unrolled: 1-line block ×4, first 2 shown]
	buffer_load_dword v134, off, s[0:3], 0 offset:412
	v_add_f32_e32 v2, v2, v135
	v_add_f32_e32 v3, v3, v146
	s_clause 0x3
	buffer_load_dword v135, off, s[0:3], 0 offset:368
	buffer_load_dword v145, off, s[0:3], 0 offset:360
	;; [unrolled: 1-line block ×4, first 2 shown]
	v_add_f32_e32 v2, v2, v138
	v_add_f32_e32 v3, v3, v136
	;; [unrolled: 1-line block ×4, first 2 shown]
	s_clause 0x3
	buffer_load_dword v136, off, s[0:3], 0 offset:400
	buffer_load_dword v137, off, s[0:3], 0 offset:392
	;; [unrolled: 1-line block ×4, first 2 shown]
	v_add_f32_e32 v2, v2, v8
	buffer_load_dword v8, off, s[0:3], 0 offset:408
	v_add_f32_e32 v3, v3, v139
	buffer_load_dword v139, off, s[0:3], 0 offset:56
	v_add_f32_e32 v2, v2, v127
	v_add_f32_e32 v3, v3, v122
	;; [unrolled: 1-line block ×20, first 2 shown]
	s_waitcnt vmcnt(34)
	v_mul_f32_e32 v150, v116, v5
	v_mul_f32_e32 v4, v117, v5
	s_waitcnt vmcnt(30)
	v_fmac_f32_e32 v150, v117, v153
	v_fma_f32 v153, v116, v153, -v4
	ds_read_b128 v[2:5], v1 offset:704
	ds_read_b128 v[114:117], v1 offset:720
	v_add_f32_e32 v7, v7, v150
	v_add_f32_e32 v6, v6, v153
	s_waitcnt vmcnt(27) lgkmcnt(1)
	v_mul_f32_e32 v140, v2, v132
	v_mul_f32_e32 v119, v3, v132
	;; [unrolled: 1-line block ×4, first 2 shown]
	s_waitcnt lgkmcnt(0)
	v_mul_f32_e32 v156, v114, v161
	v_fmac_f32_e32 v140, v3, v152
	v_fma_f32 v130, v2, v152, -v119
	v_fmac_f32_e32 v141, v5, v121
	v_fma_f32 v152, v4, v121, -v120
	ds_read_b128 v[2:5], v1 offset:736
	ds_read_b128 v[118:121], v1 offset:752
	v_mul_f32_e32 v122, v115, v161
	s_waitcnt vmcnt(26)
	v_mul_f32_e32 v147, v116, v148
	v_mul_f32_e32 v123, v117, v148
	v_fmac_f32_e32 v156, v115, v124
	v_fma_f32 v148, v114, v124, -v122
	s_waitcnt vmcnt(22)
	v_fmac_f32_e32 v147, v117, v166
	v_fma_f32 v154, v116, v166, -v123
	ds_read_b128 v[114:117], v1 offset:768
	ds_read_b128 v[122:125], v1 offset:784
	;; [unrolled: 1-line block ×3, first 2 shown]
	s_waitcnt vmcnt(21) lgkmcnt(4)
	v_mul_f32_e32 v155, v2, v167
	v_mul_f32_e32 v132, v3, v167
	v_fmac_f32_e32 v155, v3, v131
	v_add_f32_e32 v3, v6, v130
	v_fma_f32 v2, v2, v131, -v132
	ds_read_b128 v[130:133], v1 offset:816
	v_add_f32_e32 v1, v7, v140
	s_waitcnt vmcnt(19)
	v_mul_f32_e32 v7, v5, v142
	v_add_f32_e32 v3, v3, v152
	v_mul_f32_e32 v6, v4, v142
	s_waitcnt vmcnt(18) lgkmcnt(4)
	v_mul_f32_e32 v142, v119, v151
	v_add_f32_e32 v1, v1, v141
	v_fma_f32 v4, v4, v165, -v7
	v_add_f32_e32 v3, v3, v148
	v_mul_f32_e32 v140, v118, v151
	v_fmac_f32_e32 v6, v5, v165
	v_add_f32_e32 v1, v1, v156
	v_fma_f32 v118, v118, v149, -v142
	v_add_f32_e32 v3, v3, v154
	v_mul_f32_e32 v141, v120, v168
	v_fmac_f32_e32 v140, v119, v149
	v_add_f32_e32 v1, v1, v147
	v_mul_f32_e32 v147, v121, v168
	v_add_f32_e32 v2, v3, v2
	s_waitcnt vmcnt(17) lgkmcnt(3)
	v_mul_f32_e32 v5, v114, v143
	s_waitcnt vmcnt(6)
	v_fmac_f32_e32 v141, v121, v174
	v_add_f32_e32 v1, v1, v155
	v_mul_f32_e32 v7, v116, v144
	v_add_f32_e32 v2, v2, v4
	v_mul_f32_e32 v4, v115, v143
	v_fmac_f32_e32 v5, v115, v146
	v_add_f32_e32 v1, v1, v6
	v_fma_f32 v6, v120, v174, -v147
	v_add_f32_e32 v2, v2, v118
	v_mul_f32_e32 v118, v117, v144
	v_fma_f32 v4, v114, v146, -v4
	v_add_f32_e32 v1, v1, v140
	s_waitcnt lgkmcnt(2)
	v_mul_f32_e32 v148, v122, v169
	v_add_f32_e32 v2, v2, v6
	v_mul_f32_e32 v6, v123, v169
	v_fma_f32 v114, v116, v145, -v118
	v_add_f32_e32 v1, v1, v141
	v_fmac_f32_e32 v7, v117, v145
	v_add_f32_e32 v2, v2, v4
	v_mul_f32_e32 v4, v125, v170
	v_mul_f32_e32 v150, v124, v170
	v_add_f32_e32 v1, v1, v5
	v_fma_f32 v5, v122, v135, -v6
	v_add_f32_e32 v2, v2, v114
	v_fmac_f32_e32 v148, v123, v135
	s_waitcnt lgkmcnt(1)
	v_mul_f32_e32 v6, v127, v171
	v_add_f32_e32 v1, v1, v7
	s_waitcnt vmcnt(2)
	v_fma_f32 v4, v124, v175, -v4
	v_add_f32_e32 v2, v2, v5
	v_mul_f32_e32 v151, v126, v171
	v_fmac_f32_e32 v150, v125, v175
	v_add_f32_e32 v1, v1, v148
	v_mul_f32_e32 v5, v129, v172
	v_fma_f32 v6, v126, v138, -v6
	v_add_f32_e32 v2, v2, v4
	v_mul_f32_e32 v152, v128, v172
	v_fmac_f32_e32 v151, v127, v138
	v_add_f32_e32 v1, v1, v150
	s_waitcnt lgkmcnt(0)
	v_mul_f32_e32 v4, v131, v173
	v_fma_f32 v5, v128, v137, -v5
	v_add_f32_e32 v2, v2, v6
	v_mul_f32_e32 v153, v130, v173
	v_fmac_f32_e32 v152, v129, v137
	v_add_f32_e32 v1, v1, v151
	v_mul_f32_e32 v6, v133, v134
	v_fma_f32 v4, v130, v136, -v4
	v_add_f32_e32 v2, v2, v5
	v_mul_f32_e32 v3, v132, v134
	v_fmac_f32_e32 v153, v131, v136
	v_add_f32_e32 v1, v1, v152
	s_waitcnt vmcnt(1)
	v_fma_f32 v5, v132, v8, -v6
	v_add_f32_e32 v2, v2, v4
	v_fmac_f32_e32 v3, v133, v8
	v_add_f32_e32 v1, v1, v153
	v_add_f32_e32 v2, v2, v5
	;; [unrolled: 1-line block ×3, first 2 shown]
	s_waitcnt vmcnt(0)
	v_sub_f32_e32 v2, v139, v2
	v_sub_f32_e32 v1, v162, v1
	buffer_store_dword v2, off, s[0:3], 0 offset:56
	buffer_store_dword v1, off, s[0:3], 0 offset:60
	v_cmpx_lt_u32_e32 6, v0
	s_cbranch_execz .LBB51_313
; %bb.312:
	s_clause 0x1
	buffer_load_dword v1, off, s[0:3], 0 offset:48
	buffer_load_dword v2, off, s[0:3], 0 offset:52
	v_mov_b32_e32 v3, 0
	buffer_store_dword v3, off, s[0:3], 0 offset:48
	buffer_store_dword v3, off, s[0:3], 0 offset:52
	s_waitcnt vmcnt(0)
	ds_write_b64 v113, v[1:2]
.LBB51_313:
	s_or_b32 exec_lo, exec_lo, s4
	s_waitcnt lgkmcnt(0)
	s_waitcnt_vscnt null, 0x0
	s_barrier
	buffer_gl0_inv
	s_clause 0x2c
	buffer_load_dword v152, off, s[0:3], 0 offset:60
	buffer_load_dword v153, off, s[0:3], 0 offset:68
	;; [unrolled: 1-line block ×45, first 2 shown]
	v_mov_b32_e32 v1, 0
	ds_read2_b64 v[144:147], v1 offset0:59 offset1:60
	ds_read2_b64 v[148:151], v1 offset0:61 offset1:62
	buffer_load_dword v162, off, s[0:3], 0 offset:52
	s_mov_b32 s4, exec_lo
	s_waitcnt vmcnt(45) lgkmcnt(1)
	v_mul_f32_e32 v160, v145, v152
	v_mul_f32_e32 v152, v144, v152
	s_waitcnt vmcnt(44)
	v_mul_f32_e32 v161, v146, v153
	v_mul_f32_e32 v153, v147, v153
	s_waitcnt vmcnt(41)
	v_fma_f32 v160, v144, v141, -v160
	v_fmac_f32_e32 v152, v145, v141
	v_fmac_f32_e32 v161, v147, v137
	v_fma_f32 v153, v146, v137, -v153
	ds_read2_b64 v[144:147], v1 offset0:63 offset1:64
	s_waitcnt vmcnt(40) lgkmcnt(1)
	v_mul_f32_e32 v163, v148, v136
	v_mul_f32_e32 v136, v149, v136
	s_waitcnt vmcnt(39)
	v_mul_f32_e32 v164, v150, v134
	v_mul_f32_e32 v134, v151, v134
	v_fmac_f32_e32 v163, v149, v123
	v_fma_f32 v123, v148, v123, -v136
	s_waitcnt vmcnt(35)
	v_fmac_f32_e32 v164, v151, v142
	v_fma_f32 v165, v150, v142, -v134
	ds_read2_b64 v[148:151], v1 offset0:65 offset1:66
	s_waitcnt vmcnt(34) lgkmcnt(1)
	v_mul_f32_e32 v166, v144, v140
	v_mul_f32_e32 v134, v145, v140
	s_waitcnt vmcnt(33)
	v_mul_f32_e32 v167, v146, v139
	v_mul_f32_e32 v136, v147, v139
	ds_read2_b64 v[139:142], v1 offset0:67 offset1:68
	v_fmac_f32_e32 v166, v145, v131
	v_fma_f32 v131, v144, v131, -v134
	v_fmac_f32_e32 v167, v147, v126
	v_fma_f32 v168, v146, v126, -v136
	ds_read2_b64 v[144:147], v1 offset0:69 offset1:70
	s_waitcnt vmcnt(32) lgkmcnt(2)
	v_mul_f32_e32 v169, v148, v130
	v_mul_f32_e32 v126, v149, v130
	s_waitcnt vmcnt(31)
	v_mul_f32_e32 v130, v150, v128
	v_mul_f32_e32 v128, v151, v128
	v_fmac_f32_e32 v169, v149, v8
	v_fma_f32 v8, v148, v8, -v126
	s_waitcnt vmcnt(27)
	v_fmac_f32_e32 v130, v151, v138
	v_fma_f32 v148, v150, v138, -v128
	buffer_load_dword v151, off, s[0:3], 0 offset:244
	s_waitcnt vmcnt(27) lgkmcnt(1)
	v_mul_f32_e32 v149, v139, v135
	v_mul_f32_e32 v126, v140, v135
	s_waitcnt vmcnt(26)
	v_mul_f32_e32 v150, v141, v133
	v_mul_f32_e32 v128, v142, v133
	ds_read2_b64 v[133:136], v1 offset0:71 offset1:72
	v_fmac_f32_e32 v149, v140, v124
	v_fma_f32 v124, v139, v124, -v126
	v_fmac_f32_e32 v150, v142, v118
	v_fma_f32 v141, v141, v118, -v128
	s_waitcnt vmcnt(25) lgkmcnt(1)
	v_mul_f32_e32 v142, v144, v122
	v_mul_f32_e32 v118, v145, v122
	s_waitcnt vmcnt(24)
	v_mul_f32_e32 v122, v146, v120
	v_mul_f32_e32 v120, v147, v120
	ds_read2_b64 v[137:140], v1 offset0:73 offset1:74
	v_fmac_f32_e32 v142, v145, v4
	v_fma_f32 v144, v144, v4, -v118
	s_waitcnt vmcnt(20)
	v_fmac_f32_e32 v122, v147, v132
	v_fma_f32 v132, v146, v132, -v120
	s_waitcnt vmcnt(19) lgkmcnt(1)
	v_mul_f32_e32 v145, v133, v129
	v_mul_f32_e32 v4, v134, v129
	s_waitcnt vmcnt(18)
	v_mul_f32_e32 v146, v135, v127
	v_mul_f32_e32 v118, v136, v127
	ds_read2_b64 v[126:129], v1 offset0:75 offset1:76
	v_fmac_f32_e32 v145, v134, v117
	v_fma_f32 v133, v133, v117, -v4
	v_fmac_f32_e32 v146, v136, v114
	v_fma_f32 v134, v135, v114, -v118
	s_waitcnt vmcnt(17) lgkmcnt(1)
	v_mul_f32_e32 v135, v137, v116
	s_waitcnt vmcnt(16)
	v_mul_f32_e32 v136, v139, v115
	v_mul_f32_e32 v114, v140, v115
	;; [unrolled: 1-line block ×3, first 2 shown]
	v_fmac_f32_e32 v135, v138, v3
	s_waitcnt vmcnt(12)
	v_fmac_f32_e32 v136, v140, v125
	v_fma_f32 v125, v139, v125, -v114
	ds_read2_b64 v[114:117], v1 offset0:77 offset1:78
	v_fma_f32 v137, v137, v3, -v4
	s_waitcnt vmcnt(11) lgkmcnt(1)
	v_mul_f32_e32 v138, v126, v121
	v_mul_f32_e32 v3, v127, v121
	s_waitcnt vmcnt(10)
	v_mul_f32_e32 v139, v128, v119
	v_mul_f32_e32 v4, v129, v119
	ds_read2_b64 v[118:121], v1 offset0:79 offset1:80
	v_fmac_f32_e32 v138, v127, v7
	buffer_load_dword v127, off, s[0:3], 0 offset:236
	v_fma_f32 v7, v126, v7, -v3
	v_fma_f32 v126, v128, v5, -v4
	v_fmac_f32_e32 v139, v129, v5
	s_waitcnt vmcnt(10) lgkmcnt(1)
	v_mul_f32_e32 v128, v114, v6
	v_mul_f32_e32 v3, v115, v6
	s_waitcnt vmcnt(9)
	v_mul_f32_e32 v4, v117, v143
	v_mul_f32_e32 v6, v116, v143
	v_fmac_f32_e32 v128, v115, v2
	v_fma_f32 v129, v114, v2, -v3
	s_waitcnt vmcnt(5)
	v_fma_f32 v140, v116, v157, -v4
	ds_read2_b64 v[2:5], v1 offset0:81 offset1:82
	v_fmac_f32_e32 v6, v117, v157
	s_waitcnt vmcnt(4) lgkmcnt(1)
	v_mul_f32_e32 v143, v118, v158
	v_mul_f32_e32 v114, v119, v158
	s_waitcnt vmcnt(3)
	v_mul_f32_e32 v147, v120, v159
	v_mul_f32_e32 v115, v121, v159
	v_fmac_f32_e32 v143, v119, v156
	v_fma_f32 v118, v118, v156, -v114
	v_fmac_f32_e32 v147, v121, v155
	v_fma_f32 v119, v120, v155, -v115
	s_clause 0x5
	buffer_load_dword v120, off, s[0:3], 0 offset:264
	buffer_load_dword v121, off, s[0:3], 0 offset:256
	;; [unrolled: 1-line block ×6, first 2 shown]
	v_add_f32_e32 v114, 0, v160
	v_add_f32_e32 v115, 0, v152
	buffer_load_dword v152, off, s[0:3], 0 offset:268
	v_add_f32_e32 v114, v114, v153
	buffer_load_dword v153, off, s[0:3], 0 offset:276
	v_add_f32_e32 v115, v115, v161
	v_add_f32_e32 v114, v114, v123
	s_clause 0x3
	buffer_load_dword v123, off, s[0:3], 0 offset:296
	buffer_load_dword v159, off, s[0:3], 0 offset:288
	;; [unrolled: 1-line block ×4, first 2 shown]
	v_add_f32_e32 v115, v115, v163
	v_add_f32_e32 v114, v114, v165
	;; [unrolled: 1-line block ×4, first 2 shown]
	buffer_load_dword v131, off, s[0:3], 0 offset:284
	v_add_f32_e32 v115, v115, v166
	v_add_f32_e32 v114, v114, v168
	s_waitcnt vmcnt(13) lgkmcnt(0)
	v_mul_f32_e32 v163, v2, v127
	v_mul_f32_e32 v116, v3, v127
	v_fmac_f32_e32 v163, v3, v154
	v_fma_f32 v127, v2, v154, -v116
	v_add_f32_e32 v2, v115, v167
	v_add_f32_e32 v3, v114, v8
	ds_read2_b64 v[114:117], v1 offset0:83 offset1:84
	buffer_load_dword v8, off, s[0:3], 0 offset:292
	v_add_f32_e32 v2, v2, v169
	v_add_f32_e32 v3, v3, v148
	v_mul_f32_e32 v148, v4, v151
	v_mul_f32_e32 v151, v5, v151
	v_add_f32_e32 v2, v2, v130
	v_add_f32_e32 v3, v3, v124
	s_clause 0x1
	buffer_load_dword v130, off, s[0:3], 0 offset:300
	buffer_load_dword v124, off, s[0:3], 0 offset:308
	v_add_f32_e32 v149, v2, v149
	v_add_f32_e32 v141, v3, v141
	s_waitcnt vmcnt(12)
	v_fmac_f32_e32 v148, v5, v156
	v_fma_f32 v151, v4, v156, -v151
	ds_read2_b64 v[2:5], v1 offset0:85 offset1:86
	v_add_f32_e32 v149, v149, v150
	s_waitcnt vmcnt(11) lgkmcnt(1)
	v_mul_f32_e32 v154, v114, v157
	v_mul_f32_e32 v156, v115, v157
	v_add_f32_e32 v141, v141, v144
	s_clause 0x3
	buffer_load_dword v144, off, s[0:3], 0 offset:328
	buffer_load_dword v150, off, s[0:3], 0 offset:320
	;; [unrolled: 1-line block ×4, first 2 shown]
	v_fmac_f32_e32 v154, v115, v155
	v_fma_f32 v155, v114, v155, -v156
	v_add_f32_e32 v114, v149, v142
	v_add_f32_e32 v115, v141, v132
	s_waitcnt vmcnt(14)
	v_mul_f32_e32 v132, v116, v158
	v_mul_f32_e32 v141, v117, v158
	s_clause 0x1
	buffer_load_dword v142, off, s[0:3], 0 offset:316
	buffer_load_dword v149, off, s[0:3], 0 offset:324
	v_add_f32_e32 v114, v114, v122
	v_add_f32_e32 v115, v115, v133
	v_fmac_f32_e32 v132, v117, v121
	v_fma_f32 v122, v116, v121, -v141
	buffer_load_dword v156, off, s[0:3], 0 offset:332
	v_add_f32_e32 v121, v114, v145
	v_add_f32_e32 v134, v115, v134
	s_clause 0x3
	buffer_load_dword v133, off, s[0:3], 0 offset:340
	buffer_load_dword v141, off, s[0:3], 0 offset:348
	;; [unrolled: 1-line block ×4, first 2 shown]
	ds_read2_b64 v[114:117], v1 offset0:87 offset1:88
	v_add_f32_e32 v121, v121, v146
	s_waitcnt vmcnt(20) lgkmcnt(1)
	v_mul_f32_e32 v146, v2, v152
	v_mul_f32_e32 v152, v3, v152
	v_add_f32_e32 v134, v134, v137
	s_waitcnt vmcnt(19)
	v_mul_f32_e32 v137, v4, v153
	v_add_f32_e32 v121, v121, v135
	v_mul_f32_e32 v135, v5, v153
	v_fmac_f32_e32 v146, v3, v120
	v_fma_f32 v152, v2, v120, -v152
	v_add_f32_e32 v2, v134, v125
	v_add_f32_e32 v3, v121, v136
	s_clause 0x3
	buffer_load_dword v134, off, s[0:3], 0 offset:372
	buffer_load_dword v136, off, s[0:3], 0 offset:380
	;; [unrolled: 1-line block ×4, first 2 shown]
	s_waitcnt vmcnt(19)
	v_fmac_f32_e32 v137, v5, v161
	v_fma_f32 v135, v4, v161, -v135
	buffer_load_dword v161, off, s[0:3], 0 offset:404
	v_add_f32_e32 v3, v3, v138
	s_clause 0x4
	buffer_load_dword v138, off, s[0:3], 0 offset:360
	buffer_load_dword v166, off, s[0:3], 0 offset:352
	;; [unrolled: 1-line block ×5, first 2 shown]
	v_add_f32_e32 v2, v2, v7
	s_waitcnt vmcnt(24) lgkmcnt(0)
	v_mul_f32_e32 v121, v115, v131
	v_add_f32_e32 v7, v3, v139
	v_mul_f32_e32 v139, v114, v131
	v_add_f32_e32 v2, v2, v126
	v_fma_f32 v126, v114, v160, -v121
	v_add_f32_e32 v7, v7, v128
	v_fmac_f32_e32 v139, v115, v160
	v_add_f32_e32 v120, v2, v129
	ds_read2_b64 v[2:5], v1 offset0:89 offset1:90
	v_add_f32_e32 v6, v7, v6
	v_add_f32_e32 v120, v120, v140
	s_clause 0x3
	buffer_load_dword v131, off, s[0:3], 0 offset:392
	buffer_load_dword v140, off, s[0:3], 0 offset:384
	;; [unrolled: 1-line block ×4, first 2 shown]
	v_add_f32_e32 v6, v6, v143
	s_clause 0x1
	buffer_load_dword v143, off, s[0:3], 0 offset:408
	buffer_load_dword v171, off, s[0:3], 0 offset:400
	v_add_f32_e32 v7, v120, v118
	v_add_f32_e32 v6, v6, v147
	buffer_load_dword v147, off, s[0:3], 0 offset:48
	v_add_f32_e32 v7, v7, v119
	ds_read2_b64 v[118:121], v1 offset0:93 offset1:94
	v_add_f32_e32 v6, v6, v163
	v_add_f32_e32 v7, v7, v127
	;; [unrolled: 1-line block ×14, first 2 shown]
	s_waitcnt vmcnt(30)
	v_mul_f32_e32 v172, v116, v8
	v_mul_f32_e32 v8, v117, v8
	v_fmac_f32_e32 v172, v117, v159
	v_fma_f32 v8, v116, v159, -v8
	ds_read2_b64 v[114:117], v1 offset0:91 offset1:92
	s_waitcnt vmcnt(29) lgkmcnt(2)
	v_mul_f32_e32 v125, v3, v130
	v_mul_f32_e32 v148, v2, v130
	s_waitcnt vmcnt(28)
	v_mul_f32_e32 v130, v4, v124
	v_mul_f32_e32 v124, v5, v124
	v_add_f32_e32 v8, v7, v8
	v_fma_f32 v151, v2, v123, -v125
	v_fmac_f32_e32 v148, v3, v123
	v_add_f32_e32 v137, v137, v172
	v_add_f32_e32 v8, v8, v151
	;; [unrolled: 1-line block ×3, first 2 shown]
	s_waitcnt vmcnt(24)
	v_fma_f32 v154, v4, v164, -v124
	v_fmac_f32_e32 v130, v5, v164
	ds_read2_b64 v[2:5], v1 offset0:95 offset1:96
	ds_read2_b64 v[122:125], v1 offset0:97 offset1:98
	ds_read_b64 v[6:7], v1 offset:824
	v_add_f32_e32 v8, v8, v154
	v_add_f32_e32 v130, v137, v130
	s_waitcnt vmcnt(23) lgkmcnt(3)
	v_mul_f32_e32 v127, v115, v142
	v_mul_f32_e32 v132, v114, v142
	s_waitcnt vmcnt(22)
	v_mul_f32_e32 v142, v116, v149
	v_mul_f32_e32 v135, v117, v149
	v_fma_f32 v146, v114, v157, -v127
	v_fmac_f32_e32 v132, v115, v157
	v_fmac_f32_e32 v142, v117, v150
	v_fma_f32 v135, v116, v150, -v135
	s_waitcnt vmcnt(21)
	v_mul_f32_e32 v150, v119, v156
	v_add_f32_e32 v8, v8, v146
	v_mul_f32_e32 v139, v118, v156
	v_add_f32_e32 v130, v130, v132
	s_waitcnt vmcnt(20)
	v_mul_f32_e32 v149, v120, v133
	v_mul_f32_e32 v133, v121, v133
	v_fma_f32 v118, v118, v144, -v150
	v_add_f32_e32 v8, v8, v135
	v_fmac_f32_e32 v139, v119, v144
	v_add_f32_e32 v130, v130, v142
	ds_read2_b64 v[126:129], v1 offset0:99 offset1:100
	ds_read2_b64 v[114:117], v1 offset0:101 offset1:102
	s_waitcnt vmcnt(19) lgkmcnt(4)
	v_mul_f32_e32 v148, v2, v141
	v_mul_f32_e32 v141, v3, v141
	v_add_f32_e32 v8, v8, v118
	v_add_f32_e32 v118, v130, v139
	s_waitcnt vmcnt(18)
	v_mul_f32_e32 v151, v4, v145
	s_waitcnt vmcnt(9)
	v_fmac_f32_e32 v148, v3, v167
	s_waitcnt vmcnt(8)
	v_fma_f32 v120, v120, v168, -v133
	v_fmac_f32_e32 v149, v121, v168
	v_mul_f32_e32 v121, v5, v145
	v_fma_f32 v2, v2, v167, -v141
	s_waitcnt lgkmcnt(3)
	v_mul_f32_e32 v152, v122, v158
	v_add_f32_e32 v3, v8, v120
	v_add_f32_e32 v8, v118, v149
	v_mul_f32_e32 v118, v123, v158
	v_fma_f32 v4, v4, v166, -v121
	v_fmac_f32_e32 v151, v5, v166
	v_add_f32_e32 v2, v3, v2
	v_add_f32_e32 v3, v8, v148
	v_mul_f32_e32 v5, v125, v134
	v_fma_f32 v8, v122, v138, -v118
	v_mul_f32_e32 v137, v124, v134
	v_add_f32_e32 v2, v2, v4
	v_fmac_f32_e32 v152, v123, v138
	v_add_f32_e32 v3, v3, v151
	s_waitcnt lgkmcnt(1)
	v_mul_f32_e32 v4, v127, v136
	s_waitcnt vmcnt(3)
	v_fma_f32 v5, v124, v170, -v5
	v_add_f32_e32 v2, v2, v8
	v_mul_f32_e32 v146, v126, v136
	v_fmac_f32_e32 v137, v125, v170
	v_add_f32_e32 v3, v3, v152
	v_mul_f32_e32 v8, v129, v153
	v_fma_f32 v4, v126, v160, -v4
	v_add_f32_e32 v2, v2, v5
	v_mul_f32_e32 v119, v128, v153
	v_fmac_f32_e32 v146, v127, v160
	v_add_f32_e32 v3, v3, v137
	s_waitcnt lgkmcnt(0)
	v_mul_f32_e32 v5, v115, v165
	v_fma_f32 v8, v128, v140, -v8
	v_add_f32_e32 v2, v2, v4
	v_mul_f32_e32 v132, v114, v165
	v_fmac_f32_e32 v119, v129, v140
	v_add_f32_e32 v3, v3, v146
	v_mul_f32_e32 v4, v117, v161
	v_fma_f32 v5, v114, v131, -v5
	v_add_f32_e32 v2, v2, v8
	v_mul_f32_e32 v135, v116, v161
	v_fmac_f32_e32 v132, v115, v131
	v_add_f32_e32 v3, v3, v119
	v_mul_f32_e32 v8, v7, v169
	s_waitcnt vmcnt(1)
	v_fma_f32 v4, v116, v171, -v4
	v_add_f32_e32 v2, v2, v5
	v_mul_f32_e32 v142, v6, v169
	v_fmac_f32_e32 v135, v117, v171
	v_add_f32_e32 v3, v3, v132
	v_fma_f32 v5, v6, v143, -v8
	v_add_f32_e32 v2, v2, v4
	v_fmac_f32_e32 v142, v7, v143
	v_add_f32_e32 v3, v3, v135
	v_add_f32_e32 v2, v2, v5
	;; [unrolled: 1-line block ×3, first 2 shown]
	s_waitcnt vmcnt(0)
	v_sub_f32_e32 v2, v147, v2
	v_sub_f32_e32 v3, v162, v3
	buffer_store_dword v2, off, s[0:3], 0 offset:48
	buffer_store_dword v3, off, s[0:3], 0 offset:52
	v_cmpx_lt_u32_e32 5, v0
	s_cbranch_execz .LBB51_315
; %bb.314:
	s_clause 0x1
	buffer_load_dword v2, off, s[0:3], 0 offset:40
	buffer_load_dword v3, off, s[0:3], 0 offset:44
	buffer_store_dword v1, off, s[0:3], 0 offset:40
	buffer_store_dword v1, off, s[0:3], 0 offset:44
	s_waitcnt vmcnt(0)
	ds_write_b64 v113, v[2:3]
.LBB51_315:
	s_or_b32 exec_lo, exec_lo, s4
	s_waitcnt lgkmcnt(0)
	s_waitcnt_vscnt null, 0x0
	s_barrier
	buffer_gl0_inv
	s_clause 0x2c
	buffer_load_dword v144, off, s[0:3], 0 offset:52
	buffer_load_dword v145, off, s[0:3], 0 offset:60
	;; [unrolled: 1-line block ×45, first 2 shown]
	ds_read_b128 v[150:153], v1 offset:464
	ds_read_b128 v[154:157], v1 offset:480
	buffer_load_dword v162, off, s[0:3], 0 offset:44
	s_mov_b32 s4, exec_lo
	s_waitcnt vmcnt(45) lgkmcnt(1)
	v_mul_f32_e32 v147, v150, v144
	v_mul_f32_e32 v161, v151, v144
	s_waitcnt vmcnt(44)
	v_mul_f32_e32 v144, v152, v145
	v_mul_f32_e32 v145, v153, v145
	s_waitcnt vmcnt(41)
	v_fmac_f32_e32 v147, v151, v115
	v_fma_f32 v161, v150, v115, -v161
	v_fmac_f32_e32 v144, v153, v7
	v_fma_f32 v145, v152, v7, -v145
	ds_read_b128 v[150:153], v1 offset:496
	s_waitcnt vmcnt(40) lgkmcnt(1)
	v_mul_f32_e32 v163, v154, v4
	s_waitcnt vmcnt(39)
	v_mul_f32_e32 v164, v156, v5
	v_mul_f32_e32 v4, v155, v4
	;; [unrolled: 1-line block ×3, first 2 shown]
	v_fmac_f32_e32 v163, v155, v2
	s_waitcnt vmcnt(35)
	v_fmac_f32_e32 v164, v157, v118
	v_fma_f32 v165, v154, v2, -v4
	v_fma_f32 v118, v156, v118, -v5
	ds_read_b128 v[154:157], v1 offset:512
	s_waitcnt vmcnt(34) lgkmcnt(1)
	v_mul_f32_e32 v166, v150, v117
	s_waitcnt vmcnt(33)
	v_mul_f32_e32 v167, v152, v116
	v_mul_f32_e32 v4, v153, v116
	;; [unrolled: 1-line block ×3, first 2 shown]
	v_fmac_f32_e32 v166, v151, v114
	v_fmac_f32_e32 v167, v153, v6
	v_fma_f32 v151, v152, v6, -v4
	ds_read_b128 v[4:7], v1 offset:528
	v_fma_f32 v150, v150, v114, -v2
	s_waitcnt vmcnt(32) lgkmcnt(1)
	v_mul_f32_e32 v152, v154, v8
	v_mul_f32_e32 v2, v155, v8
	s_waitcnt vmcnt(31)
	v_mul_f32_e32 v8, v156, v119
	v_mul_f32_e32 v114, v157, v119
	v_fmac_f32_e32 v152, v155, v3
	v_fma_f32 v119, v154, v3, -v2
	s_waitcnt vmcnt(27)
	v_fmac_f32_e32 v8, v157, v127
	v_fma_f32 v127, v156, v127, -v114
	ds_read_b128 v[114:117], v1 offset:544
	buffer_load_dword v157, off, s[0:3], 0 offset:236
	s_waitcnt vmcnt(27) lgkmcnt(1)
	v_mul_f32_e32 v153, v4, v125
	v_mul_f32_e32 v2, v5, v125
	s_waitcnt vmcnt(26)
	v_mul_f32_e32 v3, v7, v124
	v_mul_f32_e32 v125, v6, v124
	v_fmac_f32_e32 v153, v5, v123
	v_fma_f32 v123, v4, v123, -v2
	v_fma_f32 v6, v6, v121, -v3
	ds_read_b128 v[2:5], v1 offset:560
	v_fmac_f32_e32 v125, v7, v121
	s_waitcnt vmcnt(25) lgkmcnt(1)
	v_mul_f32_e32 v7, v114, v122
	v_mul_f32_e32 v121, v115, v122
	s_waitcnt vmcnt(24)
	v_mul_f32_e32 v122, v116, v126
	v_mul_f32_e32 v124, v117, v126
	v_fmac_f32_e32 v7, v115, v120
	v_fma_f32 v120, v114, v120, -v121
	s_waitcnt vmcnt(20)
	v_fmac_f32_e32 v122, v117, v135
	v_fma_f32 v121, v116, v135, -v124
	ds_read_b128 v[114:117], v1 offset:576
	s_waitcnt vmcnt(19) lgkmcnt(1)
	v_mul_f32_e32 v124, v2, v133
	v_mul_f32_e32 v126, v3, v133
	s_waitcnt vmcnt(18)
	v_mul_f32_e32 v133, v4, v132
	v_mul_f32_e32 v132, v5, v132
	v_fmac_f32_e32 v124, v3, v131
	v_fma_f32 v126, v2, v131, -v126
	v_fmac_f32_e32 v133, v5, v129
	v_fma_f32 v129, v4, v129, -v132
	ds_read_b128 v[2:5], v1 offset:592
	s_waitcnt vmcnt(17) lgkmcnt(1)
	v_mul_f32_e32 v131, v114, v130
	v_mul_f32_e32 v130, v115, v130
	s_waitcnt vmcnt(16)
	v_mul_f32_e32 v132, v116, v134
	v_mul_f32_e32 v134, v117, v134
	v_fmac_f32_e32 v131, v115, v128
	v_fma_f32 v128, v114, v128, -v130
	s_waitcnt vmcnt(12)
	v_fmac_f32_e32 v132, v117, v143
	v_fma_f32 v130, v116, v143, -v134
	ds_read_b128 v[114:117], v1 offset:608
	buffer_load_dword v143, off, s[0:3], 0 offset:228
	s_waitcnt vmcnt(12) lgkmcnt(1)
	v_mul_f32_e32 v134, v2, v141
	v_mul_f32_e32 v135, v3, v141
	s_waitcnt vmcnt(11)
	v_mul_f32_e32 v141, v4, v140
	v_mul_f32_e32 v140, v5, v140
	v_fmac_f32_e32 v134, v3, v139
	v_fma_f32 v135, v2, v139, -v135
	v_fmac_f32_e32 v141, v5, v137
	v_fma_f32 v137, v4, v137, -v140
	ds_read_b128 v[2:5], v1 offset:624
	s_waitcnt vmcnt(10) lgkmcnt(1)
	v_mul_f32_e32 v139, v114, v138
	v_mul_f32_e32 v138, v115, v138
	s_waitcnt vmcnt(9)
	v_mul_f32_e32 v140, v116, v142
	v_mul_f32_e32 v142, v117, v142
	v_fmac_f32_e32 v139, v115, v136
	v_fma_f32 v136, v114, v136, -v138
	s_waitcnt vmcnt(5)
	v_fmac_f32_e32 v140, v117, v158
	v_fma_f32 v138, v116, v158, -v142
	ds_read_b128 v[114:117], v1 offset:640
	s_waitcnt vmcnt(4) lgkmcnt(1)
	v_mul_f32_e32 v142, v2, v159
	v_mul_f32_e32 v154, v3, v159
	s_waitcnt vmcnt(3)
	v_mul_f32_e32 v155, v4, v160
	v_mul_f32_e32 v156, v5, v160
	v_fmac_f32_e32 v142, v3, v149
	v_fma_f32 v149, v2, v149, -v154
	v_fmac_f32_e32 v155, v5, v148
	v_fma_f32 v148, v4, v148, -v156
	s_clause 0x5
	buffer_load_dword v154, off, s[0:3], 0 offset:256
	buffer_load_dword v156, off, s[0:3], 0 offset:248
	;; [unrolled: 1-line block ×6, first 2 shown]
	v_add_f32_e32 v2, 0, v147
	v_add_f32_e32 v3, 0, v161
	;; [unrolled: 1-line block ×3, first 2 shown]
	buffer_load_dword v144, off, s[0:3], 0 offset:260
	v_add_f32_e32 v3, v3, v145
	buffer_load_dword v145, off, s[0:3], 0 offset:268
	v_add_f32_e32 v2, v2, v163
	v_add_f32_e32 v3, v3, v165
	;; [unrolled: 1-line block ×4, first 2 shown]
	s_clause 0x4
	buffer_load_dword v147, off, s[0:3], 0 offset:288
	buffer_load_dword v118, off, s[0:3], 0 offset:280
	;; [unrolled: 1-line block ×5, first 2 shown]
	v_add_f32_e32 v2, v2, v166
	v_add_f32_e32 v3, v3, v150
	s_clause 0x1
	buffer_load_dword v150, off, s[0:3], 0 offset:284
	buffer_load_dword v165, off, s[0:3], 0 offset:292
	v_add_f32_e32 v2, v2, v167
	v_add_f32_e32 v3, v3, v151
	;; [unrolled: 1-line block ×10, first 2 shown]
	s_waitcnt vmcnt(16) lgkmcnt(0)
	v_mul_f32_e32 v119, v117, v157
	s_waitcnt vmcnt(15)
	v_mul_f32_e32 v151, v114, v143
	v_mul_f32_e32 v4, v115, v143
	;; [unrolled: 1-line block ×3, first 2 shown]
	v_fmac_f32_e32 v151, v115, v146
	v_fma_f32 v146, v114, v146, -v4
	v_add_f32_e32 v114, v3, v127
	ds_read_b128 v[2:5], v1 offset:656
	v_add_f32_e32 v114, v114, v123
	s_clause 0x4
	buffer_load_dword v123, off, s[0:3], 0 offset:300
	buffer_load_dword v152, off, s[0:3], 0 offset:320
	;; [unrolled: 1-line block ×5, first 2 shown]
	v_add_f32_e32 v6, v114, v6
	v_add_f32_e32 v6, v6, v120
	;; [unrolled: 1-line block ×5, first 2 shown]
	s_waitcnt vmcnt(16)
	v_fmac_f32_e32 v143, v117, v159
	v_fma_f32 v119, v116, v159, -v119
	s_clause 0x2
	buffer_load_dword v8, off, s[0:3], 0 offset:308
	buffer_load_dword v159, off, s[0:3], 0 offset:316
	;; [unrolled: 1-line block ×3, first 2 shown]
	ds_read_b128 v[114:117], v1 offset:672
	s_waitcnt vmcnt(18) lgkmcnt(1)
	v_mul_f32_e32 v120, v2, v160
	v_mul_f32_e32 v121, v3, v160
	s_waitcnt vmcnt(17)
	v_mul_f32_e32 v122, v4, v168
	v_mul_f32_e32 v124, v5, v168
	v_fmac_f32_e32 v120, v3, v158
	v_add_f32_e32 v3, v7, v133
	v_fma_f32 v7, v2, v158, -v121
	v_fmac_f32_e32 v122, v5, v156
	v_fma_f32 v124, v4, v156, -v124
	v_add_f32_e32 v2, v3, v131
	v_add_f32_e32 v3, v6, v128
	s_clause 0x7
	buffer_load_dword v6, off, s[0:3], 0 offset:332
	buffer_load_dword v156, off, s[0:3], 0 offset:340
	;; [unrolled: 1-line block ×8, first 2 shown]
	v_add_f32_e32 v2, v2, v132
	v_add_f32_e32 v3, v3, v130
	s_waitcnt vmcnt(24) lgkmcnt(0)
	v_mul_f32_e32 v125, v114, v144
	v_mul_f32_e32 v4, v115, v144
	v_add_f32_e32 v2, v2, v134
	s_clause 0x3
	buffer_load_dword v144, off, s[0:3], 0 offset:364
	buffer_load_dword v171, off, s[0:3], 0 offset:372
	;; [unrolled: 1-line block ×4, first 2 shown]
	s_waitcnt vmcnt(27)
	v_mul_f32_e32 v128, v116, v145
	v_fmac_f32_e32 v125, v115, v154
	v_fma_f32 v126, v114, v154, -v4
	v_add_f32_e32 v114, v3, v135
	v_add_f32_e32 v115, v2, v141
	v_mul_f32_e32 v3, v117, v145
	s_clause 0x2
	buffer_load_dword v134, off, s[0:3], 0 offset:396
	buffer_load_dword v154, off, s[0:3], 0 offset:404
	;; [unrolled: 1-line block ×3, first 2 shown]
	v_add_f32_e32 v114, v114, v137
	v_add_f32_e32 v115, v115, v139
	s_waitcnt vmcnt(26)
	v_fma_f32 v129, v116, v163, -v3
	ds_read_b128 v[2:5], v1 offset:688
	v_fmac_f32_e32 v128, v117, v163
	v_add_f32_e32 v114, v114, v136
	v_add_f32_e32 v115, v115, v140
	s_clause 0x3
	buffer_load_dword v136, off, s[0:3], 0 offset:384
	buffer_load_dword v137, off, s[0:3], 0 offset:376
	;; [unrolled: 1-line block ×4, first 2 shown]
	v_add_f32_e32 v114, v114, v138
	v_add_f32_e32 v121, v115, v142
	;; [unrolled: 1-line block ×3, first 2 shown]
	ds_read_b128 v[114:117], v1 offset:704
	s_clause 0x3
	buffer_load_dword v138, off, s[0:3], 0 offset:408
	buffer_load_dword v141, off, s[0:3], 0 offset:400
	;; [unrolled: 1-line block ×4, first 2 shown]
	v_add_f32_e32 v121, v121, v155
	s_waitcnt vmcnt(33) lgkmcnt(1)
	v_mul_f32_e32 v132, v3, v164
	v_mul_f32_e32 v131, v2, v164
	v_fma_f32 v132, v2, v161, -v132
	v_add_f32_e32 v2, v130, v148
	v_fmac_f32_e32 v131, v3, v161
	v_add_f32_e32 v3, v121, v151
	s_waitcnt vmcnt(32)
	v_mul_f32_e32 v130, v4, v150
	v_mul_f32_e32 v121, v5, v150
	v_add_f32_e32 v2, v2, v146
	v_add_f32_e32 v3, v3, v143
	v_fmac_f32_e32 v130, v5, v118
	v_fma_f32 v133, v4, v118, -v121
	v_add_f32_e32 v119, v2, v119
	s_waitcnt vmcnt(31) lgkmcnt(0)
	v_mul_f32_e32 v146, v115, v165
	v_add_f32_e32 v143, v3, v120
	ds_read_b128 v[2:5], v1 offset:720
	v_add_f32_e32 v7, v119, v7
	ds_read_b128 v[118:121], v1 offset:736
	v_add_f32_e32 v122, v143, v122
	v_mul_f32_e32 v143, v114, v165
	v_fma_f32 v146, v114, v147, -v146
	v_add_f32_e32 v7, v7, v124
	v_fmac_f32_e32 v143, v115, v147
	v_add_f32_e32 v147, v122, v125
	v_add_f32_e32 v7, v7, v126
	;; [unrolled: 1-line block ×8, first 2 shown]
	s_waitcnt vmcnt(30)
	v_mul_f32_e32 v148, v116, v123
	v_mul_f32_e32 v123, v117, v123
	s_waitcnt vmcnt(26)
	v_fmac_f32_e32 v148, v117, v157
	v_fma_f32 v149, v116, v157, -v123
	ds_read_b128 v[114:117], v1 offset:752
	ds_read_b128 v[122:125], v1 offset:768
	s_waitcnt vmcnt(25) lgkmcnt(3)
	v_mul_f32_e32 v147, v2, v8
	s_waitcnt vmcnt(24)
	v_mul_f32_e32 v150, v4, v159
	v_mul_f32_e32 v8, v3, v8
	;; [unrolled: 1-line block ×3, first 2 shown]
	s_waitcnt vmcnt(23) lgkmcnt(2)
	v_mul_f32_e32 v151, v118, v166
	v_mul_f32_e32 v131, v119, v166
	v_fmac_f32_e32 v147, v3, v153
	v_fmac_f32_e32 v150, v5, v127
	v_fma_f32 v8, v2, v153, -v8
	v_fma_f32 v153, v4, v127, -v128
	ds_read_b128 v[2:5], v1 offset:784
	ds_read_b128 v[126:129], v1 offset:800
	v_fmac_f32_e32 v151, v119, v152
	v_fma_f32 v118, v118, v152, -v131
	v_add_f32_e32 v119, v130, v143
	ds_read_b128 v[130:133], v1 offset:816
	v_add_f32_e32 v1, v7, v146
	s_waitcnt vmcnt(22)
	v_mul_f32_e32 v7, v120, v6
	v_mul_f32_e32 v6, v121, v6
	v_add_f32_e32 v119, v119, v148
	s_waitcnt vmcnt(21) lgkmcnt(4)
	v_mul_f32_e32 v148, v115, v156
	v_add_f32_e32 v1, v1, v149
	v_mul_f32_e32 v143, v114, v156
	s_waitcnt vmcnt(15)
	v_fma_f32 v6, v120, v170, -v6
	v_fmac_f32_e32 v7, v121, v170
	v_fma_f32 v114, v114, v169, -v148
	v_add_f32_e32 v1, v1, v8
	v_add_f32_e32 v8, v119, v147
	v_mul_f32_e32 v146, v116, v158
	v_fmac_f32_e32 v143, v115, v169
	s_waitcnt lgkmcnt(3)
	v_mul_f32_e32 v120, v122, v160
	v_add_f32_e32 v1, v1, v153
	v_add_f32_e32 v8, v8, v150
	v_mul_f32_e32 v150, v117, v158
	v_fmac_f32_e32 v146, v117, v168
	s_waitcnt vmcnt(14)
	v_mul_f32_e32 v121, v124, v144
	v_add_f32_e32 v1, v1, v118
	v_add_f32_e32 v8, v8, v151
	v_fmac_f32_e32 v120, v123, v167
	s_waitcnt vmcnt(13) lgkmcnt(2)
	v_mul_f32_e32 v119, v2, v171
	s_waitcnt vmcnt(12)
	v_mul_f32_e32 v147, v4, v172
	v_add_f32_e32 v1, v1, v6
	v_add_f32_e32 v6, v8, v7
	v_mul_f32_e32 v7, v123, v160
	v_fma_f32 v8, v116, v168, -v150
	s_waitcnt vmcnt(4)
	v_fmac_f32_e32 v121, v125, v140
	v_add_f32_e32 v1, v1, v114
	v_add_f32_e32 v6, v6, v143
	v_mul_f32_e32 v114, v125, v144
	v_fma_f32 v7, v122, v167, -v7
	v_fmac_f32_e32 v119, v3, v139
	v_add_f32_e32 v1, v1, v8
	v_add_f32_e32 v6, v6, v146
	v_mul_f32_e32 v8, v3, v171
	v_fma_f32 v114, v124, v140, -v114
	s_waitcnt lgkmcnt(1)
	v_mul_f32_e32 v149, v126, v173
	v_add_f32_e32 v1, v1, v7
	v_add_f32_e32 v6, v6, v120
	v_mul_f32_e32 v7, v5, v172
	v_fma_f32 v2, v2, v139, -v8
	v_fmac_f32_e32 v147, v5, v137
	v_add_f32_e32 v1, v1, v114
	v_add_f32_e32 v3, v6, v121
	v_mul_f32_e32 v6, v127, v173
	v_fma_f32 v4, v4, v137, -v7
	v_mul_f32_e32 v152, v128, v134
	v_add_f32_e32 v1, v1, v2
	v_add_f32_e32 v2, v3, v119
	v_mul_f32_e32 v3, v129, v134
	v_fma_f32 v5, v126, v136, -v6
	v_fmac_f32_e32 v149, v127, v136
	v_add_f32_e32 v1, v1, v4
	v_add_f32_e32 v2, v2, v147
	s_waitcnt lgkmcnt(0)
	v_mul_f32_e32 v4, v131, v154
	s_waitcnt vmcnt(1)
	v_fma_f32 v3, v128, v142, -v3
	v_mul_f32_e32 v153, v130, v154
	v_add_f32_e32 v1, v1, v5
	v_fmac_f32_e32 v152, v129, v142
	v_add_f32_e32 v2, v2, v149
	v_mul_f32_e32 v5, v133, v135
	v_fma_f32 v4, v130, v141, -v4
	v_add_f32_e32 v1, v1, v3
	v_mul_f32_e32 v118, v132, v135
	v_fmac_f32_e32 v153, v131, v141
	v_add_f32_e32 v2, v2, v152
	v_fma_f32 v3, v132, v138, -v5
	v_add_f32_e32 v1, v1, v4
	v_fmac_f32_e32 v118, v133, v138
	v_add_f32_e32 v2, v2, v153
	v_add_f32_e32 v1, v1, v3
	;; [unrolled: 1-line block ×3, first 2 shown]
	s_waitcnt vmcnt(0)
	v_sub_f32_e32 v1, v145, v1
	v_sub_f32_e32 v2, v162, v2
	buffer_store_dword v1, off, s[0:3], 0 offset:40
	buffer_store_dword v2, off, s[0:3], 0 offset:44
	v_cmpx_lt_u32_e32 4, v0
	s_cbranch_execz .LBB51_317
; %bb.316:
	s_clause 0x1
	buffer_load_dword v1, off, s[0:3], 0 offset:32
	buffer_load_dword v2, off, s[0:3], 0 offset:36
	v_mov_b32_e32 v3, 0
	buffer_store_dword v3, off, s[0:3], 0 offset:32
	buffer_store_dword v3, off, s[0:3], 0 offset:36
	s_waitcnt vmcnt(0)
	ds_write_b64 v113, v[1:2]
.LBB51_317:
	s_or_b32 exec_lo, exec_lo, s4
	s_waitcnt lgkmcnt(0)
	s_waitcnt_vscnt null, 0x0
	s_barrier
	buffer_gl0_inv
	s_clause 0x2c
	buffer_load_dword v144, off, s[0:3], 0 offset:44
	buffer_load_dword v145, off, s[0:3], 0 offset:52
	;; [unrolled: 1-line block ×45, first 2 shown]
	v_mov_b32_e32 v1, 0
	ds_read2_b64 v[153:156], v1 offset0:57 offset1:58
	ds_read2_b64 v[157:160], v1 offset0:59 offset1:60
	buffer_load_dword v162, off, s[0:3], 0 offset:36
	s_mov_b32 s4, exec_lo
	s_waitcnt vmcnt(45) lgkmcnt(1)
	v_mul_f32_e32 v146, v153, v144
	v_mul_f32_e32 v161, v154, v144
	s_waitcnt vmcnt(44)
	v_mul_f32_e32 v144, v155, v145
	v_mul_f32_e32 v145, v156, v145
	s_waitcnt vmcnt(41)
	v_fmac_f32_e32 v146, v154, v115
	v_fma_f32 v161, v153, v115, -v161
	v_fmac_f32_e32 v144, v156, v7
	v_fma_f32 v145, v155, v7, -v145
	ds_read2_b64 v[153:156], v1 offset0:61 offset1:62
	s_waitcnt vmcnt(40) lgkmcnt(1)
	v_mul_f32_e32 v163, v157, v4
	s_waitcnt vmcnt(39)
	v_mul_f32_e32 v164, v159, v5
	v_mul_f32_e32 v4, v158, v4
	v_mul_f32_e32 v5, v160, v5
	v_fmac_f32_e32 v163, v158, v2
	s_waitcnt vmcnt(35)
	v_fmac_f32_e32 v164, v160, v118
	v_fma_f32 v165, v157, v2, -v4
	v_fma_f32 v118, v159, v118, -v5
	ds_read2_b64 v[157:160], v1 offset0:63 offset1:64
	s_waitcnt vmcnt(34) lgkmcnt(1)
	v_mul_f32_e32 v166, v153, v117
	s_waitcnt vmcnt(33)
	v_mul_f32_e32 v167, v155, v116
	v_mul_f32_e32 v4, v156, v116
	;; [unrolled: 1-line block ×3, first 2 shown]
	v_fmac_f32_e32 v166, v154, v114
	v_fmac_f32_e32 v167, v156, v6
	v_fma_f32 v154, v155, v6, -v4
	ds_read2_b64 v[4:7], v1 offset0:65 offset1:66
	v_fma_f32 v153, v153, v114, -v2
	s_waitcnt vmcnt(32) lgkmcnt(1)
	v_mul_f32_e32 v155, v157, v8
	v_mul_f32_e32 v2, v158, v8
	s_waitcnt vmcnt(31)
	v_mul_f32_e32 v8, v159, v119
	v_mul_f32_e32 v114, v160, v119
	v_fmac_f32_e32 v155, v158, v3
	v_fma_f32 v119, v157, v3, -v2
	s_waitcnt vmcnt(27)
	v_fmac_f32_e32 v8, v160, v127
	v_fma_f32 v127, v159, v127, -v114
	ds_read2_b64 v[114:117], v1 offset0:67 offset1:68
	buffer_load_dword v157, off, s[0:3], 0 offset:228
	s_waitcnt vmcnt(27) lgkmcnt(1)
	v_mul_f32_e32 v156, v4, v125
	v_mul_f32_e32 v2, v5, v125
	s_waitcnt vmcnt(26)
	v_mul_f32_e32 v3, v7, v124
	v_mul_f32_e32 v125, v6, v124
	v_fmac_f32_e32 v156, v5, v123
	v_fma_f32 v123, v4, v123, -v2
	v_fma_f32 v6, v6, v121, -v3
	ds_read2_b64 v[2:5], v1 offset0:69 offset1:70
	v_fmac_f32_e32 v125, v7, v121
	s_waitcnt vmcnt(25) lgkmcnt(1)
	v_mul_f32_e32 v7, v114, v122
	v_mul_f32_e32 v121, v115, v122
	s_waitcnt vmcnt(24)
	v_mul_f32_e32 v122, v116, v126
	v_mul_f32_e32 v124, v117, v126
	v_fmac_f32_e32 v7, v115, v120
	v_fma_f32 v120, v114, v120, -v121
	s_waitcnt vmcnt(20)
	v_fmac_f32_e32 v122, v117, v135
	v_fma_f32 v121, v116, v135, -v124
	ds_read2_b64 v[114:117], v1 offset0:71 offset1:72
	s_waitcnt vmcnt(19) lgkmcnt(1)
	v_mul_f32_e32 v124, v2, v133
	v_mul_f32_e32 v126, v3, v133
	s_waitcnt vmcnt(18)
	v_mul_f32_e32 v133, v4, v132
	v_mul_f32_e32 v132, v5, v132
	v_fmac_f32_e32 v124, v3, v131
	v_fma_f32 v126, v2, v131, -v126
	v_fmac_f32_e32 v133, v5, v129
	v_fma_f32 v129, v4, v129, -v132
	ds_read2_b64 v[2:5], v1 offset0:73 offset1:74
	s_waitcnt vmcnt(17) lgkmcnt(1)
	v_mul_f32_e32 v131, v114, v130
	v_mul_f32_e32 v130, v115, v130
	s_waitcnt vmcnt(16)
	v_mul_f32_e32 v132, v116, v134
	v_mul_f32_e32 v134, v117, v134
	v_fmac_f32_e32 v131, v115, v128
	v_fma_f32 v128, v114, v128, -v130
	s_waitcnt vmcnt(12)
	v_fmac_f32_e32 v132, v117, v142
	v_fma_f32 v130, v116, v142, -v134
	ds_read2_b64 v[114:117], v1 offset0:75 offset1:76
	s_waitcnt vmcnt(11) lgkmcnt(1)
	v_mul_f32_e32 v134, v2, v141
	v_mul_f32_e32 v135, v3, v141
	s_waitcnt vmcnt(10)
	v_mul_f32_e32 v141, v4, v140
	v_mul_f32_e32 v140, v5, v140
	v_fmac_f32_e32 v134, v3, v139
	v_fma_f32 v135, v2, v139, -v135
	v_fmac_f32_e32 v141, v5, v137
	v_fma_f32 v137, v4, v137, -v140
	ds_read2_b64 v[2:5], v1 offset0:77 offset1:78
	s_waitcnt vmcnt(8) lgkmcnt(1)
	v_mul_f32_e32 v140, v116, v143
	v_mul_f32_e32 v142, v117, v143
	buffer_load_dword v143, off, s[0:3], 0 offset:220
	v_mul_f32_e32 v139, v114, v138
	v_mul_f32_e32 v138, v115, v138
	s_waitcnt vmcnt(5)
	v_fmac_f32_e32 v140, v117, v152
	v_fmac_f32_e32 v139, v115, v136
	v_fma_f32 v136, v114, v136, -v138
	v_fma_f32 v138, v116, v152, -v142
	ds_read2_b64 v[114:117], v1 offset0:79 offset1:80
	s_waitcnt vmcnt(4) lgkmcnt(1)
	v_mul_f32_e32 v142, v2, v151
	v_mul_f32_e32 v151, v3, v151
	s_waitcnt vmcnt(3)
	v_mul_f32_e32 v152, v4, v150
	v_mul_f32_e32 v150, v5, v150
	v_fmac_f32_e32 v142, v3, v149
	v_fma_f32 v149, v2, v149, -v151
	v_fmac_f32_e32 v152, v5, v148
	v_fma_f32 v148, v4, v148, -v150
	s_clause 0x4
	buffer_load_dword v150, off, s[0:3], 0 offset:248
	buffer_load_dword v151, off, s[0:3], 0 offset:240
	;; [unrolled: 1-line block ×5, first 2 shown]
	s_waitcnt vmcnt(5) lgkmcnt(0)
	v_mul_f32_e32 v160, v114, v143
	v_mul_f32_e32 v3, v115, v143
	v_fmac_f32_e32 v160, v115, v147
	v_fma_f32 v143, v114, v147, -v3
	v_mul_f32_e32 v147, v116, v157
	v_mul_f32_e32 v3, v117, v157
	s_waitcnt vmcnt(1)
	v_fmac_f32_e32 v147, v117, v2
	v_fma_f32 v157, v116, v2, -v3
	ds_read2_b64 v[2:5], v1 offset0:81 offset1:82
	ds_read2_b64 v[114:117], v1 offset0:83 offset1:84
	s_waitcnt vmcnt(0) lgkmcnt(1)
	v_mul_f32_e32 v168, v2, v159
	v_mul_f32_e32 v159, v3, v159
	v_fmac_f32_e32 v168, v3, v158
	v_fma_f32 v158, v2, v158, -v159
	buffer_load_dword v2, off, s[0:3], 0 offset:244
	s_waitcnt vmcnt(0)
	v_mul_f32_e32 v159, v4, v2
	v_mul_f32_e32 v2, v5, v2
	v_fmac_f32_e32 v159, v5, v151
	v_fma_f32 v151, v4, v151, -v2
	buffer_load_dword v2, off, s[0:3], 0 offset:252
	s_waitcnt vmcnt(0) lgkmcnt(0)
	v_mul_f32_e32 v169, v114, v2
	v_mul_f32_e32 v2, v115, v2
	v_fmac_f32_e32 v169, v115, v150
	v_fma_f32 v150, v114, v150, -v2
	s_clause 0x5
	buffer_load_dword v2, off, s[0:3], 0 offset:260
	buffer_load_dword v170, off, s[0:3], 0 offset:280
	;; [unrolled: 1-line block ×6, first 2 shown]
	s_waitcnt vmcnt(5)
	v_mul_f32_e32 v173, v116, v2
	v_mul_f32_e32 v2, v117, v2
	s_waitcnt vmcnt(1)
	v_fmac_f32_e32 v173, v117, v3
	v_fma_f32 v174, v116, v3, -v2
	ds_read2_b64 v[2:5], v1 offset0:85 offset1:86
	ds_read2_b64 v[114:117], v1 offset0:87 offset1:88
	s_waitcnt vmcnt(0) lgkmcnt(1)
	v_mul_f32_e32 v176, v2, v175
	v_mul_f32_e32 v175, v3, v175
	v_fmac_f32_e32 v176, v3, v172
	v_fma_f32 v172, v2, v172, -v175
	buffer_load_dword v2, off, s[0:3], 0 offset:276
	s_waitcnt vmcnt(0)
	v_mul_f32_e32 v175, v4, v2
	v_mul_f32_e32 v2, v5, v2
	v_fmac_f32_e32 v175, v5, v171
	v_fma_f32 v171, v4, v171, -v2
	buffer_load_dword v2, off, s[0:3], 0 offset:284
	s_waitcnt vmcnt(0) lgkmcnt(0)
	v_mul_f32_e32 v177, v114, v2
	v_mul_f32_e32 v2, v115, v2
	v_fmac_f32_e32 v177, v115, v170
	v_fma_f32 v170, v114, v170, -v2
	s_clause 0x4
	buffer_load_dword v2, off, s[0:3], 0 offset:292
	buffer_load_dword v178, off, s[0:3], 0 offset:312
	;; [unrolled: 1-line block ×5, first 2 shown]
	s_waitcnt vmcnt(4)
	v_mul_f32_e32 v181, v116, v2
	v_mul_f32_e32 v2, v117, v2
	s_waitcnt vmcnt(0)
	v_fmac_f32_e32 v181, v117, v3
	v_fma_f32 v182, v116, v3, -v2
	v_add_f32_e32 v2, 0, v146
	v_add_f32_e32 v3, 0, v161
	v_add_f32_e32 v2, v2, v144
	v_add_f32_e32 v3, v3, v145
	v_add_f32_e32 v2, v2, v163
	v_add_f32_e32 v3, v3, v165
	v_add_f32_e32 v2, v2, v164
	v_add_f32_e32 v3, v3, v118
	buffer_load_dword v118, off, s[0:3], 0 offset:300
	v_add_f32_e32 v2, v2, v166
	v_add_f32_e32 v3, v3, v153
	;; [unrolled: 1-line block ×6, first 2 shown]
	buffer_load_dword v119, off, s[0:3], 0 offset:308
	v_add_f32_e32 v2, v2, v8
	v_add_f32_e32 v3, v3, v127
	s_clause 0x1
	buffer_load_dword v8, off, s[0:3], 0 offset:316
	buffer_load_dword v127, off, s[0:3], 0 offset:324
	v_add_f32_e32 v2, v2, v156
	v_add_f32_e32 v3, v3, v123
	;; [unrolled: 1-line block ×4, first 2 shown]
	s_clause 0x6
	buffer_load_dword v144, off, s[0:3], 0 offset:344
	buffer_load_dword v145, off, s[0:3], 0 offset:336
	;; [unrolled: 1-line block ×7, first 2 shown]
	v_add_f32_e32 v2, v2, v7
	v_add_f32_e32 v3, v3, v120
	;; [unrolled: 1-line block ×8, first 2 shown]
	s_clause 0x3
	buffer_load_dword v133, off, s[0:3], 0 offset:356
	buffer_load_dword v156, off, s[0:3], 0 offset:364
	buffer_load_dword v161, off, s[0:3], 0 offset:372
	buffer_load_dword v163, off, s[0:3], 0 offset:380
	v_add_f32_e32 v2, v2, v131
	v_add_f32_e32 v3, v3, v128
	s_clause 0x1
	buffer_load_dword v131, off, s[0:3], 0 offset:388
	buffer_load_dword v164, off, s[0:3], 0 offset:396
	v_add_f32_e32 v2, v2, v132
	v_add_f32_e32 v3, v3, v130
	s_clause 0x1
	buffer_load_dword v132, off, s[0:3], 0 offset:404
	buffer_load_dword v165, off, s[0:3], 0 offset:412
	v_add_f32_e32 v2, v2, v134
	v_add_f32_e32 v3, v3, v135
	;; [unrolled: 1-line block ×3, first 2 shown]
	s_clause 0x3
	buffer_load_dword v130, off, s[0:3], 0 offset:376
	buffer_load_dword v134, off, s[0:3], 0 offset:368
	;; [unrolled: 1-line block ×4, first 2 shown]
	v_add_f32_e32 v3, v3, v137
	v_add_f32_e32 v2, v2, v139
	v_add_f32_e32 v3, v3, v136
	v_add_f32_e32 v2, v2, v140
	s_clause 0x3
	buffer_load_dword v136, off, s[0:3], 0 offset:408
	buffer_load_dword v137, off, s[0:3], 0 offset:400
	;; [unrolled: 1-line block ×4, first 2 shown]
	v_add_f32_e32 v3, v3, v138
	buffer_load_dword v138, off, s[0:3], 0 offset:32
	v_add_f32_e32 v2, v2, v142
	v_add_f32_e32 v3, v3, v149
	;; [unrolled: 1-line block ×4, first 2 shown]
	ds_read2_b64 v[2:5], v1 offset0:89 offset1:90
	v_add_f32_e32 v7, v7, v160
	v_add_f32_e32 v114, v114, v143
	;; [unrolled: 1-line block ×6, first 2 shown]
	ds_read2_b64 v[114:117], v1 offset0:91 offset1:92
	v_add_f32_e32 v7, v7, v159
	v_add_f32_e32 v120, v120, v151
	;; [unrolled: 1-line block ×8, first 2 shown]
	s_waitcnt vmcnt(27) lgkmcnt(1)
	v_mul_f32_e32 v142, v2, v118
	v_mul_f32_e32 v118, v3, v118
	v_fmac_f32_e32 v142, v3, v180
	v_add_f32_e32 v3, v120, v150
	v_fma_f32 v147, v2, v180, -v118
	v_add_f32_e32 v142, v152, v142
	v_add_f32_e32 v126, v3, v174
	s_waitcnt vmcnt(26)
	v_mul_f32_e32 v143, v4, v119
	v_add_f32_e32 v126, v126, v172
	v_mul_f32_e32 v119, v5, v119
	s_waitcnt vmcnt(25) lgkmcnt(0)
	v_mul_f32_e32 v149, v114, v8
	v_mul_f32_e32 v8, v115, v8
	v_add_f32_e32 v126, v126, v171
	v_fmac_f32_e32 v143, v5, v179
	v_fma_f32 v148, v4, v179, -v119
	ds_read2_b64 v[2:5], v1 offset0:93 offset1:94
	ds_read2_b64 v[118:121], v1 offset0:95 offset1:96
	v_fma_f32 v8, v114, v178, -v8
	v_add_f32_e32 v114, v126, v170
	s_waitcnt vmcnt(24)
	v_mul_f32_e32 v151, v117, v127
	v_mul_f32_e32 v150, v116, v127
	v_fmac_f32_e32 v149, v115, v178
	v_add_f32_e32 v142, v142, v143
	v_add_f32_e32 v157, v114, v182
	ds_read2_b64 v[122:125], v1 offset0:97 offset1:98
	ds_read2_b64 v[126:129], v1 offset0:99 offset1:100
	s_waitcnt vmcnt(20)
	v_fma_f32 v151, v116, v6, -v151
	v_fmac_f32_e32 v150, v117, v6
	v_add_f32_e32 v147, v157, v147
	v_add_f32_e32 v142, v142, v149
	ds_read2_b64 v[114:117], v1 offset0:101 offset1:102
	ds_read_b64 v[6:7], v1 offset:824
	v_add_f32_e32 v147, v147, v148
	v_add_f32_e32 v142, v142, v150
	s_waitcnt vmcnt(19) lgkmcnt(5)
	v_mul_f32_e32 v158, v2, v153
	v_mul_f32_e32 v153, v3, v153
	s_waitcnt vmcnt(18)
	v_mul_f32_e32 v159, v4, v154
	v_add_f32_e32 v8, v147, v8
	v_mul_f32_e32 v154, v5, v154
	v_fmac_f32_e32 v158, v3, v146
	v_fma_f32 v2, v2, v146, -v153
	s_waitcnt vmcnt(17) lgkmcnt(4)
	v_mul_f32_e32 v152, v118, v155
	v_add_f32_e32 v8, v8, v151
	v_mul_f32_e32 v151, v119, v155
	v_fma_f32 v4, v4, v145, -v154
	v_fmac_f32_e32 v159, v5, v145
	v_add_f32_e32 v5, v142, v158
	v_add_f32_e32 v2, v8, v2
	s_waitcnt vmcnt(16)
	v_mul_f32_e32 v8, v121, v133
	v_fma_f32 v118, v118, v144, -v151
	v_mul_f32_e32 v148, v120, v133
	v_fmac_f32_e32 v152, v119, v144
	v_add_f32_e32 v2, v2, v4
	v_add_f32_e32 v4, v5, v159
	s_waitcnt vmcnt(15) lgkmcnt(3)
	v_mul_f32_e32 v5, v123, v156
	v_mul_f32_e32 v157, v122, v156
	s_waitcnt vmcnt(14)
	v_mul_f32_e32 v143, v124, v161
	v_add_f32_e32 v2, v2, v118
	v_add_f32_e32 v4, v4, v152
	s_waitcnt vmcnt(5)
	v_fma_f32 v8, v120, v141, -v8
	v_fmac_f32_e32 v148, v121, v141
	v_mul_f32_e32 v118, v125, v161
	v_fma_f32 v5, v122, v135, -v5
	v_fmac_f32_e32 v157, v123, v135
	v_add_f32_e32 v2, v2, v8
	v_add_f32_e32 v4, v4, v148
	s_waitcnt lgkmcnt(2)
	v_mul_f32_e32 v8, v127, v163
	v_fma_f32 v118, v124, v134, -v118
	v_mul_f32_e32 v147, v126, v163
	v_add_f32_e32 v2, v2, v5
	v_fmac_f32_e32 v143, v125, v134
	v_add_f32_e32 v4, v4, v157
	v_mul_f32_e32 v5, v129, v131
	v_fma_f32 v8, v126, v130, -v8
	v_add_f32_e32 v2, v2, v118
	v_mul_f32_e32 v3, v128, v131
	v_fmac_f32_e32 v147, v127, v130
	v_add_f32_e32 v4, v4, v143
	s_waitcnt lgkmcnt(1)
	v_mul_f32_e32 v118, v115, v164
	s_waitcnt vmcnt(1)
	v_fma_f32 v5, v128, v140, -v5
	v_add_f32_e32 v2, v2, v8
	v_mul_f32_e32 v146, v114, v164
	v_fmac_f32_e32 v3, v129, v140
	v_add_f32_e32 v4, v4, v147
	v_mul_f32_e32 v8, v117, v132
	v_fma_f32 v114, v114, v139, -v118
	v_add_f32_e32 v2, v2, v5
	v_mul_f32_e32 v149, v116, v132
	v_fmac_f32_e32 v146, v115, v139
	v_add_f32_e32 v3, v4, v3
	s_waitcnt lgkmcnt(0)
	v_mul_f32_e32 v4, v7, v165
	v_fma_f32 v5, v116, v137, -v8
	v_add_f32_e32 v2, v2, v114
	v_mul_f32_e32 v150, v6, v165
	v_fmac_f32_e32 v149, v117, v137
	v_add_f32_e32 v3, v3, v146
	v_fma_f32 v4, v6, v136, -v4
	v_add_f32_e32 v2, v2, v5
	v_fmac_f32_e32 v150, v7, v136
	v_add_f32_e32 v3, v3, v149
	v_add_f32_e32 v2, v2, v4
	;; [unrolled: 1-line block ×3, first 2 shown]
	s_waitcnt vmcnt(0)
	v_sub_f32_e32 v2, v138, v2
	v_sub_f32_e32 v3, v162, v3
	buffer_store_dword v2, off, s[0:3], 0 offset:32
	buffer_store_dword v3, off, s[0:3], 0 offset:36
	v_cmpx_lt_u32_e32 3, v0
	s_cbranch_execz .LBB51_319
; %bb.318:
	s_clause 0x1
	buffer_load_dword v2, off, s[0:3], 0 offset:24
	buffer_load_dword v3, off, s[0:3], 0 offset:28
	buffer_store_dword v1, off, s[0:3], 0 offset:24
	buffer_store_dword v1, off, s[0:3], 0 offset:28
	s_waitcnt vmcnt(0)
	ds_write_b64 v113, v[2:3]
.LBB51_319:
	s_or_b32 exec_lo, exec_lo, s4
	s_waitcnt lgkmcnt(0)
	s_waitcnt_vscnt null, 0x0
	s_barrier
	buffer_gl0_inv
	s_clause 0x2c
	buffer_load_dword v144, off, s[0:3], 0 offset:36
	buffer_load_dword v145, off, s[0:3], 0 offset:44
	;; [unrolled: 1-line block ×45, first 2 shown]
	ds_read_b128 v[153:156], v1 offset:448
	ds_read_b128 v[157:160], v1 offset:464
	s_mov_b32 s4, exec_lo
	s_waitcnt vmcnt(44) lgkmcnt(1)
	v_mul_f32_e32 v146, v153, v144
	v_mul_f32_e32 v161, v154, v144
	s_waitcnt vmcnt(43)
	v_mul_f32_e32 v144, v155, v145
	v_mul_f32_e32 v162, v156, v145
	buffer_load_dword v145, off, s[0:3], 0 offset:28
	s_waitcnt vmcnt(41)
	v_fmac_f32_e32 v146, v154, v115
	v_fma_f32 v161, v153, v115, -v161
	v_fmac_f32_e32 v144, v156, v7
	v_fma_f32 v162, v155, v7, -v162
	ds_read_b128 v[153:156], v1 offset:480
	s_waitcnt vmcnt(40) lgkmcnt(1)
	v_mul_f32_e32 v163, v157, v4
	s_waitcnt vmcnt(39)
	v_mul_f32_e32 v164, v159, v5
	v_mul_f32_e32 v4, v158, v4
	;; [unrolled: 1-line block ×3, first 2 shown]
	v_fmac_f32_e32 v163, v158, v2
	s_waitcnt vmcnt(35)
	v_fmac_f32_e32 v164, v160, v118
	v_fma_f32 v165, v157, v2, -v4
	v_fma_f32 v118, v159, v118, -v5
	ds_read_b128 v[157:160], v1 offset:496
	s_waitcnt vmcnt(34) lgkmcnt(1)
	v_mul_f32_e32 v166, v153, v117
	s_waitcnt vmcnt(33)
	v_mul_f32_e32 v167, v155, v116
	v_mul_f32_e32 v4, v156, v116
	;; [unrolled: 1-line block ×3, first 2 shown]
	v_fmac_f32_e32 v166, v154, v114
	v_fmac_f32_e32 v167, v156, v6
	v_fma_f32 v154, v155, v6, -v4
	ds_read_b128 v[4:7], v1 offset:512
	v_fma_f32 v153, v153, v114, -v2
	s_waitcnt vmcnt(32) lgkmcnt(1)
	v_mul_f32_e32 v155, v157, v8
	v_mul_f32_e32 v2, v158, v8
	s_waitcnt vmcnt(31)
	v_mul_f32_e32 v8, v159, v119
	v_mul_f32_e32 v114, v160, v119
	v_fmac_f32_e32 v155, v158, v3
	v_fma_f32 v119, v157, v3, -v2
	s_waitcnt vmcnt(27)
	v_fmac_f32_e32 v8, v160, v127
	v_fma_f32 v127, v159, v127, -v114
	ds_read_b128 v[114:117], v1 offset:528
	buffer_load_dword v157, off, s[0:3], 0 offset:220
	s_waitcnt vmcnt(27) lgkmcnt(1)
	v_mul_f32_e32 v156, v4, v125
	v_mul_f32_e32 v2, v5, v125
	s_waitcnt vmcnt(26)
	v_mul_f32_e32 v3, v7, v124
	v_mul_f32_e32 v125, v6, v124
	v_fmac_f32_e32 v156, v5, v123
	v_fma_f32 v123, v4, v123, -v2
	v_fma_f32 v6, v6, v121, -v3
	ds_read_b128 v[2:5], v1 offset:544
	v_fmac_f32_e32 v125, v7, v121
	s_waitcnt vmcnt(25) lgkmcnt(1)
	v_mul_f32_e32 v7, v114, v122
	v_mul_f32_e32 v121, v115, v122
	s_waitcnt vmcnt(24)
	v_mul_f32_e32 v122, v116, v126
	v_mul_f32_e32 v124, v117, v126
	v_fmac_f32_e32 v7, v115, v120
	v_fma_f32 v120, v114, v120, -v121
	s_waitcnt vmcnt(20)
	v_fmac_f32_e32 v122, v117, v135
	v_fma_f32 v121, v116, v135, -v124
	ds_read_b128 v[114:117], v1 offset:560
	s_waitcnt vmcnt(19) lgkmcnt(1)
	v_mul_f32_e32 v124, v2, v133
	v_mul_f32_e32 v126, v3, v133
	s_waitcnt vmcnt(18)
	v_mul_f32_e32 v133, v4, v132
	v_mul_f32_e32 v132, v5, v132
	v_fmac_f32_e32 v124, v3, v131
	v_fma_f32 v126, v2, v131, -v126
	v_fmac_f32_e32 v133, v5, v129
	v_fma_f32 v129, v4, v129, -v132
	ds_read_b128 v[2:5], v1 offset:576
	s_waitcnt vmcnt(17) lgkmcnt(1)
	v_mul_f32_e32 v131, v114, v130
	v_mul_f32_e32 v130, v115, v130
	s_waitcnt vmcnt(16)
	v_mul_f32_e32 v132, v116, v134
	v_mul_f32_e32 v134, v117, v134
	v_fmac_f32_e32 v131, v115, v128
	v_fma_f32 v128, v114, v128, -v130
	s_waitcnt vmcnt(12)
	v_fmac_f32_e32 v132, v117, v143
	v_fma_f32 v130, v116, v143, -v134
	ds_read_b128 v[114:117], v1 offset:592
	buffer_load_dword v143, off, s[0:3], 0 offset:212
	s_waitcnt vmcnt(12) lgkmcnt(1)
	v_mul_f32_e32 v134, v2, v141
	v_mul_f32_e32 v135, v3, v141
	s_waitcnt vmcnt(11)
	v_mul_f32_e32 v141, v4, v140
	v_mul_f32_e32 v140, v5, v140
	v_fmac_f32_e32 v134, v3, v139
	v_fma_f32 v135, v2, v139, -v135
	v_fmac_f32_e32 v141, v5, v137
	v_fma_f32 v137, v4, v137, -v140
	ds_read_b128 v[2:5], v1 offset:608
	s_waitcnt vmcnt(10) lgkmcnt(1)
	v_mul_f32_e32 v139, v114, v138
	v_mul_f32_e32 v138, v115, v138
	s_waitcnt vmcnt(9)
	v_mul_f32_e32 v140, v116, v142
	v_mul_f32_e32 v142, v117, v142
	v_fmac_f32_e32 v139, v115, v136
	v_fma_f32 v136, v114, v136, -v138
	s_waitcnt vmcnt(5)
	v_fmac_f32_e32 v140, v117, v152
	v_fma_f32 v138, v116, v152, -v142
	ds_read_b128 v[114:117], v1 offset:624
	s_waitcnt vmcnt(4) lgkmcnt(1)
	v_mul_f32_e32 v142, v2, v151
	v_mul_f32_e32 v151, v3, v151
	s_waitcnt vmcnt(3)
	v_mul_f32_e32 v152, v4, v150
	v_mul_f32_e32 v150, v5, v150
	v_fmac_f32_e32 v142, v3, v149
	v_fma_f32 v149, v2, v149, -v151
	v_fmac_f32_e32 v152, v5, v148
	v_fma_f32 v148, v4, v148, -v150
	s_clause 0x4
	buffer_load_dword v150, off, s[0:3], 0 offset:240
	buffer_load_dword v151, off, s[0:3], 0 offset:232
	;; [unrolled: 1-line block ×5, first 2 shown]
	s_waitcnt vmcnt(5) lgkmcnt(0)
	v_mul_f32_e32 v160, v114, v143
	v_mul_f32_e32 v3, v115, v143
	v_fmac_f32_e32 v160, v115, v147
	v_fma_f32 v143, v114, v147, -v3
	v_mul_f32_e32 v147, v116, v157
	v_mul_f32_e32 v3, v117, v157
	s_waitcnt vmcnt(1)
	v_fmac_f32_e32 v147, v117, v2
	v_fma_f32 v157, v116, v2, -v3
	ds_read_b128 v[2:5], v1 offset:640
	ds_read_b128 v[114:117], v1 offset:656
	s_waitcnt vmcnt(0) lgkmcnt(1)
	v_mul_f32_e32 v168, v2, v159
	v_mul_f32_e32 v159, v3, v159
	v_fmac_f32_e32 v168, v3, v158
	v_fma_f32 v158, v2, v158, -v159
	buffer_load_dword v2, off, s[0:3], 0 offset:236
	s_waitcnt vmcnt(0)
	v_mul_f32_e32 v159, v4, v2
	v_mul_f32_e32 v2, v5, v2
	v_fmac_f32_e32 v159, v5, v151
	v_fma_f32 v151, v4, v151, -v2
	buffer_load_dword v2, off, s[0:3], 0 offset:244
	s_waitcnt vmcnt(0) lgkmcnt(0)
	v_mul_f32_e32 v169, v114, v2
	v_mul_f32_e32 v2, v115, v2
	v_fmac_f32_e32 v169, v115, v150
	v_fma_f32 v150, v114, v150, -v2
	s_clause 0x5
	buffer_load_dword v2, off, s[0:3], 0 offset:252
	buffer_load_dword v170, off, s[0:3], 0 offset:272
	;; [unrolled: 1-line block ×6, first 2 shown]
	s_waitcnt vmcnt(5)
	v_mul_f32_e32 v173, v116, v2
	v_mul_f32_e32 v2, v117, v2
	s_waitcnt vmcnt(1)
	v_fmac_f32_e32 v173, v117, v3
	v_fma_f32 v174, v116, v3, -v2
	ds_read_b128 v[2:5], v1 offset:672
	ds_read_b128 v[114:117], v1 offset:688
	s_waitcnt vmcnt(0) lgkmcnt(1)
	v_mul_f32_e32 v176, v2, v175
	v_mul_f32_e32 v175, v3, v175
	v_fmac_f32_e32 v176, v3, v172
	v_fma_f32 v172, v2, v172, -v175
	buffer_load_dword v2, off, s[0:3], 0 offset:268
	v_add_f32_e32 v3, 0, v161
	v_add_f32_e32 v3, v3, v162
	;; [unrolled: 1-line block ×22, first 2 shown]
	s_waitcnt vmcnt(0)
	v_mul_f32_e32 v175, v4, v2
	v_mul_f32_e32 v2, v5, v2
	v_fmac_f32_e32 v175, v5, v171
	v_fma_f32 v171, v4, v171, -v2
	s_clause 0x1
	buffer_load_dword v4, off, s[0:3], 0 offset:276
	buffer_load_dword v5, off, s[0:3], 0 offset:284
	v_add_f32_e32 v2, 0, v146
	v_add_f32_e32 v2, v2, v144
	;; [unrolled: 1-line block ×8, first 2 shown]
	s_clause 0x6
	buffer_load_dword v8, off, s[0:3], 0 offset:304
	buffer_load_dword v118, off, s[0:3], 0 offset:296
	;; [unrolled: 1-line block ×7, first 2 shown]
	v_add_f32_e32 v2, v2, v156
	v_add_f32_e32 v2, v2, v125
	;; [unrolled: 1-line block ×3, first 2 shown]
	buffer_load_dword v7, off, s[0:3], 0 offset:316
	v_add_f32_e32 v2, v2, v122
	s_clause 0x7
	buffer_load_dword v153, off, s[0:3], 0 offset:336
	buffer_load_dword v154, off, s[0:3], 0 offset:328
	;; [unrolled: 1-line block ×8, first 2 shown]
	v_add_f32_e32 v2, v2, v124
	s_clause 0x2
	buffer_load_dword v164, off, s[0:3], 0 offset:356
	buffer_load_dword v165, off, s[0:3], 0 offset:364
	;; [unrolled: 1-line block ×3, first 2 shown]
	v_add_f32_e32 v2, v2, v133
	v_add_f32_e32 v2, v2, v131
	;; [unrolled: 1-line block ×9, first 2 shown]
	s_waitcnt vmcnt(20) lgkmcnt(0)
	v_mul_f32_e32 v125, v114, v4
	v_mul_f32_e32 v4, v115, v4
	s_waitcnt vmcnt(19)
	v_mul_f32_e32 v126, v116, v5
	v_fmac_f32_e32 v125, v115, v170
	v_fma_f32 v146, v114, v170, -v4
	s_clause 0xe
	buffer_load_dword v167, off, s[0:3], 0 offset:380
	buffer_load_dword v170, off, s[0:3], 0 offset:388
	;; [unrolled: 1-line block ×15, first 2 shown]
	v_mul_f32_e32 v4, v117, v5
	v_add_f32_e32 v114, v2, v160
	v_add_f32_e32 v115, v3, v143
	;; [unrolled: 1-line block ×8, first 2 shown]
	s_waitcnt vmcnt(30)
	v_fma_f32 v133, v116, v127, -v4
	ds_read_b128 v[2:5], v1 offset:704
	v_fmac_f32_e32 v126, v117, v127
	ds_read_b128 v[114:117], v1 offset:720
	s_waitcnt vmcnt(29) lgkmcnt(1)
	v_mul_f32_e32 v130, v2, v144
	v_mul_f32_e32 v124, v3, v144
	s_waitcnt vmcnt(28)
	v_mul_f32_e32 v143, v4, v123
	v_mul_f32_e32 v123, v5, v123
	s_waitcnt vmcnt(27) lgkmcnt(0)
	v_mul_f32_e32 v148, v114, v6
	v_fmac_f32_e32 v130, v3, v119
	v_fma_f32 v144, v2, v119, -v124
	v_add_f32_e32 v119, v120, v169
	v_fma_f32 v147, v4, v118, -v123
	v_add_f32_e32 v123, v121, v150
	v_fmac_f32_e32 v143, v5, v118
	ds_read_b128 v[2:5], v1 offset:736
	v_add_f32_e32 v124, v119, v173
	v_mul_f32_e32 v6, v115, v6
	v_add_f32_e32 v123, v123, v174
	v_fmac_f32_e32 v148, v115, v8
	ds_read_b128 v[118:121], v1 offset:752
	v_add_f32_e32 v124, v124, v176
	v_fma_f32 v6, v114, v8, -v6
	v_add_f32_e32 v123, v123, v172
	s_waitcnt vmcnt(26)
	v_mul_f32_e32 v150, v116, v7
	v_mul_f32_e32 v7, v117, v7
	v_add_f32_e32 v115, v124, v175
	v_add_f32_e32 v8, v123, v171
	s_waitcnt vmcnt(22)
	v_fmac_f32_e32 v150, v117, v122
	v_fma_f32 v7, v116, v122, -v7
	v_add_f32_e32 v127, v115, v125
	ds_read_b128 v[114:117], v1 offset:768
	ds_read_b128 v[122:125], v1 offset:784
	v_add_f32_e32 v8, v8, v146
	s_waitcnt vmcnt(21) lgkmcnt(3)
	v_mul_f32_e32 v146, v2, v156
	v_mul_f32_e32 v131, v3, v156
	v_add_f32_e32 v132, v127, v126
	v_add_f32_e32 v8, v8, v133
	ds_read_b128 v[126:129], v1 offset:800
	v_fmac_f32_e32 v146, v3, v155
	v_fma_f32 v2, v2, v155, -v131
	v_add_f32_e32 v3, v132, v130
	ds_read_b128 v[130:133], v1 offset:816
	v_add_f32_e32 v1, v8, v144
	s_waitcnt vmcnt(20)
	v_mul_f32_e32 v144, v5, v161
	v_mul_f32_e32 v8, v4, v161
	v_add_f32_e32 v3, v3, v143
	s_waitcnt vmcnt(19) lgkmcnt(4)
	v_mul_f32_e32 v151, v119, v162
	v_add_f32_e32 v1, v1, v147
	v_fma_f32 v4, v4, v154, -v144
	v_mul_f32_e32 v143, v118, v162
	v_add_f32_e32 v3, v3, v148
	v_fmac_f32_e32 v8, v5, v154
	v_add_f32_e32 v1, v1, v6
	v_fma_f32 v118, v118, v153, -v151
	s_waitcnt vmcnt(18)
	v_mul_f32_e32 v147, v120, v163
	v_add_f32_e32 v3, v3, v150
	v_fmac_f32_e32 v143, v119, v153
	v_add_f32_e32 v1, v1, v7
	v_mul_f32_e32 v7, v121, v163
	s_waitcnt vmcnt(17) lgkmcnt(3)
	v_mul_f32_e32 v5, v114, v164
	s_waitcnt vmcnt(16)
	v_mul_f32_e32 v144, v116, v165
	s_waitcnt vmcnt(15) lgkmcnt(2)
	v_mul_f32_e32 v6, v122, v166
	v_add_f32_e32 v1, v1, v2
	v_add_f32_e32 v2, v3, v146
	;; [unrolled: 1-line block ×4, first 2 shown]
	v_mul_f32_e32 v4, v115, v164
	v_mul_f32_e32 v8, v117, v165
	v_add_f32_e32 v1, v1, v118
	v_add_f32_e32 v2, v2, v143
	s_waitcnt vmcnt(14)
	v_mul_f32_e32 v148, v124, v167
	s_waitcnt vmcnt(13) lgkmcnt(1)
	v_mul_f32_e32 v152, v126, v170
	s_waitcnt vmcnt(9)
	v_fmac_f32_e32 v6, v123, v135
	s_waitcnt vmcnt(8)
	v_fma_f32 v8, v116, v137, -v8
	s_waitcnt vmcnt(7)
	v_fma_f32 v4, v114, v141, -v4
	;; [unrolled: 2-line block ×3, first 2 shown]
	v_fmac_f32_e32 v147, v121, v179
	v_fmac_f32_e32 v5, v115, v141
	;; [unrolled: 1-line block ×3, first 2 shown]
	s_waitcnt vmcnt(2)
	v_fmac_f32_e32 v148, v125, v140
	v_add_f32_e32 v1, v1, v7
	v_add_f32_e32 v2, v2, v147
	v_mul_f32_e32 v7, v123, v166
	v_mul_f32_e32 v150, v128, v177
	v_fmac_f32_e32 v152, v127, v139
	v_add_f32_e32 v1, v1, v4
	v_add_f32_e32 v2, v2, v5
	v_mul_f32_e32 v4, v125, v167
	v_fma_f32 v5, v122, v135, -v7
	v_mul_f32_e32 v7, v127, v170
	v_add_f32_e32 v1, v1, v8
	v_add_f32_e32 v2, v2, v144
	v_fma_f32 v4, v124, v140, -v4
	s_waitcnt lgkmcnt(0)
	v_mul_f32_e32 v154, v130, v178
	v_fmac_f32_e32 v150, v129, v138
	v_add_f32_e32 v1, v1, v5
	v_add_f32_e32 v2, v2, v6
	v_mul_f32_e32 v5, v129, v177
	v_fma_f32 v6, v126, v139, -v7
	v_mul_f32_e32 v3, v132, v134
	v_add_f32_e32 v1, v1, v4
	v_add_f32_e32 v2, v2, v148
	v_mul_f32_e32 v4, v131, v178
	v_fma_f32 v5, v128, v138, -v5
	v_fmac_f32_e32 v154, v131, v136
	v_add_f32_e32 v1, v1, v6
	v_add_f32_e32 v2, v2, v152
	v_mul_f32_e32 v6, v133, v134
	v_fma_f32 v4, v130, v136, -v4
	s_waitcnt vmcnt(1)
	v_fmac_f32_e32 v3, v133, v142
	v_add_f32_e32 v1, v1, v5
	v_add_f32_e32 v2, v2, v150
	v_fma_f32 v5, v132, v142, -v6
	v_add_f32_e32 v1, v1, v4
	v_add_f32_e32 v2, v2, v154
	;; [unrolled: 1-line block ×4, first 2 shown]
	s_waitcnt vmcnt(0)
	v_sub_f32_e32 v1, v149, v1
	v_sub_f32_e32 v2, v145, v2
	buffer_store_dword v1, off, s[0:3], 0 offset:24
	buffer_store_dword v2, off, s[0:3], 0 offset:28
	v_cmpx_lt_u32_e32 2, v0
	s_cbranch_execz .LBB51_321
; %bb.320:
	s_clause 0x1
	buffer_load_dword v1, off, s[0:3], 0 offset:16
	buffer_load_dword v2, off, s[0:3], 0 offset:20
	v_mov_b32_e32 v3, 0
	buffer_store_dword v3, off, s[0:3], 0 offset:16
	buffer_store_dword v3, off, s[0:3], 0 offset:20
	s_waitcnt vmcnt(0)
	ds_write_b64 v113, v[1:2]
.LBB51_321:
	s_or_b32 exec_lo, exec_lo, s4
	s_waitcnt lgkmcnt(0)
	s_waitcnt_vscnt null, 0x0
	s_barrier
	buffer_gl0_inv
	s_clause 0x2c
	buffer_load_dword v144, off, s[0:3], 0 offset:28
	buffer_load_dword v145, off, s[0:3], 0 offset:36
	;; [unrolled: 1-line block ×45, first 2 shown]
	v_mov_b32_e32 v1, 0
	ds_read2_b64 v[153:156], v1 offset0:55 offset1:56
	ds_read2_b64 v[157:160], v1 offset0:57 offset1:58
	s_mov_b32 s4, exec_lo
	s_waitcnt vmcnt(44) lgkmcnt(1)
	v_mul_f32_e32 v146, v153, v144
	v_mul_f32_e32 v161, v154, v144
	s_waitcnt vmcnt(43)
	v_mul_f32_e32 v144, v155, v145
	v_mul_f32_e32 v162, v156, v145
	buffer_load_dword v145, off, s[0:3], 0 offset:20
	s_waitcnt vmcnt(41)
	v_fmac_f32_e32 v146, v154, v115
	v_fma_f32 v161, v153, v115, -v161
	v_fmac_f32_e32 v144, v156, v7
	v_fma_f32 v162, v155, v7, -v162
	ds_read2_b64 v[153:156], v1 offset0:59 offset1:60
	s_waitcnt vmcnt(40) lgkmcnt(1)
	v_mul_f32_e32 v163, v157, v4
	s_waitcnt vmcnt(39)
	v_mul_f32_e32 v164, v159, v5
	v_mul_f32_e32 v4, v158, v4
	;; [unrolled: 1-line block ×3, first 2 shown]
	v_fmac_f32_e32 v163, v158, v2
	s_waitcnt vmcnt(35)
	v_fmac_f32_e32 v164, v160, v118
	v_fma_f32 v165, v157, v2, -v4
	v_fma_f32 v118, v159, v118, -v5
	ds_read2_b64 v[157:160], v1 offset0:61 offset1:62
	s_waitcnt vmcnt(34) lgkmcnt(1)
	v_mul_f32_e32 v166, v153, v117
	s_waitcnt vmcnt(33)
	v_mul_f32_e32 v167, v155, v116
	v_mul_f32_e32 v4, v156, v116
	;; [unrolled: 1-line block ×3, first 2 shown]
	v_fmac_f32_e32 v166, v154, v114
	v_fmac_f32_e32 v167, v156, v6
	v_fma_f32 v154, v155, v6, -v4
	ds_read2_b64 v[4:7], v1 offset0:63 offset1:64
	v_fma_f32 v153, v153, v114, -v2
	s_waitcnt vmcnt(32) lgkmcnt(1)
	v_mul_f32_e32 v155, v157, v8
	v_mul_f32_e32 v2, v158, v8
	s_waitcnt vmcnt(31)
	v_mul_f32_e32 v8, v159, v119
	v_mul_f32_e32 v114, v160, v119
	v_fmac_f32_e32 v155, v158, v3
	v_fma_f32 v119, v157, v3, -v2
	s_waitcnt vmcnt(27)
	v_fmac_f32_e32 v8, v160, v127
	v_fma_f32 v127, v159, v127, -v114
	ds_read2_b64 v[114:117], v1 offset0:65 offset1:66
	buffer_load_dword v157, off, s[0:3], 0 offset:212
	s_waitcnt vmcnt(27) lgkmcnt(1)
	v_mul_f32_e32 v156, v4, v125
	v_mul_f32_e32 v2, v5, v125
	s_waitcnt vmcnt(26)
	v_mul_f32_e32 v3, v7, v124
	v_mul_f32_e32 v125, v6, v124
	v_fmac_f32_e32 v156, v5, v123
	v_fma_f32 v123, v4, v123, -v2
	v_fma_f32 v6, v6, v121, -v3
	ds_read2_b64 v[2:5], v1 offset0:67 offset1:68
	v_fmac_f32_e32 v125, v7, v121
	s_waitcnt vmcnt(25) lgkmcnt(1)
	v_mul_f32_e32 v7, v114, v122
	v_mul_f32_e32 v121, v115, v122
	s_waitcnt vmcnt(24)
	v_mul_f32_e32 v122, v116, v126
	v_mul_f32_e32 v124, v117, v126
	v_fmac_f32_e32 v7, v115, v120
	v_fma_f32 v120, v114, v120, -v121
	s_waitcnt vmcnt(20)
	v_fmac_f32_e32 v122, v117, v135
	v_fma_f32 v121, v116, v135, -v124
	ds_read2_b64 v[114:117], v1 offset0:69 offset1:70
	s_waitcnt vmcnt(19) lgkmcnt(1)
	v_mul_f32_e32 v124, v2, v133
	v_mul_f32_e32 v126, v3, v133
	s_waitcnt vmcnt(18)
	v_mul_f32_e32 v133, v4, v132
	v_mul_f32_e32 v132, v5, v132
	v_fmac_f32_e32 v124, v3, v131
	v_fma_f32 v126, v2, v131, -v126
	v_fmac_f32_e32 v133, v5, v129
	v_fma_f32 v129, v4, v129, -v132
	ds_read2_b64 v[2:5], v1 offset0:71 offset1:72
	s_waitcnt vmcnt(17) lgkmcnt(1)
	v_mul_f32_e32 v131, v114, v130
	v_mul_f32_e32 v130, v115, v130
	s_waitcnt vmcnt(16)
	v_mul_f32_e32 v132, v116, v134
	v_mul_f32_e32 v134, v117, v134
	v_fmac_f32_e32 v131, v115, v128
	v_fma_f32 v128, v114, v128, -v130
	s_waitcnt vmcnt(12)
	v_fmac_f32_e32 v132, v117, v142
	v_fma_f32 v130, v116, v142, -v134
	ds_read2_b64 v[114:117], v1 offset0:73 offset1:74
	s_waitcnt vmcnt(11) lgkmcnt(1)
	v_mul_f32_e32 v134, v2, v141
	v_mul_f32_e32 v135, v3, v141
	s_waitcnt vmcnt(10)
	v_mul_f32_e32 v141, v4, v140
	v_mul_f32_e32 v140, v5, v140
	v_fmac_f32_e32 v134, v3, v139
	v_fma_f32 v135, v2, v139, -v135
	v_fmac_f32_e32 v141, v5, v137
	v_fma_f32 v137, v4, v137, -v140
	ds_read2_b64 v[2:5], v1 offset0:75 offset1:76
	s_waitcnt vmcnt(8) lgkmcnt(1)
	v_mul_f32_e32 v140, v116, v143
	v_mul_f32_e32 v142, v117, v143
	buffer_load_dword v143, off, s[0:3], 0 offset:204
	v_mul_f32_e32 v139, v114, v138
	v_mul_f32_e32 v138, v115, v138
	s_waitcnt vmcnt(5)
	v_fmac_f32_e32 v140, v117, v152
	v_fmac_f32_e32 v139, v115, v136
	v_fma_f32 v136, v114, v136, -v138
	v_fma_f32 v138, v116, v152, -v142
	ds_read2_b64 v[114:117], v1 offset0:77 offset1:78
	s_waitcnt vmcnt(4) lgkmcnt(1)
	v_mul_f32_e32 v142, v2, v151
	v_mul_f32_e32 v151, v3, v151
	s_waitcnt vmcnt(3)
	v_mul_f32_e32 v152, v4, v150
	v_mul_f32_e32 v150, v5, v150
	v_fmac_f32_e32 v142, v3, v149
	v_fma_f32 v149, v2, v149, -v151
	v_fmac_f32_e32 v152, v5, v148
	v_fma_f32 v148, v4, v148, -v150
	s_clause 0x4
	buffer_load_dword v150, off, s[0:3], 0 offset:232
	buffer_load_dword v151, off, s[0:3], 0 offset:224
	;; [unrolled: 1-line block ×5, first 2 shown]
	s_waitcnt vmcnt(5) lgkmcnt(0)
	v_mul_f32_e32 v160, v114, v143
	v_mul_f32_e32 v3, v115, v143
	v_fmac_f32_e32 v160, v115, v147
	v_fma_f32 v143, v114, v147, -v3
	v_mul_f32_e32 v147, v116, v157
	v_mul_f32_e32 v3, v117, v157
	s_waitcnt vmcnt(1)
	v_fmac_f32_e32 v147, v117, v2
	v_fma_f32 v157, v116, v2, -v3
	ds_read2_b64 v[2:5], v1 offset0:79 offset1:80
	ds_read2_b64 v[114:117], v1 offset0:81 offset1:82
	s_waitcnt vmcnt(0) lgkmcnt(1)
	v_mul_f32_e32 v168, v2, v159
	v_mul_f32_e32 v159, v3, v159
	v_fmac_f32_e32 v168, v3, v158
	v_fma_f32 v158, v2, v158, -v159
	s_clause 0x1
	buffer_load_dword v2, off, s[0:3], 0 offset:228
	buffer_load_dword v3, off, s[0:3], 0 offset:236
	s_waitcnt vmcnt(1)
	v_mul_f32_e32 v159, v4, v2
	v_mul_f32_e32 v2, v5, v2
	v_fmac_f32_e32 v159, v5, v151
	v_fma_f32 v151, v4, v151, -v2
	v_add_f32_e32 v4, 0, v161
	v_add_f32_e32 v2, 0, v146
	;; [unrolled: 1-line block ×4, first 2 shown]
	buffer_load_dword v144, off, s[0:3], 0 offset:244
	v_add_f32_e32 v4, v4, v165
	v_add_f32_e32 v2, v2, v163
	;; [unrolled: 1-line block ×3, first 2 shown]
	s_clause 0x4
	buffer_load_dword v118, off, s[0:3], 0 offset:264
	buffer_load_dword v146, off, s[0:3], 0 offset:256
	;; [unrolled: 1-line block ×5, first 2 shown]
	v_add_f32_e32 v2, v2, v164
	buffer_load_dword v164, off, s[0:3], 0 offset:268
	v_add_f32_e32 v4, v4, v153
	buffer_load_dword v153, off, s[0:3], 0 offset:260
	v_add_f32_e32 v2, v2, v166
	v_add_f32_e32 v4, v4, v154
	buffer_load_dword v154, off, s[0:3], 0 offset:276
	v_add_f32_e32 v2, v2, v167
	v_add_f32_e32 v4, v4, v119
	;; [unrolled: 1-line block ×5, first 2 shown]
	s_clause 0x3
	buffer_load_dword v8, off, s[0:3], 0 offset:296
	buffer_load_dword v119, off, s[0:3], 0 offset:288
	;; [unrolled: 1-line block ×4, first 2 shown]
	v_add_f32_e32 v4, v4, v123
	s_waitcnt vmcnt(13) lgkmcnt(0)
	v_mul_f32_e32 v123, v114, v3
	v_mul_f32_e32 v3, v115, v3
	v_add_f32_e32 v2, v2, v156
	buffer_load_dword v156, off, s[0:3], 0 offset:284
	v_add_f32_e32 v6, v4, v6
	v_fmac_f32_e32 v123, v115, v150
	v_add_f32_e32 v2, v2, v125
	v_fma_f32 v125, v114, v150, -v3
	v_add_f32_e32 v6, v6, v120
	buffer_load_dword v120, off, s[0:3], 0 offset:292
	v_add_f32_e32 v7, v2, v7
	ds_read2_b64 v[2:5], v1 offset0:83 offset1:84
	v_add_f32_e32 v6, v6, v121
	buffer_load_dword v121, off, s[0:3], 0 offset:300
	v_add_f32_e32 v7, v7, v122
	v_add_f32_e32 v6, v6, v126
	v_add_f32_e32 v7, v7, v124
	buffer_load_dword v124, off, s[0:3], 0 offset:308
	v_add_f32_e32 v6, v6, v129
	v_add_f32_e32 v7, v7, v133
	;; [unrolled: 1-line block ×3, first 2 shown]
	s_waitcnt vmcnt(16)
	v_mul_f32_e32 v122, v116, v144
	v_mul_f32_e32 v114, v117, v144
	s_waitcnt vmcnt(12)
	v_fmac_f32_e32 v122, v117, v162
	v_fma_f32 v144, v116, v162, -v114
	ds_read2_b64 v[114:117], v1 offset0:85 offset1:86
	s_waitcnt vmcnt(11) lgkmcnt(1)
	v_mul_f32_e32 v133, v3, v163
	v_mul_f32_e32 v126, v2, v163
	s_clause 0x3
	buffer_load_dword v131, off, s[0:3], 0 offset:328
	buffer_load_dword v150, off, s[0:3], 0 offset:320
	buffer_load_dword v129, off, s[0:3], 0 offset:312
	buffer_load_dword v162, off, s[0:3], 0 offset:304
	v_fma_f32 v133, v2, v161, -v133
	v_add_f32_e32 v2, v6, v128
	s_clause 0x1
	buffer_load_dword v6, off, s[0:3], 0 offset:316
	buffer_load_dword v128, off, s[0:3], 0 offset:324
	v_fmac_f32_e32 v126, v3, v161
	v_add_f32_e32 v3, v7, v132
	s_waitcnt vmcnt(15)
	v_mul_f32_e32 v7, v4, v153
	v_add_f32_e32 v2, v2, v130
	buffer_load_dword v130, off, s[0:3], 0 offset:332
	v_mul_f32_e32 v132, v5, v153
	v_add_f32_e32 v3, v3, v134
	v_fmac_f32_e32 v7, v5, v146
	v_add_f32_e32 v134, v2, v135
	v_fma_f32 v132, v4, v146, -v132
	v_add_f32_e32 v141, v3, v141
	s_waitcnt lgkmcnt(0)
	v_mul_f32_e32 v163, v115, v164
	v_add_f32_e32 v134, v134, v137
	v_mul_f32_e32 v137, v114, v164
	s_clause 0x3
	buffer_load_dword v135, off, s[0:3], 0 offset:340
	buffer_load_dword v146, off, s[0:3], 0 offset:348
	;; [unrolled: 1-line block ×4, first 2 shown]
	v_add_f32_e32 v139, v141, v139
	ds_read2_b64 v[2:5], v1 offset0:87 offset1:88
	v_add_f32_e32 v134, v134, v136
	s_waitcnt vmcnt(19)
	v_mul_f32_e32 v141, v116, v154
	v_mul_f32_e32 v136, v117, v154
	v_fma_f32 v154, v114, v118, -v163
	v_add_f32_e32 v114, v139, v140
	v_fmac_f32_e32 v137, v115, v118
	v_add_f32_e32 v115, v134, v138
	s_clause 0x3
	buffer_load_dword v134, off, s[0:3], 0 offset:372
	buffer_load_dword v138, off, s[0:3], 0 offset:380
	;; [unrolled: 1-line block ×4, first 2 shown]
	s_waitcnt vmcnt(19)
	v_fmac_f32_e32 v141, v117, v155
	v_add_f32_e32 v114, v114, v142
	v_fma_f32 v136, v116, v155, -v136
	buffer_load_dword v155, off, s[0:3], 0 offset:404
	v_add_f32_e32 v115, v115, v149
	s_clause 0x4
	buffer_load_dword v142, off, s[0:3], 0 offset:360
	buffer_load_dword v149, off, s[0:3], 0 offset:352
	;; [unrolled: 1-line block ×5, first 2 shown]
	v_add_f32_e32 v114, v114, v152
	v_add_f32_e32 v118, v115, v148
	;; [unrolled: 1-line block ×3, first 2 shown]
	s_waitcnt vmcnt(24) lgkmcnt(0)
	v_mul_f32_e32 v152, v3, v156
	ds_read2_b64 v[114:117], v1 offset0:89 offset1:90
	v_add_f32_e32 v118, v118, v143
	v_mul_f32_e32 v143, v2, v156
	v_add_f32_e32 v147, v148, v147
	v_fmac_f32_e32 v143, v3, v127
	v_fma_f32 v127, v2, v127, -v152
	v_add_f32_e32 v3, v147, v168
	s_clause 0x3
	buffer_load_dword v147, off, s[0:3], 0 offset:392
	buffer_load_dword v148, off, s[0:3], 0 offset:384
	buffer_load_dword v152, off, s[0:3], 0 offset:376
	buffer_load_dword v156, off, s[0:3], 0 offset:368
	v_add_f32_e32 v2, v118, v157
	v_add_f32_e32 v3, v3, v159
	s_waitcnt vmcnt(27)
	v_mul_f32_e32 v159, v4, v120
	v_add_f32_e32 v2, v2, v158
	s_clause 0x1
	buffer_load_dword v157, off, s[0:3], 0 offset:408
	buffer_load_dword v158, off, s[0:3], 0 offset:400
	v_add_f32_e32 v118, v3, v123
	v_mul_f32_e32 v3, v5, v120
	v_add_f32_e32 v2, v2, v151
	buffer_load_dword v151, off, s[0:3], 0 offset:16
	v_fmac_f32_e32 v159, v5, v119
	v_add_f32_e32 v118, v118, v122
	v_fma_f32 v160, v4, v119, -v3
	v_add_f32_e32 v120, v2, v125
	ds_read2_b64 v[2:5], v1 offset0:91 offset1:92
	s_waitcnt vmcnt(29) lgkmcnt(1)
	v_mul_f32_e32 v122, v115, v121
	v_add_f32_e32 v123, v118, v126
	s_waitcnt vmcnt(28)
	v_mul_f32_e32 v166, v116, v124
	v_add_f32_e32 v119, v120, v144
	v_mul_f32_e32 v144, v114, v121
	v_mul_f32_e32 v124, v117, v124
	v_add_f32_e32 v7, v123, v7
	v_add_f32_e32 v125, v119, v133
	ds_read2_b64 v[118:121], v1 offset0:93 offset1:94
	v_fmac_f32_e32 v144, v115, v8
	v_add_f32_e32 v7, v7, v137
	v_fma_f32 v8, v114, v8, -v122
	v_add_f32_e32 v126, v125, v132
	v_add_f32_e32 v126, v126, v154
	;; [unrolled: 1-line block ×3, first 2 shown]
	s_waitcnt vmcnt(24)
	v_fma_f32 v132, v116, v162, -v124
	v_fmac_f32_e32 v166, v117, v162
	ds_read2_b64 v[114:117], v1 offset0:95 offset1:96
	ds_read2_b64 v[122:125], v1 offset0:97 offset1:98
	s_waitcnt vmcnt(23) lgkmcnt(3)
	v_mul_f32_e32 v133, v2, v6
	v_mul_f32_e32 v6, v3, v6
	s_waitcnt vmcnt(22)
	v_mul_f32_e32 v137, v4, v128
	v_mul_f32_e32 v136, v5, v128
	v_fmac_f32_e32 v133, v3, v129
	v_fma_f32 v154, v2, v129, -v6
	v_add_f32_e32 v2, v7, v141
	v_add_f32_e32 v6, v126, v127
	v_fmac_f32_e32 v137, v5, v150
	v_fma_f32 v136, v4, v150, -v136
	s_waitcnt vmcnt(21) lgkmcnt(2)
	v_mul_f32_e32 v150, v118, v130
	v_add_f32_e32 v141, v2, v143
	v_add_f32_e32 v143, v6, v160
	v_mul_f32_e32 v130, v119, v130
	ds_read2_b64 v[126:129], v1 offset0:99 offset1:100
	ds_read2_b64 v[2:5], v1 offset0:101 offset1:102
	v_add_f32_e32 v141, v141, v159
	v_add_f32_e32 v8, v143, v8
	v_fma_f32 v118, v118, v131, -v130
	s_waitcnt vmcnt(20)
	v_mul_f32_e32 v159, v120, v135
	v_mul_f32_e32 v135, v121, v135
	v_add_f32_e32 v141, v141, v144
	v_add_f32_e32 v8, v8, v132
	v_fmac_f32_e32 v150, v119, v131
	s_waitcnt vmcnt(19) lgkmcnt(3)
	v_mul_f32_e32 v143, v114, v146
	s_waitcnt vmcnt(18)
	v_mul_f32_e32 v132, v116, v153
	v_add_f32_e32 v141, v141, v166
	v_add_f32_e32 v8, v8, v154
	s_waitcnt vmcnt(17) lgkmcnt(2)
	v_mul_f32_e32 v144, v122, v161
	s_waitcnt vmcnt(16)
	v_mul_f32_e32 v160, v124, v134
	s_waitcnt vmcnt(9)
	v_fmac_f32_e32 v143, v115, v163
	v_add_f32_e32 v130, v141, v133
	v_add_f32_e32 v8, v8, v136
	v_mul_f32_e32 v136, v115, v146
	s_waitcnt vmcnt(8)
	v_fma_f32 v120, v120, v164, -v135
	v_fmac_f32_e32 v159, v121, v164
	v_add_f32_e32 v130, v130, v137
	v_add_f32_e32 v8, v8, v118
	v_mul_f32_e32 v121, v117, v153
	v_fma_f32 v114, v114, v163, -v136
	v_fmac_f32_e32 v132, v117, v149
	v_add_f32_e32 v118, v130, v150
	v_add_f32_e32 v8, v8, v120
	v_fma_f32 v116, v116, v149, -v121
	v_fmac_f32_e32 v144, v123, v142
	ds_read_b64 v[6:7], v1 offset:824
	v_add_f32_e32 v115, v118, v159
	v_mul_f32_e32 v118, v123, v161
	v_add_f32_e32 v8, v8, v114
	s_waitcnt lgkmcnt(2)
	v_mul_f32_e32 v154, v126, v138
	s_waitcnt vmcnt(3)
	v_fmac_f32_e32 v160, v125, v156
	v_add_f32_e32 v114, v115, v143
	v_mul_f32_e32 v115, v125, v134
	v_fma_f32 v117, v122, v142, -v118
	v_add_f32_e32 v8, v8, v116
	v_mul_f32_e32 v116, v127, v138
	v_add_f32_e32 v114, v114, v132
	v_fma_f32 v115, v124, v156, -v115
	v_mul_f32_e32 v119, v128, v139
	v_add_f32_e32 v8, v8, v117
	v_mul_f32_e32 v117, v129, v139
	v_add_f32_e32 v114, v114, v144
	v_fma_f32 v116, v126, v152, -v116
	v_fmac_f32_e32 v154, v127, v152
	v_add_f32_e32 v8, v8, v115
	s_waitcnt lgkmcnt(1)
	v_mul_f32_e32 v131, v2, v140
	v_add_f32_e32 v114, v114, v160
	v_mul_f32_e32 v115, v3, v140
	v_fma_f32 v117, v128, v148, -v117
	v_add_f32_e32 v8, v8, v116
	v_fmac_f32_e32 v119, v129, v148
	v_add_f32_e32 v114, v114, v154
	v_mul_f32_e32 v116, v5, v155
	v_fmac_f32_e32 v131, v3, v147
	v_fma_f32 v2, v2, v147, -v115
	v_add_f32_e32 v3, v8, v117
	v_mul_f32_e32 v133, v4, v155
	v_add_f32_e32 v8, v114, v119
	s_waitcnt lgkmcnt(0)
	v_mul_f32_e32 v114, v7, v165
	s_waitcnt vmcnt(1)
	v_fma_f32 v4, v4, v158, -v116
	v_add_f32_e32 v2, v3, v2
	v_mul_f32_e32 v137, v6, v165
	v_fmac_f32_e32 v133, v5, v158
	v_add_f32_e32 v3, v8, v131
	v_fma_f32 v5, v6, v157, -v114
	v_add_f32_e32 v2, v2, v4
	v_fmac_f32_e32 v137, v7, v157
	v_add_f32_e32 v3, v3, v133
	v_add_f32_e32 v2, v2, v5
	;; [unrolled: 1-line block ×3, first 2 shown]
	s_waitcnt vmcnt(0)
	v_sub_f32_e32 v2, v151, v2
	v_sub_f32_e32 v3, v145, v3
	buffer_store_dword v2, off, s[0:3], 0 offset:16
	buffer_store_dword v3, off, s[0:3], 0 offset:20
	v_cmpx_lt_u32_e32 1, v0
	s_cbranch_execz .LBB51_323
; %bb.322:
	s_clause 0x1
	buffer_load_dword v2, off, s[0:3], 0 offset:8
	buffer_load_dword v3, off, s[0:3], 0 offset:12
	buffer_store_dword v1, off, s[0:3], 0 offset:8
	buffer_store_dword v1, off, s[0:3], 0 offset:12
	s_waitcnt vmcnt(0)
	ds_write_b64 v113, v[2:3]
.LBB51_323:
	s_or_b32 exec_lo, exec_lo, s4
	s_waitcnt lgkmcnt(0)
	s_waitcnt_vscnt null, 0x0
	s_barrier
	buffer_gl0_inv
	s_clause 0x2c
	buffer_load_dword v144, off, s[0:3], 0 offset:20
	buffer_load_dword v145, off, s[0:3], 0 offset:28
	;; [unrolled: 1-line block ×45, first 2 shown]
	ds_read_b128 v[153:156], v1 offset:432
	ds_read_b128 v[157:160], v1 offset:448
	s_mov_b32 s4, exec_lo
	s_waitcnt vmcnt(44) lgkmcnt(1)
	v_mul_f32_e32 v146, v153, v144
	v_mul_f32_e32 v161, v154, v144
	s_waitcnt vmcnt(43)
	v_mul_f32_e32 v144, v155, v145
	v_mul_f32_e32 v162, v156, v145
	buffer_load_dword v145, off, s[0:3], 0 offset:12
	s_waitcnt vmcnt(41)
	v_fmac_f32_e32 v146, v154, v115
	v_fma_f32 v161, v153, v115, -v161
	v_fmac_f32_e32 v144, v156, v7
	v_fma_f32 v162, v155, v7, -v162
	ds_read_b128 v[153:156], v1 offset:464
	s_waitcnt vmcnt(40) lgkmcnt(1)
	v_mul_f32_e32 v163, v157, v4
	s_waitcnt vmcnt(39)
	v_mul_f32_e32 v164, v159, v5
	v_mul_f32_e32 v4, v158, v4
	;; [unrolled: 1-line block ×3, first 2 shown]
	v_fmac_f32_e32 v163, v158, v2
	s_waitcnt vmcnt(35)
	v_fmac_f32_e32 v164, v160, v118
	v_fma_f32 v165, v157, v2, -v4
	v_fma_f32 v118, v159, v118, -v5
	ds_read_b128 v[157:160], v1 offset:480
	s_waitcnt vmcnt(34) lgkmcnt(1)
	v_mul_f32_e32 v166, v153, v117
	s_waitcnt vmcnt(33)
	v_mul_f32_e32 v167, v155, v116
	v_mul_f32_e32 v4, v156, v116
	v_mul_f32_e32 v2, v154, v117
	v_fmac_f32_e32 v166, v154, v114
	v_fmac_f32_e32 v167, v156, v6
	v_fma_f32 v154, v155, v6, -v4
	ds_read_b128 v[4:7], v1 offset:496
	v_fma_f32 v153, v153, v114, -v2
	s_waitcnt vmcnt(32) lgkmcnt(1)
	v_mul_f32_e32 v155, v157, v8
	v_mul_f32_e32 v2, v158, v8
	s_waitcnt vmcnt(31)
	v_mul_f32_e32 v8, v159, v119
	v_mul_f32_e32 v114, v160, v119
	v_fmac_f32_e32 v155, v158, v3
	v_fma_f32 v119, v157, v3, -v2
	s_waitcnt vmcnt(27)
	v_fmac_f32_e32 v8, v160, v127
	v_fma_f32 v127, v159, v127, -v114
	ds_read_b128 v[114:117], v1 offset:512
	buffer_load_dword v157, off, s[0:3], 0 offset:204
	s_waitcnt vmcnt(27) lgkmcnt(1)
	v_mul_f32_e32 v156, v4, v125
	v_mul_f32_e32 v2, v5, v125
	s_waitcnt vmcnt(26)
	v_mul_f32_e32 v3, v7, v124
	v_mul_f32_e32 v125, v6, v124
	v_fmac_f32_e32 v156, v5, v123
	v_fma_f32 v123, v4, v123, -v2
	v_fma_f32 v6, v6, v121, -v3
	ds_read_b128 v[2:5], v1 offset:528
	v_fmac_f32_e32 v125, v7, v121
	s_waitcnt vmcnt(25) lgkmcnt(1)
	v_mul_f32_e32 v7, v114, v122
	v_mul_f32_e32 v121, v115, v122
	s_waitcnt vmcnt(24)
	v_mul_f32_e32 v122, v116, v126
	v_mul_f32_e32 v124, v117, v126
	v_fmac_f32_e32 v7, v115, v120
	v_fma_f32 v120, v114, v120, -v121
	s_waitcnt vmcnt(20)
	v_fmac_f32_e32 v122, v117, v135
	v_fma_f32 v121, v116, v135, -v124
	ds_read_b128 v[114:117], v1 offset:544
	s_waitcnt vmcnt(19) lgkmcnt(1)
	v_mul_f32_e32 v124, v2, v133
	v_mul_f32_e32 v126, v3, v133
	s_waitcnt vmcnt(18)
	v_mul_f32_e32 v133, v4, v132
	v_mul_f32_e32 v132, v5, v132
	v_fmac_f32_e32 v124, v3, v131
	v_fma_f32 v126, v2, v131, -v126
	v_fmac_f32_e32 v133, v5, v129
	v_fma_f32 v129, v4, v129, -v132
	ds_read_b128 v[2:5], v1 offset:560
	s_waitcnt vmcnt(17) lgkmcnt(1)
	v_mul_f32_e32 v131, v114, v130
	v_mul_f32_e32 v130, v115, v130
	s_waitcnt vmcnt(16)
	v_mul_f32_e32 v132, v116, v134
	v_mul_f32_e32 v134, v117, v134
	v_fmac_f32_e32 v131, v115, v128
	v_fma_f32 v128, v114, v128, -v130
	s_waitcnt vmcnt(12)
	v_fmac_f32_e32 v132, v117, v143
	v_fma_f32 v130, v116, v143, -v134
	ds_read_b128 v[114:117], v1 offset:576
	buffer_load_dword v143, off, s[0:3], 0 offset:196
	s_waitcnt vmcnt(12) lgkmcnt(1)
	v_mul_f32_e32 v134, v2, v141
	v_mul_f32_e32 v135, v3, v141
	s_waitcnt vmcnt(11)
	v_mul_f32_e32 v141, v4, v140
	v_mul_f32_e32 v140, v5, v140
	v_fmac_f32_e32 v134, v3, v139
	v_fma_f32 v135, v2, v139, -v135
	v_fmac_f32_e32 v141, v5, v137
	v_fma_f32 v137, v4, v137, -v140
	ds_read_b128 v[2:5], v1 offset:592
	s_waitcnt vmcnt(10) lgkmcnt(1)
	v_mul_f32_e32 v139, v114, v138
	v_mul_f32_e32 v138, v115, v138
	s_waitcnt vmcnt(9)
	v_mul_f32_e32 v140, v116, v142
	v_mul_f32_e32 v142, v117, v142
	v_fmac_f32_e32 v139, v115, v136
	v_fma_f32 v136, v114, v136, -v138
	s_waitcnt vmcnt(5)
	v_fmac_f32_e32 v140, v117, v152
	v_fma_f32 v138, v116, v152, -v142
	ds_read_b128 v[114:117], v1 offset:608
	s_waitcnt vmcnt(4) lgkmcnt(1)
	v_mul_f32_e32 v142, v2, v151
	v_mul_f32_e32 v151, v3, v151
	s_waitcnt vmcnt(3)
	v_mul_f32_e32 v152, v4, v150
	v_mul_f32_e32 v150, v5, v150
	v_fmac_f32_e32 v142, v3, v149
	v_fma_f32 v149, v2, v149, -v151
	v_fmac_f32_e32 v152, v5, v148
	v_fma_f32 v148, v4, v148, -v150
	s_clause 0x4
	buffer_load_dword v150, off, s[0:3], 0 offset:224
	buffer_load_dword v151, off, s[0:3], 0 offset:216
	;; [unrolled: 1-line block ×5, first 2 shown]
	s_waitcnt vmcnt(5) lgkmcnt(0)
	v_mul_f32_e32 v160, v114, v143
	v_mul_f32_e32 v3, v115, v143
	v_fmac_f32_e32 v160, v115, v147
	v_fma_f32 v143, v114, v147, -v3
	v_mul_f32_e32 v147, v116, v157
	v_mul_f32_e32 v3, v117, v157
	s_waitcnt vmcnt(1)
	v_fmac_f32_e32 v147, v117, v2
	v_fma_f32 v157, v116, v2, -v3
	ds_read_b128 v[2:5], v1 offset:624
	ds_read_b128 v[114:117], v1 offset:640
	s_waitcnt vmcnt(0) lgkmcnt(1)
	v_mul_f32_e32 v168, v2, v159
	v_mul_f32_e32 v159, v3, v159
	v_fmac_f32_e32 v168, v3, v158
	v_fma_f32 v158, v2, v158, -v159
	buffer_load_dword v2, off, s[0:3], 0 offset:220
	v_add_f32_e32 v3, 0, v161
	v_add_f32_e32 v3, v3, v162
	;; [unrolled: 1-line block ×11, first 2 shown]
	s_waitcnt vmcnt(0)
	v_mul_f32_e32 v159, v4, v2
	v_mul_f32_e32 v2, v5, v2
	v_fmac_f32_e32 v159, v5, v151
	v_fma_f32 v151, v4, v151, -v2
	s_clause 0x1
	buffer_load_dword v4, off, s[0:3], 0 offset:228
	buffer_load_dword v5, off, s[0:3], 0 offset:236
	v_add_f32_e32 v2, 0, v146
	v_add_f32_e32 v2, v2, v144
	s_clause 0x6
	buffer_load_dword v118, off, s[0:3], 0 offset:256
	buffer_load_dword v144, off, s[0:3], 0 offset:248
	;; [unrolled: 1-line block ×7, first 2 shown]
	v_add_f32_e32 v2, v2, v163
	buffer_load_dword v163, off, s[0:3], 0 offset:260
	v_add_f32_e32 v2, v2, v164
	v_add_f32_e32 v2, v2, v166
	;; [unrolled: 1-line block ×5, first 2 shown]
	s_clause 0x3
	buffer_load_dword v8, off, s[0:3], 0 offset:288
	buffer_load_dword v127, off, s[0:3], 0 offset:280
	;; [unrolled: 1-line block ×4, first 2 shown]
	v_add_f32_e32 v2, v2, v156
	buffer_load_dword v156, off, s[0:3], 0 offset:276
	v_add_f32_e32 v2, v2, v125
	s_clause 0x1
	buffer_load_dword v123, off, s[0:3], 0 offset:284
	buffer_load_dword v125, off, s[0:3], 0 offset:292
	v_add_f32_e32 v2, v2, v7
	s_waitcnt vmcnt(16) lgkmcnt(0)
	v_mul_f32_e32 v6, v114, v4
	v_mul_f32_e32 v4, v115, v4
	s_waitcnt vmcnt(15)
	v_mul_f32_e32 v7, v116, v5
	v_mul_f32_e32 v120, v117, v5
	v_fmac_f32_e32 v6, v115, v150
	v_fma_f32 v150, v114, v150, -v4
	v_add_f32_e32 v114, v2, v122
	v_add_f32_e32 v115, v3, v121
	ds_read_b128 v[2:5], v1 offset:656
	s_waitcnt vmcnt(11)
	v_fmac_f32_e32 v7, v117, v161
	v_fma_f32 v120, v116, v161, -v120
	v_add_f32_e32 v114, v114, v124
	v_add_f32_e32 v115, v115, v126
	s_clause 0x4
	buffer_load_dword v122, off, s[0:3], 0 offset:300
	buffer_load_dword v161, off, s[0:3], 0 offset:320
	;; [unrolled: 1-line block ×5, first 2 shown]
	v_add_f32_e32 v114, v114, v133
	v_add_f32_e32 v115, v115, v129
	;; [unrolled: 1-line block ×4, first 2 shown]
	s_clause 0x2
	buffer_load_dword v128, off, s[0:3], 0 offset:308
	buffer_load_dword v129, off, s[0:3], 0 offset:316
	;; [unrolled: 1-line block ×3, first 2 shown]
	v_add_f32_e32 v121, v114, v132
	v_add_f32_e32 v130, v115, v130
	ds_read_b128 v[114:117], v1 offset:672
	s_waitcnt vmcnt(18) lgkmcnt(1)
	v_mul_f32_e32 v132, v2, v162
	v_mul_f32_e32 v133, v3, v162
	v_add_f32_e32 v121, v121, v134
	v_add_f32_e32 v130, v130, v135
	s_waitcnt vmcnt(17)
	v_mul_f32_e32 v134, v4, v153
	v_fmac_f32_e32 v132, v3, v146
	v_mul_f32_e32 v135, v5, v153
	v_add_f32_e32 v3, v121, v141
	v_add_f32_e32 v121, v130, v137
	v_fma_f32 v130, v2, v146, -v133
	v_fmac_f32_e32 v134, v5, v144
	v_fma_f32 v133, v4, v144, -v135
	v_add_f32_e32 v2, v3, v139
	v_add_f32_e32 v3, v121, v136
	s_clause 0x7
	buffer_load_dword v135, off, s[0:3], 0 offset:332
	buffer_load_dword v136, off, s[0:3], 0 offset:340
	;; [unrolled: 1-line block ×8, first 2 shown]
	v_add_f32_e32 v2, v2, v140
	v_add_f32_e32 v3, v3, v138
	s_waitcnt vmcnt(23) lgkmcnt(0)
	v_mul_f32_e32 v162, v114, v163
	v_mul_f32_e32 v4, v115, v163
	s_clause 0x3
	buffer_load_dword v138, off, s[0:3], 0 offset:364
	buffer_load_dword v140, off, s[0:3], 0 offset:372
	;; [unrolled: 1-line block ×4, first 2 shown]
	v_add_f32_e32 v2, v2, v142
	s_clause 0x1
	buffer_load_dword v142, off, s[0:3], 0 offset:396
	buffer_load_dword v167, off, s[0:3], 0 offset:404
	v_fmac_f32_e32 v162, v115, v118
	v_fma_f32 v166, v114, v118, -v4
	v_add_f32_e32 v114, v3, v149
	v_mul_f32_e32 v149, v116, v119
	v_mul_f32_e32 v3, v117, v119
	v_add_f32_e32 v115, v2, v152
	buffer_load_dword v152, off, s[0:3], 0 offset:412
	v_add_f32_e32 v114, v114, v148
	s_waitcnt vmcnt(26)
	v_fmac_f32_e32 v149, v117, v155
	v_fma_f32 v155, v116, v155, -v3
	ds_read_b128 v[2:5], v1 offset:688
	v_add_f32_e32 v115, v115, v160
	v_add_f32_e32 v114, v114, v143
	;; [unrolled: 1-line block ×3, first 2 shown]
	s_clause 0x3
	buffer_load_dword v143, off, s[0:3], 0 offset:384
	buffer_load_dword v147, off, s[0:3], 0 offset:376
	;; [unrolled: 1-line block ×4, first 2 shown]
	v_add_f32_e32 v114, v114, v157
	v_add_f32_e32 v118, v115, v168
	;; [unrolled: 1-line block ×3, first 2 shown]
	ds_read_b128 v[114:117], v1 offset:704
	v_add_f32_e32 v118, v118, v159
	s_waitcnt vmcnt(29) lgkmcnt(1)
	v_mul_f32_e32 v157, v2, v156
	v_mul_f32_e32 v121, v3, v156
	v_fmac_f32_e32 v157, v3, v154
	v_fma_f32 v154, v2, v154, -v121
	v_add_f32_e32 v2, v119, v151
	v_add_f32_e32 v3, v118, v6
	s_clause 0x2
	buffer_load_dword v6, off, s[0:3], 0 offset:408
	buffer_load_dword v151, off, s[0:3], 0 offset:400
	;; [unrolled: 1-line block ×3, first 2 shown]
	s_waitcnt vmcnt(31)
	v_mul_f32_e32 v118, v5, v123
	v_add_f32_e32 v2, v2, v150
	buffer_load_dword v150, off, s[0:3], 0 offset:8
	v_add_f32_e32 v3, v3, v7
	v_mul_f32_e32 v7, v4, v123
	v_fma_f32 v158, v4, v127, -v118
	v_add_f32_e32 v119, v2, v120
	v_add_f32_e32 v123, v3, v132
	v_fmac_f32_e32 v7, v5, v127
	ds_read_b128 v[2:5], v1 offset:720
	v_add_f32_e32 v127, v119, v130
	ds_read_b128 v[118:121], v1 offset:736
	v_add_f32_e32 v123, v123, v134
	s_waitcnt vmcnt(31) lgkmcnt(2)
	v_mul_f32_e32 v130, v114, v125
	v_mul_f32_e32 v125, v115, v125
	v_add_f32_e32 v127, v127, v133
	v_add_f32_e32 v132, v123, v162
	v_fmac_f32_e32 v130, v115, v8
	v_fma_f32 v8, v114, v8, -v125
	v_add_f32_e32 v127, v127, v166
	v_add_f32_e32 v132, v132, v149
	;; [unrolled: 1-line block ×8, first 2 shown]
	s_waitcnt vmcnt(30)
	v_mul_f32_e32 v134, v116, v122
	v_mul_f32_e32 v122, v117, v122
	s_waitcnt vmcnt(26)
	v_fmac_f32_e32 v134, v117, v124
	v_fma_f32 v159, v116, v124, -v122
	ds_read_b128 v[114:117], v1 offset:752
	ds_read_b128 v[122:125], v1 offset:768
	v_add_f32_e32 v7, v7, v134
	s_waitcnt vmcnt(25) lgkmcnt(3)
	v_mul_f32_e32 v149, v2, v128
	s_waitcnt vmcnt(24)
	v_mul_f32_e32 v155, v4, v129
	v_mul_f32_e32 v128, v3, v128
	;; [unrolled: 1-line block ×3, first 2 shown]
	s_waitcnt vmcnt(23) lgkmcnt(2)
	v_mul_f32_e32 v157, v118, v131
	v_mul_f32_e32 v131, v119, v131
	v_fmac_f32_e32 v149, v3, v164
	v_fmac_f32_e32 v155, v5, v126
	v_fma_f32 v162, v2, v164, -v128
	v_fma_f32 v154, v4, v126, -v129
	ds_read_b128 v[2:5], v1 offset:784
	ds_read_b128 v[126:129], v1 offset:800
	v_fma_f32 v118, v118, v161, -v131
	ds_read_b128 v[130:133], v1 offset:816
	v_add_f32_e32 v1, v158, v8
	v_add_f32_e32 v7, v7, v149
	v_fmac_f32_e32 v157, v119, v161
	s_waitcnt vmcnt(22)
	v_mul_f32_e32 v119, v121, v135
	v_mul_f32_e32 v8, v120, v135
	v_add_f32_e32 v1, v1, v159
	v_add_f32_e32 v7, v7, v155
	s_waitcnt vmcnt(21) lgkmcnt(4)
	v_mul_f32_e32 v134, v114, v136
	v_mul_f32_e32 v136, v115, v136
	s_waitcnt vmcnt(15)
	v_fma_f32 v119, v120, v153, -v119
	v_add_f32_e32 v1, v1, v162
	v_fmac_f32_e32 v8, v121, v153
	v_add_f32_e32 v7, v7, v157
	v_mul_f32_e32 v135, v116, v137
	v_mul_f32_e32 v137, v117, v137
	v_add_f32_e32 v1, v1, v154
	v_fma_f32 v114, v114, v146, -v136
	v_fmac_f32_e32 v134, v115, v146
	v_add_f32_e32 v7, v7, v8
	s_waitcnt lgkmcnt(3)
	v_mul_f32_e32 v8, v123, v139
	v_add_f32_e32 v1, v1, v118
	v_fma_f32 v115, v116, v144, -v137
	v_mul_f32_e32 v120, v122, v139
	v_fmac_f32_e32 v135, v117, v144
	v_add_f32_e32 v7, v7, v134
	v_add_f32_e32 v1, v1, v119
	v_fma_f32 v8, v122, v141, -v8
	s_waitcnt vmcnt(14)
	v_mul_f32_e32 v121, v124, v138
	v_fmac_f32_e32 v120, v123, v141
	v_add_f32_e32 v7, v7, v135
	v_add_f32_e32 v1, v1, v114
	v_mul_f32_e32 v114, v125, v138
	s_waitcnt vmcnt(13) lgkmcnt(2)
	v_mul_f32_e32 v149, v2, v140
	s_waitcnt vmcnt(12)
	v_mul_f32_e32 v153, v4, v163
	v_add_f32_e32 v7, v7, v120
	v_add_f32_e32 v1, v1, v115
	v_mul_f32_e32 v115, v3, v140
	s_waitcnt vmcnt(4)
	v_fma_f32 v114, v124, v160, -v114
	v_fmac_f32_e32 v121, v125, v160
	v_fmac_f32_e32 v149, v3, v148
	v_add_f32_e32 v1, v1, v8
	v_mul_f32_e32 v8, v5, v163
	v_fma_f32 v2, v2, v148, -v115
	v_add_f32_e32 v3, v7, v121
	s_waitcnt lgkmcnt(1)
	v_mul_f32_e32 v7, v127, v165
	v_add_f32_e32 v1, v1, v114
	v_fma_f32 v4, v4, v147, -v8
	v_mul_f32_e32 v158, v126, v165
	v_fmac_f32_e32 v153, v5, v147
	v_fma_f32 v5, v126, v143, -v7
	v_add_f32_e32 v1, v1, v2
	v_add_f32_e32 v2, v3, v149
	v_mul_f32_e32 v3, v129, v142
	v_mul_f32_e32 v154, v128, v142
	v_fmac_f32_e32 v158, v127, v143
	v_add_f32_e32 v1, v1, v4
	v_add_f32_e32 v2, v2, v153
	s_waitcnt lgkmcnt(0)
	v_mul_f32_e32 v4, v131, v167
	s_waitcnt vmcnt(1)
	v_fma_f32 v3, v128, v156, -v3
	v_mul_f32_e32 v155, v130, v167
	v_add_f32_e32 v1, v1, v5
	v_fmac_f32_e32 v154, v129, v156
	v_add_f32_e32 v2, v2, v158
	v_mul_f32_e32 v5, v133, v152
	v_fma_f32 v4, v130, v151, -v4
	v_add_f32_e32 v1, v1, v3
	v_mul_f32_e32 v118, v132, v152
	v_fmac_f32_e32 v155, v131, v151
	v_add_f32_e32 v2, v2, v154
	v_fma_f32 v3, v132, v6, -v5
	v_add_f32_e32 v1, v1, v4
	v_fmac_f32_e32 v118, v133, v6
	v_add_f32_e32 v2, v2, v155
	v_add_f32_e32 v1, v1, v3
	;; [unrolled: 1-line block ×3, first 2 shown]
	s_waitcnt vmcnt(0)
	v_sub_f32_e32 v1, v150, v1
	v_sub_f32_e32 v2, v145, v2
	buffer_store_dword v1, off, s[0:3], 0 offset:8
	buffer_store_dword v2, off, s[0:3], 0 offset:12
	v_cmpx_ne_u32_e32 0, v0
	s_cbranch_execz .LBB51_325
; %bb.324:
	s_clause 0x1
	buffer_load_dword v0, off, s[0:3], 0
	buffer_load_dword v1, off, s[0:3], 0 offset:4
	v_mov_b32_e32 v2, 0
	buffer_store_dword v2, off, s[0:3], 0
	buffer_store_dword v2, off, s[0:3], 0 offset:4
	s_waitcnt vmcnt(0)
	ds_write_b64 v113, v[0:1]
.LBB51_325:
	s_or_b32 exec_lo, exec_lo, s4
	s_waitcnt lgkmcnt(0)
	s_waitcnt_vscnt null, 0x0
	s_barrier
	buffer_gl0_inv
	s_clause 0x2c
	buffer_load_dword v151, off, s[0:3], 0 offset:12
	buffer_load_dword v8, off, s[0:3], 0 offset:24
	;; [unrolled: 1-line block ×45, first 2 shown]
	v_mov_b32_e32 v150, 0
	ds_read2_b64 v[4:7], v150 offset0:53 offset1:54
	ds_read2_b64 v[0:3], v150 offset0:55 offset1:56
	;; [unrolled: 1-line block ×3, first 2 shown]
	s_and_b32 vcc_lo, exec_lo, s22
	s_waitcnt vmcnt(44) lgkmcnt(2)
	v_mul_f32_e32 v152, v4, v151
	v_mul_f32_e32 v163, v5, v151
	buffer_load_dword v151, off, s[0:3], 0 offset:4
	s_waitcnt vmcnt(42)
	v_fmac_f32_e32 v152, v5, v120
	v_fma_f32 v120, v4, v120, -v163
	s_waitcnt vmcnt(41)
	v_mul_f32_e32 v163, v6, v119
	v_mul_f32_e32 v4, v7, v119
	s_waitcnt vmcnt(40) lgkmcnt(1)
	v_mul_f32_e32 v164, v0, v117
	s_waitcnt vmcnt(39)
	v_mul_f32_e32 v165, v2, v114
	v_fmac_f32_e32 v163, v7, v115
	v_fma_f32 v119, v6, v115, -v4
	v_mul_f32_e32 v115, v1, v117
	ds_read2_b64 v[4:7], v150 offset0:59 offset1:60
	v_fmac_f32_e32 v164, v1, v8
	s_waitcnt vmcnt(35)
	v_fmac_f32_e32 v165, v3, v124
	s_waitcnt vmcnt(34) lgkmcnt(1)
	v_mul_f32_e32 v166, v159, v123
	v_fma_f32 v8, v0, v8, -v115
	v_mul_f32_e32 v0, v3, v114
	v_mul_f32_e32 v114, v160, v123
	s_waitcnt vmcnt(33)
	v_mul_f32_e32 v123, v161, v122
	v_fmac_f32_e32 v166, v160, v121
	v_fma_f32 v124, v2, v124, -v0
	ds_read2_b64 v[0:3], v150 offset0:61 offset1:62
	v_fma_f32 v121, v159, v121, -v114
	v_mul_f32_e32 v114, v162, v122
	v_fmac_f32_e32 v123, v162, v116
	v_fma_f32 v122, v161, v116, -v114
	ds_read2_b64 v[114:117], v150 offset0:63 offset1:64
	s_waitcnt vmcnt(32) lgkmcnt(2)
	v_mul_f32_e32 v159, v4, v118
	v_mul_f32_e32 v118, v5, v118
	s_waitcnt vmcnt(31)
	v_mul_f32_e32 v160, v6, v125
	v_fmac_f32_e32 v159, v5, v113
	v_fma_f32 v118, v4, v113, -v118
	v_mul_f32_e32 v4, v7, v125
	s_waitcnt vmcnt(27)
	v_fmac_f32_e32 v160, v7, v133
	s_waitcnt vmcnt(26) lgkmcnt(1)
	v_mul_f32_e32 v113, v1, v132
	v_fma_f32 v125, v6, v133, -v4
	v_mul_f32_e32 v133, v0, v132
	ds_read2_b64 v[4:7], v150 offset0:65 offset1:66
	s_waitcnt vmcnt(25)
	v_mul_f32_e32 v132, v2, v130
	v_fmac_f32_e32 v133, v1, v129
	v_fma_f32 v129, v0, v129, -v113
	v_mul_f32_e32 v0, v3, v130
	v_fmac_f32_e32 v132, v3, v127
	s_waitcnt vmcnt(24) lgkmcnt(1)
	v_mul_f32_e32 v130, v114, v128
	v_mul_f32_e32 v113, v115, v128
	s_waitcnt vmcnt(23)
	v_mul_f32_e32 v128, v116, v131
	v_fma_f32 v127, v2, v127, -v0
	ds_read2_b64 v[0:3], v150 offset0:67 offset1:68
	v_fmac_f32_e32 v130, v115, v126
	v_fma_f32 v126, v114, v126, -v113
	v_mul_f32_e32 v113, v117, v131
	s_waitcnt vmcnt(19)
	v_fmac_f32_e32 v128, v117, v141
	v_fma_f32 v117, v116, v141, -v113
	s_waitcnt vmcnt(18) lgkmcnt(1)
	v_mul_f32_e32 v131, v4, v140
	v_mul_f32_e32 v140, v5, v140
	ds_read2_b64 v[113:116], v150 offset0:69 offset1:70
	v_fmac_f32_e32 v131, v5, v137
	v_fma_f32 v137, v4, v137, -v140
	s_waitcnt vmcnt(17)
	v_mul_f32_e32 v140, v6, v138
	v_mul_f32_e32 v4, v7, v138
	s_waitcnt vmcnt(16) lgkmcnt(1)
	v_mul_f32_e32 v138, v0, v136
	v_mul_f32_e32 v136, v1, v136
	v_fmac_f32_e32 v140, v7, v135
	v_fma_f32 v135, v6, v135, -v4
	ds_read2_b64 v[4:7], v150 offset0:71 offset1:72
	v_fmac_f32_e32 v138, v1, v134
	v_fma_f32 v134, v0, v134, -v136
	s_waitcnt vmcnt(15)
	v_mul_f32_e32 v136, v2, v139
	v_mul_f32_e32 v0, v3, v139
	s_waitcnt vmcnt(10) lgkmcnt(1)
	v_mul_f32_e32 v141, v113, v147
	v_fmac_f32_e32 v136, v3, v148
	v_fma_f32 v139, v2, v148, -v0
	ds_read2_b64 v[0:3], v150 offset0:73 offset1:74
	v_mul_f32_e32 v147, v114, v147
	v_fmac_f32_e32 v141, v114, v145
	s_waitcnt vmcnt(9)
	v_mul_f32_e32 v114, v115, v146
	v_fma_f32 v113, v113, v145, -v147
	v_mul_f32_e32 v145, v116, v146
	v_fmac_f32_e32 v114, v116, v143
	buffer_load_dword v146, off, s[0:3], 0 offset:188
	s_waitcnt vmcnt(9) lgkmcnt(1)
	v_mul_f32_e32 v116, v4, v144
	v_fma_f32 v115, v115, v143, -v145
	v_mul_f32_e32 v143, v5, v144
	s_waitcnt vmcnt(8)
	v_mul_f32_e32 v144, v6, v149
	v_mul_f32_e32 v145, v7, v149
	v_fmac_f32_e32 v116, v5, v142
	v_fma_f32 v142, v4, v142, -v143
	s_waitcnt vmcnt(4)
	v_fmac_f32_e32 v144, v7, v158
	v_fma_f32 v143, v6, v158, -v145
	ds_read2_b64 v[4:7], v150 offset0:75 offset1:76
	s_waitcnt vmcnt(2) lgkmcnt(1)
	v_mul_f32_e32 v148, v2, v156
	v_mul_f32_e32 v149, v3, v156
	buffer_load_dword v156, off, s[0:3], 0 offset:196
	v_mul_f32_e32 v145, v0, v157
	v_mul_f32_e32 v147, v1, v157
	v_fmac_f32_e32 v148, v3, v154
	v_fma_f32 v149, v2, v154, -v149
	v_fmac_f32_e32 v145, v1, v155
	v_fma_f32 v147, v0, v155, -v147
	s_clause 0x4
	buffer_load_dword v154, off, s[0:3], 0 offset:216
	buffer_load_dword v155, off, s[0:3], 0 offset:208
	;; [unrolled: 1-line block ×5, first 2 shown]
	s_waitcnt vmcnt(6) lgkmcnt(0)
	v_mul_f32_e32 v161, v4, v146
	v_mul_f32_e32 v1, v5, v146
	v_fmac_f32_e32 v161, v5, v153
	v_fma_f32 v153, v4, v153, -v1
	s_waitcnt vmcnt(5)
	v_mul_f32_e32 v146, v6, v156
	v_mul_f32_e32 v2, v7, v156
	s_waitcnt vmcnt(1)
	v_fmac_f32_e32 v146, v7, v0
	v_fma_f32 v156, v6, v0, -v2
	ds_read2_b64 v[0:3], v150 offset0:77 offset1:78
	ds_read2_b64 v[4:7], v150 offset0:79 offset1:80
	s_waitcnt vmcnt(0) lgkmcnt(1)
	v_mul_f32_e32 v162, v0, v158
	v_mul_f32_e32 v158, v1, v158
	v_fmac_f32_e32 v162, v1, v157
	v_fma_f32 v157, v0, v157, -v158
	buffer_load_dword v0, off, s[0:3], 0 offset:212
	s_waitcnt vmcnt(0)
	v_mul_f32_e32 v158, v2, v0
	v_mul_f32_e32 v0, v3, v0
	v_fmac_f32_e32 v158, v3, v155
	v_fma_f32 v155, v2, v155, -v0
	buffer_load_dword v0, off, s[0:3], 0 offset:220
	s_waitcnt vmcnt(0) lgkmcnt(0)
	v_mul_f32_e32 v167, v4, v0
	v_mul_f32_e32 v0, v5, v0
	v_fmac_f32_e32 v167, v5, v154
	v_fma_f32 v154, v4, v154, -v0
	s_clause 0x5
	buffer_load_dword v0, off, s[0:3], 0 offset:228
	buffer_load_dword v168, off, s[0:3], 0 offset:248
	;; [unrolled: 1-line block ×6, first 2 shown]
	s_waitcnt vmcnt(5)
	v_mul_f32_e32 v171, v6, v0
	v_mul_f32_e32 v0, v7, v0
	s_waitcnt vmcnt(1)
	v_fmac_f32_e32 v171, v7, v1
	v_fma_f32 v172, v6, v1, -v0
	ds_read2_b64 v[0:3], v150 offset0:81 offset1:82
	ds_read2_b64 v[4:7], v150 offset0:83 offset1:84
	s_waitcnt vmcnt(0) lgkmcnt(1)
	v_mul_f32_e32 v174, v0, v173
	v_mul_f32_e32 v173, v1, v173
	v_fmac_f32_e32 v174, v1, v170
	v_fma_f32 v170, v0, v170, -v173
	buffer_load_dword v0, off, s[0:3], 0 offset:244
	s_waitcnt vmcnt(0)
	v_mul_f32_e32 v173, v2, v0
	v_mul_f32_e32 v0, v3, v0
	v_fmac_f32_e32 v173, v3, v169
	v_fma_f32 v169, v2, v169, -v0
	buffer_load_dword v0, off, s[0:3], 0 offset:252
	s_waitcnt vmcnt(0) lgkmcnt(0)
	v_mul_f32_e32 v175, v4, v0
	v_mul_f32_e32 v0, v5, v0
	v_fmac_f32_e32 v175, v5, v168
	v_fma_f32 v168, v4, v168, -v0
	s_clause 0x5
	buffer_load_dword v0, off, s[0:3], 0 offset:260
	buffer_load_dword v176, off, s[0:3], 0 offset:280
	;; [unrolled: 1-line block ×6, first 2 shown]
	s_waitcnt vmcnt(5)
	v_mul_f32_e32 v179, v6, v0
	v_mul_f32_e32 v0, v7, v0
	s_waitcnt vmcnt(1)
	v_fmac_f32_e32 v179, v7, v1
	v_fma_f32 v180, v6, v1, -v0
	ds_read2_b64 v[0:3], v150 offset0:85 offset1:86
	ds_read2_b64 v[4:7], v150 offset0:87 offset1:88
	s_waitcnt vmcnt(0) lgkmcnt(1)
	v_mul_f32_e32 v182, v0, v181
	v_mul_f32_e32 v181, v1, v181
	v_fmac_f32_e32 v182, v1, v178
	v_fma_f32 v178, v0, v178, -v181
	buffer_load_dword v0, off, s[0:3], 0 offset:276
	s_waitcnt vmcnt(0)
	v_mul_f32_e32 v181, v2, v0
	v_mul_f32_e32 v0, v3, v0
	v_fmac_f32_e32 v181, v3, v177
	v_fma_f32 v177, v2, v177, -v0
	buffer_load_dword v0, off, s[0:3], 0 offset:284
	s_waitcnt vmcnt(0) lgkmcnt(0)
	v_mul_f32_e32 v183, v4, v0
	v_mul_f32_e32 v0, v5, v0
	v_fmac_f32_e32 v183, v5, v176
	v_fma_f32 v176, v4, v176, -v0
	s_clause 0x4
	buffer_load_dword v0, off, s[0:3], 0 offset:292
	buffer_load_dword v184, off, s[0:3], 0 offset:312
	;; [unrolled: 1-line block ×5, first 2 shown]
	s_waitcnt vmcnt(4)
	v_mul_f32_e32 v187, v6, v0
	v_mul_f32_e32 v0, v7, v0
	s_waitcnt vmcnt(0)
	v_fmac_f32_e32 v187, v7, v1
	v_fma_f32 v188, v6, v1, -v0
	v_add_f32_e32 v0, 0, v152
	v_add_f32_e32 v1, 0, v120
	;; [unrolled: 1-line block ×6, first 2 shown]
	buffer_load_dword v8, off, s[0:3], 0 offset:300
	v_add_f32_e32 v0, v0, v165
	v_add_f32_e32 v1, v1, v124
	;; [unrolled: 1-line block ×8, first 2 shown]
	s_clause 0x2
	buffer_load_dword v118, off, s[0:3], 0 offset:308
	buffer_load_dword v121, off, s[0:3], 0 offset:316
	;; [unrolled: 1-line block ×3, first 2 shown]
	v_add_f32_e32 v0, v0, v160
	v_add_f32_e32 v1, v1, v125
	;; [unrolled: 1-line block ×10, first 2 shown]
	s_clause 0x4
	buffer_load_dword v127, off, s[0:3], 0 offset:344
	buffer_load_dword v128, off, s[0:3], 0 offset:336
	;; [unrolled: 1-line block ×5, first 2 shown]
	v_add_f32_e32 v0, v0, v131
	v_add_f32_e32 v1, v1, v137
	s_clause 0x2
	buffer_load_dword v131, off, s[0:3], 0 offset:340
	buffer_load_dword v132, off, s[0:3], 0 offset:348
	;; [unrolled: 1-line block ×3, first 2 shown]
	v_add_f32_e32 v0, v0, v140
	v_add_f32_e32 v1, v1, v135
	;; [unrolled: 1-line block ×4, first 2 shown]
	buffer_load_dword v134, off, s[0:3], 0 offset:364
	v_add_f32_e32 v0, v0, v136
	v_add_f32_e32 v1, v1, v139
	s_clause 0x5
	buffer_load_dword v135, off, s[0:3], 0 offset:372
	buffer_load_dword v136, off, s[0:3], 0 offset:380
	;; [unrolled: 1-line block ×6, first 2 shown]
	v_add_f32_e32 v0, v0, v141
	v_add_f32_e32 v1, v1, v113
	;; [unrolled: 1-line block ×8, first 2 shown]
	s_clause 0x3
	buffer_load_dword v141, off, s[0:3], 0 offset:376
	buffer_load_dword v142, off, s[0:3], 0 offset:368
	;; [unrolled: 1-line block ×4, first 2 shown]
	v_add_f32_e32 v0, v0, v145
	v_add_f32_e32 v1, v1, v147
	;; [unrolled: 1-line block ×4, first 2 shown]
	s_clause 0x4
	buffer_load_dword v145, off, s[0:3], 0 offset:408
	buffer_load_dword v147, off, s[0:3], 0 offset:400
	;; [unrolled: 1-line block ×4, first 2 shown]
	buffer_load_dword v152, off, s[0:3], 0
	v_add_f32_e32 v0, v0, v161
	v_add_f32_e32 v1, v1, v153
	;; [unrolled: 1-line block ×8, first 2 shown]
	ds_read2_b64 v[0:3], v150 offset0:89 offset1:90
	v_add_f32_e32 v113, v4, v167
	v_add_f32_e32 v5, v5, v154
	;; [unrolled: 1-line block ×4, first 2 shown]
	ds_read2_b64 v[4:7], v150 offset0:91 offset1:92
	v_add_f32_e32 v113, v113, v174
	v_add_f32_e32 v114, v114, v170
	;; [unrolled: 1-line block ×3, first 2 shown]
	s_waitcnt vmcnt(27) lgkmcnt(1)
	v_mul_f32_e32 v146, v0, v8
	v_mul_f32_e32 v8, v1, v8
	v_fmac_f32_e32 v146, v1, v186
	v_add_f32_e32 v1, v113, v173
	v_add_f32_e32 v113, v114, v168
	v_fma_f32 v8, v0, v186, -v8
	v_add_f32_e32 v123, v1, v175
	v_add_f32_e32 v124, v113, v180
	;; [unrolled: 1-line block ×4, first 2 shown]
	s_waitcnt vmcnt(25) lgkmcnt(0)
	v_mul_f32_e32 v155, v4, v121
	v_mul_f32_e32 v121, v5, v121
	v_add_f32_e32 v123, v123, v182
	v_mul_f32_e32 v153, v2, v118
	v_mul_f32_e32 v115, v3, v118
	v_fmac_f32_e32 v155, v5, v184
	v_add_f32_e32 v5, v124, v177
	v_fma_f32 v157, v4, v184, -v121
	v_add_f32_e32 v4, v123, v181
	v_fmac_f32_e32 v153, v3, v185
	v_fma_f32 v154, v2, v185, -v115
	v_add_f32_e32 v158, v5, v176
	ds_read2_b64 v[0:3], v150 offset0:93 offset1:94
	ds_read2_b64 v[113:116], v150 offset0:95 offset1:96
	ds_read2_b64 v[117:120], v150 offset0:97 offset1:98
	v_add_f32_e32 v160, v4, v183
	s_waitcnt vmcnt(24)
	v_mul_f32_e32 v126, v7, v122
	v_mul_f32_e32 v156, v6, v122
	v_add_f32_e32 v158, v158, v188
	ds_read2_b64 v[121:124], v150 offset0:99 offset1:100
	v_add_f32_e32 v160, v160, v187
	v_add_f32_e32 v8, v158, v8
	;; [unrolled: 1-line block ×3, first 2 shown]
	s_waitcnt vmcnt(20)
	v_fma_f32 v159, v6, v125, -v126
	v_add_f32_e32 v8, v8, v154
	v_fmac_f32_e32 v156, v7, v125
	v_add_f32_e32 v146, v146, v153
	ds_read2_b64 v[4:7], v150 offset0:101 offset1:102
	ds_read_b64 v[125:126], v150 offset:824
	s_waitcnt vmcnt(19) lgkmcnt(5)
	v_mul_f32_e32 v161, v0, v130
	v_mul_f32_e32 v130, v1, v130
	v_add_f32_e32 v8, v8, v157
	v_add_f32_e32 v146, v146, v155
	s_waitcnt vmcnt(18)
	v_mul_f32_e32 v162, v2, v131
	v_mul_f32_e32 v131, v3, v131
	v_fma_f32 v0, v0, v129, -v130
	v_add_f32_e32 v8, v8, v159
	v_fmac_f32_e32 v161, v1, v129
	v_add_f32_e32 v130, v146, v156
	s_waitcnt vmcnt(17) lgkmcnt(4)
	v_mul_f32_e32 v129, v114, v132
	v_fma_f32 v2, v2, v128, -v131
	v_add_f32_e32 v0, v8, v0
	v_mul_f32_e32 v158, v113, v132
	v_fmac_f32_e32 v162, v3, v128
	v_add_f32_e32 v3, v130, v161
	s_waitcnt vmcnt(16)
	v_mul_f32_e32 v8, v116, v133
	v_fma_f32 v113, v113, v127, -v129
	v_add_f32_e32 v0, v0, v2
	v_mul_f32_e32 v160, v115, v133
	v_fmac_f32_e32 v158, v114, v127
	v_add_f32_e32 v2, v3, v162
	s_waitcnt vmcnt(15) lgkmcnt(3)
	v_mul_f32_e32 v3, v118, v134
	v_add_f32_e32 v0, v0, v113
	v_mul_f32_e32 v154, v117, v134
	s_waitcnt vmcnt(14)
	v_mul_f32_e32 v113, v120, v135
	v_add_f32_e32 v2, v2, v158
	v_mul_f32_e32 v153, v119, v135
	s_waitcnt vmcnt(13) lgkmcnt(2)
	v_mul_f32_e32 v163, v121, v136
	s_waitcnt vmcnt(12)
	v_mul_f32_e32 v157, v123, v137
	s_waitcnt vmcnt(11) lgkmcnt(1)
	v_mul_f32_e32 v155, v4, v138
	s_waitcnt vmcnt(10)
	;; [unrolled: 4-line block ×3, first 2 shown]
	v_fmac_f32_e32 v163, v122, v141
	s_waitcnt vmcnt(7)
	v_fma_f32 v113, v119, v142, -v113
	s_waitcnt vmcnt(6)
	v_fma_f32 v3, v117, v143, -v3
	;; [unrolled: 2-line block ×3, first 2 shown]
	v_fmac_f32_e32 v160, v116, v144
	v_fmac_f32_e32 v154, v118, v143
	;; [unrolled: 1-line block ×3, first 2 shown]
	v_add_f32_e32 v0, v0, v8
	v_add_f32_e32 v2, v2, v160
	v_mul_f32_e32 v8, v122, v136
	s_waitcnt vmcnt(3)
	v_fmac_f32_e32 v1, v7, v147
	s_waitcnt vmcnt(2)
	v_fmac_f32_e32 v155, v5, v148
	v_add_f32_e32 v0, v0, v3
	v_add_f32_e32 v2, v2, v154
	v_mul_f32_e32 v3, v124, v137
	v_fma_f32 v8, v121, v141, -v8
	s_waitcnt vmcnt(1)
	v_fmac_f32_e32 v157, v124, v149
	v_add_f32_e32 v0, v0, v113
	v_add_f32_e32 v2, v2, v153
	v_mul_f32_e32 v113, v5, v138
	v_fma_f32 v3, v123, v149, -v3
	v_fmac_f32_e32 v132, v126, v145
	v_add_f32_e32 v0, v0, v8
	v_add_f32_e32 v2, v2, v163
	v_mul_f32_e32 v8, v7, v139
	v_fma_f32 v4, v4, v148, -v113
	v_add_f32_e32 v0, v0, v3
	v_add_f32_e32 v2, v2, v157
	v_mul_f32_e32 v3, v126, v140
	v_fma_f32 v5, v6, v147, -v8
	v_add_f32_e32 v0, v0, v4
	v_add_f32_e32 v2, v2, v155
	v_fma_f32 v3, v125, v145, -v3
	v_add_f32_e32 v0, v0, v5
	v_add_f32_e32 v1, v2, v1
	;; [unrolled: 1-line block ×4, first 2 shown]
	s_waitcnt vmcnt(0)
	v_sub_f32_e32 v0, v152, v0
	v_sub_f32_e32 v1, v151, v1
	buffer_store_dword v0, off, s[0:3], 0
	buffer_store_dword v1, off, s[0:3], 0 offset:4
	s_cbranch_vccz .LBB51_428
; %bb.326:
	global_load_dword v0, v150, s[20:21] offset:200
	s_waitcnt vmcnt(0)
	v_add_nc_u32_e32 v0, -1, v0
	v_cmp_ne_u32_e32 vcc_lo, 50, v0
	s_cbranch_vccz .LBB51_328
; %bb.327:
	v_lshlrev_b32_e32 v0, 3, v0
	s_clause 0x3
	buffer_load_dword v1, v0, s[0:3], 0 offen
	buffer_load_dword v2, v0, s[0:3], 0 offen offset:4
	buffer_load_dword v3, off, s[0:3], 0 offset:404
	buffer_load_dword v4, off, s[0:3], 0 offset:400
	s_waitcnt vmcnt(3)
	buffer_store_dword v1, off, s[0:3], 0 offset:400
	s_waitcnt vmcnt(2)
	buffer_store_dword v2, off, s[0:3], 0 offset:404
	s_waitcnt vmcnt(1)
	buffer_store_dword v3, v0, s[0:3], 0 offen offset:4
	s_waitcnt vmcnt(0)
	buffer_store_dword v4, v0, s[0:3], 0 offen
.LBB51_328:
	v_mov_b32_e32 v0, 0
	global_load_dword v1, v0, s[20:21] offset:196
	s_waitcnt vmcnt(0)
	v_add_nc_u32_e32 v1, -1, v1
	v_cmp_eq_u32_e32 vcc_lo, 49, v1
	s_cbranch_vccnz .LBB51_330
; %bb.329:
	v_lshlrev_b32_e32 v1, 3, v1
	s_clause 0x3
	buffer_load_dword v2, v1, s[0:3], 0 offen
	buffer_load_dword v3, v1, s[0:3], 0 offen offset:4
	buffer_load_dword v4, off, s[0:3], 0 offset:392
	buffer_load_dword v5, off, s[0:3], 0 offset:396
	s_waitcnt vmcnt(3)
	buffer_store_dword v2, off, s[0:3], 0 offset:392
	s_waitcnt vmcnt(2)
	buffer_store_dword v3, off, s[0:3], 0 offset:396
	s_waitcnt vmcnt(1)
	buffer_store_dword v4, v1, s[0:3], 0 offen
	s_waitcnt vmcnt(0)
	buffer_store_dword v5, v1, s[0:3], 0 offen offset:4
.LBB51_330:
	global_load_dword v0, v0, s[20:21] offset:192
	s_waitcnt vmcnt(0)
	v_add_nc_u32_e32 v0, -1, v0
	v_cmp_eq_u32_e32 vcc_lo, 48, v0
	s_cbranch_vccnz .LBB51_332
; %bb.331:
	v_lshlrev_b32_e32 v0, 3, v0
	s_clause 0x3
	buffer_load_dword v1, v0, s[0:3], 0 offen
	buffer_load_dword v2, v0, s[0:3], 0 offen offset:4
	buffer_load_dword v3, off, s[0:3], 0 offset:388
	buffer_load_dword v4, off, s[0:3], 0 offset:384
	s_waitcnt vmcnt(3)
	buffer_store_dword v1, off, s[0:3], 0 offset:384
	s_waitcnt vmcnt(2)
	buffer_store_dword v2, off, s[0:3], 0 offset:388
	s_waitcnt vmcnt(1)
	buffer_store_dword v3, v0, s[0:3], 0 offen offset:4
	s_waitcnt vmcnt(0)
	buffer_store_dword v4, v0, s[0:3], 0 offen
.LBB51_332:
	v_mov_b32_e32 v0, 0
	global_load_dword v1, v0, s[20:21] offset:188
	s_waitcnt vmcnt(0)
	v_add_nc_u32_e32 v1, -1, v1
	v_cmp_eq_u32_e32 vcc_lo, 47, v1
	s_cbranch_vccnz .LBB51_334
; %bb.333:
	v_lshlrev_b32_e32 v1, 3, v1
	s_clause 0x3
	buffer_load_dword v2, v1, s[0:3], 0 offen
	buffer_load_dword v3, v1, s[0:3], 0 offen offset:4
	buffer_load_dword v4, off, s[0:3], 0 offset:376
	buffer_load_dword v5, off, s[0:3], 0 offset:380
	s_waitcnt vmcnt(3)
	buffer_store_dword v2, off, s[0:3], 0 offset:376
	s_waitcnt vmcnt(2)
	buffer_store_dword v3, off, s[0:3], 0 offset:380
	s_waitcnt vmcnt(1)
	buffer_store_dword v4, v1, s[0:3], 0 offen
	s_waitcnt vmcnt(0)
	buffer_store_dword v5, v1, s[0:3], 0 offen offset:4
.LBB51_334:
	global_load_dword v0, v0, s[20:21] offset:184
	s_waitcnt vmcnt(0)
	v_add_nc_u32_e32 v0, -1, v0
	v_cmp_eq_u32_e32 vcc_lo, 46, v0
	s_cbranch_vccnz .LBB51_336
; %bb.335:
	v_lshlrev_b32_e32 v0, 3, v0
	s_clause 0x3
	buffer_load_dword v1, v0, s[0:3], 0 offen
	buffer_load_dword v2, v0, s[0:3], 0 offen offset:4
	buffer_load_dword v3, off, s[0:3], 0 offset:372
	buffer_load_dword v4, off, s[0:3], 0 offset:368
	s_waitcnt vmcnt(3)
	buffer_store_dword v1, off, s[0:3], 0 offset:368
	s_waitcnt vmcnt(2)
	buffer_store_dword v2, off, s[0:3], 0 offset:372
	s_waitcnt vmcnt(1)
	buffer_store_dword v3, v0, s[0:3], 0 offen offset:4
	s_waitcnt vmcnt(0)
	buffer_store_dword v4, v0, s[0:3], 0 offen
.LBB51_336:
	;; [unrolled: 43-line block ×24, first 2 shown]
	v_mov_b32_e32 v0, 0
	global_load_dword v1, v0, s[20:21] offset:4
	s_waitcnt vmcnt(0)
	v_add_nc_u32_e32 v1, -1, v1
	v_cmp_eq_u32_e32 vcc_lo, 1, v1
	s_cbranch_vccnz .LBB51_426
; %bb.425:
	v_lshlrev_b32_e32 v1, 3, v1
	s_clause 0x3
	buffer_load_dword v2, v1, s[0:3], 0 offen
	buffer_load_dword v3, v1, s[0:3], 0 offen offset:4
	buffer_load_dword v4, off, s[0:3], 0 offset:8
	buffer_load_dword v5, off, s[0:3], 0 offset:12
	s_waitcnt vmcnt(3)
	buffer_store_dword v2, off, s[0:3], 0 offset:8
	s_waitcnt vmcnt(2)
	buffer_store_dword v3, off, s[0:3], 0 offset:12
	s_waitcnt vmcnt(1)
	buffer_store_dword v4, v1, s[0:3], 0 offen
	s_waitcnt vmcnt(0)
	buffer_store_dword v5, v1, s[0:3], 0 offen offset:4
.LBB51_426:
	global_load_dword v0, v0, s[20:21]
	s_waitcnt vmcnt(0)
	v_add_nc_u32_e32 v0, -1, v0
	v_cmp_eq_u32_e32 vcc_lo, 0, v0
	s_cbranch_vccnz .LBB51_428
; %bb.427:
	v_lshlrev_b32_e32 v0, 3, v0
	s_clause 0x3
	buffer_load_dword v1, v0, s[0:3], 0 offen
	buffer_load_dword v2, v0, s[0:3], 0 offen offset:4
	buffer_load_dword v3, off, s[0:3], 0 offset:4
	buffer_load_dword v4, off, s[0:3], 0
	s_waitcnt vmcnt(3)
	buffer_store_dword v1, off, s[0:3], 0
	s_waitcnt vmcnt(2)
	buffer_store_dword v2, off, s[0:3], 0 offset:4
	s_waitcnt vmcnt(1)
	buffer_store_dword v3, v0, s[0:3], 0 offen offset:4
	s_waitcnt vmcnt(0)
	buffer_store_dword v4, v0, s[0:3], 0 offen
.LBB51_428:
	s_clause 0x3e
	buffer_load_dword v0, off, s[0:3], 0
	buffer_load_dword v1, off, s[0:3], 0 offset:4
	buffer_load_dword v2, off, s[0:3], 0 offset:8
	;; [unrolled: 1-line block ×62, first 2 shown]
	s_clause 0x28
	buffer_load_dword v168, off, s[0:3], 0 offset:252
	buffer_load_dword v169, off, s[0:3], 0 offset:256
	;; [unrolled: 1-line block ×41, first 2 shown]
	s_waitcnt vmcnt(62)
	global_store_dwordx2 v[95:96], v[0:1], off
	global_store_dwordx2 v[97:98], v[2:3], off
	;; [unrolled: 1-line block ×21, first 2 shown]
	s_waitcnt vmcnt(60)
	global_store_dwordx2 v[47:48], v[147:148], off
	s_waitcnt vmcnt(58)
	global_store_dwordx2 v[49:50], v[149:150], off
	;; [unrolled: 2-line block ×31, first 2 shown]
	s_endpgm
	.section	.rodata,"a",@progbits
	.p2align	6, 0x0
	.amdhsa_kernel _ZN9rocsolver6v33100L18getri_kernel_smallILi52E19rocblas_complex_numIfEPS3_EEvT1_iilPiilS6_bb
		.amdhsa_group_segment_fixed_size 836
		.amdhsa_private_segment_fixed_size 432
		.amdhsa_kernarg_size 60
		.amdhsa_user_sgpr_count 6
		.amdhsa_user_sgpr_private_segment_buffer 1
		.amdhsa_user_sgpr_dispatch_ptr 0
		.amdhsa_user_sgpr_queue_ptr 0
		.amdhsa_user_sgpr_kernarg_segment_ptr 1
		.amdhsa_user_sgpr_dispatch_id 0
		.amdhsa_user_sgpr_flat_scratch_init 0
		.amdhsa_user_sgpr_private_segment_size 0
		.amdhsa_wavefront_size32 1
		.amdhsa_uses_dynamic_stack 0
		.amdhsa_system_sgpr_private_segment_wavefront_offset 1
		.amdhsa_system_sgpr_workgroup_id_x 1
		.amdhsa_system_sgpr_workgroup_id_y 0
		.amdhsa_system_sgpr_workgroup_id_z 0
		.amdhsa_system_sgpr_workgroup_info 0
		.amdhsa_system_vgpr_workitem_id 0
		.amdhsa_next_free_vgpr 254
		.amdhsa_next_free_sgpr 23
		.amdhsa_reserve_vcc 1
		.amdhsa_reserve_flat_scratch 0
		.amdhsa_float_round_mode_32 0
		.amdhsa_float_round_mode_16_64 0
		.amdhsa_float_denorm_mode_32 3
		.amdhsa_float_denorm_mode_16_64 3
		.amdhsa_dx10_clamp 1
		.amdhsa_ieee_mode 1
		.amdhsa_fp16_overflow 0
		.amdhsa_workgroup_processor_mode 1
		.amdhsa_memory_ordered 1
		.amdhsa_forward_progress 1
		.amdhsa_shared_vgpr_count 0
		.amdhsa_exception_fp_ieee_invalid_op 0
		.amdhsa_exception_fp_denorm_src 0
		.amdhsa_exception_fp_ieee_div_zero 0
		.amdhsa_exception_fp_ieee_overflow 0
		.amdhsa_exception_fp_ieee_underflow 0
		.amdhsa_exception_fp_ieee_inexact 0
		.amdhsa_exception_int_div_zero 0
	.end_amdhsa_kernel
	.section	.text._ZN9rocsolver6v33100L18getri_kernel_smallILi52E19rocblas_complex_numIfEPS3_EEvT1_iilPiilS6_bb,"axG",@progbits,_ZN9rocsolver6v33100L18getri_kernel_smallILi52E19rocblas_complex_numIfEPS3_EEvT1_iilPiilS6_bb,comdat
.Lfunc_end51:
	.size	_ZN9rocsolver6v33100L18getri_kernel_smallILi52E19rocblas_complex_numIfEPS3_EEvT1_iilPiilS6_bb, .Lfunc_end51-_ZN9rocsolver6v33100L18getri_kernel_smallILi52E19rocblas_complex_numIfEPS3_EEvT1_iilPiilS6_bb
                                        ; -- End function
	.set _ZN9rocsolver6v33100L18getri_kernel_smallILi52E19rocblas_complex_numIfEPS3_EEvT1_iilPiilS6_bb.num_vgpr, 254
	.set _ZN9rocsolver6v33100L18getri_kernel_smallILi52E19rocblas_complex_numIfEPS3_EEvT1_iilPiilS6_bb.num_agpr, 0
	.set _ZN9rocsolver6v33100L18getri_kernel_smallILi52E19rocblas_complex_numIfEPS3_EEvT1_iilPiilS6_bb.numbered_sgpr, 23
	.set _ZN9rocsolver6v33100L18getri_kernel_smallILi52E19rocblas_complex_numIfEPS3_EEvT1_iilPiilS6_bb.num_named_barrier, 0
	.set _ZN9rocsolver6v33100L18getri_kernel_smallILi52E19rocblas_complex_numIfEPS3_EEvT1_iilPiilS6_bb.private_seg_size, 432
	.set _ZN9rocsolver6v33100L18getri_kernel_smallILi52E19rocblas_complex_numIfEPS3_EEvT1_iilPiilS6_bb.uses_vcc, 1
	.set _ZN9rocsolver6v33100L18getri_kernel_smallILi52E19rocblas_complex_numIfEPS3_EEvT1_iilPiilS6_bb.uses_flat_scratch, 0
	.set _ZN9rocsolver6v33100L18getri_kernel_smallILi52E19rocblas_complex_numIfEPS3_EEvT1_iilPiilS6_bb.has_dyn_sized_stack, 0
	.set _ZN9rocsolver6v33100L18getri_kernel_smallILi52E19rocblas_complex_numIfEPS3_EEvT1_iilPiilS6_bb.has_recursion, 0
	.set _ZN9rocsolver6v33100L18getri_kernel_smallILi52E19rocblas_complex_numIfEPS3_EEvT1_iilPiilS6_bb.has_indirect_call, 0
	.section	.AMDGPU.csdata,"",@progbits
; Kernel info:
; codeLenInByte = 103528
; TotalNumSgprs: 25
; NumVgprs: 254
; ScratchSize: 432
; MemoryBound: 0
; FloatMode: 240
; IeeeMode: 1
; LDSByteSize: 836 bytes/workgroup (compile time only)
; SGPRBlocks: 0
; VGPRBlocks: 31
; NumSGPRsForWavesPerEU: 25
; NumVGPRsForWavesPerEU: 254
; Occupancy: 4
; WaveLimiterHint : 1
; COMPUTE_PGM_RSRC2:SCRATCH_EN: 1
; COMPUTE_PGM_RSRC2:USER_SGPR: 6
; COMPUTE_PGM_RSRC2:TRAP_HANDLER: 0
; COMPUTE_PGM_RSRC2:TGID_X_EN: 1
; COMPUTE_PGM_RSRC2:TGID_Y_EN: 0
; COMPUTE_PGM_RSRC2:TGID_Z_EN: 0
; COMPUTE_PGM_RSRC2:TIDIG_COMP_CNT: 0
	.section	.text._ZN9rocsolver6v33100L18getri_kernel_smallILi53E19rocblas_complex_numIfEPS3_EEvT1_iilPiilS6_bb,"axG",@progbits,_ZN9rocsolver6v33100L18getri_kernel_smallILi53E19rocblas_complex_numIfEPS3_EEvT1_iilPiilS6_bb,comdat
	.globl	_ZN9rocsolver6v33100L18getri_kernel_smallILi53E19rocblas_complex_numIfEPS3_EEvT1_iilPiilS6_bb ; -- Begin function _ZN9rocsolver6v33100L18getri_kernel_smallILi53E19rocblas_complex_numIfEPS3_EEvT1_iilPiilS6_bb
	.p2align	8
	.type	_ZN9rocsolver6v33100L18getri_kernel_smallILi53E19rocblas_complex_numIfEPS3_EEvT1_iilPiilS6_bb,@function
_ZN9rocsolver6v33100L18getri_kernel_smallILi53E19rocblas_complex_numIfEPS3_EEvT1_iilPiilS6_bb: ; @_ZN9rocsolver6v33100L18getri_kernel_smallILi53E19rocblas_complex_numIfEPS3_EEvT1_iilPiilS6_bb
; %bb.0:
	s_add_u32 s0, s0, s7
	s_addc_u32 s1, s1, 0
	s_mov_b32 s7, exec_lo
	v_cmpx_gt_u32_e32 53, v0
	s_cbranch_execz .LBB52_226
; %bb.1:
	s_clause 0x2
	s_load_dword s7, s[4:5], 0x38
	s_load_dwordx4 s[16:19], s[4:5], 0x10
	s_load_dwordx4 s[8:11], s[4:5], 0x28
                                        ; implicit-def: $sgpr20_sgpr21
	s_waitcnt lgkmcnt(0)
	s_bitcmp1_b32 s7, 8
	s_cselect_b32 s22, -1, 0
	s_bfe_u32 s12, s7, 0x10008
	s_ashr_i32 s7, s6, 31
	s_cmp_eq_u32 s12, 0
	s_cbranch_scc1 .LBB52_3
; %bb.2:
	s_load_dword s12, s[4:5], 0x20
	s_mul_i32 s13, s8, s7
	s_mul_hi_u32 s14, s8, s6
	s_mul_i32 s9, s9, s6
	s_add_i32 s13, s14, s13
	s_mul_i32 s8, s8, s6
	s_add_i32 s9, s13, s9
	s_lshl_b64 s[8:9], s[8:9], 2
	s_waitcnt lgkmcnt(0)
	s_ashr_i32 s13, s12, 31
	s_add_u32 s14, s18, s8
	s_addc_u32 s15, s19, s9
	s_lshl_b64 s[8:9], s[12:13], 2
	s_add_u32 s20, s14, s8
	s_addc_u32 s21, s15, s9
.LBB52_3:
	s_clause 0x1
	s_load_dwordx4 s[12:15], s[4:5], 0x0
	s_load_dword s8, s[4:5], 0x38
	s_mul_i32 s4, s16, s7
	s_mul_hi_u32 s5, s16, s6
	s_mul_i32 s9, s17, s6
	s_add_i32 s5, s5, s4
	s_mul_i32 s4, s16, s6
	s_add_i32 s5, s5, s9
	s_lshl_b64 s[4:5], s[4:5], 3
	s_waitcnt lgkmcnt(0)
	v_add3_u32 v1, s15, s15, v0
	s_ashr_i32 s17, s14, 31
	s_mov_b32 s16, s14
	s_add_u32 s9, s12, s4
	s_addc_u32 s12, s13, s5
	v_add_nc_u32_e32 v3, s15, v1
	v_ashrrev_i32_e32 v2, 31, v1
	s_lshl_b64 s[4:5], s[16:17], 3
	s_add_u32 s4, s9, s4
	v_add_nc_u32_e32 v5, s15, v3
	v_ashrrev_i32_e32 v4, 31, v3
	v_lshlrev_b64 v[1:2], 3, v[1:2]
	s_addc_u32 s5, s12, s5
	s_ashr_i32 s13, s15, 31
	v_ashrrev_i32_e32 v6, 31, v5
	v_add_nc_u32_e32 v7, s15, v5
	v_lshlrev_b64 v[3:4], 3, v[3:4]
	v_add_co_u32 v12, vcc_lo, s4, v1
	v_add_co_ci_u32_e64 v13, null, s5, v2, vcc_lo
	v_lshlrev_b64 v[1:2], 3, v[5:6]
	v_ashrrev_i32_e32 v8, 31, v7
	v_add_nc_u32_e32 v5, s15, v7
	v_add_co_u32 v14, vcc_lo, s4, v3
	v_add_co_ci_u32_e64 v15, null, s5, v4, vcc_lo
	v_lshlrev_b64 v[3:4], 3, v[7:8]
	v_ashrrev_i32_e32 v6, 31, v5
	v_add_nc_u32_e32 v7, s15, v5
	v_add_co_u32 v16, vcc_lo, s4, v1
	v_add_co_ci_u32_e64 v17, null, s5, v2, vcc_lo
	v_lshlrev_b64 v[1:2], 3, v[5:6]
	v_ashrrev_i32_e32 v8, 31, v7
	v_add_nc_u32_e32 v5, s15, v7
	v_add_co_u32 v18, vcc_lo, s4, v3
	v_add_co_ci_u32_e64 v19, null, s5, v4, vcc_lo
	v_lshlrev_b64 v[3:4], 3, v[7:8]
	v_ashrrev_i32_e32 v6, 31, v5
	v_add_nc_u32_e32 v7, s15, v5
	v_add_co_u32 v20, vcc_lo, s4, v1
	v_add_co_ci_u32_e64 v21, null, s5, v2, vcc_lo
	v_lshlrev_b64 v[1:2], 3, v[5:6]
	v_ashrrev_i32_e32 v8, 31, v7
	v_add_nc_u32_e32 v5, s15, v7
	v_add_co_u32 v22, vcc_lo, s4, v3
	v_add_co_ci_u32_e64 v23, null, s5, v4, vcc_lo
	v_lshlrev_b64 v[3:4], 3, v[7:8]
	v_ashrrev_i32_e32 v6, 31, v5
	v_add_nc_u32_e32 v7, s15, v5
	v_add_co_u32 v24, vcc_lo, s4, v1
	v_add_co_ci_u32_e64 v25, null, s5, v2, vcc_lo
	v_lshlrev_b64 v[1:2], 3, v[5:6]
	v_ashrrev_i32_e32 v8, 31, v7
	v_add_nc_u32_e32 v5, s15, v7
	v_add_co_u32 v26, vcc_lo, s4, v3
	v_add_co_ci_u32_e64 v27, null, s5, v4, vcc_lo
	v_lshlrev_b64 v[3:4], 3, v[7:8]
	v_ashrrev_i32_e32 v6, 31, v5
	v_add_nc_u32_e32 v7, s15, v5
	v_add_co_u32 v28, vcc_lo, s4, v1
	v_add_co_ci_u32_e64 v29, null, s5, v2, vcc_lo
	v_lshlrev_b64 v[1:2], 3, v[5:6]
	v_ashrrev_i32_e32 v8, 31, v7
	v_add_nc_u32_e32 v5, s15, v7
	v_add_co_u32 v30, vcc_lo, s4, v3
	v_add_co_ci_u32_e64 v31, null, s5, v4, vcc_lo
	v_lshlrev_b64 v[3:4], 3, v[7:8]
	v_ashrrev_i32_e32 v6, 31, v5
	v_add_nc_u32_e32 v7, s15, v5
	v_add_co_u32 v32, vcc_lo, s4, v1
	v_add_co_ci_u32_e64 v33, null, s5, v2, vcc_lo
	v_lshlrev_b64 v[1:2], 3, v[5:6]
	v_ashrrev_i32_e32 v8, 31, v7
	v_add_nc_u32_e32 v5, s15, v7
	v_add_co_u32 v34, vcc_lo, s4, v3
	v_add_co_ci_u32_e64 v35, null, s5, v4, vcc_lo
	v_lshlrev_b64 v[3:4], 3, v[7:8]
	v_ashrrev_i32_e32 v6, 31, v5
	v_add_nc_u32_e32 v7, s15, v5
	v_add_co_u32 v36, vcc_lo, s4, v1
	v_add_co_ci_u32_e64 v37, null, s5, v2, vcc_lo
	v_lshlrev_b64 v[1:2], 3, v[5:6]
	v_ashrrev_i32_e32 v8, 31, v7
	v_add_nc_u32_e32 v5, s15, v7
	v_add_co_u32 v38, vcc_lo, s4, v3
	v_add_co_ci_u32_e64 v39, null, s5, v4, vcc_lo
	v_lshlrev_b64 v[3:4], 3, v[7:8]
	v_ashrrev_i32_e32 v6, 31, v5
	v_add_nc_u32_e32 v7, s15, v5
	v_add_co_u32 v40, vcc_lo, s4, v1
	v_add_co_ci_u32_e64 v41, null, s5, v2, vcc_lo
	v_lshlrev_b64 v[1:2], 3, v[5:6]
	v_ashrrev_i32_e32 v8, 31, v7
	v_add_nc_u32_e32 v5, s15, v7
	v_add_co_u32 v42, vcc_lo, s4, v3
	v_add_co_ci_u32_e64 v43, null, s5, v4, vcc_lo
	v_lshlrev_b64 v[3:4], 3, v[7:8]
	v_ashrrev_i32_e32 v6, 31, v5
	v_add_nc_u32_e32 v7, s15, v5
	v_add_co_u32 v44, vcc_lo, s4, v1
	v_add_co_ci_u32_e64 v45, null, s5, v2, vcc_lo
	v_lshlrev_b64 v[1:2], 3, v[5:6]
	v_ashrrev_i32_e32 v8, 31, v7
	v_add_nc_u32_e32 v5, s15, v7
	v_add_co_u32 v46, vcc_lo, s4, v3
	v_add_co_ci_u32_e64 v47, null, s5, v4, vcc_lo
	v_lshlrev_b64 v[3:4], 3, v[7:8]
	v_ashrrev_i32_e32 v6, 31, v5
	v_add_nc_u32_e32 v7, s15, v5
	v_add_co_u32 v48, vcc_lo, s4, v1
	v_add_co_ci_u32_e64 v49, null, s5, v2, vcc_lo
	v_lshlrev_b64 v[1:2], 3, v[5:6]
	v_ashrrev_i32_e32 v8, 31, v7
	v_add_nc_u32_e32 v5, s15, v7
	v_add_co_u32 v50, vcc_lo, s4, v3
	v_add_co_ci_u32_e64 v51, null, s5, v4, vcc_lo
	v_lshlrev_b64 v[3:4], 3, v[7:8]
	v_ashrrev_i32_e32 v6, 31, v5
	v_add_nc_u32_e32 v7, s15, v5
	v_add_co_u32 v52, vcc_lo, s4, v1
	v_add_co_ci_u32_e64 v53, null, s5, v2, vcc_lo
	v_lshlrev_b64 v[1:2], 3, v[5:6]
	v_ashrrev_i32_e32 v8, 31, v7
	v_add_nc_u32_e32 v5, s15, v7
	v_add_co_u32 v54, vcc_lo, s4, v3
	v_add_co_ci_u32_e64 v55, null, s5, v4, vcc_lo
	v_lshlrev_b64 v[3:4], 3, v[7:8]
	v_ashrrev_i32_e32 v6, 31, v5
	v_add_nc_u32_e32 v7, s15, v5
	v_add_co_u32 v56, vcc_lo, s4, v1
	v_add_co_ci_u32_e64 v57, null, s5, v2, vcc_lo
	v_lshlrev_b64 v[1:2], 3, v[5:6]
	v_ashrrev_i32_e32 v8, 31, v7
	v_add_nc_u32_e32 v5, s15, v7
	v_add_co_u32 v58, vcc_lo, s4, v3
	v_add_co_ci_u32_e64 v59, null, s5, v4, vcc_lo
	v_lshlrev_b64 v[3:4], 3, v[7:8]
	v_ashrrev_i32_e32 v6, 31, v5
	v_add_nc_u32_e32 v7, s15, v5
	v_add_co_u32 v60, vcc_lo, s4, v1
	v_add_co_ci_u32_e64 v61, null, s5, v2, vcc_lo
	v_lshlrev_b64 v[1:2], 3, v[5:6]
	v_ashrrev_i32_e32 v8, 31, v7
	v_add_nc_u32_e32 v5, s15, v7
	v_add_co_u32 v62, vcc_lo, s4, v3
	v_add_co_ci_u32_e64 v63, null, s5, v4, vcc_lo
	v_lshlrev_b64 v[3:4], 3, v[7:8]
	v_ashrrev_i32_e32 v6, 31, v5
	v_add_nc_u32_e32 v7, s15, v5
	v_add_co_u32 v64, vcc_lo, s4, v1
	v_add_co_ci_u32_e64 v65, null, s5, v2, vcc_lo
	v_lshlrev_b64 v[1:2], 3, v[5:6]
	v_ashrrev_i32_e32 v8, 31, v7
	v_add_nc_u32_e32 v5, s15, v7
	v_add_co_u32 v66, vcc_lo, s4, v3
	v_add_co_ci_u32_e64 v67, null, s5, v4, vcc_lo
	v_lshlrev_b64 v[3:4], 3, v[7:8]
	v_ashrrev_i32_e32 v6, 31, v5
	v_add_nc_u32_e32 v7, s15, v5
	v_add_co_u32 v68, vcc_lo, s4, v1
	v_add_co_ci_u32_e64 v69, null, s5, v2, vcc_lo
	v_lshlrev_b64 v[1:2], 3, v[5:6]
	v_ashrrev_i32_e32 v8, 31, v7
	v_add_nc_u32_e32 v5, s15, v7
	v_add_co_u32 v70, vcc_lo, s4, v3
	v_add_co_ci_u32_e64 v71, null, s5, v4, vcc_lo
	v_lshlrev_b64 v[3:4], 3, v[7:8]
	v_ashrrev_i32_e32 v6, 31, v5
	v_add_nc_u32_e32 v7, s15, v5
	v_add_co_u32 v72, vcc_lo, s4, v1
	v_add_co_ci_u32_e64 v73, null, s5, v2, vcc_lo
	v_lshlrev_b64 v[1:2], 3, v[5:6]
	v_ashrrev_i32_e32 v8, 31, v7
	v_add_nc_u32_e32 v5, s15, v7
	v_add_co_u32 v74, vcc_lo, s4, v3
	v_add_co_ci_u32_e64 v75, null, s5, v4, vcc_lo
	v_lshlrev_b64 v[3:4], 3, v[7:8]
	v_ashrrev_i32_e32 v6, 31, v5
	v_add_nc_u32_e32 v7, s15, v5
	v_add_co_u32 v76, vcc_lo, s4, v1
	v_add_co_ci_u32_e64 v77, null, s5, v2, vcc_lo
	v_lshlrev_b64 v[1:2], 3, v[5:6]
	v_ashrrev_i32_e32 v8, 31, v7
	v_add_nc_u32_e32 v5, s15, v7
	v_add_co_u32 v78, vcc_lo, s4, v3
	v_add_co_ci_u32_e64 v79, null, s5, v4, vcc_lo
	v_lshlrev_b64 v[3:4], 3, v[7:8]
	v_ashrrev_i32_e32 v6, 31, v5
	v_add_nc_u32_e32 v7, s15, v5
	v_add_co_u32 v80, vcc_lo, s4, v1
	v_add_co_ci_u32_e64 v81, null, s5, v2, vcc_lo
	v_lshlrev_b64 v[1:2], 3, v[5:6]
	v_ashrrev_i32_e32 v8, 31, v7
	v_add_nc_u32_e32 v5, s15, v7
	v_add_co_u32 v82, vcc_lo, s4, v3
	v_add_co_ci_u32_e64 v83, null, s5, v4, vcc_lo
	v_lshlrev_b64 v[3:4], 3, v[7:8]
	v_ashrrev_i32_e32 v6, 31, v5
	v_add_nc_u32_e32 v7, s15, v5
	v_add_co_u32 v84, vcc_lo, s4, v1
	v_add_co_ci_u32_e64 v85, null, s5, v2, vcc_lo
	v_lshlrev_b64 v[1:2], 3, v[5:6]
	v_ashrrev_i32_e32 v8, 31, v7
	v_add_nc_u32_e32 v5, s15, v7
	v_add_co_u32 v86, vcc_lo, s4, v3
	v_add_co_ci_u32_e64 v87, null, s5, v4, vcc_lo
	v_lshlrev_b64 v[3:4], 3, v[7:8]
	v_add_nc_u32_e32 v7, s15, v5
	v_ashrrev_i32_e32 v6, 31, v5
	v_add_co_u32 v88, vcc_lo, s4, v1
	v_add_co_ci_u32_e64 v89, null, s5, v2, vcc_lo
	v_ashrrev_i32_e32 v8, 31, v7
	v_lshlrev_b64 v[1:2], 3, v[5:6]
	v_add_nc_u32_e32 v5, s15, v7
	v_add_co_u32 v90, vcc_lo, s4, v3
	v_add_co_ci_u32_e64 v91, null, s5, v4, vcc_lo
	v_lshlrev_b64 v[3:4], 3, v[7:8]
	v_ashrrev_i32_e32 v6, 31, v5
	v_add_co_u32 v92, vcc_lo, s4, v1
	v_add_co_ci_u32_e64 v93, null, s5, v2, vcc_lo
	v_add_co_u32 v94, vcc_lo, s4, v3
	v_lshlrev_b64 v[1:2], 3, v[5:6]
	v_add_co_ci_u32_e64 v95, null, s5, v4, vcc_lo
	v_add_nc_u32_e32 v4, s15, v5
	v_lshlrev_b32_e32 v3, 3, v0
	s_mov_b32 s12, s15
	v_add_co_u32 v96, vcc_lo, s4, v1
	v_add_nc_u32_e32 v1, s15, v4
	v_ashrrev_i32_e32 v5, 31, v4
	v_add_co_ci_u32_e64 v97, null, s5, v2, vcc_lo
	v_add_co_u32 v100, s9, s4, v3
	v_add_nc_u32_e32 v6, s15, v1
	v_ashrrev_i32_e32 v2, 31, v1
	v_lshlrev_b64 v[4:5], 3, v[4:5]
	v_add_co_ci_u32_e64 v101, null, s5, 0, s9
	v_add_nc_u32_e32 v108, s15, v6
	v_ashrrev_i32_e32 v7, 31, v6
	s_lshl_b64 s[12:13], s[12:13], 3
	v_lshlrev_b64 v[1:2], 3, v[1:2]
	v_add_co_u32 v102, vcc_lo, v100, s12
	v_add_nc_u32_e32 v110, s15, v108
	v_ashrrev_i32_e32 v109, 31, v108
	v_lshlrev_b64 v[6:7], 3, v[6:7]
	v_add_co_ci_u32_e64 v103, null, s13, v101, vcc_lo
	v_add_nc_u32_e32 v112, s15, v110
	v_ashrrev_i32_e32 v111, 31, v110
	v_add_co_u32 v98, vcc_lo, s4, v4
	v_lshlrev_b64 v[108:109], 3, v[108:109]
	v_add_nc_u32_e32 v114, s15, v112
	v_ashrrev_i32_e32 v113, 31, v112
	v_add_co_ci_u32_e64 v99, null, s5, v5, vcc_lo
	v_add_co_u32 v104, vcc_lo, s4, v1
	v_add_nc_u32_e32 v116, s15, v114
	v_ashrrev_i32_e32 v115, 31, v114
	v_lshlrev_b64 v[110:111], 3, v[110:111]
	v_add_co_ci_u32_e64 v105, null, s5, v2, vcc_lo
	v_ashrrev_i32_e32 v117, 31, v116
	v_add_co_u32 v106, vcc_lo, s4, v6
	v_lshlrev_b64 v[112:113], 3, v[112:113]
	v_add_co_ci_u32_e64 v107, null, s5, v7, vcc_lo
	v_add_co_u32 v108, vcc_lo, s4, v108
	v_lshlrev_b64 v[114:115], 3, v[114:115]
	v_add_co_ci_u32_e64 v109, null, s5, v109, vcc_lo
	;; [unrolled: 3-line block ×3, first 2 shown]
	v_add_co_u32 v112, vcc_lo, s4, v112
	v_add_co_ci_u32_e64 v113, null, s5, v113, vcc_lo
	v_add_co_u32 v114, vcc_lo, s4, v114
	v_add_co_ci_u32_e64 v115, null, s5, v115, vcc_lo
	;; [unrolled: 2-line block ×3, first 2 shown]
	s_clause 0x34
	global_load_dwordx2 v[8:9], v3, s[4:5]
	global_load_dwordx2 v[10:11], v[102:103], off
	global_load_dwordx2 v[118:119], v[12:13], off
	;; [unrolled: 1-line block ×52, first 2 shown]
	s_mov_b32 s5, -1
	s_bitcmp0_b32 s8, 0
	s_waitcnt vmcnt(52)
	buffer_store_dword v9, off, s[0:3], 0 offset:4
	buffer_store_dword v8, off, s[0:3], 0
	s_waitcnt vmcnt(51)
	buffer_store_dword v11, off, s[0:3], 0 offset:12
	buffer_store_dword v10, off, s[0:3], 0 offset:8
	s_waitcnt vmcnt(50)
	buffer_store_dword v119, off, s[0:3], 0 offset:20
	buffer_store_dword v118, off, s[0:3], 0 offset:16
	;; [unrolled: 3-line block ×52, first 2 shown]
	s_cbranch_scc1 .LBB52_224
; %bb.4:
	v_cmp_eq_u32_e64 s4, 0, v0
	s_and_saveexec_b32 s5, s4
; %bb.5:
	v_mov_b32_e32 v1, 0
	ds_write_b32 v1, v1 offset:424
; %bb.6:
	s_or_b32 exec_lo, exec_lo, s5
	v_lshl_add_u32 v5, v0, 3, 0
	s_waitcnt lgkmcnt(0)
	s_waitcnt_vscnt null, 0x0
	s_barrier
	buffer_gl0_inv
	s_clause 0x1
	buffer_load_dword v1, v5, s[0:3], 0 offen
	buffer_load_dword v2, v5, s[0:3], 0 offen offset:4
	s_waitcnt vmcnt(1)
	v_cmp_eq_f32_e32 vcc_lo, 0, v1
	s_waitcnt vmcnt(0)
	v_cmp_eq_f32_e64 s5, 0, v2
	s_and_b32 s5, vcc_lo, s5
	s_and_saveexec_b32 s8, s5
	s_cbranch_execz .LBB52_10
; %bb.7:
	v_mov_b32_e32 v1, 0
	s_mov_b32 s9, 0
	ds_read_b32 v2, v1 offset:424
	s_waitcnt lgkmcnt(0)
	v_readfirstlane_b32 s5, v2
	v_add_nc_u32_e32 v2, 1, v0
	s_cmp_eq_u32 s5, 0
	v_cmp_gt_i32_e32 vcc_lo, s5, v2
	s_cselect_b32 s12, -1, 0
	s_or_b32 s12, s12, vcc_lo
	s_and_b32 exec_lo, exec_lo, s12
	s_cbranch_execz .LBB52_10
; %bb.8:
	v_mov_b32_e32 v4, s5
.LBB52_9:                               ; =>This Inner Loop Header: Depth=1
	ds_cmpst_rtn_b32 v4, v1, v4, v2 offset:424
	s_waitcnt lgkmcnt(0)
	v_cmp_ne_u32_e32 vcc_lo, 0, v4
	v_cmp_le_i32_e64 s5, v4, v2
	s_and_b32 s5, vcc_lo, s5
	s_and_b32 s5, exec_lo, s5
	s_or_b32 s9, s5, s9
	s_andn2_b32 exec_lo, exec_lo, s9
	s_cbranch_execnz .LBB52_9
.LBB52_10:
	s_or_b32 exec_lo, exec_lo, s8
	v_mov_b32_e32 v1, 0
	s_barrier
	buffer_gl0_inv
	ds_read_b32 v2, v1 offset:424
	s_and_saveexec_b32 s5, s4
	s_cbranch_execz .LBB52_12
; %bb.11:
	s_lshl_b64 s[8:9], s[6:7], 2
	s_add_u32 s8, s10, s8
	s_addc_u32 s9, s11, s9
	s_waitcnt lgkmcnt(0)
	global_store_dword v1, v2, s[8:9]
.LBB52_12:
	s_or_b32 exec_lo, exec_lo, s5
	s_waitcnt lgkmcnt(0)
	v_cmp_ne_u32_e32 vcc_lo, 0, v2
	s_mov_b32 s5, 0
	s_cbranch_vccnz .LBB52_224
; %bb.13:
	s_clause 0x1
	buffer_load_dword v2, v5, s[0:3], 0 offen
	buffer_load_dword v4, v5, s[0:3], 0 offen offset:4
                                        ; implicit-def: $vgpr7
                                        ; implicit-def: $vgpr6
                                        ; implicit-def: $vgpr1
	s_waitcnt vmcnt(0)
	v_cmp_ngt_f32_e64 s5, |v2|, |v4|
	s_and_saveexec_b32 s8, s5
	s_xor_b32 s5, exec_lo, s8
	s_cbranch_execz .LBB52_15
; %bb.14:
	v_div_scale_f32 v1, null, v4, v4, v2
	v_div_scale_f32 v8, vcc_lo, v2, v4, v2
	v_rcp_f32_e32 v6, v1
	v_fma_f32 v7, -v1, v6, 1.0
	v_fmac_f32_e32 v6, v7, v6
	v_mul_f32_e32 v7, v8, v6
	v_fma_f32 v9, -v1, v7, v8
	v_fmac_f32_e32 v7, v9, v6
	v_fma_f32 v1, -v1, v7, v8
	v_div_fmas_f32 v1, v1, v6, v7
	v_div_fixup_f32 v1, v1, v4, v2
	v_fmac_f32_e32 v4, v2, v1
	v_div_scale_f32 v2, null, v4, v4, 1.0
	v_rcp_f32_e32 v6, v2
	v_fma_f32 v7, -v2, v6, 1.0
	v_fmac_f32_e32 v6, v7, v6
	v_div_scale_f32 v7, vcc_lo, 1.0, v4, 1.0
	v_mul_f32_e32 v8, v7, v6
	v_fma_f32 v9, -v2, v8, v7
	v_fmac_f32_e32 v8, v9, v6
	v_fma_f32 v2, -v2, v8, v7
	v_div_fmas_f32 v2, v2, v6, v8
	v_div_fixup_f32 v2, v2, v4, 1.0
                                        ; implicit-def: $vgpr4
	v_mul_f32_e32 v7, v1, v2
	v_xor_b32_e32 v6, 0x80000000, v2
                                        ; implicit-def: $vgpr2
	v_xor_b32_e32 v1, 0x80000000, v7
.LBB52_15:
	s_andn2_saveexec_b32 s5, s5
	s_cbranch_execz .LBB52_17
; %bb.16:
	v_div_scale_f32 v1, null, v2, v2, v4
	v_div_scale_f32 v8, vcc_lo, v4, v2, v4
	v_rcp_f32_e32 v6, v1
	v_fma_f32 v7, -v1, v6, 1.0
	v_fmac_f32_e32 v6, v7, v6
	v_mul_f32_e32 v7, v8, v6
	v_fma_f32 v9, -v1, v7, v8
	v_fmac_f32_e32 v7, v9, v6
	v_fma_f32 v1, -v1, v7, v8
	v_div_fmas_f32 v1, v1, v6, v7
	v_div_fixup_f32 v6, v1, v2, v4
	v_fmac_f32_e32 v2, v4, v6
	v_div_scale_f32 v1, null, v2, v2, 1.0
	v_div_scale_f32 v8, vcc_lo, 1.0, v2, 1.0
	v_rcp_f32_e32 v4, v1
	v_fma_f32 v7, -v1, v4, 1.0
	v_fmac_f32_e32 v4, v7, v4
	v_mul_f32_e32 v7, v8, v4
	v_fma_f32 v9, -v1, v7, v8
	v_fmac_f32_e32 v7, v9, v4
	v_fma_f32 v1, -v1, v7, v8
	v_div_fmas_f32 v1, v1, v4, v7
	v_div_fixup_f32 v7, v1, v2, 1.0
	v_xor_b32_e32 v1, 0x80000000, v7
	v_mul_f32_e64 v6, v6, -v7
.LBB52_17:
	s_or_b32 exec_lo, exec_lo, s5
	buffer_store_dword v7, v5, s[0:3], 0 offen
	buffer_store_dword v6, v5, s[0:3], 0 offen offset:4
	s_clause 0x1
	buffer_load_dword v8, off, s[0:3], 0 offset:12
	buffer_load_dword v7, off, s[0:3], 0 offset:8
	v_xor_b32_e32 v2, 0x80000000, v6
	v_add_nc_u32_e32 v4, 0x1b0, v3
	s_waitcnt vmcnt(0)
	ds_write2_b64 v3, v[1:2], v[7:8] offset1:54
	s_waitcnt lgkmcnt(0)
	s_waitcnt_vscnt null, 0x0
	s_barrier
	buffer_gl0_inv
	s_and_saveexec_b32 s5, s4
	s_cbranch_execz .LBB52_19
; %bb.18:
	s_clause 0x1
	buffer_load_dword v8, v5, s[0:3], 0 offen offset:4
	buffer_load_dword v9, v5, s[0:3], 0 offen
	ds_read_b64 v[1:2], v4
	v_mov_b32_e32 v6, 0
	ds_read_b64 v[6:7], v6 offset:8
	s_waitcnt vmcnt(1) lgkmcnt(1)
	v_mul_f32_e32 v10, v1, v8
	v_mul_f32_e32 v8, v2, v8
	s_waitcnt vmcnt(0)
	v_fmac_f32_e32 v10, v2, v9
	v_fma_f32 v1, v1, v9, -v8
	v_add_f32_e32 v2, 0, v10
	v_add_f32_e32 v1, 0, v1
	s_waitcnt lgkmcnt(0)
	v_mul_f32_e32 v8, v2, v7
	v_mul_f32_e32 v7, v1, v7
	v_fma_f32 v1, v1, v6, -v8
	v_fmac_f32_e32 v7, v2, v6
	buffer_store_dword v1, off, s[0:3], 0 offset:8
	buffer_store_dword v7, off, s[0:3], 0 offset:12
.LBB52_19:
	s_or_b32 exec_lo, exec_lo, s5
	s_waitcnt_vscnt null, 0x0
	s_barrier
	buffer_gl0_inv
	s_clause 0x1
	buffer_load_dword v1, off, s[0:3], 0 offset:16
	buffer_load_dword v2, off, s[0:3], 0 offset:20
	s_mov_b32 s5, exec_lo
	s_waitcnt vmcnt(0)
	ds_write_b64 v4, v[1:2]
	s_waitcnt lgkmcnt(0)
	s_barrier
	buffer_gl0_inv
	v_cmpx_gt_u32_e32 2, v0
	s_cbranch_execz .LBB52_23
; %bb.20:
	s_clause 0x1
	buffer_load_dword v6, v5, s[0:3], 0 offen offset:4
	buffer_load_dword v5, v5, s[0:3], 0 offen
	ds_read_b64 v[1:2], v4
	s_waitcnt vmcnt(1) lgkmcnt(0)
	v_mul_f32_e32 v7, v2, v6
	v_mul_f32_e32 v6, v1, v6
	s_waitcnt vmcnt(0)
	v_fma_f32 v1, v1, v5, -v7
	v_fmac_f32_e32 v6, v2, v5
	v_add_f32_e32 v2, 0, v1
	v_add_f32_e32 v1, 0, v6
	s_and_saveexec_b32 s8, s4
	s_cbranch_execz .LBB52_22
; %bb.21:
	s_clause 0x1
	buffer_load_dword v7, off, s[0:3], 0 offset:12
	buffer_load_dword v8, off, s[0:3], 0 offset:8
	v_mov_b32_e32 v5, 0
	ds_read_b64 v[5:6], v5 offset:440
	s_waitcnt vmcnt(1) lgkmcnt(0)
	v_mul_f32_e32 v9, v5, v7
	v_mul_f32_e32 v7, v6, v7
	s_waitcnt vmcnt(0)
	v_fmac_f32_e32 v9, v6, v8
	v_fma_f32 v5, v5, v8, -v7
	v_add_f32_e32 v1, v1, v9
	v_add_f32_e32 v2, v2, v5
.LBB52_22:
	s_or_b32 exec_lo, exec_lo, s8
	v_mov_b32_e32 v5, 0
	ds_read_b64 v[5:6], v5 offset:16
	s_waitcnt lgkmcnt(0)
	v_mul_f32_e32 v7, v1, v6
	v_mul_f32_e32 v6, v2, v6
	v_fma_f32 v2, v2, v5, -v7
	v_fmac_f32_e32 v6, v1, v5
	buffer_store_dword v2, off, s[0:3], 0 offset:16
	buffer_store_dword v6, off, s[0:3], 0 offset:20
.LBB52_23:
	s_or_b32 exec_lo, exec_lo, s5
	s_waitcnt_vscnt null, 0x0
	s_barrier
	buffer_gl0_inv
	s_clause 0x1
	buffer_load_dword v5, off, s[0:3], 0 offset:24
	buffer_load_dword v6, off, s[0:3], 0 offset:28
	v_add_nc_u32_e32 v1, -1, v0
	s_mov_b32 s4, exec_lo
	s_waitcnt vmcnt(0)
	ds_write_b64 v4, v[5:6]
	s_waitcnt lgkmcnt(0)
	s_barrier
	buffer_gl0_inv
	v_cmpx_gt_u32_e32 3, v0
	s_cbranch_execz .LBB52_27
; %bb.24:
	v_add_nc_u32_e32 v5, -1, v0
	v_add_nc_u32_e32 v6, 0x1b0, v3
	v_mov_b32_e32 v7, v3
	v_mov_b32_e32 v2, 0
	;; [unrolled: 1-line block ×3, first 2 shown]
	s_mov_b32 s5, 0
	.p2align	6
.LBB52_25:                              ; =>This Inner Loop Header: Depth=1
	s_clause 0x1
	buffer_load_dword v11, v7, s[0:3], 0 offen offset:4
	buffer_load_dword v118, v7, s[0:3], 0 offen
	ds_read_b64 v[9:10], v6
	v_add_nc_u32_e32 v5, 1, v5
	v_add_nc_u32_e32 v6, 8, v6
	v_add_nc_u32_e32 v7, 8, v7
	v_cmp_lt_u32_e32 vcc_lo, 1, v5
	s_or_b32 s5, vcc_lo, s5
	s_waitcnt vmcnt(1) lgkmcnt(0)
	v_mul_f32_e32 v119, v10, v11
	v_mul_f32_e32 v11, v9, v11
	s_waitcnt vmcnt(0)
	v_fma_f32 v9, v9, v118, -v119
	v_fmac_f32_e32 v11, v10, v118
	v_add_f32_e32 v8, v8, v9
	v_add_f32_e32 v2, v2, v11
	s_andn2_b32 exec_lo, exec_lo, s5
	s_cbranch_execnz .LBB52_25
; %bb.26:
	s_or_b32 exec_lo, exec_lo, s5
	v_mov_b32_e32 v5, 0
	ds_read_b64 v[5:6], v5 offset:24
	s_waitcnt lgkmcnt(0)
	v_mul_f32_e32 v7, v2, v6
	v_mul_f32_e32 v6, v8, v6
	v_fma_f32 v7, v8, v5, -v7
	v_fmac_f32_e32 v6, v2, v5
	buffer_store_dword v7, off, s[0:3], 0 offset:24
	buffer_store_dword v6, off, s[0:3], 0 offset:28
.LBB52_27:
	s_or_b32 exec_lo, exec_lo, s4
	s_waitcnt_vscnt null, 0x0
	s_barrier
	buffer_gl0_inv
	s_clause 0x1
	buffer_load_dword v5, off, s[0:3], 0 offset:32
	buffer_load_dword v6, off, s[0:3], 0 offset:36
	s_mov_b32 s4, exec_lo
	s_waitcnt vmcnt(0)
	ds_write_b64 v4, v[5:6]
	s_waitcnt lgkmcnt(0)
	s_barrier
	buffer_gl0_inv
	v_cmpx_gt_u32_e32 4, v0
	s_cbranch_execz .LBB52_31
; %bb.28:
	v_add_nc_u32_e32 v5, -1, v0
	v_add_nc_u32_e32 v6, 0x1b0, v3
	v_mov_b32_e32 v7, v3
	v_mov_b32_e32 v2, 0
	v_mov_b32_e32 v8, 0
	s_mov_b32 s5, 0
	.p2align	6
.LBB52_29:                              ; =>This Inner Loop Header: Depth=1
	s_clause 0x1
	buffer_load_dword v11, v7, s[0:3], 0 offen offset:4
	buffer_load_dword v118, v7, s[0:3], 0 offen
	ds_read_b64 v[9:10], v6
	v_add_nc_u32_e32 v5, 1, v5
	v_add_nc_u32_e32 v6, 8, v6
	;; [unrolled: 1-line block ×3, first 2 shown]
	v_cmp_lt_u32_e32 vcc_lo, 2, v5
	s_or_b32 s5, vcc_lo, s5
	s_waitcnt vmcnt(1) lgkmcnt(0)
	v_mul_f32_e32 v119, v10, v11
	v_mul_f32_e32 v11, v9, v11
	s_waitcnt vmcnt(0)
	v_fma_f32 v9, v9, v118, -v119
	v_fmac_f32_e32 v11, v10, v118
	v_add_f32_e32 v8, v8, v9
	v_add_f32_e32 v2, v2, v11
	s_andn2_b32 exec_lo, exec_lo, s5
	s_cbranch_execnz .LBB52_29
; %bb.30:
	s_or_b32 exec_lo, exec_lo, s5
	v_mov_b32_e32 v5, 0
	ds_read_b64 v[5:6], v5 offset:32
	s_waitcnt lgkmcnt(0)
	v_mul_f32_e32 v7, v2, v6
	v_mul_f32_e32 v6, v8, v6
	v_fma_f32 v7, v8, v5, -v7
	v_fmac_f32_e32 v6, v2, v5
	buffer_store_dword v7, off, s[0:3], 0 offset:32
	buffer_store_dword v6, off, s[0:3], 0 offset:36
.LBB52_31:
	s_or_b32 exec_lo, exec_lo, s4
	s_waitcnt_vscnt null, 0x0
	s_barrier
	buffer_gl0_inv
	s_clause 0x1
	buffer_load_dword v5, off, s[0:3], 0 offset:40
	buffer_load_dword v6, off, s[0:3], 0 offset:44
	s_mov_b32 s4, exec_lo
	s_waitcnt vmcnt(0)
	ds_write_b64 v4, v[5:6]
	s_waitcnt lgkmcnt(0)
	s_barrier
	buffer_gl0_inv
	v_cmpx_gt_u32_e32 5, v0
	s_cbranch_execz .LBB52_35
; %bb.32:
	v_add_nc_u32_e32 v5, -1, v0
	v_add_nc_u32_e32 v6, 0x1b0, v3
	v_mov_b32_e32 v7, v3
	v_mov_b32_e32 v2, 0
	v_mov_b32_e32 v8, 0
	s_mov_b32 s5, 0
	.p2align	6
.LBB52_33:                              ; =>This Inner Loop Header: Depth=1
	s_clause 0x1
	buffer_load_dword v11, v7, s[0:3], 0 offen offset:4
	buffer_load_dword v118, v7, s[0:3], 0 offen
	ds_read_b64 v[9:10], v6
	v_add_nc_u32_e32 v5, 1, v5
	v_add_nc_u32_e32 v6, 8, v6
	;; [unrolled: 1-line block ×3, first 2 shown]
	v_cmp_lt_u32_e32 vcc_lo, 3, v5
	s_or_b32 s5, vcc_lo, s5
	s_waitcnt vmcnt(1) lgkmcnt(0)
	v_mul_f32_e32 v119, v10, v11
	v_mul_f32_e32 v11, v9, v11
	s_waitcnt vmcnt(0)
	v_fma_f32 v9, v9, v118, -v119
	v_fmac_f32_e32 v11, v10, v118
	v_add_f32_e32 v8, v8, v9
	v_add_f32_e32 v2, v2, v11
	s_andn2_b32 exec_lo, exec_lo, s5
	s_cbranch_execnz .LBB52_33
; %bb.34:
	s_or_b32 exec_lo, exec_lo, s5
	v_mov_b32_e32 v5, 0
	ds_read_b64 v[5:6], v5 offset:40
	s_waitcnt lgkmcnt(0)
	v_mul_f32_e32 v7, v2, v6
	v_mul_f32_e32 v6, v8, v6
	v_fma_f32 v7, v8, v5, -v7
	v_fmac_f32_e32 v6, v2, v5
	buffer_store_dword v7, off, s[0:3], 0 offset:40
	buffer_store_dword v6, off, s[0:3], 0 offset:44
.LBB52_35:
	s_or_b32 exec_lo, exec_lo, s4
	s_waitcnt_vscnt null, 0x0
	s_barrier
	buffer_gl0_inv
	s_clause 0x1
	buffer_load_dword v5, off, s[0:3], 0 offset:48
	buffer_load_dword v6, off, s[0:3], 0 offset:52
	s_mov_b32 s4, exec_lo
	s_waitcnt vmcnt(0)
	ds_write_b64 v4, v[5:6]
	s_waitcnt lgkmcnt(0)
	s_barrier
	buffer_gl0_inv
	v_cmpx_gt_u32_e32 6, v0
	s_cbranch_execz .LBB52_39
; %bb.36:
	v_add_nc_u32_e32 v5, -1, v0
	v_add_nc_u32_e32 v6, 0x1b0, v3
	v_mov_b32_e32 v7, v3
	v_mov_b32_e32 v2, 0
	;; [unrolled: 1-line block ×3, first 2 shown]
	s_mov_b32 s5, 0
	.p2align	6
.LBB52_37:                              ; =>This Inner Loop Header: Depth=1
	s_clause 0x1
	buffer_load_dword v11, v7, s[0:3], 0 offen offset:4
	buffer_load_dword v118, v7, s[0:3], 0 offen
	ds_read_b64 v[9:10], v6
	v_add_nc_u32_e32 v5, 1, v5
	v_add_nc_u32_e32 v6, 8, v6
	;; [unrolled: 1-line block ×3, first 2 shown]
	v_cmp_lt_u32_e32 vcc_lo, 4, v5
	s_or_b32 s5, vcc_lo, s5
	s_waitcnt vmcnt(1) lgkmcnt(0)
	v_mul_f32_e32 v119, v10, v11
	v_mul_f32_e32 v11, v9, v11
	s_waitcnt vmcnt(0)
	v_fma_f32 v9, v9, v118, -v119
	v_fmac_f32_e32 v11, v10, v118
	v_add_f32_e32 v8, v8, v9
	v_add_f32_e32 v2, v2, v11
	s_andn2_b32 exec_lo, exec_lo, s5
	s_cbranch_execnz .LBB52_37
; %bb.38:
	s_or_b32 exec_lo, exec_lo, s5
	v_mov_b32_e32 v5, 0
	ds_read_b64 v[5:6], v5 offset:48
	s_waitcnt lgkmcnt(0)
	v_mul_f32_e32 v7, v2, v6
	v_mul_f32_e32 v6, v8, v6
	v_fma_f32 v7, v8, v5, -v7
	v_fmac_f32_e32 v6, v2, v5
	buffer_store_dword v7, off, s[0:3], 0 offset:48
	buffer_store_dword v6, off, s[0:3], 0 offset:52
.LBB52_39:
	s_or_b32 exec_lo, exec_lo, s4
	s_waitcnt_vscnt null, 0x0
	s_barrier
	buffer_gl0_inv
	s_clause 0x1
	buffer_load_dword v5, off, s[0:3], 0 offset:56
	buffer_load_dword v6, off, s[0:3], 0 offset:60
	s_mov_b32 s4, exec_lo
	s_waitcnt vmcnt(0)
	ds_write_b64 v4, v[5:6]
	s_waitcnt lgkmcnt(0)
	s_barrier
	buffer_gl0_inv
	v_cmpx_gt_u32_e32 7, v0
	s_cbranch_execz .LBB52_43
; %bb.40:
	v_add_nc_u32_e32 v5, -1, v0
	v_add_nc_u32_e32 v6, 0x1b0, v3
	v_mov_b32_e32 v7, v3
	v_mov_b32_e32 v2, 0
	;; [unrolled: 1-line block ×3, first 2 shown]
	s_mov_b32 s5, 0
	.p2align	6
.LBB52_41:                              ; =>This Inner Loop Header: Depth=1
	s_clause 0x1
	buffer_load_dword v11, v7, s[0:3], 0 offen offset:4
	buffer_load_dword v118, v7, s[0:3], 0 offen
	ds_read_b64 v[9:10], v6
	v_add_nc_u32_e32 v5, 1, v5
	v_add_nc_u32_e32 v6, 8, v6
	v_add_nc_u32_e32 v7, 8, v7
	v_cmp_lt_u32_e32 vcc_lo, 5, v5
	s_or_b32 s5, vcc_lo, s5
	s_waitcnt vmcnt(1) lgkmcnt(0)
	v_mul_f32_e32 v119, v10, v11
	v_mul_f32_e32 v11, v9, v11
	s_waitcnt vmcnt(0)
	v_fma_f32 v9, v9, v118, -v119
	v_fmac_f32_e32 v11, v10, v118
	v_add_f32_e32 v8, v8, v9
	v_add_f32_e32 v2, v2, v11
	s_andn2_b32 exec_lo, exec_lo, s5
	s_cbranch_execnz .LBB52_41
; %bb.42:
	s_or_b32 exec_lo, exec_lo, s5
	v_mov_b32_e32 v5, 0
	ds_read_b64 v[5:6], v5 offset:56
	s_waitcnt lgkmcnt(0)
	v_mul_f32_e32 v7, v2, v6
	v_mul_f32_e32 v6, v8, v6
	v_fma_f32 v7, v8, v5, -v7
	v_fmac_f32_e32 v6, v2, v5
	buffer_store_dword v7, off, s[0:3], 0 offset:56
	buffer_store_dword v6, off, s[0:3], 0 offset:60
.LBB52_43:
	s_or_b32 exec_lo, exec_lo, s4
	s_waitcnt_vscnt null, 0x0
	s_barrier
	buffer_gl0_inv
	s_clause 0x1
	buffer_load_dword v5, off, s[0:3], 0 offset:64
	buffer_load_dword v6, off, s[0:3], 0 offset:68
	s_mov_b32 s4, exec_lo
	s_waitcnt vmcnt(0)
	ds_write_b64 v4, v[5:6]
	s_waitcnt lgkmcnt(0)
	s_barrier
	buffer_gl0_inv
	v_cmpx_gt_u32_e32 8, v0
	s_cbranch_execz .LBB52_47
; %bb.44:
	v_add_nc_u32_e32 v5, -1, v0
	v_add_nc_u32_e32 v6, 0x1b0, v3
	v_mov_b32_e32 v7, v3
	v_mov_b32_e32 v2, 0
	;; [unrolled: 1-line block ×3, first 2 shown]
	s_mov_b32 s5, 0
	.p2align	6
.LBB52_45:                              ; =>This Inner Loop Header: Depth=1
	s_clause 0x1
	buffer_load_dword v11, v7, s[0:3], 0 offen offset:4
	buffer_load_dword v118, v7, s[0:3], 0 offen
	ds_read_b64 v[9:10], v6
	v_add_nc_u32_e32 v5, 1, v5
	v_add_nc_u32_e32 v6, 8, v6
	;; [unrolled: 1-line block ×3, first 2 shown]
	v_cmp_lt_u32_e32 vcc_lo, 6, v5
	s_or_b32 s5, vcc_lo, s5
	s_waitcnt vmcnt(1) lgkmcnt(0)
	v_mul_f32_e32 v119, v10, v11
	v_mul_f32_e32 v11, v9, v11
	s_waitcnt vmcnt(0)
	v_fma_f32 v9, v9, v118, -v119
	v_fmac_f32_e32 v11, v10, v118
	v_add_f32_e32 v8, v8, v9
	v_add_f32_e32 v2, v2, v11
	s_andn2_b32 exec_lo, exec_lo, s5
	s_cbranch_execnz .LBB52_45
; %bb.46:
	s_or_b32 exec_lo, exec_lo, s5
	v_mov_b32_e32 v5, 0
	ds_read_b64 v[5:6], v5 offset:64
	s_waitcnt lgkmcnt(0)
	v_mul_f32_e32 v7, v2, v6
	v_mul_f32_e32 v6, v8, v6
	v_fma_f32 v7, v8, v5, -v7
	v_fmac_f32_e32 v6, v2, v5
	buffer_store_dword v7, off, s[0:3], 0 offset:64
	buffer_store_dword v6, off, s[0:3], 0 offset:68
.LBB52_47:
	s_or_b32 exec_lo, exec_lo, s4
	s_waitcnt_vscnt null, 0x0
	s_barrier
	buffer_gl0_inv
	s_clause 0x1
	buffer_load_dword v5, off, s[0:3], 0 offset:72
	buffer_load_dword v6, off, s[0:3], 0 offset:76
	s_mov_b32 s4, exec_lo
	s_waitcnt vmcnt(0)
	ds_write_b64 v4, v[5:6]
	s_waitcnt lgkmcnt(0)
	s_barrier
	buffer_gl0_inv
	v_cmpx_gt_u32_e32 9, v0
	s_cbranch_execz .LBB52_51
; %bb.48:
	v_add_nc_u32_e32 v5, -1, v0
	v_add_nc_u32_e32 v6, 0x1b0, v3
	v_mov_b32_e32 v7, v3
	v_mov_b32_e32 v2, 0
	;; [unrolled: 1-line block ×3, first 2 shown]
	s_mov_b32 s5, 0
	.p2align	6
.LBB52_49:                              ; =>This Inner Loop Header: Depth=1
	s_clause 0x1
	buffer_load_dword v11, v7, s[0:3], 0 offen offset:4
	buffer_load_dword v118, v7, s[0:3], 0 offen
	ds_read_b64 v[9:10], v6
	v_add_nc_u32_e32 v5, 1, v5
	v_add_nc_u32_e32 v6, 8, v6
	;; [unrolled: 1-line block ×3, first 2 shown]
	v_cmp_lt_u32_e32 vcc_lo, 7, v5
	s_or_b32 s5, vcc_lo, s5
	s_waitcnt vmcnt(1) lgkmcnt(0)
	v_mul_f32_e32 v119, v10, v11
	v_mul_f32_e32 v11, v9, v11
	s_waitcnt vmcnt(0)
	v_fma_f32 v9, v9, v118, -v119
	v_fmac_f32_e32 v11, v10, v118
	v_add_f32_e32 v8, v8, v9
	v_add_f32_e32 v2, v2, v11
	s_andn2_b32 exec_lo, exec_lo, s5
	s_cbranch_execnz .LBB52_49
; %bb.50:
	s_or_b32 exec_lo, exec_lo, s5
	v_mov_b32_e32 v5, 0
	ds_read_b64 v[5:6], v5 offset:72
	s_waitcnt lgkmcnt(0)
	v_mul_f32_e32 v7, v2, v6
	v_mul_f32_e32 v6, v8, v6
	v_fma_f32 v7, v8, v5, -v7
	v_fmac_f32_e32 v6, v2, v5
	buffer_store_dword v7, off, s[0:3], 0 offset:72
	buffer_store_dword v6, off, s[0:3], 0 offset:76
.LBB52_51:
	s_or_b32 exec_lo, exec_lo, s4
	s_waitcnt_vscnt null, 0x0
	s_barrier
	buffer_gl0_inv
	s_clause 0x1
	buffer_load_dword v5, off, s[0:3], 0 offset:80
	buffer_load_dword v6, off, s[0:3], 0 offset:84
	s_mov_b32 s4, exec_lo
	s_waitcnt vmcnt(0)
	ds_write_b64 v4, v[5:6]
	s_waitcnt lgkmcnt(0)
	s_barrier
	buffer_gl0_inv
	v_cmpx_gt_u32_e32 10, v0
	s_cbranch_execz .LBB52_55
; %bb.52:
	v_add_nc_u32_e32 v5, -1, v0
	v_add_nc_u32_e32 v6, 0x1b0, v3
	v_mov_b32_e32 v7, v3
	v_mov_b32_e32 v2, 0
	;; [unrolled: 1-line block ×3, first 2 shown]
	s_mov_b32 s5, 0
	.p2align	6
.LBB52_53:                              ; =>This Inner Loop Header: Depth=1
	s_clause 0x1
	buffer_load_dword v11, v7, s[0:3], 0 offen offset:4
	buffer_load_dword v118, v7, s[0:3], 0 offen
	ds_read_b64 v[9:10], v6
	v_add_nc_u32_e32 v5, 1, v5
	v_add_nc_u32_e32 v6, 8, v6
	;; [unrolled: 1-line block ×3, first 2 shown]
	v_cmp_lt_u32_e32 vcc_lo, 8, v5
	s_or_b32 s5, vcc_lo, s5
	s_waitcnt vmcnt(1) lgkmcnt(0)
	v_mul_f32_e32 v119, v10, v11
	v_mul_f32_e32 v11, v9, v11
	s_waitcnt vmcnt(0)
	v_fma_f32 v9, v9, v118, -v119
	v_fmac_f32_e32 v11, v10, v118
	v_add_f32_e32 v8, v8, v9
	v_add_f32_e32 v2, v2, v11
	s_andn2_b32 exec_lo, exec_lo, s5
	s_cbranch_execnz .LBB52_53
; %bb.54:
	s_or_b32 exec_lo, exec_lo, s5
	v_mov_b32_e32 v5, 0
	ds_read_b64 v[5:6], v5 offset:80
	s_waitcnt lgkmcnt(0)
	v_mul_f32_e32 v7, v2, v6
	v_mul_f32_e32 v6, v8, v6
	v_fma_f32 v7, v8, v5, -v7
	v_fmac_f32_e32 v6, v2, v5
	buffer_store_dword v7, off, s[0:3], 0 offset:80
	buffer_store_dword v6, off, s[0:3], 0 offset:84
.LBB52_55:
	s_or_b32 exec_lo, exec_lo, s4
	s_waitcnt_vscnt null, 0x0
	s_barrier
	buffer_gl0_inv
	s_clause 0x1
	buffer_load_dword v5, off, s[0:3], 0 offset:88
	buffer_load_dword v6, off, s[0:3], 0 offset:92
	s_mov_b32 s4, exec_lo
	s_waitcnt vmcnt(0)
	ds_write_b64 v4, v[5:6]
	s_waitcnt lgkmcnt(0)
	s_barrier
	buffer_gl0_inv
	v_cmpx_gt_u32_e32 11, v0
	s_cbranch_execz .LBB52_59
; %bb.56:
	v_add_nc_u32_e32 v5, -1, v0
	v_add_nc_u32_e32 v6, 0x1b0, v3
	v_mov_b32_e32 v7, v3
	v_mov_b32_e32 v2, 0
	;; [unrolled: 1-line block ×3, first 2 shown]
	s_mov_b32 s5, 0
	.p2align	6
.LBB52_57:                              ; =>This Inner Loop Header: Depth=1
	s_clause 0x1
	buffer_load_dword v11, v7, s[0:3], 0 offen offset:4
	buffer_load_dword v118, v7, s[0:3], 0 offen
	ds_read_b64 v[9:10], v6
	v_add_nc_u32_e32 v5, 1, v5
	v_add_nc_u32_e32 v6, 8, v6
	;; [unrolled: 1-line block ×3, first 2 shown]
	v_cmp_lt_u32_e32 vcc_lo, 9, v5
	s_or_b32 s5, vcc_lo, s5
	s_waitcnt vmcnt(1) lgkmcnt(0)
	v_mul_f32_e32 v119, v10, v11
	v_mul_f32_e32 v11, v9, v11
	s_waitcnt vmcnt(0)
	v_fma_f32 v9, v9, v118, -v119
	v_fmac_f32_e32 v11, v10, v118
	v_add_f32_e32 v8, v8, v9
	v_add_f32_e32 v2, v2, v11
	s_andn2_b32 exec_lo, exec_lo, s5
	s_cbranch_execnz .LBB52_57
; %bb.58:
	s_or_b32 exec_lo, exec_lo, s5
	v_mov_b32_e32 v5, 0
	ds_read_b64 v[5:6], v5 offset:88
	s_waitcnt lgkmcnt(0)
	v_mul_f32_e32 v7, v2, v6
	v_mul_f32_e32 v6, v8, v6
	v_fma_f32 v7, v8, v5, -v7
	v_fmac_f32_e32 v6, v2, v5
	buffer_store_dword v7, off, s[0:3], 0 offset:88
	buffer_store_dword v6, off, s[0:3], 0 offset:92
.LBB52_59:
	s_or_b32 exec_lo, exec_lo, s4
	s_waitcnt_vscnt null, 0x0
	s_barrier
	buffer_gl0_inv
	s_clause 0x1
	buffer_load_dword v5, off, s[0:3], 0 offset:96
	buffer_load_dword v6, off, s[0:3], 0 offset:100
	s_mov_b32 s4, exec_lo
	s_waitcnt vmcnt(0)
	ds_write_b64 v4, v[5:6]
	s_waitcnt lgkmcnt(0)
	s_barrier
	buffer_gl0_inv
	v_cmpx_gt_u32_e32 12, v0
	s_cbranch_execz .LBB52_63
; %bb.60:
	v_add_nc_u32_e32 v5, -1, v0
	v_add_nc_u32_e32 v6, 0x1b0, v3
	v_mov_b32_e32 v7, v3
	v_mov_b32_e32 v2, 0
	;; [unrolled: 1-line block ×3, first 2 shown]
	s_mov_b32 s5, 0
	.p2align	6
.LBB52_61:                              ; =>This Inner Loop Header: Depth=1
	s_clause 0x1
	buffer_load_dword v11, v7, s[0:3], 0 offen offset:4
	buffer_load_dword v118, v7, s[0:3], 0 offen
	ds_read_b64 v[9:10], v6
	v_add_nc_u32_e32 v5, 1, v5
	v_add_nc_u32_e32 v6, 8, v6
	;; [unrolled: 1-line block ×3, first 2 shown]
	v_cmp_lt_u32_e32 vcc_lo, 10, v5
	s_or_b32 s5, vcc_lo, s5
	s_waitcnt vmcnt(1) lgkmcnt(0)
	v_mul_f32_e32 v119, v10, v11
	v_mul_f32_e32 v11, v9, v11
	s_waitcnt vmcnt(0)
	v_fma_f32 v9, v9, v118, -v119
	v_fmac_f32_e32 v11, v10, v118
	v_add_f32_e32 v8, v8, v9
	v_add_f32_e32 v2, v2, v11
	s_andn2_b32 exec_lo, exec_lo, s5
	s_cbranch_execnz .LBB52_61
; %bb.62:
	s_or_b32 exec_lo, exec_lo, s5
	v_mov_b32_e32 v5, 0
	ds_read_b64 v[5:6], v5 offset:96
	s_waitcnt lgkmcnt(0)
	v_mul_f32_e32 v7, v2, v6
	v_mul_f32_e32 v6, v8, v6
	v_fma_f32 v7, v8, v5, -v7
	v_fmac_f32_e32 v6, v2, v5
	buffer_store_dword v7, off, s[0:3], 0 offset:96
	buffer_store_dword v6, off, s[0:3], 0 offset:100
.LBB52_63:
	s_or_b32 exec_lo, exec_lo, s4
	s_waitcnt_vscnt null, 0x0
	s_barrier
	buffer_gl0_inv
	s_clause 0x1
	buffer_load_dword v5, off, s[0:3], 0 offset:104
	buffer_load_dword v6, off, s[0:3], 0 offset:108
	s_mov_b32 s4, exec_lo
	s_waitcnt vmcnt(0)
	ds_write_b64 v4, v[5:6]
	s_waitcnt lgkmcnt(0)
	s_barrier
	buffer_gl0_inv
	v_cmpx_gt_u32_e32 13, v0
	s_cbranch_execz .LBB52_67
; %bb.64:
	v_add_nc_u32_e32 v5, -1, v0
	v_add_nc_u32_e32 v6, 0x1b0, v3
	v_mov_b32_e32 v7, v3
	v_mov_b32_e32 v2, 0
	;; [unrolled: 1-line block ×3, first 2 shown]
	s_mov_b32 s5, 0
	.p2align	6
.LBB52_65:                              ; =>This Inner Loop Header: Depth=1
	s_clause 0x1
	buffer_load_dword v11, v7, s[0:3], 0 offen offset:4
	buffer_load_dword v118, v7, s[0:3], 0 offen
	ds_read_b64 v[9:10], v6
	v_add_nc_u32_e32 v5, 1, v5
	v_add_nc_u32_e32 v6, 8, v6
	;; [unrolled: 1-line block ×3, first 2 shown]
	v_cmp_lt_u32_e32 vcc_lo, 11, v5
	s_or_b32 s5, vcc_lo, s5
	s_waitcnt vmcnt(1) lgkmcnt(0)
	v_mul_f32_e32 v119, v10, v11
	v_mul_f32_e32 v11, v9, v11
	s_waitcnt vmcnt(0)
	v_fma_f32 v9, v9, v118, -v119
	v_fmac_f32_e32 v11, v10, v118
	v_add_f32_e32 v8, v8, v9
	v_add_f32_e32 v2, v2, v11
	s_andn2_b32 exec_lo, exec_lo, s5
	s_cbranch_execnz .LBB52_65
; %bb.66:
	s_or_b32 exec_lo, exec_lo, s5
	v_mov_b32_e32 v5, 0
	ds_read_b64 v[5:6], v5 offset:104
	s_waitcnt lgkmcnt(0)
	v_mul_f32_e32 v7, v2, v6
	v_mul_f32_e32 v6, v8, v6
	v_fma_f32 v7, v8, v5, -v7
	v_fmac_f32_e32 v6, v2, v5
	buffer_store_dword v7, off, s[0:3], 0 offset:104
	buffer_store_dword v6, off, s[0:3], 0 offset:108
.LBB52_67:
	s_or_b32 exec_lo, exec_lo, s4
	s_waitcnt_vscnt null, 0x0
	s_barrier
	buffer_gl0_inv
	s_clause 0x1
	buffer_load_dword v5, off, s[0:3], 0 offset:112
	buffer_load_dword v6, off, s[0:3], 0 offset:116
	s_mov_b32 s4, exec_lo
	s_waitcnt vmcnt(0)
	ds_write_b64 v4, v[5:6]
	s_waitcnt lgkmcnt(0)
	s_barrier
	buffer_gl0_inv
	v_cmpx_gt_u32_e32 14, v0
	s_cbranch_execz .LBB52_71
; %bb.68:
	v_add_nc_u32_e32 v5, -1, v0
	v_add_nc_u32_e32 v6, 0x1b0, v3
	v_mov_b32_e32 v7, v3
	v_mov_b32_e32 v2, 0
	;; [unrolled: 1-line block ×3, first 2 shown]
	s_mov_b32 s5, 0
	.p2align	6
.LBB52_69:                              ; =>This Inner Loop Header: Depth=1
	s_clause 0x1
	buffer_load_dword v11, v7, s[0:3], 0 offen offset:4
	buffer_load_dword v118, v7, s[0:3], 0 offen
	ds_read_b64 v[9:10], v6
	v_add_nc_u32_e32 v5, 1, v5
	v_add_nc_u32_e32 v6, 8, v6
	;; [unrolled: 1-line block ×3, first 2 shown]
	v_cmp_lt_u32_e32 vcc_lo, 12, v5
	s_or_b32 s5, vcc_lo, s5
	s_waitcnt vmcnt(1) lgkmcnt(0)
	v_mul_f32_e32 v119, v10, v11
	v_mul_f32_e32 v11, v9, v11
	s_waitcnt vmcnt(0)
	v_fma_f32 v9, v9, v118, -v119
	v_fmac_f32_e32 v11, v10, v118
	v_add_f32_e32 v8, v8, v9
	v_add_f32_e32 v2, v2, v11
	s_andn2_b32 exec_lo, exec_lo, s5
	s_cbranch_execnz .LBB52_69
; %bb.70:
	s_or_b32 exec_lo, exec_lo, s5
	v_mov_b32_e32 v5, 0
	ds_read_b64 v[5:6], v5 offset:112
	s_waitcnt lgkmcnt(0)
	v_mul_f32_e32 v7, v2, v6
	v_mul_f32_e32 v6, v8, v6
	v_fma_f32 v7, v8, v5, -v7
	v_fmac_f32_e32 v6, v2, v5
	buffer_store_dword v7, off, s[0:3], 0 offset:112
	buffer_store_dword v6, off, s[0:3], 0 offset:116
.LBB52_71:
	s_or_b32 exec_lo, exec_lo, s4
	s_waitcnt_vscnt null, 0x0
	s_barrier
	buffer_gl0_inv
	s_clause 0x1
	buffer_load_dword v5, off, s[0:3], 0 offset:120
	buffer_load_dword v6, off, s[0:3], 0 offset:124
	s_mov_b32 s4, exec_lo
	s_waitcnt vmcnt(0)
	ds_write_b64 v4, v[5:6]
	s_waitcnt lgkmcnt(0)
	s_barrier
	buffer_gl0_inv
	v_cmpx_gt_u32_e32 15, v0
	s_cbranch_execz .LBB52_75
; %bb.72:
	v_add_nc_u32_e32 v5, -1, v0
	v_add_nc_u32_e32 v6, 0x1b0, v3
	v_mov_b32_e32 v7, v3
	v_mov_b32_e32 v2, 0
	v_mov_b32_e32 v8, 0
	s_mov_b32 s5, 0
	.p2align	6
.LBB52_73:                              ; =>This Inner Loop Header: Depth=1
	s_clause 0x1
	buffer_load_dword v11, v7, s[0:3], 0 offen offset:4
	buffer_load_dword v118, v7, s[0:3], 0 offen
	ds_read_b64 v[9:10], v6
	v_add_nc_u32_e32 v5, 1, v5
	v_add_nc_u32_e32 v6, 8, v6
	;; [unrolled: 1-line block ×3, first 2 shown]
	v_cmp_lt_u32_e32 vcc_lo, 13, v5
	s_or_b32 s5, vcc_lo, s5
	s_waitcnt vmcnt(1) lgkmcnt(0)
	v_mul_f32_e32 v119, v10, v11
	v_mul_f32_e32 v11, v9, v11
	s_waitcnt vmcnt(0)
	v_fma_f32 v9, v9, v118, -v119
	v_fmac_f32_e32 v11, v10, v118
	v_add_f32_e32 v8, v8, v9
	v_add_f32_e32 v2, v2, v11
	s_andn2_b32 exec_lo, exec_lo, s5
	s_cbranch_execnz .LBB52_73
; %bb.74:
	s_or_b32 exec_lo, exec_lo, s5
	v_mov_b32_e32 v5, 0
	ds_read_b64 v[5:6], v5 offset:120
	s_waitcnt lgkmcnt(0)
	v_mul_f32_e32 v7, v2, v6
	v_mul_f32_e32 v6, v8, v6
	v_fma_f32 v7, v8, v5, -v7
	v_fmac_f32_e32 v6, v2, v5
	buffer_store_dword v7, off, s[0:3], 0 offset:120
	buffer_store_dword v6, off, s[0:3], 0 offset:124
.LBB52_75:
	s_or_b32 exec_lo, exec_lo, s4
	s_waitcnt_vscnt null, 0x0
	s_barrier
	buffer_gl0_inv
	s_clause 0x1
	buffer_load_dword v5, off, s[0:3], 0 offset:128
	buffer_load_dword v6, off, s[0:3], 0 offset:132
	s_mov_b32 s4, exec_lo
	s_waitcnt vmcnt(0)
	ds_write_b64 v4, v[5:6]
	s_waitcnt lgkmcnt(0)
	s_barrier
	buffer_gl0_inv
	v_cmpx_gt_u32_e32 16, v0
	s_cbranch_execz .LBB52_79
; %bb.76:
	v_add_nc_u32_e32 v5, -1, v0
	v_add_nc_u32_e32 v6, 0x1b0, v3
	v_mov_b32_e32 v7, v3
	v_mov_b32_e32 v2, 0
	;; [unrolled: 1-line block ×3, first 2 shown]
	s_mov_b32 s5, 0
	.p2align	6
.LBB52_77:                              ; =>This Inner Loop Header: Depth=1
	s_clause 0x1
	buffer_load_dword v11, v7, s[0:3], 0 offen offset:4
	buffer_load_dword v118, v7, s[0:3], 0 offen
	ds_read_b64 v[9:10], v6
	v_add_nc_u32_e32 v5, 1, v5
	v_add_nc_u32_e32 v6, 8, v6
	;; [unrolled: 1-line block ×3, first 2 shown]
	v_cmp_lt_u32_e32 vcc_lo, 14, v5
	s_or_b32 s5, vcc_lo, s5
	s_waitcnt vmcnt(1) lgkmcnt(0)
	v_mul_f32_e32 v119, v10, v11
	v_mul_f32_e32 v11, v9, v11
	s_waitcnt vmcnt(0)
	v_fma_f32 v9, v9, v118, -v119
	v_fmac_f32_e32 v11, v10, v118
	v_add_f32_e32 v8, v8, v9
	v_add_f32_e32 v2, v2, v11
	s_andn2_b32 exec_lo, exec_lo, s5
	s_cbranch_execnz .LBB52_77
; %bb.78:
	s_or_b32 exec_lo, exec_lo, s5
	v_mov_b32_e32 v5, 0
	ds_read_b64 v[5:6], v5 offset:128
	s_waitcnt lgkmcnt(0)
	v_mul_f32_e32 v7, v2, v6
	v_mul_f32_e32 v6, v8, v6
	v_fma_f32 v7, v8, v5, -v7
	v_fmac_f32_e32 v6, v2, v5
	buffer_store_dword v7, off, s[0:3], 0 offset:128
	buffer_store_dword v6, off, s[0:3], 0 offset:132
.LBB52_79:
	s_or_b32 exec_lo, exec_lo, s4
	s_waitcnt_vscnt null, 0x0
	s_barrier
	buffer_gl0_inv
	s_clause 0x1
	buffer_load_dword v5, off, s[0:3], 0 offset:136
	buffer_load_dword v6, off, s[0:3], 0 offset:140
	s_mov_b32 s4, exec_lo
	s_waitcnt vmcnt(0)
	ds_write_b64 v4, v[5:6]
	s_waitcnt lgkmcnt(0)
	s_barrier
	buffer_gl0_inv
	v_cmpx_gt_u32_e32 17, v0
	s_cbranch_execz .LBB52_83
; %bb.80:
	v_add_nc_u32_e32 v5, -1, v0
	v_add_nc_u32_e32 v6, 0x1b0, v3
	v_mov_b32_e32 v7, v3
	v_mov_b32_e32 v2, 0
	;; [unrolled: 1-line block ×3, first 2 shown]
	s_mov_b32 s5, 0
	.p2align	6
.LBB52_81:                              ; =>This Inner Loop Header: Depth=1
	s_clause 0x1
	buffer_load_dword v11, v7, s[0:3], 0 offen offset:4
	buffer_load_dword v118, v7, s[0:3], 0 offen
	ds_read_b64 v[9:10], v6
	v_add_nc_u32_e32 v5, 1, v5
	v_add_nc_u32_e32 v6, 8, v6
	;; [unrolled: 1-line block ×3, first 2 shown]
	v_cmp_lt_u32_e32 vcc_lo, 15, v5
	s_or_b32 s5, vcc_lo, s5
	s_waitcnt vmcnt(1) lgkmcnt(0)
	v_mul_f32_e32 v119, v10, v11
	v_mul_f32_e32 v11, v9, v11
	s_waitcnt vmcnt(0)
	v_fma_f32 v9, v9, v118, -v119
	v_fmac_f32_e32 v11, v10, v118
	v_add_f32_e32 v8, v8, v9
	v_add_f32_e32 v2, v2, v11
	s_andn2_b32 exec_lo, exec_lo, s5
	s_cbranch_execnz .LBB52_81
; %bb.82:
	s_or_b32 exec_lo, exec_lo, s5
	v_mov_b32_e32 v5, 0
	ds_read_b64 v[5:6], v5 offset:136
	s_waitcnt lgkmcnt(0)
	v_mul_f32_e32 v7, v2, v6
	v_mul_f32_e32 v6, v8, v6
	v_fma_f32 v7, v8, v5, -v7
	v_fmac_f32_e32 v6, v2, v5
	buffer_store_dword v7, off, s[0:3], 0 offset:136
	buffer_store_dword v6, off, s[0:3], 0 offset:140
.LBB52_83:
	s_or_b32 exec_lo, exec_lo, s4
	s_waitcnt_vscnt null, 0x0
	s_barrier
	buffer_gl0_inv
	s_clause 0x1
	buffer_load_dword v5, off, s[0:3], 0 offset:144
	buffer_load_dword v6, off, s[0:3], 0 offset:148
	s_mov_b32 s4, exec_lo
	s_waitcnt vmcnt(0)
	ds_write_b64 v4, v[5:6]
	s_waitcnt lgkmcnt(0)
	s_barrier
	buffer_gl0_inv
	v_cmpx_gt_u32_e32 18, v0
	s_cbranch_execz .LBB52_87
; %bb.84:
	v_add_nc_u32_e32 v5, -1, v0
	v_add_nc_u32_e32 v6, 0x1b0, v3
	v_mov_b32_e32 v7, v3
	v_mov_b32_e32 v2, 0
	v_mov_b32_e32 v8, 0
	s_mov_b32 s5, 0
	.p2align	6
.LBB52_85:                              ; =>This Inner Loop Header: Depth=1
	s_clause 0x1
	buffer_load_dword v11, v7, s[0:3], 0 offen offset:4
	buffer_load_dword v118, v7, s[0:3], 0 offen
	ds_read_b64 v[9:10], v6
	v_add_nc_u32_e32 v5, 1, v5
	v_add_nc_u32_e32 v6, 8, v6
	;; [unrolled: 1-line block ×3, first 2 shown]
	v_cmp_lt_u32_e32 vcc_lo, 16, v5
	s_or_b32 s5, vcc_lo, s5
	s_waitcnt vmcnt(1) lgkmcnt(0)
	v_mul_f32_e32 v119, v10, v11
	v_mul_f32_e32 v11, v9, v11
	s_waitcnt vmcnt(0)
	v_fma_f32 v9, v9, v118, -v119
	v_fmac_f32_e32 v11, v10, v118
	v_add_f32_e32 v8, v8, v9
	v_add_f32_e32 v2, v2, v11
	s_andn2_b32 exec_lo, exec_lo, s5
	s_cbranch_execnz .LBB52_85
; %bb.86:
	s_or_b32 exec_lo, exec_lo, s5
	v_mov_b32_e32 v5, 0
	ds_read_b64 v[5:6], v5 offset:144
	s_waitcnt lgkmcnt(0)
	v_mul_f32_e32 v7, v2, v6
	v_mul_f32_e32 v6, v8, v6
	v_fma_f32 v7, v8, v5, -v7
	v_fmac_f32_e32 v6, v2, v5
	buffer_store_dword v7, off, s[0:3], 0 offset:144
	buffer_store_dword v6, off, s[0:3], 0 offset:148
.LBB52_87:
	s_or_b32 exec_lo, exec_lo, s4
	s_waitcnt_vscnt null, 0x0
	s_barrier
	buffer_gl0_inv
	s_clause 0x1
	buffer_load_dword v5, off, s[0:3], 0 offset:152
	buffer_load_dword v6, off, s[0:3], 0 offset:156
	s_mov_b32 s4, exec_lo
	s_waitcnt vmcnt(0)
	ds_write_b64 v4, v[5:6]
	s_waitcnt lgkmcnt(0)
	s_barrier
	buffer_gl0_inv
	v_cmpx_gt_u32_e32 19, v0
	s_cbranch_execz .LBB52_91
; %bb.88:
	v_add_nc_u32_e32 v5, -1, v0
	v_add_nc_u32_e32 v6, 0x1b0, v3
	v_mov_b32_e32 v7, v3
	v_mov_b32_e32 v2, 0
	;; [unrolled: 1-line block ×3, first 2 shown]
	s_mov_b32 s5, 0
	.p2align	6
.LBB52_89:                              ; =>This Inner Loop Header: Depth=1
	s_clause 0x1
	buffer_load_dword v11, v7, s[0:3], 0 offen offset:4
	buffer_load_dword v118, v7, s[0:3], 0 offen
	ds_read_b64 v[9:10], v6
	v_add_nc_u32_e32 v5, 1, v5
	v_add_nc_u32_e32 v6, 8, v6
	;; [unrolled: 1-line block ×3, first 2 shown]
	v_cmp_lt_u32_e32 vcc_lo, 17, v5
	s_or_b32 s5, vcc_lo, s5
	s_waitcnt vmcnt(1) lgkmcnt(0)
	v_mul_f32_e32 v119, v10, v11
	v_mul_f32_e32 v11, v9, v11
	s_waitcnt vmcnt(0)
	v_fma_f32 v9, v9, v118, -v119
	v_fmac_f32_e32 v11, v10, v118
	v_add_f32_e32 v8, v8, v9
	v_add_f32_e32 v2, v2, v11
	s_andn2_b32 exec_lo, exec_lo, s5
	s_cbranch_execnz .LBB52_89
; %bb.90:
	s_or_b32 exec_lo, exec_lo, s5
	v_mov_b32_e32 v5, 0
	ds_read_b64 v[5:6], v5 offset:152
	s_waitcnt lgkmcnt(0)
	v_mul_f32_e32 v7, v2, v6
	v_mul_f32_e32 v6, v8, v6
	v_fma_f32 v7, v8, v5, -v7
	v_fmac_f32_e32 v6, v2, v5
	buffer_store_dword v7, off, s[0:3], 0 offset:152
	buffer_store_dword v6, off, s[0:3], 0 offset:156
.LBB52_91:
	s_or_b32 exec_lo, exec_lo, s4
	s_waitcnt_vscnt null, 0x0
	s_barrier
	buffer_gl0_inv
	s_clause 0x1
	buffer_load_dword v5, off, s[0:3], 0 offset:160
	buffer_load_dword v6, off, s[0:3], 0 offset:164
	s_mov_b32 s4, exec_lo
	s_waitcnt vmcnt(0)
	ds_write_b64 v4, v[5:6]
	s_waitcnt lgkmcnt(0)
	s_barrier
	buffer_gl0_inv
	v_cmpx_gt_u32_e32 20, v0
	s_cbranch_execz .LBB52_95
; %bb.92:
	v_add_nc_u32_e32 v5, -1, v0
	v_add_nc_u32_e32 v6, 0x1b0, v3
	v_mov_b32_e32 v7, v3
	v_mov_b32_e32 v2, 0
	;; [unrolled: 1-line block ×3, first 2 shown]
	s_mov_b32 s5, 0
	.p2align	6
.LBB52_93:                              ; =>This Inner Loop Header: Depth=1
	s_clause 0x1
	buffer_load_dword v11, v7, s[0:3], 0 offen offset:4
	buffer_load_dword v118, v7, s[0:3], 0 offen
	ds_read_b64 v[9:10], v6
	v_add_nc_u32_e32 v5, 1, v5
	v_add_nc_u32_e32 v6, 8, v6
	;; [unrolled: 1-line block ×3, first 2 shown]
	v_cmp_lt_u32_e32 vcc_lo, 18, v5
	s_or_b32 s5, vcc_lo, s5
	s_waitcnt vmcnt(1) lgkmcnt(0)
	v_mul_f32_e32 v119, v10, v11
	v_mul_f32_e32 v11, v9, v11
	s_waitcnt vmcnt(0)
	v_fma_f32 v9, v9, v118, -v119
	v_fmac_f32_e32 v11, v10, v118
	v_add_f32_e32 v8, v8, v9
	v_add_f32_e32 v2, v2, v11
	s_andn2_b32 exec_lo, exec_lo, s5
	s_cbranch_execnz .LBB52_93
; %bb.94:
	s_or_b32 exec_lo, exec_lo, s5
	v_mov_b32_e32 v5, 0
	ds_read_b64 v[5:6], v5 offset:160
	s_waitcnt lgkmcnt(0)
	v_mul_f32_e32 v7, v2, v6
	v_mul_f32_e32 v6, v8, v6
	v_fma_f32 v7, v8, v5, -v7
	v_fmac_f32_e32 v6, v2, v5
	buffer_store_dword v7, off, s[0:3], 0 offset:160
	buffer_store_dword v6, off, s[0:3], 0 offset:164
.LBB52_95:
	s_or_b32 exec_lo, exec_lo, s4
	s_waitcnt_vscnt null, 0x0
	s_barrier
	buffer_gl0_inv
	s_clause 0x1
	buffer_load_dword v5, off, s[0:3], 0 offset:168
	buffer_load_dword v6, off, s[0:3], 0 offset:172
	s_mov_b32 s4, exec_lo
	s_waitcnt vmcnt(0)
	ds_write_b64 v4, v[5:6]
	s_waitcnt lgkmcnt(0)
	s_barrier
	buffer_gl0_inv
	v_cmpx_gt_u32_e32 21, v0
	s_cbranch_execz .LBB52_99
; %bb.96:
	v_add_nc_u32_e32 v5, -1, v0
	v_add_nc_u32_e32 v6, 0x1b0, v3
	v_mov_b32_e32 v7, v3
	v_mov_b32_e32 v2, 0
	;; [unrolled: 1-line block ×3, first 2 shown]
	s_mov_b32 s5, 0
	.p2align	6
.LBB52_97:                              ; =>This Inner Loop Header: Depth=1
	s_clause 0x1
	buffer_load_dword v11, v7, s[0:3], 0 offen offset:4
	buffer_load_dword v118, v7, s[0:3], 0 offen
	ds_read_b64 v[9:10], v6
	v_add_nc_u32_e32 v5, 1, v5
	v_add_nc_u32_e32 v6, 8, v6
	;; [unrolled: 1-line block ×3, first 2 shown]
	v_cmp_lt_u32_e32 vcc_lo, 19, v5
	s_or_b32 s5, vcc_lo, s5
	s_waitcnt vmcnt(1) lgkmcnt(0)
	v_mul_f32_e32 v119, v10, v11
	v_mul_f32_e32 v11, v9, v11
	s_waitcnt vmcnt(0)
	v_fma_f32 v9, v9, v118, -v119
	v_fmac_f32_e32 v11, v10, v118
	v_add_f32_e32 v8, v8, v9
	v_add_f32_e32 v2, v2, v11
	s_andn2_b32 exec_lo, exec_lo, s5
	s_cbranch_execnz .LBB52_97
; %bb.98:
	s_or_b32 exec_lo, exec_lo, s5
	v_mov_b32_e32 v5, 0
	ds_read_b64 v[5:6], v5 offset:168
	s_waitcnt lgkmcnt(0)
	v_mul_f32_e32 v7, v2, v6
	v_mul_f32_e32 v6, v8, v6
	v_fma_f32 v7, v8, v5, -v7
	v_fmac_f32_e32 v6, v2, v5
	buffer_store_dword v7, off, s[0:3], 0 offset:168
	buffer_store_dword v6, off, s[0:3], 0 offset:172
.LBB52_99:
	s_or_b32 exec_lo, exec_lo, s4
	s_waitcnt_vscnt null, 0x0
	s_barrier
	buffer_gl0_inv
	s_clause 0x1
	buffer_load_dword v5, off, s[0:3], 0 offset:176
	buffer_load_dword v6, off, s[0:3], 0 offset:180
	s_mov_b32 s4, exec_lo
	s_waitcnt vmcnt(0)
	ds_write_b64 v4, v[5:6]
	s_waitcnt lgkmcnt(0)
	s_barrier
	buffer_gl0_inv
	v_cmpx_gt_u32_e32 22, v0
	s_cbranch_execz .LBB52_103
; %bb.100:
	v_add_nc_u32_e32 v5, -1, v0
	v_add_nc_u32_e32 v6, 0x1b0, v3
	v_mov_b32_e32 v7, v3
	v_mov_b32_e32 v2, 0
	;; [unrolled: 1-line block ×3, first 2 shown]
	s_mov_b32 s5, 0
	.p2align	6
.LBB52_101:                             ; =>This Inner Loop Header: Depth=1
	s_clause 0x1
	buffer_load_dword v11, v7, s[0:3], 0 offen offset:4
	buffer_load_dword v118, v7, s[0:3], 0 offen
	ds_read_b64 v[9:10], v6
	v_add_nc_u32_e32 v5, 1, v5
	v_add_nc_u32_e32 v6, 8, v6
	;; [unrolled: 1-line block ×3, first 2 shown]
	v_cmp_lt_u32_e32 vcc_lo, 20, v5
	s_or_b32 s5, vcc_lo, s5
	s_waitcnt vmcnt(1) lgkmcnt(0)
	v_mul_f32_e32 v119, v10, v11
	v_mul_f32_e32 v11, v9, v11
	s_waitcnt vmcnt(0)
	v_fma_f32 v9, v9, v118, -v119
	v_fmac_f32_e32 v11, v10, v118
	v_add_f32_e32 v8, v8, v9
	v_add_f32_e32 v2, v2, v11
	s_andn2_b32 exec_lo, exec_lo, s5
	s_cbranch_execnz .LBB52_101
; %bb.102:
	s_or_b32 exec_lo, exec_lo, s5
	v_mov_b32_e32 v5, 0
	ds_read_b64 v[5:6], v5 offset:176
	s_waitcnt lgkmcnt(0)
	v_mul_f32_e32 v7, v2, v6
	v_mul_f32_e32 v6, v8, v6
	v_fma_f32 v7, v8, v5, -v7
	v_fmac_f32_e32 v6, v2, v5
	buffer_store_dword v7, off, s[0:3], 0 offset:176
	buffer_store_dword v6, off, s[0:3], 0 offset:180
.LBB52_103:
	s_or_b32 exec_lo, exec_lo, s4
	s_waitcnt_vscnt null, 0x0
	s_barrier
	buffer_gl0_inv
	s_clause 0x1
	buffer_load_dword v5, off, s[0:3], 0 offset:184
	buffer_load_dword v6, off, s[0:3], 0 offset:188
	s_mov_b32 s4, exec_lo
	s_waitcnt vmcnt(0)
	ds_write_b64 v4, v[5:6]
	s_waitcnt lgkmcnt(0)
	s_barrier
	buffer_gl0_inv
	v_cmpx_gt_u32_e32 23, v0
	s_cbranch_execz .LBB52_107
; %bb.104:
	v_add_nc_u32_e32 v5, -1, v0
	v_add_nc_u32_e32 v6, 0x1b0, v3
	v_mov_b32_e32 v7, v3
	v_mov_b32_e32 v2, 0
	v_mov_b32_e32 v8, 0
	s_mov_b32 s5, 0
	.p2align	6
.LBB52_105:                             ; =>This Inner Loop Header: Depth=1
	s_clause 0x1
	buffer_load_dword v11, v7, s[0:3], 0 offen offset:4
	buffer_load_dword v118, v7, s[0:3], 0 offen
	ds_read_b64 v[9:10], v6
	v_add_nc_u32_e32 v5, 1, v5
	v_add_nc_u32_e32 v6, 8, v6
	;; [unrolled: 1-line block ×3, first 2 shown]
	v_cmp_lt_u32_e32 vcc_lo, 21, v5
	s_or_b32 s5, vcc_lo, s5
	s_waitcnt vmcnt(1) lgkmcnt(0)
	v_mul_f32_e32 v119, v10, v11
	v_mul_f32_e32 v11, v9, v11
	s_waitcnt vmcnt(0)
	v_fma_f32 v9, v9, v118, -v119
	v_fmac_f32_e32 v11, v10, v118
	v_add_f32_e32 v8, v8, v9
	v_add_f32_e32 v2, v2, v11
	s_andn2_b32 exec_lo, exec_lo, s5
	s_cbranch_execnz .LBB52_105
; %bb.106:
	s_or_b32 exec_lo, exec_lo, s5
	v_mov_b32_e32 v5, 0
	ds_read_b64 v[5:6], v5 offset:184
	s_waitcnt lgkmcnt(0)
	v_mul_f32_e32 v7, v2, v6
	v_mul_f32_e32 v6, v8, v6
	v_fma_f32 v7, v8, v5, -v7
	v_fmac_f32_e32 v6, v2, v5
	buffer_store_dword v7, off, s[0:3], 0 offset:184
	buffer_store_dword v6, off, s[0:3], 0 offset:188
.LBB52_107:
	s_or_b32 exec_lo, exec_lo, s4
	s_waitcnt_vscnt null, 0x0
	s_barrier
	buffer_gl0_inv
	s_clause 0x1
	buffer_load_dword v5, off, s[0:3], 0 offset:192
	buffer_load_dword v6, off, s[0:3], 0 offset:196
	s_mov_b32 s4, exec_lo
	s_waitcnt vmcnt(0)
	ds_write_b64 v4, v[5:6]
	s_waitcnt lgkmcnt(0)
	s_barrier
	buffer_gl0_inv
	v_cmpx_gt_u32_e32 24, v0
	s_cbranch_execz .LBB52_111
; %bb.108:
	v_add_nc_u32_e32 v5, -1, v0
	v_add_nc_u32_e32 v6, 0x1b0, v3
	v_mov_b32_e32 v7, v3
	v_mov_b32_e32 v2, 0
	;; [unrolled: 1-line block ×3, first 2 shown]
	s_mov_b32 s5, 0
	.p2align	6
.LBB52_109:                             ; =>This Inner Loop Header: Depth=1
	s_clause 0x1
	buffer_load_dword v11, v7, s[0:3], 0 offen offset:4
	buffer_load_dword v118, v7, s[0:3], 0 offen
	ds_read_b64 v[9:10], v6
	v_add_nc_u32_e32 v5, 1, v5
	v_add_nc_u32_e32 v6, 8, v6
	;; [unrolled: 1-line block ×3, first 2 shown]
	v_cmp_lt_u32_e32 vcc_lo, 22, v5
	s_or_b32 s5, vcc_lo, s5
	s_waitcnt vmcnt(1) lgkmcnt(0)
	v_mul_f32_e32 v119, v10, v11
	v_mul_f32_e32 v11, v9, v11
	s_waitcnt vmcnt(0)
	v_fma_f32 v9, v9, v118, -v119
	v_fmac_f32_e32 v11, v10, v118
	v_add_f32_e32 v8, v8, v9
	v_add_f32_e32 v2, v2, v11
	s_andn2_b32 exec_lo, exec_lo, s5
	s_cbranch_execnz .LBB52_109
; %bb.110:
	s_or_b32 exec_lo, exec_lo, s5
	v_mov_b32_e32 v5, 0
	ds_read_b64 v[5:6], v5 offset:192
	s_waitcnt lgkmcnt(0)
	v_mul_f32_e32 v7, v2, v6
	v_mul_f32_e32 v6, v8, v6
	v_fma_f32 v7, v8, v5, -v7
	v_fmac_f32_e32 v6, v2, v5
	buffer_store_dword v7, off, s[0:3], 0 offset:192
	buffer_store_dword v6, off, s[0:3], 0 offset:196
.LBB52_111:
	s_or_b32 exec_lo, exec_lo, s4
	s_waitcnt_vscnt null, 0x0
	s_barrier
	buffer_gl0_inv
	s_clause 0x1
	buffer_load_dword v5, off, s[0:3], 0 offset:200
	buffer_load_dword v6, off, s[0:3], 0 offset:204
	s_mov_b32 s4, exec_lo
	s_waitcnt vmcnt(0)
	ds_write_b64 v4, v[5:6]
	s_waitcnt lgkmcnt(0)
	s_barrier
	buffer_gl0_inv
	v_cmpx_gt_u32_e32 25, v0
	s_cbranch_execz .LBB52_115
; %bb.112:
	v_add_nc_u32_e32 v5, -1, v0
	v_add_nc_u32_e32 v6, 0x1b0, v3
	v_mov_b32_e32 v7, v3
	v_mov_b32_e32 v2, 0
	;; [unrolled: 1-line block ×3, first 2 shown]
	s_mov_b32 s5, 0
	.p2align	6
.LBB52_113:                             ; =>This Inner Loop Header: Depth=1
	s_clause 0x1
	buffer_load_dword v11, v7, s[0:3], 0 offen offset:4
	buffer_load_dword v118, v7, s[0:3], 0 offen
	ds_read_b64 v[9:10], v6
	v_add_nc_u32_e32 v5, 1, v5
	v_add_nc_u32_e32 v6, 8, v6
	;; [unrolled: 1-line block ×3, first 2 shown]
	v_cmp_lt_u32_e32 vcc_lo, 23, v5
	s_or_b32 s5, vcc_lo, s5
	s_waitcnt vmcnt(1) lgkmcnt(0)
	v_mul_f32_e32 v119, v10, v11
	v_mul_f32_e32 v11, v9, v11
	s_waitcnt vmcnt(0)
	v_fma_f32 v9, v9, v118, -v119
	v_fmac_f32_e32 v11, v10, v118
	v_add_f32_e32 v8, v8, v9
	v_add_f32_e32 v2, v2, v11
	s_andn2_b32 exec_lo, exec_lo, s5
	s_cbranch_execnz .LBB52_113
; %bb.114:
	s_or_b32 exec_lo, exec_lo, s5
	v_mov_b32_e32 v5, 0
	ds_read_b64 v[5:6], v5 offset:200
	s_waitcnt lgkmcnt(0)
	v_mul_f32_e32 v7, v2, v6
	v_mul_f32_e32 v6, v8, v6
	v_fma_f32 v7, v8, v5, -v7
	v_fmac_f32_e32 v6, v2, v5
	buffer_store_dword v7, off, s[0:3], 0 offset:200
	buffer_store_dword v6, off, s[0:3], 0 offset:204
.LBB52_115:
	s_or_b32 exec_lo, exec_lo, s4
	s_waitcnt_vscnt null, 0x0
	s_barrier
	buffer_gl0_inv
	s_clause 0x1
	buffer_load_dword v5, off, s[0:3], 0 offset:208
	buffer_load_dword v6, off, s[0:3], 0 offset:212
	s_mov_b32 s4, exec_lo
	s_waitcnt vmcnt(0)
	ds_write_b64 v4, v[5:6]
	s_waitcnt lgkmcnt(0)
	s_barrier
	buffer_gl0_inv
	v_cmpx_gt_u32_e32 26, v0
	s_cbranch_execz .LBB52_119
; %bb.116:
	v_add_nc_u32_e32 v5, -1, v0
	v_add_nc_u32_e32 v6, 0x1b0, v3
	v_mov_b32_e32 v7, v3
	v_mov_b32_e32 v2, 0
	v_mov_b32_e32 v8, 0
	s_mov_b32 s5, 0
	.p2align	6
.LBB52_117:                             ; =>This Inner Loop Header: Depth=1
	s_clause 0x1
	buffer_load_dword v11, v7, s[0:3], 0 offen offset:4
	buffer_load_dword v118, v7, s[0:3], 0 offen
	ds_read_b64 v[9:10], v6
	v_add_nc_u32_e32 v5, 1, v5
	v_add_nc_u32_e32 v6, 8, v6
	;; [unrolled: 1-line block ×3, first 2 shown]
	v_cmp_lt_u32_e32 vcc_lo, 24, v5
	s_or_b32 s5, vcc_lo, s5
	s_waitcnt vmcnt(1) lgkmcnt(0)
	v_mul_f32_e32 v119, v10, v11
	v_mul_f32_e32 v11, v9, v11
	s_waitcnt vmcnt(0)
	v_fma_f32 v9, v9, v118, -v119
	v_fmac_f32_e32 v11, v10, v118
	v_add_f32_e32 v8, v8, v9
	v_add_f32_e32 v2, v2, v11
	s_andn2_b32 exec_lo, exec_lo, s5
	s_cbranch_execnz .LBB52_117
; %bb.118:
	s_or_b32 exec_lo, exec_lo, s5
	v_mov_b32_e32 v5, 0
	ds_read_b64 v[5:6], v5 offset:208
	s_waitcnt lgkmcnt(0)
	v_mul_f32_e32 v7, v2, v6
	v_mul_f32_e32 v6, v8, v6
	v_fma_f32 v7, v8, v5, -v7
	v_fmac_f32_e32 v6, v2, v5
	buffer_store_dword v7, off, s[0:3], 0 offset:208
	buffer_store_dword v6, off, s[0:3], 0 offset:212
.LBB52_119:
	s_or_b32 exec_lo, exec_lo, s4
	s_waitcnt_vscnt null, 0x0
	s_barrier
	buffer_gl0_inv
	s_clause 0x1
	buffer_load_dword v5, off, s[0:3], 0 offset:216
	buffer_load_dword v6, off, s[0:3], 0 offset:220
	s_mov_b32 s4, exec_lo
	s_waitcnt vmcnt(0)
	ds_write_b64 v4, v[5:6]
	s_waitcnt lgkmcnt(0)
	s_barrier
	buffer_gl0_inv
	v_cmpx_gt_u32_e32 27, v0
	s_cbranch_execz .LBB52_123
; %bb.120:
	v_add_nc_u32_e32 v5, -1, v0
	v_add_nc_u32_e32 v6, 0x1b0, v3
	v_mov_b32_e32 v7, v3
	v_mov_b32_e32 v2, 0
	;; [unrolled: 1-line block ×3, first 2 shown]
	s_mov_b32 s5, 0
	.p2align	6
.LBB52_121:                             ; =>This Inner Loop Header: Depth=1
	s_clause 0x1
	buffer_load_dword v11, v7, s[0:3], 0 offen offset:4
	buffer_load_dword v118, v7, s[0:3], 0 offen
	ds_read_b64 v[9:10], v6
	v_add_nc_u32_e32 v5, 1, v5
	v_add_nc_u32_e32 v6, 8, v6
	;; [unrolled: 1-line block ×3, first 2 shown]
	v_cmp_lt_u32_e32 vcc_lo, 25, v5
	s_or_b32 s5, vcc_lo, s5
	s_waitcnt vmcnt(1) lgkmcnt(0)
	v_mul_f32_e32 v119, v10, v11
	v_mul_f32_e32 v11, v9, v11
	s_waitcnt vmcnt(0)
	v_fma_f32 v9, v9, v118, -v119
	v_fmac_f32_e32 v11, v10, v118
	v_add_f32_e32 v8, v8, v9
	v_add_f32_e32 v2, v2, v11
	s_andn2_b32 exec_lo, exec_lo, s5
	s_cbranch_execnz .LBB52_121
; %bb.122:
	s_or_b32 exec_lo, exec_lo, s5
	v_mov_b32_e32 v5, 0
	ds_read_b64 v[5:6], v5 offset:216
	s_waitcnt lgkmcnt(0)
	v_mul_f32_e32 v7, v2, v6
	v_mul_f32_e32 v6, v8, v6
	v_fma_f32 v7, v8, v5, -v7
	v_fmac_f32_e32 v6, v2, v5
	buffer_store_dword v7, off, s[0:3], 0 offset:216
	buffer_store_dword v6, off, s[0:3], 0 offset:220
.LBB52_123:
	s_or_b32 exec_lo, exec_lo, s4
	s_waitcnt_vscnt null, 0x0
	s_barrier
	buffer_gl0_inv
	s_clause 0x1
	buffer_load_dword v5, off, s[0:3], 0 offset:224
	buffer_load_dword v6, off, s[0:3], 0 offset:228
	s_mov_b32 s4, exec_lo
	s_waitcnt vmcnt(0)
	ds_write_b64 v4, v[5:6]
	s_waitcnt lgkmcnt(0)
	s_barrier
	buffer_gl0_inv
	v_cmpx_gt_u32_e32 28, v0
	s_cbranch_execz .LBB52_127
; %bb.124:
	v_add_nc_u32_e32 v5, -1, v0
	v_add_nc_u32_e32 v6, 0x1b0, v3
	v_mov_b32_e32 v7, v3
	v_mov_b32_e32 v2, 0
	;; [unrolled: 1-line block ×3, first 2 shown]
	s_mov_b32 s5, 0
	.p2align	6
.LBB52_125:                             ; =>This Inner Loop Header: Depth=1
	s_clause 0x1
	buffer_load_dword v11, v7, s[0:3], 0 offen offset:4
	buffer_load_dword v118, v7, s[0:3], 0 offen
	ds_read_b64 v[9:10], v6
	v_add_nc_u32_e32 v5, 1, v5
	v_add_nc_u32_e32 v6, 8, v6
	;; [unrolled: 1-line block ×3, first 2 shown]
	v_cmp_lt_u32_e32 vcc_lo, 26, v5
	s_or_b32 s5, vcc_lo, s5
	s_waitcnt vmcnt(1) lgkmcnt(0)
	v_mul_f32_e32 v119, v10, v11
	v_mul_f32_e32 v11, v9, v11
	s_waitcnt vmcnt(0)
	v_fma_f32 v9, v9, v118, -v119
	v_fmac_f32_e32 v11, v10, v118
	v_add_f32_e32 v8, v8, v9
	v_add_f32_e32 v2, v2, v11
	s_andn2_b32 exec_lo, exec_lo, s5
	s_cbranch_execnz .LBB52_125
; %bb.126:
	s_or_b32 exec_lo, exec_lo, s5
	v_mov_b32_e32 v5, 0
	ds_read_b64 v[5:6], v5 offset:224
	s_waitcnt lgkmcnt(0)
	v_mul_f32_e32 v7, v2, v6
	v_mul_f32_e32 v6, v8, v6
	v_fma_f32 v7, v8, v5, -v7
	v_fmac_f32_e32 v6, v2, v5
	buffer_store_dword v7, off, s[0:3], 0 offset:224
	buffer_store_dword v6, off, s[0:3], 0 offset:228
.LBB52_127:
	s_or_b32 exec_lo, exec_lo, s4
	s_waitcnt_vscnt null, 0x0
	s_barrier
	buffer_gl0_inv
	s_clause 0x1
	buffer_load_dword v5, off, s[0:3], 0 offset:232
	buffer_load_dword v6, off, s[0:3], 0 offset:236
	s_mov_b32 s4, exec_lo
	s_waitcnt vmcnt(0)
	ds_write_b64 v4, v[5:6]
	s_waitcnt lgkmcnt(0)
	s_barrier
	buffer_gl0_inv
	v_cmpx_gt_u32_e32 29, v0
	s_cbranch_execz .LBB52_131
; %bb.128:
	v_add_nc_u32_e32 v5, -1, v0
	v_add_nc_u32_e32 v6, 0x1b0, v3
	v_mov_b32_e32 v7, v3
	v_mov_b32_e32 v2, 0
	;; [unrolled: 1-line block ×3, first 2 shown]
	s_mov_b32 s5, 0
	.p2align	6
.LBB52_129:                             ; =>This Inner Loop Header: Depth=1
	s_clause 0x1
	buffer_load_dword v11, v7, s[0:3], 0 offen offset:4
	buffer_load_dword v118, v7, s[0:3], 0 offen
	ds_read_b64 v[9:10], v6
	v_add_nc_u32_e32 v5, 1, v5
	v_add_nc_u32_e32 v6, 8, v6
	;; [unrolled: 1-line block ×3, first 2 shown]
	v_cmp_lt_u32_e32 vcc_lo, 27, v5
	s_or_b32 s5, vcc_lo, s5
	s_waitcnt vmcnt(1) lgkmcnt(0)
	v_mul_f32_e32 v119, v10, v11
	v_mul_f32_e32 v11, v9, v11
	s_waitcnt vmcnt(0)
	v_fma_f32 v9, v9, v118, -v119
	v_fmac_f32_e32 v11, v10, v118
	v_add_f32_e32 v8, v8, v9
	v_add_f32_e32 v2, v2, v11
	s_andn2_b32 exec_lo, exec_lo, s5
	s_cbranch_execnz .LBB52_129
; %bb.130:
	s_or_b32 exec_lo, exec_lo, s5
	v_mov_b32_e32 v5, 0
	ds_read_b64 v[5:6], v5 offset:232
	s_waitcnt lgkmcnt(0)
	v_mul_f32_e32 v7, v2, v6
	v_mul_f32_e32 v6, v8, v6
	v_fma_f32 v7, v8, v5, -v7
	v_fmac_f32_e32 v6, v2, v5
	buffer_store_dword v7, off, s[0:3], 0 offset:232
	buffer_store_dword v6, off, s[0:3], 0 offset:236
.LBB52_131:
	s_or_b32 exec_lo, exec_lo, s4
	s_waitcnt_vscnt null, 0x0
	s_barrier
	buffer_gl0_inv
	s_clause 0x1
	buffer_load_dword v5, off, s[0:3], 0 offset:240
	buffer_load_dword v6, off, s[0:3], 0 offset:244
	s_mov_b32 s4, exec_lo
	s_waitcnt vmcnt(0)
	ds_write_b64 v4, v[5:6]
	s_waitcnt lgkmcnt(0)
	s_barrier
	buffer_gl0_inv
	v_cmpx_gt_u32_e32 30, v0
	s_cbranch_execz .LBB52_135
; %bb.132:
	v_add_nc_u32_e32 v5, -1, v0
	v_add_nc_u32_e32 v6, 0x1b0, v3
	v_mov_b32_e32 v7, v3
	v_mov_b32_e32 v2, 0
	;; [unrolled: 1-line block ×3, first 2 shown]
	s_mov_b32 s5, 0
	.p2align	6
.LBB52_133:                             ; =>This Inner Loop Header: Depth=1
	s_clause 0x1
	buffer_load_dword v11, v7, s[0:3], 0 offen offset:4
	buffer_load_dword v118, v7, s[0:3], 0 offen
	ds_read_b64 v[9:10], v6
	v_add_nc_u32_e32 v5, 1, v5
	v_add_nc_u32_e32 v6, 8, v6
	;; [unrolled: 1-line block ×3, first 2 shown]
	v_cmp_lt_u32_e32 vcc_lo, 28, v5
	s_or_b32 s5, vcc_lo, s5
	s_waitcnt vmcnt(1) lgkmcnt(0)
	v_mul_f32_e32 v119, v10, v11
	v_mul_f32_e32 v11, v9, v11
	s_waitcnt vmcnt(0)
	v_fma_f32 v9, v9, v118, -v119
	v_fmac_f32_e32 v11, v10, v118
	v_add_f32_e32 v8, v8, v9
	v_add_f32_e32 v2, v2, v11
	s_andn2_b32 exec_lo, exec_lo, s5
	s_cbranch_execnz .LBB52_133
; %bb.134:
	s_or_b32 exec_lo, exec_lo, s5
	v_mov_b32_e32 v5, 0
	ds_read_b64 v[5:6], v5 offset:240
	s_waitcnt lgkmcnt(0)
	v_mul_f32_e32 v7, v2, v6
	v_mul_f32_e32 v6, v8, v6
	v_fma_f32 v7, v8, v5, -v7
	v_fmac_f32_e32 v6, v2, v5
	buffer_store_dword v7, off, s[0:3], 0 offset:240
	buffer_store_dword v6, off, s[0:3], 0 offset:244
.LBB52_135:
	s_or_b32 exec_lo, exec_lo, s4
	s_waitcnt_vscnt null, 0x0
	s_barrier
	buffer_gl0_inv
	s_clause 0x1
	buffer_load_dword v5, off, s[0:3], 0 offset:248
	buffer_load_dword v6, off, s[0:3], 0 offset:252
	s_mov_b32 s4, exec_lo
	s_waitcnt vmcnt(0)
	ds_write_b64 v4, v[5:6]
	s_waitcnt lgkmcnt(0)
	s_barrier
	buffer_gl0_inv
	v_cmpx_gt_u32_e32 31, v0
	s_cbranch_execz .LBB52_139
; %bb.136:
	v_add_nc_u32_e32 v5, -1, v0
	v_add_nc_u32_e32 v6, 0x1b0, v3
	v_mov_b32_e32 v7, v3
	v_mov_b32_e32 v2, 0
	;; [unrolled: 1-line block ×3, first 2 shown]
	s_mov_b32 s5, 0
	.p2align	6
.LBB52_137:                             ; =>This Inner Loop Header: Depth=1
	s_clause 0x1
	buffer_load_dword v11, v7, s[0:3], 0 offen offset:4
	buffer_load_dword v118, v7, s[0:3], 0 offen
	ds_read_b64 v[9:10], v6
	v_add_nc_u32_e32 v5, 1, v5
	v_add_nc_u32_e32 v6, 8, v6
	;; [unrolled: 1-line block ×3, first 2 shown]
	v_cmp_lt_u32_e32 vcc_lo, 29, v5
	s_or_b32 s5, vcc_lo, s5
	s_waitcnt vmcnt(1) lgkmcnt(0)
	v_mul_f32_e32 v119, v10, v11
	v_mul_f32_e32 v11, v9, v11
	s_waitcnt vmcnt(0)
	v_fma_f32 v9, v9, v118, -v119
	v_fmac_f32_e32 v11, v10, v118
	v_add_f32_e32 v8, v8, v9
	v_add_f32_e32 v2, v2, v11
	s_andn2_b32 exec_lo, exec_lo, s5
	s_cbranch_execnz .LBB52_137
; %bb.138:
	s_or_b32 exec_lo, exec_lo, s5
	v_mov_b32_e32 v5, 0
	ds_read_b64 v[5:6], v5 offset:248
	s_waitcnt lgkmcnt(0)
	v_mul_f32_e32 v7, v2, v6
	v_mul_f32_e32 v6, v8, v6
	v_fma_f32 v7, v8, v5, -v7
	v_fmac_f32_e32 v6, v2, v5
	buffer_store_dword v7, off, s[0:3], 0 offset:248
	buffer_store_dword v6, off, s[0:3], 0 offset:252
.LBB52_139:
	s_or_b32 exec_lo, exec_lo, s4
	s_waitcnt_vscnt null, 0x0
	s_barrier
	buffer_gl0_inv
	s_clause 0x1
	buffer_load_dword v5, off, s[0:3], 0 offset:256
	buffer_load_dword v6, off, s[0:3], 0 offset:260
	s_mov_b32 s4, exec_lo
	s_waitcnt vmcnt(0)
	ds_write_b64 v4, v[5:6]
	s_waitcnt lgkmcnt(0)
	s_barrier
	buffer_gl0_inv
	v_cmpx_gt_u32_e32 32, v0
	s_cbranch_execz .LBB52_143
; %bb.140:
	v_add_nc_u32_e32 v5, -1, v0
	v_add_nc_u32_e32 v6, 0x1b0, v3
	v_mov_b32_e32 v7, v3
	v_mov_b32_e32 v2, 0
	;; [unrolled: 1-line block ×3, first 2 shown]
	s_mov_b32 s5, 0
	.p2align	6
.LBB52_141:                             ; =>This Inner Loop Header: Depth=1
	s_clause 0x1
	buffer_load_dword v11, v7, s[0:3], 0 offen offset:4
	buffer_load_dword v118, v7, s[0:3], 0 offen
	ds_read_b64 v[9:10], v6
	v_add_nc_u32_e32 v5, 1, v5
	v_add_nc_u32_e32 v6, 8, v6
	v_add_nc_u32_e32 v7, 8, v7
	v_cmp_lt_u32_e32 vcc_lo, 30, v5
	s_or_b32 s5, vcc_lo, s5
	s_waitcnt vmcnt(1) lgkmcnt(0)
	v_mul_f32_e32 v119, v10, v11
	v_mul_f32_e32 v11, v9, v11
	s_waitcnt vmcnt(0)
	v_fma_f32 v9, v9, v118, -v119
	v_fmac_f32_e32 v11, v10, v118
	v_add_f32_e32 v8, v8, v9
	v_add_f32_e32 v2, v2, v11
	s_andn2_b32 exec_lo, exec_lo, s5
	s_cbranch_execnz .LBB52_141
; %bb.142:
	s_or_b32 exec_lo, exec_lo, s5
	v_mov_b32_e32 v5, 0
	ds_read_b64 v[5:6], v5 offset:256
	s_waitcnt lgkmcnt(0)
	v_mul_f32_e32 v7, v2, v6
	v_mul_f32_e32 v6, v8, v6
	v_fma_f32 v7, v8, v5, -v7
	v_fmac_f32_e32 v6, v2, v5
	buffer_store_dword v7, off, s[0:3], 0 offset:256
	buffer_store_dword v6, off, s[0:3], 0 offset:260
.LBB52_143:
	s_or_b32 exec_lo, exec_lo, s4
	s_waitcnt_vscnt null, 0x0
	s_barrier
	buffer_gl0_inv
	s_clause 0x1
	buffer_load_dword v5, off, s[0:3], 0 offset:264
	buffer_load_dword v6, off, s[0:3], 0 offset:268
	s_mov_b32 s4, exec_lo
	s_waitcnt vmcnt(0)
	ds_write_b64 v4, v[5:6]
	s_waitcnt lgkmcnt(0)
	s_barrier
	buffer_gl0_inv
	v_cmpx_gt_u32_e32 33, v0
	s_cbranch_execz .LBB52_147
; %bb.144:
	v_add_nc_u32_e32 v5, -1, v0
	v_add_nc_u32_e32 v6, 0x1b0, v3
	v_mov_b32_e32 v7, v3
	v_mov_b32_e32 v2, 0
	v_mov_b32_e32 v8, 0
	s_mov_b32 s5, 0
	.p2align	6
.LBB52_145:                             ; =>This Inner Loop Header: Depth=1
	s_clause 0x1
	buffer_load_dword v11, v7, s[0:3], 0 offen offset:4
	buffer_load_dword v118, v7, s[0:3], 0 offen
	ds_read_b64 v[9:10], v6
	v_add_nc_u32_e32 v5, 1, v5
	v_add_nc_u32_e32 v6, 8, v6
	;; [unrolled: 1-line block ×3, first 2 shown]
	v_cmp_lt_u32_e32 vcc_lo, 31, v5
	s_or_b32 s5, vcc_lo, s5
	s_waitcnt vmcnt(1) lgkmcnt(0)
	v_mul_f32_e32 v119, v10, v11
	v_mul_f32_e32 v11, v9, v11
	s_waitcnt vmcnt(0)
	v_fma_f32 v9, v9, v118, -v119
	v_fmac_f32_e32 v11, v10, v118
	v_add_f32_e32 v8, v8, v9
	v_add_f32_e32 v2, v2, v11
	s_andn2_b32 exec_lo, exec_lo, s5
	s_cbranch_execnz .LBB52_145
; %bb.146:
	s_or_b32 exec_lo, exec_lo, s5
	v_mov_b32_e32 v5, 0
	ds_read_b64 v[5:6], v5 offset:264
	s_waitcnt lgkmcnt(0)
	v_mul_f32_e32 v7, v2, v6
	v_mul_f32_e32 v6, v8, v6
	v_fma_f32 v7, v8, v5, -v7
	v_fmac_f32_e32 v6, v2, v5
	buffer_store_dword v7, off, s[0:3], 0 offset:264
	buffer_store_dword v6, off, s[0:3], 0 offset:268
.LBB52_147:
	s_or_b32 exec_lo, exec_lo, s4
	s_waitcnt_vscnt null, 0x0
	s_barrier
	buffer_gl0_inv
	s_clause 0x1
	buffer_load_dword v5, off, s[0:3], 0 offset:272
	buffer_load_dword v6, off, s[0:3], 0 offset:276
	s_mov_b32 s4, exec_lo
	s_waitcnt vmcnt(0)
	ds_write_b64 v4, v[5:6]
	s_waitcnt lgkmcnt(0)
	s_barrier
	buffer_gl0_inv
	v_cmpx_gt_u32_e32 34, v0
	s_cbranch_execz .LBB52_151
; %bb.148:
	v_add_nc_u32_e32 v5, -1, v0
	v_add_nc_u32_e32 v6, 0x1b0, v3
	v_mov_b32_e32 v7, v3
	v_mov_b32_e32 v2, 0
	v_mov_b32_e32 v8, 0
	s_mov_b32 s5, 0
	.p2align	6
.LBB52_149:                             ; =>This Inner Loop Header: Depth=1
	s_clause 0x1
	buffer_load_dword v11, v7, s[0:3], 0 offen offset:4
	buffer_load_dword v118, v7, s[0:3], 0 offen
	ds_read_b64 v[9:10], v6
	v_add_nc_u32_e32 v5, 1, v5
	v_add_nc_u32_e32 v6, 8, v6
	;; [unrolled: 1-line block ×3, first 2 shown]
	v_cmp_lt_u32_e32 vcc_lo, 32, v5
	s_or_b32 s5, vcc_lo, s5
	s_waitcnt vmcnt(1) lgkmcnt(0)
	v_mul_f32_e32 v119, v10, v11
	v_mul_f32_e32 v11, v9, v11
	s_waitcnt vmcnt(0)
	v_fma_f32 v9, v9, v118, -v119
	v_fmac_f32_e32 v11, v10, v118
	v_add_f32_e32 v8, v8, v9
	v_add_f32_e32 v2, v2, v11
	s_andn2_b32 exec_lo, exec_lo, s5
	s_cbranch_execnz .LBB52_149
; %bb.150:
	s_or_b32 exec_lo, exec_lo, s5
	v_mov_b32_e32 v5, 0
	ds_read_b64 v[5:6], v5 offset:272
	s_waitcnt lgkmcnt(0)
	v_mul_f32_e32 v7, v2, v6
	v_mul_f32_e32 v6, v8, v6
	v_fma_f32 v7, v8, v5, -v7
	v_fmac_f32_e32 v6, v2, v5
	buffer_store_dword v7, off, s[0:3], 0 offset:272
	buffer_store_dword v6, off, s[0:3], 0 offset:276
.LBB52_151:
	s_or_b32 exec_lo, exec_lo, s4
	s_waitcnt_vscnt null, 0x0
	s_barrier
	buffer_gl0_inv
	s_clause 0x1
	buffer_load_dword v5, off, s[0:3], 0 offset:280
	buffer_load_dword v6, off, s[0:3], 0 offset:284
	s_mov_b32 s4, exec_lo
	s_waitcnt vmcnt(0)
	ds_write_b64 v4, v[5:6]
	s_waitcnt lgkmcnt(0)
	s_barrier
	buffer_gl0_inv
	v_cmpx_gt_u32_e32 35, v0
	s_cbranch_execz .LBB52_155
; %bb.152:
	v_add_nc_u32_e32 v5, -1, v0
	v_add_nc_u32_e32 v6, 0x1b0, v3
	v_mov_b32_e32 v7, v3
	v_mov_b32_e32 v2, 0
	;; [unrolled: 1-line block ×3, first 2 shown]
	s_mov_b32 s5, 0
	.p2align	6
.LBB52_153:                             ; =>This Inner Loop Header: Depth=1
	s_clause 0x1
	buffer_load_dword v11, v7, s[0:3], 0 offen offset:4
	buffer_load_dword v118, v7, s[0:3], 0 offen
	ds_read_b64 v[9:10], v6
	v_add_nc_u32_e32 v5, 1, v5
	v_add_nc_u32_e32 v6, 8, v6
	;; [unrolled: 1-line block ×3, first 2 shown]
	v_cmp_lt_u32_e32 vcc_lo, 33, v5
	s_or_b32 s5, vcc_lo, s5
	s_waitcnt vmcnt(1) lgkmcnt(0)
	v_mul_f32_e32 v119, v10, v11
	v_mul_f32_e32 v11, v9, v11
	s_waitcnt vmcnt(0)
	v_fma_f32 v9, v9, v118, -v119
	v_fmac_f32_e32 v11, v10, v118
	v_add_f32_e32 v8, v8, v9
	v_add_f32_e32 v2, v2, v11
	s_andn2_b32 exec_lo, exec_lo, s5
	s_cbranch_execnz .LBB52_153
; %bb.154:
	s_or_b32 exec_lo, exec_lo, s5
	v_mov_b32_e32 v5, 0
	ds_read_b64 v[5:6], v5 offset:280
	s_waitcnt lgkmcnt(0)
	v_mul_f32_e32 v7, v2, v6
	v_mul_f32_e32 v6, v8, v6
	v_fma_f32 v7, v8, v5, -v7
	v_fmac_f32_e32 v6, v2, v5
	buffer_store_dword v7, off, s[0:3], 0 offset:280
	buffer_store_dword v6, off, s[0:3], 0 offset:284
.LBB52_155:
	s_or_b32 exec_lo, exec_lo, s4
	s_waitcnt_vscnt null, 0x0
	s_barrier
	buffer_gl0_inv
	s_clause 0x1
	buffer_load_dword v5, off, s[0:3], 0 offset:288
	buffer_load_dword v6, off, s[0:3], 0 offset:292
	s_mov_b32 s4, exec_lo
	s_waitcnt vmcnt(0)
	ds_write_b64 v4, v[5:6]
	s_waitcnt lgkmcnt(0)
	s_barrier
	buffer_gl0_inv
	v_cmpx_gt_u32_e32 36, v0
	s_cbranch_execz .LBB52_159
; %bb.156:
	v_add_nc_u32_e32 v5, -1, v0
	v_add_nc_u32_e32 v6, 0x1b0, v3
	v_mov_b32_e32 v7, v3
	v_mov_b32_e32 v2, 0
	;; [unrolled: 1-line block ×3, first 2 shown]
	s_mov_b32 s5, 0
	.p2align	6
.LBB52_157:                             ; =>This Inner Loop Header: Depth=1
	s_clause 0x1
	buffer_load_dword v11, v7, s[0:3], 0 offen offset:4
	buffer_load_dword v118, v7, s[0:3], 0 offen
	ds_read_b64 v[9:10], v6
	v_add_nc_u32_e32 v5, 1, v5
	v_add_nc_u32_e32 v6, 8, v6
	;; [unrolled: 1-line block ×3, first 2 shown]
	v_cmp_lt_u32_e32 vcc_lo, 34, v5
	s_or_b32 s5, vcc_lo, s5
	s_waitcnt vmcnt(1) lgkmcnt(0)
	v_mul_f32_e32 v119, v10, v11
	v_mul_f32_e32 v11, v9, v11
	s_waitcnt vmcnt(0)
	v_fma_f32 v9, v9, v118, -v119
	v_fmac_f32_e32 v11, v10, v118
	v_add_f32_e32 v8, v8, v9
	v_add_f32_e32 v2, v2, v11
	s_andn2_b32 exec_lo, exec_lo, s5
	s_cbranch_execnz .LBB52_157
; %bb.158:
	s_or_b32 exec_lo, exec_lo, s5
	v_mov_b32_e32 v5, 0
	ds_read_b64 v[5:6], v5 offset:288
	s_waitcnt lgkmcnt(0)
	v_mul_f32_e32 v7, v2, v6
	v_mul_f32_e32 v6, v8, v6
	v_fma_f32 v7, v8, v5, -v7
	v_fmac_f32_e32 v6, v2, v5
	buffer_store_dword v7, off, s[0:3], 0 offset:288
	buffer_store_dword v6, off, s[0:3], 0 offset:292
.LBB52_159:
	s_or_b32 exec_lo, exec_lo, s4
	s_waitcnt_vscnt null, 0x0
	s_barrier
	buffer_gl0_inv
	s_clause 0x1
	buffer_load_dword v5, off, s[0:3], 0 offset:296
	buffer_load_dword v6, off, s[0:3], 0 offset:300
	s_mov_b32 s4, exec_lo
	s_waitcnt vmcnt(0)
	ds_write_b64 v4, v[5:6]
	s_waitcnt lgkmcnt(0)
	s_barrier
	buffer_gl0_inv
	v_cmpx_gt_u32_e32 37, v0
	s_cbranch_execz .LBB52_163
; %bb.160:
	v_add_nc_u32_e32 v5, -1, v0
	v_add_nc_u32_e32 v6, 0x1b0, v3
	v_mov_b32_e32 v7, v3
	v_mov_b32_e32 v2, 0
	;; [unrolled: 1-line block ×3, first 2 shown]
	s_mov_b32 s5, 0
	.p2align	6
.LBB52_161:                             ; =>This Inner Loop Header: Depth=1
	s_clause 0x1
	buffer_load_dword v11, v7, s[0:3], 0 offen offset:4
	buffer_load_dword v118, v7, s[0:3], 0 offen
	ds_read_b64 v[9:10], v6
	v_add_nc_u32_e32 v5, 1, v5
	v_add_nc_u32_e32 v6, 8, v6
	;; [unrolled: 1-line block ×3, first 2 shown]
	v_cmp_lt_u32_e32 vcc_lo, 35, v5
	s_or_b32 s5, vcc_lo, s5
	s_waitcnt vmcnt(1) lgkmcnt(0)
	v_mul_f32_e32 v119, v10, v11
	v_mul_f32_e32 v11, v9, v11
	s_waitcnt vmcnt(0)
	v_fma_f32 v9, v9, v118, -v119
	v_fmac_f32_e32 v11, v10, v118
	v_add_f32_e32 v8, v8, v9
	v_add_f32_e32 v2, v2, v11
	s_andn2_b32 exec_lo, exec_lo, s5
	s_cbranch_execnz .LBB52_161
; %bb.162:
	s_or_b32 exec_lo, exec_lo, s5
	v_mov_b32_e32 v5, 0
	ds_read_b64 v[5:6], v5 offset:296
	s_waitcnt lgkmcnt(0)
	v_mul_f32_e32 v7, v2, v6
	v_mul_f32_e32 v6, v8, v6
	v_fma_f32 v7, v8, v5, -v7
	v_fmac_f32_e32 v6, v2, v5
	buffer_store_dword v7, off, s[0:3], 0 offset:296
	buffer_store_dword v6, off, s[0:3], 0 offset:300
.LBB52_163:
	s_or_b32 exec_lo, exec_lo, s4
	s_waitcnt_vscnt null, 0x0
	s_barrier
	buffer_gl0_inv
	s_clause 0x1
	buffer_load_dword v5, off, s[0:3], 0 offset:304
	buffer_load_dword v6, off, s[0:3], 0 offset:308
	s_mov_b32 s4, exec_lo
	s_waitcnt vmcnt(0)
	ds_write_b64 v4, v[5:6]
	s_waitcnt lgkmcnt(0)
	s_barrier
	buffer_gl0_inv
	v_cmpx_gt_u32_e32 38, v0
	s_cbranch_execz .LBB52_167
; %bb.164:
	v_add_nc_u32_e32 v5, -1, v0
	v_add_nc_u32_e32 v6, 0x1b0, v3
	v_mov_b32_e32 v7, v3
	v_mov_b32_e32 v2, 0
	;; [unrolled: 1-line block ×3, first 2 shown]
	s_mov_b32 s5, 0
	.p2align	6
.LBB52_165:                             ; =>This Inner Loop Header: Depth=1
	s_clause 0x1
	buffer_load_dword v11, v7, s[0:3], 0 offen offset:4
	buffer_load_dword v118, v7, s[0:3], 0 offen
	ds_read_b64 v[9:10], v6
	v_add_nc_u32_e32 v5, 1, v5
	v_add_nc_u32_e32 v6, 8, v6
	;; [unrolled: 1-line block ×3, first 2 shown]
	v_cmp_lt_u32_e32 vcc_lo, 36, v5
	s_or_b32 s5, vcc_lo, s5
	s_waitcnt vmcnt(1) lgkmcnt(0)
	v_mul_f32_e32 v119, v10, v11
	v_mul_f32_e32 v11, v9, v11
	s_waitcnt vmcnt(0)
	v_fma_f32 v9, v9, v118, -v119
	v_fmac_f32_e32 v11, v10, v118
	v_add_f32_e32 v8, v8, v9
	v_add_f32_e32 v2, v2, v11
	s_andn2_b32 exec_lo, exec_lo, s5
	s_cbranch_execnz .LBB52_165
; %bb.166:
	s_or_b32 exec_lo, exec_lo, s5
	v_mov_b32_e32 v5, 0
	ds_read_b64 v[5:6], v5 offset:304
	s_waitcnt lgkmcnt(0)
	v_mul_f32_e32 v7, v2, v6
	v_mul_f32_e32 v6, v8, v6
	v_fma_f32 v7, v8, v5, -v7
	v_fmac_f32_e32 v6, v2, v5
	buffer_store_dword v7, off, s[0:3], 0 offset:304
	buffer_store_dword v6, off, s[0:3], 0 offset:308
.LBB52_167:
	s_or_b32 exec_lo, exec_lo, s4
	s_waitcnt_vscnt null, 0x0
	s_barrier
	buffer_gl0_inv
	s_clause 0x1
	buffer_load_dword v5, off, s[0:3], 0 offset:312
	buffer_load_dword v6, off, s[0:3], 0 offset:316
	s_mov_b32 s4, exec_lo
	s_waitcnt vmcnt(0)
	ds_write_b64 v4, v[5:6]
	s_waitcnt lgkmcnt(0)
	s_barrier
	buffer_gl0_inv
	v_cmpx_gt_u32_e32 39, v0
	s_cbranch_execz .LBB52_171
; %bb.168:
	v_add_nc_u32_e32 v5, -1, v0
	v_add_nc_u32_e32 v6, 0x1b0, v3
	v_mov_b32_e32 v7, v3
	v_mov_b32_e32 v2, 0
	;; [unrolled: 1-line block ×3, first 2 shown]
	s_mov_b32 s5, 0
	.p2align	6
.LBB52_169:                             ; =>This Inner Loop Header: Depth=1
	s_clause 0x1
	buffer_load_dword v11, v7, s[0:3], 0 offen offset:4
	buffer_load_dword v118, v7, s[0:3], 0 offen
	ds_read_b64 v[9:10], v6
	v_add_nc_u32_e32 v5, 1, v5
	v_add_nc_u32_e32 v6, 8, v6
	;; [unrolled: 1-line block ×3, first 2 shown]
	v_cmp_lt_u32_e32 vcc_lo, 37, v5
	s_or_b32 s5, vcc_lo, s5
	s_waitcnt vmcnt(1) lgkmcnt(0)
	v_mul_f32_e32 v119, v10, v11
	v_mul_f32_e32 v11, v9, v11
	s_waitcnt vmcnt(0)
	v_fma_f32 v9, v9, v118, -v119
	v_fmac_f32_e32 v11, v10, v118
	v_add_f32_e32 v8, v8, v9
	v_add_f32_e32 v2, v2, v11
	s_andn2_b32 exec_lo, exec_lo, s5
	s_cbranch_execnz .LBB52_169
; %bb.170:
	s_or_b32 exec_lo, exec_lo, s5
	v_mov_b32_e32 v5, 0
	ds_read_b64 v[5:6], v5 offset:312
	s_waitcnt lgkmcnt(0)
	v_mul_f32_e32 v7, v2, v6
	v_mul_f32_e32 v6, v8, v6
	v_fma_f32 v7, v8, v5, -v7
	v_fmac_f32_e32 v6, v2, v5
	buffer_store_dword v7, off, s[0:3], 0 offset:312
	buffer_store_dword v6, off, s[0:3], 0 offset:316
.LBB52_171:
	s_or_b32 exec_lo, exec_lo, s4
	s_waitcnt_vscnt null, 0x0
	s_barrier
	buffer_gl0_inv
	s_clause 0x1
	buffer_load_dword v5, off, s[0:3], 0 offset:320
	buffer_load_dword v6, off, s[0:3], 0 offset:324
	s_mov_b32 s4, exec_lo
	s_waitcnt vmcnt(0)
	ds_write_b64 v4, v[5:6]
	s_waitcnt lgkmcnt(0)
	s_barrier
	buffer_gl0_inv
	v_cmpx_gt_u32_e32 40, v0
	s_cbranch_execz .LBB52_175
; %bb.172:
	v_add_nc_u32_e32 v5, -1, v0
	v_add_nc_u32_e32 v6, 0x1b0, v3
	v_mov_b32_e32 v7, v3
	v_mov_b32_e32 v2, 0
	;; [unrolled: 1-line block ×3, first 2 shown]
	s_mov_b32 s5, 0
	.p2align	6
.LBB52_173:                             ; =>This Inner Loop Header: Depth=1
	s_clause 0x1
	buffer_load_dword v11, v7, s[0:3], 0 offen offset:4
	buffer_load_dword v118, v7, s[0:3], 0 offen
	ds_read_b64 v[9:10], v6
	v_add_nc_u32_e32 v5, 1, v5
	v_add_nc_u32_e32 v6, 8, v6
	;; [unrolled: 1-line block ×3, first 2 shown]
	v_cmp_lt_u32_e32 vcc_lo, 38, v5
	s_or_b32 s5, vcc_lo, s5
	s_waitcnt vmcnt(1) lgkmcnt(0)
	v_mul_f32_e32 v119, v10, v11
	v_mul_f32_e32 v11, v9, v11
	s_waitcnt vmcnt(0)
	v_fma_f32 v9, v9, v118, -v119
	v_fmac_f32_e32 v11, v10, v118
	v_add_f32_e32 v8, v8, v9
	v_add_f32_e32 v2, v2, v11
	s_andn2_b32 exec_lo, exec_lo, s5
	s_cbranch_execnz .LBB52_173
; %bb.174:
	s_or_b32 exec_lo, exec_lo, s5
	v_mov_b32_e32 v5, 0
	ds_read_b64 v[5:6], v5 offset:320
	s_waitcnt lgkmcnt(0)
	v_mul_f32_e32 v7, v2, v6
	v_mul_f32_e32 v6, v8, v6
	v_fma_f32 v7, v8, v5, -v7
	v_fmac_f32_e32 v6, v2, v5
	buffer_store_dword v7, off, s[0:3], 0 offset:320
	buffer_store_dword v6, off, s[0:3], 0 offset:324
.LBB52_175:
	s_or_b32 exec_lo, exec_lo, s4
	s_waitcnt_vscnt null, 0x0
	s_barrier
	buffer_gl0_inv
	s_clause 0x1
	buffer_load_dword v5, off, s[0:3], 0 offset:328
	buffer_load_dword v6, off, s[0:3], 0 offset:332
	s_mov_b32 s4, exec_lo
	s_waitcnt vmcnt(0)
	ds_write_b64 v4, v[5:6]
	s_waitcnt lgkmcnt(0)
	s_barrier
	buffer_gl0_inv
	v_cmpx_gt_u32_e32 41, v0
	s_cbranch_execz .LBB52_179
; %bb.176:
	v_add_nc_u32_e32 v5, -1, v0
	v_add_nc_u32_e32 v6, 0x1b0, v3
	v_mov_b32_e32 v7, v3
	v_mov_b32_e32 v2, 0
	;; [unrolled: 1-line block ×3, first 2 shown]
	s_mov_b32 s5, 0
	.p2align	6
.LBB52_177:                             ; =>This Inner Loop Header: Depth=1
	s_clause 0x1
	buffer_load_dword v11, v7, s[0:3], 0 offen offset:4
	buffer_load_dword v118, v7, s[0:3], 0 offen
	ds_read_b64 v[9:10], v6
	v_add_nc_u32_e32 v5, 1, v5
	v_add_nc_u32_e32 v6, 8, v6
	;; [unrolled: 1-line block ×3, first 2 shown]
	v_cmp_lt_u32_e32 vcc_lo, 39, v5
	s_or_b32 s5, vcc_lo, s5
	s_waitcnt vmcnt(1) lgkmcnt(0)
	v_mul_f32_e32 v119, v10, v11
	v_mul_f32_e32 v11, v9, v11
	s_waitcnt vmcnt(0)
	v_fma_f32 v9, v9, v118, -v119
	v_fmac_f32_e32 v11, v10, v118
	v_add_f32_e32 v8, v8, v9
	v_add_f32_e32 v2, v2, v11
	s_andn2_b32 exec_lo, exec_lo, s5
	s_cbranch_execnz .LBB52_177
; %bb.178:
	s_or_b32 exec_lo, exec_lo, s5
	v_mov_b32_e32 v5, 0
	ds_read_b64 v[5:6], v5 offset:328
	s_waitcnt lgkmcnt(0)
	v_mul_f32_e32 v7, v2, v6
	v_mul_f32_e32 v6, v8, v6
	v_fma_f32 v7, v8, v5, -v7
	v_fmac_f32_e32 v6, v2, v5
	buffer_store_dword v7, off, s[0:3], 0 offset:328
	buffer_store_dword v6, off, s[0:3], 0 offset:332
.LBB52_179:
	s_or_b32 exec_lo, exec_lo, s4
	s_waitcnt_vscnt null, 0x0
	s_barrier
	buffer_gl0_inv
	s_clause 0x1
	buffer_load_dword v5, off, s[0:3], 0 offset:336
	buffer_load_dword v6, off, s[0:3], 0 offset:340
	s_mov_b32 s4, exec_lo
	s_waitcnt vmcnt(0)
	ds_write_b64 v4, v[5:6]
	s_waitcnt lgkmcnt(0)
	s_barrier
	buffer_gl0_inv
	v_cmpx_gt_u32_e32 42, v0
	s_cbranch_execz .LBB52_183
; %bb.180:
	v_add_nc_u32_e32 v5, -1, v0
	v_add_nc_u32_e32 v6, 0x1b0, v3
	v_mov_b32_e32 v7, v3
	v_mov_b32_e32 v2, 0
	;; [unrolled: 1-line block ×3, first 2 shown]
	s_mov_b32 s5, 0
	.p2align	6
.LBB52_181:                             ; =>This Inner Loop Header: Depth=1
	s_clause 0x1
	buffer_load_dword v11, v7, s[0:3], 0 offen offset:4
	buffer_load_dword v118, v7, s[0:3], 0 offen
	ds_read_b64 v[9:10], v6
	v_add_nc_u32_e32 v5, 1, v5
	v_add_nc_u32_e32 v6, 8, v6
	;; [unrolled: 1-line block ×3, first 2 shown]
	v_cmp_lt_u32_e32 vcc_lo, 40, v5
	s_or_b32 s5, vcc_lo, s5
	s_waitcnt vmcnt(1) lgkmcnt(0)
	v_mul_f32_e32 v119, v10, v11
	v_mul_f32_e32 v11, v9, v11
	s_waitcnt vmcnt(0)
	v_fma_f32 v9, v9, v118, -v119
	v_fmac_f32_e32 v11, v10, v118
	v_add_f32_e32 v8, v8, v9
	v_add_f32_e32 v2, v2, v11
	s_andn2_b32 exec_lo, exec_lo, s5
	s_cbranch_execnz .LBB52_181
; %bb.182:
	s_or_b32 exec_lo, exec_lo, s5
	v_mov_b32_e32 v5, 0
	ds_read_b64 v[5:6], v5 offset:336
	s_waitcnt lgkmcnt(0)
	v_mul_f32_e32 v7, v2, v6
	v_mul_f32_e32 v6, v8, v6
	v_fma_f32 v7, v8, v5, -v7
	v_fmac_f32_e32 v6, v2, v5
	buffer_store_dword v7, off, s[0:3], 0 offset:336
	buffer_store_dword v6, off, s[0:3], 0 offset:340
.LBB52_183:
	s_or_b32 exec_lo, exec_lo, s4
	s_waitcnt_vscnt null, 0x0
	s_barrier
	buffer_gl0_inv
	s_clause 0x1
	buffer_load_dword v5, off, s[0:3], 0 offset:344
	buffer_load_dword v6, off, s[0:3], 0 offset:348
	s_mov_b32 s4, exec_lo
	s_waitcnt vmcnt(0)
	ds_write_b64 v4, v[5:6]
	s_waitcnt lgkmcnt(0)
	s_barrier
	buffer_gl0_inv
	v_cmpx_gt_u32_e32 43, v0
	s_cbranch_execz .LBB52_187
; %bb.184:
	v_add_nc_u32_e32 v5, -1, v0
	v_add_nc_u32_e32 v6, 0x1b0, v3
	v_mov_b32_e32 v7, v3
	v_mov_b32_e32 v2, 0
	;; [unrolled: 1-line block ×3, first 2 shown]
	s_mov_b32 s5, 0
	.p2align	6
.LBB52_185:                             ; =>This Inner Loop Header: Depth=1
	s_clause 0x1
	buffer_load_dword v11, v7, s[0:3], 0 offen offset:4
	buffer_load_dword v118, v7, s[0:3], 0 offen
	ds_read_b64 v[9:10], v6
	v_add_nc_u32_e32 v5, 1, v5
	v_add_nc_u32_e32 v6, 8, v6
	;; [unrolled: 1-line block ×3, first 2 shown]
	v_cmp_lt_u32_e32 vcc_lo, 41, v5
	s_or_b32 s5, vcc_lo, s5
	s_waitcnt vmcnt(1) lgkmcnt(0)
	v_mul_f32_e32 v119, v10, v11
	v_mul_f32_e32 v11, v9, v11
	s_waitcnt vmcnt(0)
	v_fma_f32 v9, v9, v118, -v119
	v_fmac_f32_e32 v11, v10, v118
	v_add_f32_e32 v8, v8, v9
	v_add_f32_e32 v2, v2, v11
	s_andn2_b32 exec_lo, exec_lo, s5
	s_cbranch_execnz .LBB52_185
; %bb.186:
	s_or_b32 exec_lo, exec_lo, s5
	v_mov_b32_e32 v5, 0
	ds_read_b64 v[5:6], v5 offset:344
	s_waitcnt lgkmcnt(0)
	v_mul_f32_e32 v7, v2, v6
	v_mul_f32_e32 v6, v8, v6
	v_fma_f32 v7, v8, v5, -v7
	v_fmac_f32_e32 v6, v2, v5
	buffer_store_dword v7, off, s[0:3], 0 offset:344
	buffer_store_dword v6, off, s[0:3], 0 offset:348
.LBB52_187:
	s_or_b32 exec_lo, exec_lo, s4
	s_waitcnt_vscnt null, 0x0
	s_barrier
	buffer_gl0_inv
	s_clause 0x1
	buffer_load_dword v5, off, s[0:3], 0 offset:352
	buffer_load_dword v6, off, s[0:3], 0 offset:356
	s_mov_b32 s4, exec_lo
	s_waitcnt vmcnt(0)
	ds_write_b64 v4, v[5:6]
	s_waitcnt lgkmcnt(0)
	s_barrier
	buffer_gl0_inv
	v_cmpx_gt_u32_e32 44, v0
	s_cbranch_execz .LBB52_191
; %bb.188:
	v_add_nc_u32_e32 v5, -1, v0
	v_add_nc_u32_e32 v6, 0x1b0, v3
	v_mov_b32_e32 v7, v3
	v_mov_b32_e32 v2, 0
	;; [unrolled: 1-line block ×3, first 2 shown]
	s_mov_b32 s5, 0
	.p2align	6
.LBB52_189:                             ; =>This Inner Loop Header: Depth=1
	s_clause 0x1
	buffer_load_dword v11, v7, s[0:3], 0 offen offset:4
	buffer_load_dword v118, v7, s[0:3], 0 offen
	ds_read_b64 v[9:10], v6
	v_add_nc_u32_e32 v5, 1, v5
	v_add_nc_u32_e32 v6, 8, v6
	;; [unrolled: 1-line block ×3, first 2 shown]
	v_cmp_lt_u32_e32 vcc_lo, 42, v5
	s_or_b32 s5, vcc_lo, s5
	s_waitcnt vmcnt(1) lgkmcnt(0)
	v_mul_f32_e32 v119, v10, v11
	v_mul_f32_e32 v11, v9, v11
	s_waitcnt vmcnt(0)
	v_fma_f32 v9, v9, v118, -v119
	v_fmac_f32_e32 v11, v10, v118
	v_add_f32_e32 v8, v8, v9
	v_add_f32_e32 v2, v2, v11
	s_andn2_b32 exec_lo, exec_lo, s5
	s_cbranch_execnz .LBB52_189
; %bb.190:
	s_or_b32 exec_lo, exec_lo, s5
	v_mov_b32_e32 v5, 0
	ds_read_b64 v[5:6], v5 offset:352
	s_waitcnt lgkmcnt(0)
	v_mul_f32_e32 v7, v2, v6
	v_mul_f32_e32 v6, v8, v6
	v_fma_f32 v7, v8, v5, -v7
	v_fmac_f32_e32 v6, v2, v5
	buffer_store_dword v7, off, s[0:3], 0 offset:352
	buffer_store_dword v6, off, s[0:3], 0 offset:356
.LBB52_191:
	s_or_b32 exec_lo, exec_lo, s4
	s_waitcnt_vscnt null, 0x0
	s_barrier
	buffer_gl0_inv
	s_clause 0x1
	buffer_load_dword v5, off, s[0:3], 0 offset:360
	buffer_load_dword v6, off, s[0:3], 0 offset:364
	s_mov_b32 s4, exec_lo
	s_waitcnt vmcnt(0)
	ds_write_b64 v4, v[5:6]
	s_waitcnt lgkmcnt(0)
	s_barrier
	buffer_gl0_inv
	v_cmpx_gt_u32_e32 45, v0
	s_cbranch_execz .LBB52_195
; %bb.192:
	v_add_nc_u32_e32 v5, -1, v0
	v_add_nc_u32_e32 v6, 0x1b0, v3
	v_mov_b32_e32 v7, v3
	v_mov_b32_e32 v2, 0
	;; [unrolled: 1-line block ×3, first 2 shown]
	s_mov_b32 s5, 0
	.p2align	6
.LBB52_193:                             ; =>This Inner Loop Header: Depth=1
	s_clause 0x1
	buffer_load_dword v11, v7, s[0:3], 0 offen offset:4
	buffer_load_dword v118, v7, s[0:3], 0 offen
	ds_read_b64 v[9:10], v6
	v_add_nc_u32_e32 v5, 1, v5
	v_add_nc_u32_e32 v6, 8, v6
	;; [unrolled: 1-line block ×3, first 2 shown]
	v_cmp_lt_u32_e32 vcc_lo, 43, v5
	s_or_b32 s5, vcc_lo, s5
	s_waitcnt vmcnt(1) lgkmcnt(0)
	v_mul_f32_e32 v119, v10, v11
	v_mul_f32_e32 v11, v9, v11
	s_waitcnt vmcnt(0)
	v_fma_f32 v9, v9, v118, -v119
	v_fmac_f32_e32 v11, v10, v118
	v_add_f32_e32 v8, v8, v9
	v_add_f32_e32 v2, v2, v11
	s_andn2_b32 exec_lo, exec_lo, s5
	s_cbranch_execnz .LBB52_193
; %bb.194:
	s_or_b32 exec_lo, exec_lo, s5
	v_mov_b32_e32 v5, 0
	ds_read_b64 v[5:6], v5 offset:360
	s_waitcnt lgkmcnt(0)
	v_mul_f32_e32 v7, v2, v6
	v_mul_f32_e32 v6, v8, v6
	v_fma_f32 v7, v8, v5, -v7
	v_fmac_f32_e32 v6, v2, v5
	buffer_store_dword v7, off, s[0:3], 0 offset:360
	buffer_store_dword v6, off, s[0:3], 0 offset:364
.LBB52_195:
	s_or_b32 exec_lo, exec_lo, s4
	s_waitcnt_vscnt null, 0x0
	s_barrier
	buffer_gl0_inv
	s_clause 0x1
	buffer_load_dword v5, off, s[0:3], 0 offset:368
	buffer_load_dword v6, off, s[0:3], 0 offset:372
	s_mov_b32 s4, exec_lo
	s_waitcnt vmcnt(0)
	ds_write_b64 v4, v[5:6]
	s_waitcnt lgkmcnt(0)
	s_barrier
	buffer_gl0_inv
	v_cmpx_gt_u32_e32 46, v0
	s_cbranch_execz .LBB52_199
; %bb.196:
	v_add_nc_u32_e32 v5, -1, v0
	v_add_nc_u32_e32 v6, 0x1b0, v3
	v_mov_b32_e32 v7, v3
	v_mov_b32_e32 v2, 0
	;; [unrolled: 1-line block ×3, first 2 shown]
	s_mov_b32 s5, 0
	.p2align	6
.LBB52_197:                             ; =>This Inner Loop Header: Depth=1
	s_clause 0x1
	buffer_load_dword v11, v7, s[0:3], 0 offen offset:4
	buffer_load_dword v118, v7, s[0:3], 0 offen
	ds_read_b64 v[9:10], v6
	v_add_nc_u32_e32 v5, 1, v5
	v_add_nc_u32_e32 v6, 8, v6
	;; [unrolled: 1-line block ×3, first 2 shown]
	v_cmp_lt_u32_e32 vcc_lo, 44, v5
	s_or_b32 s5, vcc_lo, s5
	s_waitcnt vmcnt(1) lgkmcnt(0)
	v_mul_f32_e32 v119, v10, v11
	v_mul_f32_e32 v11, v9, v11
	s_waitcnt vmcnt(0)
	v_fma_f32 v9, v9, v118, -v119
	v_fmac_f32_e32 v11, v10, v118
	v_add_f32_e32 v8, v8, v9
	v_add_f32_e32 v2, v2, v11
	s_andn2_b32 exec_lo, exec_lo, s5
	s_cbranch_execnz .LBB52_197
; %bb.198:
	s_or_b32 exec_lo, exec_lo, s5
	v_mov_b32_e32 v5, 0
	ds_read_b64 v[5:6], v5 offset:368
	s_waitcnt lgkmcnt(0)
	v_mul_f32_e32 v7, v2, v6
	v_mul_f32_e32 v6, v8, v6
	v_fma_f32 v7, v8, v5, -v7
	v_fmac_f32_e32 v6, v2, v5
	buffer_store_dword v7, off, s[0:3], 0 offset:368
	buffer_store_dword v6, off, s[0:3], 0 offset:372
.LBB52_199:
	s_or_b32 exec_lo, exec_lo, s4
	s_waitcnt_vscnt null, 0x0
	s_barrier
	buffer_gl0_inv
	s_clause 0x1
	buffer_load_dword v5, off, s[0:3], 0 offset:376
	buffer_load_dword v6, off, s[0:3], 0 offset:380
	s_mov_b32 s4, exec_lo
	s_waitcnt vmcnt(0)
	ds_write_b64 v4, v[5:6]
	s_waitcnt lgkmcnt(0)
	s_barrier
	buffer_gl0_inv
	v_cmpx_gt_u32_e32 47, v0
	s_cbranch_execz .LBB52_203
; %bb.200:
	v_add_nc_u32_e32 v5, -1, v0
	v_add_nc_u32_e32 v6, 0x1b0, v3
	v_mov_b32_e32 v7, v3
	v_mov_b32_e32 v2, 0
	;; [unrolled: 1-line block ×3, first 2 shown]
	s_mov_b32 s5, 0
	.p2align	6
.LBB52_201:                             ; =>This Inner Loop Header: Depth=1
	s_clause 0x1
	buffer_load_dword v11, v7, s[0:3], 0 offen offset:4
	buffer_load_dword v118, v7, s[0:3], 0 offen
	ds_read_b64 v[9:10], v6
	v_add_nc_u32_e32 v5, 1, v5
	v_add_nc_u32_e32 v6, 8, v6
	;; [unrolled: 1-line block ×3, first 2 shown]
	v_cmp_lt_u32_e32 vcc_lo, 45, v5
	s_or_b32 s5, vcc_lo, s5
	s_waitcnt vmcnt(1) lgkmcnt(0)
	v_mul_f32_e32 v119, v10, v11
	v_mul_f32_e32 v11, v9, v11
	s_waitcnt vmcnt(0)
	v_fma_f32 v9, v9, v118, -v119
	v_fmac_f32_e32 v11, v10, v118
	v_add_f32_e32 v8, v8, v9
	v_add_f32_e32 v2, v2, v11
	s_andn2_b32 exec_lo, exec_lo, s5
	s_cbranch_execnz .LBB52_201
; %bb.202:
	s_or_b32 exec_lo, exec_lo, s5
	v_mov_b32_e32 v5, 0
	ds_read_b64 v[5:6], v5 offset:376
	s_waitcnt lgkmcnt(0)
	v_mul_f32_e32 v7, v2, v6
	v_mul_f32_e32 v6, v8, v6
	v_fma_f32 v7, v8, v5, -v7
	v_fmac_f32_e32 v6, v2, v5
	buffer_store_dword v7, off, s[0:3], 0 offset:376
	buffer_store_dword v6, off, s[0:3], 0 offset:380
.LBB52_203:
	s_or_b32 exec_lo, exec_lo, s4
	s_waitcnt_vscnt null, 0x0
	s_barrier
	buffer_gl0_inv
	s_clause 0x1
	buffer_load_dword v5, off, s[0:3], 0 offset:384
	buffer_load_dword v6, off, s[0:3], 0 offset:388
	s_mov_b32 s4, exec_lo
	s_waitcnt vmcnt(0)
	ds_write_b64 v4, v[5:6]
	s_waitcnt lgkmcnt(0)
	s_barrier
	buffer_gl0_inv
	v_cmpx_gt_u32_e32 48, v0
	s_cbranch_execz .LBB52_207
; %bb.204:
	v_add_nc_u32_e32 v5, -1, v0
	v_add_nc_u32_e32 v6, 0x1b0, v3
	v_mov_b32_e32 v7, v3
	v_mov_b32_e32 v2, 0
	;; [unrolled: 1-line block ×3, first 2 shown]
	s_mov_b32 s5, 0
	.p2align	6
.LBB52_205:                             ; =>This Inner Loop Header: Depth=1
	s_clause 0x1
	buffer_load_dword v11, v7, s[0:3], 0 offen offset:4
	buffer_load_dword v118, v7, s[0:3], 0 offen
	ds_read_b64 v[9:10], v6
	v_add_nc_u32_e32 v5, 1, v5
	v_add_nc_u32_e32 v6, 8, v6
	v_add_nc_u32_e32 v7, 8, v7
	v_cmp_lt_u32_e32 vcc_lo, 46, v5
	s_or_b32 s5, vcc_lo, s5
	s_waitcnt vmcnt(1) lgkmcnt(0)
	v_mul_f32_e32 v119, v10, v11
	v_mul_f32_e32 v11, v9, v11
	s_waitcnt vmcnt(0)
	v_fma_f32 v9, v9, v118, -v119
	v_fmac_f32_e32 v11, v10, v118
	v_add_f32_e32 v8, v8, v9
	v_add_f32_e32 v2, v2, v11
	s_andn2_b32 exec_lo, exec_lo, s5
	s_cbranch_execnz .LBB52_205
; %bb.206:
	s_or_b32 exec_lo, exec_lo, s5
	v_mov_b32_e32 v5, 0
	ds_read_b64 v[5:6], v5 offset:384
	s_waitcnt lgkmcnt(0)
	v_mul_f32_e32 v7, v2, v6
	v_mul_f32_e32 v6, v8, v6
	v_fma_f32 v7, v8, v5, -v7
	v_fmac_f32_e32 v6, v2, v5
	buffer_store_dword v7, off, s[0:3], 0 offset:384
	buffer_store_dword v6, off, s[0:3], 0 offset:388
.LBB52_207:
	s_or_b32 exec_lo, exec_lo, s4
	s_waitcnt_vscnt null, 0x0
	s_barrier
	buffer_gl0_inv
	s_clause 0x1
	buffer_load_dword v5, off, s[0:3], 0 offset:392
	buffer_load_dword v6, off, s[0:3], 0 offset:396
	s_mov_b32 s4, exec_lo
	s_waitcnt vmcnt(0)
	ds_write_b64 v4, v[5:6]
	s_waitcnt lgkmcnt(0)
	s_barrier
	buffer_gl0_inv
	v_cmpx_gt_u32_e32 49, v0
	s_cbranch_execz .LBB52_211
; %bb.208:
	v_add_nc_u32_e32 v5, -1, v0
	v_add_nc_u32_e32 v6, 0x1b0, v3
	v_mov_b32_e32 v7, v3
	v_mov_b32_e32 v2, 0
	;; [unrolled: 1-line block ×3, first 2 shown]
	s_mov_b32 s5, 0
	.p2align	6
.LBB52_209:                             ; =>This Inner Loop Header: Depth=1
	s_clause 0x1
	buffer_load_dword v11, v7, s[0:3], 0 offen offset:4
	buffer_load_dword v118, v7, s[0:3], 0 offen
	ds_read_b64 v[9:10], v6
	v_add_nc_u32_e32 v5, 1, v5
	v_add_nc_u32_e32 v6, 8, v6
	v_add_nc_u32_e32 v7, 8, v7
	v_cmp_lt_u32_e32 vcc_lo, 47, v5
	s_or_b32 s5, vcc_lo, s5
	s_waitcnt vmcnt(1) lgkmcnt(0)
	v_mul_f32_e32 v119, v10, v11
	v_mul_f32_e32 v11, v9, v11
	s_waitcnt vmcnt(0)
	v_fma_f32 v9, v9, v118, -v119
	v_fmac_f32_e32 v11, v10, v118
	v_add_f32_e32 v8, v8, v9
	v_add_f32_e32 v2, v2, v11
	s_andn2_b32 exec_lo, exec_lo, s5
	s_cbranch_execnz .LBB52_209
; %bb.210:
	s_or_b32 exec_lo, exec_lo, s5
	v_mov_b32_e32 v5, 0
	ds_read_b64 v[5:6], v5 offset:392
	s_waitcnt lgkmcnt(0)
	v_mul_f32_e32 v7, v2, v6
	v_mul_f32_e32 v6, v8, v6
	v_fma_f32 v7, v8, v5, -v7
	v_fmac_f32_e32 v6, v2, v5
	buffer_store_dword v7, off, s[0:3], 0 offset:392
	buffer_store_dword v6, off, s[0:3], 0 offset:396
.LBB52_211:
	s_or_b32 exec_lo, exec_lo, s4
	s_waitcnt_vscnt null, 0x0
	s_barrier
	buffer_gl0_inv
	s_clause 0x1
	buffer_load_dword v5, off, s[0:3], 0 offset:400
	buffer_load_dword v6, off, s[0:3], 0 offset:404
	s_mov_b32 s4, exec_lo
	s_waitcnt vmcnt(0)
	ds_write_b64 v4, v[5:6]
	s_waitcnt lgkmcnt(0)
	s_barrier
	buffer_gl0_inv
	v_cmpx_gt_u32_e32 50, v0
	s_cbranch_execz .LBB52_215
; %bb.212:
	v_add_nc_u32_e32 v5, -1, v0
	v_add_nc_u32_e32 v6, 0x1b0, v3
	v_mov_b32_e32 v7, v3
	v_mov_b32_e32 v2, 0
	;; [unrolled: 1-line block ×3, first 2 shown]
	s_mov_b32 s5, 0
	.p2align	6
.LBB52_213:                             ; =>This Inner Loop Header: Depth=1
	s_clause 0x1
	buffer_load_dword v11, v7, s[0:3], 0 offen offset:4
	buffer_load_dword v118, v7, s[0:3], 0 offen
	ds_read_b64 v[9:10], v6
	v_add_nc_u32_e32 v5, 1, v5
	v_add_nc_u32_e32 v6, 8, v6
	;; [unrolled: 1-line block ×3, first 2 shown]
	v_cmp_lt_u32_e32 vcc_lo, 48, v5
	s_or_b32 s5, vcc_lo, s5
	s_waitcnt vmcnt(1) lgkmcnt(0)
	v_mul_f32_e32 v119, v10, v11
	v_mul_f32_e32 v11, v9, v11
	s_waitcnt vmcnt(0)
	v_fma_f32 v9, v9, v118, -v119
	v_fmac_f32_e32 v11, v10, v118
	v_add_f32_e32 v8, v8, v9
	v_add_f32_e32 v2, v2, v11
	s_andn2_b32 exec_lo, exec_lo, s5
	s_cbranch_execnz .LBB52_213
; %bb.214:
	s_or_b32 exec_lo, exec_lo, s5
	v_mov_b32_e32 v5, 0
	ds_read_b64 v[5:6], v5 offset:400
	s_waitcnt lgkmcnt(0)
	v_mul_f32_e32 v7, v2, v6
	v_mul_f32_e32 v6, v8, v6
	v_fma_f32 v7, v8, v5, -v7
	v_fmac_f32_e32 v6, v2, v5
	buffer_store_dword v7, off, s[0:3], 0 offset:400
	buffer_store_dword v6, off, s[0:3], 0 offset:404
.LBB52_215:
	s_or_b32 exec_lo, exec_lo, s4
	s_waitcnt_vscnt null, 0x0
	s_barrier
	buffer_gl0_inv
	s_clause 0x1
	buffer_load_dword v5, off, s[0:3], 0 offset:408
	buffer_load_dword v6, off, s[0:3], 0 offset:412
	s_mov_b32 s4, exec_lo
	s_waitcnt vmcnt(0)
	ds_write_b64 v4, v[5:6]
	s_waitcnt lgkmcnt(0)
	s_barrier
	buffer_gl0_inv
	v_cmpx_gt_u32_e32 51, v0
	s_cbranch_execz .LBB52_219
; %bb.216:
	v_add_nc_u32_e32 v5, -1, v0
	v_add_nc_u32_e32 v6, 0x1b0, v3
	v_mov_b32_e32 v7, v3
	v_mov_b32_e32 v2, 0
	;; [unrolled: 1-line block ×3, first 2 shown]
	s_mov_b32 s5, 0
	.p2align	6
.LBB52_217:                             ; =>This Inner Loop Header: Depth=1
	s_clause 0x1
	buffer_load_dword v11, v7, s[0:3], 0 offen offset:4
	buffer_load_dword v118, v7, s[0:3], 0 offen
	ds_read_b64 v[9:10], v6
	v_add_nc_u32_e32 v5, 1, v5
	v_add_nc_u32_e32 v6, 8, v6
	;; [unrolled: 1-line block ×3, first 2 shown]
	v_cmp_lt_u32_e32 vcc_lo, 49, v5
	s_or_b32 s5, vcc_lo, s5
	s_waitcnt vmcnt(1) lgkmcnt(0)
	v_mul_f32_e32 v119, v10, v11
	v_mul_f32_e32 v11, v9, v11
	s_waitcnt vmcnt(0)
	v_fma_f32 v9, v9, v118, -v119
	v_fmac_f32_e32 v11, v10, v118
	v_add_f32_e32 v8, v8, v9
	v_add_f32_e32 v2, v2, v11
	s_andn2_b32 exec_lo, exec_lo, s5
	s_cbranch_execnz .LBB52_217
; %bb.218:
	s_or_b32 exec_lo, exec_lo, s5
	v_mov_b32_e32 v5, 0
	ds_read_b64 v[5:6], v5 offset:408
	s_waitcnt lgkmcnt(0)
	v_mul_f32_e32 v7, v2, v6
	v_mul_f32_e32 v6, v8, v6
	v_fma_f32 v7, v8, v5, -v7
	v_fmac_f32_e32 v6, v2, v5
	buffer_store_dword v7, off, s[0:3], 0 offset:408
	buffer_store_dword v6, off, s[0:3], 0 offset:412
.LBB52_219:
	s_or_b32 exec_lo, exec_lo, s4
	s_waitcnt_vscnt null, 0x0
	s_barrier
	buffer_gl0_inv
	s_clause 0x1
	buffer_load_dword v5, off, s[0:3], 0 offset:416
	buffer_load_dword v6, off, s[0:3], 0 offset:420
	s_mov_b32 s4, exec_lo
	s_waitcnt vmcnt(0)
	ds_write_b64 v4, v[5:6]
	s_waitcnt lgkmcnt(0)
	s_barrier
	buffer_gl0_inv
	v_cmpx_ne_u32_e32 52, v0
	s_cbranch_execz .LBB52_223
; %bb.220:
	v_mov_b32_e32 v2, 0
	v_mov_b32_e32 v5, 0
	s_mov_b32 s5, 0
	.p2align	6
.LBB52_221:                             ; =>This Inner Loop Header: Depth=1
	s_clause 0x1
	buffer_load_dword v8, v3, s[0:3], 0 offen offset:4
	buffer_load_dword v9, v3, s[0:3], 0 offen
	ds_read_b64 v[6:7], v4
	v_add_nc_u32_e32 v1, 1, v1
	v_add_nc_u32_e32 v4, 8, v4
	;; [unrolled: 1-line block ×3, first 2 shown]
	v_cmp_lt_u32_e32 vcc_lo, 50, v1
	s_or_b32 s5, vcc_lo, s5
	s_waitcnt vmcnt(1) lgkmcnt(0)
	v_mul_f32_e32 v10, v7, v8
	v_mul_f32_e32 v8, v6, v8
	s_waitcnt vmcnt(0)
	v_fma_f32 v6, v6, v9, -v10
	v_fmac_f32_e32 v8, v7, v9
	v_add_f32_e32 v5, v5, v6
	v_add_f32_e32 v2, v2, v8
	s_andn2_b32 exec_lo, exec_lo, s5
	s_cbranch_execnz .LBB52_221
; %bb.222:
	s_or_b32 exec_lo, exec_lo, s5
	v_mov_b32_e32 v1, 0
	ds_read_b64 v[3:4], v1 offset:416
	s_waitcnt lgkmcnt(0)
	v_mul_f32_e32 v1, v2, v4
	v_mul_f32_e32 v4, v5, v4
	v_fma_f32 v1, v5, v3, -v1
	v_fmac_f32_e32 v4, v2, v3
	buffer_store_dword v1, off, s[0:3], 0 offset:416
	buffer_store_dword v4, off, s[0:3], 0 offset:420
.LBB52_223:
	s_or_b32 exec_lo, exec_lo, s4
	s_mov_b32 s5, -1
	s_waitcnt_vscnt null, 0x0
	s_barrier
	buffer_gl0_inv
.LBB52_224:
	s_and_b32 vcc_lo, exec_lo, s5
	s_cbranch_vccz .LBB52_226
; %bb.225:
	s_lshl_b64 s[4:5], s[6:7], 2
	v_mov_b32_e32 v1, 0
	s_add_u32 s4, s10, s4
	s_addc_u32 s5, s11, s5
	global_load_dword v1, v1, s[4:5]
	s_waitcnt vmcnt(0)
	v_cmp_ne_u32_e32 vcc_lo, 0, v1
	s_cbranch_vccz .LBB52_227
.LBB52_226:
	s_endpgm
.LBB52_227:
	v_lshl_add_u32 v9, v0, 3, 0x1b0
	s_mov_b32 s4, exec_lo
	v_cmpx_eq_u32_e32 52, v0
	s_cbranch_execz .LBB52_229
; %bb.228:
	s_clause 0x1
	buffer_load_dword v1, off, s[0:3], 0 offset:408
	buffer_load_dword v2, off, s[0:3], 0 offset:412
	v_mov_b32_e32 v3, 0
	buffer_store_dword v3, off, s[0:3], 0 offset:408
	buffer_store_dword v3, off, s[0:3], 0 offset:412
	s_waitcnt vmcnt(0)
	ds_write_b64 v9, v[1:2]
.LBB52_229:
	s_or_b32 exec_lo, exec_lo, s4
	s_waitcnt lgkmcnt(0)
	s_waitcnt_vscnt null, 0x0
	s_barrier
	buffer_gl0_inv
	s_clause 0x3
	buffer_load_dword v4, off, s[0:3], 0 offset:420
	buffer_load_dword v5, off, s[0:3], 0 offset:416
	;; [unrolled: 1-line block ×4, first 2 shown]
	v_mov_b32_e32 v1, 0
	s_mov_b32 s4, exec_lo
	ds_read_b64 v[2:3], v1 offset:848
	s_waitcnt vmcnt(3) lgkmcnt(0)
	v_mul_f32_e32 v8, v3, v4
	v_mul_f32_e32 v4, v2, v4
	s_waitcnt vmcnt(2)
	v_fma_f32 v2, v2, v5, -v8
	v_fmac_f32_e32 v4, v3, v5
	v_add_f32_e32 v2, 0, v2
	v_add_f32_e32 v3, 0, v4
	s_waitcnt vmcnt(1)
	v_sub_f32_e32 v2, v6, v2
	s_waitcnt vmcnt(0)
	v_sub_f32_e32 v3, v7, v3
	buffer_store_dword v2, off, s[0:3], 0 offset:408
	buffer_store_dword v3, off, s[0:3], 0 offset:412
	v_cmpx_lt_u32_e32 50, v0
	s_cbranch_execz .LBB52_231
; %bb.230:
	s_clause 0x1
	buffer_load_dword v2, off, s[0:3], 0 offset:400
	buffer_load_dword v3, off, s[0:3], 0 offset:404
	buffer_store_dword v1, off, s[0:3], 0 offset:400
	buffer_store_dword v1, off, s[0:3], 0 offset:404
	s_waitcnt vmcnt(0)
	ds_write_b64 v9, v[2:3]
.LBB52_231:
	s_or_b32 exec_lo, exec_lo, s4
	s_waitcnt lgkmcnt(0)
	s_waitcnt_vscnt null, 0x0
	s_barrier
	buffer_gl0_inv
	s_clause 0x5
	buffer_load_dword v5, off, s[0:3], 0 offset:412
	buffer_load_dword v6, off, s[0:3], 0 offset:420
	;; [unrolled: 1-line block ×6, first 2 shown]
	ds_read2_b64 v[1:4], v1 offset0:105 offset1:106
	s_mov_b32 s4, exec_lo
	s_waitcnt vmcnt(5) lgkmcnt(0)
	v_mul_f32_e32 v118, v2, v5
	v_mul_f32_e32 v5, v1, v5
	s_waitcnt vmcnt(4)
	v_mul_f32_e32 v119, v3, v6
	v_mul_f32_e32 v6, v4, v6
	s_waitcnt vmcnt(3)
	v_fma_f32 v1, v1, v7, -v118
	v_fmac_f32_e32 v5, v2, v7
	s_waitcnt vmcnt(2)
	v_fmac_f32_e32 v119, v4, v8
	v_fma_f32 v2, v3, v8, -v6
	v_add_f32_e32 v1, 0, v1
	v_add_f32_e32 v3, 0, v5
	;; [unrolled: 1-line block ×4, first 2 shown]
	s_waitcnt vmcnt(1)
	v_sub_f32_e32 v1, v10, v1
	s_waitcnt vmcnt(0)
	v_sub_f32_e32 v2, v11, v2
	buffer_store_dword v1, off, s[0:3], 0 offset:400
	buffer_store_dword v2, off, s[0:3], 0 offset:404
	v_cmpx_lt_u32_e32 49, v0
	s_cbranch_execz .LBB52_233
; %bb.232:
	s_clause 0x1
	buffer_load_dword v1, off, s[0:3], 0 offset:392
	buffer_load_dword v2, off, s[0:3], 0 offset:396
	v_mov_b32_e32 v3, 0
	buffer_store_dword v3, off, s[0:3], 0 offset:392
	buffer_store_dword v3, off, s[0:3], 0 offset:396
	s_waitcnt vmcnt(0)
	ds_write_b64 v9, v[1:2]
.LBB52_233:
	s_or_b32 exec_lo, exec_lo, s4
	s_waitcnt lgkmcnt(0)
	s_waitcnt_vscnt null, 0x0
	s_barrier
	buffer_gl0_inv
	s_clause 0x7
	buffer_load_dword v8, off, s[0:3], 0 offset:404
	buffer_load_dword v10, off, s[0:3], 0 offset:412
	;; [unrolled: 1-line block ×8, first 2 shown]
	v_mov_b32_e32 v1, 0
	ds_read_b128 v[2:5], v1 offset:832
	ds_read_b64 v[6:7], v1 offset:848
	s_mov_b32 s4, exec_lo
	s_waitcnt vmcnt(7) lgkmcnt(1)
	v_mul_f32_e32 v123, v3, v8
	v_mul_f32_e32 v8, v2, v8
	s_waitcnt vmcnt(6)
	v_mul_f32_e32 v124, v4, v10
	v_mul_f32_e32 v10, v5, v10
	s_waitcnt vmcnt(5) lgkmcnt(0)
	v_mul_f32_e32 v125, v6, v11
	s_waitcnt vmcnt(4)
	v_fma_f32 v2, v2, v118, -v123
	v_fmac_f32_e32 v8, v3, v118
	v_mul_f32_e32 v3, v7, v11
	s_waitcnt vmcnt(3)
	v_fma_f32 v4, v4, v119, -v10
	v_fmac_f32_e32 v124, v5, v119
	v_add_f32_e32 v2, 0, v2
	v_add_f32_e32 v5, 0, v8
	s_waitcnt vmcnt(2)
	v_fma_f32 v3, v6, v120, -v3
	v_fmac_f32_e32 v125, v7, v120
	v_add_f32_e32 v2, v2, v4
	v_add_f32_e32 v4, v5, v124
	;; [unrolled: 1-line block ×4, first 2 shown]
	s_waitcnt vmcnt(1)
	v_sub_f32_e32 v2, v121, v2
	s_waitcnt vmcnt(0)
	v_sub_f32_e32 v3, v122, v3
	buffer_store_dword v2, off, s[0:3], 0 offset:392
	buffer_store_dword v3, off, s[0:3], 0 offset:396
	v_cmpx_lt_u32_e32 48, v0
	s_cbranch_execz .LBB52_235
; %bb.234:
	s_clause 0x1
	buffer_load_dword v2, off, s[0:3], 0 offset:384
	buffer_load_dword v3, off, s[0:3], 0 offset:388
	buffer_store_dword v1, off, s[0:3], 0 offset:384
	buffer_store_dword v1, off, s[0:3], 0 offset:388
	s_waitcnt vmcnt(0)
	ds_write_b64 v9, v[2:3]
.LBB52_235:
	s_or_b32 exec_lo, exec_lo, s4
	s_waitcnt lgkmcnt(0)
	s_waitcnt_vscnt null, 0x0
	s_barrier
	buffer_gl0_inv
	s_clause 0x9
	buffer_load_dword v6, off, s[0:3], 0 offset:396
	buffer_load_dword v7, off, s[0:3], 0 offset:404
	;; [unrolled: 1-line block ×10, first 2 shown]
	ds_read2_b64 v[2:5], v1 offset0:103 offset1:104
	ds_read2_b64 v[118:121], v1 offset0:105 offset1:106
	s_mov_b32 s4, exec_lo
	s_waitcnt vmcnt(9) lgkmcnt(1)
	v_mul_f32_e32 v1, v2, v6
	v_mul_f32_e32 v6, v3, v6
	s_waitcnt vmcnt(8)
	v_mul_f32_e32 v127, v4, v7
	v_mul_f32_e32 v7, v5, v7
	s_waitcnt vmcnt(7) lgkmcnt(0)
	v_mul_f32_e32 v128, v118, v8
	s_waitcnt vmcnt(5)
	v_fmac_f32_e32 v1, v3, v11
	v_fma_f32 v2, v2, v11, -v6
	v_mul_f32_e32 v3, v119, v8
	s_waitcnt vmcnt(4)
	v_fma_f32 v4, v4, v122, -v7
	v_fmac_f32_e32 v127, v5, v122
	v_add_f32_e32 v1, 0, v1
	v_add_f32_e32 v2, 0, v2
	v_mul_f32_e32 v5, v121, v10
	s_waitcnt vmcnt(3)
	v_fma_f32 v3, v118, v123, -v3
	v_mul_f32_e32 v129, v120, v10
	v_fmac_f32_e32 v128, v119, v123
	v_add_f32_e32 v2, v2, v4
	v_add_f32_e32 v1, v1, v127
	s_waitcnt vmcnt(2)
	v_fma_f32 v4, v120, v124, -v5
	v_fmac_f32_e32 v129, v121, v124
	v_add_f32_e32 v2, v2, v3
	v_add_f32_e32 v1, v1, v128
	;; [unrolled: 1-line block ×4, first 2 shown]
	s_waitcnt vmcnt(1)
	v_sub_f32_e32 v2, v125, v2
	s_waitcnt vmcnt(0)
	v_sub_f32_e32 v1, v126, v1
	buffer_store_dword v2, off, s[0:3], 0 offset:384
	buffer_store_dword v1, off, s[0:3], 0 offset:388
	v_cmpx_lt_u32_e32 47, v0
	s_cbranch_execz .LBB52_237
; %bb.236:
	s_clause 0x1
	buffer_load_dword v1, off, s[0:3], 0 offset:376
	buffer_load_dword v2, off, s[0:3], 0 offset:380
	v_mov_b32_e32 v3, 0
	buffer_store_dword v3, off, s[0:3], 0 offset:376
	buffer_store_dword v3, off, s[0:3], 0 offset:380
	s_waitcnt vmcnt(0)
	ds_write_b64 v9, v[1:2]
.LBB52_237:
	s_or_b32 exec_lo, exec_lo, s4
	s_waitcnt lgkmcnt(0)
	s_waitcnt_vscnt null, 0x0
	s_barrier
	buffer_gl0_inv
	s_clause 0xb
	buffer_load_dword v8, off, s[0:3], 0 offset:388
	buffer_load_dword v10, off, s[0:3], 0 offset:396
	buffer_load_dword v11, off, s[0:3], 0 offset:404
	buffer_load_dword v122, off, s[0:3], 0 offset:412
	buffer_load_dword v123, off, s[0:3], 0 offset:420
	buffer_load_dword v124, off, s[0:3], 0 offset:384
	buffer_load_dword v125, off, s[0:3], 0 offset:392
	buffer_load_dword v126, off, s[0:3], 0 offset:400
	buffer_load_dword v127, off, s[0:3], 0 offset:408
	buffer_load_dword v128, off, s[0:3], 0 offset:416
	buffer_load_dword v129, off, s[0:3], 0 offset:376
	buffer_load_dword v130, off, s[0:3], 0 offset:380
	v_mov_b32_e32 v1, 0
	ds_read_b128 v[2:5], v1 offset:816
	ds_read_b128 v[118:121], v1 offset:832
	ds_read_b64 v[6:7], v1 offset:848
	s_mov_b32 s4, exec_lo
	s_waitcnt vmcnt(11) lgkmcnt(2)
	v_mul_f32_e32 v131, v2, v8
	v_mul_f32_e32 v8, v3, v8
	s_waitcnt vmcnt(10)
	v_mul_f32_e32 v132, v4, v10
	v_mul_f32_e32 v10, v5, v10
	s_waitcnt vmcnt(9) lgkmcnt(1)
	v_mul_f32_e32 v133, v118, v11
	s_waitcnt vmcnt(6)
	v_fmac_f32_e32 v131, v3, v124
	v_fma_f32 v2, v2, v124, -v8
	v_mul_f32_e32 v3, v119, v11
	s_waitcnt vmcnt(5)
	v_fma_f32 v4, v4, v125, -v10
	v_fmac_f32_e32 v132, v5, v125
	v_add_f32_e32 v5, 0, v131
	v_add_f32_e32 v2, 0, v2
	v_mul_f32_e32 v8, v121, v122
	s_waitcnt vmcnt(4)
	v_fma_f32 v3, v118, v126, -v3
	v_mul_f32_e32 v134, v120, v122
	v_fmac_f32_e32 v133, v119, v126
	v_add_f32_e32 v2, v2, v4
	v_add_f32_e32 v4, v5, v132
	s_waitcnt lgkmcnt(0)
	v_mul_f32_e32 v5, v7, v123
	s_waitcnt vmcnt(3)
	v_fma_f32 v8, v120, v127, -v8
	v_mul_f32_e32 v135, v6, v123
	v_add_f32_e32 v2, v2, v3
	v_fmac_f32_e32 v134, v121, v127
	v_add_f32_e32 v3, v4, v133
	s_waitcnt vmcnt(2)
	v_fma_f32 v4, v6, v128, -v5
	v_fmac_f32_e32 v135, v7, v128
	v_add_f32_e32 v2, v2, v8
	v_add_f32_e32 v3, v3, v134
	v_add_f32_e32 v2, v2, v4
	v_add_f32_e32 v3, v3, v135
	s_waitcnt vmcnt(1)
	v_sub_f32_e32 v2, v129, v2
	s_waitcnt vmcnt(0)
	v_sub_f32_e32 v3, v130, v3
	buffer_store_dword v2, off, s[0:3], 0 offset:376
	buffer_store_dword v3, off, s[0:3], 0 offset:380
	v_cmpx_lt_u32_e32 46, v0
	s_cbranch_execz .LBB52_239
; %bb.238:
	s_clause 0x1
	buffer_load_dword v2, off, s[0:3], 0 offset:368
	buffer_load_dword v3, off, s[0:3], 0 offset:372
	buffer_store_dword v1, off, s[0:3], 0 offset:368
	buffer_store_dword v1, off, s[0:3], 0 offset:372
	s_waitcnt vmcnt(0)
	ds_write_b64 v9, v[2:3]
.LBB52_239:
	s_or_b32 exec_lo, exec_lo, s4
	s_waitcnt lgkmcnt(0)
	s_waitcnt_vscnt null, 0x0
	s_barrier
	buffer_gl0_inv
	s_clause 0xd
	buffer_load_dword v6, off, s[0:3], 0 offset:380
	buffer_load_dword v7, off, s[0:3], 0 offset:388
	;; [unrolled: 1-line block ×14, first 2 shown]
	ds_read2_b64 v[2:5], v1 offset0:101 offset1:102
	ds_read2_b64 v[118:121], v1 offset0:103 offset1:104
	;; [unrolled: 1-line block ×3, first 2 shown]
	s_mov_b32 s4, exec_lo
	s_waitcnt vmcnt(13) lgkmcnt(2)
	v_mul_f32_e32 v1, v2, v6
	v_mul_f32_e32 v6, v3, v6
	s_waitcnt vmcnt(12)
	v_mul_f32_e32 v135, v4, v7
	v_mul_f32_e32 v7, v5, v7
	s_waitcnt vmcnt(11) lgkmcnt(1)
	v_mul_f32_e32 v136, v118, v8
	s_waitcnt vmcnt(10)
	v_mul_f32_e32 v137, v120, v10
	s_waitcnt vmcnt(7)
	v_fma_f32 v2, v2, v127, -v6
	v_fmac_f32_e32 v1, v3, v127
	v_mul_f32_e32 v3, v119, v8
	s_waitcnt vmcnt(6)
	v_fma_f32 v4, v4, v128, -v7
	v_fmac_f32_e32 v135, v5, v128
	v_add_f32_e32 v2, 0, v2
	v_add_f32_e32 v1, 0, v1
	v_mul_f32_e32 v5, v121, v10
	s_waitcnt vmcnt(5)
	v_fma_f32 v3, v118, v129, -v3
	v_fmac_f32_e32 v136, v119, v129
	v_add_f32_e32 v2, v2, v4
	v_add_f32_e32 v1, v1, v135
	s_waitcnt lgkmcnt(0)
	v_mul_f32_e32 v4, v123, v11
	s_waitcnt vmcnt(4)
	v_fma_f32 v5, v120, v130, -v5
	v_mul_f32_e32 v138, v122, v11
	v_add_f32_e32 v2, v2, v3
	v_fmac_f32_e32 v137, v121, v130
	v_add_f32_e32 v1, v1, v136
	v_mul_f32_e32 v3, v125, v126
	s_waitcnt vmcnt(3)
	v_fma_f32 v4, v122, v131, -v4
	v_add_f32_e32 v2, v2, v5
	v_mul_f32_e32 v139, v124, v126
	v_fmac_f32_e32 v138, v123, v131
	v_add_f32_e32 v1, v1, v137
	s_waitcnt vmcnt(2)
	v_fma_f32 v3, v124, v132, -v3
	v_add_f32_e32 v2, v2, v4
	v_fmac_f32_e32 v139, v125, v132
	v_add_f32_e32 v1, v1, v138
	v_add_f32_e32 v2, v2, v3
	;; [unrolled: 1-line block ×3, first 2 shown]
	s_waitcnt vmcnt(1)
	v_sub_f32_e32 v2, v133, v2
	s_waitcnt vmcnt(0)
	v_sub_f32_e32 v1, v134, v1
	buffer_store_dword v2, off, s[0:3], 0 offset:368
	buffer_store_dword v1, off, s[0:3], 0 offset:372
	v_cmpx_lt_u32_e32 45, v0
	s_cbranch_execz .LBB52_241
; %bb.240:
	s_clause 0x1
	buffer_load_dword v1, off, s[0:3], 0 offset:360
	buffer_load_dword v2, off, s[0:3], 0 offset:364
	v_mov_b32_e32 v3, 0
	buffer_store_dword v3, off, s[0:3], 0 offset:360
	buffer_store_dword v3, off, s[0:3], 0 offset:364
	s_waitcnt vmcnt(0)
	ds_write_b64 v9, v[1:2]
.LBB52_241:
	s_or_b32 exec_lo, exec_lo, s4
	s_waitcnt lgkmcnt(0)
	s_waitcnt_vscnt null, 0x0
	s_barrier
	buffer_gl0_inv
	s_clause 0xf
	buffer_load_dword v8, off, s[0:3], 0 offset:372
	buffer_load_dword v10, off, s[0:3], 0 offset:380
	;; [unrolled: 1-line block ×16, first 2 shown]
	v_mov_b32_e32 v1, 0
	ds_read_b128 v[2:5], v1 offset:800
	ds_read_b128 v[118:121], v1 offset:816
	;; [unrolled: 1-line block ×3, first 2 shown]
	ds_read_b64 v[6:7], v1 offset:848
	s_mov_b32 s4, exec_lo
	s_waitcnt vmcnt(15) lgkmcnt(3)
	v_mul_f32_e32 v139, v2, v8
	v_mul_f32_e32 v8, v3, v8
	s_waitcnt vmcnt(14)
	v_mul_f32_e32 v140, v4, v10
	v_mul_f32_e32 v10, v5, v10
	s_waitcnt vmcnt(13) lgkmcnt(2)
	v_mul_f32_e32 v141, v118, v11
	s_waitcnt vmcnt(12)
	v_mul_f32_e32 v142, v120, v126
	s_waitcnt vmcnt(11) lgkmcnt(1)
	v_mul_f32_e32 v143, v122, v127
	s_waitcnt vmcnt(8)
	v_fma_f32 v2, v2, v130, -v8
	v_fmac_f32_e32 v139, v3, v130
	v_mul_f32_e32 v3, v119, v11
	s_waitcnt vmcnt(7)
	v_fma_f32 v4, v4, v131, -v10
	v_fmac_f32_e32 v140, v5, v131
	v_add_f32_e32 v2, 0, v2
	v_add_f32_e32 v5, 0, v139
	v_mul_f32_e32 v8, v121, v126
	s_waitcnt vmcnt(6)
	v_fma_f32 v3, v118, v132, -v3
	v_fmac_f32_e32 v141, v119, v132
	v_add_f32_e32 v2, v2, v4
	v_add_f32_e32 v4, v5, v140
	;; [unrolled: 6-line block ×3, first 2 shown]
	v_mul_f32_e32 v4, v125, v128
	s_waitcnt vmcnt(4)
	v_fma_f32 v5, v122, v134, -v5
	v_mul_f32_e32 v144, v124, v128
	v_add_f32_e32 v2, v2, v8
	v_fmac_f32_e32 v143, v123, v134
	v_add_f32_e32 v3, v3, v142
	s_waitcnt lgkmcnt(0)
	v_mul_f32_e32 v8, v7, v129
	s_waitcnt vmcnt(3)
	v_fma_f32 v4, v124, v135, -v4
	v_add_f32_e32 v2, v2, v5
	v_mul_f32_e32 v145, v6, v129
	v_fmac_f32_e32 v144, v125, v135
	v_add_f32_e32 v3, v3, v143
	s_waitcnt vmcnt(2)
	v_fma_f32 v5, v6, v136, -v8
	v_add_f32_e32 v2, v2, v4
	v_fmac_f32_e32 v145, v7, v136
	v_add_f32_e32 v3, v3, v144
	v_add_f32_e32 v2, v2, v5
	;; [unrolled: 1-line block ×3, first 2 shown]
	s_waitcnt vmcnt(1)
	v_sub_f32_e32 v2, v137, v2
	s_waitcnt vmcnt(0)
	v_sub_f32_e32 v3, v138, v3
	buffer_store_dword v2, off, s[0:3], 0 offset:360
	buffer_store_dword v3, off, s[0:3], 0 offset:364
	v_cmpx_lt_u32_e32 44, v0
	s_cbranch_execz .LBB52_243
; %bb.242:
	s_clause 0x1
	buffer_load_dword v2, off, s[0:3], 0 offset:352
	buffer_load_dword v3, off, s[0:3], 0 offset:356
	buffer_store_dword v1, off, s[0:3], 0 offset:352
	buffer_store_dword v1, off, s[0:3], 0 offset:356
	s_waitcnt vmcnt(0)
	ds_write_b64 v9, v[2:3]
.LBB52_243:
	s_or_b32 exec_lo, exec_lo, s4
	s_waitcnt lgkmcnt(0)
	s_waitcnt_vscnt null, 0x0
	s_barrier
	buffer_gl0_inv
	s_clause 0x11
	buffer_load_dword v6, off, s[0:3], 0 offset:364
	buffer_load_dword v7, off, s[0:3], 0 offset:372
	;; [unrolled: 1-line block ×18, first 2 shown]
	ds_read2_b64 v[2:5], v1 offset0:99 offset1:100
	ds_read2_b64 v[118:121], v1 offset0:101 offset1:102
	;; [unrolled: 1-line block ×4, first 2 shown]
	s_mov_b32 s4, exec_lo
	s_waitcnt vmcnt(17) lgkmcnt(3)
	v_mul_f32_e32 v1, v2, v6
	v_mul_f32_e32 v6, v3, v6
	s_waitcnt vmcnt(16)
	v_mul_f32_e32 v143, v4, v7
	v_mul_f32_e32 v7, v5, v7
	s_waitcnt vmcnt(15) lgkmcnt(2)
	v_mul_f32_e32 v144, v118, v8
	s_waitcnt vmcnt(14)
	v_mul_f32_e32 v145, v120, v10
	s_waitcnt vmcnt(13) lgkmcnt(1)
	v_mul_f32_e32 v146, v122, v11
	s_waitcnt vmcnt(12)
	v_mul_f32_e32 v147, v124, v130
	s_waitcnt vmcnt(9)
	v_fma_f32 v2, v2, v133, -v6
	v_fmac_f32_e32 v1, v3, v133
	v_mul_f32_e32 v3, v119, v8
	s_waitcnt vmcnt(8)
	v_fma_f32 v4, v4, v134, -v7
	v_fmac_f32_e32 v143, v5, v134
	v_add_f32_e32 v2, 0, v2
	v_add_f32_e32 v1, 0, v1
	v_mul_f32_e32 v5, v121, v10
	s_waitcnt vmcnt(7)
	v_fma_f32 v3, v118, v135, -v3
	v_fmac_f32_e32 v144, v119, v135
	v_add_f32_e32 v2, v2, v4
	v_add_f32_e32 v1, v1, v143
	;; [unrolled: 6-line block ×4, first 2 shown]
	s_waitcnt lgkmcnt(0)
	v_mul_f32_e32 v5, v127, v131
	s_waitcnt vmcnt(4)
	v_fma_f32 v3, v124, v138, -v3
	v_mul_f32_e32 v148, v126, v131
	v_add_f32_e32 v2, v2, v4
	v_fmac_f32_e32 v147, v125, v138
	v_add_f32_e32 v1, v1, v146
	v_mul_f32_e32 v4, v129, v132
	s_waitcnt vmcnt(3)
	v_fma_f32 v5, v126, v139, -v5
	v_add_f32_e32 v2, v2, v3
	v_mul_f32_e32 v149, v128, v132
	v_fmac_f32_e32 v148, v127, v139
	v_add_f32_e32 v1, v1, v147
	s_waitcnt vmcnt(2)
	v_fma_f32 v3, v128, v140, -v4
	v_add_f32_e32 v2, v2, v5
	v_fmac_f32_e32 v149, v129, v140
	v_add_f32_e32 v1, v1, v148
	v_add_f32_e32 v2, v2, v3
	;; [unrolled: 1-line block ×3, first 2 shown]
	s_waitcnt vmcnt(1)
	v_sub_f32_e32 v2, v141, v2
	s_waitcnt vmcnt(0)
	v_sub_f32_e32 v1, v142, v1
	buffer_store_dword v2, off, s[0:3], 0 offset:352
	buffer_store_dword v1, off, s[0:3], 0 offset:356
	v_cmpx_lt_u32_e32 43, v0
	s_cbranch_execz .LBB52_245
; %bb.244:
	s_clause 0x1
	buffer_load_dword v1, off, s[0:3], 0 offset:344
	buffer_load_dword v2, off, s[0:3], 0 offset:348
	v_mov_b32_e32 v3, 0
	buffer_store_dword v3, off, s[0:3], 0 offset:344
	buffer_store_dword v3, off, s[0:3], 0 offset:348
	s_waitcnt vmcnt(0)
	ds_write_b64 v9, v[1:2]
.LBB52_245:
	s_or_b32 exec_lo, exec_lo, s4
	s_waitcnt lgkmcnt(0)
	s_waitcnt_vscnt null, 0x0
	s_barrier
	buffer_gl0_inv
	s_clause 0x13
	buffer_load_dword v8, off, s[0:3], 0 offset:356
	buffer_load_dword v10, off, s[0:3], 0 offset:364
	;; [unrolled: 1-line block ×20, first 2 shown]
	v_mov_b32_e32 v1, 0
	ds_read_b128 v[2:5], v1 offset:784
	ds_read_b128 v[118:121], v1 offset:800
	;; [unrolled: 1-line block ×4, first 2 shown]
	ds_read_b64 v[6:7], v1 offset:848
	s_mov_b32 s4, exec_lo
	s_waitcnt vmcnt(19) lgkmcnt(4)
	v_mul_f32_e32 v147, v2, v8
	v_mul_f32_e32 v8, v3, v8
	s_waitcnt vmcnt(18)
	v_mul_f32_e32 v148, v4, v10
	v_mul_f32_e32 v10, v5, v10
	s_waitcnt vmcnt(17) lgkmcnt(3)
	v_mul_f32_e32 v149, v118, v11
	s_waitcnt vmcnt(16)
	v_mul_f32_e32 v150, v120, v130
	s_waitcnt vmcnt(15) lgkmcnt(2)
	v_mul_f32_e32 v151, v122, v131
	s_waitcnt vmcnt(14)
	v_mul_f32_e32 v152, v124, v132
	s_waitcnt vmcnt(13) lgkmcnt(1)
	v_mul_f32_e32 v153, v126, v133
	s_waitcnt vmcnt(10)
	v_fma_f32 v2, v2, v136, -v8
	v_fmac_f32_e32 v147, v3, v136
	v_mul_f32_e32 v3, v119, v11
	s_waitcnt vmcnt(9)
	v_fma_f32 v4, v4, v137, -v10
	v_fmac_f32_e32 v148, v5, v137
	v_add_f32_e32 v2, 0, v2
	v_add_f32_e32 v5, 0, v147
	v_mul_f32_e32 v8, v121, v130
	s_waitcnt vmcnt(8)
	v_fma_f32 v3, v118, v138, -v3
	v_fmac_f32_e32 v149, v119, v138
	v_add_f32_e32 v2, v2, v4
	v_add_f32_e32 v4, v5, v148
	;; [unrolled: 6-line block ×5, first 2 shown]
	v_mul_f32_e32 v5, v129, v134
	s_waitcnt vmcnt(4)
	v_fma_f32 v8, v126, v142, -v8
	v_mul_f32_e32 v154, v128, v134
	v_add_f32_e32 v2, v2, v4
	v_fmac_f32_e32 v153, v127, v142
	v_add_f32_e32 v3, v3, v152
	s_waitcnt lgkmcnt(0)
	v_mul_f32_e32 v4, v7, v135
	s_waitcnt vmcnt(3)
	v_fma_f32 v5, v128, v143, -v5
	v_add_f32_e32 v2, v2, v8
	v_mul_f32_e32 v155, v6, v135
	v_fmac_f32_e32 v154, v129, v143
	v_add_f32_e32 v3, v3, v153
	s_waitcnt vmcnt(2)
	v_fma_f32 v4, v6, v144, -v4
	v_add_f32_e32 v2, v2, v5
	v_fmac_f32_e32 v155, v7, v144
	v_add_f32_e32 v3, v3, v154
	v_add_f32_e32 v2, v2, v4
	;; [unrolled: 1-line block ×3, first 2 shown]
	s_waitcnt vmcnt(1)
	v_sub_f32_e32 v2, v145, v2
	s_waitcnt vmcnt(0)
	v_sub_f32_e32 v3, v146, v3
	buffer_store_dword v2, off, s[0:3], 0 offset:344
	buffer_store_dword v3, off, s[0:3], 0 offset:348
	v_cmpx_lt_u32_e32 42, v0
	s_cbranch_execz .LBB52_247
; %bb.246:
	s_clause 0x1
	buffer_load_dword v2, off, s[0:3], 0 offset:336
	buffer_load_dword v3, off, s[0:3], 0 offset:340
	buffer_store_dword v1, off, s[0:3], 0 offset:336
	buffer_store_dword v1, off, s[0:3], 0 offset:340
	s_waitcnt vmcnt(0)
	ds_write_b64 v9, v[2:3]
.LBB52_247:
	s_or_b32 exec_lo, exec_lo, s4
	s_waitcnt lgkmcnt(0)
	s_waitcnt_vscnt null, 0x0
	s_barrier
	buffer_gl0_inv
	s_clause 0x15
	buffer_load_dword v6, off, s[0:3], 0 offset:348
	buffer_load_dword v7, off, s[0:3], 0 offset:356
	;; [unrolled: 1-line block ×22, first 2 shown]
	ds_read2_b64 v[2:5], v1 offset0:97 offset1:98
	ds_read2_b64 v[118:121], v1 offset0:99 offset1:100
	;; [unrolled: 1-line block ×5, first 2 shown]
	s_mov_b32 s4, exec_lo
	s_waitcnt vmcnt(21) lgkmcnt(4)
	v_mul_f32_e32 v1, v2, v6
	v_mul_f32_e32 v6, v3, v6
	s_waitcnt vmcnt(20)
	v_mul_f32_e32 v151, v4, v7
	v_mul_f32_e32 v7, v5, v7
	s_waitcnt vmcnt(19) lgkmcnt(3)
	v_mul_f32_e32 v152, v118, v8
	s_waitcnt vmcnt(18)
	v_mul_f32_e32 v153, v120, v10
	s_waitcnt vmcnt(17) lgkmcnt(2)
	v_mul_f32_e32 v154, v122, v11
	s_waitcnt vmcnt(16)
	;; [unrolled: 4-line block ×3, first 2 shown]
	v_mul_f32_e32 v157, v128, v136
	s_waitcnt vmcnt(11)
	v_fma_f32 v2, v2, v139, -v6
	v_fmac_f32_e32 v1, v3, v139
	v_mul_f32_e32 v3, v119, v8
	s_waitcnt vmcnt(10)
	v_fma_f32 v4, v4, v140, -v7
	v_fmac_f32_e32 v151, v5, v140
	v_add_f32_e32 v2, 0, v2
	v_add_f32_e32 v1, 0, v1
	v_mul_f32_e32 v5, v121, v10
	s_waitcnt vmcnt(9)
	v_fma_f32 v3, v118, v141, -v3
	v_fmac_f32_e32 v152, v119, v141
	v_add_f32_e32 v2, v2, v4
	v_add_f32_e32 v1, v1, v151
	;; [unrolled: 6-line block ×6, first 2 shown]
	s_waitcnt lgkmcnt(0)
	v_mul_f32_e32 v3, v131, v137
	s_waitcnt vmcnt(4)
	v_fma_f32 v4, v128, v146, -v4
	v_mul_f32_e32 v158, v130, v137
	v_add_f32_e32 v2, v2, v5
	v_fmac_f32_e32 v157, v129, v146
	v_add_f32_e32 v1, v1, v156
	v_mul_f32_e32 v5, v133, v138
	s_waitcnt vmcnt(3)
	v_fma_f32 v3, v130, v147, -v3
	v_add_f32_e32 v2, v2, v4
	v_mul_f32_e32 v159, v132, v138
	v_fmac_f32_e32 v158, v131, v147
	v_add_f32_e32 v1, v1, v157
	s_waitcnt vmcnt(2)
	v_fma_f32 v4, v132, v148, -v5
	v_add_f32_e32 v2, v2, v3
	v_fmac_f32_e32 v159, v133, v148
	v_add_f32_e32 v1, v1, v158
	v_add_f32_e32 v2, v2, v4
	;; [unrolled: 1-line block ×3, first 2 shown]
	s_waitcnt vmcnt(1)
	v_sub_f32_e32 v2, v149, v2
	s_waitcnt vmcnt(0)
	v_sub_f32_e32 v1, v150, v1
	buffer_store_dword v2, off, s[0:3], 0 offset:336
	buffer_store_dword v1, off, s[0:3], 0 offset:340
	v_cmpx_lt_u32_e32 41, v0
	s_cbranch_execz .LBB52_249
; %bb.248:
	s_clause 0x1
	buffer_load_dword v1, off, s[0:3], 0 offset:328
	buffer_load_dword v2, off, s[0:3], 0 offset:332
	v_mov_b32_e32 v3, 0
	buffer_store_dword v3, off, s[0:3], 0 offset:328
	buffer_store_dword v3, off, s[0:3], 0 offset:332
	s_waitcnt vmcnt(0)
	ds_write_b64 v9, v[1:2]
.LBB52_249:
	s_or_b32 exec_lo, exec_lo, s4
	s_waitcnt lgkmcnt(0)
	s_waitcnt_vscnt null, 0x0
	s_barrier
	buffer_gl0_inv
	s_clause 0x17
	buffer_load_dword v8, off, s[0:3], 0 offset:340
	buffer_load_dword v10, off, s[0:3], 0 offset:348
	buffer_load_dword v11, off, s[0:3], 0 offset:356
	buffer_load_dword v134, off, s[0:3], 0 offset:364
	buffer_load_dword v135, off, s[0:3], 0 offset:372
	buffer_load_dword v136, off, s[0:3], 0 offset:380
	buffer_load_dword v137, off, s[0:3], 0 offset:388
	buffer_load_dword v138, off, s[0:3], 0 offset:396
	buffer_load_dword v139, off, s[0:3], 0 offset:404
	buffer_load_dword v140, off, s[0:3], 0 offset:412
	buffer_load_dword v141, off, s[0:3], 0 offset:420
	buffer_load_dword v142, off, s[0:3], 0 offset:336
	buffer_load_dword v143, off, s[0:3], 0 offset:344
	buffer_load_dword v144, off, s[0:3], 0 offset:352
	buffer_load_dword v145, off, s[0:3], 0 offset:360
	buffer_load_dword v146, off, s[0:3], 0 offset:368
	buffer_load_dword v147, off, s[0:3], 0 offset:376
	buffer_load_dword v148, off, s[0:3], 0 offset:384
	buffer_load_dword v149, off, s[0:3], 0 offset:392
	buffer_load_dword v150, off, s[0:3], 0 offset:400
	buffer_load_dword v151, off, s[0:3], 0 offset:408
	buffer_load_dword v152, off, s[0:3], 0 offset:416
	buffer_load_dword v153, off, s[0:3], 0 offset:328
	buffer_load_dword v154, off, s[0:3], 0 offset:332
	v_mov_b32_e32 v1, 0
	ds_read_b128 v[2:5], v1 offset:768
	ds_read_b128 v[118:121], v1 offset:784
	;; [unrolled: 1-line block ×5, first 2 shown]
	ds_read_b64 v[6:7], v1 offset:848
	s_mov_b32 s4, exec_lo
	s_waitcnt vmcnt(23) lgkmcnt(5)
	v_mul_f32_e32 v155, v2, v8
	v_mul_f32_e32 v8, v3, v8
	s_waitcnt vmcnt(22)
	v_mul_f32_e32 v156, v4, v10
	v_mul_f32_e32 v10, v5, v10
	s_waitcnt vmcnt(21) lgkmcnt(4)
	v_mul_f32_e32 v157, v118, v11
	s_waitcnt vmcnt(20)
	v_mul_f32_e32 v158, v120, v134
	s_waitcnt vmcnt(19) lgkmcnt(3)
	v_mul_f32_e32 v159, v122, v135
	s_waitcnt vmcnt(18)
	;; [unrolled: 4-line block ×4, first 2 shown]
	v_fma_f32 v2, v2, v142, -v8
	v_fmac_f32_e32 v155, v3, v142
	v_mul_f32_e32 v3, v119, v11
	s_waitcnt vmcnt(11)
	v_fma_f32 v4, v4, v143, -v10
	v_fmac_f32_e32 v156, v5, v143
	v_add_f32_e32 v2, 0, v2
	v_add_f32_e32 v5, 0, v155
	v_mul_f32_e32 v8, v121, v134
	s_waitcnt vmcnt(10)
	v_fma_f32 v3, v118, v144, -v3
	v_fmac_f32_e32 v157, v119, v144
	v_add_f32_e32 v2, v2, v4
	v_add_f32_e32 v4, v5, v156
	;; [unrolled: 6-line block ×7, first 2 shown]
	v_mul_f32_e32 v8, v133, v140
	s_waitcnt vmcnt(4)
	v_fma_f32 v4, v130, v150, -v4
	v_mul_f32_e32 v164, v132, v140
	v_add_f32_e32 v2, v2, v5
	v_fmac_f32_e32 v163, v131, v150
	v_add_f32_e32 v3, v3, v162
	s_waitcnt lgkmcnt(0)
	v_mul_f32_e32 v5, v7, v141
	s_waitcnt vmcnt(3)
	v_fma_f32 v8, v132, v151, -v8
	v_add_f32_e32 v2, v2, v4
	v_mul_f32_e32 v165, v6, v141
	v_fmac_f32_e32 v164, v133, v151
	v_add_f32_e32 v3, v3, v163
	s_waitcnt vmcnt(2)
	v_fma_f32 v4, v6, v152, -v5
	v_add_f32_e32 v2, v2, v8
	v_fmac_f32_e32 v165, v7, v152
	v_add_f32_e32 v3, v3, v164
	v_add_f32_e32 v2, v2, v4
	;; [unrolled: 1-line block ×3, first 2 shown]
	s_waitcnt vmcnt(1)
	v_sub_f32_e32 v2, v153, v2
	s_waitcnt vmcnt(0)
	v_sub_f32_e32 v3, v154, v3
	buffer_store_dword v2, off, s[0:3], 0 offset:328
	buffer_store_dword v3, off, s[0:3], 0 offset:332
	v_cmpx_lt_u32_e32 40, v0
	s_cbranch_execz .LBB52_251
; %bb.250:
	s_clause 0x1
	buffer_load_dword v2, off, s[0:3], 0 offset:320
	buffer_load_dword v3, off, s[0:3], 0 offset:324
	buffer_store_dword v1, off, s[0:3], 0 offset:320
	buffer_store_dword v1, off, s[0:3], 0 offset:324
	s_waitcnt vmcnt(0)
	ds_write_b64 v9, v[2:3]
.LBB52_251:
	s_or_b32 exec_lo, exec_lo, s4
	s_waitcnt lgkmcnt(0)
	s_waitcnt_vscnt null, 0x0
	s_barrier
	buffer_gl0_inv
	s_clause 0x19
	buffer_load_dword v6, off, s[0:3], 0 offset:332
	buffer_load_dword v7, off, s[0:3], 0 offset:340
	;; [unrolled: 1-line block ×26, first 2 shown]
	ds_read2_b64 v[2:5], v1 offset0:95 offset1:96
	ds_read2_b64 v[118:121], v1 offset0:97 offset1:98
	;; [unrolled: 1-line block ×6, first 2 shown]
	s_mov_b32 s4, exec_lo
	s_waitcnt vmcnt(25) lgkmcnt(5)
	v_mul_f32_e32 v1, v2, v6
	v_mul_f32_e32 v6, v3, v6
	s_waitcnt vmcnt(24)
	v_mul_f32_e32 v159, v4, v7
	v_mul_f32_e32 v7, v5, v7
	s_waitcnt vmcnt(23) lgkmcnt(4)
	v_mul_f32_e32 v160, v118, v8
	s_waitcnt vmcnt(22)
	v_mul_f32_e32 v161, v120, v10
	s_waitcnt vmcnt(21) lgkmcnt(3)
	v_mul_f32_e32 v162, v122, v11
	s_waitcnt vmcnt(20)
	;; [unrolled: 4-line block ×4, first 2 shown]
	v_mul_f32_e32 v167, v132, v142
	s_waitcnt vmcnt(13)
	v_fma_f32 v2, v2, v145, -v6
	v_fmac_f32_e32 v1, v3, v145
	v_mul_f32_e32 v3, v119, v8
	s_waitcnt vmcnt(12)
	v_fma_f32 v4, v4, v146, -v7
	v_fmac_f32_e32 v159, v5, v146
	v_add_f32_e32 v2, 0, v2
	v_add_f32_e32 v1, 0, v1
	v_mul_f32_e32 v5, v121, v10
	s_waitcnt vmcnt(11)
	v_fma_f32 v3, v118, v147, -v3
	v_fmac_f32_e32 v160, v119, v147
	v_add_f32_e32 v2, v2, v4
	v_add_f32_e32 v1, v1, v159
	;; [unrolled: 6-line block ×8, first 2 shown]
	s_waitcnt lgkmcnt(0)
	v_mul_f32_e32 v4, v135, v143
	s_waitcnt vmcnt(4)
	v_fma_f32 v5, v132, v154, -v5
	v_mul_f32_e32 v168, v134, v143
	v_add_f32_e32 v2, v2, v3
	v_fmac_f32_e32 v167, v133, v154
	v_add_f32_e32 v1, v1, v166
	v_mul_f32_e32 v3, v137, v144
	s_waitcnt vmcnt(3)
	v_fma_f32 v4, v134, v155, -v4
	v_add_f32_e32 v2, v2, v5
	v_mul_f32_e32 v169, v136, v144
	v_fmac_f32_e32 v168, v135, v155
	v_add_f32_e32 v1, v1, v167
	s_waitcnt vmcnt(2)
	v_fma_f32 v3, v136, v156, -v3
	v_add_f32_e32 v2, v2, v4
	v_fmac_f32_e32 v169, v137, v156
	v_add_f32_e32 v1, v1, v168
	v_add_f32_e32 v2, v2, v3
	;; [unrolled: 1-line block ×3, first 2 shown]
	s_waitcnt vmcnt(1)
	v_sub_f32_e32 v2, v157, v2
	s_waitcnt vmcnt(0)
	v_sub_f32_e32 v1, v158, v1
	buffer_store_dword v2, off, s[0:3], 0 offset:320
	buffer_store_dword v1, off, s[0:3], 0 offset:324
	v_cmpx_lt_u32_e32 39, v0
	s_cbranch_execz .LBB52_253
; %bb.252:
	s_clause 0x1
	buffer_load_dword v1, off, s[0:3], 0 offset:312
	buffer_load_dword v2, off, s[0:3], 0 offset:316
	v_mov_b32_e32 v3, 0
	buffer_store_dword v3, off, s[0:3], 0 offset:312
	buffer_store_dword v3, off, s[0:3], 0 offset:316
	s_waitcnt vmcnt(0)
	ds_write_b64 v9, v[1:2]
.LBB52_253:
	s_or_b32 exec_lo, exec_lo, s4
	s_waitcnt lgkmcnt(0)
	s_waitcnt_vscnt null, 0x0
	s_barrier
	buffer_gl0_inv
	s_clause 0x1b
	buffer_load_dword v8, off, s[0:3], 0 offset:324
	buffer_load_dword v10, off, s[0:3], 0 offset:332
	;; [unrolled: 1-line block ×28, first 2 shown]
	v_mov_b32_e32 v1, 0
	ds_read_b128 v[2:5], v1 offset:752
	ds_read_b128 v[118:121], v1 offset:768
	;; [unrolled: 1-line block ×6, first 2 shown]
	ds_read_b64 v[6:7], v1 offset:848
	s_mov_b32 s4, exec_lo
	s_waitcnt vmcnt(27) lgkmcnt(6)
	v_mul_f32_e32 v163, v2, v8
	v_mul_f32_e32 v8, v3, v8
	s_waitcnt vmcnt(26)
	v_mul_f32_e32 v164, v4, v10
	v_mul_f32_e32 v10, v5, v10
	s_waitcnt vmcnt(25) lgkmcnt(5)
	v_mul_f32_e32 v165, v118, v11
	s_waitcnt vmcnt(24)
	v_mul_f32_e32 v166, v120, v138
	s_waitcnt vmcnt(23) lgkmcnt(4)
	v_mul_f32_e32 v167, v122, v139
	s_waitcnt vmcnt(22)
	;; [unrolled: 4-line block ×5, first 2 shown]
	v_fma_f32 v2, v2, v148, -v8
	v_fmac_f32_e32 v163, v3, v148
	v_mul_f32_e32 v3, v119, v11
	s_waitcnt vmcnt(13)
	v_fma_f32 v4, v4, v149, -v10
	v_fmac_f32_e32 v164, v5, v149
	v_add_f32_e32 v2, 0, v2
	v_add_f32_e32 v5, 0, v163
	v_mul_f32_e32 v8, v121, v138
	s_waitcnt vmcnt(12)
	v_fma_f32 v3, v118, v150, -v3
	v_fmac_f32_e32 v165, v119, v150
	v_add_f32_e32 v2, v2, v4
	v_add_f32_e32 v4, v5, v164
	;; [unrolled: 6-line block ×9, first 2 shown]
	v_mul_f32_e32 v4, v137, v146
	s_waitcnt vmcnt(4)
	v_fma_f32 v5, v134, v158, -v5
	v_mul_f32_e32 v174, v136, v146
	v_add_f32_e32 v2, v2, v8
	v_fmac_f32_e32 v173, v135, v158
	v_add_f32_e32 v3, v3, v172
	s_waitcnt lgkmcnt(0)
	v_mul_f32_e32 v8, v7, v147
	s_waitcnt vmcnt(3)
	v_fma_f32 v4, v136, v159, -v4
	v_add_f32_e32 v2, v2, v5
	v_mul_f32_e32 v175, v6, v147
	v_fmac_f32_e32 v174, v137, v159
	v_add_f32_e32 v3, v3, v173
	s_waitcnt vmcnt(2)
	v_fma_f32 v5, v6, v160, -v8
	v_add_f32_e32 v2, v2, v4
	v_fmac_f32_e32 v175, v7, v160
	v_add_f32_e32 v3, v3, v174
	v_add_f32_e32 v2, v2, v5
	;; [unrolled: 1-line block ×3, first 2 shown]
	s_waitcnt vmcnt(1)
	v_sub_f32_e32 v2, v161, v2
	s_waitcnt vmcnt(0)
	v_sub_f32_e32 v3, v162, v3
	buffer_store_dword v2, off, s[0:3], 0 offset:312
	buffer_store_dword v3, off, s[0:3], 0 offset:316
	v_cmpx_lt_u32_e32 38, v0
	s_cbranch_execz .LBB52_255
; %bb.254:
	s_clause 0x1
	buffer_load_dword v2, off, s[0:3], 0 offset:304
	buffer_load_dword v3, off, s[0:3], 0 offset:308
	buffer_store_dword v1, off, s[0:3], 0 offset:304
	buffer_store_dword v1, off, s[0:3], 0 offset:308
	s_waitcnt vmcnt(0)
	ds_write_b64 v9, v[2:3]
.LBB52_255:
	s_or_b32 exec_lo, exec_lo, s4
	s_waitcnt lgkmcnt(0)
	s_waitcnt_vscnt null, 0x0
	s_barrier
	buffer_gl0_inv
	s_clause 0x1d
	buffer_load_dword v6, off, s[0:3], 0 offset:316
	buffer_load_dword v7, off, s[0:3], 0 offset:324
	;; [unrolled: 1-line block ×30, first 2 shown]
	ds_read2_b64 v[2:5], v1 offset0:93 offset1:94
	ds_read2_b64 v[118:121], v1 offset0:95 offset1:96
	;; [unrolled: 1-line block ×7, first 2 shown]
	s_mov_b32 s4, exec_lo
	s_waitcnt vmcnt(29) lgkmcnt(6)
	v_mul_f32_e32 v1, v2, v6
	v_mul_f32_e32 v6, v3, v6
	s_waitcnt vmcnt(28)
	v_mul_f32_e32 v167, v4, v7
	v_mul_f32_e32 v7, v5, v7
	s_waitcnt vmcnt(27) lgkmcnt(5)
	v_mul_f32_e32 v168, v118, v8
	s_waitcnt vmcnt(26)
	v_mul_f32_e32 v169, v120, v10
	s_waitcnt vmcnt(25) lgkmcnt(4)
	v_mul_f32_e32 v170, v122, v11
	s_waitcnt vmcnt(24)
	;; [unrolled: 4-line block ×5, first 2 shown]
	v_mul_f32_e32 v177, v136, v148
	s_waitcnt vmcnt(15)
	v_fma_f32 v2, v2, v151, -v6
	v_fmac_f32_e32 v1, v3, v151
	v_mul_f32_e32 v3, v119, v8
	s_waitcnt vmcnt(14)
	v_fma_f32 v4, v4, v152, -v7
	v_fmac_f32_e32 v167, v5, v152
	v_add_f32_e32 v2, 0, v2
	v_add_f32_e32 v1, 0, v1
	v_mul_f32_e32 v5, v121, v10
	s_waitcnt vmcnt(13)
	v_fma_f32 v3, v118, v153, -v3
	v_fmac_f32_e32 v168, v119, v153
	v_add_f32_e32 v2, v2, v4
	v_add_f32_e32 v1, v1, v167
	;; [unrolled: 6-line block ×10, first 2 shown]
	s_waitcnt lgkmcnt(0)
	v_mul_f32_e32 v5, v139, v149
	s_waitcnt vmcnt(4)
	v_fma_f32 v3, v136, v162, -v3
	v_mul_f32_e32 v178, v138, v149
	v_add_f32_e32 v2, v2, v4
	v_fmac_f32_e32 v177, v137, v162
	v_add_f32_e32 v1, v1, v176
	v_mul_f32_e32 v4, v141, v150
	s_waitcnt vmcnt(3)
	v_fma_f32 v5, v138, v163, -v5
	v_add_f32_e32 v2, v2, v3
	v_mul_f32_e32 v179, v140, v150
	v_fmac_f32_e32 v178, v139, v163
	v_add_f32_e32 v1, v1, v177
	s_waitcnt vmcnt(2)
	v_fma_f32 v3, v140, v164, -v4
	v_add_f32_e32 v2, v2, v5
	v_fmac_f32_e32 v179, v141, v164
	v_add_f32_e32 v1, v1, v178
	v_add_f32_e32 v2, v2, v3
	;; [unrolled: 1-line block ×3, first 2 shown]
	s_waitcnt vmcnt(1)
	v_sub_f32_e32 v2, v165, v2
	s_waitcnt vmcnt(0)
	v_sub_f32_e32 v1, v166, v1
	buffer_store_dword v2, off, s[0:3], 0 offset:304
	buffer_store_dword v1, off, s[0:3], 0 offset:308
	v_cmpx_lt_u32_e32 37, v0
	s_cbranch_execz .LBB52_257
; %bb.256:
	s_clause 0x1
	buffer_load_dword v1, off, s[0:3], 0 offset:296
	buffer_load_dword v2, off, s[0:3], 0 offset:300
	v_mov_b32_e32 v3, 0
	buffer_store_dword v3, off, s[0:3], 0 offset:296
	buffer_store_dword v3, off, s[0:3], 0 offset:300
	s_waitcnt vmcnt(0)
	ds_write_b64 v9, v[1:2]
.LBB52_257:
	s_or_b32 exec_lo, exec_lo, s4
	s_waitcnt lgkmcnt(0)
	s_waitcnt_vscnt null, 0x0
	s_barrier
	buffer_gl0_inv
	s_clause 0x1f
	buffer_load_dword v8, off, s[0:3], 0 offset:308
	buffer_load_dword v10, off, s[0:3], 0 offset:316
	;; [unrolled: 1-line block ×32, first 2 shown]
	v_mov_b32_e32 v1, 0
	ds_read_b128 v[2:5], v1 offset:736
	ds_read_b128 v[118:121], v1 offset:752
	;; [unrolled: 1-line block ×7, first 2 shown]
	ds_read_b64 v[6:7], v1 offset:848
	s_mov_b32 s4, exec_lo
	s_waitcnt vmcnt(31) lgkmcnt(7)
	v_mul_f32_e32 v171, v2, v8
	v_mul_f32_e32 v8, v3, v8
	s_waitcnt vmcnt(30)
	v_mul_f32_e32 v172, v4, v10
	v_mul_f32_e32 v10, v5, v10
	s_waitcnt vmcnt(29) lgkmcnt(6)
	v_mul_f32_e32 v173, v118, v11
	s_waitcnt vmcnt(28)
	v_mul_f32_e32 v174, v120, v142
	s_waitcnt vmcnt(27) lgkmcnt(5)
	v_mul_f32_e32 v175, v122, v143
	s_waitcnt vmcnt(26)
	;; [unrolled: 4-line block ×6, first 2 shown]
	v_fma_f32 v2, v2, v154, -v8
	v_fmac_f32_e32 v171, v3, v154
	v_mul_f32_e32 v3, v119, v11
	s_waitcnt vmcnt(15)
	v_fma_f32 v4, v4, v155, -v10
	v_fmac_f32_e32 v172, v5, v155
	v_add_f32_e32 v2, 0, v2
	v_add_f32_e32 v5, 0, v171
	v_mul_f32_e32 v8, v121, v142
	s_waitcnt vmcnt(14)
	v_fma_f32 v3, v118, v156, -v3
	v_fmac_f32_e32 v173, v119, v156
	v_add_f32_e32 v2, v2, v4
	v_add_f32_e32 v4, v5, v172
	;; [unrolled: 6-line block ×11, first 2 shown]
	v_mul_f32_e32 v5, v141, v152
	s_waitcnt vmcnt(4)
	v_fma_f32 v8, v138, v166, -v8
	v_mul_f32_e32 v184, v140, v152
	v_add_f32_e32 v2, v2, v4
	v_fmac_f32_e32 v183, v139, v166
	v_add_f32_e32 v3, v3, v182
	s_waitcnt lgkmcnt(0)
	v_mul_f32_e32 v4, v7, v153
	s_waitcnt vmcnt(3)
	v_fma_f32 v5, v140, v167, -v5
	v_add_f32_e32 v2, v2, v8
	v_mul_f32_e32 v185, v6, v153
	v_fmac_f32_e32 v184, v141, v167
	v_add_f32_e32 v3, v3, v183
	s_waitcnt vmcnt(2)
	v_fma_f32 v4, v6, v168, -v4
	v_add_f32_e32 v2, v2, v5
	v_fmac_f32_e32 v185, v7, v168
	v_add_f32_e32 v3, v3, v184
	v_add_f32_e32 v2, v2, v4
	v_add_f32_e32 v3, v3, v185
	s_waitcnt vmcnt(1)
	v_sub_f32_e32 v2, v169, v2
	s_waitcnt vmcnt(0)
	v_sub_f32_e32 v3, v170, v3
	buffer_store_dword v2, off, s[0:3], 0 offset:296
	buffer_store_dword v3, off, s[0:3], 0 offset:300
	v_cmpx_lt_u32_e32 36, v0
	s_cbranch_execz .LBB52_259
; %bb.258:
	s_clause 0x1
	buffer_load_dword v2, off, s[0:3], 0 offset:288
	buffer_load_dword v3, off, s[0:3], 0 offset:292
	buffer_store_dword v1, off, s[0:3], 0 offset:288
	buffer_store_dword v1, off, s[0:3], 0 offset:292
	s_waitcnt vmcnt(0)
	ds_write_b64 v9, v[2:3]
.LBB52_259:
	s_or_b32 exec_lo, exec_lo, s4
	s_waitcnt lgkmcnt(0)
	s_waitcnt_vscnt null, 0x0
	s_barrier
	buffer_gl0_inv
	s_clause 0x21
	buffer_load_dword v6, off, s[0:3], 0 offset:300
	buffer_load_dword v7, off, s[0:3], 0 offset:308
	;; [unrolled: 1-line block ×34, first 2 shown]
	ds_read2_b64 v[2:5], v1 offset0:91 offset1:92
	ds_read2_b64 v[118:121], v1 offset0:93 offset1:94
	;; [unrolled: 1-line block ×8, first 2 shown]
	s_mov_b32 s4, exec_lo
	s_waitcnt vmcnt(33) lgkmcnt(7)
	v_mul_f32_e32 v1, v2, v6
	v_mul_f32_e32 v6, v3, v6
	s_waitcnt vmcnt(32)
	v_mul_f32_e32 v175, v4, v7
	v_mul_f32_e32 v7, v5, v7
	s_waitcnt vmcnt(31) lgkmcnt(6)
	v_mul_f32_e32 v176, v118, v8
	s_waitcnt vmcnt(30)
	v_mul_f32_e32 v177, v120, v10
	s_waitcnt vmcnt(29) lgkmcnt(5)
	v_mul_f32_e32 v178, v122, v11
	s_waitcnt vmcnt(28)
	v_mul_f32_e32 v179, v124, v146
	s_waitcnt vmcnt(27) lgkmcnt(4)
	v_mul_f32_e32 v180, v126, v147
	s_waitcnt vmcnt(26)
	v_mul_f32_e32 v181, v128, v148
	s_waitcnt vmcnt(25) lgkmcnt(3)
	v_mul_f32_e32 v182, v130, v149
	s_waitcnt vmcnt(24)
	v_mul_f32_e32 v183, v132, v150
	s_waitcnt vmcnt(23) lgkmcnt(2)
	v_mul_f32_e32 v184, v134, v151
	s_waitcnt vmcnt(22)
	v_mul_f32_e32 v185, v136, v152
	s_waitcnt vmcnt(21) lgkmcnt(1)
	v_mul_f32_e32 v186, v138, v153
	s_waitcnt vmcnt(20)
	v_mul_f32_e32 v187, v140, v154
	s_waitcnt vmcnt(17)
	v_fma_f32 v2, v2, v157, -v6
	v_fmac_f32_e32 v1, v3, v157
	v_mul_f32_e32 v3, v119, v8
	s_waitcnt vmcnt(16)
	v_fma_f32 v4, v4, v158, -v7
	v_fmac_f32_e32 v175, v5, v158
	v_add_f32_e32 v2, 0, v2
	v_add_f32_e32 v1, 0, v1
	v_mul_f32_e32 v5, v121, v10
	s_waitcnt vmcnt(15)
	v_fma_f32 v3, v118, v159, -v3
	v_fmac_f32_e32 v176, v119, v159
	v_add_f32_e32 v2, v2, v4
	v_add_f32_e32 v1, v1, v175
	;; [unrolled: 6-line block ×12, first 2 shown]
	s_waitcnt lgkmcnt(0)
	v_mul_f32_e32 v3, v143, v155
	s_waitcnt vmcnt(4)
	v_fma_f32 v4, v140, v170, -v4
	v_mul_f32_e32 v188, v142, v155
	v_add_f32_e32 v2, v2, v5
	v_fmac_f32_e32 v187, v141, v170
	v_add_f32_e32 v1, v1, v186
	v_mul_f32_e32 v5, v145, v156
	s_waitcnt vmcnt(3)
	v_fma_f32 v3, v142, v171, -v3
	v_add_f32_e32 v2, v2, v4
	v_mul_f32_e32 v189, v144, v156
	v_fmac_f32_e32 v188, v143, v171
	v_add_f32_e32 v1, v1, v187
	s_waitcnt vmcnt(2)
	v_fma_f32 v4, v144, v172, -v5
	v_add_f32_e32 v2, v2, v3
	v_fmac_f32_e32 v189, v145, v172
	v_add_f32_e32 v1, v1, v188
	v_add_f32_e32 v2, v2, v4
	;; [unrolled: 1-line block ×3, first 2 shown]
	s_waitcnt vmcnt(1)
	v_sub_f32_e32 v2, v173, v2
	s_waitcnt vmcnt(0)
	v_sub_f32_e32 v1, v174, v1
	buffer_store_dword v2, off, s[0:3], 0 offset:288
	buffer_store_dword v1, off, s[0:3], 0 offset:292
	v_cmpx_lt_u32_e32 35, v0
	s_cbranch_execz .LBB52_261
; %bb.260:
	s_clause 0x1
	buffer_load_dword v1, off, s[0:3], 0 offset:280
	buffer_load_dword v2, off, s[0:3], 0 offset:284
	v_mov_b32_e32 v3, 0
	buffer_store_dword v3, off, s[0:3], 0 offset:280
	buffer_store_dword v3, off, s[0:3], 0 offset:284
	s_waitcnt vmcnt(0)
	ds_write_b64 v9, v[1:2]
.LBB52_261:
	s_or_b32 exec_lo, exec_lo, s4
	s_waitcnt lgkmcnt(0)
	s_waitcnt_vscnt null, 0x0
	s_barrier
	buffer_gl0_inv
	s_clause 0x23
	buffer_load_dword v8, off, s[0:3], 0 offset:292
	buffer_load_dword v10, off, s[0:3], 0 offset:300
	;; [unrolled: 1-line block ×36, first 2 shown]
	v_mov_b32_e32 v1, 0
	ds_read_b128 v[2:5], v1 offset:720
	ds_read_b128 v[118:121], v1 offset:736
	ds_read_b128 v[122:125], v1 offset:752
	ds_read_b128 v[126:129], v1 offset:768
	ds_read_b128 v[130:133], v1 offset:784
	ds_read_b128 v[134:137], v1 offset:800
	ds_read_b128 v[138:141], v1 offset:816
	ds_read_b128 v[142:145], v1 offset:832
	ds_read_b64 v[6:7], v1 offset:848
	s_mov_b32 s4, exec_lo
	s_waitcnt vmcnt(35) lgkmcnt(8)
	v_mul_f32_e32 v179, v2, v8
	v_mul_f32_e32 v8, v3, v8
	s_waitcnt vmcnt(34)
	v_mul_f32_e32 v180, v4, v10
	v_mul_f32_e32 v10, v5, v10
	s_waitcnt vmcnt(33) lgkmcnt(7)
	v_mul_f32_e32 v181, v118, v11
	s_waitcnt vmcnt(32)
	v_mul_f32_e32 v182, v120, v146
	s_waitcnt vmcnt(31) lgkmcnt(6)
	v_mul_f32_e32 v183, v122, v147
	s_waitcnt vmcnt(30)
	;; [unrolled: 4-line block ×7, first 2 shown]
	v_fma_f32 v2, v2, v160, -v8
	v_fmac_f32_e32 v179, v3, v160
	v_mul_f32_e32 v3, v119, v11
	s_waitcnt vmcnt(17)
	v_fma_f32 v4, v4, v161, -v10
	v_fmac_f32_e32 v180, v5, v161
	v_add_f32_e32 v2, 0, v2
	v_add_f32_e32 v5, 0, v179
	v_mul_f32_e32 v8, v121, v146
	s_waitcnt vmcnt(16)
	v_fma_f32 v3, v118, v162, -v3
	v_fmac_f32_e32 v181, v119, v162
	v_add_f32_e32 v2, v2, v4
	v_add_f32_e32 v4, v5, v180
	;; [unrolled: 6-line block ×13, first 2 shown]
	v_mul_f32_e32 v8, v145, v158
	s_waitcnt vmcnt(4)
	v_fma_f32 v4, v142, v174, -v4
	v_mul_f32_e32 v194, v144, v158
	v_add_f32_e32 v2, v2, v5
	v_fmac_f32_e32 v193, v143, v174
	v_add_f32_e32 v3, v3, v192
	s_waitcnt lgkmcnt(0)
	v_mul_f32_e32 v5, v7, v159
	s_waitcnt vmcnt(3)
	v_fma_f32 v8, v144, v175, -v8
	v_add_f32_e32 v2, v2, v4
	v_mul_f32_e32 v195, v6, v159
	v_fmac_f32_e32 v194, v145, v175
	v_add_f32_e32 v3, v3, v193
	s_waitcnt vmcnt(2)
	v_fma_f32 v4, v6, v176, -v5
	v_add_f32_e32 v2, v2, v8
	v_fmac_f32_e32 v195, v7, v176
	v_add_f32_e32 v3, v3, v194
	v_add_f32_e32 v2, v2, v4
	;; [unrolled: 1-line block ×3, first 2 shown]
	s_waitcnt vmcnt(1)
	v_sub_f32_e32 v2, v177, v2
	s_waitcnt vmcnt(0)
	v_sub_f32_e32 v3, v178, v3
	buffer_store_dword v2, off, s[0:3], 0 offset:280
	buffer_store_dword v3, off, s[0:3], 0 offset:284
	v_cmpx_lt_u32_e32 34, v0
	s_cbranch_execz .LBB52_263
; %bb.262:
	s_clause 0x1
	buffer_load_dword v2, off, s[0:3], 0 offset:272
	buffer_load_dword v3, off, s[0:3], 0 offset:276
	buffer_store_dword v1, off, s[0:3], 0 offset:272
	buffer_store_dword v1, off, s[0:3], 0 offset:276
	s_waitcnt vmcnt(0)
	ds_write_b64 v9, v[2:3]
.LBB52_263:
	s_or_b32 exec_lo, exec_lo, s4
	s_waitcnt lgkmcnt(0)
	s_waitcnt_vscnt null, 0x0
	s_barrier
	buffer_gl0_inv
	s_clause 0x25
	buffer_load_dword v6, off, s[0:3], 0 offset:284
	buffer_load_dword v7, off, s[0:3], 0 offset:292
	;; [unrolled: 1-line block ×38, first 2 shown]
	ds_read2_b64 v[2:5], v1 offset0:89 offset1:90
	ds_read2_b64 v[118:121], v1 offset0:91 offset1:92
	;; [unrolled: 1-line block ×9, first 2 shown]
	s_mov_b32 s4, exec_lo
	s_waitcnt vmcnt(37) lgkmcnt(8)
	v_mul_f32_e32 v1, v2, v6
	v_mul_f32_e32 v6, v3, v6
	s_waitcnt vmcnt(36)
	v_mul_f32_e32 v183, v4, v7
	v_mul_f32_e32 v7, v5, v7
	s_waitcnt vmcnt(35) lgkmcnt(7)
	v_mul_f32_e32 v184, v118, v8
	s_waitcnt vmcnt(34)
	v_mul_f32_e32 v185, v120, v10
	s_waitcnt vmcnt(33) lgkmcnt(6)
	v_mul_f32_e32 v186, v122, v11
	s_waitcnt vmcnt(32)
	;; [unrolled: 4-line block ×7, first 2 shown]
	v_mul_f32_e32 v197, v144, v160
	s_waitcnt vmcnt(19)
	v_fma_f32 v2, v2, v163, -v6
	v_fmac_f32_e32 v1, v3, v163
	v_mul_f32_e32 v3, v119, v8
	s_waitcnt vmcnt(18)
	v_fma_f32 v4, v4, v164, -v7
	v_fmac_f32_e32 v183, v5, v164
	v_add_f32_e32 v2, 0, v2
	v_add_f32_e32 v1, 0, v1
	v_mul_f32_e32 v5, v121, v10
	s_waitcnt vmcnt(17)
	v_fma_f32 v3, v118, v165, -v3
	v_fmac_f32_e32 v184, v119, v165
	v_add_f32_e32 v2, v2, v4
	v_add_f32_e32 v1, v1, v183
	;; [unrolled: 6-line block ×14, first 2 shown]
	s_waitcnt lgkmcnt(0)
	v_mul_f32_e32 v4, v147, v161
	s_waitcnt vmcnt(4)
	v_fma_f32 v5, v144, v178, -v5
	v_mul_f32_e32 v198, v146, v161
	v_add_f32_e32 v2, v2, v3
	v_fmac_f32_e32 v197, v145, v178
	v_add_f32_e32 v1, v1, v196
	v_mul_f32_e32 v3, v149, v162
	s_waitcnt vmcnt(3)
	v_fma_f32 v4, v146, v179, -v4
	v_add_f32_e32 v2, v2, v5
	v_mul_f32_e32 v199, v148, v162
	v_fmac_f32_e32 v198, v147, v179
	v_add_f32_e32 v1, v1, v197
	s_waitcnt vmcnt(2)
	v_fma_f32 v3, v148, v180, -v3
	v_add_f32_e32 v2, v2, v4
	v_fmac_f32_e32 v199, v149, v180
	v_add_f32_e32 v1, v1, v198
	v_add_f32_e32 v2, v2, v3
	;; [unrolled: 1-line block ×3, first 2 shown]
	s_waitcnt vmcnt(1)
	v_sub_f32_e32 v2, v181, v2
	s_waitcnt vmcnt(0)
	v_sub_f32_e32 v1, v182, v1
	buffer_store_dword v2, off, s[0:3], 0 offset:272
	buffer_store_dword v1, off, s[0:3], 0 offset:276
	v_cmpx_lt_u32_e32 33, v0
	s_cbranch_execz .LBB52_265
; %bb.264:
	s_clause 0x1
	buffer_load_dword v1, off, s[0:3], 0 offset:264
	buffer_load_dword v2, off, s[0:3], 0 offset:268
	v_mov_b32_e32 v3, 0
	buffer_store_dword v3, off, s[0:3], 0 offset:264
	buffer_store_dword v3, off, s[0:3], 0 offset:268
	s_waitcnt vmcnt(0)
	ds_write_b64 v9, v[1:2]
.LBB52_265:
	s_or_b32 exec_lo, exec_lo, s4
	s_waitcnt lgkmcnt(0)
	s_waitcnt_vscnt null, 0x0
	s_barrier
	buffer_gl0_inv
	s_clause 0x27
	buffer_load_dword v8, off, s[0:3], 0 offset:276
	buffer_load_dword v10, off, s[0:3], 0 offset:284
	;; [unrolled: 1-line block ×40, first 2 shown]
	v_mov_b32_e32 v1, 0
	ds_read_b128 v[2:5], v1 offset:704
	ds_read_b128 v[118:121], v1 offset:720
	;; [unrolled: 1-line block ×9, first 2 shown]
	ds_read_b64 v[6:7], v1 offset:848
	s_mov_b32 s4, exec_lo
	s_waitcnt vmcnt(39) lgkmcnt(9)
	v_mul_f32_e32 v187, v2, v8
	v_mul_f32_e32 v8, v3, v8
	s_waitcnt vmcnt(38)
	v_mul_f32_e32 v188, v4, v10
	v_mul_f32_e32 v10, v5, v10
	s_waitcnt vmcnt(37) lgkmcnt(8)
	v_mul_f32_e32 v189, v118, v11
	s_waitcnt vmcnt(36)
	v_mul_f32_e32 v190, v120, v150
	s_waitcnt vmcnt(35) lgkmcnt(7)
	v_mul_f32_e32 v191, v122, v151
	s_waitcnt vmcnt(34)
	;; [unrolled: 4-line block ×8, first 2 shown]
	v_fma_f32 v2, v2, v166, -v8
	v_fmac_f32_e32 v187, v3, v166
	v_mul_f32_e32 v3, v119, v11
	s_waitcnt vmcnt(19)
	v_fma_f32 v4, v4, v167, -v10
	v_fmac_f32_e32 v188, v5, v167
	v_add_f32_e32 v2, 0, v2
	v_add_f32_e32 v5, 0, v187
	v_mul_f32_e32 v8, v121, v150
	s_waitcnt vmcnt(18)
	v_fma_f32 v3, v118, v168, -v3
	v_fmac_f32_e32 v189, v119, v168
	v_add_f32_e32 v2, v2, v4
	v_add_f32_e32 v4, v5, v188
	v_mul_f32_e32 v5, v123, v151
	s_waitcnt vmcnt(17)
	v_fma_f32 v8, v120, v169, -v8
	v_fmac_f32_e32 v190, v121, v169
	v_add_f32_e32 v2, v2, v3
	v_add_f32_e32 v3, v4, v189
	v_mul_f32_e32 v4, v125, v152
	s_waitcnt vmcnt(16)
	v_fma_f32 v5, v122, v170, -v5
	v_fmac_f32_e32 v191, v123, v170
	v_add_f32_e32 v2, v2, v8
	v_add_f32_e32 v3, v3, v190
	v_mul_f32_e32 v8, v127, v153
	s_waitcnt vmcnt(15)
	v_fma_f32 v4, v124, v171, -v4
	v_fmac_f32_e32 v192, v125, v171
	v_add_f32_e32 v2, v2, v5
	v_add_f32_e32 v3, v3, v191
	v_mul_f32_e32 v5, v129, v154
	s_waitcnt vmcnt(14)
	v_fma_f32 v8, v126, v172, -v8
	v_fmac_f32_e32 v193, v127, v172
	v_add_f32_e32 v2, v2, v4
	v_add_f32_e32 v3, v3, v192
	v_mul_f32_e32 v4, v131, v155
	s_waitcnt vmcnt(13)
	v_fma_f32 v5, v128, v173, -v5
	v_fmac_f32_e32 v194, v129, v173
	v_add_f32_e32 v2, v2, v8
	v_add_f32_e32 v3, v3, v193
	v_mul_f32_e32 v8, v133, v156
	s_waitcnt vmcnt(12)
	v_fma_f32 v4, v130, v174, -v4
	v_fmac_f32_e32 v195, v131, v174
	v_add_f32_e32 v2, v2, v5
	v_add_f32_e32 v3, v3, v194
	v_mul_f32_e32 v5, v135, v157
	s_waitcnt vmcnt(11)
	v_fma_f32 v8, v132, v175, -v8
	v_fmac_f32_e32 v196, v133, v175
	v_add_f32_e32 v2, v2, v4
	v_add_f32_e32 v3, v3, v195
	v_mul_f32_e32 v4, v137, v158
	s_waitcnt vmcnt(10)
	v_fma_f32 v5, v134, v176, -v5
	v_fmac_f32_e32 v197, v135, v176
	v_add_f32_e32 v2, v2, v8
	v_add_f32_e32 v3, v3, v196
	v_mul_f32_e32 v8, v139, v159
	s_waitcnt vmcnt(9)
	v_fma_f32 v4, v136, v177, -v4
	v_fmac_f32_e32 v198, v137, v177
	v_add_f32_e32 v2, v2, v5
	v_add_f32_e32 v3, v3, v197
	v_mul_f32_e32 v5, v141, v160
	s_waitcnt vmcnt(8)
	v_fma_f32 v8, v138, v178, -v8
	v_fmac_f32_e32 v199, v139, v178
	v_add_f32_e32 v2, v2, v4
	v_add_f32_e32 v3, v3, v198
	v_mul_f32_e32 v4, v143, v161
	s_waitcnt vmcnt(7)
	v_fma_f32 v5, v140, v179, -v5
	v_fmac_f32_e32 v200, v141, v179
	v_add_f32_e32 v2, v2, v8
	v_add_f32_e32 v3, v3, v199
	v_mul_f32_e32 v8, v145, v162
	s_waitcnt vmcnt(6)
	v_fma_f32 v4, v142, v180, -v4
	v_fmac_f32_e32 v201, v143, v180
	v_add_f32_e32 v2, v2, v5
	v_add_f32_e32 v3, v3, v200
	v_mul_f32_e32 v5, v147, v163
	s_waitcnt vmcnt(5)
	v_fma_f32 v8, v144, v181, -v8
	v_fmac_f32_e32 v202, v145, v181
	v_add_f32_e32 v2, v2, v4
	v_add_f32_e32 v3, v3, v201
	v_mul_f32_e32 v4, v149, v164
	s_waitcnt vmcnt(4)
	v_fma_f32 v5, v146, v182, -v5
	v_mul_f32_e32 v204, v148, v164
	v_add_f32_e32 v2, v2, v8
	v_fmac_f32_e32 v203, v147, v182
	v_add_f32_e32 v3, v3, v202
	s_waitcnt lgkmcnt(0)
	v_mul_f32_e32 v8, v7, v165
	s_waitcnt vmcnt(3)
	v_fma_f32 v4, v148, v183, -v4
	v_add_f32_e32 v2, v2, v5
	v_mul_f32_e32 v205, v6, v165
	v_fmac_f32_e32 v204, v149, v183
	v_add_f32_e32 v3, v3, v203
	s_waitcnt vmcnt(2)
	v_fma_f32 v5, v6, v184, -v8
	v_add_f32_e32 v2, v2, v4
	v_fmac_f32_e32 v205, v7, v184
	v_add_f32_e32 v3, v3, v204
	v_add_f32_e32 v2, v2, v5
	;; [unrolled: 1-line block ×3, first 2 shown]
	s_waitcnt vmcnt(1)
	v_sub_f32_e32 v2, v185, v2
	s_waitcnt vmcnt(0)
	v_sub_f32_e32 v3, v186, v3
	buffer_store_dword v2, off, s[0:3], 0 offset:264
	buffer_store_dword v3, off, s[0:3], 0 offset:268
	v_cmpx_lt_u32_e32 32, v0
	s_cbranch_execz .LBB52_267
; %bb.266:
	s_clause 0x1
	buffer_load_dword v2, off, s[0:3], 0 offset:256
	buffer_load_dword v3, off, s[0:3], 0 offset:260
	buffer_store_dword v1, off, s[0:3], 0 offset:256
	buffer_store_dword v1, off, s[0:3], 0 offset:260
	s_waitcnt vmcnt(0)
	ds_write_b64 v9, v[2:3]
.LBB52_267:
	s_or_b32 exec_lo, exec_lo, s4
	s_waitcnt lgkmcnt(0)
	s_waitcnt_vscnt null, 0x0
	s_barrier
	buffer_gl0_inv
	s_clause 0x29
	buffer_load_dword v6, off, s[0:3], 0 offset:268
	buffer_load_dword v7, off, s[0:3], 0 offset:276
	;; [unrolled: 1-line block ×42, first 2 shown]
	ds_read2_b64 v[2:5], v1 offset0:87 offset1:88
	ds_read2_b64 v[118:121], v1 offset0:89 offset1:90
	;; [unrolled: 1-line block ×10, first 2 shown]
	s_mov_b32 s4, exec_lo
	s_waitcnt vmcnt(41) lgkmcnt(9)
	v_mul_f32_e32 v1, v2, v6
	v_mul_f32_e32 v6, v3, v6
	s_waitcnt vmcnt(40)
	v_mul_f32_e32 v191, v4, v7
	v_mul_f32_e32 v7, v5, v7
	s_waitcnt vmcnt(39) lgkmcnt(8)
	v_mul_f32_e32 v192, v118, v8
	s_waitcnt vmcnt(38)
	v_mul_f32_e32 v193, v120, v10
	s_waitcnt vmcnt(37) lgkmcnt(7)
	v_mul_f32_e32 v194, v122, v11
	s_waitcnt vmcnt(36)
	;; [unrolled: 4-line block ×8, first 2 shown]
	v_mul_f32_e32 v207, v148, v166
	s_waitcnt vmcnt(21)
	v_fma_f32 v2, v2, v169, -v6
	v_fmac_f32_e32 v1, v3, v169
	v_mul_f32_e32 v3, v119, v8
	s_waitcnt vmcnt(20)
	v_fma_f32 v4, v4, v170, -v7
	v_fmac_f32_e32 v191, v5, v170
	v_add_f32_e32 v2, 0, v2
	v_add_f32_e32 v1, 0, v1
	v_mul_f32_e32 v5, v121, v10
	s_waitcnt vmcnt(19)
	v_fma_f32 v3, v118, v171, -v3
	v_fmac_f32_e32 v192, v119, v171
	v_add_f32_e32 v2, v2, v4
	v_add_f32_e32 v1, v1, v191
	;; [unrolled: 6-line block ×16, first 2 shown]
	s_waitcnt lgkmcnt(0)
	v_mul_f32_e32 v5, v151, v167
	s_waitcnt vmcnt(4)
	v_fma_f32 v3, v148, v186, -v3
	v_mul_f32_e32 v208, v150, v167
	v_add_f32_e32 v2, v2, v4
	v_fmac_f32_e32 v207, v149, v186
	v_add_f32_e32 v1, v1, v206
	v_mul_f32_e32 v4, v153, v168
	s_waitcnt vmcnt(3)
	v_fma_f32 v5, v150, v187, -v5
	v_add_f32_e32 v2, v2, v3
	v_mul_f32_e32 v209, v152, v168
	v_fmac_f32_e32 v208, v151, v187
	v_add_f32_e32 v1, v1, v207
	s_waitcnt vmcnt(2)
	v_fma_f32 v3, v152, v188, -v4
	v_add_f32_e32 v2, v2, v5
	v_fmac_f32_e32 v209, v153, v188
	v_add_f32_e32 v1, v1, v208
	v_add_f32_e32 v2, v2, v3
	v_add_f32_e32 v1, v1, v209
	s_waitcnt vmcnt(1)
	v_sub_f32_e32 v2, v189, v2
	s_waitcnt vmcnt(0)
	v_sub_f32_e32 v1, v190, v1
	buffer_store_dword v2, off, s[0:3], 0 offset:256
	buffer_store_dword v1, off, s[0:3], 0 offset:260
	v_cmpx_lt_u32_e32 31, v0
	s_cbranch_execz .LBB52_269
; %bb.268:
	s_clause 0x1
	buffer_load_dword v1, off, s[0:3], 0 offset:248
	buffer_load_dword v2, off, s[0:3], 0 offset:252
	v_mov_b32_e32 v3, 0
	buffer_store_dword v3, off, s[0:3], 0 offset:248
	buffer_store_dword v3, off, s[0:3], 0 offset:252
	s_waitcnt vmcnt(0)
	ds_write_b64 v9, v[1:2]
.LBB52_269:
	s_or_b32 exec_lo, exec_lo, s4
	s_waitcnt lgkmcnt(0)
	s_waitcnt_vscnt null, 0x0
	s_barrier
	buffer_gl0_inv
	s_clause 0x2b
	buffer_load_dword v8, off, s[0:3], 0 offset:260
	buffer_load_dword v10, off, s[0:3], 0 offset:268
	;; [unrolled: 1-line block ×44, first 2 shown]
	v_mov_b32_e32 v1, 0
	ds_read_b128 v[2:5], v1 offset:688
	ds_read_b128 v[118:121], v1 offset:704
	;; [unrolled: 1-line block ×10, first 2 shown]
	ds_read_b64 v[6:7], v1 offset:848
	s_mov_b32 s4, exec_lo
	s_waitcnt vmcnt(43) lgkmcnt(10)
	v_mul_f32_e32 v195, v2, v8
	v_mul_f32_e32 v8, v3, v8
	s_waitcnt vmcnt(42)
	v_mul_f32_e32 v196, v4, v10
	v_mul_f32_e32 v10, v5, v10
	s_waitcnt vmcnt(41) lgkmcnt(9)
	v_mul_f32_e32 v197, v118, v11
	s_waitcnt vmcnt(40)
	v_mul_f32_e32 v198, v120, v154
	s_waitcnt vmcnt(39) lgkmcnt(8)
	v_mul_f32_e32 v199, v122, v155
	s_waitcnt vmcnt(38)
	;; [unrolled: 4-line block ×9, first 2 shown]
	v_fma_f32 v2, v2, v172, -v8
	v_fmac_f32_e32 v195, v3, v172
	v_mul_f32_e32 v3, v119, v11
	s_waitcnt vmcnt(21)
	v_fma_f32 v4, v4, v173, -v10
	v_fmac_f32_e32 v196, v5, v173
	v_add_f32_e32 v2, 0, v2
	v_add_f32_e32 v5, 0, v195
	v_mul_f32_e32 v8, v121, v154
	s_waitcnt vmcnt(20)
	v_fma_f32 v3, v118, v174, -v3
	v_fmac_f32_e32 v197, v119, v174
	v_add_f32_e32 v2, v2, v4
	v_add_f32_e32 v4, v5, v196
	;; [unrolled: 6-line block ×17, first 2 shown]
	v_mul_f32_e32 v5, v153, v170
	s_waitcnt vmcnt(4)
	v_fma_f32 v8, v150, v190, -v8
	v_mul_f32_e32 v214, v152, v170
	v_add_f32_e32 v2, v2, v4
	v_fmac_f32_e32 v213, v151, v190
	v_add_f32_e32 v3, v3, v212
	s_waitcnt lgkmcnt(0)
	v_mul_f32_e32 v4, v7, v171
	s_waitcnt vmcnt(3)
	v_fma_f32 v5, v152, v191, -v5
	v_add_f32_e32 v2, v2, v8
	v_mul_f32_e32 v215, v6, v171
	v_fmac_f32_e32 v214, v153, v191
	v_add_f32_e32 v3, v3, v213
	s_waitcnt vmcnt(2)
	v_fma_f32 v4, v6, v192, -v4
	v_add_f32_e32 v2, v2, v5
	v_fmac_f32_e32 v215, v7, v192
	v_add_f32_e32 v3, v3, v214
	v_add_f32_e32 v2, v2, v4
	;; [unrolled: 1-line block ×3, first 2 shown]
	s_waitcnt vmcnt(1)
	v_sub_f32_e32 v2, v193, v2
	s_waitcnt vmcnt(0)
	v_sub_f32_e32 v3, v194, v3
	buffer_store_dword v2, off, s[0:3], 0 offset:248
	buffer_store_dword v3, off, s[0:3], 0 offset:252
	v_cmpx_lt_u32_e32 30, v0
	s_cbranch_execz .LBB52_271
; %bb.270:
	s_clause 0x1
	buffer_load_dword v2, off, s[0:3], 0 offset:240
	buffer_load_dword v3, off, s[0:3], 0 offset:244
	buffer_store_dword v1, off, s[0:3], 0 offset:240
	buffer_store_dword v1, off, s[0:3], 0 offset:244
	s_waitcnt vmcnt(0)
	ds_write_b64 v9, v[2:3]
.LBB52_271:
	s_or_b32 exec_lo, exec_lo, s4
	s_waitcnt lgkmcnt(0)
	s_waitcnt_vscnt null, 0x0
	s_barrier
	buffer_gl0_inv
	s_clause 0x2d
	buffer_load_dword v6, off, s[0:3], 0 offset:252
	buffer_load_dword v7, off, s[0:3], 0 offset:260
	;; [unrolled: 1-line block ×46, first 2 shown]
	ds_read2_b64 v[2:5], v1 offset0:85 offset1:86
	ds_read2_b64 v[118:121], v1 offset0:87 offset1:88
	ds_read2_b64 v[122:125], v1 offset0:89 offset1:90
	ds_read2_b64 v[126:129], v1 offset0:91 offset1:92
	ds_read2_b64 v[130:133], v1 offset0:93 offset1:94
	ds_read2_b64 v[134:137], v1 offset0:95 offset1:96
	ds_read2_b64 v[138:141], v1 offset0:97 offset1:98
	ds_read2_b64 v[142:145], v1 offset0:99 offset1:100
	ds_read2_b64 v[146:149], v1 offset0:101 offset1:102
	ds_read2_b64 v[150:153], v1 offset0:103 offset1:104
	ds_read2_b64 v[154:157], v1 offset0:105 offset1:106
	s_mov_b32 s4, exec_lo
	s_waitcnt vmcnt(45) lgkmcnt(10)
	v_mul_f32_e32 v1, v2, v6
	v_mul_f32_e32 v6, v3, v6
	s_waitcnt vmcnt(44)
	v_mul_f32_e32 v199, v4, v7
	v_mul_f32_e32 v7, v5, v7
	s_waitcnt vmcnt(43) lgkmcnt(9)
	v_mul_f32_e32 v200, v118, v8
	s_waitcnt vmcnt(42)
	v_mul_f32_e32 v201, v120, v10
	s_waitcnt vmcnt(41) lgkmcnt(8)
	v_mul_f32_e32 v202, v122, v11
	s_waitcnt vmcnt(40)
	v_mul_f32_e32 v203, v124, v158
	s_waitcnt vmcnt(39) lgkmcnt(7)
	v_mul_f32_e32 v204, v126, v159
	s_waitcnt vmcnt(38)
	v_mul_f32_e32 v205, v128, v160
	s_waitcnt vmcnt(37) lgkmcnt(6)
	v_mul_f32_e32 v206, v130, v161
	s_waitcnt vmcnt(36)
	v_mul_f32_e32 v207, v132, v162
	s_waitcnt vmcnt(35) lgkmcnt(5)
	v_mul_f32_e32 v208, v134, v163
	s_waitcnt vmcnt(34)
	v_mul_f32_e32 v209, v136, v164
	s_waitcnt vmcnt(33) lgkmcnt(4)
	v_mul_f32_e32 v210, v138, v165
	s_waitcnt vmcnt(32)
	v_mul_f32_e32 v211, v140, v166
	s_waitcnt vmcnt(31) lgkmcnt(3)
	v_mul_f32_e32 v212, v142, v167
	s_waitcnt vmcnt(30)
	v_mul_f32_e32 v213, v144, v168
	s_waitcnt vmcnt(29) lgkmcnt(2)
	v_mul_f32_e32 v214, v146, v169
	s_waitcnt vmcnt(28)
	v_mul_f32_e32 v215, v148, v170
	s_waitcnt vmcnt(27) lgkmcnt(1)
	v_mul_f32_e32 v216, v150, v171
	s_waitcnt vmcnt(26)
	v_mul_f32_e32 v217, v152, v172
	s_waitcnt vmcnt(23)
	v_fma_f32 v2, v2, v175, -v6
	v_fmac_f32_e32 v1, v3, v175
	v_mul_f32_e32 v3, v119, v8
	s_waitcnt vmcnt(22)
	v_fma_f32 v4, v4, v176, -v7
	v_fmac_f32_e32 v199, v5, v176
	v_add_f32_e32 v2, 0, v2
	v_add_f32_e32 v1, 0, v1
	v_mul_f32_e32 v5, v121, v10
	s_waitcnt vmcnt(21)
	v_fma_f32 v3, v118, v177, -v3
	v_fmac_f32_e32 v200, v119, v177
	v_add_f32_e32 v2, v2, v4
	v_add_f32_e32 v1, v1, v199
	;; [unrolled: 6-line block ×18, first 2 shown]
	s_waitcnt lgkmcnt(0)
	v_mul_f32_e32 v3, v155, v173
	s_waitcnt vmcnt(4)
	v_fma_f32 v4, v152, v194, -v4
	v_mul_f32_e32 v218, v154, v173
	v_add_f32_e32 v2, v2, v5
	v_fmac_f32_e32 v217, v153, v194
	v_add_f32_e32 v1, v1, v216
	v_mul_f32_e32 v5, v157, v174
	s_waitcnt vmcnt(3)
	v_fma_f32 v3, v154, v195, -v3
	v_add_f32_e32 v2, v2, v4
	v_mul_f32_e32 v219, v156, v174
	v_fmac_f32_e32 v218, v155, v195
	v_add_f32_e32 v1, v1, v217
	s_waitcnt vmcnt(2)
	v_fma_f32 v4, v156, v196, -v5
	v_add_f32_e32 v2, v2, v3
	v_fmac_f32_e32 v219, v157, v196
	v_add_f32_e32 v1, v1, v218
	v_add_f32_e32 v2, v2, v4
	v_add_f32_e32 v1, v1, v219
	s_waitcnt vmcnt(1)
	v_sub_f32_e32 v2, v197, v2
	s_waitcnt vmcnt(0)
	v_sub_f32_e32 v1, v198, v1
	buffer_store_dword v2, off, s[0:3], 0 offset:240
	buffer_store_dword v1, off, s[0:3], 0 offset:244
	v_cmpx_lt_u32_e32 29, v0
	s_cbranch_execz .LBB52_273
; %bb.272:
	s_clause 0x1
	buffer_load_dword v1, off, s[0:3], 0 offset:232
	buffer_load_dword v2, off, s[0:3], 0 offset:236
	v_mov_b32_e32 v3, 0
	buffer_store_dword v3, off, s[0:3], 0 offset:232
	buffer_store_dword v3, off, s[0:3], 0 offset:236
	s_waitcnt vmcnt(0)
	ds_write_b64 v9, v[1:2]
.LBB52_273:
	s_or_b32 exec_lo, exec_lo, s4
	s_waitcnt lgkmcnt(0)
	s_waitcnt_vscnt null, 0x0
	s_barrier
	buffer_gl0_inv
	s_clause 0x2f
	buffer_load_dword v8, off, s[0:3], 0 offset:244
	buffer_load_dword v10, off, s[0:3], 0 offset:252
	;; [unrolled: 1-line block ×48, first 2 shown]
	v_mov_b32_e32 v1, 0
	ds_read_b128 v[2:5], v1 offset:672
	ds_read_b128 v[118:121], v1 offset:688
	;; [unrolled: 1-line block ×11, first 2 shown]
	ds_read_b64 v[6:7], v1 offset:848
	s_mov_b32 s4, exec_lo
	s_waitcnt vmcnt(47) lgkmcnt(11)
	v_mul_f32_e32 v203, v2, v8
	v_mul_f32_e32 v8, v3, v8
	s_waitcnt vmcnt(46)
	v_mul_f32_e32 v204, v4, v10
	v_mul_f32_e32 v10, v5, v10
	s_waitcnt vmcnt(45) lgkmcnt(10)
	v_mul_f32_e32 v205, v118, v11
	s_waitcnt vmcnt(44)
	v_mul_f32_e32 v206, v120, v158
	s_waitcnt vmcnt(43) lgkmcnt(9)
	v_mul_f32_e32 v207, v122, v159
	s_waitcnt vmcnt(42)
	;; [unrolled: 4-line block ×10, first 2 shown]
	v_fma_f32 v2, v2, v178, -v8
	v_fmac_f32_e32 v203, v3, v178
	v_mul_f32_e32 v3, v119, v11
	s_waitcnt vmcnt(23)
	v_fma_f32 v4, v4, v179, -v10
	v_fmac_f32_e32 v204, v5, v179
	v_add_f32_e32 v2, 0, v2
	v_add_f32_e32 v5, 0, v203
	v_mul_f32_e32 v8, v121, v158
	s_waitcnt vmcnt(22)
	v_fma_f32 v3, v118, v180, -v3
	v_fmac_f32_e32 v205, v119, v180
	v_add_f32_e32 v2, v2, v4
	v_add_f32_e32 v4, v5, v204
	;; [unrolled: 6-line block ×19, first 2 shown]
	v_mul_f32_e32 v8, v157, v176
	s_waitcnt vmcnt(4)
	v_fma_f32 v4, v154, v198, -v4
	v_mul_f32_e32 v224, v156, v176
	v_add_f32_e32 v2, v2, v5
	v_fmac_f32_e32 v223, v155, v198
	v_add_f32_e32 v3, v3, v222
	s_waitcnt lgkmcnt(0)
	v_mul_f32_e32 v5, v7, v177
	s_waitcnt vmcnt(3)
	v_fma_f32 v8, v156, v199, -v8
	v_add_f32_e32 v2, v2, v4
	v_mul_f32_e32 v225, v6, v177
	v_fmac_f32_e32 v224, v157, v199
	v_add_f32_e32 v3, v3, v223
	s_waitcnt vmcnt(2)
	v_fma_f32 v4, v6, v200, -v5
	v_add_f32_e32 v2, v2, v8
	v_fmac_f32_e32 v225, v7, v200
	v_add_f32_e32 v3, v3, v224
	v_add_f32_e32 v2, v2, v4
	v_add_f32_e32 v3, v3, v225
	s_waitcnt vmcnt(1)
	v_sub_f32_e32 v2, v201, v2
	s_waitcnt vmcnt(0)
	v_sub_f32_e32 v3, v202, v3
	buffer_store_dword v2, off, s[0:3], 0 offset:232
	buffer_store_dword v3, off, s[0:3], 0 offset:236
	v_cmpx_lt_u32_e32 28, v0
	s_cbranch_execz .LBB52_275
; %bb.274:
	s_clause 0x1
	buffer_load_dword v2, off, s[0:3], 0 offset:224
	buffer_load_dword v3, off, s[0:3], 0 offset:228
	buffer_store_dword v1, off, s[0:3], 0 offset:224
	buffer_store_dword v1, off, s[0:3], 0 offset:228
	s_waitcnt vmcnt(0)
	ds_write_b64 v9, v[2:3]
.LBB52_275:
	s_or_b32 exec_lo, exec_lo, s4
	s_waitcnt lgkmcnt(0)
	s_waitcnt_vscnt null, 0x0
	s_barrier
	buffer_gl0_inv
	s_clause 0x31
	buffer_load_dword v6, off, s[0:3], 0 offset:236
	buffer_load_dword v7, off, s[0:3], 0 offset:244
	buffer_load_dword v8, off, s[0:3], 0 offset:252
	buffer_load_dword v10, off, s[0:3], 0 offset:260
	buffer_load_dword v11, off, s[0:3], 0 offset:268
	buffer_load_dword v162, off, s[0:3], 0 offset:276
	buffer_load_dword v163, off, s[0:3], 0 offset:284
	buffer_load_dword v164, off, s[0:3], 0 offset:292
	buffer_load_dword v165, off, s[0:3], 0 offset:300
	buffer_load_dword v166, off, s[0:3], 0 offset:308
	buffer_load_dword v167, off, s[0:3], 0 offset:316
	buffer_load_dword v168, off, s[0:3], 0 offset:324
	buffer_load_dword v169, off, s[0:3], 0 offset:332
	buffer_load_dword v170, off, s[0:3], 0 offset:340
	buffer_load_dword v171, off, s[0:3], 0 offset:348
	buffer_load_dword v172, off, s[0:3], 0 offset:356
	buffer_load_dword v173, off, s[0:3], 0 offset:364
	buffer_load_dword v174, off, s[0:3], 0 offset:372
	buffer_load_dword v175, off, s[0:3], 0 offset:380
	buffer_load_dword v176, off, s[0:3], 0 offset:388
	buffer_load_dword v177, off, s[0:3], 0 offset:396
	buffer_load_dword v178, off, s[0:3], 0 offset:404
	buffer_load_dword v179, off, s[0:3], 0 offset:412
	buffer_load_dword v180, off, s[0:3], 0 offset:420
	buffer_load_dword v181, off, s[0:3], 0 offset:232
	buffer_load_dword v182, off, s[0:3], 0 offset:240
	buffer_load_dword v183, off, s[0:3], 0 offset:248
	buffer_load_dword v184, off, s[0:3], 0 offset:256
	buffer_load_dword v185, off, s[0:3], 0 offset:264
	buffer_load_dword v186, off, s[0:3], 0 offset:272
	buffer_load_dword v187, off, s[0:3], 0 offset:280
	buffer_load_dword v188, off, s[0:3], 0 offset:288
	buffer_load_dword v189, off, s[0:3], 0 offset:296
	buffer_load_dword v190, off, s[0:3], 0 offset:304
	buffer_load_dword v191, off, s[0:3], 0 offset:312
	buffer_load_dword v192, off, s[0:3], 0 offset:320
	buffer_load_dword v193, off, s[0:3], 0 offset:328
	buffer_load_dword v194, off, s[0:3], 0 offset:336
	buffer_load_dword v195, off, s[0:3], 0 offset:344
	buffer_load_dword v196, off, s[0:3], 0 offset:352
	buffer_load_dword v197, off, s[0:3], 0 offset:360
	buffer_load_dword v198, off, s[0:3], 0 offset:368
	buffer_load_dword v199, off, s[0:3], 0 offset:376
	buffer_load_dword v200, off, s[0:3], 0 offset:384
	buffer_load_dword v201, off, s[0:3], 0 offset:392
	buffer_load_dword v202, off, s[0:3], 0 offset:400
	buffer_load_dword v203, off, s[0:3], 0 offset:408
	buffer_load_dword v204, off, s[0:3], 0 offset:416
	buffer_load_dword v205, off, s[0:3], 0 offset:224
	buffer_load_dword v206, off, s[0:3], 0 offset:228
	ds_read2_b64 v[2:5], v1 offset0:83 offset1:84
	ds_read2_b64 v[118:121], v1 offset0:85 offset1:86
	;; [unrolled: 1-line block ×12, first 2 shown]
	s_mov_b32 s4, exec_lo
	s_waitcnt vmcnt(49) lgkmcnt(11)
	v_mul_f32_e32 v1, v2, v6
	v_mul_f32_e32 v6, v3, v6
	s_waitcnt vmcnt(48)
	v_mul_f32_e32 v207, v4, v7
	v_mul_f32_e32 v7, v5, v7
	s_waitcnt vmcnt(47) lgkmcnt(10)
	v_mul_f32_e32 v208, v118, v8
	s_waitcnt vmcnt(46)
	v_mul_f32_e32 v209, v120, v10
	s_waitcnt vmcnt(45) lgkmcnt(9)
	v_mul_f32_e32 v210, v122, v11
	s_waitcnt vmcnt(44)
	;; [unrolled: 4-line block ×10, first 2 shown]
	v_mul_f32_e32 v227, v156, v178
	s_waitcnt vmcnt(25)
	v_fma_f32 v2, v2, v181, -v6
	v_fmac_f32_e32 v1, v3, v181
	v_mul_f32_e32 v3, v119, v8
	s_waitcnt vmcnt(24)
	v_fma_f32 v4, v4, v182, -v7
	v_fmac_f32_e32 v207, v5, v182
	v_add_f32_e32 v2, 0, v2
	v_add_f32_e32 v1, 0, v1
	v_mul_f32_e32 v5, v121, v10
	s_waitcnt vmcnt(23)
	v_fma_f32 v3, v118, v183, -v3
	v_fmac_f32_e32 v208, v119, v183
	v_add_f32_e32 v2, v2, v4
	v_add_f32_e32 v1, v1, v207
	;; [unrolled: 6-line block ×20, first 2 shown]
	s_waitcnt lgkmcnt(0)
	v_mul_f32_e32 v4, v159, v179
	s_waitcnt vmcnt(4)
	v_fma_f32 v5, v156, v202, -v5
	v_mul_f32_e32 v228, v158, v179
	v_add_f32_e32 v2, v2, v3
	v_fmac_f32_e32 v227, v157, v202
	v_add_f32_e32 v1, v1, v226
	v_mul_f32_e32 v3, v161, v180
	s_waitcnt vmcnt(3)
	v_fma_f32 v4, v158, v203, -v4
	v_add_f32_e32 v2, v2, v5
	v_mul_f32_e32 v229, v160, v180
	v_fmac_f32_e32 v228, v159, v203
	v_add_f32_e32 v1, v1, v227
	s_waitcnt vmcnt(2)
	v_fma_f32 v3, v160, v204, -v3
	v_add_f32_e32 v2, v2, v4
	v_fmac_f32_e32 v229, v161, v204
	v_add_f32_e32 v1, v1, v228
	v_add_f32_e32 v2, v2, v3
	;; [unrolled: 1-line block ×3, first 2 shown]
	s_waitcnt vmcnt(1)
	v_sub_f32_e32 v2, v205, v2
	s_waitcnt vmcnt(0)
	v_sub_f32_e32 v1, v206, v1
	buffer_store_dword v2, off, s[0:3], 0 offset:224
	buffer_store_dword v1, off, s[0:3], 0 offset:228
	v_cmpx_lt_u32_e32 27, v0
	s_cbranch_execz .LBB52_277
; %bb.276:
	s_clause 0x1
	buffer_load_dword v1, off, s[0:3], 0 offset:216
	buffer_load_dword v2, off, s[0:3], 0 offset:220
	v_mov_b32_e32 v3, 0
	buffer_store_dword v3, off, s[0:3], 0 offset:216
	buffer_store_dword v3, off, s[0:3], 0 offset:220
	s_waitcnt vmcnt(0)
	ds_write_b64 v9, v[1:2]
.LBB52_277:
	s_or_b32 exec_lo, exec_lo, s4
	s_waitcnt lgkmcnt(0)
	s_waitcnt_vscnt null, 0x0
	s_barrier
	buffer_gl0_inv
	s_clause 0x33
	buffer_load_dword v8, off, s[0:3], 0 offset:228
	buffer_load_dword v10, off, s[0:3], 0 offset:236
	;; [unrolled: 1-line block ×52, first 2 shown]
	v_mov_b32_e32 v1, 0
	ds_read_b128 v[2:5], v1 offset:656
	ds_read_b128 v[118:121], v1 offset:672
	;; [unrolled: 1-line block ×12, first 2 shown]
	ds_read_b64 v[6:7], v1 offset:848
	s_mov_b32 s4, exec_lo
	s_waitcnt vmcnt(51) lgkmcnt(12)
	v_mul_f32_e32 v211, v2, v8
	v_mul_f32_e32 v8, v3, v8
	s_waitcnt vmcnt(50)
	v_mul_f32_e32 v212, v4, v10
	v_mul_f32_e32 v10, v5, v10
	s_waitcnt vmcnt(49) lgkmcnt(11)
	v_mul_f32_e32 v213, v118, v11
	s_waitcnt vmcnt(48)
	v_mul_f32_e32 v214, v120, v162
	s_waitcnt vmcnt(47) lgkmcnt(10)
	v_mul_f32_e32 v215, v122, v163
	s_waitcnt vmcnt(46)
	;; [unrolled: 4-line block ×11, first 2 shown]
	v_fma_f32 v2, v2, v184, -v8
	v_fmac_f32_e32 v211, v3, v184
	v_mul_f32_e32 v3, v119, v11
	s_waitcnt vmcnt(25)
	v_fma_f32 v4, v4, v185, -v10
	v_fmac_f32_e32 v212, v5, v185
	v_add_f32_e32 v2, 0, v2
	v_add_f32_e32 v5, 0, v211
	v_mul_f32_e32 v8, v121, v162
	s_waitcnt vmcnt(24)
	v_fma_f32 v3, v118, v186, -v3
	v_fmac_f32_e32 v213, v119, v186
	v_add_f32_e32 v2, v2, v4
	v_add_f32_e32 v4, v5, v212
	;; [unrolled: 6-line block ×21, first 2 shown]
	v_mul_f32_e32 v4, v161, v182
	s_waitcnt vmcnt(4)
	v_fma_f32 v5, v158, v206, -v5
	v_mul_f32_e32 v234, v160, v182
	v_add_f32_e32 v2, v2, v8
	v_fmac_f32_e32 v233, v159, v206
	v_add_f32_e32 v3, v3, v232
	s_waitcnt lgkmcnt(0)
	v_mul_f32_e32 v8, v7, v183
	s_waitcnt vmcnt(3)
	v_fma_f32 v4, v160, v207, -v4
	v_add_f32_e32 v2, v2, v5
	v_mul_f32_e32 v235, v6, v183
	v_fmac_f32_e32 v234, v161, v207
	v_add_f32_e32 v3, v3, v233
	s_waitcnt vmcnt(2)
	v_fma_f32 v5, v6, v208, -v8
	v_add_f32_e32 v2, v2, v4
	v_fmac_f32_e32 v235, v7, v208
	v_add_f32_e32 v3, v3, v234
	v_add_f32_e32 v2, v2, v5
	;; [unrolled: 1-line block ×3, first 2 shown]
	s_waitcnt vmcnt(1)
	v_sub_f32_e32 v2, v209, v2
	s_waitcnt vmcnt(0)
	v_sub_f32_e32 v3, v210, v3
	buffer_store_dword v2, off, s[0:3], 0 offset:216
	buffer_store_dword v3, off, s[0:3], 0 offset:220
	v_cmpx_lt_u32_e32 26, v0
	s_cbranch_execz .LBB52_279
; %bb.278:
	s_clause 0x1
	buffer_load_dword v2, off, s[0:3], 0 offset:208
	buffer_load_dword v3, off, s[0:3], 0 offset:212
	buffer_store_dword v1, off, s[0:3], 0 offset:208
	buffer_store_dword v1, off, s[0:3], 0 offset:212
	s_waitcnt vmcnt(0)
	ds_write_b64 v9, v[2:3]
.LBB52_279:
	s_or_b32 exec_lo, exec_lo, s4
	s_waitcnt lgkmcnt(0)
	s_waitcnt_vscnt null, 0x0
	s_barrier
	buffer_gl0_inv
	s_clause 0x35
	buffer_load_dword v6, off, s[0:3], 0 offset:220
	buffer_load_dword v7, off, s[0:3], 0 offset:228
	buffer_load_dword v8, off, s[0:3], 0 offset:236
	buffer_load_dword v10, off, s[0:3], 0 offset:244
	buffer_load_dword v11, off, s[0:3], 0 offset:252
	buffer_load_dword v166, off, s[0:3], 0 offset:260
	buffer_load_dword v167, off, s[0:3], 0 offset:268
	buffer_load_dword v168, off, s[0:3], 0 offset:276
	buffer_load_dword v169, off, s[0:3], 0 offset:284
	buffer_load_dword v170, off, s[0:3], 0 offset:292
	buffer_load_dword v171, off, s[0:3], 0 offset:300
	buffer_load_dword v172, off, s[0:3], 0 offset:308
	buffer_load_dword v173, off, s[0:3], 0 offset:316
	buffer_load_dword v174, off, s[0:3], 0 offset:324
	buffer_load_dword v175, off, s[0:3], 0 offset:332
	buffer_load_dword v176, off, s[0:3], 0 offset:340
	buffer_load_dword v177, off, s[0:3], 0 offset:348
	buffer_load_dword v178, off, s[0:3], 0 offset:356
	buffer_load_dword v179, off, s[0:3], 0 offset:364
	buffer_load_dword v180, off, s[0:3], 0 offset:372
	buffer_load_dword v181, off, s[0:3], 0 offset:380
	buffer_load_dword v182, off, s[0:3], 0 offset:388
	buffer_load_dword v183, off, s[0:3], 0 offset:396
	buffer_load_dword v184, off, s[0:3], 0 offset:404
	buffer_load_dword v185, off, s[0:3], 0 offset:412
	buffer_load_dword v186, off, s[0:3], 0 offset:420
	buffer_load_dword v187, off, s[0:3], 0 offset:216
	buffer_load_dword v188, off, s[0:3], 0 offset:224
	buffer_load_dword v189, off, s[0:3], 0 offset:232
	buffer_load_dword v190, off, s[0:3], 0 offset:240
	buffer_load_dword v191, off, s[0:3], 0 offset:248
	buffer_load_dword v192, off, s[0:3], 0 offset:256
	buffer_load_dword v193, off, s[0:3], 0 offset:264
	buffer_load_dword v194, off, s[0:3], 0 offset:272
	buffer_load_dword v195, off, s[0:3], 0 offset:280
	buffer_load_dword v196, off, s[0:3], 0 offset:288
	buffer_load_dword v197, off, s[0:3], 0 offset:296
	buffer_load_dword v198, off, s[0:3], 0 offset:304
	buffer_load_dword v199, off, s[0:3], 0 offset:312
	buffer_load_dword v200, off, s[0:3], 0 offset:320
	buffer_load_dword v201, off, s[0:3], 0 offset:328
	buffer_load_dword v202, off, s[0:3], 0 offset:336
	buffer_load_dword v203, off, s[0:3], 0 offset:344
	buffer_load_dword v204, off, s[0:3], 0 offset:352
	buffer_load_dword v205, off, s[0:3], 0 offset:360
	buffer_load_dword v206, off, s[0:3], 0 offset:368
	buffer_load_dword v207, off, s[0:3], 0 offset:376
	buffer_load_dword v208, off, s[0:3], 0 offset:384
	buffer_load_dword v209, off, s[0:3], 0 offset:392
	buffer_load_dword v210, off, s[0:3], 0 offset:400
	buffer_load_dword v211, off, s[0:3], 0 offset:408
	buffer_load_dword v212, off, s[0:3], 0 offset:416
	buffer_load_dword v213, off, s[0:3], 0 offset:208
	buffer_load_dword v214, off, s[0:3], 0 offset:212
	ds_read2_b64 v[2:5], v1 offset0:81 offset1:82
	ds_read2_b64 v[118:121], v1 offset0:83 offset1:84
	;; [unrolled: 1-line block ×13, first 2 shown]
	s_mov_b32 s4, exec_lo
	s_waitcnt vmcnt(53) lgkmcnt(12)
	v_mul_f32_e32 v1, v2, v6
	v_mul_f32_e32 v6, v3, v6
	s_waitcnt vmcnt(52)
	v_mul_f32_e32 v215, v4, v7
	v_mul_f32_e32 v7, v5, v7
	s_waitcnt vmcnt(51) lgkmcnt(11)
	v_mul_f32_e32 v216, v118, v8
	s_waitcnt vmcnt(50)
	v_mul_f32_e32 v217, v120, v10
	s_waitcnt vmcnt(49) lgkmcnt(10)
	v_mul_f32_e32 v218, v122, v11
	s_waitcnt vmcnt(48)
	;; [unrolled: 4-line block ×11, first 2 shown]
	v_mul_f32_e32 v237, v160, v184
	s_waitcnt vmcnt(27)
	v_fma_f32 v2, v2, v187, -v6
	v_fmac_f32_e32 v1, v3, v187
	v_mul_f32_e32 v3, v119, v8
	s_waitcnt vmcnt(26)
	v_fma_f32 v4, v4, v188, -v7
	v_fmac_f32_e32 v215, v5, v188
	v_add_f32_e32 v2, 0, v2
	v_add_f32_e32 v1, 0, v1
	v_mul_f32_e32 v5, v121, v10
	s_waitcnt vmcnt(25)
	v_fma_f32 v3, v118, v189, -v3
	v_fmac_f32_e32 v216, v119, v189
	v_add_f32_e32 v2, v2, v4
	v_add_f32_e32 v1, v1, v215
	v_mul_f32_e32 v4, v123, v11
	s_waitcnt vmcnt(24)
	v_fma_f32 v5, v120, v190, -v5
	v_fmac_f32_e32 v217, v121, v190
	v_add_f32_e32 v2, v2, v3
	v_add_f32_e32 v1, v1, v216
	v_mul_f32_e32 v3, v125, v166
	s_waitcnt vmcnt(23)
	v_fma_f32 v4, v122, v191, -v4
	v_fmac_f32_e32 v218, v123, v191
	v_add_f32_e32 v2, v2, v5
	v_add_f32_e32 v1, v1, v217
	v_mul_f32_e32 v5, v127, v167
	s_waitcnt vmcnt(22)
	v_fma_f32 v3, v124, v192, -v3
	v_fmac_f32_e32 v219, v125, v192
	v_add_f32_e32 v2, v2, v4
	v_add_f32_e32 v1, v1, v218
	v_mul_f32_e32 v4, v129, v168
	s_waitcnt vmcnt(21)
	v_fma_f32 v5, v126, v193, -v5
	v_fmac_f32_e32 v220, v127, v193
	v_add_f32_e32 v2, v2, v3
	v_add_f32_e32 v1, v1, v219
	v_mul_f32_e32 v3, v131, v169
	s_waitcnt vmcnt(20)
	v_fma_f32 v4, v128, v194, -v4
	v_fmac_f32_e32 v221, v129, v194
	v_add_f32_e32 v2, v2, v5
	v_add_f32_e32 v1, v1, v220
	v_mul_f32_e32 v5, v133, v170
	s_waitcnt vmcnt(19)
	v_fma_f32 v3, v130, v195, -v3
	v_fmac_f32_e32 v222, v131, v195
	v_add_f32_e32 v2, v2, v4
	v_add_f32_e32 v1, v1, v221
	v_mul_f32_e32 v4, v135, v171
	s_waitcnt vmcnt(18)
	v_fma_f32 v5, v132, v196, -v5
	v_fmac_f32_e32 v223, v133, v196
	v_add_f32_e32 v2, v2, v3
	v_add_f32_e32 v1, v1, v222
	v_mul_f32_e32 v3, v137, v172
	s_waitcnt vmcnt(17)
	v_fma_f32 v4, v134, v197, -v4
	v_fmac_f32_e32 v224, v135, v197
	v_add_f32_e32 v2, v2, v5
	v_add_f32_e32 v1, v1, v223
	v_mul_f32_e32 v5, v139, v173
	s_waitcnt vmcnt(16)
	v_fma_f32 v3, v136, v198, -v3
	v_fmac_f32_e32 v225, v137, v198
	v_add_f32_e32 v2, v2, v4
	v_add_f32_e32 v1, v1, v224
	v_mul_f32_e32 v4, v141, v174
	s_waitcnt vmcnt(15)
	v_fma_f32 v5, v138, v199, -v5
	v_fmac_f32_e32 v226, v139, v199
	v_add_f32_e32 v2, v2, v3
	v_add_f32_e32 v1, v1, v225
	v_mul_f32_e32 v3, v143, v175
	s_waitcnt vmcnt(14)
	v_fma_f32 v4, v140, v200, -v4
	v_fmac_f32_e32 v227, v141, v200
	v_add_f32_e32 v2, v2, v5
	v_add_f32_e32 v1, v1, v226
	v_mul_f32_e32 v5, v145, v176
	s_waitcnt vmcnt(13)
	v_fma_f32 v3, v142, v201, -v3
	v_fmac_f32_e32 v228, v143, v201
	v_add_f32_e32 v2, v2, v4
	v_add_f32_e32 v1, v1, v227
	v_mul_f32_e32 v4, v147, v177
	s_waitcnt vmcnt(12)
	v_fma_f32 v5, v144, v202, -v5
	v_fmac_f32_e32 v229, v145, v202
	v_add_f32_e32 v2, v2, v3
	v_add_f32_e32 v1, v1, v228
	v_mul_f32_e32 v3, v149, v178
	s_waitcnt vmcnt(11)
	v_fma_f32 v4, v146, v203, -v4
	v_fmac_f32_e32 v230, v147, v203
	v_add_f32_e32 v2, v2, v5
	v_add_f32_e32 v1, v1, v229
	v_mul_f32_e32 v5, v151, v179
	s_waitcnt vmcnt(10)
	v_fma_f32 v3, v148, v204, -v3
	v_fmac_f32_e32 v231, v149, v204
	v_add_f32_e32 v2, v2, v4
	v_add_f32_e32 v1, v1, v230
	v_mul_f32_e32 v4, v153, v180
	s_waitcnt vmcnt(9)
	v_fma_f32 v5, v150, v205, -v5
	v_fmac_f32_e32 v232, v151, v205
	v_add_f32_e32 v2, v2, v3
	v_add_f32_e32 v1, v1, v231
	v_mul_f32_e32 v3, v155, v181
	s_waitcnt vmcnt(8)
	v_fma_f32 v4, v152, v206, -v4
	v_fmac_f32_e32 v233, v153, v206
	v_add_f32_e32 v2, v2, v5
	v_add_f32_e32 v1, v1, v232
	v_mul_f32_e32 v5, v157, v182
	s_waitcnt vmcnt(7)
	v_fma_f32 v3, v154, v207, -v3
	v_fmac_f32_e32 v234, v155, v207
	v_add_f32_e32 v2, v2, v4
	v_add_f32_e32 v1, v1, v233
	v_mul_f32_e32 v4, v159, v183
	s_waitcnt vmcnt(6)
	v_fma_f32 v5, v156, v208, -v5
	v_fmac_f32_e32 v235, v157, v208
	v_add_f32_e32 v2, v2, v3
	v_add_f32_e32 v1, v1, v234
	v_mul_f32_e32 v3, v161, v184
	s_waitcnt vmcnt(5)
	v_fma_f32 v4, v158, v209, -v4
	v_fmac_f32_e32 v236, v159, v209
	v_add_f32_e32 v2, v2, v5
	v_add_f32_e32 v1, v1, v235
	s_waitcnt lgkmcnt(0)
	v_mul_f32_e32 v5, v163, v185
	s_waitcnt vmcnt(4)
	v_fma_f32 v3, v160, v210, -v3
	v_mul_f32_e32 v238, v162, v185
	v_add_f32_e32 v2, v2, v4
	v_fmac_f32_e32 v237, v161, v210
	v_add_f32_e32 v1, v1, v236
	v_mul_f32_e32 v4, v165, v186
	s_waitcnt vmcnt(3)
	v_fma_f32 v5, v162, v211, -v5
	v_add_f32_e32 v2, v2, v3
	v_mul_f32_e32 v239, v164, v186
	v_fmac_f32_e32 v238, v163, v211
	v_add_f32_e32 v1, v1, v237
	s_waitcnt vmcnt(2)
	v_fma_f32 v3, v164, v212, -v4
	v_add_f32_e32 v2, v2, v5
	v_fmac_f32_e32 v239, v165, v212
	v_add_f32_e32 v1, v1, v238
	v_add_f32_e32 v2, v2, v3
	;; [unrolled: 1-line block ×3, first 2 shown]
	s_waitcnt vmcnt(1)
	v_sub_f32_e32 v2, v213, v2
	s_waitcnt vmcnt(0)
	v_sub_f32_e32 v1, v214, v1
	buffer_store_dword v2, off, s[0:3], 0 offset:208
	buffer_store_dword v1, off, s[0:3], 0 offset:212
	v_cmpx_lt_u32_e32 25, v0
	s_cbranch_execz .LBB52_281
; %bb.280:
	s_clause 0x1
	buffer_load_dword v1, off, s[0:3], 0 offset:200
	buffer_load_dword v2, off, s[0:3], 0 offset:204
	v_mov_b32_e32 v3, 0
	buffer_store_dword v3, off, s[0:3], 0 offset:200
	buffer_store_dword v3, off, s[0:3], 0 offset:204
	s_waitcnt vmcnt(0)
	ds_write_b64 v9, v[1:2]
.LBB52_281:
	s_or_b32 exec_lo, exec_lo, s4
	s_waitcnt lgkmcnt(0)
	s_waitcnt_vscnt null, 0x0
	s_barrier
	buffer_gl0_inv
	s_clause 0x37
	buffer_load_dword v8, off, s[0:3], 0 offset:212
	buffer_load_dword v10, off, s[0:3], 0 offset:220
	;; [unrolled: 1-line block ×56, first 2 shown]
	v_mov_b32_e32 v1, 0
	ds_read_b128 v[2:5], v1 offset:640
	ds_read_b128 v[118:121], v1 offset:656
	;; [unrolled: 1-line block ×13, first 2 shown]
	ds_read_b64 v[6:7], v1 offset:848
	s_mov_b32 s4, exec_lo
	s_waitcnt vmcnt(55) lgkmcnt(13)
	v_mul_f32_e32 v219, v2, v8
	v_mul_f32_e32 v8, v3, v8
	s_waitcnt vmcnt(54)
	v_mul_f32_e32 v220, v4, v10
	v_mul_f32_e32 v10, v5, v10
	s_waitcnt vmcnt(53) lgkmcnt(12)
	v_mul_f32_e32 v221, v118, v11
	s_waitcnt vmcnt(52)
	v_mul_f32_e32 v222, v120, v166
	s_waitcnt vmcnt(51) lgkmcnt(11)
	v_mul_f32_e32 v223, v122, v167
	s_waitcnt vmcnt(50)
	;; [unrolled: 4-line block ×12, first 2 shown]
	v_fma_f32 v2, v2, v190, -v8
	v_fmac_f32_e32 v219, v3, v190
	v_mul_f32_e32 v3, v119, v11
	s_waitcnt vmcnt(27)
	v_fma_f32 v4, v4, v191, -v10
	v_fmac_f32_e32 v220, v5, v191
	v_add_f32_e32 v2, 0, v2
	v_add_f32_e32 v5, 0, v219
	v_mul_f32_e32 v8, v121, v166
	s_waitcnt vmcnt(26)
	v_fma_f32 v3, v118, v192, -v3
	v_fmac_f32_e32 v221, v119, v192
	v_add_f32_e32 v2, v2, v4
	v_add_f32_e32 v4, v5, v220
	;; [unrolled: 6-line block ×23, first 2 shown]
	v_mul_f32_e32 v5, v165, v188
	s_waitcnt vmcnt(4)
	v_fma_f32 v8, v162, v214, -v8
	v_mul_f32_e32 v244, v164, v188
	v_add_f32_e32 v2, v2, v4
	v_fmac_f32_e32 v243, v163, v214
	v_add_f32_e32 v3, v3, v242
	s_waitcnt lgkmcnt(0)
	v_mul_f32_e32 v4, v7, v189
	s_waitcnt vmcnt(3)
	v_fma_f32 v5, v164, v215, -v5
	v_add_f32_e32 v2, v2, v8
	v_mul_f32_e32 v245, v6, v189
	v_fmac_f32_e32 v244, v165, v215
	v_add_f32_e32 v3, v3, v243
	s_waitcnt vmcnt(2)
	v_fma_f32 v4, v6, v216, -v4
	v_add_f32_e32 v2, v2, v5
	v_fmac_f32_e32 v245, v7, v216
	v_add_f32_e32 v3, v3, v244
	v_add_f32_e32 v2, v2, v4
	;; [unrolled: 1-line block ×3, first 2 shown]
	s_waitcnt vmcnt(1)
	v_sub_f32_e32 v2, v217, v2
	s_waitcnt vmcnt(0)
	v_sub_f32_e32 v3, v218, v3
	buffer_store_dword v2, off, s[0:3], 0 offset:200
	buffer_store_dword v3, off, s[0:3], 0 offset:204
	v_cmpx_lt_u32_e32 24, v0
	s_cbranch_execz .LBB52_283
; %bb.282:
	s_clause 0x1
	buffer_load_dword v2, off, s[0:3], 0 offset:192
	buffer_load_dword v3, off, s[0:3], 0 offset:196
	buffer_store_dword v1, off, s[0:3], 0 offset:192
	buffer_store_dword v1, off, s[0:3], 0 offset:196
	s_waitcnt vmcnt(0)
	ds_write_b64 v9, v[2:3]
.LBB52_283:
	s_or_b32 exec_lo, exec_lo, s4
	s_waitcnt lgkmcnt(0)
	s_waitcnt_vscnt null, 0x0
	s_barrier
	buffer_gl0_inv
	s_clause 0x39
	buffer_load_dword v6, off, s[0:3], 0 offset:204
	buffer_load_dword v7, off, s[0:3], 0 offset:212
	;; [unrolled: 1-line block ×58, first 2 shown]
	ds_read2_b64 v[2:5], v1 offset0:79 offset1:80
	ds_read2_b64 v[118:121], v1 offset0:81 offset1:82
	;; [unrolled: 1-line block ×14, first 2 shown]
	s_mov_b32 s4, exec_lo
	s_waitcnt vmcnt(57) lgkmcnt(13)
	v_mul_f32_e32 v1, v2, v6
	v_mul_f32_e32 v6, v3, v6
	s_waitcnt vmcnt(56)
	v_mul_f32_e32 v223, v4, v7
	v_mul_f32_e32 v7, v5, v7
	s_waitcnt vmcnt(55) lgkmcnt(12)
	v_mul_f32_e32 v224, v118, v8
	s_waitcnt vmcnt(54)
	v_mul_f32_e32 v225, v120, v10
	s_waitcnt vmcnt(53) lgkmcnt(11)
	v_mul_f32_e32 v226, v122, v11
	s_waitcnt vmcnt(52)
	;; [unrolled: 4-line block ×12, first 2 shown]
	v_mul_f32_e32 v247, v164, v190
	s_waitcnt vmcnt(29)
	v_fma_f32 v2, v2, v193, -v6
	v_fmac_f32_e32 v1, v3, v193
	v_mul_f32_e32 v3, v119, v8
	s_waitcnt vmcnt(28)
	v_fma_f32 v4, v4, v194, -v7
	v_fmac_f32_e32 v223, v5, v194
	v_add_f32_e32 v2, 0, v2
	v_add_f32_e32 v1, 0, v1
	v_mul_f32_e32 v5, v121, v10
	s_waitcnt vmcnt(27)
	v_fma_f32 v3, v118, v195, -v3
	v_fmac_f32_e32 v224, v119, v195
	v_add_f32_e32 v2, v2, v4
	v_add_f32_e32 v1, v1, v223
	;; [unrolled: 6-line block ×24, first 2 shown]
	s_waitcnt lgkmcnt(0)
	v_mul_f32_e32 v3, v167, v191
	s_waitcnt vmcnt(4)
	v_fma_f32 v4, v164, v218, -v4
	v_mul_f32_e32 v248, v166, v191
	v_add_f32_e32 v2, v2, v5
	v_fmac_f32_e32 v247, v165, v218
	v_add_f32_e32 v1, v1, v246
	v_mul_f32_e32 v5, v169, v192
	s_waitcnt vmcnt(3)
	v_fma_f32 v3, v166, v219, -v3
	v_add_f32_e32 v2, v2, v4
	v_mul_f32_e32 v249, v168, v192
	v_fmac_f32_e32 v248, v167, v219
	v_add_f32_e32 v1, v1, v247
	s_waitcnt vmcnt(2)
	v_fma_f32 v4, v168, v220, -v5
	v_add_f32_e32 v2, v2, v3
	v_fmac_f32_e32 v249, v169, v220
	v_add_f32_e32 v1, v1, v248
	v_add_f32_e32 v2, v2, v4
	v_add_f32_e32 v1, v1, v249
	s_waitcnt vmcnt(1)
	v_sub_f32_e32 v2, v221, v2
	s_waitcnt vmcnt(0)
	v_sub_f32_e32 v1, v222, v1
	buffer_store_dword v2, off, s[0:3], 0 offset:192
	buffer_store_dword v1, off, s[0:3], 0 offset:196
	v_cmpx_lt_u32_e32 23, v0
	s_cbranch_execz .LBB52_285
; %bb.284:
	s_clause 0x1
	buffer_load_dword v1, off, s[0:3], 0 offset:184
	buffer_load_dword v2, off, s[0:3], 0 offset:188
	v_mov_b32_e32 v3, 0
	buffer_store_dword v3, off, s[0:3], 0 offset:184
	buffer_store_dword v3, off, s[0:3], 0 offset:188
	s_waitcnt vmcnt(0)
	ds_write_b64 v9, v[1:2]
.LBB52_285:
	s_or_b32 exec_lo, exec_lo, s4
	s_waitcnt lgkmcnt(0)
	s_waitcnt_vscnt null, 0x0
	s_barrier
	buffer_gl0_inv
	s_clause 0x1b
	buffer_load_dword v2, off, s[0:3], 0 offset:196
	buffer_load_dword v4, off, s[0:3], 0 offset:204
	;; [unrolled: 1-line block ×28, first 2 shown]
	v_mov_b32_e32 v1, 0
	ds_read_b128 v[141:144], v1 offset:624
	ds_read_b128 v[145:148], v1 offset:640
	s_clause 0xa
	buffer_load_dword v137, off, s[0:3], 0 offset:300
	buffer_load_dword v135, off, s[0:3], 0 offset:308
	;; [unrolled: 1-line block ×11, first 2 shown]
	ds_read_b128 v[149:152], v1 offset:656
	ds_read_b128 v[153:156], v1 offset:672
	s_mov_b32 s4, exec_lo
	s_waitcnt vmcnt(38) lgkmcnt(3)
	v_mul_f32_e32 v164, v141, v2
	v_mul_f32_e32 v2, v142, v2
	s_waitcnt vmcnt(37)
	v_mul_f32_e32 v165, v143, v4
	v_mul_f32_e32 v4, v144, v4
	s_waitcnt vmcnt(36) lgkmcnt(2)
	v_mul_f32_e32 v166, v145, v6
	v_mul_f32_e32 v6, v146, v6
	s_waitcnt vmcnt(33)
	v_fmac_f32_e32 v164, v142, v8
	v_fma_f32 v8, v141, v8, -v2
	s_waitcnt vmcnt(32)
	v_mul_f32_e32 v167, v147, v7
	v_mul_f32_e32 v2, v148, v7
	v_fmac_f32_e32 v165, v144, v5
	v_fma_f32 v7, v143, v5, -v4
	v_fmac_f32_e32 v166, v146, v3
	v_fma_f32 v6, v145, v3, -v6
	s_waitcnt vmcnt(28)
	v_fmac_f32_e32 v167, v148, v124
	v_fma_f32 v124, v147, v124, -v2
	ds_read_b128 v[2:5], v1 offset:688
	ds_read_b128 v[141:144], v1 offset:704
	s_waitcnt vmcnt(27) lgkmcnt(3)
	v_mul_f32_e32 v145, v149, v123
	v_mul_f32_e32 v123, v150, v123
	s_waitcnt vmcnt(26)
	v_mul_f32_e32 v146, v151, v122
	v_mul_f32_e32 v122, v152, v122
	s_waitcnt vmcnt(24) lgkmcnt(2)
	v_mul_f32_e32 v148, v155, v120
	v_fmac_f32_e32 v145, v150, v119
	v_fma_f32 v123, v149, v119, -v123
	v_mul_f32_e32 v119, v156, v120
	v_mul_f32_e32 v147, v153, v121
	;; [unrolled: 1-line block ×3, first 2 shown]
	v_fmac_f32_e32 v146, v152, v118
	v_fma_f32 v122, v151, v118, -v122
	s_waitcnt vmcnt(20)
	v_fmac_f32_e32 v148, v156, v136
	v_fma_f32 v136, v155, v136, -v119
	s_clause 0x3
	buffer_load_dword v149, off, s[0:3], 0 offset:348
	buffer_load_dword v150, off, s[0:3], 0 offset:356
	;; [unrolled: 1-line block ×4, first 2 shown]
	v_fmac_f32_e32 v147, v154, v10
	v_fma_f32 v10, v153, v10, -v121
	s_clause 0x3
	buffer_load_dword v153, off, s[0:3], 0 offset:380
	buffer_load_dword v154, off, s[0:3], 0 offset:388
	;; [unrolled: 1-line block ×4, first 2 shown]
	s_waitcnt vmcnt(27) lgkmcnt(1)
	v_mul_f32_e32 v168, v2, v133
	v_mul_f32_e32 v118, v3, v133
	s_waitcnt vmcnt(26)
	v_mul_f32_e32 v133, v4, v131
	v_mul_f32_e32 v119, v5, v131
	s_waitcnt vmcnt(25) lgkmcnt(0)
	v_mul_f32_e32 v131, v141, v130
	v_fmac_f32_e32 v168, v3, v129
	v_fma_f32 v129, v2, v129, -v118
	v_mul_f32_e32 v118, v142, v130
	v_fmac_f32_e32 v133, v5, v127
	v_fma_f32 v127, v4, v127, -v119
	ds_read_b128 v[2:5], v1 offset:720
	s_waitcnt vmcnt(24)
	v_mul_f32_e32 v130, v143, v128
	v_mul_f32_e32 v119, v144, v128
	v_fma_f32 v141, v141, v125, -v118
	v_add_f32_e32 v118, 0, v164
	buffer_load_dword v169, off, s[0:3], 0 offset:412
	v_fmac_f32_e32 v131, v142, v125
	s_waitcnt vmcnt(21)
	v_fmac_f32_e32 v130, v144, v140
	v_fma_f32 v140, v143, v140, -v119
	s_clause 0x4
	buffer_load_dword v142, off, s[0:3], 0 offset:368
	buffer_load_dword v143, off, s[0:3], 0 offset:360
	;; [unrolled: 1-line block ×5, first 2 shown]
	v_add_f32_e32 v8, 0, v8
	v_add_f32_e32 v118, v118, v165
	;; [unrolled: 1-line block ×4, first 2 shown]
	ds_read_b128 v[118:121], v1 offset:736
	v_add_f32_e32 v6, v7, v6
	s_waitcnt vmcnt(25) lgkmcnt(1)
	v_mul_f32_e32 v7, v2, v139
	v_add_f32_e32 v8, v8, v167
	v_mul_f32_e32 v125, v3, v139
	v_fmac_f32_e32 v7, v3, v138
	v_add_f32_e32 v3, v8, v145
	s_clause 0x3
	buffer_load_dword v8, off, s[0:3], 0 offset:400
	buffer_load_dword v139, off, s[0:3], 0 offset:392
	;; [unrolled: 1-line block ×4, first 2 shown]
	v_fma_f32 v138, v2, v138, -v125
	v_add_f32_e32 v2, v6, v124
	v_add_f32_e32 v3, v3, v146
	s_clause 0x2
	buffer_load_dword v146, off, s[0:3], 0 offset:416
	buffer_load_dword v166, off, s[0:3], 0 offset:408
	;; [unrolled: 1-line block ×3, first 2 shown]
	v_add_f32_e32 v2, v2, v123
	v_add_f32_e32 v6, v3, v147
	s_waitcnt vmcnt(31)
	v_mul_f32_e32 v147, v4, v137
	v_mul_f32_e32 v3, v5, v137
	v_add_f32_e32 v2, v2, v122
	s_waitcnt vmcnt(30) lgkmcnt(0)
	v_mul_f32_e32 v128, v119, v135
	v_add_f32_e32 v6, v6, v148
	v_fmac_f32_e32 v147, v5, v134
	v_fma_f32 v134, v4, v134, -v3
	v_add_f32_e32 v10, v2, v10
	ds_read_b128 v[2:5], v1 offset:752
	ds_read_b128 v[122:125], v1 offset:768
	v_add_f32_e32 v6, v6, v168
	v_fma_f32 v137, v118, v126, -v128
	v_add_f32_e32 v10, v10, v136
	v_mul_f32_e32 v136, v118, v135
	s_waitcnt vmcnt(29)
	v_mul_f32_e32 v135, v120, v132
	v_add_f32_e32 v6, v6, v133
	v_add_f32_e32 v10, v10, v129
	v_mul_f32_e32 v129, v121, v132
	v_fmac_f32_e32 v136, v119, v126
	v_add_f32_e32 v6, v6, v131
	s_waitcnt vmcnt(22)
	v_fmac_f32_e32 v135, v121, v162
	v_add_f32_e32 v10, v10, v127
	v_fma_f32 v148, v120, v162, -v129
	ds_read_b128 v[118:121], v1 offset:784
	ds_read_b128 v[126:129], v1 offset:800
	v_add_f32_e32 v10, v10, v141
	s_waitcnt lgkmcnt(3)
	v_mul_f32_e32 v141, v2, v157
	v_mul_f32_e32 v132, v3, v157
	;; [unrolled: 1-line block ×3, first 2 shown]
	v_add_f32_e32 v10, v10, v140
	v_fmac_f32_e32 v141, v3, v11
	v_fma_f32 v11, v2, v11, -v132
	v_add_f32_e32 v2, v6, v130
	v_mul_f32_e32 v140, v5, v159
	v_add_f32_e32 v6, v10, v138
	v_fmac_f32_e32 v157, v5, v158
	ds_read_b128 v[130:133], v1 offset:816
	v_add_f32_e32 v138, v2, v7
	v_fma_f32 v10, v4, v158, -v140
	v_add_f32_e32 v134, v6, v134
	s_waitcnt lgkmcnt(3)
	v_mul_f32_e32 v140, v122, v160
	ds_read_b128 v[2:5], v1 offset:832
	v_add_f32_e32 v138, v138, v147
	ds_read_b64 v[6:7], v1 offset:848
	v_add_f32_e32 v134, v134, v137
	v_mul_f32_e32 v137, v123, v160
	v_fmac_f32_e32 v140, v123, v161
	v_add_f32_e32 v136, v138, v136
	v_add_f32_e32 v134, v134, v148
	v_fma_f32 v122, v122, v161, -v137
	v_add_f32_e32 v135, v136, v135
	v_add_f32_e32 v11, v134, v11
	;; [unrolled: 1-line block ×7, first 2 shown]
	s_waitcnt vmcnt(20)
	v_mul_f32_e32 v147, v124, v149
	v_mul_f32_e32 v149, v125, v149
	s_waitcnt vmcnt(19) lgkmcnt(4)
	v_mul_f32_e32 v141, v119, v150
	v_mul_f32_e32 v138, v118, v150
	s_waitcnt vmcnt(18)
	v_mul_f32_e32 v148, v120, v151
	s_waitcnt vmcnt(17) lgkmcnt(3)
	v_mul_f32_e32 v158, v126, v152
	s_waitcnt vmcnt(16)
	v_mul_f32_e32 v136, v128, v153
	s_waitcnt vmcnt(15) lgkmcnt(2)
	;; [unrolled: 4-line block ×3, first 2 shown]
	v_mul_f32_e32 v137, v2, v156
	s_waitcnt vmcnt(11)
	v_fmac_f32_e32 v158, v127, v142
	s_waitcnt vmcnt(10)
	v_fmac_f32_e32 v148, v121, v143
	s_waitcnt vmcnt(9)
	v_fma_f32 v118, v118, v144, -v141
	s_waitcnt vmcnt(8)
	v_fma_f32 v124, v124, v164, -v149
	v_fmac_f32_e32 v147, v125, v164
	v_mul_f32_e32 v125, v121, v151
	v_fmac_f32_e32 v138, v119, v144
	v_mul_f32_e32 v11, v4, v169
	v_add_f32_e32 v10, v10, v124
	v_add_f32_e32 v119, v122, v147
	v_mul_f32_e32 v122, v127, v152
	v_fma_f32 v120, v120, v143, -v125
	s_waitcnt vmcnt(7) lgkmcnt(0)
	v_mul_f32_e32 v150, v6, v170
	v_add_f32_e32 v10, v10, v118
	v_add_f32_e32 v118, v119, v138
	v_mul_f32_e32 v119, v129, v153
	v_fma_f32 v121, v126, v142, -v122
	v_add_f32_e32 v10, v10, v120
	v_add_f32_e32 v118, v118, v148
	v_mul_f32_e32 v120, v131, v154
	s_waitcnt vmcnt(5)
	v_fmac_f32_e32 v123, v133, v139
	s_waitcnt vmcnt(4)
	v_fmac_f32_e32 v134, v131, v145
	s_waitcnt vmcnt(3)
	v_fma_f32 v119, v128, v165, -v119
	v_add_f32_e32 v10, v10, v121
	v_fmac_f32_e32 v136, v129, v165
	v_add_f32_e32 v118, v118, v158
	v_mul_f32_e32 v121, v133, v155
	v_fma_f32 v120, v130, v145, -v120
	v_add_f32_e32 v10, v10, v119
	v_mul_f32_e32 v119, v3, v156
	v_add_f32_e32 v118, v118, v136
	v_fma_f32 v121, v132, v139, -v121
	v_fmac_f32_e32 v137, v3, v8
	v_add_f32_e32 v10, v10, v120
	v_mul_f32_e32 v120, v5, v169
	v_add_f32_e32 v118, v118, v134
	v_fma_f32 v2, v2, v8, -v119
	s_waitcnt vmcnt(1)
	v_fmac_f32_e32 v11, v5, v166
	v_add_f32_e32 v3, v10, v121
	v_mul_f32_e32 v10, v7, v170
	v_add_f32_e32 v8, v118, v123
	v_fma_f32 v4, v4, v166, -v120
	v_fmac_f32_e32 v150, v7, v146
	v_add_f32_e32 v2, v3, v2
	v_fma_f32 v5, v6, v146, -v10
	v_add_f32_e32 v3, v8, v137
	v_add_f32_e32 v2, v2, v4
	;; [unrolled: 1-line block ×5, first 2 shown]
	s_waitcnt vmcnt(0)
	v_sub_f32_e32 v2, v167, v2
	v_sub_f32_e32 v3, v163, v3
	buffer_store_dword v2, off, s[0:3], 0 offset:184
	buffer_store_dword v3, off, s[0:3], 0 offset:188
	v_cmpx_lt_u32_e32 22, v0
	s_cbranch_execz .LBB52_287
; %bb.286:
	s_clause 0x1
	buffer_load_dword v2, off, s[0:3], 0 offset:176
	buffer_load_dword v3, off, s[0:3], 0 offset:180
	buffer_store_dword v1, off, s[0:3], 0 offset:176
	buffer_store_dword v1, off, s[0:3], 0 offset:180
	s_waitcnt vmcnt(0)
	ds_write_b64 v9, v[2:3]
.LBB52_287:
	s_or_b32 exec_lo, exec_lo, s4
	s_waitcnt lgkmcnt(0)
	s_waitcnt_vscnt null, 0x0
	s_barrier
	buffer_gl0_inv
	s_clause 0x1b
	buffer_load_dword v3, off, s[0:3], 0 offset:188
	buffer_load_dword v4, off, s[0:3], 0 offset:196
	;; [unrolled: 1-line block ×28, first 2 shown]
	ds_read2_b64 v[139:142], v1 offset0:77 offset1:78
	ds_read2_b64 v[143:146], v1 offset0:79 offset1:80
	s_clause 0x1
	buffer_load_dword v135, off, s[0:3], 0 offset:292
	buffer_load_dword v132, off, s[0:3], 0 offset:300
	ds_read2_b64 v[147:150], v1 offset0:81 offset1:82
	ds_read2_b64 v[151:154], v1 offset0:83 offset1:84
	;; [unrolled: 1-line block ×3, first 2 shown]
	buffer_load_dword v159, off, s[0:3], 0 offset:180
	s_mov_b32 s4, exec_lo
	s_waitcnt vmcnt(30) lgkmcnt(4)
	v_mul_f32_e32 v160, v139, v3
	s_waitcnt vmcnt(29)
	v_mul_f32_e32 v161, v141, v4
	v_mul_f32_e32 v3, v140, v3
	;; [unrolled: 1-line block ×3, first 2 shown]
	s_waitcnt vmcnt(28) lgkmcnt(3)
	v_mul_f32_e32 v162, v143, v5
	v_mul_f32_e32 v5, v144, v5
	s_waitcnt vmcnt(24)
	v_fmac_f32_e32 v160, v140, v8
	v_fmac_f32_e32 v161, v142, v7
	v_fma_f32 v8, v139, v8, -v3
	v_fma_f32 v7, v141, v7, -v4
	s_clause 0x7
	buffer_load_dword v139, off, s[0:3], 0 offset:308
	buffer_load_dword v140, off, s[0:3], 0 offset:312
	buffer_load_dword v141, off, s[0:3], 0 offset:316
	buffer_load_dword v142, off, s[0:3], 0 offset:324
	buffer_load_dword v164, off, s[0:3], 0 offset:332
	buffer_load_dword v165, off, s[0:3], 0 offset:328
	buffer_load_dword v166, off, s[0:3], 0 offset:320
	buffer_load_dword v167, off, s[0:3], 0 offset:304
	v_fmac_f32_e32 v162, v144, v2
	v_fma_f32 v143, v143, v2, -v5
	ds_read2_b64 v[2:5], v1 offset0:87 offset1:88
	v_mul_f32_e32 v163, v145, v6
	v_mul_f32_e32 v6, v146, v6
	s_waitcnt vmcnt(26) lgkmcnt(3)
	v_mul_f32_e32 v144, v149, v122
	v_mul_f32_e32 v122, v150, v122
	v_add_f32_e32 v8, 0, v8
	v_fmac_f32_e32 v163, v146, v123
	v_fma_f32 v6, v145, v123, -v6
	v_mul_f32_e32 v123, v147, v121
	v_mul_f32_e32 v121, v148, v121
	s_waitcnt vmcnt(25) lgkmcnt(2)
	v_mul_f32_e32 v145, v151, v120
	v_mul_f32_e32 v120, v152, v120
	s_waitcnt vmcnt(24)
	v_mul_f32_e32 v146, v153, v119
	v_mul_f32_e32 v119, v154, v119
	v_fmac_f32_e32 v123, v148, v118
	v_fma_f32 v118, v147, v118, -v121
	v_fmac_f32_e32 v144, v150, v11
	v_fma_f32 v11, v149, v11, -v122
	s_waitcnt vmcnt(23) lgkmcnt(1)
	v_mul_f32_e32 v122, v155, v124
	s_waitcnt vmcnt(22)
	v_mul_f32_e32 v147, v157, v127
	v_mul_f32_e32 v121, v156, v124
	v_mul_f32_e32 v124, v158, v127
	v_fmac_f32_e32 v145, v152, v10
	v_fma_f32 v10, v151, v10, -v120
	s_waitcnt vmcnt(18)
	v_fmac_f32_e32 v146, v154, v134
	v_fma_f32 v127, v153, v134, -v119
	s_clause 0x7
	buffer_load_dword v148, off, s[0:3], 0 offset:340
	buffer_load_dword v149, off, s[0:3], 0 offset:344
	;; [unrolled: 1-line block ×8, first 2 shown]
	s_waitcnt vmcnt(25) lgkmcnt(0)
	v_mul_f32_e32 v119, v3, v129
	v_add_f32_e32 v120, 0, v160
	v_mul_f32_e32 v134, v2, v129
	s_waitcnt vmcnt(24)
	v_mul_f32_e32 v160, v4, v128
	v_fmac_f32_e32 v122, v156, v131
	v_fma_f32 v129, v2, v125, -v119
	v_mul_f32_e32 v2, v5, v128
	v_add_f32_e32 v119, v120, v161
	v_fmac_f32_e32 v147, v158, v130
	v_fma_f32 v131, v155, v131, -v121
	v_fma_f32 v130, v157, v130, -v124
	s_clause 0x5
	buffer_load_dword v155, off, s[0:3], 0 offset:372
	buffer_load_dword v156, off, s[0:3], 0 offset:380
	;; [unrolled: 1-line block ×6, first 2 shown]
	v_fmac_f32_e32 v134, v3, v125
	s_waitcnt vmcnt(26)
	v_fmac_f32_e32 v160, v5, v138
	v_fma_f32 v138, v4, v138, -v2
	ds_read2_b64 v[2:5], v1 offset0:89 offset1:90
	v_add_f32_e32 v7, v8, v7
	v_add_f32_e32 v8, v119, v162
	buffer_load_dword v161, off, s[0:3], 0 offset:420
	v_add_f32_e32 v7, v7, v143
	v_add_f32_e32 v8, v8, v163
	s_clause 0x3
	buffer_load_dword v143, off, s[0:3], 0 offset:392
	buffer_load_dword v162, off, s[0:3], 0 offset:384
	;; [unrolled: 1-line block ×4, first 2 shown]
	v_add_f32_e32 v6, v7, v6
	v_add_f32_e32 v7, v8, v123
	;; [unrolled: 1-line block ×4, first 2 shown]
	ds_read2_b64 v[118:121], v1 offset0:91 offset1:92
	s_waitcnt vmcnt(30) lgkmcnt(1)
	v_mul_f32_e32 v8, v2, v137
	v_mul_f32_e32 v123, v3, v137
	s_waitcnt vmcnt(29)
	v_mul_f32_e32 v137, v4, v135
	v_fmac_f32_e32 v8, v3, v136
	v_fma_f32 v136, v2, v136, -v123
	v_add_f32_e32 v2, v6, v11
	v_add_f32_e32 v3, v7, v145
	s_clause 0x2
	buffer_load_dword v6, off, s[0:3], 0 offset:416
	buffer_load_dword v7, off, s[0:3], 0 offset:408
	;; [unrolled: 1-line block ×3, first 2 shown]
	v_mul_f32_e32 v123, v5, v135
	v_fmac_f32_e32 v137, v5, v133
	v_add_f32_e32 v2, v2, v10
	buffer_load_dword v10, off, s[0:3], 0 offset:176
	v_add_f32_e32 v3, v3, v146
	v_fma_f32 v135, v4, v133, -v123
	v_add_f32_e32 v124, v2, v127
	s_waitcnt vmcnt(32) lgkmcnt(0)
	v_mul_f32_e32 v144, v118, v132
	v_add_f32_e32 v127, v3, v122
	ds_read2_b64 v[2:5], v1 offset0:93 offset1:94
	v_add_f32_e32 v128, v124, v131
	ds_read2_b64 v[122:125], v1 offset0:95 offset1:96
	v_add_f32_e32 v127, v127, v147
	v_mul_f32_e32 v131, v119, v132
	v_fmac_f32_e32 v144, v119, v126
	v_add_f32_e32 v128, v128, v130
	s_waitcnt vmcnt(30)
	v_mul_f32_e32 v130, v121, v139
	v_mul_f32_e32 v145, v120, v139
	v_fma_f32 v139, v118, v126, -v131
	v_add_f32_e32 v131, v127, v134
	s_waitcnt vmcnt(28) lgkmcnt(1)
	v_mul_f32_e32 v147, v2, v141
	v_mul_f32_e32 v132, v3, v141
	s_waitcnt vmcnt(27)
	v_mul_f32_e32 v133, v5, v142
	s_waitcnt vmcnt(23)
	v_fma_f32 v146, v120, v167, -v130
	v_add_f32_e32 v130, v128, v129
	v_add_f32_e32 v131, v131, v160
	s_waitcnt lgkmcnt(0)
	v_mul_f32_e32 v134, v123, v164
	v_fmac_f32_e32 v145, v121, v167
	ds_read2_b64 v[118:121], v1 offset0:97 offset1:98
	ds_read2_b64 v[126:129], v1 offset0:99 offset1:100
	v_add_f32_e32 v130, v130, v138
	v_add_f32_e32 v8, v131, v8
	v_mul_f32_e32 v138, v4, v142
	v_mul_f32_e32 v141, v122, v164
	v_fmac_f32_e32 v147, v3, v140
	v_add_f32_e32 v136, v130, v136
	v_add_f32_e32 v8, v8, v137
	v_fmac_f32_e32 v138, v5, v166
	v_fma_f32 v140, v2, v140, -v132
	v_fma_f32 v142, v4, v166, -v133
	v_add_f32_e32 v160, v136, v135
	ds_read2_b64 v[2:5], v1 offset0:101 offset1:102
	ds_read2_b64 v[130:133], v1 offset0:103 offset1:104
	v_fma_f32 v122, v122, v165, -v134
	ds_read2_b64 v[134:137], v1 offset0:105 offset1:106
	v_add_f32_e32 v8, v8, v144
	v_add_f32_e32 v1, v160, v139
	s_waitcnt vmcnt(22)
	v_mul_f32_e32 v139, v125, v148
	v_fmac_f32_e32 v141, v123, v165
	v_mul_f32_e32 v123, v124, v148
	v_add_f32_e32 v8, v8, v145
	v_add_f32_e32 v1, v1, v146
	s_waitcnt vmcnt(20) lgkmcnt(4)
	v_mul_f32_e32 v146, v119, v150
	v_mul_f32_e32 v144, v118, v150
	s_waitcnt vmcnt(15)
	v_fma_f32 v124, v124, v168, -v139
	v_add_f32_e32 v8, v8, v147
	v_add_f32_e32 v1, v1, v140
	v_fmac_f32_e32 v123, v125, v168
	v_fma_f32 v118, v118, v149, -v146
	v_mul_f32_e32 v145, v120, v151
	v_add_f32_e32 v8, v8, v138
	v_add_f32_e32 v1, v1, v142
	v_mul_f32_e32 v138, v121, v151
	v_fmac_f32_e32 v144, v119, v149
	s_waitcnt lgkmcnt(3)
	v_mul_f32_e32 v119, v127, v152
	v_add_f32_e32 v8, v8, v141
	v_add_f32_e32 v1, v1, v122
	v_fma_f32 v120, v120, v154, -v138
	v_mul_f32_e32 v125, v126, v152
	v_fmac_f32_e32 v145, v121, v154
	v_add_f32_e32 v8, v8, v123
	v_add_f32_e32 v1, v1, v124
	v_fma_f32 v119, v126, v153, -v119
	s_waitcnt vmcnt(14)
	v_mul_f32_e32 v139, v128, v155
	v_fmac_f32_e32 v125, v127, v153
	v_add_f32_e32 v8, v8, v144
	v_add_f32_e32 v1, v1, v118
	v_mul_f32_e32 v118, v129, v155
	s_waitcnt vmcnt(13) lgkmcnt(2)
	v_mul_f32_e32 v140, v2, v156
	s_waitcnt vmcnt(4)
	v_fmac_f32_e32 v139, v129, v171
	v_add_f32_e32 v8, v8, v145
	v_add_f32_e32 v1, v1, v120
	v_mul_f32_e32 v120, v3, v156
	v_fma_f32 v118, v128, v171, -v118
	v_mul_f32_e32 v147, v4, v157
	v_add_f32_e32 v8, v8, v125
	v_add_f32_e32 v1, v1, v119
	v_mul_f32_e32 v119, v5, v157
	v_fma_f32 v2, v2, v163, -v120
	v_fmac_f32_e32 v140, v3, v163
	v_add_f32_e32 v3, v8, v139
	v_add_f32_e32 v1, v1, v118
	s_waitcnt lgkmcnt(1)
	v_mul_f32_e32 v8, v131, v158
	v_fma_f32 v4, v4, v162, -v119
	v_mul_f32_e32 v148, v130, v158
	v_fmac_f32_e32 v147, v5, v162
	v_add_f32_e32 v1, v1, v2
	v_add_f32_e32 v2, v3, v140
	v_mul_f32_e32 v3, v133, v169
	v_fma_f32 v5, v130, v143, -v8
	v_mul_f32_e32 v142, v132, v169
	v_add_f32_e32 v1, v1, v4
	v_fmac_f32_e32 v148, v131, v143
	v_add_f32_e32 v2, v2, v147
	s_waitcnt lgkmcnt(0)
	v_mul_f32_e32 v4, v135, v170
	s_waitcnt vmcnt(1)
	v_fma_f32 v3, v132, v11, -v3
	v_add_f32_e32 v1, v1, v5
	v_mul_f32_e32 v150, v134, v170
	v_fmac_f32_e32 v142, v133, v11
	v_add_f32_e32 v2, v2, v148
	v_mul_f32_e32 v5, v137, v161
	v_fma_f32 v4, v134, v7, -v4
	v_add_f32_e32 v1, v1, v3
	v_mul_f32_e32 v122, v136, v161
	v_fmac_f32_e32 v150, v135, v7
	v_add_f32_e32 v2, v2, v142
	v_fma_f32 v3, v136, v6, -v5
	v_add_f32_e32 v1, v1, v4
	v_fmac_f32_e32 v122, v137, v6
	v_add_f32_e32 v2, v2, v150
	v_add_f32_e32 v1, v1, v3
	;; [unrolled: 1-line block ×3, first 2 shown]
	s_waitcnt vmcnt(0)
	v_sub_f32_e32 v1, v10, v1
	v_sub_f32_e32 v2, v159, v2
	buffer_store_dword v1, off, s[0:3], 0 offset:176
	buffer_store_dword v2, off, s[0:3], 0 offset:180
	v_cmpx_lt_u32_e32 21, v0
	s_cbranch_execz .LBB52_289
; %bb.288:
	s_clause 0x1
	buffer_load_dword v1, off, s[0:3], 0 offset:168
	buffer_load_dword v2, off, s[0:3], 0 offset:172
	v_mov_b32_e32 v3, 0
	buffer_store_dword v3, off, s[0:3], 0 offset:168
	buffer_store_dword v3, off, s[0:3], 0 offset:172
	s_waitcnt vmcnt(0)
	ds_write_b64 v9, v[1:2]
.LBB52_289:
	s_or_b32 exec_lo, exec_lo, s4
	s_waitcnt lgkmcnt(0)
	s_waitcnt_vscnt null, 0x0
	s_barrier
	buffer_gl0_inv
	s_clause 0x23
	buffer_load_dword v3, off, s[0:3], 0 offset:180
	buffer_load_dword v4, off, s[0:3], 0 offset:188
	;; [unrolled: 1-line block ×36, first 2 shown]
	v_mov_b32_e32 v1, 0
	ds_read_b128 v[140:143], v1 offset:608
	ds_read_b128 v[144:147], v1 offset:624
	;; [unrolled: 1-line block ×3, first 2 shown]
	s_clause 0x3
	buffer_load_dword v161, off, s[0:3], 0 offset:308
	buffer_load_dword v162, off, s[0:3], 0 offset:316
	buffer_load_dword v163, off, s[0:3], 0 offset:332
	buffer_load_dword v164, off, s[0:3], 0 offset:172
	ds_read_b128 v[152:155], v1 offset:656
	s_mov_b32 s4, exec_lo
	s_waitcnt vmcnt(39) lgkmcnt(3)
	v_mul_f32_e32 v165, v140, v3
	v_mul_f32_e32 v3, v141, v3
	s_waitcnt vmcnt(38)
	v_mul_f32_e32 v166, v142, v4
	v_mul_f32_e32 v4, v143, v4
	s_waitcnt vmcnt(35)
	v_fmac_f32_e32 v165, v141, v10
	v_fma_f32 v10, v140, v10, -v3
	s_waitcnt vmcnt(34) lgkmcnt(2)
	v_mul_f32_e32 v167, v144, v8
	v_mul_f32_e32 v3, v145, v8
	v_fmac_f32_e32 v166, v143, v5
	v_fma_f32 v8, v142, v5, -v4
	ds_read_b128 v[140:143], v1 offset:672
	s_waitcnt vmcnt(33)
	v_mul_f32_e32 v168, v146, v6
	v_mul_f32_e32 v4, v147, v6
	v_fmac_f32_e32 v167, v145, v2
	v_fma_f32 v6, v144, v2, -v3
	s_waitcnt vmcnt(32) lgkmcnt(2)
	v_mul_f32_e32 v169, v148, v7
	s_waitcnt vmcnt(28)
	v_fmac_f32_e32 v168, v147, v123
	v_fma_f32 v123, v146, v123, -v4
	ds_read_b128 v[2:5], v1 offset:688
	v_mul_f32_e32 v7, v149, v7
	s_waitcnt vmcnt(27)
	v_mul_f32_e32 v170, v150, v122
	v_mul_f32_e32 v122, v151, v122
	v_fmac_f32_e32 v169, v149, v121
	s_waitcnt vmcnt(25) lgkmcnt(2)
	v_mul_f32_e32 v149, v154, v120
	v_fma_f32 v7, v148, v121, -v7
	v_mul_f32_e32 v148, v152, v119
	v_fmac_f32_e32 v170, v151, v118
	v_fma_f32 v122, v150, v118, -v122
	v_mul_f32_e32 v118, v153, v119
	v_mul_f32_e32 v119, v155, v120
	s_waitcnt vmcnt(19) lgkmcnt(1)
	v_mul_f32_e32 v151, v142, v130
	v_mul_f32_e32 v130, v143, v130
	;; [unrolled: 1-line block ×4, first 2 shown]
	v_fmac_f32_e32 v148, v153, v11
	v_fmac_f32_e32 v149, v155, v131
	v_fma_f32 v11, v152, v11, -v118
	v_fma_f32 v131, v154, v131, -v119
	ds_read_b128 v[118:121], v1 offset:704
	ds_read_b128 v[144:147], v1 offset:720
	v_fmac_f32_e32 v151, v143, v126
	v_fma_f32 v126, v142, v126, -v130
	s_waitcnt vmcnt(17) lgkmcnt(2)
	v_mul_f32_e32 v130, v4, v127
	v_mul_f32_e32 v127, v5, v127
	v_fmac_f32_e32 v150, v141, v128
	v_fma_f32 v124, v140, v128, -v124
	v_mul_f32_e32 v128, v2, v129
	s_waitcnt vmcnt(13)
	v_fmac_f32_e32 v130, v5, v139
	v_fma_f32 v127, v4, v139, -v127
	s_clause 0x6
	buffer_load_dword v139, off, s[0:3], 0 offset:328
	buffer_load_dword v140, off, s[0:3], 0 offset:340
	;; [unrolled: 1-line block ×7, first 2 shown]
	v_mul_f32_e32 v129, v3, v129
	v_fmac_f32_e32 v128, v3, v125
	v_fma_f32 v125, v2, v125, -v129
	s_waitcnt vmcnt(19) lgkmcnt(1)
	v_mul_f32_e32 v154, v118, v138
	v_mul_f32_e32 v2, v119, v138
	s_waitcnt vmcnt(18)
	v_mul_f32_e32 v138, v120, v137
	v_mul_f32_e32 v3, v121, v137
	s_waitcnt vmcnt(17) lgkmcnt(0)
	v_mul_f32_e32 v137, v144, v135
	v_fmac_f32_e32 v154, v119, v134
	v_fma_f32 v134, v118, v134, -v2
	s_waitcnt vmcnt(16)
	v_mul_f32_e32 v2, v147, v136
	v_mul_f32_e32 v4, v145, v135
	v_mul_f32_e32 v173, v146, v136
	v_fmac_f32_e32 v137, v145, v132
	s_clause 0x3
	buffer_load_dword v135, off, s[0:3], 0 offset:364
	buffer_load_dword v155, off, s[0:3], 0 offset:372
	;; [unrolled: 1-line block ×4, first 2 shown]
	s_waitcnt vmcnt(15)
	v_fma_f32 v145, v146, v160, -v2
	v_add_f32_e32 v2, 0, v165
	v_fma_f32 v132, v144, v132, -v4
	s_clause 0x1
	buffer_load_dword v136, off, s[0:3], 0 offset:396
	buffer_load_dword v144, off, s[0:3], 0 offset:404
	v_fmac_f32_e32 v173, v147, v160
	s_clause 0x1
	buffer_load_dword v146, off, s[0:3], 0 offset:412
	buffer_load_dword v147, off, s[0:3], 0 offset:420
	v_add_f32_e32 v2, v2, v166
	s_clause 0x3
	buffer_load_dword v160, off, s[0:3], 0 offset:384
	buffer_load_dword v165, off, s[0:3], 0 offset:376
	;; [unrolled: 1-line block ×4, first 2 shown]
	v_fmac_f32_e32 v138, v121, v133
	v_fma_f32 v133, v120, v133, -v3
	v_add_f32_e32 v3, 0, v10
	v_add_f32_e32 v2, v2, v167
	;; [unrolled: 1-line block ×4, first 2 shown]
	s_clause 0x4
	buffer_load_dword v8, off, s[0:3], 0 offset:416
	buffer_load_dword v10, off, s[0:3], 0 offset:408
	;; [unrolled: 1-line block ×5, first 2 shown]
	ds_read_b128 v[118:121], v1 offset:752
	v_add_f32_e32 v3, v3, v6
	v_add_f32_e32 v2, v2, v169
	v_add_f32_e32 v3, v3, v123
	v_add_f32_e32 v6, v2, v170
	v_add_f32_e32 v3, v3, v7
	v_add_f32_e32 v6, v6, v148
	v_add_f32_e32 v7, v3, v122
	ds_read_b128 v[2:5], v1 offset:736
	v_add_f32_e32 v6, v6, v149
	v_add_f32_e32 v7, v7, v11
	;; [unrolled: 1-line block ×5, first 2 shown]
	s_waitcnt vmcnt(25) lgkmcnt(1)
	v_mul_f32_e32 v151, v120, v163
	v_add_f32_e32 v7, v7, v124
	v_add_f32_e32 v6, v6, v128
	;; [unrolled: 1-line block ×3, first 2 shown]
	s_waitcnt lgkmcnt(0)
	v_mul_f32_e32 v11, v2, v161
	v_mul_f32_e32 v122, v3, v161
	v_add_f32_e32 v6, v6, v130
	v_mul_f32_e32 v148, v4, v162
	v_mul_f32_e32 v123, v5, v162
	v_fmac_f32_e32 v11, v3, v159
	v_add_f32_e32 v3, v7, v125
	v_add_f32_e32 v6, v6, v154
	v_mul_f32_e32 v154, v121, v163
	v_fma_f32 v149, v2, v159, -v122
	v_fmac_f32_e32 v148, v5, v158
	v_add_f32_e32 v7, v3, v127
	v_add_f32_e32 v6, v6, v138
	v_fma_f32 v150, v4, v158, -v123
	ds_read_b128 v[2:5], v1 offset:768
	ds_read_b128 v[122:125], v1 offset:784
	v_mul_f32_e32 v130, v119, v157
	v_add_f32_e32 v7, v7, v134
	v_add_f32_e32 v137, v6, v137
	v_mul_f32_e32 v134, v118, v157
	ds_read_b128 v[126:129], v1 offset:800
	v_add_f32_e32 v7, v7, v133
	v_add_f32_e32 v137, v137, v173
	v_fmac_f32_e32 v134, v119, v156
	v_fma_f32 v156, v118, v156, -v130
	v_add_f32_e32 v7, v7, v132
	v_add_f32_e32 v11, v137, v11
	ds_read_b128 v[130:133], v1 offset:816
	v_add_f32_e32 v11, v11, v148
	v_add_f32_e32 v11, v11, v134
	s_waitcnt vmcnt(23)
	v_fmac_f32_e32 v151, v121, v139
	v_fma_f32 v138, v120, v139, -v154
	v_add_f32_e32 v139, v7, v145
	s_waitcnt vmcnt(22) lgkmcnt(3)
	v_mul_f32_e32 v145, v2, v140
	v_mul_f32_e32 v140, v3, v140
	s_waitcnt vmcnt(21)
	v_mul_f32_e32 v154, v4, v141
	v_mul_f32_e32 v141, v5, v141
	v_add_f32_e32 v139, v139, v149
	s_waitcnt vmcnt(17)
	v_fmac_f32_e32 v145, v3, v153
	v_fma_f32 v2, v2, v153, -v140
	v_add_f32_e32 v11, v11, v151
	s_waitcnt lgkmcnt(2)
	v_mul_f32_e32 v140, v123, v142
	v_add_f32_e32 v139, v139, v150
	v_fma_f32 v4, v4, v152, -v141
	v_mul_f32_e32 v137, v122, v142
	v_fmac_f32_e32 v154, v5, v152
	v_add_f32_e32 v5, v11, v145
	v_add_f32_e32 v139, v139, v156
	v_fma_f32 v122, v122, v143, -v140
	v_fmac_f32_e32 v137, v123, v143
	ds_read_b128 v[118:121], v1 offset:832
	ds_read_b64 v[6:7], v1 offset:848
	v_add_f32_e32 v138, v139, v138
	s_waitcnt vmcnt(16)
	v_mul_f32_e32 v11, v125, v135
	v_mul_f32_e32 v149, v124, v135
	s_waitcnt vmcnt(15) lgkmcnt(3)
	v_mul_f32_e32 v150, v126, v155
	s_waitcnt vmcnt(14)
	v_mul_f32_e32 v148, v128, v171
	v_add_f32_e32 v2, v138, v2
	s_waitcnt vmcnt(13) lgkmcnt(2)
	v_mul_f32_e32 v156, v130, v172
	s_waitcnt vmcnt(12)
	v_mul_f32_e32 v3, v132, v136
	v_add_f32_e32 v2, v2, v4
	v_add_f32_e32 v4, v5, v154
	v_mul_f32_e32 v5, v127, v155
	s_waitcnt vmcnt(5)
	v_fma_f32 v11, v124, v174, -v11
	v_fmac_f32_e32 v149, v125, v174
	v_add_f32_e32 v2, v2, v122
	v_add_f32_e32 v4, v4, v137
	v_mul_f32_e32 v122, v129, v171
	v_fma_f32 v5, v126, v166, -v5
	v_fmac_f32_e32 v150, v127, v166
	v_add_f32_e32 v2, v2, v11
	v_add_f32_e32 v4, v4, v149
	v_mul_f32_e32 v11, v131, v172
	;; [unrolled: 5-line block ×3, first 2 shown]
	v_fma_f32 v11, v130, v160, -v11
	v_fmac_f32_e32 v156, v131, v160
	v_add_f32_e32 v2, v2, v122
	v_add_f32_e32 v4, v4, v148
	s_waitcnt lgkmcnt(1)
	v_mul_f32_e32 v122, v119, v144
	s_waitcnt vmcnt(1)
	v_fma_f32 v5, v132, v168, -v5
	v_mul_f32_e32 v134, v118, v144
	v_add_f32_e32 v2, v2, v11
	v_fmac_f32_e32 v3, v133, v168
	v_add_f32_e32 v4, v4, v156
	v_mul_f32_e32 v11, v121, v146
	v_fma_f32 v118, v118, v167, -v122
	v_add_f32_e32 v2, v2, v5
	v_mul_f32_e32 v139, v120, v146
	v_fmac_f32_e32 v134, v119, v167
	v_add_f32_e32 v3, v4, v3
	s_waitcnt lgkmcnt(0)
	v_mul_f32_e32 v4, v7, v147
	v_fma_f32 v5, v120, v10, -v11
	v_add_f32_e32 v2, v2, v118
	v_mul_f32_e32 v142, v6, v147
	v_fmac_f32_e32 v139, v121, v10
	v_add_f32_e32 v3, v3, v134
	v_fma_f32 v4, v6, v8, -v4
	v_add_f32_e32 v2, v2, v5
	v_fmac_f32_e32 v142, v7, v8
	v_add_f32_e32 v3, v3, v139
	v_add_f32_e32 v2, v2, v4
	v_add_f32_e32 v3, v3, v142
	s_waitcnt vmcnt(0)
	v_sub_f32_e32 v2, v175, v2
	v_sub_f32_e32 v3, v164, v3
	buffer_store_dword v2, off, s[0:3], 0 offset:168
	buffer_store_dword v3, off, s[0:3], 0 offset:172
	v_cmpx_lt_u32_e32 20, v0
	s_cbranch_execz .LBB52_291
; %bb.290:
	s_clause 0x1
	buffer_load_dword v2, off, s[0:3], 0 offset:160
	buffer_load_dword v3, off, s[0:3], 0 offset:164
	buffer_store_dword v1, off, s[0:3], 0 offset:160
	buffer_store_dword v1, off, s[0:3], 0 offset:164
	s_waitcnt vmcnt(0)
	ds_write_b64 v9, v[2:3]
.LBB52_291:
	s_or_b32 exec_lo, exec_lo, s4
	s_waitcnt lgkmcnt(0)
	s_waitcnt_vscnt null, 0x0
	s_barrier
	buffer_gl0_inv
	s_clause 0x23
	buffer_load_dword v3, off, s[0:3], 0 offset:172
	buffer_load_dword v4, off, s[0:3], 0 offset:180
	;; [unrolled: 1-line block ×36, first 2 shown]
	ds_read2_b64 v[140:143], v1 offset0:75 offset1:76
	ds_read2_b64 v[144:147], v1 offset0:77 offset1:78
	s_clause 0x1
	buffer_load_dword v161, off, s[0:3], 0 offset:300
	buffer_load_dword v162, off, s[0:3], 0 offset:308
	ds_read2_b64 v[148:151], v1 offset0:79 offset1:80
	ds_read2_b64 v[152:155], v1 offset0:81 offset1:82
	buffer_load_dword v163, off, s[0:3], 0 offset:164
	s_mov_b32 s4, exec_lo
	s_waitcnt vmcnt(38) lgkmcnt(3)
	v_mul_f32_e32 v164, v140, v3
	v_mul_f32_e32 v3, v141, v3
	s_waitcnt vmcnt(37)
	v_mul_f32_e32 v165, v142, v4
	v_mul_f32_e32 v4, v143, v4
	s_waitcnt vmcnt(36) lgkmcnt(2)
	v_mul_f32_e32 v166, v144, v5
	s_waitcnt vmcnt(33)
	v_fmac_f32_e32 v164, v141, v8
	v_fma_f32 v8, v140, v8, -v3
	s_waitcnt vmcnt(32)
	v_mul_f32_e32 v167, v146, v7
	v_mul_f32_e32 v3, v145, v5
	;; [unrolled: 1-line block ×3, first 2 shown]
	v_fmac_f32_e32 v165, v143, v6
	v_fma_f32 v6, v142, v6, -v4
	v_fmac_f32_e32 v166, v145, v2
	s_waitcnt vmcnt(28)
	v_fmac_f32_e32 v167, v147, v123
	v_fma_f32 v7, v144, v2, -v3
	v_fma_f32 v123, v146, v123, -v5
	ds_read2_b64 v[2:5], v1 offset0:83 offset1:84
	ds_read2_b64 v[140:143], v1 offset0:85 offset1:86
	s_waitcnt vmcnt(27) lgkmcnt(3)
	v_mul_f32_e32 v168, v148, v122
	s_waitcnt vmcnt(26)
	v_mul_f32_e32 v169, v150, v121
	v_mul_f32_e32 v121, v151, v121
	;; [unrolled: 1-line block ×3, first 2 shown]
	s_waitcnt vmcnt(25) lgkmcnt(2)
	v_mul_f32_e32 v170, v152, v119
	v_fmac_f32_e32 v168, v149, v118
	v_fmac_f32_e32 v169, v151, v11
	v_fma_f32 v11, v150, v11, -v121
	v_fma_f32 v122, v148, v118, -v122
	s_waitcnt vmcnt(24)
	v_mul_f32_e32 v148, v154, v120
	v_mul_f32_e32 v118, v153, v119
	;; [unrolled: 1-line block ×3, first 2 shown]
	v_fmac_f32_e32 v170, v153, v10
	s_waitcnt vmcnt(20)
	v_fmac_f32_e32 v148, v155, v131
	v_fma_f32 v10, v152, v10, -v118
	v_fma_f32 v131, v154, v131, -v119
	ds_read2_b64 v[118:121], v1 offset0:87 offset1:88
	ds_read2_b64 v[144:147], v1 offset0:89 offset1:90
	s_waitcnt vmcnt(19) lgkmcnt(3)
	v_mul_f32_e32 v149, v2, v129
	s_waitcnt vmcnt(18)
	v_mul_f32_e32 v150, v4, v130
	v_mul_f32_e32 v129, v3, v129
	;; [unrolled: 1-line block ×3, first 2 shown]
	buffer_load_dword v151, off, s[0:3], 0 offset:324
	v_fmac_f32_e32 v149, v3, v128
	v_fmac_f32_e32 v150, v5, v127
	v_fma_f32 v128, v2, v128, -v129
	v_fma_f32 v127, v4, v127, -v130
	s_waitcnt vmcnt(18) lgkmcnt(2)
	v_mul_f32_e32 v130, v140, v126
	v_mul_f32_e32 v2, v141, v126
	s_clause 0x3
	buffer_load_dword v152, off, s[0:3], 0 offset:344
	buffer_load_dword v153, off, s[0:3], 0 offset:336
	;; [unrolled: 1-line block ×4, first 2 shown]
	s_waitcnt vmcnt(21)
	v_mul_f32_e32 v126, v142, v125
	v_mul_f32_e32 v3, v143, v125
	v_fmac_f32_e32 v130, v141, v124
	v_fma_f32 v124, v140, v124, -v2
	buffer_load_dword v140, off, s[0:3], 0 offset:332
	s_waitcnt vmcnt(18)
	v_fmac_f32_e32 v126, v143, v139
	s_waitcnt vmcnt(17) lgkmcnt(1)
	v_mul_f32_e32 v143, v118, v137
	v_mul_f32_e32 v2, v119, v137
	v_fma_f32 v139, v142, v139, -v3
	s_clause 0x1
	buffer_load_dword v141, off, s[0:3], 0 offset:340
	buffer_load_dword v142, off, s[0:3], 0 offset:348
	s_waitcnt vmcnt(18)
	v_mul_f32_e32 v155, v120, v138
	v_mul_f32_e32 v3, v121, v138
	v_fmac_f32_e32 v143, v119, v135
	v_fma_f32 v135, v118, v135, -v2
	s_waitcnt vmcnt(16) lgkmcnt(0)
	v_mul_f32_e32 v2, v147, v134
	v_mul_f32_e32 v137, v144, v136
	;; [unrolled: 1-line block ×3, first 2 shown]
	v_fmac_f32_e32 v155, v121, v133
	v_fma_f32 v133, v120, v133, -v3
	v_mul_f32_e32 v136, v146, v134
	s_waitcnt vmcnt(11)
	v_fma_f32 v134, v146, v160, -v2
	v_add_f32_e32 v2, 0, v164
	v_add_f32_e32 v3, 0, v8
	s_clause 0x3
	buffer_load_dword v138, off, s[0:3], 0 offset:356
	buffer_load_dword v171, off, s[0:3], 0 offset:364
	;; [unrolled: 1-line block ×4, first 2 shown]
	v_fmac_f32_e32 v137, v145, v132
	v_fma_f32 v132, v144, v132, -v4
	s_clause 0x1
	buffer_load_dword v144, off, s[0:3], 0 offset:388
	buffer_load_dword v145, off, s[0:3], 0 offset:396
	v_fmac_f32_e32 v136, v147, v160
	s_clause 0x2
	buffer_load_dword v146, off, s[0:3], 0 offset:404
	buffer_load_dword v147, off, s[0:3], 0 offset:412
	buffer_load_dword v8, off, s[0:3], 0 offset:420
	v_add_f32_e32 v2, v2, v165
	v_add_f32_e32 v3, v3, v6
	s_clause 0x3
	buffer_load_dword v6, off, s[0:3], 0 offset:376
	buffer_load_dword v160, off, s[0:3], 0 offset:368
	buffer_load_dword v164, off, s[0:3], 0 offset:360
	buffer_load_dword v165, off, s[0:3], 0 offset:352
	v_add_f32_e32 v2, v2, v166
	v_add_f32_e32 v3, v3, v7
	;; [unrolled: 1-line block ×3, first 2 shown]
	s_clause 0x4
	buffer_load_dword v7, off, s[0:3], 0 offset:408
	buffer_load_dword v166, off, s[0:3], 0 offset:400
	;; [unrolled: 1-line block ×5, first 2 shown]
	v_add_f32_e32 v3, v3, v123
	ds_read2_b64 v[118:121], v1 offset0:93 offset1:94
	v_add_f32_e32 v2, v2, v168
	buffer_load_dword v168, off, s[0:3], 0 offset:416
	v_add_f32_e32 v3, v3, v122
	v_add_f32_e32 v2, v2, v169
	v_add_f32_e32 v3, v3, v11
	v_add_f32_e32 v11, v2, v170
	v_add_f32_e32 v10, v3, v10
	ds_read2_b64 v[2:5], v1 offset0:91 offset1:92
	v_add_f32_e32 v11, v11, v148
	v_add_f32_e32 v10, v10, v131
	;; [unrolled: 1-line block ×8, first 2 shown]
	s_waitcnt vmcnt(29) lgkmcnt(0)
	v_mul_f32_e32 v148, v2, v161
	v_mul_f32_e32 v122, v3, v161
	s_waitcnt vmcnt(28)
	v_mul_f32_e32 v149, v4, v162
	v_mul_f32_e32 v123, v5, v162
	v_add_f32_e32 v10, v10, v139
	v_fmac_f32_e32 v148, v3, v159
	v_fma_f32 v150, v2, v159, -v122
	v_fmac_f32_e32 v149, v5, v158
	v_fma_f32 v158, v4, v158, -v123
	ds_read2_b64 v[2:5], v1 offset0:95 offset1:96
	ds_read2_b64 v[122:125], v1 offset0:97 offset1:98
	v_add_f32_e32 v11, v11, v126
	v_add_f32_e32 v10, v10, v135
	v_mul_f32_e32 v159, v118, v157
	v_mul_f32_e32 v126, v119, v157
	v_add_f32_e32 v11, v11, v143
	v_add_f32_e32 v10, v10, v133
	v_fmac_f32_e32 v159, v119, v156
	v_fma_f32 v143, v118, v156, -v126
	v_add_f32_e32 v11, v11, v155
	v_add_f32_e32 v10, v10, v132
	;; [unrolled: 1-line block ×5, first 2 shown]
	s_waitcnt vmcnt(26)
	v_mul_f32_e32 v139, v120, v151
	v_mul_f32_e32 v127, v121, v151
	s_waitcnt vmcnt(22)
	v_fmac_f32_e32 v139, v121, v129
	v_fma_f32 v151, v120, v129, -v127
	ds_read2_b64 v[118:121], v1 offset0:99 offset1:100
	ds_read2_b64 v[126:129], v1 offset0:101 offset1:102
	ds_read2_b64 v[130:133], v1 offset0:103 offset1:104
	s_waitcnt vmcnt(21) lgkmcnt(4)
	v_mul_f32_e32 v135, v3, v140
	v_mul_f32_e32 v155, v2, v140
	v_fma_f32 v2, v2, v154, -v135
	ds_read2_b64 v[134:137], v1 offset0:105 offset1:106
	v_add_f32_e32 v1, v10, v150
	v_fmac_f32_e32 v155, v3, v154
	v_add_f32_e32 v3, v11, v148
	s_waitcnt vmcnt(20)
	v_mul_f32_e32 v11, v5, v141
	v_mul_f32_e32 v10, v4, v141
	v_add_f32_e32 v1, v1, v158
	s_waitcnt vmcnt(19) lgkmcnt(4)
	v_mul_f32_e32 v140, v122, v142
	v_add_f32_e32 v3, v3, v149
	v_mul_f32_e32 v142, v123, v142
	v_fma_f32 v4, v4, v153, -v11
	v_add_f32_e32 v1, v1, v143
	v_fmac_f32_e32 v10, v5, v153
	v_add_f32_e32 v3, v3, v159
	s_waitcnt vmcnt(18)
	v_mul_f32_e32 v141, v124, v138
	v_mul_f32_e32 v138, v125, v138
	v_add_f32_e32 v1, v1, v151
	v_fma_f32 v122, v122, v152, -v142
	v_add_f32_e32 v3, v3, v139
	v_fmac_f32_e32 v140, v123, v152
	s_waitcnt vmcnt(17) lgkmcnt(3)
	v_mul_f32_e32 v5, v118, v171
	v_add_f32_e32 v1, v1, v2
	s_waitcnt vmcnt(6)
	v_fmac_f32_e32 v141, v125, v165
	v_add_f32_e32 v2, v3, v155
	v_mul_f32_e32 v11, v120, v172
	v_fmac_f32_e32 v5, v119, v164
	v_add_f32_e32 v1, v1, v4
	v_mul_f32_e32 v4, v119, v171
	v_add_f32_e32 v2, v2, v10
	v_fma_f32 v10, v124, v165, -v138
	s_waitcnt lgkmcnt(2)
	v_mul_f32_e32 v143, v126, v173
	v_add_f32_e32 v1, v1, v122
	v_mul_f32_e32 v122, v121, v172
	v_add_f32_e32 v2, v2, v140
	v_fma_f32 v4, v118, v164, -v4
	v_fmac_f32_e32 v11, v121, v160
	v_add_f32_e32 v1, v1, v10
	v_mul_f32_e32 v10, v127, v173
	v_add_f32_e32 v2, v2, v141
	v_fma_f32 v118, v120, v160, -v122
	v_mul_f32_e32 v148, v128, v144
	v_add_f32_e32 v1, v1, v4
	v_mul_f32_e32 v4, v129, v144
	v_add_f32_e32 v2, v2, v5
	v_fma_f32 v5, v126, v6, -v10
	v_fmac_f32_e32 v143, v127, v6
	v_add_f32_e32 v1, v1, v118
	s_waitcnt lgkmcnt(1)
	v_mul_f32_e32 v6, v131, v145
	v_add_f32_e32 v2, v2, v11
	s_waitcnt vmcnt(2)
	v_fma_f32 v4, v128, v174, -v4
	v_mul_f32_e32 v149, v130, v145
	v_add_f32_e32 v1, v1, v5
	v_fmac_f32_e32 v148, v129, v174
	v_add_f32_e32 v2, v2, v143
	v_mul_f32_e32 v5, v133, v146
	v_fma_f32 v6, v130, v167, -v6
	v_add_f32_e32 v1, v1, v4
	v_mul_f32_e32 v139, v132, v146
	v_fmac_f32_e32 v149, v131, v167
	v_add_f32_e32 v2, v2, v148
	s_waitcnt lgkmcnt(0)
	v_mul_f32_e32 v4, v135, v147
	v_fma_f32 v5, v132, v166, -v5
	v_add_f32_e32 v1, v1, v6
	v_mul_f32_e32 v150, v134, v147
	v_fmac_f32_e32 v139, v133, v166
	v_add_f32_e32 v2, v2, v149
	v_mul_f32_e32 v6, v137, v8
	v_fma_f32 v4, v134, v7, -v4
	v_add_f32_e32 v1, v1, v5
	v_mul_f32_e32 v3, v136, v8
	v_fmac_f32_e32 v150, v135, v7
	v_add_f32_e32 v2, v2, v139
	s_waitcnt vmcnt(0)
	v_fma_f32 v5, v136, v168, -v6
	v_add_f32_e32 v1, v1, v4
	v_fmac_f32_e32 v3, v137, v168
	v_add_f32_e32 v2, v2, v150
	v_add_f32_e32 v1, v1, v5
	;; [unrolled: 1-line block ×3, first 2 shown]
	v_sub_f32_e32 v1, v175, v1
	v_sub_f32_e32 v2, v163, v2
	buffer_store_dword v1, off, s[0:3], 0 offset:160
	buffer_store_dword v2, off, s[0:3], 0 offset:164
	v_cmpx_lt_u32_e32 19, v0
	s_cbranch_execz .LBB52_293
; %bb.292:
	s_clause 0x1
	buffer_load_dword v1, off, s[0:3], 0 offset:152
	buffer_load_dword v2, off, s[0:3], 0 offset:156
	v_mov_b32_e32 v3, 0
	buffer_store_dword v3, off, s[0:3], 0 offset:152
	buffer_store_dword v3, off, s[0:3], 0 offset:156
	s_waitcnt vmcnt(0)
	ds_write_b64 v9, v[1:2]
.LBB52_293:
	s_or_b32 exec_lo, exec_lo, s4
	s_waitcnt lgkmcnt(0)
	s_waitcnt_vscnt null, 0x0
	s_barrier
	buffer_gl0_inv
	s_clause 0x23
	buffer_load_dword v11, off, s[0:3], 0 offset:164
	buffer_load_dword v119, off, s[0:3], 0 offset:172
	;; [unrolled: 1-line block ×36, first 2 shown]
	v_mov_b32_e32 v10, 0
	ds_read_b128 v[5:8], v10 offset:592
	ds_read_b128 v[1:4], v10 offset:608
	buffer_load_dword v161, off, s[0:3], 0 offset:156
	ds_read_b128 v[153:156], v10 offset:624
	ds_read_b128 v[157:160], v10 offset:640
	s_mov_b32 s4, exec_lo
	s_waitcnt vmcnt(36) lgkmcnt(3)
	v_mul_f32_e32 v162, v5, v11
	v_mul_f32_e32 v11, v6, v11
	s_waitcnt vmcnt(35)
	v_mul_f32_e32 v163, v7, v119
	v_mul_f32_e32 v119, v8, v119
	s_waitcnt vmcnt(34) lgkmcnt(2)
	v_mul_f32_e32 v164, v1, v120
	v_mul_f32_e32 v120, v2, v120
	s_waitcnt vmcnt(31)
	v_fmac_f32_e32 v162, v6, v123
	v_fma_f32 v11, v5, v123, -v11
	s_waitcnt vmcnt(30)
	v_mul_f32_e32 v123, v3, v121
	v_mul_f32_e32 v165, v4, v121
	v_fmac_f32_e32 v163, v8, v122
	v_fma_f32 v122, v7, v122, -v119
	ds_read_b128 v[5:8], v10 offset:656
	v_fmac_f32_e32 v164, v2, v118
	v_fma_f32 v166, v1, v118, -v120
	ds_read_b128 v[118:121], v10 offset:672
	s_waitcnt vmcnt(26)
	v_fmac_f32_e32 v123, v4, v132
	v_fma_f32 v132, v3, v132, -v165
	s_waitcnt vmcnt(25) lgkmcnt(3)
	v_mul_f32_e32 v165, v153, v130
	s_waitcnt vmcnt(24)
	v_mul_f32_e32 v167, v155, v131
	v_mul_f32_e32 v1, v154, v130
	;; [unrolled: 1-line block ×3, first 2 shown]
	s_clause 0x1
	buffer_load_dword v130, off, s[0:3], 0 offset:300
	buffer_load_dword v131, off, s[0:3], 0 offset:308
	v_fmac_f32_e32 v165, v154, v127
	v_fmac_f32_e32 v167, v156, v125
	v_fma_f32 v127, v153, v127, -v1
	v_fma_f32 v125, v155, v125, -v2
	ds_read_b128 v[1:4], v10 offset:688
	s_waitcnt vmcnt(25) lgkmcnt(3)
	v_mul_f32_e32 v153, v157, v128
	v_mul_f32_e32 v128, v158, v128
	s_waitcnt vmcnt(24)
	v_mul_f32_e32 v154, v159, v126
	v_mul_f32_e32 v126, v160, v126
	s_waitcnt vmcnt(23) lgkmcnt(2)
	v_mul_f32_e32 v155, v5, v129
	v_fmac_f32_e32 v153, v158, v124
	v_fma_f32 v124, v157, v124, -v128
	s_waitcnt vmcnt(22)
	v_mul_f32_e32 v128, v7, v133
	v_mul_f32_e32 v129, v6, v129
	;; [unrolled: 1-line block ×3, first 2 shown]
	s_waitcnt vmcnt(18)
	v_fma_f32 v126, v159, v140, -v126
	v_fmac_f32_e32 v155, v6, v138
	v_fmac_f32_e32 v128, v8, v137
	v_fma_f32 v129, v5, v138, -v129
	v_fma_f32 v133, v7, v137, -v133
	s_clause 0x5
	buffer_load_dword v137, off, s[0:3], 0 offset:316
	buffer_load_dword v138, off, s[0:3], 0 offset:324
	;; [unrolled: 1-line block ×6, first 2 shown]
	v_fmac_f32_e32 v154, v160, v140
	s_waitcnt vmcnt(23) lgkmcnt(1)
	v_mul_f32_e32 v140, v118, v139
	v_mul_f32_e32 v139, v119, v139
	s_waitcnt vmcnt(22)
	v_mul_f32_e32 v160, v120, v135
	v_mul_f32_e32 v135, v121, v135
	ds_read_b128 v[5:8], v10 offset:704
	v_fmac_f32_e32 v140, v119, v134
	v_fma_f32 v118, v118, v134, -v139
	s_waitcnt vmcnt(18)
	v_fmac_f32_e32 v160, v121, v151
	v_fma_f32 v119, v120, v151, -v135
	s_waitcnt vmcnt(17) lgkmcnt(1)
	v_mul_f32_e32 v120, v1, v149
	v_mul_f32_e32 v121, v2, v149
	s_clause 0x1
	buffer_load_dword v139, off, s[0:3], 0 offset:332
	buffer_load_dword v149, off, s[0:3], 0 offset:340
	v_add_f32_e32 v11, 0, v11
	s_waitcnt vmcnt(18)
	v_mul_f32_e32 v134, v3, v150
	v_mul_f32_e32 v135, v4, v150
	v_fma_f32 v121, v1, v146, -v121
	v_add_f32_e32 v1, 0, v162
	v_add_f32_e32 v11, v11, v122
	v_fmac_f32_e32 v120, v2, v146
	v_fmac_f32_e32 v134, v4, v145
	v_fma_f32 v135, v3, v145, -v135
	v_add_f32_e32 v162, v1, v163
	s_clause 0x3
	buffer_load_dword v145, off, s[0:3], 0 offset:348
	buffer_load_dword v146, off, s[0:3], 0 offset:356
	;; [unrolled: 1-line block ×4, first 2 shown]
	ds_read_b128 v[1:4], v10 offset:720
	s_waitcnt vmcnt(21) lgkmcnt(1)
	v_mul_f32_e32 v163, v5, v144
	v_mul_f32_e32 v122, v6, v144
	v_add_f32_e32 v144, v162, v164
	v_add_f32_e32 v11, v11, v166
	s_waitcnt vmcnt(20)
	v_mul_f32_e32 v162, v7, v143
	v_fmac_f32_e32 v163, v6, v141
	v_fma_f32 v141, v5, v141, -v122
	v_add_f32_e32 v5, v144, v123
	v_mul_f32_e32 v143, v8, v143
	v_add_f32_e32 v6, v11, v132
	s_clause 0x3
	buffer_load_dword v11, off, s[0:3], 0 offset:380
	buffer_load_dword v132, off, s[0:3], 0 offset:388
	;; [unrolled: 1-line block ×4, first 2 shown]
	s_waitcnt vmcnt(20)
	v_fmac_f32_e32 v162, v8, v152
	v_add_f32_e32 v5, v5, v165
	v_fma_f32 v143, v7, v152, -v143
	s_clause 0x5
	buffer_load_dword v152, off, s[0:3], 0 offset:412
	buffer_load_dword v165, off, s[0:3], 0 offset:368
	;; [unrolled: 1-line block ×6, first 2 shown]
	v_add_f32_e32 v6, v6, v127
	v_add_f32_e32 v5, v5, v167
	;; [unrolled: 1-line block ×4, first 2 shown]
	s_waitcnt vmcnt(25) lgkmcnt(0)
	v_mul_f32_e32 v153, v1, v148
	ds_read_b128 v[5:8], v10 offset:736
	v_add_f32_e32 v122, v122, v124
	v_mul_f32_e32 v124, v2, v148
	v_add_f32_e32 v123, v123, v154
	v_fmac_f32_e32 v153, v2, v147
	v_fma_f32 v127, v1, v147, -v124
	v_add_f32_e32 v2, v123, v155
	s_clause 0x5
	buffer_load_dword v147, off, s[0:3], 0 offset:400
	buffer_load_dword v148, off, s[0:3], 0 offset:392
	;; [unrolled: 1-line block ×6, first 2 shown]
	v_add_f32_e32 v1, v122, v126
	v_add_f32_e32 v2, v2, v128
	;; [unrolled: 1-line block ×5, first 2 shown]
	buffer_load_dword v133, off, s[0:3], 0 offset:152
	v_add_f32_e32 v122, v122, v160
	v_add_f32_e32 v118, v1, v118
	;; [unrolled: 1-line block ×6, first 2 shown]
	ds_read_b128 v[118:121], v10 offset:768
	v_add_f32_e32 v128, v128, v163
	v_add_f32_e32 v126, v124, v135
	;; [unrolled: 1-line block ×4, first 2 shown]
	s_waitcnt vmcnt(30)
	v_mul_f32_e32 v140, v3, v130
	v_mul_f32_e32 v2, v4, v130
	s_waitcnt vmcnt(29) lgkmcnt(1)
	v_mul_f32_e32 v123, v6, v131
	v_fmac_f32_e32 v140, v4, v142
	v_fma_f32 v130, v3, v142, -v2
	ds_read_b128 v[1:4], v10 offset:752
	v_mul_f32_e32 v142, v5, v131
	v_fmac_f32_e32 v142, v6, v136
	v_fma_f32 v136, v5, v136, -v123
	s_waitcnt vmcnt(28)
	v_mul_f32_e32 v160, v7, v137
	v_mul_f32_e32 v125, v8, v137
	s_waitcnt vmcnt(23)
	v_fmac_f32_e32 v160, v8, v159
	v_fma_f32 v135, v7, v159, -v125
	ds_read_b128 v[5:8], v10 offset:784
	ds_read_b128 v[122:125], v10 offset:800
	s_waitcnt lgkmcnt(2)
	v_mul_f32_e32 v129, v2, v138
	v_mul_f32_e32 v134, v1, v138
	v_fma_f32 v138, v1, v158, -v129
	v_add_f32_e32 v1, v128, v162
	s_waitcnt vmcnt(22)
	v_mul_f32_e32 v137, v3, v139
	v_mul_f32_e32 v131, v4, v139
	v_add_f32_e32 v139, v126, v127
	v_fmac_f32_e32 v134, v2, v158
	v_add_f32_e32 v143, v1, v153
	v_fmac_f32_e32 v137, v4, v157
	v_fma_f32 v141, v3, v157, -v131
	v_add_f32_e32 v139, v139, v130
	s_waitcnt vmcnt(21)
	v_mul_f32_e32 v153, v118, v149
	v_add_f32_e32 v140, v143, v140
	s_waitcnt vmcnt(20)
	v_mul_f32_e32 v143, v120, v145
	v_mul_f32_e32 v145, v121, v145
	v_add_f32_e32 v136, v139, v136
	v_mul_f32_e32 v139, v119, v149
	v_add_f32_e32 v140, v140, v142
	v_fmac_f32_e32 v153, v119, v156
	ds_read_b128 v[126:129], v10 offset:816
	ds_read_b128 v[1:4], v10 offset:832
	v_add_f32_e32 v135, v136, v135
	v_add_f32_e32 v140, v140, v160
	v_fma_f32 v118, v118, v156, -v139
	s_waitcnt vmcnt(19) lgkmcnt(3)
	v_mul_f32_e32 v142, v5, v146
	s_waitcnt vmcnt(18)
	v_mul_f32_e32 v136, v7, v150
	v_add_f32_e32 v135, v135, v138
	v_add_f32_e32 v134, v140, v134
	s_waitcnt vmcnt(17) lgkmcnt(2)
	v_mul_f32_e32 v149, v122, v151
	s_waitcnt vmcnt(16)
	v_mul_f32_e32 v157, v124, v11
	s_waitcnt vmcnt(9)
	v_fmac_f32_e32 v142, v6, v168
	v_add_f32_e32 v135, v135, v141
	v_add_f32_e32 v134, v134, v137
	v_mul_f32_e32 v141, v6, v146
	s_waitcnt vmcnt(8)
	v_fma_f32 v120, v120, v169, -v145
	v_fmac_f32_e32 v143, v121, v169
	v_add_f32_e32 v118, v135, v118
	v_add_f32_e32 v121, v134, v153
	v_mul_f32_e32 v134, v8, v150
	v_fma_f32 v5, v5, v168, -v141
	v_fmac_f32_e32 v136, v8, v166
	v_add_f32_e32 v6, v118, v120
	v_add_f32_e32 v118, v121, v143
	v_mul_f32_e32 v120, v123, v151
	v_fma_f32 v7, v7, v166, -v134
	v_mul_f32_e32 v8, v125, v11
	v_add_f32_e32 v5, v6, v5
	v_add_f32_e32 v6, v118, v142
	v_fma_f32 v11, v122, v165, -v120
	v_fmac_f32_e32 v149, v123, v165
	ds_read_b64 v[130:131], v10 offset:848
	v_add_f32_e32 v5, v5, v7
	v_add_f32_e32 v6, v6, v136
	s_waitcnt lgkmcnt(2)
	v_mul_f32_e32 v7, v127, v132
	s_waitcnt vmcnt(3)
	v_fma_f32 v8, v124, v155, -v8
	v_mul_f32_e32 v138, v126, v132
	v_add_f32_e32 v5, v5, v11
	v_fmac_f32_e32 v157, v125, v155
	v_add_f32_e32 v6, v6, v149
	v_mul_f32_e32 v11, v129, v144
	v_fma_f32 v7, v126, v154, -v7
	v_add_f32_e32 v5, v5, v8
	v_mul_f32_e32 v119, v128, v144
	v_fmac_f32_e32 v138, v127, v154
	v_add_f32_e32 v6, v6, v157
	s_waitcnt lgkmcnt(1)
	v_mul_f32_e32 v139, v1, v164
	v_mul_f32_e32 v8, v2, v164
	v_fma_f32 v11, v128, v148, -v11
	v_add_f32_e32 v5, v5, v7
	v_fmac_f32_e32 v119, v129, v148
	v_add_f32_e32 v6, v6, v138
	v_mul_f32_e32 v7, v4, v152
	v_fmac_f32_e32 v139, v2, v147
	v_fma_f32 v1, v1, v147, -v8
	v_add_f32_e32 v2, v5, v11
	v_mul_f32_e32 v140, v3, v152
	v_add_f32_e32 v5, v6, v119
	s_waitcnt lgkmcnt(0)
	v_mul_f32_e32 v6, v131, v170
	s_waitcnt vmcnt(1)
	v_fma_f32 v3, v3, v171, -v7
	v_add_f32_e32 v1, v2, v1
	v_mul_f32_e32 v137, v130, v170
	v_fmac_f32_e32 v140, v4, v171
	v_add_f32_e32 v2, v5, v139
	v_fma_f32 v4, v130, v167, -v6
	v_add_f32_e32 v1, v1, v3
	v_fmac_f32_e32 v137, v131, v167
	v_add_f32_e32 v2, v2, v140
	v_add_f32_e32 v1, v1, v4
	;; [unrolled: 1-line block ×3, first 2 shown]
	s_waitcnt vmcnt(0)
	v_sub_f32_e32 v1, v133, v1
	v_sub_f32_e32 v2, v161, v2
	buffer_store_dword v1, off, s[0:3], 0 offset:152
	buffer_store_dword v2, off, s[0:3], 0 offset:156
	v_cmpx_lt_u32_e32 18, v0
	s_cbranch_execz .LBB52_295
; %bb.294:
	s_clause 0x1
	buffer_load_dword v1, off, s[0:3], 0 offset:144
	buffer_load_dword v2, off, s[0:3], 0 offset:148
	buffer_store_dword v10, off, s[0:3], 0 offset:144
	buffer_store_dword v10, off, s[0:3], 0 offset:148
	s_waitcnt vmcnt(0)
	ds_write_b64 v9, v[1:2]
.LBB52_295:
	s_or_b32 exec_lo, exec_lo, s4
	s_waitcnt lgkmcnt(0)
	s_waitcnt_vscnt null, 0x0
	s_barrier
	buffer_gl0_inv
	s_clause 0x23
	buffer_load_dword v151, off, s[0:3], 0 offset:156
	buffer_load_dword v152, off, s[0:3], 0 offset:164
	;; [unrolled: 1-line block ×36, first 2 shown]
	ds_read2_b64 v[5:8], v10 offset0:73 offset1:74
	ds_read2_b64 v[1:4], v10 offset0:75 offset1:76
	;; [unrolled: 1-line block ×3, first 2 shown]
	s_clause 0x1
	buffer_load_dword v161, off, s[0:3], 0 offset:292
	buffer_load_dword v162, off, s[0:3], 0 offset:300
	ds_read2_b64 v[157:160], v10 offset0:79 offset1:80
	buffer_load_dword v165, off, s[0:3], 0 offset:148
	s_mov_b32 s4, exec_lo
	s_waitcnt vmcnt(38) lgkmcnt(3)
	v_mul_f32_e32 v163, v5, v151
	s_waitcnt vmcnt(37)
	v_mul_f32_e32 v164, v7, v152
	v_mul_f32_e32 v151, v6, v151
	;; [unrolled: 1-line block ×3, first 2 shown]
	s_waitcnt vmcnt(34)
	v_fmac_f32_e32 v163, v6, v123
	v_fmac_f32_e32 v164, v8, v122
	v_fma_f32 v123, v5, v123, -v151
	v_fma_f32 v122, v7, v122, -v152
	ds_read2_b64 v[5:8], v10 offset0:81 offset1:82
	s_waitcnt vmcnt(33) lgkmcnt(3)
	v_mul_f32_e32 v151, v1, v120
	v_mul_f32_e32 v120, v2, v120
	s_waitcnt vmcnt(32)
	v_mul_f32_e32 v152, v3, v119
	v_mul_f32_e32 v119, v4, v119
	s_waitcnt vmcnt(31) lgkmcnt(2)
	v_mul_f32_e32 v166, v153, v118
	v_mul_f32_e32 v118, v154, v118
	v_fmac_f32_e32 v151, v2, v11
	v_fma_f32 v11, v1, v11, -v120
	s_waitcnt vmcnt(26)
	v_fmac_f32_e32 v152, v4, v129
	v_fma_f32 v129, v3, v129, -v119
	ds_read2_b64 v[1:4], v10 offset0:83 offset1:84
	v_mul_f32_e32 v167, v155, v121
	v_mul_f32_e32 v120, v156, v121
	v_fmac_f32_e32 v166, v154, v128
	v_fma_f32 v128, v153, v128, -v118
	s_waitcnt vmcnt(25) lgkmcnt(2)
	v_mul_f32_e32 v153, v157, v125
	s_waitcnt vmcnt(24)
	v_mul_f32_e32 v154, v159, v126
	v_mul_f32_e32 v125, v158, v125
	;; [unrolled: 1-line block ×3, first 2 shown]
	v_fmac_f32_e32 v167, v156, v127
	v_fma_f32 v127, v155, v127, -v120
	ds_read2_b64 v[118:121], v10 offset0:85 offset1:86
	v_fmac_f32_e32 v153, v158, v124
	s_waitcnt vmcnt(19)
	v_fmac_f32_e32 v154, v160, v140
	v_fma_f32 v124, v157, v124, -v125
	v_fma_f32 v125, v159, v140, -v126
	s_clause 0x4
	buffer_load_dword v126, off, s[0:3], 0 offset:308
	buffer_load_dword v140, off, s[0:3], 0 offset:328
	;; [unrolled: 1-line block ×5, first 2 shown]
	s_waitcnt lgkmcnt(2)
	v_mul_f32_e32 v155, v5, v130
	v_mul_f32_e32 v130, v6, v130
	s_waitcnt vmcnt(23)
	v_mul_f32_e32 v159, v7, v136
	v_mul_f32_e32 v136, v8, v136
	v_fmac_f32_e32 v155, v6, v135
	v_fma_f32 v5, v5, v135, -v130
	s_waitcnt vmcnt(22) lgkmcnt(1)
	v_mul_f32_e32 v130, v1, v133
	v_fmac_f32_e32 v159, v8, v132
	v_fma_f32 v132, v7, v132, -v136
	s_waitcnt vmcnt(21)
	v_mul_f32_e32 v135, v3, v134
	v_mul_f32_e32 v6, v2, v133
	;; [unrolled: 1-line block ×3, first 2 shown]
	s_clause 0x2
	buffer_load_dword v133, off, s[0:3], 0 offset:316
	buffer_load_dword v134, off, s[0:3], 0 offset:324
	buffer_load_dword v136, off, s[0:3], 0 offset:332
	v_fmac_f32_e32 v130, v2, v131
	s_waitcnt vmcnt(20)
	v_fmac_f32_e32 v135, v4, v149
	v_fma_f32 v131, v1, v131, -v6
	v_fma_f32 v149, v3, v149, -v7
	ds_read2_b64 v[1:4], v10 offset0:87 offset1:88
	v_add_f32_e32 v6, 0, v163
	v_add_f32_e32 v7, 0, v123
	s_waitcnt vmcnt(19) lgkmcnt(1)
	v_mul_f32_e32 v160, v118, v146
	s_waitcnt vmcnt(18)
	v_mul_f32_e32 v168, v120, v147
	v_mul_f32_e32 v8, v119, v146
	v_add_f32_e32 v6, v6, v164
	v_mul_f32_e32 v123, v121, v147
	v_add_f32_e32 v7, v7, v122
	v_fmac_f32_e32 v160, v119, v144
	v_fmac_f32_e32 v168, v121, v143
	v_add_f32_e32 v6, v6, v151
	v_fma_f32 v118, v118, v144, -v8
	v_fma_f32 v122, v120, v143, -v123
	v_add_f32_e32 v7, v7, v11
	s_clause 0x7
	buffer_load_dword v11, off, s[0:3], 0 offset:340
	buffer_load_dword v143, off, s[0:3], 0 offset:348
	;; [unrolled: 1-line block ×8, first 2 shown]
	v_add_f32_e32 v6, v6, v152
	v_add_f32_e32 v7, v7, v129
	s_waitcnt vmcnt(25) lgkmcnt(0)
	v_mul_f32_e32 v8, v2, v141
	v_mul_f32_e32 v123, v1, v141
	s_clause 0x3
	buffer_load_dword v141, off, s[0:3], 0 offset:372
	buffer_load_dword v152, off, s[0:3], 0 offset:380
	;; [unrolled: 1-line block ×4, first 2 shown]
	v_fma_f32 v129, v1, v138, -v8
	v_add_f32_e32 v1, v6, v166
	v_add_f32_e32 v6, v7, v128
	v_fmac_f32_e32 v123, v2, v138
	s_waitcnt vmcnt(28)
	v_mul_f32_e32 v128, v3, v139
	v_mul_f32_e32 v2, v4, v139
	v_add_f32_e32 v7, v1, v167
	s_clause 0x2
	buffer_load_dword v138, off, s[0:3], 0 offset:404
	buffer_load_dword v166, off, s[0:3], 0 offset:412
	;; [unrolled: 1-line block ×3, first 2 shown]
	s_waitcnt vmcnt(27)
	v_fmac_f32_e32 v128, v4, v150
	v_fma_f32 v150, v3, v150, -v2
	v_add_f32_e32 v7, v7, v153
	ds_read2_b64 v[1:4], v10 offset0:89 offset1:90
	v_add_f32_e32 v6, v6, v127
	v_add_f32_e32 v7, v7, v154
	s_clause 0x3
	buffer_load_dword v153, off, s[0:3], 0 offset:392
	buffer_load_dword v154, off, s[0:3], 0 offset:384
	buffer_load_dword v167, off, s[0:3], 0 offset:376
	buffer_load_dword v171, off, s[0:3], 0 offset:368
	v_add_f32_e32 v6, v6, v124
	v_add_f32_e32 v119, v7, v155
	v_add_f32_e32 v6, v6, v125
	v_add_f32_e32 v119, v119, v159
	v_add_f32_e32 v120, v6, v5
	ds_read2_b64 v[5:8], v10 offset0:91 offset1:92
	s_waitcnt vmcnt(30) lgkmcnt(1)
	v_mul_f32_e32 v127, v1, v148
	v_mul_f32_e32 v121, v2, v148
	s_clause 0x3
	buffer_load_dword v148, off, s[0:3], 0 offset:416
	buffer_load_dword v155, off, s[0:3], 0 offset:408
	;; [unrolled: 1-line block ×4, first 2 shown]
	v_fmac_f32_e32 v127, v2, v145
	v_fma_f32 v145, v1, v145, -v121
	v_add_f32_e32 v1, v120, v132
	v_add_f32_e32 v2, v119, v130
	s_waitcnt vmcnt(33)
	v_mul_f32_e32 v130, v3, v161
	v_mul_f32_e32 v119, v4, v161
	v_add_f32_e32 v1, v1, v131
	v_add_f32_e32 v2, v2, v135
	v_fmac_f32_e32 v130, v4, v142
	v_fma_f32 v131, v3, v142, -v119
	v_add_f32_e32 v120, v1, v149
	v_add_f32_e32 v124, v2, v160
	ds_read2_b64 v[1:4], v10 offset0:93 offset1:94
	s_waitcnt vmcnt(32) lgkmcnt(1)
	v_mul_f32_e32 v132, v5, v162
	v_mul_f32_e32 v135, v6, v162
	v_add_f32_e32 v125, v120, v118
	ds_read2_b64 v[118:121], v10 offset0:95 offset1:96
	v_add_f32_e32 v124, v124, v168
	v_fmac_f32_e32 v132, v6, v137
	v_fma_f32 v135, v5, v137, -v135
	v_add_f32_e32 v122, v125, v122
	v_add_f32_e32 v129, v122, v129
	s_waitcnt vmcnt(30)
	v_mul_f32_e32 v142, v7, v126
	v_mul_f32_e32 v125, v8, v126
	v_add_f32_e32 v126, v124, v123
	s_waitcnt vmcnt(26)
	v_fmac_f32_e32 v142, v8, v158
	v_fma_f32 v137, v7, v158, -v125
	v_add_f32_e32 v126, v126, v128
	v_add_f32_e32 v128, v129, v150
	ds_read2_b64 v[5:8], v10 offset0:97 offset1:98
	ds_read2_b64 v[122:125], v10 offset0:99 offset1:100
	v_add_f32_e32 v126, v126, v127
	v_add_f32_e32 v145, v128, v145
	s_waitcnt vmcnt(25) lgkmcnt(3)
	v_mul_f32_e32 v149, v1, v133
	s_waitcnt vmcnt(24)
	v_mul_f32_e32 v150, v3, v134
	v_mul_f32_e32 v129, v2, v133
	;; [unrolled: 1-line block ×3, first 2 shown]
	s_waitcnt vmcnt(23) lgkmcnt(2)
	v_mul_f32_e32 v134, v118, v136
	v_add_f32_e32 v130, v126, v130
	v_add_f32_e32 v145, v145, v131
	v_mul_f32_e32 v136, v119, v136
	v_fmac_f32_e32 v149, v2, v157
	v_fmac_f32_e32 v150, v4, v156
	v_fma_f32 v157, v1, v157, -v129
	v_fma_f32 v156, v3, v156, -v133
	ds_read2_b64 v[1:4], v10 offset0:101 offset1:102
	ds_read2_b64 v[126:129], v10 offset0:103 offset1:104
	v_fmac_f32_e32 v134, v119, v140
	v_add_f32_e32 v119, v130, v132
	ds_read2_b64 v[130:133], v10 offset0:105 offset1:106
	v_add_f32_e32 v10, v145, v135
	v_fma_f32 v118, v118, v140, -v136
	s_waitcnt vmcnt(22)
	v_mul_f32_e32 v135, v120, v11
	v_add_f32_e32 v119, v119, v142
	v_mul_f32_e32 v11, v121, v11
	v_add_f32_e32 v10, v10, v137
	s_waitcnt vmcnt(21) lgkmcnt(4)
	v_mul_f32_e32 v136, v5, v143
	v_mul_f32_e32 v140, v6, v143
	v_add_f32_e32 v119, v119, v149
	s_waitcnt vmcnt(15)
	v_fma_f32 v11, v120, v164, -v11
	v_add_f32_e32 v10, v10, v157
	v_fmac_f32_e32 v135, v121, v164
	v_mul_f32_e32 v137, v7, v144
	v_add_f32_e32 v119, v119, v150
	v_mul_f32_e32 v144, v8, v144
	v_add_f32_e32 v10, v10, v156
	v_fmac_f32_e32 v136, v6, v163
	v_fma_f32 v5, v5, v163, -v140
	s_waitcnt lgkmcnt(3)
	v_mul_f32_e32 v120, v122, v146
	v_fma_f32 v7, v7, v151, -v144
	v_add_f32_e32 v10, v10, v118
	v_add_f32_e32 v118, v119, v134
	v_fmac_f32_e32 v137, v8, v151
	s_waitcnt vmcnt(14)
	v_mul_f32_e32 v8, v125, v141
	v_mul_f32_e32 v121, v124, v141
	v_add_f32_e32 v6, v10, v11
	v_add_f32_e32 v10, v118, v135
	v_mul_f32_e32 v11, v123, v146
	v_fmac_f32_e32 v120, v123, v147
	s_waitcnt vmcnt(13) lgkmcnt(2)
	v_mul_f32_e32 v142, v1, v152
	v_add_f32_e32 v5, v6, v5
	v_add_f32_e32 v6, v10, v136
	v_fma_f32 v10, v122, v147, -v11
	s_waitcnt vmcnt(4)
	v_fma_f32 v8, v124, v171, -v8
	v_fmac_f32_e32 v121, v125, v171
	v_add_f32_e32 v5, v5, v7
	v_add_f32_e32 v6, v6, v137
	v_mul_f32_e32 v7, v2, v152
	v_fmac_f32_e32 v142, v2, v167
	v_mul_f32_e32 v143, v3, v169
	v_add_f32_e32 v5, v5, v10
	v_add_f32_e32 v6, v6, v120
	v_mul_f32_e32 v10, v4, v169
	v_fma_f32 v1, v1, v167, -v7
	s_waitcnt lgkmcnt(1)
	v_mul_f32_e32 v145, v126, v170
	v_add_f32_e32 v2, v5, v8
	v_add_f32_e32 v5, v6, v121
	v_mul_f32_e32 v6, v127, v170
	v_fma_f32 v3, v3, v154, -v10
	v_fmac_f32_e32 v143, v4, v154
	v_add_f32_e32 v1, v2, v1
	v_add_f32_e32 v2, v5, v142
	v_mul_f32_e32 v4, v129, v138
	v_fma_f32 v5, v126, v153, -v6
	v_mul_f32_e32 v149, v128, v138
	v_add_f32_e32 v1, v1, v3
	v_fmac_f32_e32 v145, v127, v153
	v_add_f32_e32 v2, v2, v143
	s_waitcnt lgkmcnt(0)
	v_mul_f32_e32 v3, v131, v166
	s_waitcnt vmcnt(1)
	v_fma_f32 v4, v128, v159, -v4
	v_add_f32_e32 v1, v1, v5
	v_mul_f32_e32 v150, v130, v166
	v_fmac_f32_e32 v149, v129, v159
	v_add_f32_e32 v2, v2, v145
	v_mul_f32_e32 v5, v133, v139
	v_fma_f32 v3, v130, v155, -v3
	v_add_f32_e32 v1, v1, v4
	v_mul_f32_e32 v119, v132, v139
	v_fmac_f32_e32 v150, v131, v155
	v_add_f32_e32 v2, v2, v149
	v_fma_f32 v4, v132, v148, -v5
	v_add_f32_e32 v1, v1, v3
	v_fmac_f32_e32 v119, v133, v148
	v_add_f32_e32 v2, v2, v150
	v_add_f32_e32 v1, v1, v4
	;; [unrolled: 1-line block ×3, first 2 shown]
	s_waitcnt vmcnt(0)
	v_sub_f32_e32 v1, v172, v1
	v_sub_f32_e32 v2, v165, v2
	buffer_store_dword v1, off, s[0:3], 0 offset:144
	buffer_store_dword v2, off, s[0:3], 0 offset:148
	v_cmpx_lt_u32_e32 17, v0
	s_cbranch_execz .LBB52_297
; %bb.296:
	s_clause 0x1
	buffer_load_dword v1, off, s[0:3], 0 offset:136
	buffer_load_dword v2, off, s[0:3], 0 offset:140
	v_mov_b32_e32 v3, 0
	buffer_store_dword v3, off, s[0:3], 0 offset:136
	buffer_store_dword v3, off, s[0:3], 0 offset:140
	s_waitcnt vmcnt(0)
	ds_write_b64 v9, v[1:2]
.LBB52_297:
	s_or_b32 exec_lo, exec_lo, s4
	s_waitcnt lgkmcnt(0)
	s_waitcnt_vscnt null, 0x0
	s_barrier
	buffer_gl0_inv
	s_clause 0x2a
	buffer_load_dword v7, off, s[0:3], 0 offset:148
	buffer_load_dword v8, off, s[0:3], 0 offset:156
	buffer_load_dword v2, off, s[0:3], 0 offset:160
	buffer_load_dword v5, off, s[0:3], 0 offset:152
	buffer_load_dword v6, off, s[0:3], 0 offset:144
	buffer_load_dword v3, off, s[0:3], 0 offset:164
	buffer_load_dword v4, off, s[0:3], 0 offset:172
	buffer_load_dword v10, off, s[0:3], 0 offset:192
	buffer_load_dword v11, off, s[0:3], 0 offset:184
	buffer_load_dword v119, off, s[0:3], 0 offset:176
	buffer_load_dword v124, off, s[0:3], 0 offset:168
	buffer_load_dword v123, off, s[0:3], 0 offset:180
	buffer_load_dword v122, off, s[0:3], 0 offset:188
	buffer_load_dword v120, off, s[0:3], 0 offset:196
	buffer_load_dword v118, off, s[0:3], 0 offset:204
	buffer_load_dword v121, off, s[0:3], 0 offset:212
	buffer_load_dword v125, off, s[0:3], 0 offset:224
	buffer_load_dword v126, off, s[0:3], 0 offset:216
	buffer_load_dword v129, off, s[0:3], 0 offset:208
	buffer_load_dword v131, off, s[0:3], 0 offset:200
	buffer_load_dword v130, off, s[0:3], 0 offset:220
	buffer_load_dword v128, off, s[0:3], 0 offset:228
	buffer_load_dword v127, off, s[0:3], 0 offset:236
	buffer_load_dword v132, off, s[0:3], 0 offset:256
	buffer_load_dword v133, off, s[0:3], 0 offset:248
	buffer_load_dword v134, off, s[0:3], 0 offset:240
	buffer_load_dword v139, off, s[0:3], 0 offset:232
	buffer_load_dword v137, off, s[0:3], 0 offset:244
	buffer_load_dword v138, off, s[0:3], 0 offset:252
	buffer_load_dword v136, off, s[0:3], 0 offset:260
	buffer_load_dword v135, off, s[0:3], 0 offset:268
	buffer_load_dword v140, off, s[0:3], 0 offset:288
	buffer_load_dword v141, off, s[0:3], 0 offset:280
	buffer_load_dword v143, off, s[0:3], 0 offset:272
	buffer_load_dword v147, off, s[0:3], 0 offset:264
	buffer_load_dword v146, off, s[0:3], 0 offset:276
	buffer_load_dword v145, off, s[0:3], 0 offset:284
	buffer_load_dword v144, off, s[0:3], 0 offset:292
	buffer_load_dword v142, off, s[0:3], 0 offset:300
	buffer_load_dword v160, off, s[0:3], 0 offset:320
	buffer_load_dword v161, off, s[0:3], 0 offset:312
	buffer_load_dword v162, off, s[0:3], 0 offset:304
	buffer_load_dword v163, off, s[0:3], 0 offset:296
	v_mov_b32_e32 v1, 0
	ds_read_b128 v[148:151], v1 offset:576
	ds_read_b128 v[152:155], v1 offset:592
	;; [unrolled: 1-line block ×3, first 2 shown]
	buffer_load_dword v166, off, s[0:3], 0 offset:140
	s_mov_b32 s4, exec_lo
	s_waitcnt vmcnt(43) lgkmcnt(2)
	v_mul_f32_e32 v164, v148, v7
	s_waitcnt vmcnt(42)
	v_mul_f32_e32 v165, v150, v8
	v_mul_f32_e32 v7, v149, v7
	;; [unrolled: 1-line block ×3, first 2 shown]
	s_waitcnt vmcnt(39)
	v_fmac_f32_e32 v164, v149, v6
	v_fmac_f32_e32 v165, v151, v5
	v_fma_f32 v167, v148, v6, -v7
	v_fma_f32 v168, v150, v5, -v8
	ds_read_b128 v[5:8], v1 offset:624
	ds_read_b128 v[148:151], v1 offset:640
	s_waitcnt vmcnt(38) lgkmcnt(3)
	v_mul_f32_e32 v169, v152, v3
	v_mul_f32_e32 v3, v153, v3
	s_waitcnt vmcnt(37)
	v_mul_f32_e32 v170, v154, v4
	v_mul_f32_e32 v4, v155, v4
	s_waitcnt vmcnt(32) lgkmcnt(2)
	v_mul_f32_e32 v173, v156, v123
	v_fmac_f32_e32 v169, v153, v2
	v_fma_f32 v171, v152, v2, -v3
	v_mul_f32_e32 v2, v157, v123
	s_waitcnt vmcnt(31)
	v_mul_f32_e32 v174, v158, v122
	v_mul_f32_e32 v3, v159, v122
	v_fmac_f32_e32 v170, v155, v124
	v_fma_f32 v172, v154, v124, -v4
	v_fmac_f32_e32 v173, v157, v119
	v_fma_f32 v156, v156, v119, -v2
	;; [unrolled: 2-line block ×3, first 2 shown]
	ds_read_b128 v[152:155], v1 offset:656
	s_waitcnt vmcnt(30) lgkmcnt(2)
	v_mul_f32_e32 v157, v5, v120
	v_mul_f32_e32 v2, v6, v120
	s_waitcnt vmcnt(29)
	v_mul_f32_e32 v158, v7, v118
	v_mul_f32_e32 v3, v8, v118
	s_waitcnt vmcnt(28) lgkmcnt(1)
	v_mul_f32_e32 v118, v149, v121
	v_fmac_f32_e32 v157, v6, v10
	v_fma_f32 v6, v5, v10, -v2
	v_mul_f32_e32 v10, v148, v121
	s_waitcnt vmcnt(24)
	v_fmac_f32_e32 v158, v8, v131
	v_fma_f32 v7, v7, v131, -v3
	s_waitcnt vmcnt(23)
	v_mul_f32_e32 v8, v150, v130
	v_mul_f32_e32 v119, v151, v130
	ds_read_b128 v[2:5], v1 offset:672
	v_fmac_f32_e32 v10, v149, v129
	v_fma_f32 v129, v148, v129, -v118
	v_fmac_f32_e32 v8, v151, v126
	v_fma_f32 v126, v150, v126, -v119
	ds_read_b128 v[118:121], v1 offset:688
	s_waitcnt vmcnt(22) lgkmcnt(2)
	v_mul_f32_e32 v130, v152, v128
	v_mul_f32_e32 v122, v153, v128
	s_waitcnt vmcnt(21)
	v_mul_f32_e32 v128, v154, v127
	v_mul_f32_e32 v123, v155, v127
	buffer_load_dword v131, off, s[0:3], 0 offset:308
	v_fmac_f32_e32 v130, v153, v125
	v_fma_f32 v127, v152, v125, -v122
	s_waitcnt vmcnt(18)
	v_fmac_f32_e32 v128, v155, v139
	v_fma_f32 v139, v154, v139, -v123
	s_waitcnt vmcnt(17) lgkmcnt(1)
	v_mul_f32_e32 v148, v2, v137
	s_waitcnt vmcnt(16)
	v_mul_f32_e32 v149, v4, v138
	v_mul_f32_e32 v122, v3, v137
	;; [unrolled: 1-line block ×3, first 2 shown]
	v_fmac_f32_e32 v148, v3, v134
	v_fmac_f32_e32 v149, v5, v133
	v_fma_f32 v134, v2, v134, -v122
	v_fma_f32 v133, v4, v133, -v123
	ds_read_b128 v[2:5], v1 offset:704
	s_waitcnt vmcnt(15) lgkmcnt(1)
	v_mul_f32_e32 v137, v118, v136
	v_mul_f32_e32 v124, v119, v136
	s_waitcnt vmcnt(14)
	v_mul_f32_e32 v136, v120, v135
	v_mul_f32_e32 v135, v121, v135
	v_fmac_f32_e32 v137, v119, v132
	v_fma_f32 v132, v118, v132, -v124
	ds_read_b128 v[122:125], v1 offset:720
	s_waitcnt vmcnt(10)
	v_fmac_f32_e32 v136, v121, v147
	v_fma_f32 v135, v120, v147, -v135
	s_clause 0x1
	buffer_load_dword v138, off, s[0:3], 0 offset:316
	buffer_load_dword v147, off, s[0:3], 0 offset:324
	s_waitcnt vmcnt(11) lgkmcnt(1)
	v_mul_f32_e32 v150, v2, v146
	v_mul_f32_e32 v118, v3, v146
	s_waitcnt vmcnt(10)
	v_mul_f32_e32 v151, v4, v145
	v_mul_f32_e32 v119, v5, v145
	buffer_load_dword v146, off, s[0:3], 0 offset:332
	v_fmac_f32_e32 v150, v3, v143
	v_fma_f32 v143, v2, v143, -v118
	v_fmac_f32_e32 v151, v5, v141
	s_waitcnt vmcnt(10) lgkmcnt(0)
	v_mul_f32_e32 v145, v122, v144
	v_mul_f32_e32 v2, v123, v144
	s_waitcnt vmcnt(9)
	v_mul_f32_e32 v3, v125, v142
	s_clause 0x3
	buffer_load_dword v144, off, s[0:3], 0 offset:352
	buffer_load_dword v152, off, s[0:3], 0 offset:344
	buffer_load_dword v153, off, s[0:3], 0 offset:336
	buffer_load_dword v154, off, s[0:3], 0 offset:328
	v_mul_f32_e32 v155, v124, v142
	v_fmac_f32_e32 v145, v123, v140
	v_fma_f32 v140, v122, v140, -v2
	v_add_f32_e32 v2, 0, v164
	s_clause 0x1
	buffer_load_dword v142, off, s[0:3], 0 offset:340
	buffer_load_dword v164, off, s[0:3], 0 offset:356
	s_waitcnt vmcnt(11)
	v_fma_f32 v159, v124, v163, -v3
	v_add_f32_e32 v3, 0, v167
	v_add_f32_e32 v2, v2, v165
	v_fmac_f32_e32 v155, v125, v163
	s_clause 0x4
	buffer_load_dword v163, off, s[0:3], 0 offset:348
	buffer_load_dword v165, off, s[0:3], 0 offset:364
	buffer_load_dword v167, off, s[0:3], 0 offset:372
	buffer_load_dword v175, off, s[0:3], 0 offset:380
	buffer_load_dword v176, off, s[0:3], 0 offset:388
	v_add_f32_e32 v3, v3, v168
	v_add_f32_e32 v2, v2, v169
	s_clause 0x1
	buffer_load_dword v168, off, s[0:3], 0 offset:396
	buffer_load_dword v169, off, s[0:3], 0 offset:404
	v_fma_f32 v141, v4, v141, -v119
	v_add_f32_e32 v3, v3, v171
	v_add_f32_e32 v2, v2, v170
	s_clause 0x1
	buffer_load_dword v170, off, s[0:3], 0 offset:412
	buffer_load_dword v171, off, s[0:3], 0 offset:420
	v_add_f32_e32 v3, v3, v172
	v_add_f32_e32 v2, v2, v173
	;; [unrolled: 1-line block ×4, first 2 shown]
	s_clause 0x3
	buffer_load_dword v156, off, s[0:3], 0 offset:384
	buffer_load_dword v172, off, s[0:3], 0 offset:376
	;; [unrolled: 1-line block ×4, first 2 shown]
	v_add_f32_e32 v3, v3, v11
	v_add_f32_e32 v2, v2, v157
	;; [unrolled: 1-line block ×4, first 2 shown]
	s_clause 0x4
	buffer_load_dword v11, off, s[0:3], 0 offset:416
	buffer_load_dword v157, off, s[0:3], 0 offset:408
	;; [unrolled: 1-line block ×5, first 2 shown]
	ds_read_b128 v[118:121], v1 offset:752
	v_add_f32_e32 v3, v3, v7
	v_add_f32_e32 v2, v2, v10
	;; [unrolled: 1-line block ×5, first 2 shown]
	ds_read_b128 v[2:5], v1 offset:736
	v_add_f32_e32 v6, v6, v130
	v_add_f32_e32 v7, v7, v127
	v_add_f32_e32 v6, v6, v128
	v_add_f32_e32 v7, v7, v139
	v_add_f32_e32 v6, v6, v148
	v_add_f32_e32 v7, v7, v134
	v_add_f32_e32 v6, v6, v149
	v_add_f32_e32 v7, v7, v133
	v_add_f32_e32 v6, v6, v137
	v_add_f32_e32 v6, v6, v136
	v_add_f32_e32 v6, v6, v150
	v_add_f32_e32 v6, v6, v151
	s_waitcnt vmcnt(27) lgkmcnt(0)
	v_mul_f32_e32 v8, v2, v131
	v_mul_f32_e32 v10, v3, v131
	v_fmac_f32_e32 v8, v3, v162
	v_add_f32_e32 v3, v7, v132
	v_fma_f32 v10, v2, v162, -v10
	v_add_f32_e32 v7, v3, v135
	v_add_f32_e32 v7, v7, v143
	;; [unrolled: 1-line block ×5, first 2 shown]
	s_waitcnt vmcnt(26)
	v_mul_f32_e32 v134, v4, v138
	v_mul_f32_e32 v122, v5, v138
	v_add_f32_e32 v141, v7, v159
	v_add_f32_e32 v140, v140, v155
	s_waitcnt vmcnt(25)
	v_mul_f32_e32 v130, v119, v147
	v_fmac_f32_e32 v134, v5, v161
	v_fma_f32 v137, v4, v161, -v122
	ds_read_b128 v[2:5], v1 offset:768
	ds_read_b128 v[122:125], v1 offset:784
	v_add_f32_e32 v10, v141, v10
	v_mul_f32_e32 v135, v118, v147
	v_add_f32_e32 v8, v140, v8
	v_fma_f32 v139, v118, v160, -v130
	ds_read_b128 v[126:129], v1 offset:800
	ds_read_b128 v[130:133], v1 offset:816
	s_waitcnt vmcnt(24)
	v_mul_f32_e32 v138, v121, v146
	v_add_f32_e32 v10, v10, v137
	v_mul_f32_e32 v136, v120, v146
	v_fmac_f32_e32 v135, v119, v160
	v_add_f32_e32 v8, v8, v134
	v_add_f32_e32 v10, v10, v139
	s_waitcnt vmcnt(20)
	v_fma_f32 v138, v120, v154, -v138
	v_fmac_f32_e32 v136, v121, v154
	v_add_f32_e32 v8, v8, v135
	ds_read_b128 v[118:121], v1 offset:832
	ds_read_b64 v[6:7], v1 offset:848
	s_waitcnt vmcnt(19) lgkmcnt(5)
	v_mul_f32_e32 v141, v3, v142
	v_mul_f32_e32 v143, v2, v142
	v_add_f32_e32 v10, v10, v138
	v_add_f32_e32 v8, v8, v136
	s_waitcnt vmcnt(18) lgkmcnt(4)
	v_mul_f32_e32 v140, v122, v164
	v_fma_f32 v2, v2, v153, -v141
	s_waitcnt vmcnt(17)
	v_mul_f32_e32 v142, v5, v163
	v_mul_f32_e32 v145, v4, v163
	v_fmac_f32_e32 v143, v3, v153
	v_mul_f32_e32 v141, v123, v164
	v_add_f32_e32 v2, v10, v2
	v_fma_f32 v4, v4, v152, -v142
	v_fmac_f32_e32 v145, v5, v152
	v_add_f32_e32 v5, v8, v143
	s_waitcnt vmcnt(16)
	v_mul_f32_e32 v8, v125, v165
	v_fma_f32 v10, v122, v144, -v141
	v_add_f32_e32 v2, v2, v4
	v_mul_f32_e32 v137, v124, v165
	v_fmac_f32_e32 v140, v123, v144
	v_add_f32_e32 v4, v5, v145
	s_waitcnt vmcnt(15) lgkmcnt(3)
	v_mul_f32_e32 v5, v127, v167
	v_add_f32_e32 v2, v2, v10
	v_mul_f32_e32 v146, v126, v167
	s_waitcnt vmcnt(14)
	v_mul_f32_e32 v10, v129, v175
	v_add_f32_e32 v4, v4, v140
	s_waitcnt vmcnt(5)
	v_fma_f32 v8, v124, v174, -v8
	v_fmac_f32_e32 v137, v125, v174
	v_fma_f32 v5, v126, v173, -v5
	v_mul_f32_e32 v134, v128, v175
	v_fmac_f32_e32 v146, v127, v173
	v_add_f32_e32 v2, v2, v8
	v_add_f32_e32 v4, v4, v137
	s_waitcnt lgkmcnt(2)
	v_mul_f32_e32 v8, v131, v176
	v_fma_f32 v10, v128, v172, -v10
	v_mul_f32_e32 v139, v130, v176
	v_add_f32_e32 v2, v2, v5
	v_fmac_f32_e32 v134, v129, v172
	v_add_f32_e32 v4, v4, v146
	v_mul_f32_e32 v5, v133, v168
	v_fma_f32 v8, v130, v156, -v8
	v_add_f32_e32 v2, v2, v10
	v_mul_f32_e32 v3, v132, v168
	v_fmac_f32_e32 v139, v131, v156
	v_add_f32_e32 v4, v4, v134
	s_waitcnt lgkmcnt(1)
	v_mul_f32_e32 v10, v119, v169
	s_waitcnt vmcnt(1)
	v_fma_f32 v5, v132, v177, -v5
	v_add_f32_e32 v2, v2, v8
	v_mul_f32_e32 v135, v118, v169
	v_fmac_f32_e32 v3, v133, v177
	v_add_f32_e32 v4, v4, v139
	v_mul_f32_e32 v8, v121, v170
	v_fma_f32 v10, v118, v158, -v10
	v_add_f32_e32 v2, v2, v5
	v_mul_f32_e32 v138, v120, v170
	v_fmac_f32_e32 v135, v119, v158
	v_add_f32_e32 v3, v4, v3
	s_waitcnt lgkmcnt(0)
	v_mul_f32_e32 v4, v7, v171
	v_fma_f32 v5, v120, v157, -v8
	v_add_f32_e32 v2, v2, v10
	v_mul_f32_e32 v136, v6, v171
	v_fmac_f32_e32 v138, v121, v157
	v_add_f32_e32 v3, v3, v135
	v_fma_f32 v4, v6, v11, -v4
	v_add_f32_e32 v2, v2, v5
	v_fmac_f32_e32 v136, v7, v11
	v_add_f32_e32 v3, v3, v138
	v_add_f32_e32 v2, v2, v4
	;; [unrolled: 1-line block ×3, first 2 shown]
	s_waitcnt vmcnt(0)
	v_sub_f32_e32 v2, v178, v2
	v_sub_f32_e32 v3, v166, v3
	buffer_store_dword v2, off, s[0:3], 0 offset:136
	buffer_store_dword v3, off, s[0:3], 0 offset:140
	v_cmpx_lt_u32_e32 16, v0
	s_cbranch_execz .LBB52_299
; %bb.298:
	s_clause 0x1
	buffer_load_dword v2, off, s[0:3], 0 offset:128
	buffer_load_dword v3, off, s[0:3], 0 offset:132
	buffer_store_dword v1, off, s[0:3], 0 offset:128
	buffer_store_dword v1, off, s[0:3], 0 offset:132
	s_waitcnt vmcnt(0)
	ds_write_b64 v9, v[2:3]
.LBB52_299:
	s_or_b32 exec_lo, exec_lo, s4
	s_waitcnt lgkmcnt(0)
	s_waitcnt_vscnt null, 0x0
	s_barrier
	buffer_gl0_inv
	s_clause 0x2a
	buffer_load_dword v2, off, s[0:3], 0 offset:140
	buffer_load_dword v3, off, s[0:3], 0 offset:148
	;; [unrolled: 1-line block ×43, first 2 shown]
	ds_read2_b64 v[4:7], v1 offset0:71 offset1:72
	ds_read2_b64 v[118:121], v1 offset0:73 offset1:74
	;; [unrolled: 1-line block ×3, first 2 shown]
	buffer_load_dword v167, off, s[0:3], 0 offset:132
	s_mov_b32 s4, exec_lo
	s_waitcnt vmcnt(43) lgkmcnt(2)
	v_mul_f32_e32 v164, v5, v2
	v_mul_f32_e32 v165, v4, v2
	s_waitcnt vmcnt(42)
	v_mul_f32_e32 v2, v7, v3
	v_mul_f32_e32 v166, v6, v3
	s_waitcnt vmcnt(39)
	v_fma_f32 v164, v4, v11, -v164
	v_fmac_f32_e32 v165, v5, v11
	v_fma_f32 v6, v6, v10, -v2
	ds_read2_b64 v[2:5], v1 offset0:77 offset1:78
	v_fmac_f32_e32 v166, v7, v10
	s_waitcnt vmcnt(38) lgkmcnt(2)
	v_mul_f32_e32 v7, v118, v126
	v_mul_f32_e32 v10, v119, v126
	s_waitcnt vmcnt(37)
	v_mul_f32_e32 v11, v120, v127
	v_mul_f32_e32 v126, v121, v127
	s_waitcnt vmcnt(32) lgkmcnt(1)
	v_mul_f32_e32 v127, v123, v132
	v_fmac_f32_e32 v7, v119, v8
	v_fma_f32 v8, v118, v8, -v10
	v_fmac_f32_e32 v11, v121, v131
	v_fma_f32 v10, v120, v131, -v126
	ds_read2_b64 v[118:121], v1 offset0:79 offset1:80
	v_mul_f32_e32 v126, v122, v132
	s_waitcnt vmcnt(31)
	v_mul_f32_e32 v131, v124, v133
	v_mul_f32_e32 v132, v125, v133
	v_fma_f32 v127, v122, v130, -v127
	v_fmac_f32_e32 v126, v123, v130
	v_fmac_f32_e32 v131, v125, v129
	v_fma_f32 v129, v124, v129, -v132
	ds_read2_b64 v[122:125], v1 offset0:81 offset1:82
	s_waitcnt vmcnt(30) lgkmcnt(2)
	v_mul_f32_e32 v130, v2, v134
	v_mul_f32_e32 v132, v3, v134
	s_waitcnt vmcnt(29)
	v_mul_f32_e32 v133, v4, v135
	v_mul_f32_e32 v134, v5, v135
	v_fmac_f32_e32 v130, v3, v128
	v_fma_f32 v128, v2, v128, -v132
	s_waitcnt vmcnt(25)
	v_fmac_f32_e32 v133, v5, v139
	v_fma_f32 v132, v4, v139, -v134
	ds_read2_b64 v[2:5], v1 offset0:83 offset1:84
	s_waitcnt vmcnt(24) lgkmcnt(2)
	v_mul_f32_e32 v134, v118, v140
	v_mul_f32_e32 v135, v119, v140
	s_waitcnt vmcnt(23)
	v_mul_f32_e32 v139, v120, v141
	v_mul_f32_e32 v140, v121, v141
	v_fmac_f32_e32 v134, v119, v138
	v_fma_f32 v135, v118, v138, -v135
	v_fmac_f32_e32 v139, v121, v137
	v_fma_f32 v137, v120, v137, -v140
	ds_read2_b64 v[118:121], v1 offset0:85 offset1:86
	s_waitcnt vmcnt(22) lgkmcnt(2)
	v_mul_f32_e32 v138, v122, v142
	v_mul_f32_e32 v140, v123, v142
	s_waitcnt vmcnt(21)
	v_mul_f32_e32 v141, v124, v143
	v_mul_f32_e32 v142, v125, v143
	v_fmac_f32_e32 v138, v123, v136
	v_fma_f32 v136, v122, v136, -v140
	s_waitcnt vmcnt(17)
	v_fmac_f32_e32 v141, v125, v147
	v_fma_f32 v140, v124, v147, -v142
	s_waitcnt vmcnt(16) lgkmcnt(1)
	v_mul_f32_e32 v142, v2, v148
	v_mul_f32_e32 v143, v3, v148
	s_waitcnt vmcnt(15)
	v_mul_f32_e32 v147, v4, v149
	v_mul_f32_e32 v148, v5, v149
	ds_read2_b64 v[122:125], v1 offset0:87 offset1:88
	v_fmac_f32_e32 v142, v3, v146
	v_fma_f32 v143, v2, v146, -v143
	v_fmac_f32_e32 v147, v5, v145
	v_fma_f32 v145, v4, v145, -v148
	s_clause 0x1
	buffer_load_dword v146, off, s[0:3], 0 offset:300
	buffer_load_dword v148, off, s[0:3], 0 offset:308
	s_waitcnt vmcnt(16) lgkmcnt(1)
	v_mul_f32_e32 v149, v118, v150
	v_mul_f32_e32 v2, v119, v150
	s_waitcnt vmcnt(15)
	v_mul_f32_e32 v150, v120, v151
	v_mul_f32_e32 v3, v121, v151
	v_fmac_f32_e32 v149, v119, v144
	v_fma_f32 v144, v118, v144, -v2
	s_waitcnt vmcnt(11)
	v_fmac_f32_e32 v150, v121, v155
	v_fma_f32 v151, v120, v155, -v3
	buffer_load_dword v155, off, s[0:3], 0 offset:316
	ds_read2_b64 v[2:5], v1 offset0:89 offset1:90
	s_waitcnt vmcnt(11) lgkmcnt(1)
	v_mul_f32_e32 v168, v122, v156
	v_mul_f32_e32 v118, v123, v156
	s_waitcnt vmcnt(10)
	v_mul_f32_e32 v156, v124, v157
	v_mul_f32_e32 v119, v125, v157
	s_clause 0x5
	buffer_load_dword v157, off, s[0:3], 0 offset:324
	buffer_load_dword v169, off, s[0:3], 0 offset:344
	;; [unrolled: 1-line block ×6, first 2 shown]
	v_fmac_f32_e32 v168, v123, v154
	v_fma_f32 v154, v122, v154, -v118
	v_fmac_f32_e32 v156, v125, v153
	v_fma_f32 v153, v124, v153, -v119
	s_waitcnt vmcnt(15) lgkmcnt(0)
	v_mul_f32_e32 v173, v2, v158
	v_mul_f32_e32 v118, v3, v158
	s_waitcnt vmcnt(14)
	v_mul_f32_e32 v158, v4, v159
	v_fmac_f32_e32 v173, v3, v152
	v_add_f32_e32 v3, 0, v164
	v_fma_f32 v152, v2, v152, -v118
	v_add_f32_e32 v2, 0, v165
	v_mul_f32_e32 v118, v5, v159
	s_clause 0x1
	buffer_load_dword v159, off, s[0:3], 0 offset:348
	buffer_load_dword v164, off, s[0:3], 0 offset:356
	v_add_f32_e32 v3, v3, v6
	buffer_load_dword v6, off, s[0:3], 0 offset:340
	v_add_f32_e32 v2, v2, v166
	s_waitcnt vmcnt(13)
	v_fmac_f32_e32 v158, v5, v163
	v_fma_f32 v163, v4, v163, -v118
	v_add_f32_e32 v3, v3, v8
	v_add_f32_e32 v2, v2, v7
	s_clause 0x2
	buffer_load_dword v7, off, s[0:3], 0 offset:364
	buffer_load_dword v8, off, s[0:3], 0 offset:372
	;; [unrolled: 1-line block ×3, first 2 shown]
	v_add_f32_e32 v3, v3, v10
	v_add_f32_e32 v2, v2, v11
	s_clause 0xe
	buffer_load_dword v10, off, s[0:3], 0 offset:388
	buffer_load_dword v11, off, s[0:3], 0 offset:396
	buffer_load_dword v166, off, s[0:3], 0 offset:404
	buffer_load_dword v175, off, s[0:3], 0 offset:412
	buffer_load_dword v176, off, s[0:3], 0 offset:420
	buffer_load_dword v177, off, s[0:3], 0 offset:376
	buffer_load_dword v178, off, s[0:3], 0 offset:368
	buffer_load_dword v179, off, s[0:3], 0 offset:360
	buffer_load_dword v180, off, s[0:3], 0 offset:352
	buffer_load_dword v181, off, s[0:3], 0 offset:408
	buffer_load_dword v182, off, s[0:3], 0 offset:400
	buffer_load_dword v183, off, s[0:3], 0 offset:392
	buffer_load_dword v184, off, s[0:3], 0 offset:384
	buffer_load_dword v185, off, s[0:3], 0 offset:416
	buffer_load_dword v186, off, s[0:3], 0 offset:128
	v_add_f32_e32 v3, v3, v127
	v_add_f32_e32 v2, v2, v126
	;; [unrolled: 1-line block ×14, first 2 shown]
	ds_read2_b64 v[2:5], v1 offset0:91 offset1:92
	v_add_f32_e32 v118, v118, v140
	v_add_f32_e32 v119, v119, v141
	;; [unrolled: 1-line block ×4, first 2 shown]
	ds_read2_b64 v[118:121], v1 offset0:93 offset1:94
	v_add_f32_e32 v122, v122, v145
	v_add_f32_e32 v123, v123, v147
	;; [unrolled: 1-line block ×10, first 2 shown]
	s_waitcnt vmcnt(29) lgkmcnt(1)
	v_mul_f32_e32 v138, v2, v146
	v_mul_f32_e32 v124, v3, v146
	s_waitcnt vmcnt(28)
	v_mul_f32_e32 v139, v4, v148
	v_mul_f32_e32 v125, v5, v148
	v_add_f32_e32 v146, v135, v158
	v_fmac_f32_e32 v138, v3, v162
	v_fma_f32 v134, v2, v162, -v124
	v_fmac_f32_e32 v139, v5, v161
	v_fma_f32 v140, v4, v161, -v125
	ds_read2_b64 v[2:5], v1 offset0:95 offset1:96
	ds_read2_b64 v[122:125], v1 offset0:97 offset1:98
	s_waitcnt vmcnt(27) lgkmcnt(2)
	v_mul_f32_e32 v141, v118, v155
	v_mul_f32_e32 v128, v119, v155
	v_fmac_f32_e32 v141, v119, v160
	v_add_f32_e32 v119, v127, v153
	v_fma_f32 v143, v118, v160, -v128
	s_waitcnt vmcnt(26)
	v_mul_f32_e32 v142, v120, v157
	v_mul_f32_e32 v129, v121, v157
	v_add_f32_e32 v131, v119, v152
	s_waitcnt vmcnt(22)
	v_fmac_f32_e32 v142, v121, v172
	v_fma_f32 v144, v120, v172, -v129
	v_add_f32_e32 v137, v131, v163
	ds_read2_b64 v[118:121], v1 offset0:99 offset1:100
	ds_read2_b64 v[126:129], v1 offset0:101 offset1:102
	s_waitcnt vmcnt(21) lgkmcnt(3)
	v_mul_f32_e32 v145, v2, v174
	v_mul_f32_e32 v136, v3, v174
	ds_read2_b64 v[130:133], v1 offset0:103 offset1:104
	v_fmac_f32_e32 v145, v3, v171
	v_add_f32_e32 v3, v137, v134
	v_fma_f32 v2, v2, v171, -v136
	ds_read2_b64 v[134:137], v1 offset0:105 offset1:106
	v_add_f32_e32 v1, v146, v138
	v_add_f32_e32 v3, v3, v140
	s_waitcnt vmcnt(20) lgkmcnt(4)
	v_mul_f32_e32 v146, v123, v159
	v_add_f32_e32 v1, v1, v139
	v_mul_f32_e32 v140, v122, v159
	v_add_f32_e32 v3, v3, v143
	s_waitcnt vmcnt(18)
	v_mul_f32_e32 v138, v4, v6
	v_mul_f32_e32 v6, v5, v6
	v_add_f32_e32 v1, v1, v141
	v_fma_f32 v122, v122, v169, -v146
	v_add_f32_e32 v3, v3, v144
	v_fmac_f32_e32 v138, v5, v170
	v_fma_f32 v4, v4, v170, -v6
	v_add_f32_e32 v1, v1, v142
	v_mul_f32_e32 v142, v125, v164
	v_add_f32_e32 v2, v3, v2
	v_mul_f32_e32 v139, v124, v164
	v_fmac_f32_e32 v140, v123, v169
	v_add_f32_e32 v1, v1, v145
	s_waitcnt vmcnt(17) lgkmcnt(3)
	v_mul_f32_e32 v5, v118, v7
	v_add_f32_e32 v2, v2, v4
	v_mul_f32_e32 v4, v119, v7
	s_waitcnt vmcnt(6)
	v_fma_f32 v7, v124, v180, -v142
	v_add_f32_e32 v1, v1, v138
	v_fmac_f32_e32 v139, v125, v180
	v_add_f32_e32 v2, v2, v122
	v_mul_f32_e32 v6, v120, v8
	v_mul_f32_e32 v8, v121, v8
	v_add_f32_e32 v1, v1, v140
	v_fma_f32 v4, v118, v179, -v4
	v_add_f32_e32 v2, v2, v7
	v_fmac_f32_e32 v5, v119, v179
	s_waitcnt lgkmcnt(2)
	v_mul_f32_e32 v7, v127, v165
	v_add_f32_e32 v1, v1, v139
	v_fma_f32 v8, v120, v178, -v8
	v_add_f32_e32 v2, v2, v4
	v_mul_f32_e32 v141, v126, v165
	v_fmac_f32_e32 v6, v121, v178
	v_add_f32_e32 v1, v1, v5
	v_mul_f32_e32 v4, v129, v10
	v_fma_f32 v5, v126, v177, -v7
	v_add_f32_e32 v2, v2, v8
	v_mul_f32_e32 v143, v128, v10
	v_fmac_f32_e32 v141, v127, v177
	v_add_f32_e32 v1, v1, v6
	s_waitcnt lgkmcnt(1)
	v_mul_f32_e32 v6, v131, v11
	s_waitcnt vmcnt(2)
	v_fma_f32 v4, v128, v184, -v4
	v_add_f32_e32 v2, v2, v5
	v_mul_f32_e32 v147, v130, v11
	v_fmac_f32_e32 v143, v129, v184
	v_add_f32_e32 v1, v1, v141
	v_mul_f32_e32 v5, v133, v166
	v_fma_f32 v6, v130, v183, -v6
	v_add_f32_e32 v2, v2, v4
	v_mul_f32_e32 v144, v132, v166
	v_fmac_f32_e32 v147, v131, v183
	v_add_f32_e32 v1, v1, v143
	s_waitcnt lgkmcnt(0)
	v_mul_f32_e32 v4, v135, v175
	v_fma_f32 v5, v132, v182, -v5
	v_add_f32_e32 v2, v2, v6
	v_mul_f32_e32 v148, v134, v175
	v_fmac_f32_e32 v144, v133, v182
	v_add_f32_e32 v1, v1, v147
	v_mul_f32_e32 v6, v137, v176
	v_fma_f32 v4, v134, v181, -v4
	v_add_f32_e32 v2, v2, v5
	v_mul_f32_e32 v3, v136, v176
	v_fmac_f32_e32 v148, v135, v181
	v_add_f32_e32 v1, v1, v144
	s_waitcnt vmcnt(1)
	v_fma_f32 v5, v136, v185, -v6
	v_add_f32_e32 v2, v2, v4
	v_fmac_f32_e32 v3, v137, v185
	v_add_f32_e32 v1, v1, v148
	v_add_f32_e32 v2, v2, v5
	;; [unrolled: 1-line block ×3, first 2 shown]
	s_waitcnt vmcnt(0)
	v_sub_f32_e32 v2, v186, v2
	v_sub_f32_e32 v1, v167, v1
	buffer_store_dword v2, off, s[0:3], 0 offset:128
	buffer_store_dword v1, off, s[0:3], 0 offset:132
	v_cmpx_lt_u32_e32 15, v0
	s_cbranch_execz .LBB52_301
; %bb.300:
	s_clause 0x1
	buffer_load_dword v1, off, s[0:3], 0 offset:120
	buffer_load_dword v2, off, s[0:3], 0 offset:124
	v_mov_b32_e32 v3, 0
	buffer_store_dword v3, off, s[0:3], 0 offset:120
	buffer_store_dword v3, off, s[0:3], 0 offset:124
	s_waitcnt vmcnt(0)
	ds_write_b64 v9, v[1:2]
.LBB52_301:
	s_or_b32 exec_lo, exec_lo, s4
	s_waitcnt lgkmcnt(0)
	s_waitcnt_vscnt null, 0x0
	s_barrier
	buffer_gl0_inv
	s_clause 0x2b
	buffer_load_dword v6, off, s[0:3], 0 offset:132
	buffer_load_dword v7, off, s[0:3], 0 offset:144
	;; [unrolled: 1-line block ×44, first 2 shown]
	v_mov_b32_e32 v1, 0
	ds_read_b128 v[2:5], v1 offset:560
	ds_read_b128 v[118:121], v1 offset:576
	;; [unrolled: 1-line block ×3, first 2 shown]
	buffer_load_dword v166, off, s[0:3], 0 offset:124
	s_mov_b32 s4, exec_lo
	s_waitcnt vmcnt(44) lgkmcnt(2)
	v_mul_f32_e32 v165, v3, v6
	v_mul_f32_e32 v6, v2, v6
	s_waitcnt vmcnt(41)
	v_fma_f32 v165, v2, v10, -v165
	v_fmac_f32_e32 v6, v3, v10
	s_waitcnt vmcnt(40)
	v_mul_f32_e32 v10, v4, v11
	v_mul_f32_e32 v2, v5, v11
	s_waitcnt vmcnt(39) lgkmcnt(1)
	v_mul_f32_e32 v11, v118, v126
	v_mul_f32_e32 v126, v119, v126
	v_add_f32_e32 v6, 0, v6
	v_fmac_f32_e32 v10, v5, v8
	v_fma_f32 v8, v4, v8, -v2
	ds_read_b128 v[2:5], v1 offset:608
	v_fmac_f32_e32 v11, v119, v7
	v_fma_f32 v7, v118, v7, -v126
	s_waitcnt vmcnt(38)
	v_mul_f32_e32 v126, v120, v127
	v_mul_f32_e32 v118, v121, v127
	v_add_f32_e32 v6, v6, v10
	s_waitcnt vmcnt(34)
	v_fmac_f32_e32 v126, v121, v131
	v_fma_f32 v127, v120, v131, -v118
	s_waitcnt vmcnt(33) lgkmcnt(1)
	v_mul_f32_e32 v131, v122, v132
	v_mul_f32_e32 v132, v123, v132
	ds_read_b128 v[118:121], v1 offset:624
	v_add_f32_e32 v6, v6, v11
	v_fmac_f32_e32 v131, v123, v130
	v_fma_f32 v130, v122, v130, -v132
	s_waitcnt vmcnt(32)
	v_mul_f32_e32 v132, v124, v133
	v_mul_f32_e32 v122, v125, v133
	v_add_f32_e32 v6, v6, v126
	s_waitcnt vmcnt(31) lgkmcnt(1)
	v_mul_f32_e32 v133, v2, v134
	v_mul_f32_e32 v134, v3, v134
	v_fmac_f32_e32 v132, v125, v129
	v_fma_f32 v129, v124, v129, -v122
	ds_read_b128 v[122:125], v1 offset:640
	v_fmac_f32_e32 v133, v3, v128
	v_fma_f32 v128, v2, v128, -v134
	s_waitcnt vmcnt(30)
	v_mul_f32_e32 v134, v4, v135
	v_mul_f32_e32 v2, v5, v135
	v_add_f32_e32 v6, v6, v131
	s_waitcnt vmcnt(26)
	v_fmac_f32_e32 v134, v5, v139
	v_fma_f32 v135, v4, v139, -v2
	ds_read_b128 v[2:5], v1 offset:656
	s_waitcnt vmcnt(25) lgkmcnt(2)
	v_mul_f32_e32 v139, v118, v140
	v_mul_f32_e32 v140, v119, v140
	v_add_f32_e32 v6, v6, v132
	v_fmac_f32_e32 v139, v119, v138
	v_fma_f32 v138, v118, v138, -v140
	s_waitcnt vmcnt(24)
	v_mul_f32_e32 v140, v120, v141
	v_mul_f32_e32 v118, v121, v141
	s_waitcnt vmcnt(23) lgkmcnt(1)
	v_mul_f32_e32 v141, v122, v142
	v_mul_f32_e32 v142, v123, v142
	v_add_f32_e32 v6, v6, v133
	v_fmac_f32_e32 v140, v121, v137
	v_fma_f32 v137, v120, v137, -v118
	ds_read_b128 v[118:121], v1 offset:672
	v_fmac_f32_e32 v141, v123, v136
	v_fma_f32 v136, v122, v136, -v142
	s_waitcnt vmcnt(22)
	v_mul_f32_e32 v142, v124, v143
	v_mul_f32_e32 v122, v125, v143
	s_waitcnt vmcnt(18)
	v_fmac_f32_e32 v142, v125, v147
	v_fma_f32 v143, v124, v147, -v122
	s_waitcnt vmcnt(17) lgkmcnt(1)
	v_mul_f32_e32 v147, v2, v148
	v_mul_f32_e32 v122, v3, v148
	s_waitcnt vmcnt(16)
	v_mul_f32_e32 v148, v4, v149
	v_mul_f32_e32 v149, v5, v149
	v_fmac_f32_e32 v147, v3, v146
	v_fma_f32 v146, v2, v146, -v122
	ds_read_b128 v[122:125], v1 offset:688
	v_fmac_f32_e32 v148, v5, v145
	v_fma_f32 v145, v4, v145, -v149
	s_clause 0x1
	buffer_load_dword v149, off, s[0:3], 0 offset:300
	buffer_load_dword v167, off, s[0:3], 0 offset:308
	v_add_f32_e32 v4, 0, v165
	s_waitcnt vmcnt(17) lgkmcnt(1)
	v_mul_f32_e32 v168, v118, v150
	v_mul_f32_e32 v2, v119, v150
	s_waitcnt vmcnt(16)
	v_mul_f32_e32 v3, v121, v151
	v_mul_f32_e32 v150, v120, v151
	v_add_f32_e32 v8, v4, v8
	v_fmac_f32_e32 v168, v119, v144
	v_fma_f32 v144, v118, v144, -v2
	s_waitcnt vmcnt(12)
	v_fma_f32 v151, v120, v155, -v3
	ds_read_b128 v[2:5], v1 offset:704
	v_add_f32_e32 v7, v8, v7
	buffer_load_dword v169, off, s[0:3], 0 offset:316
	v_fmac_f32_e32 v150, v121, v155
	v_add_f32_e32 v7, v7, v127
	s_waitcnt vmcnt(12) lgkmcnt(1)
	v_mul_f32_e32 v155, v122, v156
	v_mul_f32_e32 v118, v123, v156
	s_clause 0x3
	buffer_load_dword v8, off, s[0:3], 0 offset:336
	buffer_load_dword v10, off, s[0:3], 0 offset:328
	;; [unrolled: 1-line block ×4, first 2 shown]
	s_waitcnt vmcnt(15)
	v_mul_f32_e32 v127, v124, v157
	v_add_f32_e32 v7, v7, v130
	v_fmac_f32_e32 v155, v123, v154
	v_fma_f32 v122, v122, v154, -v118
	s_clause 0x1
	buffer_load_dword v11, off, s[0:3], 0 offset:324
	buffer_load_dword v154, off, s[0:3], 0 offset:332
	v_mul_f32_e32 v118, v125, v157
	buffer_load_dword v157, off, s[0:3], 0 offset:340
	v_add_f32_e32 v7, v7, v129
	v_fmac_f32_e32 v127, v125, v153
	s_waitcnt vmcnt(17) lgkmcnt(0)
	v_mul_f32_e32 v130, v2, v158
	v_mul_f32_e32 v123, v3, v158
	v_add_f32_e32 v7, v7, v128
	v_fma_f32 v126, v124, v153, -v118
	s_waitcnt vmcnt(16)
	v_mul_f32_e32 v131, v4, v159
	v_mul_f32_e32 v124, v5, v159
	v_fmac_f32_e32 v130, v3, v152
	v_fma_f32 v132, v2, v152, -v123
	v_add_f32_e32 v2, v7, v135
	v_add_f32_e32 v3, v6, v134
	s_clause 0x3
	buffer_load_dword v153, off, s[0:3], 0 offset:348
	buffer_load_dword v170, off, s[0:3], 0 offset:356
	;; [unrolled: 1-line block ×4, first 2 shown]
	ds_read_b128 v[118:121], v1 offset:720
	s_clause 0x3
	buffer_load_dword v134, off, s[0:3], 0 offset:380
	buffer_load_dword v135, off, s[0:3], 0 offset:388
	buffer_load_dword v152, off, s[0:3], 0 offset:396
	buffer_load_dword v158, off, s[0:3], 0 offset:404
	s_waitcnt vmcnt(20)
	v_fmac_f32_e32 v131, v5, v163
	v_fma_f32 v6, v4, v163, -v124
	buffer_load_dword v159, off, s[0:3], 0 offset:412
	v_add_f32_e32 v2, v2, v138
	v_add_f32_e32 v3, v3, v139
	s_clause 0x4
	buffer_load_dword v138, off, s[0:3], 0 offset:368
	buffer_load_dword v139, off, s[0:3], 0 offset:360
	;; [unrolled: 1-line block ×5, first 2 shown]
	v_add_f32_e32 v2, v2, v137
	v_add_f32_e32 v7, v3, v140
	;; [unrolled: 1-line block ×4, first 2 shown]
	ds_read_b128 v[2:5], v1 offset:736
	s_waitcnt vmcnt(25) lgkmcnt(1)
	v_mul_f32_e32 v124, v119, v164
	v_add_f32_e32 v7, v7, v142
	s_clause 0x3
	buffer_load_dword v137, off, s[0:3], 0 offset:400
	buffer_load_dword v140, off, s[0:3], 0 offset:392
	;; [unrolled: 1-line block ×4, first 2 shown]
	v_add_f32_e32 v123, v123, v143
	v_mul_f32_e32 v136, v118, v164
	v_fma_f32 v133, v118, v162, -v124
	v_add_f32_e32 v7, v7, v147
	v_add_f32_e32 v118, v123, v146
	v_fmac_f32_e32 v136, v119, v162
	v_add_f32_e32 v7, v7, v148
	v_add_f32_e32 v118, v118, v145
	s_clause 0x2
	buffer_load_dword v143, off, s[0:3], 0 offset:416
	buffer_load_dword v145, off, s[0:3], 0 offset:408
	;; [unrolled: 1-line block ×3, first 2 shown]
	v_add_f32_e32 v7, v7, v168
	v_add_f32_e32 v123, v118, v144
	;; [unrolled: 1-line block ×6, first 2 shown]
	ds_read_b128 v[122:125], v1 offset:768
	v_add_f32_e32 v7, v7, v127
	v_add_f32_e32 v155, v129, v126
	v_add_f32_e32 v7, v7, v130
	v_add_f32_e32 v132, v155, v132
	v_add_f32_e32 v7, v7, v131
	v_add_f32_e32 v6, v132, v6
	v_add_f32_e32 v136, v7, v136
	v_add_f32_e32 v6, v6, v133
	s_waitcnt vmcnt(30)
	v_mul_f32_e32 v144, v120, v149
	v_mul_f32_e32 v118, v121, v149
	s_waitcnt vmcnt(29) lgkmcnt(1)
	v_mul_f32_e32 v128, v3, v167
	v_mul_f32_e32 v148, v2, v167
	v_fmac_f32_e32 v144, v121, v161
	v_fma_f32 v147, v120, v161, -v118
	ds_read_b128 v[118:121], v1 offset:752
	v_fma_f32 v151, v2, v160, -v128
	v_fmac_f32_e32 v148, v3, v160
	v_add_f32_e32 v136, v136, v144
	v_add_f32_e32 v147, v6, v147
	s_waitcnt vmcnt(28)
	v_mul_f32_e32 v150, v5, v169
	v_mul_f32_e32 v149, v4, v169
	v_add_f32_e32 v136, v136, v148
	v_add_f32_e32 v147, v147, v151
	s_waitcnt vmcnt(24)
	v_fma_f32 v150, v4, v165, -v150
	v_fmac_f32_e32 v149, v5, v165
	ds_read_b128 v[2:5], v1 offset:784
	ds_read_b128 v[126:129], v1 offset:800
	;; [unrolled: 1-line block ×3, first 2 shown]
	ds_read_b64 v[6:7], v1 offset:848
	v_add_f32_e32 v147, v147, v150
	v_add_f32_e32 v136, v136, v149
	s_waitcnt vmcnt(23) lgkmcnt(4)
	v_mul_f32_e32 v155, v118, v11
	v_mul_f32_e32 v11, v119, v11
	s_waitcnt vmcnt(22)
	v_mul_f32_e32 v160, v120, v154
	v_mul_f32_e32 v154, v121, v154
	s_waitcnt vmcnt(21)
	v_mul_f32_e32 v151, v123, v157
	v_fmac_f32_e32 v155, v119, v156
	v_fma_f32 v11, v118, v156, -v11
	v_fmac_f32_e32 v160, v121, v10
	v_fma_f32 v10, v120, v10, -v154
	v_mul_f32_e32 v154, v122, v157
	ds_read_b128 v[118:121], v1 offset:832
	v_add_f32_e32 v11, v147, v11
	s_waitcnt vmcnt(20)
	v_mul_f32_e32 v144, v124, v153
	v_mul_f32_e32 v153, v125, v153
	v_fmac_f32_e32 v154, v123, v8
	v_add_f32_e32 v123, v136, v155
	v_fma_f32 v8, v122, v8, -v151
	v_add_f32_e32 v10, v11, v10
	s_waitcnt vmcnt(19) lgkmcnt(4)
	v_mul_f32_e32 v148, v2, v170
	v_mul_f32_e32 v151, v3, v170
	v_add_f32_e32 v123, v123, v160
	s_waitcnt vmcnt(8)
	v_fma_f32 v124, v124, v173, -v153
	v_add_f32_e32 v8, v10, v8
	v_fmac_f32_e32 v144, v125, v173
	v_fmac_f32_e32 v148, v3, v163
	v_add_f32_e32 v10, v123, v154
	v_mul_f32_e32 v123, v5, v171
	v_fma_f32 v2, v2, v163, -v151
	v_add_f32_e32 v3, v8, v124
	v_mul_f32_e32 v150, v4, v171
	v_add_f32_e32 v8, v10, v144
	s_waitcnt lgkmcnt(3)
	v_mul_f32_e32 v10, v127, v172
	v_fma_f32 v4, v4, v139, -v123
	v_add_f32_e32 v2, v3, v2
	v_mul_f32_e32 v156, v126, v172
	v_fmac_f32_e32 v150, v5, v139
	v_add_f32_e32 v3, v8, v148
	v_mul_f32_e32 v5, v129, v134
	v_fma_f32 v8, v126, v138, -v10
	v_add_f32_e32 v2, v2, v4
	v_mul_f32_e32 v149, v128, v134
	v_fmac_f32_e32 v156, v127, v138
	v_add_f32_e32 v3, v3, v150
	s_waitcnt lgkmcnt(2)
	v_mul_f32_e32 v4, v131, v135
	s_waitcnt vmcnt(3)
	v_fma_f32 v5, v128, v142, -v5
	v_add_f32_e32 v2, v2, v8
	v_mul_f32_e32 v147, v130, v135
	v_fmac_f32_e32 v149, v129, v142
	v_add_f32_e32 v3, v3, v156
	v_mul_f32_e32 v8, v133, v152
	v_fma_f32 v4, v130, v141, -v4
	v_add_f32_e32 v2, v2, v5
	v_mul_f32_e32 v122, v132, v152
	v_fmac_f32_e32 v147, v131, v141
	v_add_f32_e32 v3, v3, v149
	s_waitcnt lgkmcnt(0)
	v_mul_f32_e32 v5, v119, v158
	v_fma_f32 v8, v132, v140, -v8
	v_add_f32_e32 v2, v2, v4
	v_mul_f32_e32 v136, v118, v158
	v_fmac_f32_e32 v122, v133, v140
	v_add_f32_e32 v3, v3, v147
	v_mul_f32_e32 v4, v121, v159
	v_fma_f32 v5, v118, v137, -v5
	v_add_f32_e32 v2, v2, v8
	v_mul_f32_e32 v11, v120, v159
	v_fmac_f32_e32 v136, v119, v137
	v_add_f32_e32 v3, v3, v122
	v_mul_f32_e32 v8, v7, v174
	s_waitcnt vmcnt(1)
	v_fma_f32 v4, v120, v145, -v4
	v_add_f32_e32 v2, v2, v5
	v_mul_f32_e32 v155, v6, v174
	v_fmac_f32_e32 v11, v121, v145
	v_add_f32_e32 v3, v3, v136
	v_fma_f32 v5, v6, v143, -v8
	v_add_f32_e32 v2, v2, v4
	v_fmac_f32_e32 v155, v7, v143
	v_add_f32_e32 v3, v3, v11
	v_add_f32_e32 v2, v2, v5
	;; [unrolled: 1-line block ×3, first 2 shown]
	s_waitcnt vmcnt(0)
	v_sub_f32_e32 v2, v146, v2
	v_sub_f32_e32 v3, v166, v3
	buffer_store_dword v2, off, s[0:3], 0 offset:120
	buffer_store_dword v3, off, s[0:3], 0 offset:124
	v_cmpx_lt_u32_e32 14, v0
	s_cbranch_execz .LBB52_303
; %bb.302:
	s_clause 0x1
	buffer_load_dword v2, off, s[0:3], 0 offset:112
	buffer_load_dword v3, off, s[0:3], 0 offset:116
	buffer_store_dword v1, off, s[0:3], 0 offset:112
	buffer_store_dword v1, off, s[0:3], 0 offset:116
	s_waitcnt vmcnt(0)
	ds_write_b64 v9, v[2:3]
.LBB52_303:
	s_or_b32 exec_lo, exec_lo, s4
	s_waitcnt lgkmcnt(0)
	s_waitcnt_vscnt null, 0x0
	s_barrier
	buffer_gl0_inv
	s_clause 0x2b
	buffer_load_dword v6, off, s[0:3], 0 offset:124
	buffer_load_dword v7, off, s[0:3], 0 offset:136
	;; [unrolled: 1-line block ×44, first 2 shown]
	ds_read2_b64 v[2:5], v1 offset0:69 offset1:70
	ds_read2_b64 v[118:121], v1 offset0:71 offset1:72
	;; [unrolled: 1-line block ×3, first 2 shown]
	buffer_load_dword v166, off, s[0:3], 0 offset:116
	s_mov_b32 s4, exec_lo
	s_waitcnt vmcnt(44) lgkmcnt(2)
	v_mul_f32_e32 v165, v3, v6
	v_mul_f32_e32 v6, v2, v6
	s_waitcnt vmcnt(41)
	v_fma_f32 v165, v2, v10, -v165
	v_fmac_f32_e32 v6, v3, v10
	s_waitcnt vmcnt(40)
	v_mul_f32_e32 v10, v4, v11
	v_mul_f32_e32 v2, v5, v11
	s_waitcnt vmcnt(39) lgkmcnt(1)
	v_mul_f32_e32 v11, v118, v126
	v_mul_f32_e32 v126, v119, v126
	v_add_f32_e32 v6, 0, v6
	v_fmac_f32_e32 v10, v5, v8
	v_fma_f32 v8, v4, v8, -v2
	ds_read2_b64 v[2:5], v1 offset0:75 offset1:76
	v_fmac_f32_e32 v11, v119, v7
	v_fma_f32 v7, v118, v7, -v126
	s_waitcnt vmcnt(38)
	v_mul_f32_e32 v126, v120, v127
	v_mul_f32_e32 v118, v121, v127
	v_add_f32_e32 v6, v6, v10
	s_waitcnt vmcnt(34)
	v_fmac_f32_e32 v126, v121, v131
	v_fma_f32 v127, v120, v131, -v118
	ds_read2_b64 v[118:121], v1 offset0:77 offset1:78
	s_waitcnt vmcnt(33) lgkmcnt(2)
	v_mul_f32_e32 v131, v122, v132
	v_mul_f32_e32 v132, v123, v132
	v_add_f32_e32 v6, v6, v11
	v_fmac_f32_e32 v131, v123, v130
	v_fma_f32 v130, v122, v130, -v132
	s_waitcnt vmcnt(32)
	v_mul_f32_e32 v132, v124, v133
	v_mul_f32_e32 v122, v125, v133
	s_waitcnt vmcnt(31) lgkmcnt(1)
	v_mul_f32_e32 v133, v2, v134
	v_mul_f32_e32 v134, v3, v134
	v_add_f32_e32 v6, v6, v126
	v_fmac_f32_e32 v132, v125, v129
	v_fma_f32 v129, v124, v129, -v122
	ds_read2_b64 v[122:125], v1 offset0:79 offset1:80
	v_fmac_f32_e32 v133, v3, v128
	v_fma_f32 v128, v2, v128, -v134
	s_waitcnt vmcnt(30)
	v_mul_f32_e32 v134, v4, v135
	v_mul_f32_e32 v2, v5, v135
	v_add_f32_e32 v6, v6, v131
	s_waitcnt vmcnt(26)
	v_fmac_f32_e32 v134, v5, v139
	v_fma_f32 v135, v4, v139, -v2
	s_waitcnt vmcnt(25) lgkmcnt(1)
	v_mul_f32_e32 v139, v118, v140
	v_mul_f32_e32 v2, v119, v140
	s_waitcnt vmcnt(24)
	v_mul_f32_e32 v140, v120, v141
	v_mul_f32_e32 v141, v121, v141
	v_add_f32_e32 v6, v6, v132
	v_fmac_f32_e32 v139, v119, v138
	v_fma_f32 v138, v118, v138, -v2
	ds_read2_b64 v[2:5], v1 offset0:81 offset1:82
	v_fmac_f32_e32 v140, v121, v137
	v_fma_f32 v137, v120, v137, -v141
	ds_read2_b64 v[118:121], v1 offset0:83 offset1:84
	s_waitcnt vmcnt(23) lgkmcnt(2)
	v_mul_f32_e32 v141, v122, v142
	v_mul_f32_e32 v142, v123, v142
	v_fmac_f32_e32 v141, v123, v136
	v_fma_f32 v122, v122, v136, -v142
	s_waitcnt vmcnt(22)
	v_mul_f32_e32 v123, v124, v143
	v_mul_f32_e32 v136, v125, v143
	s_waitcnt vmcnt(18)
	v_fmac_f32_e32 v123, v125, v147
	v_fma_f32 v124, v124, v147, -v136
	s_clause 0x1
	buffer_load_dword v125, off, s[0:3], 0 offset:292
	buffer_load_dword v136, off, s[0:3], 0 offset:300
	s_waitcnt vmcnt(19) lgkmcnt(1)
	v_mul_f32_e32 v142, v2, v148
	v_mul_f32_e32 v143, v3, v148
	s_waitcnt vmcnt(18)
	v_mul_f32_e32 v147, v4, v149
	v_mul_f32_e32 v148, v5, v149
	s_waitcnt vmcnt(17) lgkmcnt(0)
	v_mul_f32_e32 v149, v118, v150
	v_mul_f32_e32 v150, v119, v150
	v_fmac_f32_e32 v142, v3, v146
	v_fma_f32 v143, v2, v146, -v143
	s_waitcnt vmcnt(16)
	v_mul_f32_e32 v146, v120, v151
	v_mul_f32_e32 v151, v121, v151
	v_fmac_f32_e32 v147, v5, v145
	v_fma_f32 v145, v4, v145, -v148
	ds_read2_b64 v[2:5], v1 offset0:85 offset1:86
	v_fmac_f32_e32 v149, v119, v144
	v_fma_f32 v144, v118, v144, -v150
	s_waitcnt vmcnt(12)
	v_fmac_f32_e32 v146, v121, v155
	v_fma_f32 v148, v120, v155, -v151
	v_add_f32_e32 v118, 0, v165
	s_clause 0x4
	buffer_load_dword v150, off, s[0:3], 0 offset:308
	buffer_load_dword v151, off, s[0:3], 0 offset:328
	;; [unrolled: 1-line block ×5, first 2 shown]
	v_add_f32_e32 v8, v118, v8
	v_add_f32_e32 v7, v8, v7
	s_clause 0x2
	buffer_load_dword v8, off, s[0:3], 0 offset:316
	buffer_load_dword v10, off, s[0:3], 0 offset:324
	buffer_load_dword v11, off, s[0:3], 0 offset:332
	ds_read2_b64 v[118:121], v1 offset0:87 offset1:88
	v_add_f32_e32 v7, v7, v127
	s_waitcnt vmcnt(19) lgkmcnt(1)
	v_mul_f32_e32 v126, v2, v156
	v_mul_f32_e32 v127, v3, v156
	s_waitcnt vmcnt(18)
	v_mul_f32_e32 v131, v5, v157
	v_add_f32_e32 v7, v7, v130
	v_mul_f32_e32 v130, v4, v157
	v_fmac_f32_e32 v126, v3, v154
	v_add_f32_e32 v3, v7, v129
	v_fma_f32 v7, v2, v154, -v127
	v_fmac_f32_e32 v130, v5, v153
	v_fma_f32 v127, v4, v153, -v131
	v_add_f32_e32 v2, v3, v128
	v_add_f32_e32 v3, v6, v133
	s_clause 0x7
	buffer_load_dword v6, off, s[0:3], 0 offset:340
	buffer_load_dword v153, off, s[0:3], 0 offset:348
	;; [unrolled: 1-line block ×8, first 2 shown]
	s_waitcnt vmcnt(25) lgkmcnt(0)
	v_mul_f32_e32 v4, v119, v158
	v_mul_f32_e32 v128, v118, v158
	v_add_f32_e32 v2, v2, v135
	v_add_f32_e32 v3, v3, v134
	s_clause 0x3
	buffer_load_dword v158, off, s[0:3], 0 offset:372
	buffer_load_dword v171, off, s[0:3], 0 offset:380
	;; [unrolled: 1-line block ×4, first 2 shown]
	v_fma_f32 v129, v118, v152, -v4
	v_fmac_f32_e32 v128, v119, v152
	v_add_f32_e32 v2, v2, v138
	v_add_f32_e32 v118, v3, v139
	s_waitcnt vmcnt(28)
	v_mul_f32_e32 v3, v121, v159
	s_clause 0x1
	buffer_load_dword v138, off, s[0:3], 0 offset:404
	buffer_load_dword v152, off, s[0:3], 0 offset:412
	v_mul_f32_e32 v131, v120, v159
	v_add_f32_e32 v119, v2, v137
	v_add_f32_e32 v118, v118, v140
	s_waitcnt vmcnt(26)
	v_fma_f32 v132, v120, v163, -v3
	ds_read2_b64 v[2:5], v1 offset0:89 offset1:90
	buffer_load_dword v139, off, s[0:3], 0 offset:420
	v_fmac_f32_e32 v131, v121, v163
	v_add_f32_e32 v119, v119, v122
	v_add_f32_e32 v118, v118, v141
	s_clause 0x3
	buffer_load_dword v140, off, s[0:3], 0 offset:392
	buffer_load_dword v141, off, s[0:3], 0 offset:384
	buffer_load_dword v159, off, s[0:3], 0 offset:376
	buffer_load_dword v163, off, s[0:3], 0 offset:368
	v_add_f32_e32 v119, v119, v124
	v_add_f32_e32 v118, v118, v123
	;; [unrolled: 1-line block ×4, first 2 shown]
	ds_read2_b64 v[118:121], v1 offset0:91 offset1:92
	v_add_f32_e32 v122, v122, v145
	s_waitcnt vmcnt(30) lgkmcnt(1)
	v_mul_f32_e32 v133, v2, v164
	v_mul_f32_e32 v124, v3, v164
	v_fmac_f32_e32 v133, v3, v162
	v_add_f32_e32 v3, v122, v144
	s_clause 0x3
	buffer_load_dword v142, off, s[0:3], 0 offset:416
	buffer_load_dword v143, off, s[0:3], 0 offset:408
	;; [unrolled: 1-line block ×4, first 2 shown]
	v_fma_f32 v134, v2, v162, -v124
	v_add_f32_e32 v2, v123, v147
	v_add_f32_e32 v3, v3, v148
	;; [unrolled: 1-line block ×11, first 2 shown]
	s_waitcnt vmcnt(32)
	v_mul_f32_e32 v135, v4, v125
	v_mul_f32_e32 v122, v5, v125
	s_waitcnt vmcnt(31) lgkmcnt(0)
	v_mul_f32_e32 v127, v119, v136
	v_mul_f32_e32 v146, v118, v136
	v_fmac_f32_e32 v135, v5, v161
	v_fma_f32 v137, v4, v161, -v122
	ds_read2_b64 v[2:5], v1 offset0:93 offset1:94
	ds_read2_b64 v[122:125], v1 offset0:95 offset1:96
	v_fma_f32 v136, v118, v160, -v127
	v_fmac_f32_e32 v146, v119, v160
	v_add_f32_e32 v7, v7, v137
	v_add_f32_e32 v7, v7, v136
	s_waitcnt vmcnt(30)
	v_mul_f32_e32 v130, v121, v150
	v_mul_f32_e32 v147, v120, v150
	s_waitcnt vmcnt(26)
	v_fma_f32 v148, v120, v167, -v130
	v_add_f32_e32 v130, v126, v128
	v_fmac_f32_e32 v147, v121, v167
	ds_read2_b64 v[118:121], v1 offset0:97 offset1:98
	ds_read2_b64 v[126:129], v1 offset0:99 offset1:100
	v_add_f32_e32 v7, v7, v148
	v_add_f32_e32 v130, v130, v131
	s_waitcnt vmcnt(25) lgkmcnt(3)
	v_mul_f32_e32 v149, v2, v8
	s_waitcnt vmcnt(24)
	v_mul_f32_e32 v150, v4, v10
	v_mul_f32_e32 v10, v5, v10
	;; [unrolled: 1-line block ×3, first 2 shown]
	v_add_f32_e32 v134, v130, v133
	v_fmac_f32_e32 v149, v3, v165
	v_fmac_f32_e32 v150, v5, v155
	v_fma_f32 v10, v4, v155, -v10
	v_fma_f32 v8, v2, v165, -v8
	v_add_f32_e32 v155, v134, v135
	ds_read2_b64 v[2:5], v1 offset0:101 offset1:102
	ds_read2_b64 v[130:133], v1 offset0:103 offset1:104
	;; [unrolled: 1-line block ×3, first 2 shown]
	s_waitcnt vmcnt(23) lgkmcnt(5)
	v_mul_f32_e32 v160, v122, v11
	v_mul_f32_e32 v11, v123, v11
	v_add_f32_e32 v1, v155, v146
	v_add_f32_e32 v7, v7, v8
	v_fmac_f32_e32 v160, v123, v151
	v_fma_f32 v11, v122, v151, -v11
	v_add_f32_e32 v1, v1, v147
	s_waitcnt vmcnt(22)
	v_mul_f32_e32 v122, v124, v6
	v_mul_f32_e32 v6, v125, v6
	v_add_f32_e32 v7, v7, v10
	s_waitcnt vmcnt(21) lgkmcnt(4)
	v_mul_f32_e32 v147, v119, v153
	v_add_f32_e32 v1, v1, v149
	v_mul_f32_e32 v123, v118, v153
	s_waitcnt vmcnt(15)
	v_fma_f32 v6, v124, v170, -v6
	v_add_f32_e32 v7, v7, v11
	v_fmac_f32_e32 v122, v125, v170
	v_add_f32_e32 v1, v1, v150
	v_mul_f32_e32 v10, v121, v154
	v_fma_f32 v118, v118, v169, -v147
	v_add_f32_e32 v6, v7, v6
	v_mul_f32_e32 v146, v120, v154
	v_add_f32_e32 v1, v1, v160
	v_fmac_f32_e32 v123, v119, v169
	s_waitcnt lgkmcnt(3)
	v_mul_f32_e32 v7, v127, v156
	v_fma_f32 v10, v120, v168, -v10
	v_add_f32_e32 v6, v6, v118
	v_add_f32_e32 v1, v1, v122
	v_mul_f32_e32 v124, v126, v156
	v_fmac_f32_e32 v146, v121, v168
	s_waitcnt vmcnt(14)
	v_mul_f32_e32 v118, v129, v158
	v_fma_f32 v7, v126, v157, -v7
	v_add_f32_e32 v1, v1, v123
	v_add_f32_e32 v6, v6, v10
	v_mul_f32_e32 v125, v128, v158
	v_fmac_f32_e32 v124, v127, v157
	s_waitcnt vmcnt(13) lgkmcnt(2)
	v_mul_f32_e32 v8, v2, v171
	v_add_f32_e32 v1, v1, v146
	v_mul_f32_e32 v10, v3, v171
	s_waitcnt vmcnt(4)
	v_fma_f32 v118, v128, v163, -v118
	v_add_f32_e32 v6, v6, v7
	v_fmac_f32_e32 v125, v129, v163
	v_add_f32_e32 v1, v1, v124
	v_mul_f32_e32 v7, v5, v172
	v_fmac_f32_e32 v8, v3, v159
	v_fma_f32 v2, v2, v159, -v10
	v_add_f32_e32 v3, v6, v118
	v_mul_f32_e32 v148, v4, v172
	v_add_f32_e32 v1, v1, v125
	s_waitcnt lgkmcnt(1)
	v_mul_f32_e32 v6, v131, v173
	v_fma_f32 v4, v4, v141, -v7
	v_add_f32_e32 v2, v3, v2
	v_mul_f32_e32 v149, v130, v173
	v_fmac_f32_e32 v148, v5, v141
	v_add_f32_e32 v1, v1, v8
	v_mul_f32_e32 v3, v133, v138
	v_fma_f32 v5, v130, v140, -v6
	v_add_f32_e32 v2, v2, v4
	v_mul_f32_e32 v150, v132, v138
	v_fmac_f32_e32 v149, v131, v140
	v_add_f32_e32 v1, v1, v148
	s_waitcnt lgkmcnt(0)
	v_mul_f32_e32 v4, v135, v152
	s_waitcnt vmcnt(1)
	v_fma_f32 v3, v132, v144, -v3
	v_add_f32_e32 v2, v2, v5
	v_mul_f32_e32 v151, v134, v152
	v_fmac_f32_e32 v150, v133, v144
	v_add_f32_e32 v1, v1, v149
	v_mul_f32_e32 v5, v137, v139
	v_fma_f32 v4, v134, v143, -v4
	v_add_f32_e32 v2, v2, v3
	v_mul_f32_e32 v11, v136, v139
	v_fmac_f32_e32 v151, v135, v143
	v_add_f32_e32 v1, v1, v150
	v_fma_f32 v3, v136, v142, -v5
	v_add_f32_e32 v2, v2, v4
	v_fmac_f32_e32 v11, v137, v142
	v_add_f32_e32 v1, v1, v151
	v_add_f32_e32 v2, v2, v3
	v_add_f32_e32 v1, v1, v11
	s_waitcnt vmcnt(0)
	v_sub_f32_e32 v2, v145, v2
	v_sub_f32_e32 v1, v166, v1
	buffer_store_dword v2, off, s[0:3], 0 offset:112
	buffer_store_dword v1, off, s[0:3], 0 offset:116
	v_cmpx_lt_u32_e32 13, v0
	s_cbranch_execz .LBB52_305
; %bb.304:
	s_clause 0x1
	buffer_load_dword v1, off, s[0:3], 0 offset:104
	buffer_load_dword v2, off, s[0:3], 0 offset:108
	v_mov_b32_e32 v3, 0
	buffer_store_dword v3, off, s[0:3], 0 offset:104
	buffer_store_dword v3, off, s[0:3], 0 offset:108
	s_waitcnt vmcnt(0)
	ds_write_b64 v9, v[1:2]
.LBB52_305:
	s_or_b32 exec_lo, exec_lo, s4
	s_waitcnt lgkmcnt(0)
	s_waitcnt_vscnt null, 0x0
	s_barrier
	buffer_gl0_inv
	s_clause 0x2c
	buffer_load_dword v6, off, s[0:3], 0 offset:116
	buffer_load_dword v7, off, s[0:3], 0 offset:124
	;; [unrolled: 1-line block ×45, first 2 shown]
	v_mov_b32_e32 v1, 0
	ds_read_b128 v[2:5], v1 offset:544
	ds_read_b128 v[118:121], v1 offset:560
	s_clause 0x2
	buffer_load_dword v164, off, s[0:3], 0 offset:108
	buffer_load_dword v165, off, s[0:3], 0 offset:292
	;; [unrolled: 1-line block ×3, first 2 shown]
	s_mov_b32 s4, exec_lo
	s_waitcnt vmcnt(47) lgkmcnt(1)
	v_mul_f32_e32 v162, v3, v6
	v_mul_f32_e32 v6, v2, v6
	s_waitcnt vmcnt(46)
	v_mul_f32_e32 v163, v4, v7
	v_mul_f32_e32 v7, v5, v7
	s_waitcnt vmcnt(43)
	v_fma_f32 v162, v2, v11, -v162
	v_fmac_f32_e32 v6, v3, v11
	v_fmac_f32_e32 v163, v5, v10
	v_fma_f32 v7, v4, v10, -v7
	ds_read_b128 v[2:5], v1 offset:576
	s_waitcnt vmcnt(42) lgkmcnt(1)
	v_mul_f32_e32 v10, v118, v122
	v_mul_f32_e32 v11, v119, v122
	s_waitcnt vmcnt(41)
	v_mul_f32_e32 v122, v120, v123
	v_mul_f32_e32 v123, v121, v123
	v_fmac_f32_e32 v10, v119, v8
	v_fma_f32 v8, v118, v8, -v11
	s_waitcnt vmcnt(37)
	v_fmac_f32_e32 v122, v121, v127
	v_fma_f32 v11, v120, v127, -v123
	ds_read_b128 v[118:121], v1 offset:592
	s_waitcnt vmcnt(36) lgkmcnt(1)
	v_mul_f32_e32 v123, v2, v128
	v_mul_f32_e32 v127, v3, v128
	s_waitcnt vmcnt(35)
	v_mul_f32_e32 v128, v4, v129
	v_mul_f32_e32 v129, v5, v129
	v_fmac_f32_e32 v123, v3, v126
	v_fma_f32 v126, v2, v126, -v127
	v_fmac_f32_e32 v128, v5, v125
	v_fma_f32 v125, v4, v125, -v129
	ds_read_b128 v[2:5], v1 offset:608
	s_waitcnt vmcnt(34) lgkmcnt(1)
	v_mul_f32_e32 v127, v118, v130
	v_mul_f32_e32 v129, v119, v130
	s_waitcnt vmcnt(33)
	v_mul_f32_e32 v130, v120, v131
	v_mul_f32_e32 v131, v121, v131
	v_fmac_f32_e32 v127, v119, v124
	v_fma_f32 v124, v118, v124, -v129
	s_waitcnt vmcnt(29)
	v_fmac_f32_e32 v130, v121, v135
	v_fma_f32 v129, v120, v135, -v131
	ds_read_b128 v[118:121], v1 offset:624
	s_waitcnt vmcnt(28) lgkmcnt(1)
	v_mul_f32_e32 v131, v2, v136
	v_mul_f32_e32 v135, v3, v136
	s_waitcnt vmcnt(27)
	v_mul_f32_e32 v136, v4, v137
	v_mul_f32_e32 v137, v5, v137
	v_fmac_f32_e32 v131, v3, v134
	v_fma_f32 v134, v2, v134, -v135
	;; [unrolled: 23-line block ×5, first 2 shown]
	v_fmac_f32_e32 v160, v5, v157
	v_fma_f32 v157, v4, v157, -v161
	s_clause 0x3
	buffer_load_dword v159, off, s[0:3], 0 offset:320
	buffer_load_dword v161, off, s[0:3], 0 offset:312
	;; [unrolled: 1-line block ×4, first 2 shown]
	s_waitcnt vmcnt(5) lgkmcnt(0)
	v_mul_f32_e32 v168, v118, v165
	v_mul_f32_e32 v3, v119, v165
	s_waitcnt vmcnt(4)
	v_mul_f32_e32 v165, v120, v166
	v_mul_f32_e32 v4, v121, v166
	s_clause 0x1
	buffer_load_dword v166, off, s[0:3], 0 offset:308
	buffer_load_dword v170, off, s[0:3], 0 offset:316
	v_fmac_f32_e32 v168, v119, v156
	v_fma_f32 v156, v118, v156, -v3
	v_add_f32_e32 v3, 0, v6
	buffer_load_dword v6, off, s[0:3], 0 offset:332
	v_add_f32_e32 v3, v3, v163
	v_add_f32_e32 v3, v3, v10
	;; [unrolled: 1-line block ×17, first 2 shown]
	s_waitcnt vmcnt(3)
	v_fmac_f32_e32 v165, v121, v2
	v_fma_f32 v169, v120, v2, -v4
	v_add_f32_e32 v2, 0, v162
	buffer_load_dword v162, off, s[0:3], 0 offset:324
	v_add_f32_e32 v2, v2, v7
	v_add_f32_e32 v2, v2, v8
	s_clause 0x3
	buffer_load_dword v8, off, s[0:3], 0 offset:352
	buffer_load_dword v163, off, s[0:3], 0 offset:344
	buffer_load_dword v171, off, s[0:3], 0 offset:336
	buffer_load_dword v7, off, s[0:3], 0 offset:328
	v_add_f32_e32 v2, v2, v11
	s_clause 0x8
	buffer_load_dword v10, off, s[0:3], 0 offset:340
	buffer_load_dword v11, off, s[0:3], 0 offset:348
	;; [unrolled: 1-line block ×9, first 2 shown]
	v_add_f32_e32 v2, v2, v126
	s_clause 0x1
	buffer_load_dword v179, off, s[0:3], 0 offset:412
	buffer_load_dword v180, off, s[0:3], 0 offset:420
	v_add_f32_e32 v126, v122, v151
	v_add_f32_e32 v2, v2, v125
	;; [unrolled: 1-line block ×7, first 2 shown]
	s_clause 0x3
	buffer_load_dword v134, off, s[0:3], 0 offset:384
	buffer_load_dword v181, off, s[0:3], 0 offset:376
	;; [unrolled: 1-line block ×4, first 2 shown]
	v_add_f32_e32 v2, v2, v133
	v_add_f32_e32 v2, v2, v132
	;; [unrolled: 1-line block ×3, first 2 shown]
	s_clause 0x4
	buffer_load_dword v135, off, s[0:3], 0 offset:416
	buffer_load_dword v136, off, s[0:3], 0 offset:408
	;; [unrolled: 1-line block ×5, first 2 shown]
	v_add_f32_e32 v2, v2, v142
	v_add_f32_e32 v118, v2, v141
	ds_read_b128 v[2:5], v1 offset:736
	v_add_f32_e32 v118, v118, v140
	v_add_f32_e32 v118, v118, v145
	;; [unrolled: 1-line block ×3, first 2 shown]
	ds_read_b128 v[118:121], v1 offset:752
	v_add_f32_e32 v123, v123, v149
	s_waitcnt vmcnt(27) lgkmcnt(1)
	v_mul_f32_e32 v139, v2, v166
	v_mul_f32_e32 v124, v3, v166
	s_waitcnt vmcnt(26)
	v_mul_f32_e32 v140, v4, v170
	v_mul_f32_e32 v125, v5, v170
	v_fmac_f32_e32 v139, v3, v167
	v_add_f32_e32 v3, v123, v148
	v_fma_f32 v141, v2, v167, -v124
	v_fmac_f32_e32 v140, v5, v161
	v_fma_f32 v142, v4, v161, -v125
	v_add_f32_e32 v130, v3, v153
	ds_read_b128 v[2:5], v1 offset:768
	ds_read_b128 v[122:125], v1 offset:784
	;; [unrolled: 1-line block ×3, first 2 shown]
	s_waitcnt vmcnt(25) lgkmcnt(3)
	v_mul_f32_e32 v144, v120, v6
	v_add_f32_e32 v130, v130, v158
	v_mul_f32_e32 v6, v121, v6
	v_add_f32_e32 v130, v130, v157
	s_waitcnt vmcnt(24)
	v_mul_f32_e32 v132, v119, v162
	v_mul_f32_e32 v143, v118, v162
	v_fma_f32 v145, v118, v159, -v132
	v_add_f32_e32 v118, v131, v160
	v_fmac_f32_e32 v143, v119, v159
	v_add_f32_e32 v119, v130, v156
	ds_read_b128 v[130:133], v1 offset:816
	s_waitcnt vmcnt(20)
	v_fma_f32 v146, v120, v7, -v6
	v_add_f32_e32 v147, v118, v168
	v_fmac_f32_e32 v144, v121, v7
	v_add_f32_e32 v148, v119, v169
	s_waitcnt vmcnt(19) lgkmcnt(3)
	v_mul_f32_e32 v149, v2, v10
	v_mul_f32_e32 v10, v3, v10
	v_add_f32_e32 v147, v147, v165
	s_waitcnt vmcnt(18)
	v_mul_f32_e32 v150, v4, v11
	v_add_f32_e32 v141, v148, v141
	v_mul_f32_e32 v11, v5, v11
	v_fma_f32 v2, v2, v171, -v10
	v_add_f32_e32 v139, v147, v139
	v_fmac_f32_e32 v149, v3, v171
	v_add_f32_e32 v141, v141, v142
	s_waitcnt vmcnt(17) lgkmcnt(2)
	v_mul_f32_e32 v147, v122, v172
	v_fma_f32 v4, v4, v163, -v11
	v_add_f32_e32 v139, v139, v140
	v_fmac_f32_e32 v150, v5, v163
	v_add_f32_e32 v141, v141, v145
	v_fmac_f32_e32 v147, v123, v8
	s_waitcnt vmcnt(16)
	v_mul_f32_e32 v142, v124, v173
	v_add_f32_e32 v10, v139, v143
	ds_read_b128 v[118:121], v1 offset:832
	ds_read_b64 v[6:7], v1 offset:848
	v_add_f32_e32 v141, v141, v146
	v_mul_f32_e32 v146, v123, v172
	s_waitcnt vmcnt(15) lgkmcnt(3)
	v_mul_f32_e32 v148, v126, v174
	v_add_f32_e32 v10, v10, v144
	s_waitcnt vmcnt(14)
	v_mul_f32_e32 v140, v128, v175
	v_add_f32_e32 v2, v141, v2
	v_fma_f32 v8, v122, v8, -v146
	s_waitcnt vmcnt(5)
	v_fmac_f32_e32 v142, v125, v183
	v_add_f32_e32 v5, v10, v149
	v_mul_f32_e32 v10, v125, v173
	v_add_f32_e32 v2, v2, v4
	v_fmac_f32_e32 v148, v127, v182
	s_waitcnt lgkmcnt(2)
	v_mul_f32_e32 v145, v130, v176
	v_add_f32_e32 v4, v5, v150
	v_mul_f32_e32 v5, v127, v174
	v_fma_f32 v10, v124, v183, -v10
	v_add_f32_e32 v2, v2, v8
	v_mul_f32_e32 v8, v129, v175
	v_add_f32_e32 v4, v4, v147
	v_fma_f32 v5, v126, v182, -v5
	v_fmac_f32_e32 v140, v129, v181
	v_add_f32_e32 v2, v2, v10
	v_mul_f32_e32 v10, v131, v176
	v_add_f32_e32 v4, v4, v142
	v_fma_f32 v8, v128, v181, -v8
	v_mul_f32_e32 v3, v132, v177
	v_add_f32_e32 v2, v2, v5
	v_mul_f32_e32 v5, v133, v177
	v_add_f32_e32 v4, v4, v148
	v_fma_f32 v10, v130, v134, -v10
	v_fmac_f32_e32 v145, v131, v134
	v_add_f32_e32 v2, v2, v8
	s_waitcnt lgkmcnt(1)
	v_mul_f32_e32 v8, v119, v178
	v_add_f32_e32 v4, v4, v140
	s_waitcnt vmcnt(1)
	v_fma_f32 v5, v132, v184, -v5
	v_mul_f32_e32 v139, v118, v178
	v_add_f32_e32 v2, v2, v10
	v_fmac_f32_e32 v3, v133, v184
	v_add_f32_e32 v4, v4, v145
	v_mul_f32_e32 v10, v121, v179
	v_fma_f32 v8, v118, v137, -v8
	v_add_f32_e32 v2, v2, v5
	v_mul_f32_e32 v143, v120, v179
	v_fmac_f32_e32 v139, v119, v137
	v_add_f32_e32 v3, v4, v3
	s_waitcnt lgkmcnt(0)
	v_mul_f32_e32 v4, v7, v180
	v_fma_f32 v5, v120, v136, -v10
	v_add_f32_e32 v2, v2, v8
	v_mul_f32_e32 v144, v6, v180
	v_fmac_f32_e32 v143, v121, v136
	v_add_f32_e32 v3, v3, v139
	v_fma_f32 v4, v6, v135, -v4
	v_add_f32_e32 v2, v2, v5
	v_fmac_f32_e32 v144, v7, v135
	v_add_f32_e32 v3, v3, v143
	v_add_f32_e32 v2, v2, v4
	v_add_f32_e32 v3, v3, v144
	s_waitcnt vmcnt(0)
	v_sub_f32_e32 v2, v138, v2
	v_sub_f32_e32 v3, v164, v3
	buffer_store_dword v2, off, s[0:3], 0 offset:104
	buffer_store_dword v3, off, s[0:3], 0 offset:108
	v_cmpx_lt_u32_e32 12, v0
	s_cbranch_execz .LBB52_307
; %bb.306:
	s_clause 0x1
	buffer_load_dword v2, off, s[0:3], 0 offset:96
	buffer_load_dword v3, off, s[0:3], 0 offset:100
	buffer_store_dword v1, off, s[0:3], 0 offset:96
	buffer_store_dword v1, off, s[0:3], 0 offset:100
	s_waitcnt vmcnt(0)
	ds_write_b64 v9, v[2:3]
.LBB52_307:
	s_or_b32 exec_lo, exec_lo, s4
	s_waitcnt lgkmcnt(0)
	s_waitcnt_vscnt null, 0x0
	s_barrier
	buffer_gl0_inv
	s_clause 0x2c
	buffer_load_dword v6, off, s[0:3], 0 offset:108
	buffer_load_dword v7, off, s[0:3], 0 offset:116
	buffer_load_dword v8, off, s[0:3], 0 offset:120
	buffer_load_dword v10, off, s[0:3], 0 offset:112
	buffer_load_dword v11, off, s[0:3], 0 offset:104
	buffer_load_dword v122, off, s[0:3], 0 offset:124
	buffer_load_dword v123, off, s[0:3], 0 offset:132
	buffer_load_dword v124, off, s[0:3], 0 offset:152
	buffer_load_dword v125, off, s[0:3], 0 offset:144
	buffer_load_dword v126, off, s[0:3], 0 offset:136
	buffer_load_dword v127, off, s[0:3], 0 offset:128
	buffer_load_dword v128, off, s[0:3], 0 offset:140
	buffer_load_dword v129, off, s[0:3], 0 offset:148
	buffer_load_dword v130, off, s[0:3], 0 offset:156
	buffer_load_dword v131, off, s[0:3], 0 offset:164
	buffer_load_dword v132, off, s[0:3], 0 offset:184
	buffer_load_dword v133, off, s[0:3], 0 offset:176
	buffer_load_dword v134, off, s[0:3], 0 offset:168
	buffer_load_dword v135, off, s[0:3], 0 offset:160
	buffer_load_dword v136, off, s[0:3], 0 offset:172
	buffer_load_dword v137, off, s[0:3], 0 offset:180
	buffer_load_dword v138, off, s[0:3], 0 offset:188
	buffer_load_dword v139, off, s[0:3], 0 offset:196
	buffer_load_dword v140, off, s[0:3], 0 offset:216
	buffer_load_dword v141, off, s[0:3], 0 offset:208
	buffer_load_dword v142, off, s[0:3], 0 offset:200
	buffer_load_dword v143, off, s[0:3], 0 offset:192
	buffer_load_dword v144, off, s[0:3], 0 offset:204
	buffer_load_dword v145, off, s[0:3], 0 offset:212
	buffer_load_dword v146, off, s[0:3], 0 offset:220
	buffer_load_dword v147, off, s[0:3], 0 offset:228
	buffer_load_dword v148, off, s[0:3], 0 offset:248
	buffer_load_dword v149, off, s[0:3], 0 offset:240
	buffer_load_dword v150, off, s[0:3], 0 offset:232
	buffer_load_dword v151, off, s[0:3], 0 offset:224
	buffer_load_dword v152, off, s[0:3], 0 offset:236
	buffer_load_dword v153, off, s[0:3], 0 offset:244
	buffer_load_dword v154, off, s[0:3], 0 offset:252
	buffer_load_dword v155, off, s[0:3], 0 offset:260
	buffer_load_dword v156, off, s[0:3], 0 offset:280
	buffer_load_dword v157, off, s[0:3], 0 offset:272
	buffer_load_dword v158, off, s[0:3], 0 offset:264
	buffer_load_dword v159, off, s[0:3], 0 offset:256
	buffer_load_dword v160, off, s[0:3], 0 offset:268
	buffer_load_dword v161, off, s[0:3], 0 offset:276
	ds_read2_b64 v[2:5], v1 offset0:67 offset1:68
	ds_read2_b64 v[118:121], v1 offset0:69 offset1:70
	s_clause 0x2
	buffer_load_dword v164, off, s[0:3], 0 offset:100
	buffer_load_dword v165, off, s[0:3], 0 offset:284
	;; [unrolled: 1-line block ×3, first 2 shown]
	s_mov_b32 s4, exec_lo
	s_waitcnt vmcnt(47) lgkmcnt(1)
	v_mul_f32_e32 v162, v3, v6
	v_mul_f32_e32 v6, v2, v6
	s_waitcnt vmcnt(46)
	v_mul_f32_e32 v163, v4, v7
	v_mul_f32_e32 v7, v5, v7
	s_waitcnt vmcnt(43)
	v_fma_f32 v162, v2, v11, -v162
	v_fmac_f32_e32 v6, v3, v11
	v_fmac_f32_e32 v163, v5, v10
	v_fma_f32 v7, v4, v10, -v7
	ds_read2_b64 v[2:5], v1 offset0:71 offset1:72
	s_waitcnt vmcnt(42) lgkmcnt(1)
	v_mul_f32_e32 v10, v118, v122
	v_mul_f32_e32 v11, v119, v122
	s_waitcnt vmcnt(41)
	v_mul_f32_e32 v122, v120, v123
	v_mul_f32_e32 v123, v121, v123
	v_fmac_f32_e32 v10, v119, v8
	v_fma_f32 v8, v118, v8, -v11
	s_waitcnt vmcnt(37)
	v_fmac_f32_e32 v122, v121, v127
	v_fma_f32 v11, v120, v127, -v123
	ds_read2_b64 v[118:121], v1 offset0:73 offset1:74
	s_waitcnt vmcnt(36) lgkmcnt(1)
	v_mul_f32_e32 v123, v2, v128
	v_mul_f32_e32 v127, v3, v128
	s_waitcnt vmcnt(35)
	v_mul_f32_e32 v128, v4, v129
	v_mul_f32_e32 v129, v5, v129
	v_fmac_f32_e32 v123, v3, v126
	v_fma_f32 v126, v2, v126, -v127
	v_fmac_f32_e32 v128, v5, v125
	v_fma_f32 v125, v4, v125, -v129
	ds_read2_b64 v[2:5], v1 offset0:75 offset1:76
	s_waitcnt vmcnt(34) lgkmcnt(1)
	v_mul_f32_e32 v127, v118, v130
	v_mul_f32_e32 v129, v119, v130
	s_waitcnt vmcnt(33)
	v_mul_f32_e32 v130, v120, v131
	v_mul_f32_e32 v131, v121, v131
	v_fmac_f32_e32 v127, v119, v124
	v_fma_f32 v124, v118, v124, -v129
	s_waitcnt vmcnt(29)
	v_fmac_f32_e32 v130, v121, v135
	v_fma_f32 v129, v120, v135, -v131
	ds_read2_b64 v[118:121], v1 offset0:77 offset1:78
	s_waitcnt vmcnt(28) lgkmcnt(1)
	v_mul_f32_e32 v131, v2, v136
	v_mul_f32_e32 v135, v3, v136
	s_waitcnt vmcnt(27)
	v_mul_f32_e32 v136, v4, v137
	v_mul_f32_e32 v137, v5, v137
	v_fmac_f32_e32 v131, v3, v134
	v_fma_f32 v134, v2, v134, -v135
	;; [unrolled: 23-line block ×5, first 2 shown]
	v_fmac_f32_e32 v160, v5, v157
	v_fma_f32 v157, v4, v157, -v161
	s_clause 0x5
	buffer_load_dword v159, off, s[0:3], 0 offset:312
	buffer_load_dword v161, off, s[0:3], 0 offset:304
	;; [unrolled: 1-line block ×6, first 2 shown]
	v_add_f32_e32 v3, 0, v162
	v_add_f32_e32 v4, 0, v6
	buffer_load_dword v6, off, s[0:3], 0 offset:316
	s_waitcnt vmcnt(8) lgkmcnt(0)
	v_mul_f32_e32 v5, v119, v165
	s_waitcnt vmcnt(7)
	v_mul_f32_e32 v170, v120, v166
	v_add_f32_e32 v3, v3, v7
	v_add_f32_e32 v4, v4, v163
	v_mul_f32_e32 v7, v118, v165
	v_add_f32_e32 v3, v3, v8
	v_add_f32_e32 v4, v4, v10
	buffer_load_dword v8, off, s[0:3], 0 offset:324
	v_fmac_f32_e32 v7, v119, v156
	v_fma_f32 v10, v118, v156, -v5
	v_add_f32_e32 v3, v3, v11
	s_clause 0x6
	buffer_load_dword v11, off, s[0:3], 0 offset:344
	buffer_load_dword v156, off, s[0:3], 0 offset:336
	;; [unrolled: 1-line block ×7, first 2 shown]
	v_add_f32_e32 v4, v4, v122
	v_add_f32_e32 v3, v3, v126
	v_mul_f32_e32 v5, v121, v166
	s_clause 0x3
	buffer_load_dword v166, off, s[0:3], 0 offset:340
	buffer_load_dword v174, off, s[0:3], 0 offset:364
	;; [unrolled: 1-line block ×4, first 2 shown]
	v_add_f32_e32 v4, v4, v123
	v_add_f32_e32 v3, v3, v125
	s_clause 0x8
	buffer_load_dword v177, off, s[0:3], 0 offset:388
	buffer_load_dword v178, off, s[0:3], 0 offset:396
	;; [unrolled: 1-line block ×9, first 2 shown]
	v_add_f32_e32 v4, v4, v128
	s_waitcnt vmcnt(24)
	v_fmac_f32_e32 v170, v121, v2
	v_fma_f32 v172, v120, v2, -v5
	v_add_f32_e32 v2, v3, v124
	v_add_f32_e32 v3, v4, v127
	;; [unrolled: 1-line block ×12, first 2 shown]
	s_clause 0x3
	buffer_load_dword v138, off, s[0:3], 0 offset:408
	buffer_load_dword v186, off, s[0:3], 0 offset:400
	;; [unrolled: 1-line block ×4, first 2 shown]
	v_add_f32_e32 v2, v2, v142
	buffer_load_dword v142, off, s[0:3], 0 offset:416
	v_add_f32_e32 v3, v3, v139
	buffer_load_dword v139, off, s[0:3], 0 offset:96
	v_add_f32_e32 v2, v2, v141
	v_add_f32_e32 v3, v3, v144
	;; [unrolled: 1-line block ×4, first 2 shown]
	ds_read2_b64 v[2:5], v1 offset0:91 offset1:92
	v_add_f32_e32 v118, v118, v145
	v_add_f32_e32 v119, v119, v146
	;; [unrolled: 1-line block ×4, first 2 shown]
	ds_read2_b64 v[118:121], v1 offset0:93 offset1:94
	v_add_f32_e32 v122, v122, v149
	v_add_f32_e32 v123, v123, v152
	;; [unrolled: 1-line block ×4, first 2 shown]
	s_waitcnt vmcnt(29) lgkmcnt(1)
	v_mul_f32_e32 v140, v2, v168
	v_mul_f32_e32 v124, v3, v168
	s_waitcnt vmcnt(28)
	v_mul_f32_e32 v141, v4, v169
	v_mul_f32_e32 v125, v5, v169
	v_add_f32_e32 v127, v122, v153
	v_fmac_f32_e32 v140, v3, v167
	v_fma_f32 v134, v2, v167, -v124
	v_fmac_f32_e32 v141, v5, v161
	v_fma_f32 v143, v4, v161, -v125
	ds_read2_b64 v[2:5], v1 offset0:95 offset1:96
	ds_read2_b64 v[122:125], v1 offset0:97 offset1:98
	v_add_f32_e32 v126, v126, v154
	s_waitcnt vmcnt(27) lgkmcnt(2)
	v_mul_f32_e32 v144, v118, v6
	v_add_f32_e32 v127, v127, v158
	v_mul_f32_e32 v6, v119, v6
	s_waitcnt vmcnt(26)
	v_mul_f32_e32 v145, v120, v8
	v_add_f32_e32 v126, v126, v155
	v_fmac_f32_e32 v144, v119, v159
	v_add_f32_e32 v119, v127, v157
	v_mul_f32_e32 v8, v121, v8
	v_fma_f32 v6, v118, v159, -v6
	v_add_f32_e32 v130, v126, v160
	s_waitcnt vmcnt(22)
	v_fmac_f32_e32 v145, v121, v163
	v_add_f32_e32 v10, v119, v10
	v_fma_f32 v8, v120, v163, -v8
	ds_read2_b64 v[118:121], v1 offset0:99 offset1:100
	ds_read2_b64 v[126:129], v1 offset0:101 offset1:102
	v_add_f32_e32 v7, v130, v7
	ds_read2_b64 v[130:133], v1 offset0:103 offset1:104
	v_add_f32_e32 v10, v10, v172
	s_waitcnt vmcnt(21) lgkmcnt(4)
	v_mul_f32_e32 v146, v2, v165
	v_mul_f32_e32 v135, v3, v165
	v_add_f32_e32 v7, v7, v170
	v_fmac_f32_e32 v146, v3, v162
	v_add_f32_e32 v3, v10, v134
	v_fma_f32 v2, v2, v162, -v135
	ds_read2_b64 v[134:137], v1 offset0:105 offset1:106
	v_add_f32_e32 v1, v7, v140
	s_waitcnt vmcnt(18)
	v_mul_f32_e32 v10, v5, v166
	v_add_f32_e32 v3, v3, v143
	v_mul_f32_e32 v7, v4, v166
	s_waitcnt lgkmcnt(4)
	v_mul_f32_e32 v140, v122, v171
	v_add_f32_e32 v1, v1, v141
	v_mul_f32_e32 v143, v123, v171
	v_add_f32_e32 v3, v3, v6
	v_fma_f32 v4, v4, v156, -v10
	v_fmac_f32_e32 v7, v5, v156
	v_add_f32_e32 v1, v1, v144
	v_fmac_f32_e32 v140, v123, v11
	v_add_f32_e32 v3, v3, v8
	v_mul_f32_e32 v8, v125, v173
	v_fma_f32 v11, v122, v11, -v143
	v_add_f32_e32 v1, v1, v145
	v_mul_f32_e32 v141, v124, v173
	v_add_f32_e32 v2, v3, v2
	s_waitcnt vmcnt(17) lgkmcnt(3)
	v_mul_f32_e32 v5, v118, v174
	s_waitcnt vmcnt(16)
	v_mul_f32_e32 v10, v120, v175
	v_add_f32_e32 v1, v1, v146
	s_waitcnt vmcnt(6)
	v_fmac_f32_e32 v141, v125, v185
	v_add_f32_e32 v2, v2, v4
	v_mul_f32_e32 v4, v119, v174
	v_fmac_f32_e32 v5, v119, v184
	v_add_f32_e32 v1, v1, v7
	v_fma_f32 v7, v124, v185, -v8
	v_add_f32_e32 v2, v2, v11
	v_mul_f32_e32 v8, v121, v175
	v_fma_f32 v4, v118, v184, -v4
	v_add_f32_e32 v1, v1, v140
	s_waitcnt lgkmcnt(2)
	v_mul_f32_e32 v6, v126, v176
	v_add_f32_e32 v2, v2, v7
	v_mul_f32_e32 v7, v127, v176
	v_fma_f32 v8, v120, v183, -v8
	v_add_f32_e32 v1, v1, v141
	v_fmac_f32_e32 v10, v121, v183
	v_add_f32_e32 v2, v2, v4
	v_mul_f32_e32 v4, v129, v177
	v_mul_f32_e32 v144, v128, v177
	v_add_f32_e32 v1, v1, v5
	v_fma_f32 v5, v126, v182, -v7
	v_add_f32_e32 v2, v2, v8
	v_fmac_f32_e32 v6, v127, v182
	s_waitcnt lgkmcnt(1)
	v_mul_f32_e32 v7, v131, v178
	v_add_f32_e32 v1, v1, v10
	v_mul_f32_e32 v147, v130, v178
	v_add_f32_e32 v2, v2, v5
	v_mul_f32_e32 v5, v133, v179
	v_mul_f32_e32 v145, v132, v179
	v_add_f32_e32 v1, v1, v6
	s_waitcnt lgkmcnt(0)
	v_mul_f32_e32 v148, v134, v180
	v_mul_f32_e32 v3, v136, v181
	s_waitcnt vmcnt(5)
	v_fmac_f32_e32 v148, v135, v138
	s_waitcnt vmcnt(4)
	v_fma_f32 v5, v132, v186, -v5
	s_waitcnt vmcnt(3)
	v_fma_f32 v6, v130, v187, -v7
	;; [unrolled: 2-line block ×3, first 2 shown]
	v_fmac_f32_e32 v144, v129, v188
	v_fmac_f32_e32 v147, v131, v187
	;; [unrolled: 1-line block ×3, first 2 shown]
	s_waitcnt vmcnt(1)
	v_fmac_f32_e32 v3, v137, v142
	v_add_f32_e32 v2, v2, v4
	v_add_f32_e32 v1, v1, v144
	v_mul_f32_e32 v4, v135, v180
	v_add_f32_e32 v2, v2, v6
	v_add_f32_e32 v1, v1, v147
	v_mul_f32_e32 v6, v137, v181
	v_fma_f32 v4, v134, v138, -v4
	v_add_f32_e32 v2, v2, v5
	v_add_f32_e32 v1, v1, v145
	v_fma_f32 v5, v136, v142, -v6
	v_add_f32_e32 v2, v2, v4
	v_add_f32_e32 v1, v1, v148
	;; [unrolled: 1-line block ×4, first 2 shown]
	s_waitcnt vmcnt(0)
	v_sub_f32_e32 v2, v139, v2
	v_sub_f32_e32 v1, v164, v1
	buffer_store_dword v2, off, s[0:3], 0 offset:96
	buffer_store_dword v1, off, s[0:3], 0 offset:100
	v_cmpx_lt_u32_e32 11, v0
	s_cbranch_execz .LBB52_309
; %bb.308:
	s_clause 0x1
	buffer_load_dword v1, off, s[0:3], 0 offset:88
	buffer_load_dword v2, off, s[0:3], 0 offset:92
	v_mov_b32_e32 v3, 0
	buffer_store_dword v3, off, s[0:3], 0 offset:88
	buffer_store_dword v3, off, s[0:3], 0 offset:92
	s_waitcnt vmcnt(0)
	ds_write_b64 v9, v[1:2]
.LBB52_309:
	s_or_b32 exec_lo, exec_lo, s4
	s_waitcnt lgkmcnt(0)
	s_waitcnt_vscnt null, 0x0
	s_barrier
	buffer_gl0_inv
	s_clause 0x24
	buffer_load_dword v2, off, s[0:3], 0 offset:100
	buffer_load_dword v3, off, s[0:3], 0 offset:108
	;; [unrolled: 1-line block ×37, first 2 shown]
	v_mov_b32_e32 v1, 0
	ds_read_b128 v[124:127], v1 offset:528
	ds_read_b128 v[128:131], v1 offset:544
	;; [unrolled: 1-line block ×3, first 2 shown]
	s_clause 0x1
	buffer_load_dword v162, off, s[0:3], 0 offset:244
	buffer_load_dword v163, off, s[0:3], 0 offset:92
	ds_read_b128 v[136:139], v1 offset:576
	s_mov_b32 s4, exec_lo
	s_waitcnt vmcnt(38) lgkmcnt(3)
	v_mul_f32_e32 v164, v125, v2
	v_mul_f32_e32 v2, v124, v2
	s_waitcnt vmcnt(37)
	v_mul_f32_e32 v165, v126, v3
	v_mul_f32_e32 v3, v127, v3
	s_waitcnt vmcnt(34)
	v_fma_f32 v164, v124, v142, -v164
	v_fmac_f32_e32 v2, v125, v142
	v_fmac_f32_e32 v165, v127, v141
	v_fma_f32 v3, v126, v141, -v3
	ds_read_b128 v[124:127], v1 offset:592
	s_waitcnt vmcnt(33) lgkmcnt(3)
	v_mul_f32_e32 v141, v128, v143
	v_mul_f32_e32 v142, v129, v143
	s_waitcnt vmcnt(32)
	v_mul_f32_e32 v143, v130, v144
	v_mul_f32_e32 v144, v131, v144
	s_waitcnt vmcnt(31) lgkmcnt(2)
	v_mul_f32_e32 v166, v132, v145
	v_fmac_f32_e32 v141, v129, v140
	v_fma_f32 v140, v128, v140, -v142
	s_waitcnt vmcnt(26)
	v_fmac_f32_e32 v143, v131, v150
	v_fma_f32 v144, v130, v150, -v144
	ds_read_b128 v[128:131], v1 offset:608
	v_mul_f32_e32 v145, v133, v145
	v_mul_f32_e32 v142, v134, v146
	;; [unrolled: 1-line block ×3, first 2 shown]
	v_fmac_f32_e32 v166, v133, v149
	s_waitcnt vmcnt(24) lgkmcnt(2)
	v_mul_f32_e32 v150, v138, v152
	v_fma_f32 v145, v132, v149, -v145
	v_fmac_f32_e32 v142, v135, v148
	v_fma_f32 v146, v134, v148, -v146
	v_mul_f32_e32 v148, v136, v151
	v_mul_f32_e32 v149, v137, v151
	;; [unrolled: 1-line block ×3, first 2 shown]
	ds_read_b128 v[132:135], v1 offset:624
	s_waitcnt vmcnt(19)
	v_fmac_f32_e32 v150, v139, v155
	v_fmac_f32_e32 v148, v137, v147
	v_fma_f32 v136, v136, v147, -v149
	v_fma_f32 v137, v138, v155, -v151
	s_clause 0x4
	buffer_load_dword v138, off, s[0:3], 0 offset:252
	buffer_load_dword v139, off, s[0:3], 0 offset:272
	;; [unrolled: 1-line block ×5, first 2 shown]
	s_waitcnt lgkmcnt(2)
	v_mul_f32_e32 v152, v124, v153
	v_mul_f32_e32 v153, v125, v153
	s_waitcnt vmcnt(23)
	v_mul_f32_e32 v155, v126, v156
	v_mul_f32_e32 v156, v127, v156
	s_waitcnt vmcnt(21) lgkmcnt(1)
	v_mul_f32_e32 v167, v130, v158
	v_fmac_f32_e32 v152, v125, v154
	v_fma_f32 v153, v124, v154, -v153
	v_mul_f32_e32 v154, v128, v157
	v_mul_f32_e32 v124, v129, v157
	buffer_load_dword v157, off, s[0:3], 0 offset:260
	v_fmac_f32_e32 v155, v127, v121
	v_fma_f32 v156, v126, v121, -v156
	v_mul_f32_e32 v121, v131, v158
	v_fmac_f32_e32 v154, v129, v8
	v_fma_f32 v8, v128, v8, -v124
	ds_read_b128 v[124:127], v1 offset:640
	s_waitcnt vmcnt(18)
	v_fmac_f32_e32 v167, v131, v159
	v_fma_f32 v158, v130, v159, -v121
	s_waitcnt vmcnt(17) lgkmcnt(1)
	v_mul_f32_e32 v159, v132, v160
	v_mul_f32_e32 v121, v133, v160
	s_waitcnt vmcnt(16)
	v_mul_f32_e32 v160, v134, v161
	v_mul_f32_e32 v161, v135, v161
	ds_read_b128 v[128:131], v1 offset:656
	v_fmac_f32_e32 v159, v133, v122
	v_fma_f32 v132, v132, v122, -v121
	v_fmac_f32_e32 v160, v135, v10
	v_fma_f32 v10, v134, v10, -v161
	s_clause 0x2
	buffer_load_dword v133, off, s[0:3], 0 offset:268
	buffer_load_dword v134, off, s[0:3], 0 offset:276
	;; [unrolled: 1-line block ×3, first 2 shown]
	v_add_f32_e32 v2, 0, v2
	s_waitcnt vmcnt(18) lgkmcnt(1)
	v_mul_f32_e32 v135, v124, v118
	v_mul_f32_e32 v118, v125, v118
	s_waitcnt vmcnt(17)
	v_mul_f32_e32 v161, v126, v11
	v_mul_f32_e32 v11, v127, v11
	v_fmac_f32_e32 v135, v125, v5
	v_fma_f32 v125, v124, v5, -v118
	s_waitcnt vmcnt(13)
	v_fmac_f32_e32 v161, v127, v123
	v_fma_f32 v11, v126, v123, -v11
	s_waitcnt vmcnt(12) lgkmcnt(0)
	v_mul_f32_e32 v126, v128, v120
	v_mul_f32_e32 v5, v129, v120
	s_waitcnt vmcnt(11)
	v_mul_f32_e32 v127, v130, v119
	v_mul_f32_e32 v118, v131, v119
	ds_read_b128 v[121:124], v1 offset:672
	v_fmac_f32_e32 v126, v129, v7
	v_fma_f32 v7, v128, v7, -v5
	v_fmac_f32_e32 v127, v131, v6
	v_fma_f32 v6, v130, v6, -v118
	s_clause 0x4
	buffer_load_dword v128, off, s[0:3], 0 offset:304
	buffer_load_dword v129, off, s[0:3], 0 offset:296
	;; [unrolled: 1-line block ×5, first 2 shown]
	v_add_f32_e32 v5, 0, v164
	v_add_f32_e32 v3, v5, v3
	;; [unrolled: 1-line block ×3, first 2 shown]
	buffer_load_dword v140, off, s[0:3], 0 offset:300
	s_waitcnt vmcnt(16) lgkmcnt(0)
	v_mul_f32_e32 v164, v121, v162
	v_mul_f32_e32 v118, v122, v162
	v_add_f32_e32 v119, v119, v144
	v_fmac_f32_e32 v164, v122, v4
	v_fma_f32 v122, v121, v4, -v118
	v_add_f32_e32 v118, v2, v165
	ds_read_b128 v[2:5], v1 offset:688
	v_add_f32_e32 v119, v119, v145
	v_add_f32_e32 v118, v118, v141
	;; [unrolled: 1-line block ×4, first 2 shown]
	buffer_load_dword v143, off, s[0:3], 0 offset:316
	v_add_f32_e32 v136, v144, v136
	s_waitcnt vmcnt(15)
	v_mul_f32_e32 v141, v123, v138
	v_mul_f32_e32 v120, v124, v138
	buffer_load_dword v138, off, s[0:3], 0 offset:308
	s_waitcnt vmcnt(12)
	v_fmac_f32_e32 v141, v124, v151
	v_add_f32_e32 v124, v118, v166
	v_fma_f32 v123, v123, v151, -v120
	ds_read_b128 v[118:121], v1 offset:704
	v_add_f32_e32 v124, v124, v142
	s_waitcnt vmcnt(11) lgkmcnt(1)
	v_mul_f32_e32 v145, v2, v157
	v_mul_f32_e32 v146, v3, v157
	s_clause 0x3
	buffer_load_dword v142, off, s[0:3], 0 offset:336
	buffer_load_dword v144, off, s[0:3], 0 offset:328
	;; [unrolled: 1-line block ×4, first 2 shown]
	v_fmac_f32_e32 v145, v3, v149
	v_fma_f32 v146, v2, v149, -v146
	v_add_f32_e32 v2, v124, v148
	s_clause 0x1
	buffer_load_dword v148, off, s[0:3], 0 offset:324
	buffer_load_dword v149, off, s[0:3], 0 offset:332
	v_add_f32_e32 v3, v136, v137
	buffer_load_dword v137, off, s[0:3], 0 offset:340
	v_add_f32_e32 v2, v2, v150
	v_add_f32_e32 v3, v3, v153
	s_waitcnt vmcnt(17)
	v_mul_f32_e32 v124, v5, v133
	v_mul_f32_e32 v136, v4, v133
	v_add_f32_e32 v156, v3, v156
	v_fma_f32 v133, v4, v147, -v124
	v_add_f32_e32 v124, v2, v152
	v_add_f32_e32 v8, v156, v8
	v_fmac_f32_e32 v136, v5, v147
	s_clause 0x3
	buffer_load_dword v147, off, s[0:3], 0 offset:348
	buffer_load_dword v150, off, s[0:3], 0 offset:356
	;; [unrolled: 1-line block ×4, first 2 shown]
	ds_read_b128 v[2:5], v1 offset:720
	v_add_f32_e32 v124, v124, v155
	s_waitcnt vmcnt(20) lgkmcnt(1)
	v_mul_f32_e32 v155, v118, v134
	v_mul_f32_e32 v134, v119, v134
	v_add_f32_e32 v8, v8, v158
	s_waitcnt vmcnt(19)
	v_mul_f32_e32 v156, v120, v168
	v_add_f32_e32 v124, v124, v154
	v_mul_f32_e32 v154, v121, v168
	v_fma_f32 v134, v118, v139, -v134
	v_add_f32_e32 v8, v8, v132
	v_fmac_f32_e32 v155, v119, v139
	v_add_f32_e32 v118, v124, v167
	s_clause 0x3
	buffer_load_dword v139, off, s[0:3], 0 offset:380
	buffer_load_dword v158, off, s[0:3], 0 offset:388
	;; [unrolled: 1-line block ×4, first 2 shown]
	v_add_f32_e32 v8, v8, v10
	s_waitcnt vmcnt(19)
	v_fmac_f32_e32 v156, v121, v131
	v_fma_f32 v131, v120, v131, -v154
	buffer_load_dword v154, off, s[0:3], 0 offset:412
	v_add_f32_e32 v118, v118, v159
	s_clause 0x4
	buffer_load_dword v159, off, s[0:3], 0 offset:368
	buffer_load_dword v166, off, s[0:3], 0 offset:360
	;; [unrolled: 1-line block ×5, first 2 shown]
	v_add_f32_e32 v8, v8, v125
	s_waitcnt vmcnt(24) lgkmcnt(0)
	v_mul_f32_e32 v124, v3, v169
	v_add_f32_e32 v10, v118, v160
	ds_read_b128 v[118:121], v1 offset:736
	v_add_f32_e32 v8, v8, v11
	v_fma_f32 v11, v2, v130, -v124
	v_add_f32_e32 v10, v10, v135
	v_mul_f32_e32 v135, v2, v169
	s_waitcnt vmcnt(23)
	v_mul_f32_e32 v173, v4, v140
	v_add_f32_e32 v2, v10, v161
	v_fmac_f32_e32 v135, v3, v130
	v_add_f32_e32 v3, v8, v7
	s_clause 0x6
	buffer_load_dword v8, off, s[0:3], 0 offset:400
	buffer_load_dword v10, off, s[0:3], 0 offset:392
	;; [unrolled: 1-line block ×7, first 2 shown]
	v_add_f32_e32 v2, v2, v126
	v_add_f32_e32 v3, v3, v6
	v_fmac_f32_e32 v173, v5, v129
	v_add_f32_e32 v2, v2, v127
	v_add_f32_e32 v6, v3, v122
	v_mul_f32_e32 v3, v5, v140
	v_add_f32_e32 v7, v2, v164
	v_add_f32_e32 v6, v6, v123
	v_fma_f32 v140, v4, v129, -v3
	ds_read_b128 v[2:5], v1 offset:752
	ds_read_b128 v[122:125], v1 offset:768
	v_add_f32_e32 v7, v7, v141
	v_add_f32_e32 v6, v6, v146
	s_waitcnt vmcnt(29) lgkmcnt(2)
	v_mul_f32_e32 v127, v121, v143
	v_add_f32_e32 v7, v7, v145
	v_add_f32_e32 v6, v6, v133
	;; [unrolled: 1-line block ×8, first 2 shown]
	s_waitcnt vmcnt(28)
	v_mul_f32_e32 v126, v119, v138
	v_mul_f32_e32 v141, v118, v138
	;; [unrolled: 1-line block ×3, first 2 shown]
	v_fma_f32 v143, v118, v128, -v126
	v_fmac_f32_e32 v141, v119, v128
	v_add_f32_e32 v140, v140, v143
	s_waitcnt vmcnt(24)
	v_fma_f32 v145, v120, v157, -v127
	v_fmac_f32_e32 v138, v121, v157
	ds_read_b128 v[118:121], v1 offset:784
	ds_read_b128 v[126:129], v1 offset:800
	s_waitcnt vmcnt(23) lgkmcnt(3)
	v_mul_f32_e32 v130, v3, v148
	v_mul_f32_e32 v134, v2, v148
	s_waitcnt vmcnt(22)
	v_mul_f32_e32 v136, v4, v149
	v_mul_f32_e32 v146, v5, v149
	v_add_f32_e32 v140, v140, v145
	v_fma_f32 v148, v2, v151, -v130
	v_add_f32_e32 v2, v7, v156
	v_fmac_f32_e32 v134, v3, v151
	v_fmac_f32_e32 v136, v5, v144
	v_fma_f32 v11, v4, v144, -v146
	s_waitcnt vmcnt(21) lgkmcnt(2)
	v_mul_f32_e32 v144, v122, v137
	v_add_f32_e32 v135, v2, v135
	v_mul_f32_e32 v137, v123, v137
	v_add_f32_e32 v140, v140, v148
	ds_read_b128 v[130:133], v1 offset:816
	ds_read_b128 v[2:5], v1 offset:832
	v_add_f32_e32 v135, v135, v173
	s_waitcnt vmcnt(20)
	v_mul_f32_e32 v143, v125, v147
	v_fma_f32 v122, v122, v142, -v137
	v_add_f32_e32 v11, v140, v11
	v_mul_f32_e32 v146, v124, v147
	v_add_f32_e32 v135, v135, v141
	v_fmac_f32_e32 v144, v123, v142
	s_waitcnt vmcnt(19) lgkmcnt(3)
	v_mul_f32_e32 v140, v119, v150
	v_add_f32_e32 v11, v11, v122
	v_mul_f32_e32 v141, v118, v150
	v_add_f32_e32 v135, v135, v138
	s_waitcnt vmcnt(18)
	v_mul_f32_e32 v145, v120, v152
	s_waitcnt vmcnt(17) lgkmcnt(2)
	v_mul_f32_e32 v147, v126, v153
	s_waitcnt vmcnt(16)
	v_mul_f32_e32 v138, v128, v139
	ds_read_b64 v[6:7], v1 offset:848
	v_add_f32_e32 v134, v135, v134
	s_waitcnt vmcnt(15) lgkmcnt(2)
	v_mul_f32_e32 v148, v130, v158
	s_waitcnt vmcnt(14)
	v_mul_f32_e32 v123, v132, v162
	v_add_f32_e32 v134, v134, v136
	s_waitcnt vmcnt(10)
	v_fmac_f32_e32 v145, v121, v166
	s_waitcnt vmcnt(9)
	v_fma_f32 v118, v118, v167, -v140
	s_waitcnt vmcnt(8)
	v_fma_f32 v124, v124, v168, -v143
	v_fmac_f32_e32 v146, v125, v168
	v_add_f32_e32 v122, v134, v144
	v_mul_f32_e32 v125, v121, v152
	v_fmac_f32_e32 v141, v119, v167
	v_add_f32_e32 v11, v11, v124
	v_fmac_f32_e32 v147, v127, v159
	v_add_f32_e32 v119, v122, v146
	v_mul_f32_e32 v122, v127, v153
	v_fma_f32 v120, v120, v166, -v125
	v_add_f32_e32 v11, v11, v118
	s_waitcnt lgkmcnt(1)
	v_mul_f32_e32 v135, v2, v165
	v_add_f32_e32 v118, v119, v141
	v_mul_f32_e32 v119, v129, v139
	v_fma_f32 v121, v126, v159, -v122
	v_add_f32_e32 v11, v11, v120
	v_mul_f32_e32 v120, v131, v158
	v_add_f32_e32 v118, v118, v145
	s_waitcnt vmcnt(3)
	v_fma_f32 v119, v128, v161, -v119
	v_fmac_f32_e32 v138, v129, v161
	v_add_f32_e32 v11, v11, v121
	v_mul_f32_e32 v121, v133, v162
	v_add_f32_e32 v118, v118, v147
	v_fma_f32 v120, v130, v160, -v120
	v_fmac_f32_e32 v148, v131, v160
	v_add_f32_e32 v11, v11, v119
	v_mul_f32_e32 v119, v3, v165
	v_add_f32_e32 v118, v118, v138
	v_fmac_f32_e32 v123, v133, v10
	v_fma_f32 v10, v132, v10, -v121
	v_add_f32_e32 v11, v11, v120
	v_mul_f32_e32 v120, v5, v154
	v_add_f32_e32 v118, v118, v148
	v_fmac_f32_e32 v135, v3, v8
	v_fma_f32 v2, v2, v8, -v119
	v_add_f32_e32 v3, v11, v10
	v_mul_f32_e32 v137, v4, v154
	v_add_f32_e32 v8, v118, v123
	s_waitcnt lgkmcnt(0)
	v_mul_f32_e32 v10, v7, v170
	s_waitcnt vmcnt(1)
	v_fma_f32 v4, v4, v171, -v120
	v_add_f32_e32 v2, v3, v2
	v_mul_f32_e32 v136, v6, v170
	v_fmac_f32_e32 v137, v5, v171
	v_add_f32_e32 v3, v8, v135
	v_fma_f32 v5, v6, v169, -v10
	v_add_f32_e32 v2, v2, v4
	v_fmac_f32_e32 v136, v7, v169
	v_add_f32_e32 v3, v3, v137
	v_add_f32_e32 v2, v2, v5
	;; [unrolled: 1-line block ×3, first 2 shown]
	s_waitcnt vmcnt(0)
	v_sub_f32_e32 v2, v172, v2
	v_sub_f32_e32 v3, v163, v3
	buffer_store_dword v2, off, s[0:3], 0 offset:88
	buffer_store_dword v3, off, s[0:3], 0 offset:92
	v_cmpx_lt_u32_e32 10, v0
	s_cbranch_execz .LBB52_311
; %bb.310:
	s_clause 0x1
	buffer_load_dword v2, off, s[0:3], 0 offset:80
	buffer_load_dword v3, off, s[0:3], 0 offset:84
	buffer_store_dword v1, off, s[0:3], 0 offset:80
	buffer_store_dword v1, off, s[0:3], 0 offset:84
	s_waitcnt vmcnt(0)
	ds_write_b64 v9, v[2:3]
.LBB52_311:
	s_or_b32 exec_lo, exec_lo, s4
	s_waitcnt lgkmcnt(0)
	s_waitcnt_vscnt null, 0x0
	s_barrier
	buffer_gl0_inv
	s_clause 0x24
	buffer_load_dword v144, off, s[0:3], 0 offset:92
	buffer_load_dword v2, off, s[0:3], 0 offset:100
	;; [unrolled: 1-line block ×37, first 2 shown]
	ds_read2_b64 v[128:131], v1 offset0:65 offset1:66
	ds_read2_b64 v[132:135], v1 offset0:67 offset1:68
	;; [unrolled: 1-line block ×3, first 2 shown]
	s_clause 0x1
	buffer_load_dword v162, off, s[0:3], 0 offset:236
	buffer_load_dword v163, off, s[0:3], 0 offset:244
	ds_read2_b64 v[140:143], v1 offset0:71 offset1:72
	buffer_load_dword v165, off, s[0:3], 0 offset:84
	s_mov_b32 s4, exec_lo
	s_waitcnt vmcnt(39) lgkmcnt(3)
	v_mul_f32_e32 v164, v129, v144
	v_mul_f32_e32 v144, v128, v144
	s_waitcnt vmcnt(38)
	v_mul_f32_e32 v166, v130, v2
	v_mul_f32_e32 v2, v131, v2
	s_waitcnt vmcnt(35)
	v_fma_f32 v164, v128, v147, -v164
	v_fmac_f32_e32 v144, v129, v147
	v_fmac_f32_e32 v166, v131, v146
	v_fma_f32 v2, v130, v146, -v2
	s_waitcnt vmcnt(33) lgkmcnt(2)
	v_mul_f32_e32 v146, v134, v149
	v_mul_f32_e32 v129, v135, v149
	;; [unrolled: 1-line block ×4, first 2 shown]
	s_waitcnt vmcnt(32) lgkmcnt(1)
	v_mul_f32_e32 v148, v136, v150
	v_mul_f32_e32 v149, v137, v150
	s_waitcnt vmcnt(28)
	v_fmac_f32_e32 v146, v135, v153
	v_fma_f32 v150, v134, v153, -v129
	s_waitcnt vmcnt(27)
	v_mul_f32_e32 v153, v138, v154
	v_mul_f32_e32 v154, v139, v154
	v_fmac_f32_e32 v147, v133, v145
	v_fma_f32 v145, v132, v145, -v128
	ds_read2_b64 v[128:131], v1 offset0:73 offset1:74
	ds_read2_b64 v[132:135], v1 offset0:75 offset1:76
	v_fmac_f32_e32 v148, v137, v152
	v_fma_f32 v149, v136, v152, -v149
	s_waitcnt vmcnt(26) lgkmcnt(2)
	v_mul_f32_e32 v152, v140, v155
	v_mul_f32_e32 v136, v141, v155
	v_fmac_f32_e32 v153, v139, v151
	v_fma_f32 v151, v138, v151, -v154
	s_waitcnt vmcnt(25)
	v_mul_f32_e32 v154, v142, v156
	v_mul_f32_e32 v137, v143, v156
	s_clause 0x3
	buffer_load_dword v155, off, s[0:3], 0 offset:264
	buffer_load_dword v156, off, s[0:3], 0 offset:256
	;; [unrolled: 1-line block ×4, first 2 shown]
	v_fmac_f32_e32 v152, v141, v118
	v_fma_f32 v118, v140, v118, -v136
	s_waitcnt vmcnt(25)
	v_fmac_f32_e32 v154, v143, v157
	v_fma_f32 v140, v142, v157, -v137
	ds_read2_b64 v[136:139], v1 offset0:77 offset1:78
	s_waitcnt vmcnt(24) lgkmcnt(2)
	v_mul_f32_e32 v141, v128, v158
	v_mul_f32_e32 v142, v129, v158
	s_waitcnt vmcnt(23)
	v_mul_f32_e32 v143, v130, v159
	v_mul_f32_e32 v157, v131, v159
	s_waitcnt vmcnt(22) lgkmcnt(1)
	v_mul_f32_e32 v158, v132, v160
	v_fmac_f32_e32 v141, v129, v125
	v_fma_f32 v142, v128, v125, -v142
	v_mul_f32_e32 v125, v133, v160
	v_fmac_f32_e32 v143, v131, v119
	v_fma_f32 v157, v130, v119, -v157
	s_waitcnt vmcnt(21)
	v_mul_f32_e32 v119, v135, v124
	v_mul_f32_e32 v159, v134, v124
	s_clause 0x1
	buffer_load_dword v160, off, s[0:3], 0 offset:252
	buffer_load_dword v169, off, s[0:3], 0 offset:260
	v_fmac_f32_e32 v158, v133, v6
	v_fma_f32 v6, v132, v6, -v125
	s_waitcnt vmcnt(19)
	v_fma_f32 v132, v134, v161, -v119
	ds_read2_b64 v[128:131], v1 offset0:79 offset1:80
	s_waitcnt vmcnt(17) lgkmcnt(1)
	v_mul_f32_e32 v134, v138, v126
	v_mul_f32_e32 v124, v139, v126
	;; [unrolled: 1-line block ×4, first 2 shown]
	v_fmac_f32_e32 v159, v135, v161
	v_fmac_f32_e32 v134, v139, v8
	v_fma_f32 v8, v138, v8, -v124
	ds_read2_b64 v[124:127], v1 offset0:81 offset1:82
	v_fma_f32 v135, v136, v120, -v119
	s_clause 0x1
	buffer_load_dword v136, off, s[0:3], 0 offset:268
	buffer_load_dword v139, off, s[0:3], 0 offset:276
	v_fmac_f32_e32 v133, v137, v120
	s_waitcnt vmcnt(18) lgkmcnt(1)
	v_mul_f32_e32 v137, v128, v11
	v_mul_f32_e32 v11, v129, v11
	s_waitcnt vmcnt(17)
	v_mul_f32_e32 v138, v130, v10
	v_mul_f32_e32 v10, v131, v10
	v_fmac_f32_e32 v137, v129, v4
	v_fma_f32 v11, v128, v4, -v11
	s_waitcnt vmcnt(13)
	v_fmac_f32_e32 v138, v131, v123
	v_fma_f32 v10, v130, v123, -v10
	s_waitcnt vmcnt(12) lgkmcnt(0)
	v_mul_f32_e32 v123, v124, v122
	v_mul_f32_e32 v4, v125, v122
	s_waitcnt vmcnt(11)
	v_mul_f32_e32 v122, v126, v121
	v_mul_f32_e32 v119, v127, v121
	ds_read2_b64 v[128:131], v1 offset0:83 offset1:84
	v_fmac_f32_e32 v123, v125, v7
	v_fma_f32 v7, v124, v7, -v4
	v_fmac_f32_e32 v122, v127, v5
	v_fma_f32 v124, v126, v5, -v119
	s_clause 0x4
	buffer_load_dword v126, off, s[0:3], 0 offset:296
	buffer_load_dword v125, off, s[0:3], 0 offset:288
	;; [unrolled: 1-line block ×5, first 2 shown]
	v_add_f32_e32 v4, 0, v164
	v_add_f32_e32 v5, 0, v144
	s_clause 0x1
	buffer_load_dword v144, off, s[0:3], 0 offset:292
	buffer_load_dword v164, off, s[0:3], 0 offset:300
	v_add_f32_e32 v2, v4, v2
	v_add_f32_e32 v4, v5, v166
	;; [unrolled: 1-line block ×4, first 2 shown]
	s_waitcnt vmcnt(17) lgkmcnt(0)
	v_mul_f32_e32 v166, v128, v162
	v_mul_f32_e32 v5, v129, v162
	s_waitcnt vmcnt(16)
	v_mul_f32_e32 v145, v130, v163
	v_mul_f32_e32 v119, v131, v163
	v_add_f32_e32 v120, v2, v150
	v_add_f32_e32 v121, v4, v146
	v_fmac_f32_e32 v166, v129, v3
	v_fma_f32 v128, v128, v3, -v5
	ds_read2_b64 v[2:5], v1 offset0:85 offset1:86
	s_waitcnt vmcnt(11)
	v_fmac_f32_e32 v145, v131, v168
	v_fma_f32 v129, v130, v168, -v119
	v_add_f32_e32 v119, v120, v149
	v_add_f32_e32 v120, v121, v148
	s_clause 0x4
	buffer_load_dword v130, off, s[0:3], 0 offset:308
	buffer_load_dword v146, off, s[0:3], 0 offset:328
	;; [unrolled: 1-line block ×5, first 2 shown]
	v_add_f32_e32 v119, v119, v151
	s_clause 0x2
	buffer_load_dword v149, off, s[0:3], 0 offset:316
	buffer_load_dword v150, off, s[0:3], 0 offset:324
	;; [unrolled: 1-line block ×3, first 2 shown]
	v_add_f32_e32 v120, v120, v153
	v_add_f32_e32 v118, v119, v118
	;; [unrolled: 1-line block ×5, first 2 shown]
	ds_read2_b64 v[118:121], v1 offset0:87 offset1:88
	s_waitcnt vmcnt(18) lgkmcnt(1)
	v_mul_f32_e32 v153, v2, v160
	v_add_f32_e32 v140, v140, v142
	v_mul_f32_e32 v154, v3, v160
	v_add_f32_e32 v141, v152, v141
	s_waitcnt vmcnt(17)
	v_mul_f32_e32 v142, v4, v169
	v_fmac_f32_e32 v153, v3, v167
	v_add_f32_e32 v3, v140, v157
	v_mul_f32_e32 v152, v5, v169
	v_add_f32_e32 v140, v141, v143
	v_fma_f32 v141, v2, v167, -v154
	v_fmac_f32_e32 v142, v5, v156
	v_add_f32_e32 v2, v3, v6
	v_fma_f32 v143, v4, v156, -v152
	v_add_f32_e32 v3, v140, v158
	s_clause 0x7
	buffer_load_dword v6, off, s[0:3], 0 offset:340
	buffer_load_dword v140, off, s[0:3], 0 offset:348
	;; [unrolled: 1-line block ×8, first 2 shown]
	v_add_f32_e32 v2, v2, v132
	v_add_f32_e32 v3, v3, v159
	s_waitcnt vmcnt(24) lgkmcnt(0)
	v_mul_f32_e32 v4, v119, v136
	v_mul_f32_e32 v162, v118, v136
	v_add_f32_e32 v2, v2, v135
	s_clause 0x3
	buffer_load_dword v159, off, s[0:3], 0 offset:372
	buffer_load_dword v163, off, s[0:3], 0 offset:380
	;; [unrolled: 1-line block ×4, first 2 shown]
	v_fma_f32 v132, v118, v155, -v4
	v_add_f32_e32 v118, v3, v133
	s_waitcnt vmcnt(27)
	v_mul_f32_e32 v3, v121, v139
	v_add_f32_e32 v8, v2, v8
	v_fmac_f32_e32 v162, v119, v155
	s_clause 0x1
	buffer_load_dword v155, off, s[0:3], 0 offset:404
	buffer_load_dword v169, off, s[0:3], 0 offset:412
	v_mul_f32_e32 v133, v120, v139
	buffer_load_dword v139, off, s[0:3], 0 offset:420
	v_add_f32_e32 v8, v8, v11
	v_add_f32_e32 v118, v118, v134
	v_add_f32_e32 v8, v8, v10
	v_add_f32_e32 v11, v118, v137
	s_waitcnt vmcnt(26)
	v_fma_f32 v135, v120, v161, -v3
	ds_read2_b64 v[2:5], v1 offset0:89 offset1:90
	v_fmac_f32_e32 v133, v121, v161
	s_clause 0x3
	buffer_load_dword v10, off, s[0:3], 0 offset:392
	buffer_load_dword v161, off, s[0:3], 0 offset:384
	;; [unrolled: 1-line block ×4, first 2 shown]
	v_add_f32_e32 v11, v11, v138
	v_add_f32_e32 v7, v8, v7
	ds_read2_b64 v[118:121], v1 offset0:91 offset1:92
	v_add_f32_e32 v8, v11, v123
	v_add_f32_e32 v7, v7, v124
	s_waitcnt vmcnt(29) lgkmcnt(1)
	v_mul_f32_e32 v11, v2, v170
	v_mul_f32_e32 v123, v3, v170
	s_waitcnt vmcnt(28)
	v_mul_f32_e32 v136, v4, v144
	v_fmac_f32_e32 v11, v3, v127
	v_fma_f32 v134, v2, v127, -v123
	v_add_f32_e32 v2, v8, v122
	v_add_f32_e32 v3, v7, v128
	s_clause 0x2
	buffer_load_dword v7, off, s[0:3], 0 offset:416
	buffer_load_dword v8, off, s[0:3], 0 offset:408
	;; [unrolled: 1-line block ×3, first 2 shown]
	v_mul_f32_e32 v122, v5, v144
	v_fmac_f32_e32 v136, v5, v125
	v_add_f32_e32 v2, v2, v166
	buffer_load_dword v166, off, s[0:3], 0 offset:80
	v_add_f32_e32 v3, v3, v129
	v_fma_f32 v137, v4, v125, -v122
	s_waitcnt vmcnt(31) lgkmcnt(0)
	v_mul_f32_e32 v129, v119, v164
	v_add_f32_e32 v123, v2, v145
	v_add_f32_e32 v127, v3, v141
	ds_read2_b64 v[2:5], v1 offset0:93 offset1:94
	v_mul_f32_e32 v141, v118, v164
	v_add_f32_e32 v128, v123, v153
	ds_read2_b64 v[122:125], v1 offset0:95 offset1:96
	v_add_f32_e32 v127, v127, v143
	v_fma_f32 v143, v118, v126, -v129
	v_fmac_f32_e32 v141, v119, v126
	v_add_f32_e32 v128, v128, v142
	v_add_f32_e32 v132, v127, v132
	;; [unrolled: 1-line block ×4, first 2 shown]
	s_waitcnt vmcnt(30)
	v_mul_f32_e32 v142, v120, v130
	v_mul_f32_e32 v130, v121, v130
	s_waitcnt vmcnt(26)
	v_fmac_f32_e32 v142, v121, v148
	v_fma_f32 v144, v120, v148, -v130
	v_add_f32_e32 v130, v128, v162
	s_waitcnt vmcnt(25) lgkmcnt(1)
	v_mul_f32_e32 v145, v2, v149
	v_mul_f32_e32 v135, v3, v149
	s_waitcnt vmcnt(23) lgkmcnt(0)
	v_mul_f32_e32 v149, v122, v151
	v_mul_f32_e32 v148, v4, v150
	v_add_f32_e32 v130, v130, v133
	v_fmac_f32_e32 v145, v3, v147
	v_fma_f32 v147, v2, v147, -v135
	v_add_f32_e32 v135, v132, v137
	v_mul_f32_e32 v133, v5, v150
	v_add_f32_e32 v11, v130, v11
	v_mul_f32_e32 v134, v123, v151
	v_fmac_f32_e32 v149, v123, v146
	v_add_f32_e32 v123, v135, v143
	ds_read2_b64 v[118:121], v1 offset0:97 offset1:98
	ds_read2_b64 v[126:129], v1 offset0:99 offset1:100
	v_add_f32_e32 v11, v11, v136
	v_fmac_f32_e32 v148, v5, v131
	v_fma_f32 v150, v4, v131, -v133
	ds_read2_b64 v[2:5], v1 offset0:101 offset1:102
	ds_read2_b64 v[130:133], v1 offset0:103 offset1:104
	v_fma_f32 v122, v122, v146, -v134
	ds_read2_b64 v[134:137], v1 offset0:105 offset1:106
	v_add_f32_e32 v1, v11, v141
	v_add_f32_e32 v123, v123, v144
	s_waitcnt vmcnt(22)
	v_mul_f32_e32 v11, v124, v6
	v_mul_f32_e32 v6, v125, v6
	v_add_f32_e32 v1, v1, v142
	v_add_f32_e32 v123, v123, v147
	s_waitcnt vmcnt(15)
	v_fmac_f32_e32 v11, v125, v160
	v_fma_f32 v6, v124, v160, -v6
	v_add_f32_e32 v1, v1, v145
	v_add_f32_e32 v123, v123, v150
	s_waitcnt lgkmcnt(4)
	v_mul_f32_e32 v141, v118, v140
	v_mul_f32_e32 v140, v119, v140
	;; [unrolled: 1-line block ×3, first 2 shown]
	v_add_f32_e32 v1, v1, v148
	v_add_f32_e32 v122, v123, v122
	v_mul_f32_e32 v142, v120, v152
	v_fma_f32 v118, v118, v158, -v140
	v_fmac_f32_e32 v141, v119, v158
	v_add_f32_e32 v1, v1, v149
	v_add_f32_e32 v6, v122, v6
	v_fma_f32 v119, v120, v157, -v146
	s_waitcnt lgkmcnt(3)
	v_mul_f32_e32 v124, v126, v154
	v_fmac_f32_e32 v142, v121, v157
	v_add_f32_e32 v1, v1, v11
	v_mul_f32_e32 v11, v127, v154
	v_add_f32_e32 v6, v6, v118
	s_waitcnt vmcnt(14)
	v_mul_f32_e32 v118, v129, v159
	v_mul_f32_e32 v125, v128, v159
	v_add_f32_e32 v1, v1, v141
	v_fma_f32 v11, v126, v156, -v11
	v_add_f32_e32 v6, v6, v119
	v_fmac_f32_e32 v124, v127, v156
	s_waitcnt vmcnt(13) lgkmcnt(2)
	v_mul_f32_e32 v143, v2, v163
	v_add_f32_e32 v1, v1, v142
	v_mul_f32_e32 v119, v3, v163
	v_add_f32_e32 v6, v6, v11
	s_waitcnt vmcnt(4)
	v_fma_f32 v118, v128, v172, -v118
	v_fmac_f32_e32 v125, v129, v172
	v_add_f32_e32 v1, v1, v124
	v_mul_f32_e32 v11, v5, v167
	v_fmac_f32_e32 v143, v3, v171
	v_fma_f32 v2, v2, v171, -v119
	v_add_f32_e32 v3, v6, v118
	v_mul_f32_e32 v144, v4, v167
	v_add_f32_e32 v1, v1, v125
	s_waitcnt lgkmcnt(1)
	v_mul_f32_e32 v6, v131, v168
	v_fma_f32 v4, v4, v161, -v11
	v_add_f32_e32 v2, v3, v2
	v_mul_f32_e32 v145, v130, v168
	v_fmac_f32_e32 v144, v5, v161
	v_add_f32_e32 v1, v1, v143
	v_mul_f32_e32 v3, v133, v155
	v_fma_f32 v5, v130, v10, -v6
	v_add_f32_e32 v2, v2, v4
	v_mul_f32_e32 v147, v132, v155
	v_fmac_f32_e32 v145, v131, v10
	v_add_f32_e32 v1, v1, v144
	s_waitcnt lgkmcnt(0)
	v_mul_f32_e32 v4, v135, v169
	v_add_f32_e32 v2, v2, v5
	v_mul_f32_e32 v148, v134, v169
	v_mul_f32_e32 v5, v137, v139
	v_add_f32_e32 v1, v1, v145
	s_waitcnt vmcnt(2)
	v_fma_f32 v4, v134, v8, -v4
	s_waitcnt vmcnt(1)
	v_fma_f32 v3, v132, v138, -v3
	v_fmac_f32_e32 v147, v133, v138
	v_mul_f32_e32 v123, v136, v139
	v_fmac_f32_e32 v148, v135, v8
	v_add_f32_e32 v2, v2, v3
	v_add_f32_e32 v1, v1, v147
	v_fma_f32 v3, v136, v7, -v5
	v_fmac_f32_e32 v123, v137, v7
	v_add_f32_e32 v2, v2, v4
	v_add_f32_e32 v1, v1, v148
	;; [unrolled: 1-line block ×4, first 2 shown]
	s_waitcnt vmcnt(0)
	v_sub_f32_e32 v2, v166, v2
	v_sub_f32_e32 v1, v165, v1
	buffer_store_dword v2, off, s[0:3], 0 offset:80
	buffer_store_dword v1, off, s[0:3], 0 offset:84
	v_cmpx_lt_u32_e32 9, v0
	s_cbranch_execz .LBB52_313
; %bb.312:
	s_clause 0x1
	buffer_load_dword v1, off, s[0:3], 0 offset:72
	buffer_load_dword v2, off, s[0:3], 0 offset:76
	v_mov_b32_e32 v3, 0
	buffer_store_dword v3, off, s[0:3], 0 offset:72
	buffer_store_dword v3, off, s[0:3], 0 offset:76
	s_waitcnt vmcnt(0)
	ds_write_b64 v9, v[1:2]
.LBB52_313:
	s_or_b32 exec_lo, exec_lo, s4
	s_waitcnt lgkmcnt(0)
	s_waitcnt_vscnt null, 0x0
	s_barrier
	buffer_gl0_inv
	s_clause 0x2c
	buffer_load_dword v154, off, s[0:3], 0 offset:84
	buffer_load_dword v155, off, s[0:3], 0 offset:92
	;; [unrolled: 1-line block ×45, first 2 shown]
	v_mov_b32_e32 v1, 0
	ds_read_b128 v[146:149], v1 offset:512
	ds_read_b128 v[150:153], v1 offset:528
	buffer_load_dword v164, off, s[0:3], 0 offset:76
	s_mov_b32 s4, exec_lo
	s_waitcnt vmcnt(45) lgkmcnt(1)
	v_mul_f32_e32 v162, v147, v154
	v_mul_f32_e32 v154, v146, v154
	s_waitcnt vmcnt(44)
	v_mul_f32_e32 v163, v148, v155
	v_mul_f32_e32 v155, v149, v155
	s_waitcnt vmcnt(41)
	v_fma_f32 v162, v146, v143, -v162
	v_fmac_f32_e32 v154, v147, v143
	v_fmac_f32_e32 v163, v149, v139
	v_fma_f32 v155, v148, v139, -v155
	ds_read_b128 v[146:149], v1 offset:544
	s_waitcnt vmcnt(40) lgkmcnt(1)
	v_mul_f32_e32 v165, v150, v138
	v_mul_f32_e32 v138, v151, v138
	s_waitcnt vmcnt(39)
	v_mul_f32_e32 v166, v152, v136
	v_mul_f32_e32 v136, v153, v136
	v_fmac_f32_e32 v165, v151, v125
	v_fma_f32 v167, v150, v125, -v138
	s_waitcnt vmcnt(35)
	v_fmac_f32_e32 v166, v153, v144
	v_fma_f32 v168, v152, v144, -v136
	ds_read_b128 v[150:153], v1 offset:560
	s_waitcnt vmcnt(34) lgkmcnt(1)
	v_mul_f32_e32 v169, v146, v142
	v_mul_f32_e32 v125, v147, v142
	s_waitcnt vmcnt(33)
	v_mul_f32_e32 v170, v148, v141
	v_mul_f32_e32 v136, v149, v141
	ds_read_b128 v[141:144], v1 offset:576
	v_fmac_f32_e32 v169, v147, v133
	v_fma_f32 v133, v146, v133, -v125
	v_fmac_f32_e32 v170, v149, v128
	v_fma_f32 v171, v148, v128, -v136
	ds_read_b128 v[146:149], v1 offset:592
	s_waitcnt vmcnt(32) lgkmcnt(2)
	v_mul_f32_e32 v172, v150, v132
	v_mul_f32_e32 v125, v151, v132
	s_waitcnt vmcnt(31)
	v_mul_f32_e32 v128, v153, v130
	v_mul_f32_e32 v132, v152, v130
	v_fmac_f32_e32 v172, v151, v8
	v_fma_f32 v8, v150, v8, -v125
	s_waitcnt vmcnt(27)
	v_fma_f32 v150, v152, v140, -v128
	v_fmac_f32_e32 v132, v153, v140
	s_waitcnt vmcnt(26) lgkmcnt(1)
	v_mul_f32_e32 v151, v141, v137
	v_mul_f32_e32 v125, v142, v137
	s_waitcnt vmcnt(25)
	v_mul_f32_e32 v152, v143, v135
	v_mul_f32_e32 v128, v144, v135
	ds_read_b128 v[135:138], v1 offset:608
	v_fmac_f32_e32 v151, v142, v126
	v_fma_f32 v153, v141, v126, -v125
	ds_read_b128 v[139:142], v1 offset:624
	v_fmac_f32_e32 v152, v144, v120
	v_fma_f32 v143, v143, v120, -v128
	s_waitcnt vmcnt(24) lgkmcnt(2)
	v_mul_f32_e32 v144, v146, v124
	v_mul_f32_e32 v120, v147, v124
	s_waitcnt vmcnt(23)
	v_mul_f32_e32 v173, v148, v122
	v_mul_f32_e32 v122, v149, v122
	v_fmac_f32_e32 v144, v147, v4
	v_fma_f32 v146, v146, v4, -v120
	s_waitcnt vmcnt(19)
	v_fmac_f32_e32 v173, v149, v134
	v_fma_f32 v122, v148, v134, -v122
	s_waitcnt vmcnt(18) lgkmcnt(1)
	v_mul_f32_e32 v134, v135, v131
	v_mul_f32_e32 v4, v136, v131
	s_waitcnt vmcnt(17)
	v_mul_f32_e32 v147, v137, v129
	v_mul_f32_e32 v120, v138, v129
	ds_read_b128 v[128:131], v1 offset:640
	v_fmac_f32_e32 v134, v136, v119
	v_fma_f32 v135, v135, v119, -v4
	v_fmac_f32_e32 v147, v138, v10
	v_fma_f32 v10, v137, v10, -v120
	s_waitcnt vmcnt(15) lgkmcnt(1)
	v_mul_f32_e32 v137, v141, v11
	v_mul_f32_e32 v11, v142, v11
	;; [unrolled: 1-line block ×4, first 2 shown]
	s_waitcnt vmcnt(11)
	v_fmac_f32_e32 v137, v142, v127
	v_fma_f32 v11, v141, v127, -v11
	ds_read_b128 v[124:127], v1 offset:656
	v_fmac_f32_e32 v136, v140, v3
	v_fma_f32 v138, v139, v3, -v4
	buffer_load_dword v141, off, s[0:3], 0 offset:268
	s_waitcnt vmcnt(11) lgkmcnt(1)
	v_mul_f32_e32 v139, v128, v123
	v_mul_f32_e32 v3, v129, v123
	s_waitcnt vmcnt(10)
	v_mul_f32_e32 v123, v130, v121
	v_mul_f32_e32 v4, v131, v121
	ds_read_b128 v[118:121], v1 offset:672
	v_fmac_f32_e32 v139, v129, v7
	v_fma_f32 v7, v128, v7, -v3
	v_fmac_f32_e32 v123, v131, v5
	v_fma_f32 v128, v130, v5, -v4
	buffer_load_dword v130, off, s[0:3], 0 offset:260
	s_waitcnt vmcnt(10) lgkmcnt(1)
	v_mul_f32_e32 v129, v124, v6
	v_mul_f32_e32 v3, v125, v6
	s_waitcnt vmcnt(9)
	v_mul_f32_e32 v6, v126, v145
	v_mul_f32_e32 v4, v127, v145
	v_fmac_f32_e32 v129, v125, v2
	v_fma_f32 v124, v124, v2, -v3
	s_waitcnt vmcnt(5)
	v_fmac_f32_e32 v6, v127, v159
	v_fma_f32 v125, v126, v159, -v4
	ds_read_b128 v[2:5], v1 offset:688
	s_waitcnt vmcnt(4) lgkmcnt(1)
	v_mul_f32_e32 v127, v119, v160
	v_mul_f32_e32 v126, v118, v160
	s_waitcnt vmcnt(3)
	v_mul_f32_e32 v131, v120, v161
	v_mul_f32_e32 v140, v121, v161
	v_fma_f32 v127, v118, v158, -v127
	s_clause 0x4
	buffer_load_dword v142, off, s[0:3], 0 offset:288
	buffer_load_dword v145, off, s[0:3], 0 offset:280
	;; [unrolled: 1-line block ×5, first 2 shown]
	v_fmac_f32_e32 v126, v119, v158
	v_fmac_f32_e32 v131, v121, v157
	v_fma_f32 v140, v120, v157, -v140
	s_waitcnt vmcnt(5) lgkmcnt(0)
	v_mul_f32_e32 v157, v2, v130
	v_mul_f32_e32 v119, v3, v130
	v_fmac_f32_e32 v157, v3, v156
	v_fma_f32 v130, v2, v156, -v119
	v_mul_f32_e32 v156, v4, v141
	v_mul_f32_e32 v2, v5, v141
	s_waitcnt vmcnt(1)
	v_fmac_f32_e32 v156, v5, v118
	v_fma_f32 v141, v4, v118, -v2
	ds_read_b128 v[2:5], v1 offset:704
	ds_read_b128 v[118:121], v1 offset:720
	s_waitcnt vmcnt(0) lgkmcnt(1)
	v_mul_f32_e32 v158, v2, v149
	v_mul_f32_e32 v149, v3, v149
	v_fmac_f32_e32 v158, v3, v148
	v_fma_f32 v148, v2, v148, -v149
	buffer_load_dword v2, off, s[0:3], 0 offset:284
	s_waitcnt vmcnt(0)
	v_mul_f32_e32 v149, v4, v2
	v_mul_f32_e32 v2, v5, v2
	v_fmac_f32_e32 v149, v5, v145
	v_fma_f32 v145, v4, v145, -v2
	buffer_load_dword v2, off, s[0:3], 0 offset:292
	s_waitcnt vmcnt(0) lgkmcnt(0)
	v_mul_f32_e32 v159, v118, v2
	v_mul_f32_e32 v2, v119, v2
	v_fmac_f32_e32 v159, v119, v142
	v_fma_f32 v142, v118, v142, -v2
	s_clause 0x4
	buffer_load_dword v2, off, s[0:3], 0 offset:300
	buffer_load_dword v160, off, s[0:3], 0 offset:320
	;; [unrolled: 1-line block ×5, first 2 shown]
	s_waitcnt vmcnt(4)
	v_mul_f32_e32 v175, v120, v2
	v_mul_f32_e32 v2, v121, v2
	s_waitcnt vmcnt(0)
	v_fmac_f32_e32 v175, v121, v3
	v_fma_f32 v176, v120, v3, -v2
	v_add_f32_e32 v2, 0, v162
	v_add_f32_e32 v3, 0, v154
	s_clause 0x1
	buffer_load_dword v154, off, s[0:3], 0 offset:308
	buffer_load_dword v162, off, s[0:3], 0 offset:332
	v_add_f32_e32 v2, v2, v155
	v_add_f32_e32 v3, v3, v163
	buffer_load_dword v155, off, s[0:3], 0 offset:316
	v_add_f32_e32 v2, v2, v167
	v_add_f32_e32 v3, v3, v165
	;; [unrolled: 1-line block ×5, first 2 shown]
	buffer_load_dword v133, off, s[0:3], 0 offset:324
	v_add_f32_e32 v3, v3, v169
	v_add_f32_e32 v2, v2, v171
	;; [unrolled: 1-line block ×4, first 2 shown]
	s_clause 0x3
	buffer_load_dword v8, off, s[0:3], 0 offset:352
	buffer_load_dword v163, off, s[0:3], 0 offset:344
	;; [unrolled: 1-line block ×4, first 2 shown]
	v_add_f32_e32 v3, v3, v172
	v_add_f32_e32 v2, v2, v150
	s_clause 0x1
	buffer_load_dword v150, off, s[0:3], 0 offset:340
	buffer_load_dword v167, off, s[0:3], 0 offset:348
	v_add_f32_e32 v3, v3, v132
	v_add_f32_e32 v2, v2, v153
	buffer_load_dword v153, off, s[0:3], 0 offset:356
	v_add_f32_e32 v3, v3, v151
	v_add_f32_e32 v2, v2, v143
	s_clause 0x3
	buffer_load_dword v143, off, s[0:3], 0 offset:364
	buffer_load_dword v151, off, s[0:3], 0 offset:372
	;; [unrolled: 1-line block ×4, first 2 shown]
	v_add_f32_e32 v3, v3, v152
	v_add_f32_e32 v2, v2, v146
	s_clause 0x1
	buffer_load_dword v146, off, s[0:3], 0 offset:396
	buffer_load_dword v152, off, s[0:3], 0 offset:404
	v_add_f32_e32 v3, v3, v144
	s_clause 0x1
	buffer_load_dword v144, off, s[0:3], 0 offset:412
	buffer_load_dword v170, off, s[0:3], 0 offset:420
	v_add_f32_e32 v2, v2, v122
	v_add_f32_e32 v3, v3, v173
	;; [unrolled: 1-line block ×5, first 2 shown]
	s_clause 0x3
	buffer_load_dword v10, off, s[0:3], 0 offset:384
	buffer_load_dword v134, off, s[0:3], 0 offset:376
	;; [unrolled: 1-line block ×4, first 2 shown]
	v_add_f32_e32 v3, v3, v147
	v_add_f32_e32 v2, v2, v138
	;; [unrolled: 1-line block ×4, first 2 shown]
	s_clause 0x3
	buffer_load_dword v11, off, s[0:3], 0 offset:416
	buffer_load_dword v136, off, s[0:3], 0 offset:408
	buffer_load_dword v138, off, s[0:3], 0 offset:400
	buffer_load_dword v147, off, s[0:3], 0 offset:392
	v_add_f32_e32 v3, v3, v137
	buffer_load_dword v137, off, s[0:3], 0 offset:72
	v_add_f32_e32 v2, v2, v7
	v_add_f32_e32 v3, v3, v139
	;; [unrolled: 1-line block ×4, first 2 shown]
	ds_read_b128 v[2:5], v1 offset:736
	v_add_f32_e32 v7, v7, v124
	v_add_f32_e32 v118, v118, v129
	v_add_f32_e32 v7, v7, v125
	v_add_f32_e32 v6, v118, v6
	ds_read_b128 v[118:121], v1 offset:752
	v_add_f32_e32 v7, v7, v127
	v_add_f32_e32 v6, v6, v126
	;; [unrolled: 1-line block ×8, first 2 shown]
	s_waitcnt vmcnt(27) lgkmcnt(1)
	v_mul_f32_e32 v139, v2, v154
	v_mul_f32_e32 v122, v3, v154
	v_fmac_f32_e32 v139, v3, v174
	v_add_f32_e32 v3, v7, v130
	s_waitcnt vmcnt(25)
	v_mul_f32_e32 v140, v4, v155
	v_mul_f32_e32 v123, v5, v155
	v_fma_f32 v154, v2, v174, -v122
	v_add_f32_e32 v7, v3, v141
	v_fmac_f32_e32 v140, v5, v161
	v_fma_f32 v155, v4, v161, -v123
	ds_read_b128 v[2:5], v1 offset:768
	ds_read_b128 v[122:125], v1 offset:784
	;; [unrolled: 1-line block ×3, first 2 shown]
	v_add_f32_e32 v7, v7, v148
	s_waitcnt lgkmcnt(3)
	v_mul_f32_e32 v148, v120, v162
	s_waitcnt vmcnt(24)
	v_mul_f32_e32 v130, v119, v133
	v_mul_f32_e32 v141, v118, v133
	v_add_f32_e32 v7, v7, v145
	v_mul_f32_e32 v145, v121, v162
	v_fma_f32 v156, v118, v160, -v130
	v_fmac_f32_e32 v141, v119, v160
	v_add_f32_e32 v7, v7, v142
	ds_read_b128 v[130:133], v1 offset:816
	s_waitcnt vmcnt(20)
	v_fma_f32 v142, v120, v166, -v145
	v_add_f32_e32 v145, v6, v159
	v_add_f32_e32 v149, v7, v176
	v_fmac_f32_e32 v148, v121, v166
	s_waitcnt vmcnt(19) lgkmcnt(3)
	v_mul_f32_e32 v157, v2, v150
	v_mul_f32_e32 v150, v3, v150
	v_add_f32_e32 v145, v145, v175
	v_add_f32_e32 v149, v149, v154
	s_waitcnt vmcnt(18)
	v_mul_f32_e32 v154, v5, v167
	v_mul_f32_e32 v158, v4, v167
	v_fma_f32 v2, v2, v165, -v150
	v_add_f32_e32 v139, v145, v139
	v_add_f32_e32 v149, v149, v155
	v_fmac_f32_e32 v157, v3, v165
	s_waitcnt vmcnt(17) lgkmcnt(2)
	v_mul_f32_e32 v145, v122, v153
	v_mul_f32_e32 v150, v123, v153
	v_add_f32_e32 v139, v139, v140
	v_add_f32_e32 v149, v149, v156
	v_fma_f32 v4, v4, v163, -v154
	v_fmac_f32_e32 v158, v5, v163
	v_fmac_f32_e32 v145, v123, v8
	v_add_f32_e32 v139, v139, v141
	v_add_f32_e32 v142, v149, v142
	v_fma_f32 v8, v122, v8, -v150
	s_waitcnt vmcnt(16)
	v_mul_f32_e32 v155, v124, v143
	ds_read_b128 v[118:121], v1 offset:832
	ds_read_b64 v[6:7], v1 offset:848
	v_add_f32_e32 v139, v139, v148
	v_add_f32_e32 v2, v142, v2
	s_waitcnt vmcnt(15) lgkmcnt(3)
	v_mul_f32_e32 v159, v126, v151
	s_waitcnt vmcnt(14)
	v_mul_f32_e32 v140, v128, v168
	s_waitcnt vmcnt(13) lgkmcnt(2)
	v_mul_f32_e32 v156, v130, v169
	v_add_f32_e32 v5, v139, v157
	v_mul_f32_e32 v139, v125, v143
	v_add_f32_e32 v2, v2, v4
	s_waitcnt vmcnt(6)
	v_fmac_f32_e32 v159, v127, v135
	s_waitcnt vmcnt(5)
	v_fmac_f32_e32 v155, v125, v171
	v_add_f32_e32 v4, v5, v158
	v_mul_f32_e32 v5, v127, v151
	v_fma_f32 v122, v124, v171, -v139
	v_add_f32_e32 v2, v2, v8
	v_mul_f32_e32 v8, v129, v168
	v_add_f32_e32 v4, v4, v145
	v_fma_f32 v5, v126, v135, -v5
	v_fmac_f32_e32 v140, v129, v134
	v_add_f32_e32 v2, v2, v122
	v_mul_f32_e32 v122, v131, v169
	v_add_f32_e32 v4, v4, v155
	v_fma_f32 v8, v128, v134, -v8
	v_fmac_f32_e32 v156, v131, v10
	v_add_f32_e32 v2, v2, v5
	v_mul_f32_e32 v5, v133, v146
	v_add_f32_e32 v4, v4, v159
	v_fma_f32 v10, v130, v10, -v122
	v_mul_f32_e32 v3, v132, v146
	v_add_f32_e32 v2, v2, v8
	s_waitcnt lgkmcnt(1)
	v_mul_f32_e32 v8, v119, v152
	v_add_f32_e32 v4, v4, v140
	s_waitcnt vmcnt(1)
	v_fma_f32 v5, v132, v147, -v5
	v_mul_f32_e32 v141, v118, v152
	v_add_f32_e32 v2, v2, v10
	v_fmac_f32_e32 v3, v133, v147
	v_add_f32_e32 v4, v4, v156
	v_mul_f32_e32 v10, v121, v144
	v_fma_f32 v8, v118, v138, -v8
	v_add_f32_e32 v2, v2, v5
	v_mul_f32_e32 v149, v120, v144
	v_fmac_f32_e32 v141, v119, v138
	v_add_f32_e32 v3, v4, v3
	s_waitcnt lgkmcnt(0)
	v_mul_f32_e32 v4, v7, v170
	v_fma_f32 v5, v120, v136, -v10
	v_add_f32_e32 v2, v2, v8
	v_mul_f32_e32 v148, v6, v170
	v_fmac_f32_e32 v149, v121, v136
	v_add_f32_e32 v3, v3, v141
	v_fma_f32 v4, v6, v11, -v4
	v_add_f32_e32 v2, v2, v5
	v_fmac_f32_e32 v148, v7, v11
	v_add_f32_e32 v3, v3, v149
	v_add_f32_e32 v2, v2, v4
	v_add_f32_e32 v3, v3, v148
	s_waitcnt vmcnt(0)
	v_sub_f32_e32 v2, v137, v2
	v_sub_f32_e32 v3, v164, v3
	buffer_store_dword v2, off, s[0:3], 0 offset:72
	buffer_store_dword v3, off, s[0:3], 0 offset:76
	v_cmpx_lt_u32_e32 8, v0
	s_cbranch_execz .LBB52_315
; %bb.314:
	s_clause 0x1
	buffer_load_dword v2, off, s[0:3], 0 offset:64
	buffer_load_dword v3, off, s[0:3], 0 offset:68
	buffer_store_dword v1, off, s[0:3], 0 offset:64
	buffer_store_dword v1, off, s[0:3], 0 offset:68
	s_waitcnt vmcnt(0)
	ds_write_b64 v9, v[2:3]
.LBB52_315:
	s_or_b32 exec_lo, exec_lo, s4
	s_waitcnt lgkmcnt(0)
	s_waitcnt_vscnt null, 0x0
	s_barrier
	buffer_gl0_inv
	s_clause 0x2c
	buffer_load_dword v154, off, s[0:3], 0 offset:76
	buffer_load_dword v155, off, s[0:3], 0 offset:84
	;; [unrolled: 1-line block ×45, first 2 shown]
	ds_read2_b64 v[146:149], v1 offset0:63 offset1:64
	ds_read2_b64 v[150:153], v1 offset0:65 offset1:66
	buffer_load_dword v164, off, s[0:3], 0 offset:68
	s_mov_b32 s4, exec_lo
	s_waitcnt vmcnt(45) lgkmcnt(1)
	v_mul_f32_e32 v162, v147, v154
	v_mul_f32_e32 v154, v146, v154
	s_waitcnt vmcnt(44)
	v_mul_f32_e32 v163, v148, v155
	v_mul_f32_e32 v155, v149, v155
	s_waitcnt vmcnt(41)
	v_fma_f32 v162, v146, v144, -v162
	v_fmac_f32_e32 v154, v147, v144
	v_fmac_f32_e32 v163, v149, v140
	v_fma_f32 v155, v148, v140, -v155
	ds_read2_b64 v[146:149], v1 offset0:67 offset1:68
	s_waitcnt vmcnt(40) lgkmcnt(1)
	v_mul_f32_e32 v165, v150, v139
	v_mul_f32_e32 v139, v151, v139
	s_waitcnt vmcnt(39)
	v_mul_f32_e32 v166, v152, v137
	v_mul_f32_e32 v137, v153, v137
	v_fmac_f32_e32 v165, v151, v126
	v_fma_f32 v126, v150, v126, -v139
	s_waitcnt vmcnt(35)
	v_fmac_f32_e32 v166, v153, v145
	v_fma_f32 v167, v152, v145, -v137
	ds_read2_b64 v[150:153], v1 offset0:69 offset1:70
	s_waitcnt vmcnt(34) lgkmcnt(1)
	v_mul_f32_e32 v168, v146, v143
	v_mul_f32_e32 v137, v147, v143
	s_waitcnt vmcnt(33)
	v_mul_f32_e32 v169, v148, v142
	v_mul_f32_e32 v139, v149, v142
	ds_read2_b64 v[142:145], v1 offset0:71 offset1:72
	v_fmac_f32_e32 v168, v147, v134
	v_fma_f32 v134, v146, v134, -v137
	v_fmac_f32_e32 v169, v149, v129
	v_fma_f32 v170, v148, v129, -v139
	ds_read2_b64 v[146:149], v1 offset0:73 offset1:74
	s_waitcnt vmcnt(32) lgkmcnt(2)
	v_mul_f32_e32 v171, v150, v133
	v_mul_f32_e32 v129, v151, v133
	s_waitcnt vmcnt(31)
	v_mul_f32_e32 v133, v152, v131
	v_mul_f32_e32 v131, v153, v131
	v_fmac_f32_e32 v171, v151, v10
	v_fma_f32 v10, v150, v10, -v129
	s_waitcnt vmcnt(27)
	v_fmac_f32_e32 v133, v153, v141
	v_fma_f32 v150, v152, v141, -v131
	s_waitcnt vmcnt(26) lgkmcnt(1)
	v_mul_f32_e32 v151, v142, v138
	v_mul_f32_e32 v129, v143, v138
	s_waitcnt vmcnt(25)
	v_mul_f32_e32 v152, v144, v136
	v_mul_f32_e32 v131, v145, v136
	ds_read2_b64 v[136:139], v1 offset0:75 offset1:76
	v_fmac_f32_e32 v151, v143, v127
	v_fma_f32 v127, v142, v127, -v129
	ds_read2_b64 v[140:143], v1 offset0:77 offset1:78
	v_fmac_f32_e32 v152, v145, v121
	v_fma_f32 v144, v144, v121, -v131
	s_waitcnt vmcnt(24) lgkmcnt(2)
	v_mul_f32_e32 v145, v146, v125
	v_mul_f32_e32 v121, v147, v125
	s_waitcnt vmcnt(23)
	v_mul_f32_e32 v153, v148, v123
	v_mul_f32_e32 v123, v149, v123
	v_fmac_f32_e32 v145, v147, v4
	v_fma_f32 v146, v146, v4, -v121
	s_waitcnt vmcnt(19)
	v_fmac_f32_e32 v153, v149, v135
	v_fma_f32 v135, v148, v135, -v123
	s_waitcnt vmcnt(18) lgkmcnt(1)
	v_mul_f32_e32 v147, v136, v132
	v_mul_f32_e32 v4, v137, v132
	s_waitcnt vmcnt(17)
	v_mul_f32_e32 v148, v138, v130
	v_mul_f32_e32 v121, v139, v130
	ds_read2_b64 v[129:132], v1 offset0:79 offset1:80
	v_fmac_f32_e32 v147, v137, v120
	v_fma_f32 v136, v136, v120, -v4
	v_fmac_f32_e32 v148, v139, v11
	v_fma_f32 v11, v138, v11, -v121
	s_waitcnt vmcnt(15) lgkmcnt(1)
	v_mul_f32_e32 v138, v142, v118
	v_mul_f32_e32 v118, v143, v118
	v_mul_f32_e32 v137, v140, v119
	v_mul_f32_e32 v4, v141, v119
	s_waitcnt vmcnt(11)
	v_fmac_f32_e32 v138, v143, v128
	v_fma_f32 v128, v142, v128, -v118
	ds_read2_b64 v[118:121], v1 offset0:81 offset1:82
	v_fmac_f32_e32 v137, v141, v3
	v_fma_f32 v139, v140, v3, -v4
	s_waitcnt vmcnt(10) lgkmcnt(1)
	v_mul_f32_e32 v140, v129, v124
	v_mul_f32_e32 v3, v130, v124
	s_waitcnt vmcnt(9)
	v_mul_f32_e32 v141, v131, v122
	v_mul_f32_e32 v4, v132, v122
	ds_read2_b64 v[122:125], v1 offset0:83 offset1:84
	v_fmac_f32_e32 v140, v130, v8
	v_fma_f32 v8, v129, v8, -v3
	v_fmac_f32_e32 v141, v132, v5
	v_fma_f32 v129, v131, v5, -v4
	s_waitcnt vmcnt(8) lgkmcnt(1)
	v_mul_f32_e32 v130, v118, v7
	v_mul_f32_e32 v3, v119, v7
	s_waitcnt vmcnt(7)
	v_mul_f32_e32 v7, v120, v6
	v_mul_f32_e32 v4, v121, v6
	buffer_load_dword v6, off, s[0:3], 0 offset:252
	v_fmac_f32_e32 v130, v119, v2
	v_fma_f32 v131, v118, v2, -v3
	s_waitcnt vmcnt(4)
	v_fmac_f32_e32 v7, v121, v159
	v_fma_f32 v132, v120, v159, -v4
	buffer_load_dword v120, off, s[0:3], 0 offset:260
	ds_read2_b64 v[2:5], v1 offset0:85 offset1:86
	s_waitcnt vmcnt(4) lgkmcnt(1)
	v_mul_f32_e32 v142, v122, v160
	v_mul_f32_e32 v118, v123, v160
	s_waitcnt vmcnt(3)
	v_mul_f32_e32 v143, v124, v161
	v_mul_f32_e32 v119, v125, v161
	v_fmac_f32_e32 v142, v123, v158
	v_fma_f32 v122, v122, v158, -v118
	v_fmac_f32_e32 v143, v125, v157
	v_fma_f32 v123, v124, v157, -v119
	s_clause 0x4
	buffer_load_dword v124, off, s[0:3], 0 offset:280
	buffer_load_dword v125, off, s[0:3], 0 offset:272
	;; [unrolled: 1-line block ×5, first 2 shown]
	s_waitcnt vmcnt(6) lgkmcnt(0)
	v_mul_f32_e32 v158, v2, v6
	v_mul_f32_e32 v6, v3, v6
	v_fmac_f32_e32 v158, v3, v156
	v_fma_f32 v6, v2, v156, -v6
	s_waitcnt vmcnt(5)
	v_mul_f32_e32 v156, v4, v120
	v_mul_f32_e32 v2, v5, v120
	s_waitcnt vmcnt(1)
	v_fmac_f32_e32 v156, v5, v118
	v_fma_f32 v159, v4, v118, -v2
	ds_read2_b64 v[2:5], v1 offset0:87 offset1:88
	ds_read2_b64 v[118:121], v1 offset0:89 offset1:90
	s_waitcnt vmcnt(0) lgkmcnt(1)
	v_mul_f32_e32 v160, v2, v157
	v_mul_f32_e32 v157, v3, v157
	v_fmac_f32_e32 v160, v3, v149
	v_fma_f32 v149, v2, v149, -v157
	s_clause 0x1
	buffer_load_dword v2, off, s[0:3], 0 offset:276
	buffer_load_dword v3, off, s[0:3], 0 offset:284
	s_waitcnt vmcnt(1)
	v_mul_f32_e32 v157, v4, v2
	v_mul_f32_e32 v2, v5, v2
	v_fmac_f32_e32 v157, v5, v125
	v_fma_f32 v161, v4, v125, -v2
	v_add_f32_e32 v2, 0, v162
	buffer_load_dword v5, off, s[0:3], 0 offset:292
	v_add_f32_e32 v4, 0, v154
	v_add_f32_e32 v2, v2, v155
	;; [unrolled: 1-line block ×4, first 2 shown]
	s_clause 0x3
	buffer_load_dword v126, off, s[0:3], 0 offset:312
	buffer_load_dword v125, off, s[0:3], 0 offset:304
	;; [unrolled: 1-line block ×4, first 2 shown]
	v_add_f32_e32 v4, v4, v165
	s_clause 0x1
	buffer_load_dword v162, off, s[0:3], 0 offset:308
	buffer_load_dword v163, off, s[0:3], 0 offset:316
	v_add_f32_e32 v2, v2, v167
	s_waitcnt vmcnt(7) lgkmcnt(0)
	v_mul_f32_e32 v165, v118, v3
	v_add_f32_e32 v4, v4, v166
	v_mul_f32_e32 v3, v119, v3
	v_add_f32_e32 v2, v2, v134
	buffer_load_dword v134, off, s[0:3], 0 offset:300
	v_add_f32_e32 v4, v4, v168
	v_fma_f32 v166, v118, v124, -v3
	v_fmac_f32_e32 v165, v119, v124
	v_add_f32_e32 v2, v2, v170
	v_add_f32_e32 v4, v4, v169
	;; [unrolled: 1-line block ×3, first 2 shown]
	buffer_load_dword v10, off, s[0:3], 0 offset:324
	v_add_f32_e32 v4, v4, v171
	v_add_f32_e32 v2, v2, v150
	;; [unrolled: 1-line block ×3, first 2 shown]
	s_clause 0x5
	buffer_load_dword v150, off, s[0:3], 0 offset:344
	buffer_load_dword v167, off, s[0:3], 0 offset:336
	;; [unrolled: 1-line block ×6, first 2 shown]
	v_add_f32_e32 v2, v2, v127
	v_add_f32_e32 v3, v3, v151
	;; [unrolled: 1-line block ×4, first 2 shown]
	s_clause 0x1
	buffer_load_dword v144, off, s[0:3], 0 offset:340
	buffer_load_dword v152, off, s[0:3], 0 offset:348
	v_add_f32_e32 v2, v2, v146
	v_add_f32_e32 v3, v3, v145
	s_clause 0x2
	buffer_load_dword v145, off, s[0:3], 0 offset:364
	buffer_load_dword v146, off, s[0:3], 0 offset:372
	;; [unrolled: 1-line block ×3, first 2 shown]
	v_add_f32_e32 v2, v2, v135
	v_add_f32_e32 v3, v3, v153
	s_clause 0x3
	buffer_load_dword v153, off, s[0:3], 0 offset:388
	buffer_load_dword v172, off, s[0:3], 0 offset:396
	;; [unrolled: 1-line block ×4, first 2 shown]
	v_add_f32_e32 v2, v2, v136
	v_add_f32_e32 v3, v3, v147
	buffer_load_dword v147, off, s[0:3], 0 offset:420
	v_add_f32_e32 v2, v2, v11
	v_add_f32_e32 v3, v3, v148
	s_clause 0x3
	buffer_load_dword v11, off, s[0:3], 0 offset:376
	buffer_load_dword v148, off, s[0:3], 0 offset:368
	;; [unrolled: 1-line block ×4, first 2 shown]
	v_add_f32_e32 v2, v2, v139
	v_add_f32_e32 v3, v3, v137
	;; [unrolled: 1-line block ×4, first 2 shown]
	s_clause 0x3
	buffer_load_dword v138, off, s[0:3], 0 offset:408
	buffer_load_dword v139, off, s[0:3], 0 offset:400
	;; [unrolled: 1-line block ×4, first 2 shown]
	v_add_f32_e32 v2, v2, v8
	buffer_load_dword v8, off, s[0:3], 0 offset:416
	v_add_f32_e32 v3, v3, v140
	buffer_load_dword v140, off, s[0:3], 0 offset:64
	v_add_f32_e32 v2, v2, v129
	v_add_f32_e32 v3, v3, v141
	v_add_f32_e32 v118, v2, v131
	v_add_f32_e32 v119, v3, v130
	v_add_f32_e32 v118, v118, v132
	v_add_f32_e32 v7, v119, v7
	v_add_f32_e32 v122, v118, v122
	v_add_f32_e32 v7, v7, v142
	v_add_f32_e32 v122, v122, v123
	v_add_f32_e32 v7, v7, v143
	v_add_f32_e32 v6, v122, v6
	v_add_f32_e32 v7, v7, v158
	v_add_f32_e32 v6, v6, v159
	v_add_f32_e32 v7, v7, v156
	v_add_f32_e32 v6, v6, v149
	v_add_f32_e32 v7, v7, v160
	v_add_f32_e32 v6, v6, v161
	v_add_f32_e32 v7, v7, v157
	v_add_f32_e32 v6, v6, v166
	v_add_f32_e32 v7, v7, v165
	s_waitcnt vmcnt(34)
	v_mul_f32_e32 v151, v120, v5
	v_mul_f32_e32 v4, v121, v5
	s_waitcnt vmcnt(30)
	v_fmac_f32_e32 v151, v121, v155
	v_fma_f32 v155, v120, v155, -v4
	ds_read2_b64 v[2:5], v1 offset0:91 offset1:92
	ds_read2_b64 v[118:121], v1 offset0:93 offset1:94
	v_add_f32_e32 v7, v7, v151
	v_add_f32_e32 v6, v6, v155
	s_waitcnt vmcnt(27) lgkmcnt(1)
	v_mul_f32_e32 v141, v2, v134
	v_mul_f32_e32 v123, v3, v134
	;; [unrolled: 1-line block ×4, first 2 shown]
	s_waitcnt lgkmcnt(0)
	v_mul_f32_e32 v127, v119, v163
	v_fmac_f32_e32 v141, v3, v154
	v_fma_f32 v134, v2, v154, -v123
	v_fmac_f32_e32 v142, v5, v125
	v_fma_f32 v143, v4, v125, -v124
	ds_read2_b64 v[2:5], v1 offset0:95 offset1:96
	ds_read2_b64 v[122:125], v1 offset0:97 offset1:98
	v_mul_f32_e32 v154, v118, v163
	s_waitcnt vmcnt(26)
	v_mul_f32_e32 v149, v120, v10
	v_mul_f32_e32 v10, v121, v10
	v_fma_f32 v156, v118, v126, -v127
	v_fmac_f32_e32 v154, v119, v126
	s_waitcnt vmcnt(22)
	v_fmac_f32_e32 v149, v121, v133
	v_fma_f32 v10, v120, v133, -v10
	ds_read2_b64 v[118:121], v1 offset0:99 offset1:100
	ds_read2_b64 v[126:129], v1 offset0:101 offset1:102
	;; [unrolled: 1-line block ×3, first 2 shown]
	s_waitcnt vmcnt(21) lgkmcnt(4)
	v_mul_f32_e32 v157, v2, v169
	v_mul_f32_e32 v135, v3, v169
	v_fmac_f32_e32 v157, v3, v168
	v_add_f32_e32 v3, v6, v134
	v_fma_f32 v2, v2, v168, -v135
	ds_read2_b64 v[134:137], v1 offset0:105 offset1:106
	v_add_f32_e32 v1, v7, v141
	s_waitcnt vmcnt(19)
	v_mul_f32_e32 v7, v5, v144
	v_add_f32_e32 v3, v3, v143
	v_mul_f32_e32 v6, v4, v144
	s_waitcnt vmcnt(18) lgkmcnt(4)
	v_mul_f32_e32 v143, v123, v152
	v_add_f32_e32 v1, v1, v142
	v_fma_f32 v4, v4, v167, -v7
	v_add_f32_e32 v3, v3, v156
	v_mul_f32_e32 v141, v122, v152
	v_fmac_f32_e32 v6, v5, v167
	v_add_f32_e32 v1, v1, v154
	v_fma_f32 v122, v122, v150, -v143
	v_add_f32_e32 v3, v3, v10
	v_mul_f32_e32 v10, v125, v170
	v_mul_f32_e32 v142, v124, v170
	v_add_f32_e32 v1, v1, v149
	v_fmac_f32_e32 v141, v123, v150
	v_add_f32_e32 v2, v3, v2
	s_waitcnt vmcnt(17) lgkmcnt(3)
	v_mul_f32_e32 v5, v118, v145
	s_waitcnt vmcnt(6)
	v_fmac_f32_e32 v142, v125, v176
	v_add_f32_e32 v1, v1, v157
	v_mul_f32_e32 v7, v120, v146
	v_add_f32_e32 v2, v2, v4
	v_mul_f32_e32 v4, v119, v145
	v_fmac_f32_e32 v5, v119, v175
	v_add_f32_e32 v1, v1, v6
	v_fma_f32 v6, v124, v176, -v10
	v_add_f32_e32 v2, v2, v122
	v_mul_f32_e32 v10, v121, v146
	v_fma_f32 v4, v118, v175, -v4
	v_add_f32_e32 v1, v1, v141
	s_waitcnt lgkmcnt(2)
	v_mul_f32_e32 v144, v126, v171
	v_add_f32_e32 v2, v2, v6
	v_mul_f32_e32 v6, v127, v171
	v_fma_f32 v10, v120, v148, -v10
	v_add_f32_e32 v1, v1, v142
	v_fmac_f32_e32 v7, v121, v148
	v_add_f32_e32 v2, v2, v4
	v_mul_f32_e32 v4, v129, v153
	v_mul_f32_e32 v151, v128, v153
	v_add_f32_e32 v1, v1, v5
	v_fma_f32 v5, v126, v11, -v6
	v_add_f32_e32 v2, v2, v10
	v_fmac_f32_e32 v144, v127, v11
	s_waitcnt lgkmcnt(1)
	v_mul_f32_e32 v6, v131, v172
	v_add_f32_e32 v1, v1, v7
	s_waitcnt vmcnt(2)
	v_fma_f32 v4, v128, v178, -v4
	v_add_f32_e32 v2, v2, v5
	v_mul_f32_e32 v152, v130, v172
	v_fmac_f32_e32 v151, v129, v178
	v_add_f32_e32 v1, v1, v144
	v_mul_f32_e32 v5, v133, v173
	v_fma_f32 v6, v130, v177, -v6
	v_add_f32_e32 v2, v2, v4
	v_mul_f32_e32 v149, v132, v173
	v_fmac_f32_e32 v152, v131, v177
	v_add_f32_e32 v1, v1, v151
	s_waitcnt lgkmcnt(0)
	v_mul_f32_e32 v4, v135, v174
	v_fma_f32 v5, v132, v139, -v5
	v_add_f32_e32 v2, v2, v6
	v_mul_f32_e32 v154, v134, v174
	v_fmac_f32_e32 v149, v133, v139
	v_add_f32_e32 v1, v1, v152
	v_mul_f32_e32 v6, v137, v147
	v_fma_f32 v4, v134, v138, -v4
	v_add_f32_e32 v2, v2, v5
	v_mul_f32_e32 v3, v136, v147
	v_fmac_f32_e32 v154, v135, v138
	v_add_f32_e32 v1, v1, v149
	s_waitcnt vmcnt(1)
	v_fma_f32 v5, v136, v8, -v6
	v_add_f32_e32 v2, v2, v4
	v_fmac_f32_e32 v3, v137, v8
	v_add_f32_e32 v1, v1, v154
	v_add_f32_e32 v2, v2, v5
	;; [unrolled: 1-line block ×3, first 2 shown]
	s_waitcnt vmcnt(0)
	v_sub_f32_e32 v2, v140, v2
	v_sub_f32_e32 v1, v164, v1
	buffer_store_dword v2, off, s[0:3], 0 offset:64
	buffer_store_dword v1, off, s[0:3], 0 offset:68
	v_cmpx_lt_u32_e32 7, v0
	s_cbranch_execz .LBB52_317
; %bb.316:
	s_clause 0x1
	buffer_load_dword v1, off, s[0:3], 0 offset:56
	buffer_load_dword v2, off, s[0:3], 0 offset:60
	v_mov_b32_e32 v3, 0
	buffer_store_dword v3, off, s[0:3], 0 offset:56
	buffer_store_dword v3, off, s[0:3], 0 offset:60
	s_waitcnt vmcnt(0)
	ds_write_b64 v9, v[1:2]
.LBB52_317:
	s_or_b32 exec_lo, exec_lo, s4
	s_waitcnt lgkmcnt(0)
	s_waitcnt_vscnt null, 0x0
	s_barrier
	buffer_gl0_inv
	s_clause 0x2c
	buffer_load_dword v146, off, s[0:3], 0 offset:68
	buffer_load_dword v147, off, s[0:3], 0 offset:76
	buffer_load_dword v2, off, s[0:3], 0 offset:80
	buffer_load_dword v7, off, s[0:3], 0 offset:72
	buffer_load_dword v11, off, s[0:3], 0 offset:64
	buffer_load_dword v4, off, s[0:3], 0 offset:84
	buffer_load_dword v5, off, s[0:3], 0 offset:92
	buffer_load_dword v3, off, s[0:3], 0 offset:112
	buffer_load_dword v6, off, s[0:3], 0 offset:104
	buffer_load_dword v10, off, s[0:3], 0 offset:96
	buffer_load_dword v120, off, s[0:3], 0 offset:88
	buffer_load_dword v119, off, s[0:3], 0 offset:100
	buffer_load_dword v118, off, s[0:3], 0 offset:108
	buffer_load_dword v8, off, s[0:3], 0 offset:116
	buffer_load_dword v121, off, s[0:3], 0 offset:124
	buffer_load_dword v122, off, s[0:3], 0 offset:144
	buffer_load_dword v123, off, s[0:3], 0 offset:136
	buffer_load_dword v125, off, s[0:3], 0 offset:128
	buffer_load_dword v129, off, s[0:3], 0 offset:120
	buffer_load_dword v127, off, s[0:3], 0 offset:132
	buffer_load_dword v126, off, s[0:3], 0 offset:140
	buffer_load_dword v124, off, s[0:3], 0 offset:148
	buffer_load_dword v128, off, s[0:3], 0 offset:156
	buffer_load_dword v130, off, s[0:3], 0 offset:176
	buffer_load_dword v131, off, s[0:3], 0 offset:168
	buffer_load_dword v133, off, s[0:3], 0 offset:160
	buffer_load_dword v137, off, s[0:3], 0 offset:152
	buffer_load_dword v135, off, s[0:3], 0 offset:164
	buffer_load_dword v134, off, s[0:3], 0 offset:172
	buffer_load_dword v132, off, s[0:3], 0 offset:180
	buffer_load_dword v136, off, s[0:3], 0 offset:188
	buffer_load_dword v138, off, s[0:3], 0 offset:208
	buffer_load_dword v139, off, s[0:3], 0 offset:200
	buffer_load_dword v141, off, s[0:3], 0 offset:192
	buffer_load_dword v145, off, s[0:3], 0 offset:184
	buffer_load_dword v143, off, s[0:3], 0 offset:196
	buffer_load_dword v142, off, s[0:3], 0 offset:204
	buffer_load_dword v140, off, s[0:3], 0 offset:212
	buffer_load_dword v144, off, s[0:3], 0 offset:220
	buffer_load_dword v148, off, s[0:3], 0 offset:240
	buffer_load_dword v149, off, s[0:3], 0 offset:232
	buffer_load_dword v151, off, s[0:3], 0 offset:224
	buffer_load_dword v160, off, s[0:3], 0 offset:216
	buffer_load_dword v161, off, s[0:3], 0 offset:228
	buffer_load_dword v162, off, s[0:3], 0 offset:236
	v_mov_b32_e32 v1, 0
	ds_read_b128 v[152:155], v1 offset:496
	ds_read_b128 v[156:159], v1 offset:512
	buffer_load_dword v164, off, s[0:3], 0 offset:60
	s_mov_b32 s4, exec_lo
	s_waitcnt vmcnt(45) lgkmcnt(1)
	v_mul_f32_e32 v150, v152, v146
	v_mul_f32_e32 v163, v153, v146
	s_waitcnt vmcnt(44)
	v_mul_f32_e32 v146, v154, v147
	v_mul_f32_e32 v147, v155, v147
	s_waitcnt vmcnt(41)
	v_fmac_f32_e32 v150, v153, v11
	v_fma_f32 v11, v152, v11, -v163
	v_fmac_f32_e32 v146, v155, v7
	v_fma_f32 v147, v154, v7, -v147
	ds_read_b128 v[152:155], v1 offset:528
	s_waitcnt vmcnt(40) lgkmcnt(1)
	v_mul_f32_e32 v163, v156, v4
	s_waitcnt vmcnt(39)
	v_mul_f32_e32 v165, v158, v5
	v_mul_f32_e32 v4, v157, v4
	;; [unrolled: 1-line block ×3, first 2 shown]
	v_fmac_f32_e32 v163, v157, v2
	s_waitcnt vmcnt(35)
	v_fmac_f32_e32 v165, v159, v120
	v_fma_f32 v166, v156, v2, -v4
	v_fma_f32 v167, v158, v120, -v5
	ds_read_b128 v[156:159], v1 offset:544
	s_waitcnt vmcnt(34) lgkmcnt(1)
	v_mul_f32_e32 v168, v152, v119
	v_mul_f32_e32 v2, v153, v119
	s_waitcnt vmcnt(33)
	v_mul_f32_e32 v169, v154, v118
	v_mul_f32_e32 v4, v155, v118
	v_fmac_f32_e32 v168, v153, v10
	v_fma_f32 v10, v152, v10, -v2
	v_fmac_f32_e32 v169, v155, v6
	v_fma_f32 v152, v154, v6, -v4
	ds_read_b128 v[4:7], v1 offset:560
	s_waitcnt vmcnt(32) lgkmcnt(1)
	v_mul_f32_e32 v153, v156, v8
	v_mul_f32_e32 v2, v157, v8
	s_waitcnt vmcnt(31)
	v_mul_f32_e32 v8, v158, v121
	v_mul_f32_e32 v118, v159, v121
	v_fmac_f32_e32 v153, v157, v3
	v_fma_f32 v154, v156, v3, -v2
	s_waitcnt vmcnt(27)
	v_fmac_f32_e32 v8, v159, v129
	v_fma_f32 v129, v158, v129, -v118
	ds_read_b128 v[118:121], v1 offset:576
	buffer_load_dword v159, off, s[0:3], 0 offset:252
	s_waitcnt vmcnt(27) lgkmcnt(1)
	v_mul_f32_e32 v155, v4, v127
	v_mul_f32_e32 v2, v5, v127
	s_waitcnt vmcnt(26)
	v_mul_f32_e32 v3, v7, v126
	v_mul_f32_e32 v127, v6, v126
	v_fmac_f32_e32 v155, v5, v125
	v_fma_f32 v125, v4, v125, -v2
	v_fma_f32 v6, v6, v123, -v3
	ds_read_b128 v[2:5], v1 offset:592
	v_fmac_f32_e32 v127, v7, v123
	s_waitcnt vmcnt(25) lgkmcnt(1)
	v_mul_f32_e32 v7, v118, v124
	v_mul_f32_e32 v123, v119, v124
	s_waitcnt vmcnt(24)
	v_mul_f32_e32 v124, v120, v128
	v_mul_f32_e32 v126, v121, v128
	v_fmac_f32_e32 v7, v119, v122
	v_fma_f32 v122, v118, v122, -v123
	s_waitcnt vmcnt(20)
	v_fmac_f32_e32 v124, v121, v137
	v_fma_f32 v123, v120, v137, -v126
	ds_read_b128 v[118:121], v1 offset:608
	s_waitcnt vmcnt(19) lgkmcnt(1)
	v_mul_f32_e32 v126, v2, v135
	v_mul_f32_e32 v128, v3, v135
	s_waitcnt vmcnt(18)
	v_mul_f32_e32 v135, v4, v134
	v_mul_f32_e32 v134, v5, v134
	v_fmac_f32_e32 v126, v3, v133
	v_fma_f32 v128, v2, v133, -v128
	v_fmac_f32_e32 v135, v5, v131
	v_fma_f32 v131, v4, v131, -v134
	ds_read_b128 v[2:5], v1 offset:624
	s_waitcnt vmcnt(17) lgkmcnt(1)
	v_mul_f32_e32 v133, v118, v132
	v_mul_f32_e32 v132, v119, v132
	s_waitcnt vmcnt(16)
	v_mul_f32_e32 v134, v120, v136
	v_mul_f32_e32 v136, v121, v136
	v_fmac_f32_e32 v133, v119, v130
	v_fma_f32 v130, v118, v130, -v132
	s_waitcnt vmcnt(12)
	v_fmac_f32_e32 v134, v121, v145
	v_fma_f32 v132, v120, v145, -v136
	ds_read_b128 v[118:121], v1 offset:640
	s_waitcnt vmcnt(11) lgkmcnt(1)
	v_mul_f32_e32 v136, v2, v143
	v_mul_f32_e32 v137, v3, v143
	s_waitcnt vmcnt(10)
	v_mul_f32_e32 v143, v4, v142
	v_mul_f32_e32 v142, v5, v142
	v_fmac_f32_e32 v136, v3, v141
	v_fma_f32 v137, v2, v141, -v137
	buffer_load_dword v141, off, s[0:3], 0 offset:244
	v_fmac_f32_e32 v143, v5, v139
	v_fma_f32 v139, v4, v139, -v142
	ds_read_b128 v[2:5], v1 offset:656
	s_waitcnt vmcnt(10) lgkmcnt(1)
	v_mul_f32_e32 v142, v118, v140
	v_mul_f32_e32 v140, v119, v140
	s_waitcnt vmcnt(9)
	v_mul_f32_e32 v145, v120, v144
	v_mul_f32_e32 v144, v121, v144
	v_fmac_f32_e32 v142, v119, v138
	v_fma_f32 v138, v118, v138, -v140
	s_waitcnt vmcnt(5)
	v_fmac_f32_e32 v145, v121, v160
	v_fma_f32 v140, v120, v160, -v144
	ds_read_b128 v[118:121], v1 offset:672
	s_waitcnt vmcnt(4) lgkmcnt(1)
	v_mul_f32_e32 v144, v2, v161
	v_mul_f32_e32 v156, v3, v161
	s_waitcnt vmcnt(3)
	v_mul_f32_e32 v157, v4, v162
	v_mul_f32_e32 v158, v5, v162
	v_fmac_f32_e32 v144, v3, v151
	v_fma_f32 v151, v2, v151, -v156
	v_fmac_f32_e32 v157, v5, v149
	v_fma_f32 v149, v4, v149, -v158
	s_clause 0x5
	buffer_load_dword v156, off, s[0:3], 0 offset:272
	buffer_load_dword v158, off, s[0:3], 0 offset:264
	;; [unrolled: 1-line block ×6, first 2 shown]
	v_add_f32_e32 v2, 0, v150
	v_add_f32_e32 v3, 0, v11
	buffer_load_dword v11, off, s[0:3], 0 offset:276
	v_add_f32_e32 v2, v2, v146
	buffer_load_dword v146, off, s[0:3], 0 offset:284
	v_add_f32_e32 v3, v3, v147
	v_add_f32_e32 v2, v2, v163
	;; [unrolled: 1-line block ×4, first 2 shown]
	s_clause 0x4
	buffer_load_dword v147, off, s[0:3], 0 offset:304
	buffer_load_dword v150, off, s[0:3], 0 offset:296
	;; [unrolled: 1-line block ×5, first 2 shown]
	v_add_f32_e32 v3, v3, v167
	v_add_f32_e32 v2, v2, v168
	;; [unrolled: 1-line block ×4, first 2 shown]
	s_waitcnt vmcnt(13) lgkmcnt(0)
	v_mul_f32_e32 v10, v118, v141
	v_mul_f32_e32 v4, v119, v141
	v_fmac_f32_e32 v10, v119, v148
	v_fma_f32 v141, v118, v148, -v4
	buffer_load_dword v148, off, s[0:3], 0 offset:300
	v_add_f32_e32 v118, v3, v152
	v_add_f32_e32 v119, v2, v153
	ds_read_b128 v[2:5], v1 offset:688
	v_mul_f32_e32 v152, v120, v159
	buffer_load_dword v153, off, s[0:3], 0 offset:316
	v_add_f32_e32 v118, v118, v154
	v_add_f32_e32 v8, v119, v8
	v_mul_f32_e32 v119, v121, v159
	v_add_f32_e32 v118, v118, v129
	v_add_f32_e32 v8, v8, v155
	buffer_load_dword v129, off, s[0:3], 0 offset:308
	v_add_f32_e32 v125, v118, v125
	v_add_f32_e32 v8, v8, v127
	;; [unrolled: 1-line block ×4, first 2 shown]
	s_waitcnt vmcnt(12)
	v_fmac_f32_e32 v152, v121, v161
	v_fma_f32 v154, v120, v161, -v119
	ds_read_b128 v[118:121], v1 offset:704
	s_waitcnt vmcnt(11) lgkmcnt(1)
	v_mul_f32_e32 v155, v3, v162
	v_mul_f32_e32 v127, v2, v162
	s_clause 0x3
	buffer_load_dword v8, off, s[0:3], 0 offset:336
	buffer_load_dword v159, off, s[0:3], 0 offset:328
	;; [unrolled: 1-line block ×4, first 2 shown]
	v_fma_f32 v125, v2, v160, -v155
	v_add_f32_e32 v2, v6, v122
	s_clause 0x1
	buffer_load_dword v6, off, s[0:3], 0 offset:324
	buffer_load_dword v155, off, s[0:3], 0 offset:332
	v_fmac_f32_e32 v127, v3, v160
	v_add_f32_e32 v3, v7, v124
	s_waitcnt vmcnt(16)
	v_mul_f32_e32 v7, v4, v170
	v_mul_f32_e32 v122, v5, v170
	v_add_f32_e32 v2, v2, v123
	buffer_load_dword v160, off, s[0:3], 0 offset:340
	v_add_f32_e32 v3, v3, v126
	v_fmac_f32_e32 v7, v5, v158
	v_fma_f32 v158, v4, v158, -v122
	v_add_f32_e32 v122, v2, v128
	s_clause 0x3
	buffer_load_dword v167, off, s[0:3], 0 offset:348
	buffer_load_dword v168, off, s[0:3], 0 offset:356
	buffer_load_dword v169, off, s[0:3], 0 offset:364
	buffer_load_dword v170, off, s[0:3], 0 offset:372
	v_add_f32_e32 v123, v3, v135
	ds_read_b128 v[2:5], v1 offset:720
	s_waitcnt vmcnt(19) lgkmcnt(1)
	v_mul_f32_e32 v124, v121, v146
	v_add_f32_e32 v122, v122, v131
	v_mul_f32_e32 v131, v118, v11
	v_mul_f32_e32 v11, v119, v11
	v_add_f32_e32 v123, v123, v133
	v_mul_f32_e32 v133, v120, v146
	v_add_f32_e32 v122, v122, v130
	v_fmac_f32_e32 v131, v119, v156
	v_fma_f32 v11, v118, v156, -v11
	v_add_f32_e32 v118, v123, v134
	s_clause 0x3
	buffer_load_dword v134, off, s[0:3], 0 offset:380
	buffer_load_dword v135, off, s[0:3], 0 offset:388
	;; [unrolled: 1-line block ×4, first 2 shown]
	v_add_f32_e32 v119, v122, v132
	s_waitcnt vmcnt(19)
	v_fmac_f32_e32 v133, v121, v165
	v_fma_f32 v130, v120, v165, -v124
	buffer_load_dword v165, off, s[0:3], 0 offset:412
	v_add_f32_e32 v118, v118, v136
	v_add_f32_e32 v119, v119, v137
	s_clause 0x4
	buffer_load_dword v136, off, s[0:3], 0 offset:368
	buffer_load_dword v137, off, s[0:3], 0 offset:360
	;; [unrolled: 1-line block ×5, first 2 shown]
	s_waitcnt vmcnt(24) lgkmcnt(0)
	v_mul_f32_e32 v124, v3, v166
	v_add_f32_e32 v118, v118, v143
	v_add_f32_e32 v122, v119, v139
	v_fma_f32 v132, v2, v163, -v124
	v_add_f32_e32 v123, v118, v142
	v_add_f32_e32 v122, v122, v138
	ds_read_b128 v[118:121], v1 offset:736
	v_mul_f32_e32 v138, v2, v166
	v_add_f32_e32 v123, v123, v145
	v_add_f32_e32 v2, v122, v140
	s_clause 0x3
	buffer_load_dword v139, off, s[0:3], 0 offset:400
	buffer_load_dword v140, off, s[0:3], 0 offset:392
	;; [unrolled: 1-line block ×4, first 2 shown]
	v_fmac_f32_e32 v138, v3, v163
	v_add_f32_e32 v3, v123, v144
	s_clause 0x1
	buffer_load_dword v144, off, s[0:3], 0 offset:416
	buffer_load_dword v145, off, s[0:3], 0 offset:408
	v_add_f32_e32 v2, v2, v151
	v_add_f32_e32 v3, v3, v157
	;; [unrolled: 1-line block ×3, first 2 shown]
	buffer_load_dword v149, off, s[0:3], 0 offset:56
	v_add_f32_e32 v10, v3, v10
	v_add_f32_e32 v122, v2, v141
	;; [unrolled: 1-line block ×6, first 2 shown]
	ds_read_b128 v[122:125], v1 offset:768
	v_add_f32_e32 v7, v10, v7
	v_add_f32_e32 v152, v127, v158
	;; [unrolled: 1-line block ×5, first 2 shown]
	s_waitcnt vmcnt(30)
	v_mul_f32_e32 v151, v4, v148
	v_mul_f32_e32 v3, v5, v148
	v_fmac_f32_e32 v151, v5, v150
	v_fma_f32 v141, v4, v150, -v3
	ds_read_b128 v[2:5], v1 offset:752
	s_waitcnt vmcnt(29) lgkmcnt(2)
	v_mul_f32_e32 v128, v121, v153
	v_mul_f32_e32 v150, v120, v153
	s_waitcnt vmcnt(28)
	v_mul_f32_e32 v148, v118, v129
	v_mul_f32_e32 v126, v119, v129
	v_fmac_f32_e32 v148, v119, v147
	v_fma_f32 v147, v118, v147, -v126
	s_waitcnt vmcnt(24)
	v_fma_f32 v153, v120, v162, -v128
	v_fmac_f32_e32 v150, v121, v162
	ds_read_b128 v[118:121], v1 offset:784
	ds_read_b128 v[126:129], v1 offset:800
	s_waitcnt vmcnt(23) lgkmcnt(2)
	v_mul_f32_e32 v11, v2, v6
	v_mul_f32_e32 v6, v3, v6
	s_waitcnt vmcnt(22)
	v_mul_f32_e32 v152, v4, v155
	v_mul_f32_e32 v154, v5, v155
	v_fmac_f32_e32 v11, v3, v161
	v_fma_f32 v155, v2, v161, -v6
	v_add_f32_e32 v2, v7, v133
	v_add_f32_e32 v6, v10, v132
	v_fma_f32 v10, v4, v159, -v154
	s_waitcnt vmcnt(21)
	v_mul_f32_e32 v154, v122, v160
	v_fmac_f32_e32 v152, v5, v159
	v_add_f32_e32 v138, v2, v138
	v_add_f32_e32 v141, v6, v141
	s_waitcnt vmcnt(20)
	v_mul_f32_e32 v157, v125, v167
	v_fmac_f32_e32 v154, v123, v8
	ds_read_b128 v[130:133], v1 offset:816
	ds_read_b128 v[2:5], v1 offset:832
	v_add_f32_e32 v138, v138, v151
	v_add_f32_e32 v141, v141, v147
	v_mul_f32_e32 v147, v123, v160
	v_mul_f32_e32 v151, v124, v167
	s_waitcnt vmcnt(17) lgkmcnt(2)
	v_mul_f32_e32 v158, v126, v170
	v_add_f32_e32 v138, v138, v148
	v_add_f32_e32 v141, v141, v153
	v_fma_f32 v8, v122, v8, -v147
	v_mul_f32_e32 v148, v118, v168
	v_mul_f32_e32 v153, v120, v169
	v_add_f32_e32 v138, v138, v150
	v_add_f32_e32 v141, v141, v155
	s_waitcnt vmcnt(16)
	v_mul_f32_e32 v150, v128, v134
	s_waitcnt vmcnt(8)
	v_fma_f32 v124, v124, v172, -v157
	v_fmac_f32_e32 v151, v125, v172
	v_add_f32_e32 v11, v138, v11
	v_add_f32_e32 v10, v141, v10
	v_mul_f32_e32 v141, v119, v168
	v_fmac_f32_e32 v148, v119, v171
	v_mul_f32_e32 v119, v127, v170
	v_add_f32_e32 v11, v11, v152
	v_add_f32_e32 v8, v10, v8
	v_fma_f32 v118, v118, v171, -v141
	v_fmac_f32_e32 v153, v121, v137
	v_fma_f32 v119, v126, v136, -v119
	v_add_f32_e32 v10, v11, v154
	v_mul_f32_e32 v11, v121, v169
	v_add_f32_e32 v8, v8, v124
	v_fmac_f32_e32 v158, v127, v136
	ds_read_b64 v[6:7], v1 offset:848
	v_add_f32_e32 v10, v10, v151
	v_fma_f32 v11, v120, v137, -v11
	v_add_f32_e32 v8, v8, v118
	v_mul_f32_e32 v118, v129, v134
	s_waitcnt lgkmcnt(2)
	v_mul_f32_e32 v155, v130, v135
	v_add_f32_e32 v10, v10, v148
	s_waitcnt vmcnt(3)
	v_fmac_f32_e32 v150, v129, v143
	v_add_f32_e32 v8, v8, v11
	v_mul_f32_e32 v11, v131, v135
	v_fma_f32 v118, v128, v143, -v118
	v_add_f32_e32 v10, v10, v153
	v_mul_f32_e32 v122, v132, v146
	v_add_f32_e32 v8, v8, v119
	v_mul_f32_e32 v119, v133, v146
	v_fma_f32 v11, v130, v142, -v11
	v_add_f32_e32 v10, v10, v158
	v_fmac_f32_e32 v155, v131, v142
	v_add_f32_e32 v8, v8, v118
	s_waitcnt lgkmcnt(1)
	v_mul_f32_e32 v123, v2, v156
	v_mul_f32_e32 v118, v3, v156
	v_add_f32_e32 v10, v10, v150
	v_fma_f32 v119, v132, v140, -v119
	v_add_f32_e32 v8, v8, v11
	v_fmac_f32_e32 v122, v133, v140
	v_mul_f32_e32 v11, v5, v165
	v_add_f32_e32 v10, v10, v155
	v_fmac_f32_e32 v123, v3, v139
	v_fma_f32 v2, v2, v139, -v118
	v_add_f32_e32 v3, v8, v119
	v_mul_f32_e32 v138, v4, v165
	v_add_f32_e32 v8, v10, v122
	s_waitcnt lgkmcnt(0)
	v_mul_f32_e32 v10, v7, v173
	s_waitcnt vmcnt(1)
	v_fma_f32 v4, v4, v145, -v11
	v_add_f32_e32 v2, v3, v2
	v_mul_f32_e32 v147, v6, v173
	v_fmac_f32_e32 v138, v5, v145
	v_add_f32_e32 v3, v8, v123
	v_fma_f32 v5, v6, v144, -v10
	v_add_f32_e32 v2, v2, v4
	v_fmac_f32_e32 v147, v7, v144
	v_add_f32_e32 v3, v3, v138
	v_add_f32_e32 v2, v2, v5
	;; [unrolled: 1-line block ×3, first 2 shown]
	s_waitcnt vmcnt(0)
	v_sub_f32_e32 v2, v149, v2
	v_sub_f32_e32 v3, v164, v3
	buffer_store_dword v2, off, s[0:3], 0 offset:56
	buffer_store_dword v3, off, s[0:3], 0 offset:60
	v_cmpx_lt_u32_e32 6, v0
	s_cbranch_execz .LBB52_319
; %bb.318:
	s_clause 0x1
	buffer_load_dword v2, off, s[0:3], 0 offset:48
	buffer_load_dword v3, off, s[0:3], 0 offset:52
	buffer_store_dword v1, off, s[0:3], 0 offset:48
	buffer_store_dword v1, off, s[0:3], 0 offset:52
	s_waitcnt vmcnt(0)
	ds_write_b64 v9, v[2:3]
.LBB52_319:
	s_or_b32 exec_lo, exec_lo, s4
	s_waitcnt lgkmcnt(0)
	s_waitcnt_vscnt null, 0x0
	s_barrier
	buffer_gl0_inv
	s_clause 0x2c
	buffer_load_dword v146, off, s[0:3], 0 offset:60
	buffer_load_dword v147, off, s[0:3], 0 offset:68
	;; [unrolled: 1-line block ×45, first 2 shown]
	ds_read2_b64 v[152:155], v1 offset0:61 offset1:62
	ds_read2_b64 v[156:159], v1 offset0:63 offset1:64
	buffer_load_dword v164, off, s[0:3], 0 offset:52
	s_mov_b32 s4, exec_lo
	s_waitcnt vmcnt(45) lgkmcnt(1)
	v_mul_f32_e32 v149, v152, v146
	v_mul_f32_e32 v163, v153, v146
	s_waitcnt vmcnt(44)
	v_mul_f32_e32 v146, v154, v147
	v_mul_f32_e32 v147, v155, v147
	s_waitcnt vmcnt(41)
	v_fmac_f32_e32 v149, v153, v11
	v_fma_f32 v11, v152, v11, -v163
	v_fmac_f32_e32 v146, v155, v7
	v_fma_f32 v147, v154, v7, -v147
	ds_read2_b64 v[152:155], v1 offset0:65 offset1:66
	s_waitcnt vmcnt(40) lgkmcnt(1)
	v_mul_f32_e32 v163, v156, v4
	s_waitcnt vmcnt(39)
	v_mul_f32_e32 v165, v158, v5
	v_mul_f32_e32 v4, v157, v4
	;; [unrolled: 1-line block ×3, first 2 shown]
	v_fmac_f32_e32 v163, v157, v2
	s_waitcnt vmcnt(35)
	v_fmac_f32_e32 v165, v159, v120
	v_fma_f32 v166, v156, v2, -v4
	v_fma_f32 v167, v158, v120, -v5
	ds_read2_b64 v[156:159], v1 offset0:67 offset1:68
	s_waitcnt vmcnt(34) lgkmcnt(1)
	v_mul_f32_e32 v168, v152, v119
	v_mul_f32_e32 v2, v153, v119
	s_waitcnt vmcnt(33)
	v_mul_f32_e32 v169, v154, v118
	v_mul_f32_e32 v4, v155, v118
	v_fmac_f32_e32 v168, v153, v10
	v_fma_f32 v10, v152, v10, -v2
	v_fmac_f32_e32 v169, v155, v6
	v_fma_f32 v152, v154, v6, -v4
	ds_read2_b64 v[4:7], v1 offset0:69 offset1:70
	s_waitcnt vmcnt(32) lgkmcnt(1)
	v_mul_f32_e32 v153, v156, v8
	v_mul_f32_e32 v2, v157, v8
	s_waitcnt vmcnt(31)
	v_mul_f32_e32 v8, v158, v121
	v_mul_f32_e32 v118, v159, v121
	v_fmac_f32_e32 v153, v157, v3
	v_fma_f32 v154, v156, v3, -v2
	s_waitcnt vmcnt(27)
	v_fmac_f32_e32 v8, v159, v129
	v_fma_f32 v129, v158, v129, -v118
	ds_read2_b64 v[118:121], v1 offset0:71 offset1:72
	buffer_load_dword v159, off, s[0:3], 0 offset:244
	s_waitcnt vmcnt(27) lgkmcnt(1)
	v_mul_f32_e32 v155, v4, v127
	v_mul_f32_e32 v2, v5, v127
	s_waitcnt vmcnt(26)
	v_mul_f32_e32 v3, v7, v126
	v_mul_f32_e32 v127, v6, v126
	v_fmac_f32_e32 v155, v5, v125
	v_fma_f32 v125, v4, v125, -v2
	v_fma_f32 v6, v6, v123, -v3
	ds_read2_b64 v[2:5], v1 offset0:73 offset1:74
	v_fmac_f32_e32 v127, v7, v123
	s_waitcnt vmcnt(25) lgkmcnt(1)
	v_mul_f32_e32 v7, v118, v124
	v_mul_f32_e32 v123, v119, v124
	s_waitcnt vmcnt(24)
	v_mul_f32_e32 v124, v120, v128
	v_mul_f32_e32 v126, v121, v128
	v_fmac_f32_e32 v7, v119, v122
	v_fma_f32 v122, v118, v122, -v123
	s_waitcnt vmcnt(20)
	v_fmac_f32_e32 v124, v121, v137
	v_fma_f32 v123, v120, v137, -v126
	ds_read2_b64 v[118:121], v1 offset0:75 offset1:76
	s_waitcnt vmcnt(19) lgkmcnt(1)
	v_mul_f32_e32 v126, v2, v135
	v_mul_f32_e32 v128, v3, v135
	s_waitcnt vmcnt(18)
	v_mul_f32_e32 v135, v4, v134
	v_mul_f32_e32 v134, v5, v134
	v_fmac_f32_e32 v126, v3, v133
	v_fma_f32 v128, v2, v133, -v128
	v_fmac_f32_e32 v135, v5, v131
	v_fma_f32 v131, v4, v131, -v134
	ds_read2_b64 v[2:5], v1 offset0:77 offset1:78
	s_waitcnt vmcnt(17) lgkmcnt(1)
	v_mul_f32_e32 v133, v118, v132
	v_mul_f32_e32 v132, v119, v132
	s_waitcnt vmcnt(16)
	v_mul_f32_e32 v134, v120, v136
	v_mul_f32_e32 v136, v121, v136
	v_fmac_f32_e32 v133, v119, v130
	v_fma_f32 v130, v118, v130, -v132
	s_waitcnt vmcnt(12)
	v_fmac_f32_e32 v134, v121, v145
	v_fma_f32 v132, v120, v145, -v136
	ds_read2_b64 v[118:121], v1 offset0:79 offset1:80
	buffer_load_dword v145, off, s[0:3], 0 offset:236
	s_waitcnt vmcnt(12) lgkmcnt(1)
	v_mul_f32_e32 v136, v2, v143
	v_mul_f32_e32 v137, v3, v143
	s_waitcnt vmcnt(11)
	v_mul_f32_e32 v143, v4, v142
	v_mul_f32_e32 v142, v5, v142
	v_fmac_f32_e32 v136, v3, v141
	v_fma_f32 v137, v2, v141, -v137
	v_fmac_f32_e32 v143, v5, v139
	v_fma_f32 v139, v4, v139, -v142
	ds_read2_b64 v[2:5], v1 offset0:81 offset1:82
	s_waitcnt vmcnt(10) lgkmcnt(1)
	v_mul_f32_e32 v141, v118, v140
	v_mul_f32_e32 v140, v119, v140
	s_waitcnt vmcnt(9)
	v_mul_f32_e32 v142, v120, v144
	v_mul_f32_e32 v144, v121, v144
	v_fmac_f32_e32 v141, v119, v138
	v_fma_f32 v138, v118, v138, -v140
	s_waitcnt vmcnt(5)
	v_fmac_f32_e32 v142, v121, v160
	v_fma_f32 v140, v120, v160, -v144
	ds_read2_b64 v[118:121], v1 offset0:83 offset1:84
	s_waitcnt vmcnt(4) lgkmcnt(1)
	v_mul_f32_e32 v144, v2, v161
	v_mul_f32_e32 v156, v3, v161
	s_waitcnt vmcnt(3)
	v_mul_f32_e32 v157, v4, v162
	v_mul_f32_e32 v158, v5, v162
	v_fmac_f32_e32 v144, v3, v151
	v_fma_f32 v151, v2, v151, -v156
	v_fmac_f32_e32 v157, v5, v150
	v_fma_f32 v150, v4, v150, -v158
	s_clause 0x5
	buffer_load_dword v156, off, s[0:3], 0 offset:264
	buffer_load_dword v158, off, s[0:3], 0 offset:256
	;; [unrolled: 1-line block ×6, first 2 shown]
	v_add_f32_e32 v2, 0, v149
	v_add_f32_e32 v3, 0, v11
	buffer_load_dword v11, off, s[0:3], 0 offset:276
	v_add_f32_e32 v2, v2, v146
	buffer_load_dword v146, off, s[0:3], 0 offset:268
	v_add_f32_e32 v3, v3, v147
	v_add_f32_e32 v2, v2, v163
	;; [unrolled: 1-line block ×4, first 2 shown]
	s_clause 0x4
	buffer_load_dword v147, off, s[0:3], 0 offset:296
	buffer_load_dword v149, off, s[0:3], 0 offset:288
	;; [unrolled: 1-line block ×5, first 2 shown]
	v_add_f32_e32 v3, v3, v167
	v_add_f32_e32 v2, v2, v168
	;; [unrolled: 1-line block ×3, first 2 shown]
	s_clause 0x1
	buffer_load_dword v10, off, s[0:3], 0 offset:292
	buffer_load_dword v167, off, s[0:3], 0 offset:300
	v_add_f32_e32 v2, v2, v169
	v_add_f32_e32 v3, v3, v152
	;; [unrolled: 1-line block ×10, first 2 shown]
	s_waitcnt vmcnt(16) lgkmcnt(0)
	v_mul_f32_e32 v153, v121, v159
	s_waitcnt vmcnt(15)
	v_mul_f32_e32 v152, v118, v145
	v_mul_f32_e32 v4, v119, v145
	;; [unrolled: 1-line block ×3, first 2 shown]
	v_fmac_f32_e32 v152, v119, v148
	v_fma_f32 v148, v118, v148, -v4
	v_add_f32_e32 v118, v3, v129
	ds_read2_b64 v[2:5], v1 offset0:85 offset1:86
	v_add_f32_e32 v118, v118, v125
	v_add_f32_e32 v6, v118, v6
	;; [unrolled: 1-line block ×6, first 2 shown]
	s_waitcnt vmcnt(11)
	v_fmac_f32_e32 v145, v121, v161
	v_fma_f32 v129, v120, v161, -v153
	s_clause 0x7
	buffer_load_dword v153, off, s[0:3], 0 offset:308
	buffer_load_dword v154, off, s[0:3], 0 offset:328
	;; [unrolled: 1-line block ×8, first 2 shown]
	ds_read2_b64 v[118:121], v1 offset0:87 offset1:88
	s_waitcnt vmcnt(18) lgkmcnt(1)
	v_mul_f32_e32 v122, v2, v162
	v_mul_f32_e32 v123, v3, v162
	s_waitcnt vmcnt(17)
	v_mul_f32_e32 v126, v4, v170
	v_mul_f32_e32 v124, v5, v170
	v_fmac_f32_e32 v122, v3, v160
	v_add_f32_e32 v3, v7, v135
	v_fma_f32 v7, v2, v160, -v123
	v_fmac_f32_e32 v126, v5, v158
	v_fma_f32 v127, v4, v158, -v124
	v_add_f32_e32 v2, v3, v133
	v_add_f32_e32 v3, v6, v130
	s_clause 0x7
	buffer_load_dword v6, off, s[0:3], 0 offset:340
	buffer_load_dword v158, off, s[0:3], 0 offset:348
	;; [unrolled: 1-line block ×8, first 2 shown]
	v_add_f32_e32 v2, v2, v134
	v_add_f32_e32 v3, v3, v132
	s_waitcnt vmcnt(23) lgkmcnt(0)
	v_mul_f32_e32 v4, v119, v146
	v_mul_f32_e32 v128, v118, v146
	v_add_f32_e32 v2, v2, v136
	v_mul_f32_e32 v131, v120, v11
	s_clause 0x3
	buffer_load_dword v146, off, s[0:3], 0 offset:372
	buffer_load_dword v174, off, s[0:3], 0 offset:380
	;; [unrolled: 1-line block ×4, first 2 shown]
	v_fma_f32 v130, v118, v156, -v4
	v_add_f32_e32 v118, v3, v137
	v_mul_f32_e32 v3, v121, v11
	v_add_f32_e32 v11, v2, v143
	v_fmac_f32_e32 v128, v119, v156
	s_clause 0x1
	buffer_load_dword v156, off, s[0:3], 0 offset:404
	buffer_load_dword v177, off, s[0:3], 0 offset:412
	v_add_f32_e32 v118, v118, v139
	s_waitcnt vmcnt(25)
	v_fma_f32 v132, v120, v165, -v3
	ds_read2_b64 v[2:5], v1 offset0:89 offset1:90
	v_add_f32_e32 v11, v11, v141
	buffer_load_dword v143, off, s[0:3], 0 offset:420
	v_add_f32_e32 v118, v118, v138
	v_fmac_f32_e32 v131, v121, v165
	v_add_f32_e32 v11, v11, v142
	s_clause 0x3
	buffer_load_dword v138, off, s[0:3], 0 offset:392
	buffer_load_dword v139, off, s[0:3], 0 offset:384
	;; [unrolled: 1-line block ×4, first 2 shown]
	v_add_f32_e32 v118, v118, v140
	v_add_f32_e32 v11, v11, v144
	;; [unrolled: 1-line block ×3, first 2 shown]
	ds_read2_b64 v[118:121], v1 offset0:91 offset1:92
	v_add_f32_e32 v11, v11, v157
	s_waitcnt vmcnt(29) lgkmcnt(1)
	v_mul_f32_e32 v133, v2, v166
	v_mul_f32_e32 v124, v3, v166
	s_waitcnt vmcnt(28)
	v_mul_f32_e32 v135, v4, v10
	v_mul_f32_e32 v10, v5, v10
	v_fmac_f32_e32 v133, v3, v163
	v_add_f32_e32 v3, v11, v152
	s_clause 0x2
	buffer_load_dword v11, off, s[0:3], 0 offset:416
	buffer_load_dword v140, off, s[0:3], 0 offset:408
	;; [unrolled: 1-line block ×3, first 2 shown]
	v_fma_f32 v134, v2, v163, -v124
	v_add_f32_e32 v2, v123, v150
	v_fmac_f32_e32 v135, v5, v149
	v_add_f32_e32 v3, v3, v145
	v_fma_f32 v10, v4, v149, -v10
	v_add_f32_e32 v2, v2, v148
	buffer_load_dword v148, off, s[0:3], 0 offset:48
	s_waitcnt vmcnt(31) lgkmcnt(0)
	v_mul_f32_e32 v136, v118, v167
	v_add_f32_e32 v123, v2, v129
	v_add_f32_e32 v129, v3, v122
	ds_read2_b64 v[2:5], v1 offset0:93 offset1:94
	v_fmac_f32_e32 v136, v119, v147
	v_add_f32_e32 v7, v123, v7
	ds_read2_b64 v[122:125], v1 offset0:95 offset1:96
	v_add_f32_e32 v126, v129, v126
	v_mul_f32_e32 v129, v119, v167
	v_add_f32_e32 v7, v7, v127
	v_add_f32_e32 v137, v126, v128
	v_fma_f32 v147, v118, v147, -v129
	v_add_f32_e32 v7, v7, v130
	v_add_f32_e32 v130, v137, v131
	;; [unrolled: 1-line block ×7, first 2 shown]
	s_waitcnt vmcnt(30)
	v_mul_f32_e32 v145, v120, v153
	v_mul_f32_e32 v127, v121, v153
	s_waitcnt vmcnt(25) lgkmcnt(1)
	v_mul_f32_e32 v150, v2, v8
	s_waitcnt vmcnt(24)
	v_mul_f32_e32 v151, v4, v168
	v_mul_f32_e32 v8, v3, v8
	v_mul_f32_e32 v131, v5, v168
	s_waitcnt vmcnt(23) lgkmcnt(0)
	v_mul_f32_e32 v137, v123, v169
	v_fmac_f32_e32 v145, v121, v161
	v_fma_f32 v149, v120, v161, -v127
	ds_read2_b64 v[118:121], v1 offset0:97 offset1:98
	ds_read2_b64 v[126:129], v1 offset0:99 offset1:100
	v_mul_f32_e32 v152, v122, v169
	v_fmac_f32_e32 v150, v3, v159
	v_fmac_f32_e32 v151, v5, v155
	v_fma_f32 v8, v2, v159, -v8
	v_fma_f32 v153, v4, v155, -v131
	ds_read2_b64 v[2:5], v1 offset0:101 offset1:102
	ds_read2_b64 v[130:133], v1 offset0:103 offset1:104
	v_fma_f32 v10, v122, v154, -v137
	v_add_f32_e32 v122, v134, v136
	ds_read2_b64 v[134:137], v1 offset0:105 offset1:106
	v_add_f32_e32 v1, v7, v147
	s_waitcnt vmcnt(22)
	v_mul_f32_e32 v7, v124, v6
	v_mul_f32_e32 v6, v125, v6
	v_add_f32_e32 v122, v122, v145
	v_fmac_f32_e32 v152, v123, v154
	v_add_f32_e32 v1, v1, v149
	s_waitcnt vmcnt(15)
	v_fmac_f32_e32 v7, v125, v173
	v_fma_f32 v6, v124, v173, -v6
	s_waitcnt lgkmcnt(4)
	v_mul_f32_e32 v147, v119, v158
	v_add_f32_e32 v1, v1, v8
	v_add_f32_e32 v8, v122, v150
	v_mul_f32_e32 v123, v118, v158
	v_mul_f32_e32 v145, v120, v160
	v_fma_f32 v118, v118, v172, -v147
	v_add_f32_e32 v1, v1, v153
	v_add_f32_e32 v8, v8, v151
	v_mul_f32_e32 v151, v121, v160
	v_fmac_f32_e32 v123, v119, v172
	s_waitcnt lgkmcnt(3)
	v_mul_f32_e32 v124, v126, v162
	v_add_f32_e32 v1, v1, v10
	v_add_f32_e32 v8, v8, v152
	v_fmac_f32_e32 v145, v121, v171
	s_waitcnt vmcnt(14)
	v_mul_f32_e32 v125, v128, v146
	v_fmac_f32_e32 v124, v127, v170
	v_add_f32_e32 v1, v1, v6
	v_add_f32_e32 v6, v8, v7
	v_mul_f32_e32 v7, v127, v162
	v_fma_f32 v8, v120, v171, -v151
	s_waitcnt vmcnt(13) lgkmcnt(2)
	v_mul_f32_e32 v122, v2, v174
	v_add_f32_e32 v1, v1, v118
	v_add_f32_e32 v6, v6, v123
	v_mul_f32_e32 v118, v129, v146
	v_fma_f32 v7, v126, v170, -v7
	s_waitcnt vmcnt(4)
	v_fmac_f32_e32 v125, v129, v142
	v_add_f32_e32 v1, v1, v8
	v_add_f32_e32 v6, v6, v145
	v_mul_f32_e32 v8, v3, v174
	v_fma_f32 v118, v128, v142, -v118
	v_mul_f32_e32 v149, v4, v175
	v_add_f32_e32 v1, v1, v7
	v_add_f32_e32 v6, v6, v124
	v_mul_f32_e32 v7, v5, v175
	v_fma_f32 v2, v2, v141, -v8
	v_fmac_f32_e32 v122, v3, v141
	v_add_f32_e32 v1, v1, v118
	v_add_f32_e32 v3, v6, v125
	s_waitcnt lgkmcnt(1)
	v_mul_f32_e32 v6, v131, v176
	v_fma_f32 v4, v4, v139, -v7
	v_mul_f32_e32 v150, v130, v176
	v_add_f32_e32 v1, v1, v2
	v_fmac_f32_e32 v149, v5, v139
	v_add_f32_e32 v2, v3, v122
	v_mul_f32_e32 v3, v133, v156
	v_fma_f32 v5, v130, v138, -v6
	v_add_f32_e32 v1, v1, v4
	v_mul_f32_e32 v153, v132, v156
	v_fmac_f32_e32 v150, v131, v138
	v_add_f32_e32 v2, v2, v149
	s_waitcnt lgkmcnt(0)
	v_mul_f32_e32 v4, v135, v177
	s_waitcnt vmcnt(1)
	v_fma_f32 v3, v132, v144, -v3
	v_add_f32_e32 v1, v1, v5
	v_mul_f32_e32 v154, v134, v177
	v_fmac_f32_e32 v153, v133, v144
	v_add_f32_e32 v2, v2, v150
	v_mul_f32_e32 v5, v137, v143
	v_fma_f32 v4, v134, v140, -v4
	v_add_f32_e32 v1, v1, v3
	v_mul_f32_e32 v10, v136, v143
	v_fmac_f32_e32 v154, v135, v140
	v_add_f32_e32 v2, v2, v153
	v_fma_f32 v3, v136, v11, -v5
	v_add_f32_e32 v1, v1, v4
	v_fmac_f32_e32 v10, v137, v11
	v_add_f32_e32 v2, v2, v154
	v_add_f32_e32 v1, v1, v3
	;; [unrolled: 1-line block ×3, first 2 shown]
	s_waitcnt vmcnt(0)
	v_sub_f32_e32 v1, v148, v1
	v_sub_f32_e32 v2, v164, v2
	buffer_store_dword v1, off, s[0:3], 0 offset:48
	buffer_store_dword v2, off, s[0:3], 0 offset:52
	v_cmpx_lt_u32_e32 5, v0
	s_cbranch_execz .LBB52_321
; %bb.320:
	s_clause 0x1
	buffer_load_dword v1, off, s[0:3], 0 offset:40
	buffer_load_dword v2, off, s[0:3], 0 offset:44
	v_mov_b32_e32 v3, 0
	buffer_store_dword v3, off, s[0:3], 0 offset:40
	buffer_store_dword v3, off, s[0:3], 0 offset:44
	s_waitcnt vmcnt(0)
	ds_write_b64 v9, v[1:2]
.LBB52_321:
	s_or_b32 exec_lo, exec_lo, s4
	s_waitcnt lgkmcnt(0)
	s_waitcnt_vscnt null, 0x0
	s_barrier
	buffer_gl0_inv
	s_clause 0x2c
	buffer_load_dword v146, off, s[0:3], 0 offset:52
	buffer_load_dword v147, off, s[0:3], 0 offset:60
	;; [unrolled: 1-line block ×45, first 2 shown]
	v_mov_b32_e32 v1, 0
	ds_read_b128 v[155:158], v1 offset:480
	ds_read_b128 v[159:162], v1 offset:496
	buffer_load_dword v164, off, s[0:3], 0 offset:44
	s_mov_b32 s4, exec_lo
	s_waitcnt vmcnt(45) lgkmcnt(1)
	v_mul_f32_e32 v148, v155, v146
	v_mul_f32_e32 v163, v156, v146
	s_waitcnt vmcnt(44)
	v_mul_f32_e32 v146, v157, v147
	v_mul_f32_e32 v147, v158, v147
	s_waitcnt vmcnt(41)
	v_fmac_f32_e32 v148, v156, v11
	v_fma_f32 v11, v155, v11, -v163
	v_fmac_f32_e32 v146, v158, v7
	v_fma_f32 v147, v157, v7, -v147
	ds_read_b128 v[155:158], v1 offset:512
	s_waitcnt vmcnt(40) lgkmcnt(1)
	v_mul_f32_e32 v163, v159, v4
	s_waitcnt vmcnt(39)
	v_mul_f32_e32 v165, v161, v5
	v_mul_f32_e32 v4, v160, v4
	;; [unrolled: 1-line block ×3, first 2 shown]
	v_fmac_f32_e32 v163, v160, v2
	s_waitcnt vmcnt(35)
	v_fmac_f32_e32 v165, v162, v120
	v_fma_f32 v166, v159, v2, -v4
	v_fma_f32 v167, v161, v120, -v5
	ds_read_b128 v[159:162], v1 offset:528
	s_waitcnt vmcnt(34) lgkmcnt(1)
	v_mul_f32_e32 v168, v155, v119
	v_mul_f32_e32 v2, v156, v119
	s_waitcnt vmcnt(33)
	v_mul_f32_e32 v169, v157, v118
	v_mul_f32_e32 v4, v158, v118
	v_fmac_f32_e32 v168, v156, v10
	v_fma_f32 v10, v155, v10, -v2
	v_fmac_f32_e32 v169, v158, v6
	v_fma_f32 v155, v157, v6, -v4
	ds_read_b128 v[4:7], v1 offset:544
	s_waitcnt vmcnt(32) lgkmcnt(1)
	v_mul_f32_e32 v156, v159, v8
	v_mul_f32_e32 v2, v160, v8
	s_waitcnt vmcnt(31)
	v_mul_f32_e32 v8, v161, v121
	v_mul_f32_e32 v118, v162, v121
	v_fmac_f32_e32 v156, v160, v3
	v_fma_f32 v157, v159, v3, -v2
	s_waitcnt vmcnt(27)
	v_fmac_f32_e32 v8, v162, v129
	v_fma_f32 v129, v161, v129, -v118
	ds_read_b128 v[118:121], v1 offset:560
	buffer_load_dword v159, off, s[0:3], 0 offset:236
	s_waitcnt vmcnt(27) lgkmcnt(1)
	v_mul_f32_e32 v158, v4, v127
	v_mul_f32_e32 v2, v5, v127
	s_waitcnt vmcnt(26)
	v_mul_f32_e32 v3, v7, v126
	v_mul_f32_e32 v127, v6, v126
	v_fmac_f32_e32 v158, v5, v125
	v_fma_f32 v125, v4, v125, -v2
	v_fma_f32 v6, v6, v123, -v3
	ds_read_b128 v[2:5], v1 offset:576
	v_fmac_f32_e32 v127, v7, v123
	s_waitcnt vmcnt(25) lgkmcnt(1)
	v_mul_f32_e32 v7, v118, v124
	v_mul_f32_e32 v123, v119, v124
	s_waitcnt vmcnt(24)
	v_mul_f32_e32 v124, v120, v128
	v_mul_f32_e32 v126, v121, v128
	v_fmac_f32_e32 v7, v119, v122
	v_fma_f32 v122, v118, v122, -v123
	s_waitcnt vmcnt(20)
	v_fmac_f32_e32 v124, v121, v137
	v_fma_f32 v123, v120, v137, -v126
	ds_read_b128 v[118:121], v1 offset:592
	s_waitcnt vmcnt(19) lgkmcnt(1)
	v_mul_f32_e32 v126, v2, v135
	v_mul_f32_e32 v128, v3, v135
	s_waitcnt vmcnt(18)
	v_mul_f32_e32 v135, v4, v134
	v_mul_f32_e32 v134, v5, v134
	v_fmac_f32_e32 v126, v3, v133
	v_fma_f32 v128, v2, v133, -v128
	v_fmac_f32_e32 v135, v5, v131
	v_fma_f32 v131, v4, v131, -v134
	ds_read_b128 v[2:5], v1 offset:608
	s_waitcnt vmcnt(17) lgkmcnt(1)
	v_mul_f32_e32 v133, v118, v132
	v_mul_f32_e32 v132, v119, v132
	s_waitcnt vmcnt(16)
	v_mul_f32_e32 v134, v120, v136
	v_mul_f32_e32 v136, v121, v136
	v_fmac_f32_e32 v133, v119, v130
	v_fma_f32 v130, v118, v130, -v132
	s_waitcnt vmcnt(12)
	v_fmac_f32_e32 v134, v121, v144
	v_fma_f32 v132, v120, v144, -v136
	ds_read_b128 v[118:121], v1 offset:624
	s_waitcnt vmcnt(11) lgkmcnt(1)
	v_mul_f32_e32 v136, v2, v143
	v_mul_f32_e32 v137, v3, v143
	s_waitcnt vmcnt(10)
	v_mul_f32_e32 v143, v4, v142
	v_mul_f32_e32 v142, v5, v142
	v_fmac_f32_e32 v136, v3, v141
	v_fma_f32 v137, v2, v141, -v137
	v_fmac_f32_e32 v143, v5, v139
	v_fma_f32 v139, v4, v139, -v142
	ds_read_b128 v[2:5], v1 offset:640
	s_waitcnt vmcnt(8) lgkmcnt(1)
	v_mul_f32_e32 v142, v120, v145
	v_mul_f32_e32 v144, v121, v145
	buffer_load_dword v145, off, s[0:3], 0 offset:228
	v_mul_f32_e32 v141, v118, v140
	v_mul_f32_e32 v140, v119, v140
	s_waitcnt vmcnt(5)
	v_fmac_f32_e32 v142, v121, v154
	v_fmac_f32_e32 v141, v119, v138
	v_fma_f32 v138, v118, v138, -v140
	v_fma_f32 v140, v120, v154, -v144
	ds_read_b128 v[118:121], v1 offset:656
	s_waitcnt vmcnt(4) lgkmcnt(1)
	v_mul_f32_e32 v144, v2, v153
	v_mul_f32_e32 v153, v3, v153
	s_waitcnt vmcnt(3)
	v_mul_f32_e32 v154, v4, v152
	v_mul_f32_e32 v152, v5, v152
	v_fmac_f32_e32 v144, v3, v151
	v_fma_f32 v151, v2, v151, -v153
	v_fmac_f32_e32 v154, v5, v150
	v_fma_f32 v150, v4, v150, -v152
	s_clause 0x4
	buffer_load_dword v152, off, s[0:3], 0 offset:256
	buffer_load_dword v153, off, s[0:3], 0 offset:248
	;; [unrolled: 1-line block ×5, first 2 shown]
	s_waitcnt vmcnt(5) lgkmcnt(0)
	v_mul_f32_e32 v162, v118, v145
	v_mul_f32_e32 v3, v119, v145
	v_fmac_f32_e32 v162, v119, v149
	v_fma_f32 v145, v118, v149, -v3
	v_mul_f32_e32 v149, v120, v159
	v_mul_f32_e32 v3, v121, v159
	s_waitcnt vmcnt(1)
	v_fmac_f32_e32 v149, v121, v2
	v_fma_f32 v159, v120, v2, -v3
	ds_read_b128 v[2:5], v1 offset:672
	ds_read_b128 v[118:121], v1 offset:688
	s_waitcnt vmcnt(0) lgkmcnt(1)
	v_mul_f32_e32 v170, v2, v161
	v_mul_f32_e32 v161, v3, v161
	v_fmac_f32_e32 v170, v3, v160
	v_fma_f32 v160, v2, v160, -v161
	buffer_load_dword v2, off, s[0:3], 0 offset:252
	s_waitcnt vmcnt(0)
	v_mul_f32_e32 v161, v4, v2
	v_mul_f32_e32 v2, v5, v2
	v_fmac_f32_e32 v161, v5, v153
	v_fma_f32 v153, v4, v153, -v2
	buffer_load_dword v2, off, s[0:3], 0 offset:260
	s_waitcnt vmcnt(0) lgkmcnt(0)
	v_mul_f32_e32 v171, v118, v2
	v_mul_f32_e32 v2, v119, v2
	v_fmac_f32_e32 v171, v119, v152
	v_fma_f32 v152, v118, v152, -v2
	s_clause 0x5
	buffer_load_dword v2, off, s[0:3], 0 offset:268
	buffer_load_dword v172, off, s[0:3], 0 offset:288
	;; [unrolled: 1-line block ×6, first 2 shown]
	s_waitcnt vmcnt(5)
	v_mul_f32_e32 v175, v120, v2
	v_mul_f32_e32 v2, v121, v2
	s_waitcnt vmcnt(1)
	v_fmac_f32_e32 v175, v121, v3
	v_fma_f32 v176, v120, v3, -v2
	ds_read_b128 v[2:5], v1 offset:704
	ds_read_b128 v[118:121], v1 offset:720
	s_waitcnt vmcnt(0) lgkmcnt(1)
	v_mul_f32_e32 v178, v2, v177
	v_mul_f32_e32 v177, v3, v177
	v_fmac_f32_e32 v178, v3, v174
	v_fma_f32 v174, v2, v174, -v177
	buffer_load_dword v2, off, s[0:3], 0 offset:284
	s_waitcnt vmcnt(0)
	v_mul_f32_e32 v177, v4, v2
	v_mul_f32_e32 v2, v5, v2
	v_fmac_f32_e32 v177, v5, v173
	v_fma_f32 v173, v4, v173, -v2
	buffer_load_dword v2, off, s[0:3], 0 offset:292
	s_waitcnt vmcnt(0) lgkmcnt(0)
	v_mul_f32_e32 v179, v118, v2
	v_mul_f32_e32 v2, v119, v2
	v_fmac_f32_e32 v179, v119, v172
	v_fma_f32 v172, v118, v172, -v2
	s_clause 0x4
	buffer_load_dword v2, off, s[0:3], 0 offset:300
	buffer_load_dword v180, off, s[0:3], 0 offset:320
	;; [unrolled: 1-line block ×5, first 2 shown]
	s_waitcnt vmcnt(4)
	v_mul_f32_e32 v183, v120, v2
	v_mul_f32_e32 v2, v121, v2
	s_waitcnt vmcnt(0)
	v_fmac_f32_e32 v183, v121, v3
	v_fma_f32 v184, v120, v3, -v2
	v_add_f32_e32 v2, 0, v148
	v_add_f32_e32 v3, 0, v11
	buffer_load_dword v11, off, s[0:3], 0 offset:316
	v_add_f32_e32 v2, v2, v146
	v_add_f32_e32 v3, v3, v147
	buffer_load_dword v146, off, s[0:3], 0 offset:332
	v_add_f32_e32 v2, v2, v163
	v_add_f32_e32 v3, v3, v166
	v_add_f32_e32 v2, v2, v165
	v_add_f32_e32 v3, v3, v167
	v_add_f32_e32 v2, v2, v168
	v_add_f32_e32 v3, v3, v10
	buffer_load_dword v10, off, s[0:3], 0 offset:308
	v_add_f32_e32 v2, v2, v169
	v_add_f32_e32 v3, v3, v155
	v_add_f32_e32 v2, v2, v156
	v_add_f32_e32 v3, v3, v157
	;; [unrolled: 7-line block ×3, first 2 shown]
	s_clause 0x6
	buffer_load_dword v147, off, s[0:3], 0 offset:352
	buffer_load_dword v148, off, s[0:3], 0 offset:344
	;; [unrolled: 1-line block ×7, first 2 shown]
	v_add_f32_e32 v2, v2, v7
	v_add_f32_e32 v3, v3, v122
	;; [unrolled: 1-line block ×8, first 2 shown]
	s_clause 0x5
	buffer_load_dword v135, off, s[0:3], 0 offset:364
	buffer_load_dword v163, off, s[0:3], 0 offset:372
	;; [unrolled: 1-line block ×6, first 2 shown]
	v_add_f32_e32 v2, v2, v133
	v_add_f32_e32 v3, v3, v130
	;; [unrolled: 1-line block ×4, first 2 shown]
	s_clause 0x1
	buffer_load_dword v134, off, s[0:3], 0 offset:412
	buffer_load_dword v169, off, s[0:3], 0 offset:420
	v_add_f32_e32 v2, v2, v136
	v_add_f32_e32 v3, v3, v137
	;; [unrolled: 1-line block ×3, first 2 shown]
	s_clause 0x3
	buffer_load_dword v136, off, s[0:3], 0 offset:384
	buffer_load_dword v137, off, s[0:3], 0 offset:376
	;; [unrolled: 1-line block ×4, first 2 shown]
	v_add_f32_e32 v3, v3, v139
	v_add_f32_e32 v2, v2, v141
	;; [unrolled: 1-line block ×4, first 2 shown]
	s_clause 0x3
	buffer_load_dword v138, off, s[0:3], 0 offset:416
	buffer_load_dword v139, off, s[0:3], 0 offset:408
	buffer_load_dword v141, off, s[0:3], 0 offset:400
	buffer_load_dword v142, off, s[0:3], 0 offset:392
	v_add_f32_e32 v3, v3, v140
	buffer_load_dword v140, off, s[0:3], 0 offset:40
	v_add_f32_e32 v2, v2, v144
	v_add_f32_e32 v3, v3, v151
	v_add_f32_e32 v7, v2, v154
	v_add_f32_e32 v118, v3, v150
	ds_read_b128 v[2:5], v1 offset:736
	v_add_f32_e32 v7, v7, v162
	v_add_f32_e32 v118, v118, v145
	;; [unrolled: 1-line block ×6, first 2 shown]
	ds_read_b128 v[118:121], v1 offset:752
	v_add_f32_e32 v7, v7, v161
	v_add_f32_e32 v122, v122, v153
	;; [unrolled: 1-line block ×8, first 2 shown]
	s_waitcnt vmcnt(27) lgkmcnt(1)
	v_mul_f32_e32 v145, v4, v11
	v_mul_f32_e32 v11, v5, v11
	v_fmac_f32_e32 v145, v5, v181
	v_fma_f32 v11, v4, v181, -v11
	s_waitcnt vmcnt(26) lgkmcnt(0)
	v_mul_f32_e32 v150, v120, v146
	v_mul_f32_e32 v146, v121, v146
	s_waitcnt vmcnt(25)
	v_mul_f32_e32 v144, v2, v10
	v_mul_f32_e32 v10, v3, v10
	v_fmac_f32_e32 v144, v3, v182
	v_add_f32_e32 v3, v122, v152
	v_fma_f32 v10, v2, v182, -v10
	v_add_f32_e32 v144, v151, v144
	v_add_f32_e32 v130, v3, v176
	ds_read_b128 v[2:5], v1 offset:768
	ds_read_b128 v[122:125], v1 offset:784
	;; [unrolled: 1-line block ×3, first 2 shown]
	s_waitcnt vmcnt(24)
	v_mul_f32_e32 v149, v118, v8
	v_add_f32_e32 v130, v130, v174
	v_mul_f32_e32 v8, v119, v8
	v_add_f32_e32 v144, v144, v145
	v_fmac_f32_e32 v149, v119, v180
	v_add_f32_e32 v130, v130, v173
	v_fma_f32 v8, v118, v180, -v8
	s_waitcnt vmcnt(20)
	v_fma_f32 v146, v120, v6, -v146
	v_add_f32_e32 v118, v130, v172
	v_fmac_f32_e32 v150, v121, v6
	v_add_f32_e32 v144, v144, v149
	ds_read_b128 v[130:133], v1 offset:816
	v_add_f32_e32 v152, v118, v184
	s_waitcnt vmcnt(19) lgkmcnt(3)
	v_mul_f32_e32 v153, v2, v156
	s_waitcnt vmcnt(18)
	v_mul_f32_e32 v154, v4, v157
	v_add_f32_e32 v144, v144, v150
	s_waitcnt vmcnt(17) lgkmcnt(2)
	v_mul_f32_e32 v151, v122, v158
	v_add_f32_e32 v10, v152, v10
	v_mul_f32_e32 v152, v3, v156
	v_mul_f32_e32 v156, v5, v157
	v_fmac_f32_e32 v153, v3, v155
	v_fmac_f32_e32 v154, v5, v148
	v_add_f32_e32 v10, v10, v11
	v_fma_f32 v2, v2, v155, -v152
	v_mul_f32_e32 v152, v123, v158
	v_fma_f32 v4, v4, v148, -v156
	v_add_f32_e32 v5, v144, v153
	v_add_f32_e32 v8, v10, v8
	s_waitcnt vmcnt(16)
	v_mul_f32_e32 v11, v124, v135
	v_fma_f32 v122, v122, v147, -v152
	v_fmac_f32_e32 v151, v123, v147
	ds_read_b128 v[118:121], v1 offset:832
	ds_read_b64 v[6:7], v1 offset:848
	v_add_f32_e32 v8, v8, v146
	s_waitcnt vmcnt(15) lgkmcnt(3)
	v_mul_f32_e32 v157, v126, v163
	s_waitcnt vmcnt(14)
	v_mul_f32_e32 v145, v128, v165
	s_waitcnt vmcnt(13) lgkmcnt(2)
	v_mul_f32_e32 v10, v130, v166
	s_waitcnt vmcnt(12)
	v_mul_f32_e32 v3, v132, v167
	v_add_f32_e32 v2, v8, v2
	v_mul_f32_e32 v8, v125, v135
	v_add_f32_e32 v2, v2, v4
	v_add_f32_e32 v4, v5, v154
	v_mul_f32_e32 v5, v127, v163
	s_waitcnt vmcnt(5)
	v_fma_f32 v8, v124, v185, -v8
	v_fmac_f32_e32 v11, v125, v185
	v_add_f32_e32 v2, v2, v122
	v_add_f32_e32 v4, v4, v151
	v_mul_f32_e32 v122, v129, v165
	v_fma_f32 v5, v126, v143, -v5
	v_fmac_f32_e32 v157, v127, v143
	v_add_f32_e32 v2, v2, v8
	v_add_f32_e32 v4, v4, v11
	v_mul_f32_e32 v8, v131, v166
	;; [unrolled: 5-line block ×3, first 2 shown]
	v_fma_f32 v8, v130, v136, -v8
	v_fmac_f32_e32 v10, v131, v136
	v_add_f32_e32 v2, v2, v11
	v_add_f32_e32 v4, v4, v145
	s_waitcnt lgkmcnt(1)
	v_mul_f32_e32 v11, v119, v168
	s_waitcnt vmcnt(1)
	v_fma_f32 v5, v132, v142, -v5
	v_mul_f32_e32 v149, v118, v168
	v_add_f32_e32 v2, v2, v8
	v_fmac_f32_e32 v3, v133, v142
	v_add_f32_e32 v4, v4, v10
	v_mul_f32_e32 v8, v121, v134
	v_fma_f32 v10, v118, v141, -v11
	v_add_f32_e32 v2, v2, v5
	v_mul_f32_e32 v146, v120, v134
	v_fmac_f32_e32 v149, v119, v141
	v_add_f32_e32 v3, v4, v3
	s_waitcnt lgkmcnt(0)
	v_mul_f32_e32 v4, v7, v169
	v_fma_f32 v5, v120, v139, -v8
	v_add_f32_e32 v2, v2, v10
	v_mul_f32_e32 v150, v6, v169
	v_fmac_f32_e32 v146, v121, v139
	v_add_f32_e32 v3, v3, v149
	v_fma_f32 v4, v6, v138, -v4
	v_add_f32_e32 v2, v2, v5
	v_fmac_f32_e32 v150, v7, v138
	v_add_f32_e32 v3, v3, v146
	v_add_f32_e32 v2, v2, v4
	;; [unrolled: 1-line block ×3, first 2 shown]
	s_waitcnt vmcnt(0)
	v_sub_f32_e32 v2, v140, v2
	v_sub_f32_e32 v3, v164, v3
	buffer_store_dword v2, off, s[0:3], 0 offset:40
	buffer_store_dword v3, off, s[0:3], 0 offset:44
	v_cmpx_lt_u32_e32 4, v0
	s_cbranch_execz .LBB52_323
; %bb.322:
	s_clause 0x1
	buffer_load_dword v2, off, s[0:3], 0 offset:32
	buffer_load_dword v3, off, s[0:3], 0 offset:36
	buffer_store_dword v1, off, s[0:3], 0 offset:32
	buffer_store_dword v1, off, s[0:3], 0 offset:36
	s_waitcnt vmcnt(0)
	ds_write_b64 v9, v[2:3]
.LBB52_323:
	s_or_b32 exec_lo, exec_lo, s4
	s_waitcnt lgkmcnt(0)
	s_waitcnt_vscnt null, 0x0
	s_barrier
	buffer_gl0_inv
	s_clause 0x2c
	buffer_load_dword v146, off, s[0:3], 0 offset:44
	buffer_load_dword v147, off, s[0:3], 0 offset:52
	;; [unrolled: 1-line block ×45, first 2 shown]
	ds_read2_b64 v[155:158], v1 offset0:59 offset1:60
	ds_read2_b64 v[159:162], v1 offset0:61 offset1:62
	s_mov_b32 s4, exec_lo
	s_waitcnt vmcnt(44) lgkmcnt(1)
	v_mul_f32_e32 v148, v155, v146
	v_mul_f32_e32 v163, v156, v146
	s_waitcnt vmcnt(43)
	v_mul_f32_e32 v146, v157, v147
	v_mul_f32_e32 v164, v158, v147
	buffer_load_dword v147, off, s[0:3], 0 offset:36
	s_waitcnt vmcnt(41)
	v_fmac_f32_e32 v148, v156, v11
	v_fma_f32 v11, v155, v11, -v163
	v_fmac_f32_e32 v146, v158, v7
	v_fma_f32 v163, v157, v7, -v164
	ds_read2_b64 v[155:158], v1 offset0:63 offset1:64
	s_waitcnt vmcnt(40) lgkmcnt(1)
	v_mul_f32_e32 v164, v159, v4
	s_waitcnt vmcnt(39)
	v_mul_f32_e32 v165, v161, v5
	v_mul_f32_e32 v4, v160, v4
	;; [unrolled: 1-line block ×3, first 2 shown]
	v_fmac_f32_e32 v164, v160, v2
	s_waitcnt vmcnt(35)
	v_fmac_f32_e32 v165, v162, v120
	v_fma_f32 v166, v159, v2, -v4
	v_fma_f32 v167, v161, v120, -v5
	ds_read2_b64 v[159:162], v1 offset0:65 offset1:66
	s_waitcnt vmcnt(34) lgkmcnt(1)
	v_mul_f32_e32 v168, v155, v119
	v_mul_f32_e32 v2, v156, v119
	s_waitcnt vmcnt(33)
	v_mul_f32_e32 v169, v157, v118
	v_mul_f32_e32 v4, v158, v118
	v_fmac_f32_e32 v168, v156, v10
	v_fma_f32 v10, v155, v10, -v2
	v_fmac_f32_e32 v169, v158, v6
	v_fma_f32 v155, v157, v6, -v4
	ds_read2_b64 v[4:7], v1 offset0:67 offset1:68
	s_waitcnt vmcnt(32) lgkmcnt(1)
	v_mul_f32_e32 v156, v159, v8
	v_mul_f32_e32 v2, v160, v8
	s_waitcnt vmcnt(31)
	v_mul_f32_e32 v8, v161, v121
	v_mul_f32_e32 v118, v162, v121
	v_fmac_f32_e32 v156, v160, v3
	v_fma_f32 v157, v159, v3, -v2
	s_waitcnt vmcnt(27)
	v_fmac_f32_e32 v8, v162, v129
	v_fma_f32 v129, v161, v129, -v118
	ds_read2_b64 v[118:121], v1 offset0:69 offset1:70
	buffer_load_dword v159, off, s[0:3], 0 offset:228
	s_waitcnt vmcnt(27) lgkmcnt(1)
	v_mul_f32_e32 v158, v4, v127
	v_mul_f32_e32 v2, v5, v127
	s_waitcnt vmcnt(26)
	v_mul_f32_e32 v3, v7, v126
	v_mul_f32_e32 v127, v6, v126
	v_fmac_f32_e32 v158, v5, v125
	v_fma_f32 v125, v4, v125, -v2
	v_fma_f32 v6, v6, v123, -v3
	ds_read2_b64 v[2:5], v1 offset0:71 offset1:72
	v_fmac_f32_e32 v127, v7, v123
	s_waitcnt vmcnt(25) lgkmcnt(1)
	v_mul_f32_e32 v7, v118, v124
	v_mul_f32_e32 v123, v119, v124
	s_waitcnt vmcnt(24)
	v_mul_f32_e32 v124, v120, v128
	v_mul_f32_e32 v126, v121, v128
	v_fmac_f32_e32 v7, v119, v122
	v_fma_f32 v122, v118, v122, -v123
	s_waitcnt vmcnt(20)
	v_fmac_f32_e32 v124, v121, v137
	v_fma_f32 v123, v120, v137, -v126
	ds_read2_b64 v[118:121], v1 offset0:73 offset1:74
	s_waitcnt vmcnt(19) lgkmcnt(1)
	v_mul_f32_e32 v126, v2, v135
	v_mul_f32_e32 v128, v3, v135
	s_waitcnt vmcnt(18)
	v_mul_f32_e32 v135, v4, v134
	v_mul_f32_e32 v134, v5, v134
	v_fmac_f32_e32 v126, v3, v133
	v_fma_f32 v128, v2, v133, -v128
	v_fmac_f32_e32 v135, v5, v131
	v_fma_f32 v131, v4, v131, -v134
	ds_read2_b64 v[2:5], v1 offset0:75 offset1:76
	s_waitcnt vmcnt(17) lgkmcnt(1)
	v_mul_f32_e32 v133, v118, v132
	v_mul_f32_e32 v132, v119, v132
	s_waitcnt vmcnt(16)
	v_mul_f32_e32 v134, v120, v136
	v_mul_f32_e32 v136, v121, v136
	v_fmac_f32_e32 v133, v119, v130
	v_fma_f32 v130, v118, v130, -v132
	s_waitcnt vmcnt(12)
	v_fmac_f32_e32 v134, v121, v145
	v_fma_f32 v132, v120, v145, -v136
	ds_read2_b64 v[118:121], v1 offset0:77 offset1:78
	buffer_load_dword v145, off, s[0:3], 0 offset:220
	s_waitcnt vmcnt(12) lgkmcnt(1)
	v_mul_f32_e32 v136, v2, v143
	v_mul_f32_e32 v137, v3, v143
	s_waitcnt vmcnt(11)
	v_mul_f32_e32 v143, v4, v142
	v_mul_f32_e32 v142, v5, v142
	v_fmac_f32_e32 v136, v3, v141
	v_fma_f32 v137, v2, v141, -v137
	v_fmac_f32_e32 v143, v5, v139
	v_fma_f32 v139, v4, v139, -v142
	ds_read2_b64 v[2:5], v1 offset0:79 offset1:80
	s_waitcnt vmcnt(10) lgkmcnt(1)
	v_mul_f32_e32 v141, v118, v140
	v_mul_f32_e32 v140, v119, v140
	s_waitcnt vmcnt(9)
	v_mul_f32_e32 v142, v120, v144
	v_mul_f32_e32 v144, v121, v144
	v_fmac_f32_e32 v141, v119, v138
	v_fma_f32 v138, v118, v138, -v140
	s_waitcnt vmcnt(5)
	v_fmac_f32_e32 v142, v121, v154
	v_fma_f32 v140, v120, v154, -v144
	ds_read2_b64 v[118:121], v1 offset0:81 offset1:82
	s_waitcnt vmcnt(4) lgkmcnt(1)
	v_mul_f32_e32 v144, v2, v153
	v_mul_f32_e32 v153, v3, v153
	s_waitcnt vmcnt(3)
	v_mul_f32_e32 v154, v4, v152
	v_mul_f32_e32 v152, v5, v152
	v_fmac_f32_e32 v144, v3, v151
	v_fma_f32 v151, v2, v151, -v153
	v_fmac_f32_e32 v154, v5, v150
	v_fma_f32 v150, v4, v150, -v152
	s_clause 0x4
	buffer_load_dword v152, off, s[0:3], 0 offset:248
	buffer_load_dword v153, off, s[0:3], 0 offset:240
	;; [unrolled: 1-line block ×5, first 2 shown]
	s_waitcnt vmcnt(5) lgkmcnt(0)
	v_mul_f32_e32 v162, v118, v145
	v_mul_f32_e32 v3, v119, v145
	v_fmac_f32_e32 v162, v119, v149
	v_fma_f32 v145, v118, v149, -v3
	v_mul_f32_e32 v149, v120, v159
	v_mul_f32_e32 v3, v121, v159
	s_waitcnt vmcnt(1)
	v_fmac_f32_e32 v149, v121, v2
	v_fma_f32 v159, v120, v2, -v3
	ds_read2_b64 v[2:5], v1 offset0:83 offset1:84
	ds_read2_b64 v[118:121], v1 offset0:85 offset1:86
	s_waitcnt vmcnt(0) lgkmcnt(1)
	v_mul_f32_e32 v170, v2, v161
	v_mul_f32_e32 v161, v3, v161
	v_fmac_f32_e32 v170, v3, v160
	v_fma_f32 v160, v2, v160, -v161
	buffer_load_dword v2, off, s[0:3], 0 offset:244
	s_waitcnt vmcnt(0)
	v_mul_f32_e32 v161, v4, v2
	v_mul_f32_e32 v2, v5, v2
	v_fmac_f32_e32 v161, v5, v153
	v_fma_f32 v153, v4, v153, -v2
	buffer_load_dword v2, off, s[0:3], 0 offset:252
	s_waitcnt vmcnt(0) lgkmcnt(0)
	v_mul_f32_e32 v171, v118, v2
	v_mul_f32_e32 v2, v119, v2
	v_fmac_f32_e32 v171, v119, v152
	v_fma_f32 v152, v118, v152, -v2
	s_clause 0x5
	buffer_load_dword v2, off, s[0:3], 0 offset:260
	buffer_load_dword v172, off, s[0:3], 0 offset:280
	;; [unrolled: 1-line block ×6, first 2 shown]
	s_waitcnt vmcnt(5)
	v_mul_f32_e32 v175, v120, v2
	v_mul_f32_e32 v2, v121, v2
	s_waitcnt vmcnt(1)
	v_fmac_f32_e32 v175, v121, v3
	v_fma_f32 v176, v120, v3, -v2
	ds_read2_b64 v[2:5], v1 offset0:87 offset1:88
	ds_read2_b64 v[118:121], v1 offset0:89 offset1:90
	s_waitcnt vmcnt(0) lgkmcnt(1)
	v_mul_f32_e32 v178, v2, v177
	v_mul_f32_e32 v177, v3, v177
	v_fmac_f32_e32 v178, v3, v174
	v_fma_f32 v174, v2, v174, -v177
	buffer_load_dword v2, off, s[0:3], 0 offset:276
	v_add_f32_e32 v3, 0, v11
	v_add_f32_e32 v3, v3, v163
	;; [unrolled: 1-line block ×22, first 2 shown]
	s_waitcnt vmcnt(0)
	v_mul_f32_e32 v177, v4, v2
	v_mul_f32_e32 v2, v5, v2
	v_fmac_f32_e32 v177, v5, v173
	v_fma_f32 v173, v4, v173, -v2
	s_clause 0x1
	buffer_load_dword v4, off, s[0:3], 0 offset:284
	buffer_load_dword v5, off, s[0:3], 0 offset:292
	v_add_f32_e32 v2, 0, v148
	v_add_f32_e32 v2, v2, v146
	;; [unrolled: 1-line block ×8, first 2 shown]
	s_clause 0x6
	buffer_load_dword v8, off, s[0:3], 0 offset:312
	buffer_load_dword v10, off, s[0:3], 0 offset:304
	;; [unrolled: 1-line block ×7, first 2 shown]
	v_add_f32_e32 v2, v2, v158
	v_add_f32_e32 v2, v2, v127
	;; [unrolled: 1-line block ×3, first 2 shown]
	s_clause 0x8
	buffer_load_dword v7, off, s[0:3], 0 offset:324
	buffer_load_dword v155, off, s[0:3], 0 offset:344
	;; [unrolled: 1-line block ×9, first 2 shown]
	v_add_f32_e32 v2, v2, v124
	v_add_f32_e32 v2, v2, v126
	;; [unrolled: 1-line block ×11, first 2 shown]
	s_waitcnt vmcnt(17) lgkmcnt(0)
	v_mul_f32_e32 v127, v118, v4
	v_mul_f32_e32 v4, v119, v4
	s_waitcnt vmcnt(16)
	v_mul_f32_e32 v164, v120, v5
	v_fmac_f32_e32 v127, v119, v172
	v_fma_f32 v148, v118, v172, -v4
	s_clause 0x11
	buffer_load_dword v168, off, s[0:3], 0 offset:364
	buffer_load_dword v169, off, s[0:3], 0 offset:372
	;; [unrolled: 1-line block ×18, first 2 shown]
	v_mul_f32_e32 v4, v121, v5
	v_add_f32_e32 v118, v2, v162
	v_add_f32_e32 v119, v3, v145
	;; [unrolled: 1-line block ×10, first 2 shown]
	s_waitcnt vmcnt(30)
	v_fma_f32 v135, v120, v129, -v4
	ds_read2_b64 v[2:5], v1 offset0:91 offset1:92
	v_fmac_f32_e32 v164, v121, v129
	ds_read2_b64 v[118:121], v1 offset0:93 offset1:94
	v_add_f32_e32 v128, v122, v175
	v_add_f32_e32 v126, v126, v176
	;; [unrolled: 1-line block ×4, first 2 shown]
	s_waitcnt vmcnt(29) lgkmcnt(1)
	v_mul_f32_e32 v134, v2, v146
	v_mul_f32_e32 v124, v3, v146
	s_waitcnt vmcnt(28)
	v_mul_f32_e32 v145, v4, v125
	v_mul_f32_e32 v125, v5, v125
	s_waitcnt vmcnt(27) lgkmcnt(0)
	v_mul_f32_e32 v146, v118, v6
	v_fmac_f32_e32 v134, v3, v11
	v_fma_f32 v11, v2, v11, -v124
	v_fmac_f32_e32 v145, v5, v10
	v_fma_f32 v10, v4, v10, -v125
	ds_read2_b64 v[2:5], v1 offset0:95 offset1:96
	ds_read2_b64 v[122:125], v1 offset0:97 offset1:98
	v_mul_f32_e32 v6, v119, v6
	v_fmac_f32_e32 v146, v119, v8
	v_add_f32_e32 v119, v128, v177
	s_waitcnt vmcnt(26)
	v_mul_f32_e32 v149, v120, v7
	v_mul_f32_e32 v7, v121, v7
	v_fma_f32 v6, v118, v8, -v6
	v_add_f32_e32 v8, v126, v173
	v_add_f32_e32 v130, v119, v127
	s_waitcnt vmcnt(22)
	v_fmac_f32_e32 v149, v121, v158
	v_fma_f32 v7, v120, v158, -v7
	ds_read2_b64 v[118:121], v1 offset0:99 offset1:100
	ds_read2_b64 v[126:129], v1 offset0:101 offset1:102
	v_add_f32_e32 v8, v8, v148
	v_add_f32_e32 v137, v130, v164
	ds_read2_b64 v[130:133], v1 offset0:103 offset1:104
	v_add_f32_e32 v8, v8, v135
	s_waitcnt vmcnt(21) lgkmcnt(4)
	v_mul_f32_e32 v148, v2, v163
	v_mul_f32_e32 v136, v3, v163
	s_waitcnt vmcnt(19) lgkmcnt(3)
	v_mul_f32_e32 v150, v123, v166
	v_fmac_f32_e32 v148, v3, v157
	v_fma_f32 v2, v2, v157, -v136
	v_add_f32_e32 v3, v137, v134
	ds_read2_b64 v[134:137], v1 offset0:105 offset1:106
	v_add_f32_e32 v1, v8, v11
	v_mul_f32_e32 v11, v5, v165
	v_mul_f32_e32 v8, v4, v165
	v_add_f32_e32 v3, v3, v145
	v_mul_f32_e32 v145, v122, v166
	v_add_f32_e32 v1, v1, v10
	v_fma_f32 v4, v4, v156, -v11
	v_fmac_f32_e32 v8, v5, v156
	v_add_f32_e32 v3, v3, v146
	v_fma_f32 v122, v122, v155, -v150
	v_add_f32_e32 v1, v1, v6
	s_waitcnt vmcnt(18)
	v_mul_f32_e32 v10, v124, v167
	v_fmac_f32_e32 v145, v123, v155
	v_add_f32_e32 v3, v3, v149
	v_add_f32_e32 v1, v1, v7
	v_mul_f32_e32 v7, v125, v167
	v_add_f32_e32 v1, v1, v2
	v_add_f32_e32 v2, v3, v148
	;; [unrolled: 1-line block ×6, first 2 shown]
	s_waitcnt vmcnt(14) lgkmcnt(2)
	v_mul_f32_e32 v146, v128, v179
	v_mul_f32_e32 v4, v119, v168
	v_mul_f32_e32 v5, v118, v168
	v_mul_f32_e32 v8, v121, v169
	v_mul_f32_e32 v11, v120, v169
	s_waitcnt vmcnt(6)
	v_fma_f32 v7, v124, v185, -v7
	v_fmac_f32_e32 v10, v125, v185
	v_fma_f32 v4, v118, v184, -v4
	v_fmac_f32_e32 v5, v119, v184
	v_fma_f32 v8, v120, v143, -v8
	v_add_f32_e32 v1, v1, v7
	v_add_f32_e32 v2, v2, v10
	v_mul_f32_e32 v7, v127, v172
	v_mul_f32_e32 v6, v126, v172
	v_fmac_f32_e32 v11, v121, v143
	v_add_f32_e32 v1, v1, v4
	v_add_f32_e32 v2, v2, v5
	v_mul_f32_e32 v4, v129, v179
	v_fma_f32 v5, v126, v139, -v7
	v_fmac_f32_e32 v6, v127, v139
	v_add_f32_e32 v1, v1, v8
	v_add_f32_e32 v2, v2, v11
	s_waitcnt lgkmcnt(1)
	v_mul_f32_e32 v7, v131, v180
	s_waitcnt vmcnt(2)
	v_fma_f32 v4, v128, v142, -v4
	v_mul_f32_e32 v152, v130, v180
	v_add_f32_e32 v1, v1, v5
	v_fmac_f32_e32 v146, v129, v142
	v_add_f32_e32 v2, v2, v6
	v_mul_f32_e32 v5, v133, v181
	v_fma_f32 v6, v130, v141, -v7
	v_add_f32_e32 v1, v1, v4
	v_mul_f32_e32 v149, v132, v181
	v_fmac_f32_e32 v152, v131, v141
	v_add_f32_e32 v2, v2, v146
	s_waitcnt lgkmcnt(0)
	v_mul_f32_e32 v4, v135, v182
	v_fma_f32 v5, v132, v140, -v5
	v_add_f32_e32 v1, v1, v6
	v_mul_f32_e32 v153, v134, v182
	v_fmac_f32_e32 v149, v133, v140
	v_add_f32_e32 v2, v2, v152
	v_mul_f32_e32 v6, v137, v183
	v_fma_f32 v4, v134, v138, -v4
	v_add_f32_e32 v1, v1, v5
	v_mul_f32_e32 v3, v136, v183
	v_fmac_f32_e32 v153, v135, v138
	v_add_f32_e32 v2, v2, v149
	s_waitcnt vmcnt(1)
	v_fma_f32 v5, v136, v144, -v6
	v_add_f32_e32 v1, v1, v4
	v_fmac_f32_e32 v3, v137, v144
	v_add_f32_e32 v2, v2, v153
	v_add_f32_e32 v1, v1, v5
	;; [unrolled: 1-line block ×3, first 2 shown]
	s_waitcnt vmcnt(0)
	v_sub_f32_e32 v1, v151, v1
	v_sub_f32_e32 v2, v147, v2
	buffer_store_dword v1, off, s[0:3], 0 offset:32
	buffer_store_dword v2, off, s[0:3], 0 offset:36
	v_cmpx_lt_u32_e32 3, v0
	s_cbranch_execz .LBB52_325
; %bb.324:
	s_clause 0x1
	buffer_load_dword v1, off, s[0:3], 0 offset:24
	buffer_load_dword v2, off, s[0:3], 0 offset:28
	v_mov_b32_e32 v3, 0
	buffer_store_dword v3, off, s[0:3], 0 offset:24
	buffer_store_dword v3, off, s[0:3], 0 offset:28
	s_waitcnt vmcnt(0)
	ds_write_b64 v9, v[1:2]
.LBB52_325:
	s_or_b32 exec_lo, exec_lo, s4
	s_waitcnt lgkmcnt(0)
	s_waitcnt_vscnt null, 0x0
	s_barrier
	buffer_gl0_inv
	s_clause 0x2c
	buffer_load_dword v146, off, s[0:3], 0 offset:36
	buffer_load_dword v147, off, s[0:3], 0 offset:44
	;; [unrolled: 1-line block ×45, first 2 shown]
	v_mov_b32_e32 v1, 0
	ds_read_b128 v[155:158], v1 offset:464
	ds_read_b128 v[159:162], v1 offset:480
	s_mov_b32 s4, exec_lo
	s_waitcnt vmcnt(44) lgkmcnt(1)
	v_mul_f32_e32 v148, v155, v146
	v_mul_f32_e32 v163, v156, v146
	s_waitcnt vmcnt(43)
	v_mul_f32_e32 v146, v157, v147
	v_mul_f32_e32 v164, v158, v147
	buffer_load_dword v147, off, s[0:3], 0 offset:28
	s_waitcnt vmcnt(41)
	v_fmac_f32_e32 v148, v156, v11
	v_fma_f32 v11, v155, v11, -v163
	v_fmac_f32_e32 v146, v158, v7
	v_fma_f32 v163, v157, v7, -v164
	ds_read_b128 v[155:158], v1 offset:496
	s_waitcnt vmcnt(40) lgkmcnt(1)
	v_mul_f32_e32 v164, v159, v4
	s_waitcnt vmcnt(39)
	v_mul_f32_e32 v165, v161, v5
	v_mul_f32_e32 v4, v160, v4
	;; [unrolled: 1-line block ×3, first 2 shown]
	v_fmac_f32_e32 v164, v160, v2
	s_waitcnt vmcnt(35)
	v_fmac_f32_e32 v165, v162, v120
	v_fma_f32 v166, v159, v2, -v4
	v_fma_f32 v167, v161, v120, -v5
	ds_read_b128 v[159:162], v1 offset:512
	s_waitcnt vmcnt(34) lgkmcnt(1)
	v_mul_f32_e32 v168, v155, v119
	v_mul_f32_e32 v2, v156, v119
	s_waitcnt vmcnt(33)
	v_mul_f32_e32 v169, v157, v118
	v_mul_f32_e32 v4, v158, v118
	v_fmac_f32_e32 v168, v156, v10
	v_fma_f32 v10, v155, v10, -v2
	v_fmac_f32_e32 v169, v158, v6
	v_fma_f32 v155, v157, v6, -v4
	ds_read_b128 v[4:7], v1 offset:528
	s_waitcnt vmcnt(32) lgkmcnt(1)
	v_mul_f32_e32 v156, v159, v8
	v_mul_f32_e32 v2, v160, v8
	s_waitcnt vmcnt(31)
	v_mul_f32_e32 v8, v161, v121
	v_mul_f32_e32 v118, v162, v121
	v_fmac_f32_e32 v156, v160, v3
	v_fma_f32 v157, v159, v3, -v2
	s_waitcnt vmcnt(27)
	v_fmac_f32_e32 v8, v162, v129
	v_fma_f32 v129, v161, v129, -v118
	ds_read_b128 v[118:121], v1 offset:544
	buffer_load_dword v159, off, s[0:3], 0 offset:220
	s_waitcnt vmcnt(27) lgkmcnt(1)
	v_mul_f32_e32 v158, v4, v127
	v_mul_f32_e32 v2, v5, v127
	s_waitcnt vmcnt(26)
	v_mul_f32_e32 v3, v7, v126
	v_mul_f32_e32 v127, v6, v126
	v_fmac_f32_e32 v158, v5, v125
	v_fma_f32 v125, v4, v125, -v2
	v_fma_f32 v6, v6, v123, -v3
	ds_read_b128 v[2:5], v1 offset:560
	v_fmac_f32_e32 v127, v7, v123
	s_waitcnt vmcnt(25) lgkmcnt(1)
	v_mul_f32_e32 v7, v118, v124
	v_mul_f32_e32 v123, v119, v124
	s_waitcnt vmcnt(24)
	v_mul_f32_e32 v124, v120, v128
	v_mul_f32_e32 v126, v121, v128
	v_fmac_f32_e32 v7, v119, v122
	v_fma_f32 v122, v118, v122, -v123
	s_waitcnt vmcnt(20)
	v_fmac_f32_e32 v124, v121, v137
	v_fma_f32 v123, v120, v137, -v126
	ds_read_b128 v[118:121], v1 offset:576
	s_waitcnt vmcnt(19) lgkmcnt(1)
	v_mul_f32_e32 v126, v2, v135
	v_mul_f32_e32 v128, v3, v135
	s_waitcnt vmcnt(18)
	v_mul_f32_e32 v135, v4, v134
	v_mul_f32_e32 v134, v5, v134
	v_fmac_f32_e32 v126, v3, v133
	v_fma_f32 v128, v2, v133, -v128
	v_fmac_f32_e32 v135, v5, v131
	v_fma_f32 v131, v4, v131, -v134
	ds_read_b128 v[2:5], v1 offset:592
	s_waitcnt vmcnt(17) lgkmcnt(1)
	v_mul_f32_e32 v133, v118, v132
	v_mul_f32_e32 v132, v119, v132
	s_waitcnt vmcnt(16)
	v_mul_f32_e32 v134, v120, v136
	v_mul_f32_e32 v136, v121, v136
	v_fmac_f32_e32 v133, v119, v130
	v_fma_f32 v130, v118, v130, -v132
	s_waitcnt vmcnt(12)
	v_fmac_f32_e32 v134, v121, v144
	v_fma_f32 v132, v120, v144, -v136
	ds_read_b128 v[118:121], v1 offset:608
	s_waitcnt vmcnt(11) lgkmcnt(1)
	v_mul_f32_e32 v136, v2, v143
	v_mul_f32_e32 v137, v3, v143
	s_waitcnt vmcnt(10)
	v_mul_f32_e32 v143, v4, v142
	v_mul_f32_e32 v142, v5, v142
	v_fmac_f32_e32 v136, v3, v141
	v_fma_f32 v137, v2, v141, -v137
	v_fmac_f32_e32 v143, v5, v139
	v_fma_f32 v139, v4, v139, -v142
	ds_read_b128 v[2:5], v1 offset:624
	s_waitcnt vmcnt(8) lgkmcnt(1)
	v_mul_f32_e32 v142, v120, v145
	v_mul_f32_e32 v144, v121, v145
	buffer_load_dword v145, off, s[0:3], 0 offset:212
	v_mul_f32_e32 v141, v118, v140
	v_mul_f32_e32 v140, v119, v140
	s_waitcnt vmcnt(5)
	v_fmac_f32_e32 v142, v121, v154
	v_fmac_f32_e32 v141, v119, v138
	v_fma_f32 v138, v118, v138, -v140
	v_fma_f32 v140, v120, v154, -v144
	ds_read_b128 v[118:121], v1 offset:640
	s_waitcnt vmcnt(4) lgkmcnt(1)
	v_mul_f32_e32 v144, v2, v153
	v_mul_f32_e32 v153, v3, v153
	s_waitcnt vmcnt(3)
	v_mul_f32_e32 v154, v4, v152
	v_mul_f32_e32 v152, v5, v152
	v_fmac_f32_e32 v144, v3, v151
	v_fma_f32 v151, v2, v151, -v153
	v_fmac_f32_e32 v154, v5, v150
	v_fma_f32 v150, v4, v150, -v152
	s_clause 0x4
	buffer_load_dword v152, off, s[0:3], 0 offset:240
	buffer_load_dword v153, off, s[0:3], 0 offset:232
	;; [unrolled: 1-line block ×5, first 2 shown]
	s_waitcnt vmcnt(5) lgkmcnt(0)
	v_mul_f32_e32 v162, v118, v145
	v_mul_f32_e32 v3, v119, v145
	v_fmac_f32_e32 v162, v119, v149
	v_fma_f32 v145, v118, v149, -v3
	v_mul_f32_e32 v149, v120, v159
	v_mul_f32_e32 v3, v121, v159
	s_waitcnt vmcnt(1)
	v_fmac_f32_e32 v149, v121, v2
	v_fma_f32 v159, v120, v2, -v3
	ds_read_b128 v[2:5], v1 offset:656
	ds_read_b128 v[118:121], v1 offset:672
	s_waitcnt vmcnt(0) lgkmcnt(1)
	v_mul_f32_e32 v170, v2, v161
	v_mul_f32_e32 v161, v3, v161
	v_fmac_f32_e32 v170, v3, v160
	v_fma_f32 v160, v2, v160, -v161
	s_clause 0x1
	buffer_load_dword v2, off, s[0:3], 0 offset:236
	buffer_load_dword v3, off, s[0:3], 0 offset:244
	s_waitcnt vmcnt(1)
	v_mul_f32_e32 v161, v4, v2
	v_mul_f32_e32 v2, v5, v2
	v_fmac_f32_e32 v161, v5, v153
	v_fma_f32 v153, v4, v153, -v2
	v_add_f32_e32 v2, 0, v148
	v_add_f32_e32 v4, 0, v11
	buffer_load_dword v11, off, s[0:3], 0 offset:252
	v_add_f32_e32 v2, v2, v146
	v_add_f32_e32 v4, v4, v163
	;; [unrolled: 1-line block ×3, first 2 shown]
	s_clause 0x3
	buffer_load_dword v146, off, s[0:3], 0 offset:272
	buffer_load_dword v148, off, s[0:3], 0 offset:264
	;; [unrolled: 1-line block ×4, first 2 shown]
	v_add_f32_e32 v4, v4, v166
	buffer_load_dword v166, off, s[0:3], 0 offset:276
	v_add_f32_e32 v2, v2, v165
	buffer_load_dword v165, off, s[0:3], 0 offset:260
	v_add_f32_e32 v4, v4, v167
	v_add_f32_e32 v2, v2, v168
	v_add_f32_e32 v4, v4, v10
	buffer_load_dword v10, off, s[0:3], 0 offset:268
	v_add_f32_e32 v2, v2, v169
	v_add_f32_e32 v4, v4, v155
	buffer_load_dword v155, off, s[0:3], 0 offset:284
	v_add_f32_e32 v2, v2, v156
	v_add_f32_e32 v4, v4, v157
	v_add_f32_e32 v2, v2, v8
	v_add_f32_e32 v4, v4, v129
	s_clause 0x3
	buffer_load_dword v8, off, s[0:3], 0 offset:304
	buffer_load_dword v129, off, s[0:3], 0 offset:296
	;; [unrolled: 1-line block ×4, first 2 shown]
	v_add_f32_e32 v2, v2, v158
	buffer_load_dword v158, off, s[0:3], 0 offset:292
	v_add_f32_e32 v4, v4, v125
	s_waitcnt vmcnt(14) lgkmcnt(0)
	v_mul_f32_e32 v125, v118, v3
	v_mul_f32_e32 v3, v119, v3
	v_add_f32_e32 v2, v2, v127
	v_add_f32_e32 v6, v4, v6
	v_fmac_f32_e32 v125, v119, v152
	v_fma_f32 v127, v118, v152, -v3
	v_add_f32_e32 v7, v2, v7
	ds_read_b128 v[2:5], v1 offset:688
	v_add_f32_e32 v6, v6, v122
	buffer_load_dword v122, off, s[0:3], 0 offset:300
	v_add_f32_e32 v7, v7, v124
	v_add_f32_e32 v6, v6, v123
	buffer_load_dword v123, off, s[0:3], 0 offset:308
	v_add_f32_e32 v7, v7, v126
	buffer_load_dword v126, off, s[0:3], 0 offset:316
	v_add_f32_e32 v6, v6, v128
	v_add_f32_e32 v7, v7, v135
	;; [unrolled: 1-line block ×4, first 2 shown]
	s_waitcnt vmcnt(16)
	v_mul_f32_e32 v124, v120, v11
	v_mul_f32_e32 v11, v121, v11
	s_waitcnt vmcnt(12)
	v_fmac_f32_e32 v124, v121, v164
	v_fma_f32 v11, v120, v164, -v11
	ds_read_b128 v[118:121], v1 offset:704
	s_clause 0x3
	buffer_load_dword v152, off, s[0:3], 0 offset:336
	buffer_load_dword v164, off, s[0:3], 0 offset:328
	;; [unrolled: 1-line block ×4, first 2 shown]
	s_waitcnt vmcnt(14) lgkmcnt(1)
	v_mul_f32_e32 v135, v3, v165
	v_mul_f32_e32 v128, v2, v165
	v_fma_f32 v135, v2, v163, -v135
	v_add_f32_e32 v2, v6, v130
	s_clause 0x1
	buffer_load_dword v6, off, s[0:3], 0 offset:324
	buffer_load_dword v130, off, s[0:3], 0 offset:332
	v_fmac_f32_e32 v128, v3, v163
	v_add_f32_e32 v3, v7, v134
	buffer_load_dword v134, off, s[0:3], 0 offset:340
	v_add_f32_e32 v2, v2, v132
	s_waitcnt vmcnt(16)
	v_mul_f32_e32 v7, v4, v10
	v_mul_f32_e32 v10, v5, v10
	v_add_f32_e32 v3, v3, v136
	v_add_f32_e32 v132, v2, v137
	s_waitcnt lgkmcnt(0)
	v_mul_f32_e32 v165, v119, v166
	v_fmac_f32_e32 v7, v5, v148
	v_add_f32_e32 v143, v3, v143
	v_fma_f32 v10, v4, v148, -v10
	v_add_f32_e32 v132, v132, v139
	v_mul_f32_e32 v139, v118, v166
	s_clause 0x3
	buffer_load_dword v136, off, s[0:3], 0 offset:348
	buffer_load_dword v137, off, s[0:3], 0 offset:356
	;; [unrolled: 1-line block ×4, first 2 shown]
	v_add_f32_e32 v141, v143, v141
	ds_read_b128 v[2:5], v1 offset:720
	v_add_f32_e32 v132, v132, v138
	v_fmac_f32_e32 v139, v119, v146
	v_fma_f32 v146, v118, v146, -v165
	v_add_f32_e32 v118, v141, v142
	s_waitcnt vmcnt(19)
	v_mul_f32_e32 v143, v120, v155
	v_mul_f32_e32 v138, v121, v155
	v_add_f32_e32 v119, v132, v140
	s_clause 0x3
	buffer_load_dword v140, off, s[0:3], 0 offset:380
	buffer_load_dword v141, off, s[0:3], 0 offset:388
	;; [unrolled: 1-line block ×4, first 2 shown]
	v_add_f32_e32 v118, v118, v144
	s_waitcnt vmcnt(19)
	v_fmac_f32_e32 v143, v121, v157
	v_fma_f32 v132, v120, v157, -v138
	buffer_load_dword v138, off, s[0:3], 0 offset:412
	v_add_f32_e32 v119, v119, v151
	s_clause 0x4
	buffer_load_dword v144, off, s[0:3], 0 offset:368
	buffer_load_dword v151, off, s[0:3], 0 offset:360
	;; [unrolled: 1-line block ×5, first 2 shown]
	v_add_f32_e32 v118, v118, v154
	v_add_f32_e32 v150, v119, v150
	;; [unrolled: 1-line block ×3, first 2 shown]
	ds_read_b128 v[118:121], v1 offset:736
	v_add_f32_e32 v145, v150, v145
	s_waitcnt vmcnt(24) lgkmcnt(1)
	v_mul_f32_e32 v150, v2, v158
	v_mul_f32_e32 v158, v3, v158
	v_add_f32_e32 v149, v154, v149
	v_fmac_f32_e32 v150, v3, v156
	v_fma_f32 v154, v2, v156, -v158
	v_add_f32_e32 v2, v145, v159
	v_add_f32_e32 v3, v149, v170
	s_clause 0x3
	buffer_load_dword v145, off, s[0:3], 0 offset:400
	buffer_load_dword v149, off, s[0:3], 0 offset:392
	;; [unrolled: 1-line block ×4, first 2 shown]
	v_add_f32_e32 v2, v2, v160
	s_clause 0x1
	buffer_load_dword v159, off, s[0:3], 0 offset:416
	buffer_load_dword v160, off, s[0:3], 0 offset:408
	v_add_f32_e32 v3, v3, v161
	s_waitcnt vmcnt(29)
	v_mul_f32_e32 v161, v4, v122
	v_add_f32_e32 v2, v2, v153
	buffer_load_dword v153, off, s[0:3], 0 offset:24
	v_add_f32_e32 v125, v3, v125
	v_mul_f32_e32 v3, v5, v122
	v_fmac_f32_e32 v161, v5, v129
	v_add_f32_e32 v122, v2, v127
	s_waitcnt vmcnt(29) lgkmcnt(0)
	v_mul_f32_e32 v167, v118, v123
	v_add_f32_e32 v124, v125, v124
	v_fma_f32 v162, v4, v129, -v3
	ds_read_b128 v[2:5], v1 offset:752
	v_add_f32_e32 v11, v122, v11
	v_mul_f32_e32 v127, v119, v123
	v_add_f32_e32 v128, v124, v128
	ds_read_b128 v[122:125], v1 offset:768
	s_waitcnt vmcnt(28)
	v_mul_f32_e32 v168, v120, v126
	v_add_f32_e32 v11, v11, v135
	v_mul_f32_e32 v126, v121, v126
	v_add_f32_e32 v7, v128, v7
	v_fmac_f32_e32 v167, v119, v8
	v_fma_f32 v8, v118, v8, -v127
	v_add_f32_e32 v10, v11, v10
	v_add_f32_e32 v7, v7, v139
	;; [unrolled: 1-line block ×4, first 2 shown]
	s_waitcnt vmcnt(24)
	v_fma_f32 v11, v120, v133, -v126
	v_fmac_f32_e32 v168, v121, v133
	ds_read_b128 v[118:121], v1 offset:784
	ds_read_b128 v[126:129], v1 offset:800
	s_waitcnt vmcnt(23) lgkmcnt(3)
	v_mul_f32_e32 v135, v2, v6
	v_mul_f32_e32 v6, v3, v6
	s_waitcnt vmcnt(22)
	v_mul_f32_e32 v146, v5, v130
	v_mul_f32_e32 v139, v4, v130
	v_fmac_f32_e32 v135, v3, v131
	v_fma_f32 v169, v2, v131, -v6
	v_add_f32_e32 v2, v7, v143
	v_add_f32_e32 v6, v10, v154
	v_fma_f32 v10, v4, v164, -v146
	v_fmac_f32_e32 v139, v5, v164
	ds_read_b128 v[130:133], v1 offset:816
	v_add_f32_e32 v143, v2, v150
	v_add_f32_e32 v146, v6, v162
	s_waitcnt vmcnt(21) lgkmcnt(3)
	v_mul_f32_e32 v150, v122, v134
	v_mul_f32_e32 v134, v123, v134
	s_waitcnt vmcnt(20)
	v_mul_f32_e32 v154, v124, v136
	v_add_f32_e32 v143, v143, v161
	v_add_f32_e32 v8, v146, v8
	v_mul_f32_e32 v136, v125, v136
	v_fma_f32 v122, v122, v152, -v134
	v_fmac_f32_e32 v150, v123, v152
	v_add_f32_e32 v143, v143, v167
	v_add_f32_e32 v8, v8, v11
	s_waitcnt vmcnt(19) lgkmcnt(2)
	v_mul_f32_e32 v146, v118, v137
	v_mul_f32_e32 v137, v119, v137
	s_waitcnt vmcnt(18)
	v_mul_f32_e32 v11, v120, v148
	v_add_f32_e32 v143, v143, v168
	v_add_f32_e32 v8, v8, v169
	ds_read_b128 v[2:5], v1 offset:832
	s_waitcnt vmcnt(17) lgkmcnt(2)
	v_mul_f32_e32 v161, v126, v163
	s_waitcnt vmcnt(9)
	v_fma_f32 v118, v118, v157, -v137
	v_add_f32_e32 v134, v143, v135
	v_add_f32_e32 v8, v8, v10
	s_waitcnt vmcnt(8)
	v_fma_f32 v124, v124, v165, -v136
	v_fmac_f32_e32 v154, v125, v165
	v_mul_f32_e32 v125, v121, v148
	v_add_f32_e32 v134, v134, v139
	v_add_f32_e32 v8, v8, v122
	v_fmac_f32_e32 v146, v119, v157
	v_fmac_f32_e32 v11, v121, v151
	v_fma_f32 v120, v120, v151, -v125
	v_add_f32_e32 v122, v134, v150
	v_add_f32_e32 v8, v8, v124
	v_mul_f32_e32 v162, v128, v140
	v_fmac_f32_e32 v161, v127, v144
	ds_read_b64 v[6:7], v1 offset:848
	v_add_f32_e32 v119, v122, v154
	v_mul_f32_e32 v122, v127, v163
	v_add_f32_e32 v8, v8, v118
	s_waitcnt lgkmcnt(2)
	v_mul_f32_e32 v164, v130, v141
	v_mul_f32_e32 v123, v132, v142
	v_add_f32_e32 v118, v119, v146
	v_mul_f32_e32 v119, v129, v140
	v_fma_f32 v121, v126, v144, -v122
	v_add_f32_e32 v8, v8, v120
	s_waitcnt vmcnt(3)
	v_fmac_f32_e32 v162, v129, v158
	v_add_f32_e32 v11, v118, v11
	v_mul_f32_e32 v118, v131, v141
	v_fma_f32 v119, v128, v158, -v119
	v_add_f32_e32 v8, v8, v121
	v_mul_f32_e32 v120, v133, v142
	v_add_f32_e32 v11, v11, v161
	v_fma_f32 v118, v130, v156, -v118
	v_fmac_f32_e32 v164, v131, v156
	v_add_f32_e32 v8, v8, v119
	s_waitcnt lgkmcnt(1)
	v_mul_f32_e32 v135, v2, v155
	v_add_f32_e32 v11, v11, v162
	v_mul_f32_e32 v119, v3, v155
	v_fma_f32 v120, v132, v149, -v120
	v_add_f32_e32 v8, v8, v118
	v_fmac_f32_e32 v123, v133, v149
	v_add_f32_e32 v11, v11, v164
	v_mul_f32_e32 v118, v5, v138
	v_fmac_f32_e32 v135, v3, v145
	v_fma_f32 v2, v2, v145, -v119
	v_add_f32_e32 v3, v8, v120
	v_mul_f32_e32 v10, v4, v138
	v_add_f32_e32 v8, v11, v123
	s_waitcnt lgkmcnt(0)
	v_mul_f32_e32 v11, v7, v166
	s_waitcnt vmcnt(1)
	v_fma_f32 v4, v4, v160, -v118
	v_add_f32_e32 v2, v3, v2
	v_mul_f32_e32 v139, v6, v166
	v_fmac_f32_e32 v10, v5, v160
	v_add_f32_e32 v3, v8, v135
	v_fma_f32 v5, v6, v159, -v11
	v_add_f32_e32 v2, v2, v4
	v_fmac_f32_e32 v139, v7, v159
	v_add_f32_e32 v3, v3, v10
	v_add_f32_e32 v2, v2, v5
	;; [unrolled: 1-line block ×3, first 2 shown]
	s_waitcnt vmcnt(0)
	v_sub_f32_e32 v2, v153, v2
	v_sub_f32_e32 v3, v147, v3
	buffer_store_dword v2, off, s[0:3], 0 offset:24
	buffer_store_dword v3, off, s[0:3], 0 offset:28
	v_cmpx_lt_u32_e32 2, v0
	s_cbranch_execz .LBB52_327
; %bb.326:
	s_clause 0x1
	buffer_load_dword v2, off, s[0:3], 0 offset:16
	buffer_load_dword v3, off, s[0:3], 0 offset:20
	buffer_store_dword v1, off, s[0:3], 0 offset:16
	buffer_store_dword v1, off, s[0:3], 0 offset:20
	s_waitcnt vmcnt(0)
	ds_write_b64 v9, v[2:3]
.LBB52_327:
	s_or_b32 exec_lo, exec_lo, s4
	s_waitcnt lgkmcnt(0)
	s_waitcnt_vscnt null, 0x0
	s_barrier
	buffer_gl0_inv
	s_clause 0x2c
	buffer_load_dword v146, off, s[0:3], 0 offset:28
	buffer_load_dword v147, off, s[0:3], 0 offset:36
	;; [unrolled: 1-line block ×45, first 2 shown]
	ds_read2_b64 v[155:158], v1 offset0:57 offset1:58
	ds_read2_b64 v[159:162], v1 offset0:59 offset1:60
	s_mov_b32 s4, exec_lo
	s_waitcnt vmcnt(44) lgkmcnt(1)
	v_mul_f32_e32 v148, v155, v146
	v_mul_f32_e32 v163, v156, v146
	s_waitcnt vmcnt(43)
	v_mul_f32_e32 v146, v157, v147
	v_mul_f32_e32 v164, v158, v147
	buffer_load_dword v147, off, s[0:3], 0 offset:20
	s_waitcnt vmcnt(41)
	v_fmac_f32_e32 v148, v156, v11
	v_fma_f32 v11, v155, v11, -v163
	v_fmac_f32_e32 v146, v158, v7
	v_fma_f32 v163, v157, v7, -v164
	ds_read2_b64 v[155:158], v1 offset0:61 offset1:62
	s_waitcnt vmcnt(40) lgkmcnt(1)
	v_mul_f32_e32 v164, v159, v4
	s_waitcnt vmcnt(39)
	v_mul_f32_e32 v165, v161, v5
	v_mul_f32_e32 v4, v160, v4
	;; [unrolled: 1-line block ×3, first 2 shown]
	v_fmac_f32_e32 v164, v160, v2
	s_waitcnt vmcnt(35)
	v_fmac_f32_e32 v165, v162, v120
	v_fma_f32 v166, v159, v2, -v4
	v_fma_f32 v167, v161, v120, -v5
	ds_read2_b64 v[159:162], v1 offset0:63 offset1:64
	s_waitcnt vmcnt(34) lgkmcnt(1)
	v_mul_f32_e32 v168, v155, v119
	v_mul_f32_e32 v2, v156, v119
	s_waitcnt vmcnt(33)
	v_mul_f32_e32 v169, v157, v118
	v_mul_f32_e32 v4, v158, v118
	v_fmac_f32_e32 v168, v156, v10
	v_fma_f32 v10, v155, v10, -v2
	v_fmac_f32_e32 v169, v158, v6
	v_fma_f32 v155, v157, v6, -v4
	ds_read2_b64 v[4:7], v1 offset0:65 offset1:66
	s_waitcnt vmcnt(32) lgkmcnt(1)
	v_mul_f32_e32 v156, v159, v8
	v_mul_f32_e32 v2, v160, v8
	s_waitcnt vmcnt(31)
	v_mul_f32_e32 v8, v161, v121
	v_mul_f32_e32 v118, v162, v121
	v_fmac_f32_e32 v156, v160, v3
	v_fma_f32 v157, v159, v3, -v2
	s_waitcnt vmcnt(27)
	v_fmac_f32_e32 v8, v162, v129
	v_fma_f32 v129, v161, v129, -v118
	ds_read2_b64 v[118:121], v1 offset0:67 offset1:68
	buffer_load_dword v159, off, s[0:3], 0 offset:212
	s_waitcnt vmcnt(27) lgkmcnt(1)
	v_mul_f32_e32 v158, v4, v127
	v_mul_f32_e32 v2, v5, v127
	s_waitcnt vmcnt(26)
	v_mul_f32_e32 v3, v7, v126
	v_mul_f32_e32 v127, v6, v126
	v_fmac_f32_e32 v158, v5, v125
	v_fma_f32 v125, v4, v125, -v2
	v_fma_f32 v6, v6, v123, -v3
	ds_read2_b64 v[2:5], v1 offset0:69 offset1:70
	v_fmac_f32_e32 v127, v7, v123
	s_waitcnt vmcnt(25) lgkmcnt(1)
	v_mul_f32_e32 v7, v118, v124
	v_mul_f32_e32 v123, v119, v124
	s_waitcnt vmcnt(24)
	v_mul_f32_e32 v124, v120, v128
	v_mul_f32_e32 v126, v121, v128
	v_fmac_f32_e32 v7, v119, v122
	v_fma_f32 v122, v118, v122, -v123
	s_waitcnt vmcnt(20)
	v_fmac_f32_e32 v124, v121, v137
	v_fma_f32 v123, v120, v137, -v126
	ds_read2_b64 v[118:121], v1 offset0:71 offset1:72
	s_waitcnt vmcnt(19) lgkmcnt(1)
	v_mul_f32_e32 v126, v2, v135
	v_mul_f32_e32 v128, v3, v135
	s_waitcnt vmcnt(18)
	v_mul_f32_e32 v135, v4, v134
	v_mul_f32_e32 v134, v5, v134
	v_fmac_f32_e32 v126, v3, v133
	v_fma_f32 v128, v2, v133, -v128
	v_fmac_f32_e32 v135, v5, v131
	v_fma_f32 v131, v4, v131, -v134
	ds_read2_b64 v[2:5], v1 offset0:73 offset1:74
	s_waitcnt vmcnt(17) lgkmcnt(1)
	v_mul_f32_e32 v133, v118, v132
	v_mul_f32_e32 v132, v119, v132
	s_waitcnt vmcnt(16)
	v_mul_f32_e32 v134, v120, v136
	v_mul_f32_e32 v136, v121, v136
	v_fmac_f32_e32 v133, v119, v130
	v_fma_f32 v130, v118, v130, -v132
	s_waitcnt vmcnt(12)
	v_fmac_f32_e32 v134, v121, v145
	v_fma_f32 v132, v120, v145, -v136
	ds_read2_b64 v[118:121], v1 offset0:75 offset1:76
	buffer_load_dword v145, off, s[0:3], 0 offset:204
	s_waitcnt vmcnt(12) lgkmcnt(1)
	v_mul_f32_e32 v136, v2, v143
	v_mul_f32_e32 v137, v3, v143
	s_waitcnt vmcnt(11)
	v_mul_f32_e32 v143, v4, v142
	v_mul_f32_e32 v142, v5, v142
	v_fmac_f32_e32 v136, v3, v141
	v_fma_f32 v137, v2, v141, -v137
	v_fmac_f32_e32 v143, v5, v139
	v_fma_f32 v139, v4, v139, -v142
	ds_read2_b64 v[2:5], v1 offset0:77 offset1:78
	s_waitcnt vmcnt(10) lgkmcnt(1)
	v_mul_f32_e32 v141, v118, v140
	v_mul_f32_e32 v140, v119, v140
	s_waitcnt vmcnt(9)
	v_mul_f32_e32 v142, v120, v144
	v_mul_f32_e32 v144, v121, v144
	v_fmac_f32_e32 v141, v119, v138
	v_fma_f32 v138, v118, v138, -v140
	s_waitcnt vmcnt(5)
	v_fmac_f32_e32 v142, v121, v154
	v_fma_f32 v140, v120, v154, -v144
	ds_read2_b64 v[118:121], v1 offset0:79 offset1:80
	s_waitcnt vmcnt(4) lgkmcnt(1)
	v_mul_f32_e32 v144, v2, v153
	v_mul_f32_e32 v153, v3, v153
	s_waitcnt vmcnt(3)
	v_mul_f32_e32 v154, v4, v152
	v_mul_f32_e32 v152, v5, v152
	v_fmac_f32_e32 v144, v3, v151
	v_fma_f32 v151, v2, v151, -v153
	v_fmac_f32_e32 v154, v5, v150
	v_fma_f32 v150, v4, v150, -v152
	s_clause 0x4
	buffer_load_dword v152, off, s[0:3], 0 offset:232
	buffer_load_dword v153, off, s[0:3], 0 offset:224
	buffer_load_dword v160, off, s[0:3], 0 offset:216
	buffer_load_dword v2, off, s[0:3], 0 offset:208
	buffer_load_dword v161, off, s[0:3], 0 offset:220
	s_waitcnt vmcnt(5) lgkmcnt(0)
	v_mul_f32_e32 v162, v118, v145
	v_mul_f32_e32 v3, v119, v145
	v_fmac_f32_e32 v162, v119, v149
	v_fma_f32 v145, v118, v149, -v3
	v_mul_f32_e32 v149, v120, v159
	v_mul_f32_e32 v3, v121, v159
	s_waitcnt vmcnt(1)
	v_fmac_f32_e32 v149, v121, v2
	v_fma_f32 v159, v120, v2, -v3
	ds_read2_b64 v[2:5], v1 offset0:81 offset1:82
	ds_read2_b64 v[118:121], v1 offset0:83 offset1:84
	s_waitcnt vmcnt(0) lgkmcnt(1)
	v_mul_f32_e32 v170, v2, v161
	v_mul_f32_e32 v161, v3, v161
	v_fmac_f32_e32 v170, v3, v160
	v_fma_f32 v160, v2, v160, -v161
	buffer_load_dword v2, off, s[0:3], 0 offset:228
	v_add_f32_e32 v3, 0, v11
	v_add_f32_e32 v3, v3, v163
	;; [unrolled: 1-line block ×11, first 2 shown]
	s_waitcnt vmcnt(0)
	v_mul_f32_e32 v161, v4, v2
	v_mul_f32_e32 v2, v5, v2
	v_fmac_f32_e32 v161, v5, v153
	v_fma_f32 v153, v4, v153, -v2
	s_clause 0x1
	buffer_load_dword v4, off, s[0:3], 0 offset:236
	buffer_load_dword v5, off, s[0:3], 0 offset:244
	v_add_f32_e32 v2, 0, v148
	v_add_f32_e32 v2, v2, v146
	s_clause 0x5
	buffer_load_dword v11, off, s[0:3], 0 offset:264
	buffer_load_dword v146, off, s[0:3], 0 offset:256
	;; [unrolled: 1-line block ×6, first 2 shown]
	v_add_f32_e32 v2, v2, v164
	buffer_load_dword v164, off, s[0:3], 0 offset:252
	v_add_f32_e32 v2, v2, v165
	buffer_load_dword v165, off, s[0:3], 0 offset:268
	v_add_f32_e32 v2, v2, v168
	v_add_f32_e32 v2, v2, v169
	;; [unrolled: 1-line block ×4, first 2 shown]
	s_clause 0x3
	buffer_load_dword v8, off, s[0:3], 0 offset:296
	buffer_load_dword v129, off, s[0:3], 0 offset:288
	;; [unrolled: 1-line block ×4, first 2 shown]
	v_add_f32_e32 v2, v2, v158
	buffer_load_dword v158, off, s[0:3], 0 offset:284
	v_add_f32_e32 v2, v2, v127
	s_clause 0x1
	buffer_load_dword v125, off, s[0:3], 0 offset:292
	buffer_load_dword v127, off, s[0:3], 0 offset:300
	v_add_f32_e32 v2, v2, v7
	s_waitcnt vmcnt(16) lgkmcnt(0)
	v_mul_f32_e32 v6, v118, v4
	v_mul_f32_e32 v4, v119, v4
	s_waitcnt vmcnt(15)
	v_mul_f32_e32 v7, v120, v5
	v_mul_f32_e32 v122, v121, v5
	v_fmac_f32_e32 v6, v119, v152
	v_fma_f32 v152, v118, v152, -v4
	v_add_f32_e32 v118, v2, v124
	v_add_f32_e32 v119, v3, v123
	ds_read2_b64 v[2:5], v1 offset0:85 offset1:86
	s_waitcnt vmcnt(11)
	v_fmac_f32_e32 v7, v121, v163
	v_fma_f32 v122, v120, v163, -v122
	v_add_f32_e32 v118, v118, v126
	v_add_f32_e32 v119, v119, v128
	s_clause 0x4
	buffer_load_dword v126, off, s[0:3], 0 offset:308
	buffer_load_dword v163, off, s[0:3], 0 offset:328
	;; [unrolled: 1-line block ×5, first 2 shown]
	v_add_f32_e32 v118, v118, v135
	v_add_f32_e32 v119, v119, v131
	;; [unrolled: 1-line block ×4, first 2 shown]
	s_clause 0x2
	buffer_load_dword v130, off, s[0:3], 0 offset:316
	buffer_load_dword v131, off, s[0:3], 0 offset:324
	;; [unrolled: 1-line block ×3, first 2 shown]
	v_add_f32_e32 v123, v118, v134
	v_add_f32_e32 v124, v119, v132
	ds_read2_b64 v[118:121], v1 offset0:87 offset1:88
	s_waitcnt vmcnt(16) lgkmcnt(1)
	v_mul_f32_e32 v132, v2, v164
	v_mul_f32_e32 v134, v3, v164
	v_add_f32_e32 v123, v123, v136
	v_add_f32_e32 v124, v124, v137
	v_mul_f32_e32 v135, v4, v10
	v_fmac_f32_e32 v132, v3, v148
	v_mul_f32_e32 v10, v5, v10
	v_add_f32_e32 v3, v123, v143
	v_add_f32_e32 v123, v124, v139
	v_fma_f32 v124, v2, v148, -v134
	v_fmac_f32_e32 v135, v5, v146
	v_fma_f32 v10, v4, v146, -v10
	v_add_f32_e32 v2, v3, v141
	v_add_f32_e32 v3, v123, v138
	s_clause 0x7
	buffer_load_dword v138, off, s[0:3], 0 offset:340
	buffer_load_dword v139, off, s[0:3], 0 offset:348
	;; [unrolled: 1-line block ×8, first 2 shown]
	v_add_f32_e32 v2, v2, v142
	v_add_f32_e32 v3, v3, v140
	s_waitcnt vmcnt(23) lgkmcnt(0)
	v_mul_f32_e32 v134, v118, v165
	v_mul_f32_e32 v4, v119, v165
	s_clause 0x3
	buffer_load_dword v140, off, s[0:3], 0 offset:372
	buffer_load_dword v142, off, s[0:3], 0 offset:380
	;; [unrolled: 1-line block ×4, first 2 shown]
	v_add_f32_e32 v2, v2, v144
	s_clause 0x1
	buffer_load_dword v144, off, s[0:3], 0 offset:404
	buffer_load_dword v171, off, s[0:3], 0 offset:412
	v_fmac_f32_e32 v134, v119, v11
	v_fma_f32 v11, v118, v11, -v4
	v_add_f32_e32 v118, v3, v151
	v_mul_f32_e32 v3, v121, v155
	v_add_f32_e32 v119, v2, v154
	buffer_load_dword v151, off, s[0:3], 0 offset:420
	v_mul_f32_e32 v136, v120, v155
	v_add_f32_e32 v118, v118, v150
	s_waitcnt vmcnt(26)
	v_fma_f32 v137, v120, v157, -v3
	ds_read2_b64 v[2:5], v1 offset0:89 offset1:90
	v_add_f32_e32 v119, v119, v162
	v_fmac_f32_e32 v136, v121, v157
	v_add_f32_e32 v118, v118, v145
	v_add_f32_e32 v119, v119, v149
	s_clause 0x3
	buffer_load_dword v145, off, s[0:3], 0 offset:392
	buffer_load_dword v149, off, s[0:3], 0 offset:384
	;; [unrolled: 1-line block ×4, first 2 shown]
	v_add_f32_e32 v118, v118, v159
	v_add_f32_e32 v123, v119, v170
	;; [unrolled: 1-line block ×3, first 2 shown]
	ds_read2_b64 v[118:121], v1 offset0:91 offset1:92
	v_add_f32_e32 v123, v123, v161
	s_waitcnt vmcnt(29) lgkmcnt(1)
	v_mul_f32_e32 v157, v2, v158
	v_mul_f32_e32 v158, v3, v158
	v_fmac_f32_e32 v157, v3, v156
	v_fma_f32 v156, v2, v156, -v158
	v_add_f32_e32 v2, v155, v153
	v_add_f32_e32 v3, v123, v6
	s_clause 0x2
	buffer_load_dword v6, off, s[0:3], 0 offset:416
	buffer_load_dword v153, off, s[0:3], 0 offset:408
	;; [unrolled: 1-line block ×3, first 2 shown]
	s_waitcnt vmcnt(31)
	v_mul_f32_e32 v123, v5, v125
	v_add_f32_e32 v2, v2, v152
	buffer_load_dword v152, off, s[0:3], 0 offset:16
	v_add_f32_e32 v3, v3, v7
	v_mul_f32_e32 v7, v4, v125
	v_fma_f32 v158, v4, v129, -v123
	v_add_f32_e32 v122, v2, v122
	v_fmac_f32_e32 v7, v5, v129
	v_add_f32_e32 v129, v3, v132
	v_add_f32_e32 v132, v122, v124
	ds_read2_b64 v[2:5], v1 offset0:93 offset1:94
	ds_read2_b64 v[122:125], v1 offset0:95 offset1:96
	v_add_f32_e32 v129, v129, v135
	v_add_f32_e32 v10, v132, v10
	s_waitcnt vmcnt(31) lgkmcnt(2)
	v_mul_f32_e32 v135, v118, v127
	v_mul_f32_e32 v127, v119, v127
	v_add_f32_e32 v132, v129, v134
	v_add_f32_e32 v10, v10, v11
	v_fmac_f32_e32 v135, v119, v8
	v_fma_f32 v8, v118, v8, -v127
	v_add_f32_e32 v11, v132, v136
	v_add_f32_e32 v10, v10, v137
	;; [unrolled: 1-line block ×7, first 2 shown]
	s_waitcnt vmcnt(30)
	v_mul_f32_e32 v159, v120, v126
	v_mul_f32_e32 v126, v121, v126
	s_waitcnt vmcnt(26)
	v_fmac_f32_e32 v159, v121, v128
	v_fma_f32 v160, v120, v128, -v126
	ds_read2_b64 v[118:121], v1 offset0:97 offset1:98
	ds_read2_b64 v[126:129], v1 offset0:99 offset1:100
	v_add_f32_e32 v7, v7, v159
	s_waitcnt vmcnt(25) lgkmcnt(3)
	v_mul_f32_e32 v161, v2, v130
	s_waitcnt vmcnt(24)
	v_mul_f32_e32 v162, v4, v131
	v_mul_f32_e32 v130, v3, v130
	;; [unrolled: 1-line block ×3, first 2 shown]
	s_waitcnt vmcnt(23) lgkmcnt(2)
	v_mul_f32_e32 v134, v123, v133
	v_mul_f32_e32 v157, v122, v133
	v_fmac_f32_e32 v161, v3, v167
	v_fmac_f32_e32 v162, v5, v166
	v_fma_f32 v167, v2, v167, -v130
	v_fma_f32 v156, v4, v166, -v131
	ds_read2_b64 v[2:5], v1 offset0:101 offset1:102
	ds_read2_b64 v[130:133], v1 offset0:103 offset1:104
	v_fma_f32 v11, v122, v163, -v134
	ds_read2_b64 v[134:137], v1 offset0:105 offset1:106
	v_add_f32_e32 v1, v10, v8
	v_add_f32_e32 v7, v7, v161
	s_waitcnt vmcnt(22)
	v_mul_f32_e32 v10, v125, v138
	v_fmac_f32_e32 v157, v123, v163
	v_mul_f32_e32 v8, v124, v138
	v_add_f32_e32 v1, v1, v160
	v_add_f32_e32 v7, v7, v162
	s_waitcnt vmcnt(21) lgkmcnt(4)
	v_mul_f32_e32 v138, v119, v139
	v_mul_f32_e32 v122, v118, v139
	s_waitcnt vmcnt(15)
	v_fma_f32 v10, v124, v168, -v10
	v_add_f32_e32 v1, v1, v167
	v_fmac_f32_e32 v8, v125, v168
	v_add_f32_e32 v7, v7, v157
	v_mul_f32_e32 v123, v120, v141
	v_mul_f32_e32 v141, v121, v141
	v_add_f32_e32 v1, v1, v156
	v_fma_f32 v118, v118, v164, -v138
	v_fmac_f32_e32 v122, v119, v164
	v_add_f32_e32 v7, v7, v8
	s_waitcnt lgkmcnt(3)
	v_mul_f32_e32 v8, v127, v143
	v_add_f32_e32 v1, v1, v11
	v_mul_f32_e32 v124, v126, v143
	v_fmac_f32_e32 v123, v121, v148
	v_add_f32_e32 v7, v7, v122
	v_fma_f32 v8, v126, v146, -v8
	v_add_f32_e32 v1, v1, v10
	v_fma_f32 v10, v120, v148, -v141
	s_waitcnt vmcnt(14)
	v_mul_f32_e32 v125, v128, v140
	v_fmac_f32_e32 v124, v127, v146
	v_add_f32_e32 v7, v7, v123
	v_add_f32_e32 v1, v1, v118
	v_mul_f32_e32 v118, v129, v140
	s_waitcnt vmcnt(13) lgkmcnt(2)
	v_mul_f32_e32 v139, v2, v142
	s_waitcnt vmcnt(12)
	v_mul_f32_e32 v158, v4, v165
	v_add_f32_e32 v7, v7, v124
	v_add_f32_e32 v1, v1, v10
	v_mul_f32_e32 v10, v3, v142
	s_waitcnt vmcnt(4)
	v_fma_f32 v118, v128, v154, -v118
	v_fmac_f32_e32 v125, v129, v154
	v_fmac_f32_e32 v139, v3, v150
	v_add_f32_e32 v1, v1, v8
	v_mul_f32_e32 v8, v5, v165
	v_fma_f32 v2, v2, v150, -v10
	v_add_f32_e32 v3, v7, v125
	s_waitcnt lgkmcnt(1)
	v_mul_f32_e32 v7, v131, v169
	v_add_f32_e32 v1, v1, v118
	v_fma_f32 v4, v4, v149, -v8
	v_mul_f32_e32 v159, v130, v169
	v_fmac_f32_e32 v158, v5, v149
	v_fma_f32 v5, v130, v145, -v7
	v_add_f32_e32 v1, v1, v2
	v_add_f32_e32 v2, v3, v139
	v_mul_f32_e32 v3, v133, v144
	v_mul_f32_e32 v156, v132, v144
	v_fmac_f32_e32 v159, v131, v145
	v_add_f32_e32 v1, v1, v4
	v_add_f32_e32 v2, v2, v158
	s_waitcnt lgkmcnt(0)
	v_mul_f32_e32 v4, v135, v171
	s_waitcnt vmcnt(1)
	v_fma_f32 v3, v132, v155, -v3
	v_mul_f32_e32 v160, v134, v171
	v_add_f32_e32 v1, v1, v5
	v_fmac_f32_e32 v156, v133, v155
	v_add_f32_e32 v2, v2, v159
	v_mul_f32_e32 v5, v137, v151
	v_fma_f32 v4, v134, v153, -v4
	v_add_f32_e32 v1, v1, v3
	v_mul_f32_e32 v11, v136, v151
	v_fmac_f32_e32 v160, v135, v153
	v_add_f32_e32 v2, v2, v156
	v_fma_f32 v3, v136, v6, -v5
	v_add_f32_e32 v1, v1, v4
	v_fmac_f32_e32 v11, v137, v6
	v_add_f32_e32 v2, v2, v160
	v_add_f32_e32 v1, v1, v3
	;; [unrolled: 1-line block ×3, first 2 shown]
	s_waitcnt vmcnt(0)
	v_sub_f32_e32 v1, v152, v1
	v_sub_f32_e32 v2, v147, v2
	buffer_store_dword v1, off, s[0:3], 0 offset:16
	buffer_store_dword v2, off, s[0:3], 0 offset:20
	v_cmpx_lt_u32_e32 1, v0
	s_cbranch_execz .LBB52_329
; %bb.328:
	s_clause 0x1
	buffer_load_dword v1, off, s[0:3], 0 offset:8
	buffer_load_dword v2, off, s[0:3], 0 offset:12
	v_mov_b32_e32 v3, 0
	buffer_store_dword v3, off, s[0:3], 0 offset:8
	buffer_store_dword v3, off, s[0:3], 0 offset:12
	s_waitcnt vmcnt(0)
	ds_write_b64 v9, v[1:2]
.LBB52_329:
	s_or_b32 exec_lo, exec_lo, s4
	s_waitcnt lgkmcnt(0)
	s_waitcnt_vscnt null, 0x0
	s_barrier
	buffer_gl0_inv
	s_clause 0x2c
	buffer_load_dword v154, off, s[0:3], 0 offset:20
	buffer_load_dword v155, off, s[0:3], 0 offset:28
	;; [unrolled: 1-line block ×45, first 2 shown]
	v_mov_b32_e32 v118, 0
	ds_read_b128 v[5:8], v118 offset:448
	ds_read_b128 v[1:4], v118 offset:464
	s_mov_b32 s4, exec_lo
	s_clause 0x1
	buffer_load_dword v165, off, s[0:3], 0 offset:196
	buffer_load_dword v166, off, s[0:3], 0 offset:204
	s_waitcnt vmcnt(46) lgkmcnt(1)
	v_mul_f32_e32 v156, v5, v154
	v_mul_f32_e32 v163, v6, v154
	s_waitcnt vmcnt(45)
	v_mul_f32_e32 v154, v7, v155
	v_mul_f32_e32 v164, v8, v155
	buffer_load_dword v155, off, s[0:3], 0 offset:12
	s_waitcnt vmcnt(43)
	v_fmac_f32_e32 v156, v6, v125
	v_fma_f32 v125, v5, v125, -v163
	v_fmac_f32_e32 v154, v8, v122
	v_fma_f32 v122, v7, v122, -v164
	ds_read_b128 v[5:8], v118 offset:480
	s_waitcnt vmcnt(42) lgkmcnt(1)
	v_mul_f32_e32 v163, v1, v119
	s_waitcnt vmcnt(41)
	v_mul_f32_e32 v164, v3, v120
	v_mul_f32_e32 v119, v2, v119
	;; [unrolled: 1-line block ×3, first 2 shown]
	v_fmac_f32_e32 v163, v2, v10
	s_waitcnt vmcnt(37)
	v_fmac_f32_e32 v164, v4, v128
	v_fma_f32 v10, v1, v10, -v119
	v_fma_f32 v119, v3, v128, -v120
	ds_read_b128 v[1:4], v118 offset:496
	s_waitcnt vmcnt(36) lgkmcnt(1)
	v_mul_f32_e32 v120, v5, v127
	v_mul_f32_e32 v127, v6, v127
	s_waitcnt vmcnt(35)
	v_mul_f32_e32 v128, v7, v126
	v_mul_f32_e32 v126, v8, v126
	v_fmac_f32_e32 v120, v6, v124
	v_fma_f32 v124, v5, v124, -v127
	v_fmac_f32_e32 v128, v8, v121
	v_fma_f32 v121, v7, v121, -v126
	ds_read_b128 v[5:8], v118 offset:512
	s_waitcnt vmcnt(34) lgkmcnt(1)
	v_mul_f32_e32 v126, v1, v123
	v_mul_f32_e32 v123, v2, v123
	s_waitcnt vmcnt(33)
	v_mul_f32_e32 v127, v3, v129
	v_mul_f32_e32 v129, v4, v129
	v_fmac_f32_e32 v126, v2, v11
	v_fma_f32 v11, v1, v11, -v123
	s_waitcnt vmcnt(29)
	v_fmac_f32_e32 v127, v4, v137
	v_fma_f32 v123, v3, v137, -v129
	ds_read_b128 v[1:4], v118 offset:528
	s_waitcnt vmcnt(28) lgkmcnt(1)
	v_mul_f32_e32 v129, v5, v135
	v_mul_f32_e32 v135, v6, v135
	s_waitcnt vmcnt(27)
	v_mul_f32_e32 v137, v7, v134
	v_mul_f32_e32 v134, v8, v134
	v_fmac_f32_e32 v129, v6, v133
	v_fma_f32 v133, v5, v133, -v135
	v_fmac_f32_e32 v137, v8, v131
	v_fma_f32 v131, v7, v131, -v134
	ds_read_b128 v[5:8], v118 offset:544
	s_waitcnt vmcnt(26) lgkmcnt(1)
	v_mul_f32_e32 v134, v1, v132
	v_mul_f32_e32 v132, v2, v132
	s_waitcnt vmcnt(25)
	v_mul_f32_e32 v135, v3, v136
	v_mul_f32_e32 v136, v4, v136
	v_fmac_f32_e32 v134, v2, v130
	v_fma_f32 v130, v1, v130, -v132
	s_waitcnt vmcnt(21)
	v_fmac_f32_e32 v135, v4, v145
	;; [unrolled: 23-line block ×4, first 2 shown]
	v_fma_f32 v148, v3, v162, -v153
	ds_read_b128 v[1:4], v118 offset:624
	s_waitcnt vmcnt(4) lgkmcnt(1)
	v_mul_f32_e32 v153, v5, v161
	v_mul_f32_e32 v161, v6, v161
	s_waitcnt vmcnt(3)
	v_mul_f32_e32 v162, v7, v160
	v_mul_f32_e32 v160, v8, v160
	v_fmac_f32_e32 v153, v6, v159
	v_fma_f32 v159, v5, v159, -v161
	v_fmac_f32_e32 v162, v8, v158
	v_fma_f32 v158, v7, v158, -v160
	s_clause 0x4
	buffer_load_dword v160, off, s[0:3], 0 offset:224
	buffer_load_dword v161, off, s[0:3], 0 offset:216
	;; [unrolled: 1-line block ×5, first 2 shown]
	s_waitcnt vmcnt(7) lgkmcnt(0)
	v_mul_f32_e32 v169, v1, v165
	v_mul_f32_e32 v6, v2, v165
	s_waitcnt vmcnt(6)
	v_mul_f32_e32 v165, v3, v166
	v_fmac_f32_e32 v169, v2, v157
	v_fma_f32 v157, v1, v157, -v6
	v_mul_f32_e32 v1, v4, v166
	s_waitcnt vmcnt(1)
	v_fmac_f32_e32 v165, v4, v5
	v_fma_f32 v166, v3, v5, -v1
	ds_read_b128 v[1:4], v118 offset:640
	ds_read_b128 v[5:8], v118 offset:656
	s_waitcnt vmcnt(0) lgkmcnt(1)
	v_mul_f32_e32 v170, v1, v168
	v_mul_f32_e32 v168, v2, v168
	v_fmac_f32_e32 v170, v2, v167
	v_fma_f32 v167, v1, v167, -v168
	buffer_load_dword v1, off, s[0:3], 0 offset:220
	s_waitcnt vmcnt(0)
	v_mul_f32_e32 v168, v3, v1
	v_mul_f32_e32 v1, v4, v1
	v_fmac_f32_e32 v168, v4, v161
	v_fma_f32 v161, v3, v161, -v1
	buffer_load_dword v1, off, s[0:3], 0 offset:228
	s_waitcnt vmcnt(0) lgkmcnt(0)
	v_mul_f32_e32 v171, v5, v1
	v_mul_f32_e32 v1, v6, v1
	v_fmac_f32_e32 v171, v6, v160
	v_fma_f32 v160, v5, v160, -v1
	s_clause 0x5
	buffer_load_dword v1, off, s[0:3], 0 offset:236
	buffer_load_dword v172, off, s[0:3], 0 offset:256
	;; [unrolled: 1-line block ×6, first 2 shown]
	s_waitcnt vmcnt(5)
	v_mul_f32_e32 v175, v7, v1
	v_mul_f32_e32 v1, v8, v1
	s_waitcnt vmcnt(1)
	v_fmac_f32_e32 v175, v8, v2
	v_fma_f32 v176, v7, v2, -v1
	ds_read_b128 v[1:4], v118 offset:672
	ds_read_b128 v[5:8], v118 offset:688
	s_waitcnt vmcnt(0) lgkmcnt(1)
	v_mul_f32_e32 v178, v1, v177
	v_mul_f32_e32 v177, v2, v177
	v_fmac_f32_e32 v178, v2, v174
	v_fma_f32 v174, v1, v174, -v177
	buffer_load_dword v1, off, s[0:3], 0 offset:252
	s_waitcnt vmcnt(0)
	v_mul_f32_e32 v177, v3, v1
	v_mul_f32_e32 v1, v4, v1
	v_fmac_f32_e32 v177, v4, v173
	v_fma_f32 v173, v3, v173, -v1
	buffer_load_dword v1, off, s[0:3], 0 offset:260
	s_waitcnt vmcnt(0) lgkmcnt(0)
	v_mul_f32_e32 v179, v5, v1
	v_mul_f32_e32 v1, v6, v1
	v_fmac_f32_e32 v179, v6, v172
	v_fma_f32 v172, v5, v172, -v1
	s_clause 0x5
	buffer_load_dword v1, off, s[0:3], 0 offset:268
	buffer_load_dword v180, off, s[0:3], 0 offset:288
	;; [unrolled: 1-line block ×6, first 2 shown]
	s_waitcnt vmcnt(5)
	v_mul_f32_e32 v183, v7, v1
	v_mul_f32_e32 v1, v8, v1
	s_waitcnt vmcnt(1)
	v_fmac_f32_e32 v183, v8, v2
	v_fma_f32 v184, v7, v2, -v1
	ds_read_b128 v[1:4], v118 offset:704
	ds_read_b128 v[5:8], v118 offset:720
	s_waitcnt vmcnt(0) lgkmcnt(1)
	v_mul_f32_e32 v186, v1, v185
	v_mul_f32_e32 v185, v2, v185
	v_fmac_f32_e32 v186, v2, v182
	v_fma_f32 v182, v1, v182, -v185
	buffer_load_dword v1, off, s[0:3], 0 offset:284
	s_waitcnt vmcnt(0)
	v_mul_f32_e32 v185, v3, v1
	v_mul_f32_e32 v1, v4, v1
	v_fmac_f32_e32 v185, v4, v181
	v_fma_f32 v181, v3, v181, -v1
	buffer_load_dword v1, off, s[0:3], 0 offset:292
	s_waitcnt vmcnt(0) lgkmcnt(0)
	v_mul_f32_e32 v187, v5, v1
	v_mul_f32_e32 v1, v6, v1
	v_fmac_f32_e32 v187, v6, v180
	v_fma_f32 v180, v5, v180, -v1
	s_clause 0x4
	buffer_load_dword v1, off, s[0:3], 0 offset:300
	buffer_load_dword v188, off, s[0:3], 0 offset:320
	;; [unrolled: 1-line block ×5, first 2 shown]
	s_waitcnt vmcnt(4)
	v_mul_f32_e32 v191, v7, v1
	v_mul_f32_e32 v1, v8, v1
	s_waitcnt vmcnt(0)
	v_fmac_f32_e32 v191, v8, v2
	v_fma_f32 v192, v7, v2, -v1
	v_add_f32_e32 v2, 0, v125
	v_add_f32_e32 v1, 0, v156
	;; [unrolled: 1-line block ×6, first 2 shown]
	buffer_load_dword v10, off, s[0:3], 0 offset:308
	v_add_f32_e32 v2, v2, v119
	v_add_f32_e32 v1, v1, v164
	v_add_f32_e32 v2, v2, v124
	v_add_f32_e32 v1, v1, v120
	v_add_f32_e32 v2, v2, v121
	v_add_f32_e32 v1, v1, v128
	buffer_load_dword v128, off, s[0:3], 0 offset:332
	v_add_f32_e32 v2, v2, v11
	buffer_load_dword v11, off, s[0:3], 0 offset:316
	v_add_f32_e32 v1, v1, v126
	v_add_f32_e32 v2, v2, v123
	v_add_f32_e32 v1, v1, v127
	buffer_load_dword v127, off, s[0:3], 0 offset:324
	v_add_f32_e32 v2, v2, v133
	v_add_f32_e32 v1, v1, v129
	;; [unrolled: 1-line block ×7, first 2 shown]
	s_clause 0x3
	buffer_load_dword v131, off, s[0:3], 0 offset:352
	buffer_load_dword v132, off, s[0:3], 0 offset:344
	;; [unrolled: 1-line block ×4, first 2 shown]
	v_add_f32_e32 v1, v1, v135
	v_add_f32_e32 v2, v2, v141
	;; [unrolled: 1-line block ×3, first 2 shown]
	s_clause 0x2
	buffer_load_dword v135, off, s[0:3], 0 offset:340
	buffer_load_dword v136, off, s[0:3], 0 offset:348
	;; [unrolled: 1-line block ×3, first 2 shown]
	v_add_f32_e32 v2, v2, v139
	v_add_f32_e32 v1, v1, v145
	;; [unrolled: 1-line block ×5, first 2 shown]
	s_clause 0x3
	buffer_load_dword v138, off, s[0:3], 0 offset:364
	buffer_load_dword v139, off, s[0:3], 0 offset:372
	;; [unrolled: 1-line block ×4, first 2 shown]
	v_add_f32_e32 v1, v1, v143
	s_clause 0x1
	buffer_load_dword v142, off, s[0:3], 0 offset:396
	buffer_load_dword v143, off, s[0:3], 0 offset:404
	v_add_f32_e32 v2, v2, v149
	v_add_f32_e32 v1, v1, v144
	s_clause 0x1
	buffer_load_dword v144, off, s[0:3], 0 offset:412
	buffer_load_dword v145, off, s[0:3], 0 offset:420
	v_add_f32_e32 v2, v2, v147
	v_add_f32_e32 v1, v1, v152
	;; [unrolled: 1-line block ×5, first 2 shown]
	s_clause 0x3
	buffer_load_dword v146, off, s[0:3], 0 offset:384
	buffer_load_dword v147, off, s[0:3], 0 offset:376
	;; [unrolled: 1-line block ×4, first 2 shown]
	v_add_f32_e32 v1, v1, v151
	v_add_f32_e32 v2, v2, v159
	;; [unrolled: 1-line block ×3, first 2 shown]
	s_clause 0x4
	buffer_load_dword v150, off, s[0:3], 0 offset:416
	buffer_load_dword v151, off, s[0:3], 0 offset:408
	;; [unrolled: 1-line block ×5, first 2 shown]
	v_add_f32_e32 v2, v2, v158
	v_add_f32_e32 v1, v1, v162
	;; [unrolled: 1-line block ×10, first 2 shown]
	ds_read_b128 v[1:4], v118 offset:736
	v_add_f32_e32 v6, v6, v160
	v_add_f32_e32 v5, v5, v171
	;; [unrolled: 1-line block ×5, first 2 shown]
	ds_read_b128 v[5:8], v118 offset:752
	v_add_f32_e32 v119, v119, v178
	v_add_f32_e32 v120, v120, v173
	v_add_f32_e32 v119, v119, v177
	s_waitcnt vmcnt(27) lgkmcnt(1)
	v_mul_f32_e32 v156, v1, v10
	v_mul_f32_e32 v10, v2, v10
	v_fmac_f32_e32 v156, v2, v190
	v_add_f32_e32 v2, v120, v172
	v_fma_f32 v158, v1, v190, -v10
	v_add_f32_e32 v10, v119, v179
	v_add_f32_e32 v10, v10, v183
	s_waitcnt vmcnt(26) lgkmcnt(0)
	v_mul_f32_e32 v161, v7, v128
	v_mul_f32_e32 v162, v8, v128
	v_add_f32_e32 v10, v10, v186
	s_waitcnt vmcnt(25)
	v_mul_f32_e32 v157, v3, v11
	v_mul_f32_e32 v11, v4, v11
	v_fmac_f32_e32 v157, v4, v189
	v_fma_f32 v159, v3, v189, -v11
	v_add_f32_e32 v11, v2, v184
	s_waitcnt vmcnt(24)
	v_mul_f32_e32 v160, v5, v127
	v_mul_f32_e32 v127, v6, v127
	ds_read_b128 v[1:4], v118 offset:768
	ds_read_b128 v[119:122], v118 offset:784
	;; [unrolled: 1-line block ×3, first 2 shown]
	v_add_f32_e32 v11, v11, v182
	v_fmac_f32_e32 v160, v6, v188
	v_fma_f32 v163, v5, v188, -v127
	v_add_f32_e32 v5, v10, v185
	ds_read_b128 v[127:130], v118 offset:816
	v_add_f32_e32 v11, v11, v181
	v_add_f32_e32 v6, v11, v180
	s_waitcnt vmcnt(20)
	v_fmac_f32_e32 v161, v8, v134
	v_fma_f32 v134, v7, v134, -v162
	v_add_f32_e32 v162, v5, v187
	v_add_f32_e32 v164, v6, v192
	ds_read_b128 v[5:8], v118 offset:832
	ds_read_b64 v[10:11], v118 offset:848
	s_waitcnt vmcnt(19) lgkmcnt(5)
	v_mul_f32_e32 v165, v1, v135
	v_add_f32_e32 v162, v162, v191
	v_add_f32_e32 v158, v164, v158
	v_mul_f32_e32 v135, v2, v135
	s_waitcnt vmcnt(18)
	v_mul_f32_e32 v166, v3, v136
	v_fmac_f32_e32 v165, v2, v133
	v_add_f32_e32 v156, v162, v156
	v_add_f32_e32 v158, v158, v159
	v_fma_f32 v1, v1, v133, -v135
	v_mul_f32_e32 v136, v4, v136
	s_waitcnt vmcnt(17) lgkmcnt(4)
	v_mul_f32_e32 v162, v119, v137
	v_add_f32_e32 v156, v156, v157
	v_add_f32_e32 v158, v158, v163
	v_mul_f32_e32 v137, v120, v137
	v_fma_f32 v3, v3, v132, -v136
	v_fmac_f32_e32 v166, v4, v132
	v_add_f32_e32 v133, v156, v160
	v_add_f32_e32 v134, v158, v134
	s_waitcnt vmcnt(16)
	v_mul_f32_e32 v132, v122, v138
	v_fma_f32 v119, v119, v131, -v137
	v_mul_f32_e32 v159, v121, v138
	v_add_f32_e32 v133, v133, v161
	v_add_f32_e32 v1, v134, v1
	v_fmac_f32_e32 v162, v120, v131
	s_waitcnt vmcnt(15) lgkmcnt(3)
	v_mul_f32_e32 v164, v123, v139
	s_waitcnt vmcnt(14)
	v_mul_f32_e32 v157, v125, v140
	v_add_f32_e32 v4, v133, v165
	v_add_f32_e32 v1, v1, v3
	s_waitcnt vmcnt(13) lgkmcnt(2)
	v_mul_f32_e32 v163, v127, v141
	s_waitcnt vmcnt(12)
	v_mul_f32_e32 v2, v129, v142
	s_waitcnt vmcnt(11) lgkmcnt(1)
	v_mul_f32_e32 v135, v5, v143
	v_add_f32_e32 v3, v4, v166
	v_mul_f32_e32 v4, v124, v139
	v_add_f32_e32 v1, v1, v119
	s_waitcnt vmcnt(5)
	v_fma_f32 v120, v121, v149, -v132
	v_fmac_f32_e32 v159, v122, v149
	v_add_f32_e32 v3, v3, v162
	v_mul_f32_e32 v119, v126, v140
	v_fma_f32 v4, v123, v148, -v4
	v_add_f32_e32 v1, v1, v120
	v_fmac_f32_e32 v164, v124, v148
	v_add_f32_e32 v3, v3, v159
	v_mul_f32_e32 v120, v128, v141
	v_fma_f32 v119, v125, v147, -v119
	v_add_f32_e32 v1, v1, v4
	;; [unrolled: 5-line block ×3, first 2 shown]
	v_fmac_f32_e32 v163, v128, v146
	v_add_f32_e32 v3, v3, v157
	v_mul_f32_e32 v119, v6, v143
	s_waitcnt vmcnt(1)
	v_fma_f32 v4, v129, v153, -v4
	v_add_f32_e32 v1, v1, v120
	v_fmac_f32_e32 v2, v130, v153
	v_add_f32_e32 v3, v3, v163
	v_mul_f32_e32 v120, v8, v144
	v_fma_f32 v5, v5, v152, -v119
	v_add_f32_e32 v1, v1, v4
	v_mul_f32_e32 v156, v7, v144
	v_fmac_f32_e32 v135, v6, v152
	v_add_f32_e32 v2, v3, v2
	s_waitcnt lgkmcnt(0)
	v_mul_f32_e32 v3, v11, v145
	v_fma_f32 v4, v7, v151, -v120
	v_add_f32_e32 v1, v1, v5
	v_mul_f32_e32 v158, v10, v145
	v_fmac_f32_e32 v156, v8, v151
	v_add_f32_e32 v2, v2, v135
	v_fma_f32 v3, v10, v150, -v3
	v_add_f32_e32 v1, v1, v4
	v_fmac_f32_e32 v158, v11, v150
	v_add_f32_e32 v2, v2, v156
	v_add_f32_e32 v1, v1, v3
	;; [unrolled: 1-line block ×3, first 2 shown]
	s_waitcnt vmcnt(0)
	v_sub_f32_e32 v1, v154, v1
	v_sub_f32_e32 v2, v155, v2
	buffer_store_dword v1, off, s[0:3], 0 offset:8
	buffer_store_dword v2, off, s[0:3], 0 offset:12
	v_cmpx_ne_u32_e32 0, v0
	s_cbranch_execz .LBB52_331
; %bb.330:
	s_clause 0x1
	buffer_load_dword v0, off, s[0:3], 0
	buffer_load_dword v1, off, s[0:3], 0 offset:4
	buffer_store_dword v118, off, s[0:3], 0
	buffer_store_dword v118, off, s[0:3], 0 offset:4
	s_waitcnt vmcnt(0)
	ds_write_b64 v9, v[0:1]
.LBB52_331:
	s_or_b32 exec_lo, exec_lo, s4
	s_waitcnt lgkmcnt(0)
	s_waitcnt_vscnt null, 0x0
	s_barrier
	buffer_gl0_inv
	s_clause 0x2c
	buffer_load_dword v0, off, s[0:3], 0 offset:12
	buffer_load_dword v119, off, s[0:3], 0 offset:24
	;; [unrolled: 1-line block ×45, first 2 shown]
	ds_read2_b64 v[8:11], v118 offset0:55 offset1:56
	ds_read2_b64 v[4:7], v118 offset0:57 offset1:58
	buffer_load_dword v164, off, s[0:3], 0 offset:4
	s_and_b32 vcc_lo, exec_lo, s22
	s_waitcnt vmcnt(45) lgkmcnt(1)
	v_mul_f32_e32 v157, v8, v0
	v_mul_f32_e32 v165, v9, v0
	ds_read2_b64 v[0:3], v118 offset0:59 offset1:60
	s_waitcnt vmcnt(42)
	v_fmac_f32_e32 v157, v9, v127
	v_fma_f32 v127, v8, v127, -v165
	s_waitcnt vmcnt(41)
	v_mul_f32_e32 v165, v10, v126
	v_mul_f32_e32 v8, v11, v126
	s_waitcnt vmcnt(40) lgkmcnt(1)
	v_mul_f32_e32 v126, v4, v124
	v_mul_f32_e32 v124, v5, v124
	v_fmac_f32_e32 v165, v11, v122
	v_fma_f32 v122, v10, v122, -v8
	ds_read2_b64 v[8:11], v118 offset0:61 offset1:62
	v_fmac_f32_e32 v126, v5, v119
	v_fma_f32 v119, v4, v119, -v124
	s_waitcnt vmcnt(39)
	v_mul_f32_e32 v124, v6, v121
	v_mul_f32_e32 v4, v7, v121
	s_waitcnt vmcnt(35)
	v_fmac_f32_e32 v124, v7, v131
	v_fma_f32 v121, v6, v131, -v4
	ds_read2_b64 v[4:7], v118 offset0:63 offset1:64
	s_waitcnt vmcnt(34) lgkmcnt(2)
	v_mul_f32_e32 v131, v0, v130
	v_mul_f32_e32 v130, v1, v130
	v_fmac_f32_e32 v131, v1, v128
	v_fma_f32 v128, v0, v128, -v130
	s_waitcnt vmcnt(33)
	v_mul_f32_e32 v130, v2, v129
	v_mul_f32_e32 v0, v3, v129
	s_waitcnt vmcnt(32) lgkmcnt(1)
	v_mul_f32_e32 v129, v8, v125
	v_mul_f32_e32 v125, v9, v125
	v_fmac_f32_e32 v130, v3, v123
	v_fma_f32 v123, v2, v123, -v0
	ds_read2_b64 v[0:3], v118 offset0:65 offset1:66
	v_fmac_f32_e32 v129, v9, v120
	v_fma_f32 v120, v8, v120, -v125
	s_waitcnt vmcnt(31)
	v_mul_f32_e32 v125, v10, v132
	v_mul_f32_e32 v8, v11, v132
	s_waitcnt vmcnt(27)
	v_fmac_f32_e32 v125, v11, v140
	v_fma_f32 v132, v10, v140, -v8
	s_waitcnt vmcnt(26) lgkmcnt(1)
	v_mul_f32_e32 v140, v4, v139
	v_mul_f32_e32 v139, v5, v139
	ds_read2_b64 v[8:11], v118 offset0:67 offset1:68
	v_fmac_f32_e32 v140, v5, v136
	v_fma_f32 v136, v4, v136, -v139
	s_waitcnt vmcnt(25)
	v_mul_f32_e32 v139, v6, v137
	v_mul_f32_e32 v4, v7, v137
	s_waitcnt vmcnt(24) lgkmcnt(1)
	v_mul_f32_e32 v137, v0, v135
	v_mul_f32_e32 v135, v1, v135
	v_fmac_f32_e32 v139, v7, v134
	v_fma_f32 v134, v6, v134, -v4
	ds_read2_b64 v[4:7], v118 offset0:69 offset1:70
	v_fmac_f32_e32 v137, v1, v133
	v_fma_f32 v133, v0, v133, -v135
	s_waitcnt vmcnt(23)
	v_mul_f32_e32 v135, v2, v138
	v_mul_f32_e32 v0, v3, v138
	s_waitcnt vmcnt(19)
	v_fmac_f32_e32 v135, v3, v148
	v_fma_f32 v138, v2, v148, -v0
	s_waitcnt vmcnt(18) lgkmcnt(1)
	v_mul_f32_e32 v148, v8, v147
	v_mul_f32_e32 v147, v9, v147
	ds_read2_b64 v[0:3], v118 offset0:71 offset1:72
	v_fmac_f32_e32 v148, v9, v144
	v_fma_f32 v144, v8, v144, -v147
	s_waitcnt vmcnt(17)
	v_mul_f32_e32 v147, v10, v145
	v_mul_f32_e32 v8, v11, v145
	s_waitcnt vmcnt(16) lgkmcnt(1)
	v_mul_f32_e32 v145, v4, v143
	v_mul_f32_e32 v143, v5, v143
	v_fmac_f32_e32 v147, v11, v142
	v_fma_f32 v142, v10, v142, -v8
	ds_read2_b64 v[8:11], v118 offset0:73 offset1:74
	v_fmac_f32_e32 v145, v5, v141
	v_fma_f32 v141, v4, v141, -v143
	s_waitcnt vmcnt(15)
	v_mul_f32_e32 v143, v6, v146
	v_mul_f32_e32 v4, v7, v146
	s_waitcnt vmcnt(11)
	v_fmac_f32_e32 v143, v7, v155
	v_fma_f32 v146, v6, v155, -v4
	ds_read2_b64 v[4:7], v118 offset0:75 offset1:76
	s_waitcnt vmcnt(10) lgkmcnt(2)
	v_mul_f32_e32 v155, v0, v154
	v_mul_f32_e32 v154, v1, v154
	v_fmac_f32_e32 v155, v1, v152
	v_fma_f32 v152, v0, v152, -v154
	s_waitcnt vmcnt(9)
	v_mul_f32_e32 v154, v2, v153
	v_mul_f32_e32 v0, v3, v153
	s_waitcnt vmcnt(8) lgkmcnt(1)
	v_mul_f32_e32 v153, v8, v151
	s_waitcnt vmcnt(7)
	v_mul_f32_e32 v1, v11, v156
	v_fmac_f32_e32 v154, v3, v150
	v_fma_f32 v150, v2, v150, -v0
	v_mul_f32_e32 v0, v9, v151
	v_mul_f32_e32 v151, v10, v156
	buffer_load_dword v156, off, s[0:3], 0 offset:188
	v_fmac_f32_e32 v153, v9, v149
	s_waitcnt vmcnt(4)
	v_fma_f32 v9, v10, v163, -v1
	v_fma_f32 v8, v8, v149, -v0
	v_fmac_f32_e32 v151, v11, v163
	ds_read2_b64 v[0:3], v118 offset0:77 offset1:78
	s_waitcnt vmcnt(3) lgkmcnt(1)
	v_mul_f32_e32 v10, v4, v162
	v_mul_f32_e32 v11, v5, v162
	buffer_load_dword v162, off, s[0:3], 0 offset:196
	s_waitcnt vmcnt(3)
	v_mul_f32_e32 v149, v6, v161
	v_mul_f32_e32 v161, v7, v161
	v_fmac_f32_e32 v10, v5, v160
	v_fma_f32 v11, v4, v160, -v11
	v_fmac_f32_e32 v149, v7, v159
	v_fma_f32 v159, v6, v159, -v161
	s_clause 0x4
	buffer_load_dword v160, off, s[0:3], 0 offset:216
	buffer_load_dword v161, off, s[0:3], 0 offset:208
	;; [unrolled: 1-line block ×5, first 2 shown]
	s_waitcnt vmcnt(6) lgkmcnt(0)
	v_mul_f32_e32 v167, v0, v156
	v_mul_f32_e32 v5, v1, v156
	v_fmac_f32_e32 v167, v1, v158
	v_fma_f32 v158, v0, v158, -v5
	s_waitcnt vmcnt(5)
	v_mul_f32_e32 v156, v2, v162
	v_mul_f32_e32 v6, v3, v162
	s_waitcnt vmcnt(1)
	v_fmac_f32_e32 v156, v3, v4
	v_fma_f32 v162, v2, v4, -v6
	ds_read2_b64 v[0:3], v118 offset0:79 offset1:80
	ds_read2_b64 v[4:7], v118 offset0:81 offset1:82
	s_waitcnt vmcnt(0) lgkmcnt(1)
	v_mul_f32_e32 v168, v0, v166
	v_mul_f32_e32 v166, v1, v166
	v_fmac_f32_e32 v168, v1, v163
	v_fma_f32 v163, v0, v163, -v166
	buffer_load_dword v0, off, s[0:3], 0 offset:212
	s_waitcnt vmcnt(0)
	v_mul_f32_e32 v166, v2, v0
	v_mul_f32_e32 v0, v3, v0
	v_fmac_f32_e32 v166, v3, v161
	v_fma_f32 v161, v2, v161, -v0
	buffer_load_dword v0, off, s[0:3], 0 offset:220
	s_waitcnt vmcnt(0) lgkmcnt(0)
	v_mul_f32_e32 v169, v4, v0
	v_mul_f32_e32 v0, v5, v0
	v_fmac_f32_e32 v169, v5, v160
	v_fma_f32 v160, v4, v160, -v0
	s_clause 0x4
	buffer_load_dword v0, off, s[0:3], 0 offset:228
	buffer_load_dword v170, off, s[0:3], 0 offset:248
	;; [unrolled: 1-line block ×5, first 2 shown]
	s_waitcnt vmcnt(4)
	v_mul_f32_e32 v173, v6, v0
	v_mul_f32_e32 v0, v7, v0
	s_waitcnt vmcnt(0)
	v_fmac_f32_e32 v173, v7, v1
	v_fma_f32 v174, v6, v1, -v0
	v_add_f32_e32 v0, 0, v157
	v_add_f32_e32 v1, 0, v127
	;; [unrolled: 1-line block ×4, first 2 shown]
	buffer_load_dword v122, off, s[0:3], 0 offset:236
	v_add_f32_e32 v0, v0, v126
	buffer_load_dword v126, off, s[0:3], 0 offset:244
	v_add_f32_e32 v1, v1, v119
	v_add_f32_e32 v0, v0, v124
	s_clause 0x1
	buffer_load_dword v119, off, s[0:3], 0 offset:252
	buffer_load_dword v124, off, s[0:3], 0 offset:260
	v_add_f32_e32 v1, v1, v121
	v_add_f32_e32 v0, v0, v131
	;; [unrolled: 1-line block ×4, first 2 shown]
	s_clause 0x3
	buffer_load_dword v121, off, s[0:3], 0 offset:280
	buffer_load_dword v127, off, s[0:3], 0 offset:272
	;; [unrolled: 1-line block ×4, first 2 shown]
	v_add_f32_e32 v1, v1, v123
	buffer_load_dword v123, off, s[0:3], 0 offset:268
	v_add_f32_e32 v0, v0, v129
	buffer_load_dword v129, off, s[0:3], 0 offset:276
	v_add_f32_e32 v1, v1, v120
	v_add_f32_e32 v0, v0, v125
	buffer_load_dword v125, off, s[0:3], 0 offset:284
	v_add_f32_e32 v4, v1, v132
	v_add_f32_e32 v5, v0, v140
	ds_read2_b64 v[0:3], v118 offset0:83 offset1:84
	v_add_f32_e32 v4, v4, v136
	v_add_f32_e32 v5, v5, v139
	;; [unrolled: 1-line block ×5, first 2 shown]
	ds_read2_b64 v[4:7], v118 offset0:85 offset1:86
	v_add_f32_e32 v120, v120, v135
	v_add_f32_e32 v131, v131, v138
	;; [unrolled: 1-line block ×8, first 2 shown]
	s_waitcnt vmcnt(10) lgkmcnt(1)
	v_mul_f32_e32 v132, v0, v122
	v_mul_f32_e32 v122, v1, v122
	s_waitcnt vmcnt(9)
	v_mul_f32_e32 v133, v2, v126
	v_mul_f32_e32 v126, v3, v126
	v_fmac_f32_e32 v132, v1, v172
	v_fma_f32 v122, v0, v172, -v122
	s_waitcnt vmcnt(8) lgkmcnt(0)
	v_mul_f32_e32 v140, v4, v119
	v_fmac_f32_e32 v133, v3, v171
	v_fma_f32 v126, v2, v171, -v126
	ds_read2_b64 v[0:3], v118 offset0:87 offset1:88
	s_clause 0x5
	buffer_load_dword v134, off, s[0:3], 0 offset:292
	buffer_load_dword v135, off, s[0:3], 0 offset:300
	;; [unrolled: 1-line block ×6, first 2 shown]
	v_mul_f32_e32 v119, v5, v119
	s_waitcnt vmcnt(13)
	v_mul_f32_e32 v141, v6, v124
	v_mul_f32_e32 v124, v7, v124
	v_fmac_f32_e32 v140, v5, v170
	v_add_f32_e32 v5, v131, v146
	v_fma_f32 v119, v4, v170, -v119
	v_add_f32_e32 v4, v120, v143
	s_clause 0x1
	buffer_load_dword v142, off, s[0:3], 0 offset:308
	buffer_load_dword v143, off, s[0:3], 0 offset:316
	s_waitcnt vmcnt(11)
	v_fma_f32 v120, v6, v130, -v124
	buffer_load_dword v131, off, s[0:3], 0 offset:324
	v_fmac_f32_e32 v141, v7, v130
	v_add_f32_e32 v124, v4, v155
	v_add_f32_e32 v130, v5, v152
	ds_read2_b64 v[4:7], v118 offset0:89 offset1:90
	s_clause 0x3
	buffer_load_dword v145, off, s[0:3], 0 offset:344
	buffer_load_dword v146, off, s[0:3], 0 offset:336
	;; [unrolled: 1-line block ×4, first 2 shown]
	v_add_f32_e32 v124, v124, v154
	v_add_f32_e32 v130, v130, v150
	s_waitcnt vmcnt(15) lgkmcnt(1)
	v_mul_f32_e32 v144, v0, v123
	v_mul_f32_e32 v123, v1, v123
	s_clause 0x1
	buffer_load_dword v150, off, s[0:3], 0 offset:332
	buffer_load_dword v152, off, s[0:3], 0 offset:340
	v_fmac_f32_e32 v144, v1, v128
	v_fma_f32 v123, v0, v128, -v123
	v_add_f32_e32 v0, v124, v153
	v_add_f32_e32 v1, v130, v8
	s_waitcnt vmcnt(16)
	v_mul_f32_e32 v124, v2, v129
	v_mul_f32_e32 v8, v3, v129
	v_add_f32_e32 v0, v0, v151
	v_add_f32_e32 v1, v1, v9
	s_clause 0x4
	buffer_load_dword v151, off, s[0:3], 0 offset:348
	buffer_load_dword v153, off, s[0:3], 0 offset:356
	;; [unrolled: 1-line block ×5, first 2 shown]
	v_add_f32_e32 v0, v0, v10
	v_add_f32_e32 v1, v1, v11
	v_fmac_f32_e32 v124, v3, v127
	v_fma_f32 v127, v2, v127, -v8
	s_waitcnt vmcnt(20) lgkmcnt(0)
	v_mul_f32_e32 v10, v5, v125
	v_add_f32_e32 v0, v0, v149
	v_add_f32_e32 v1, v1, v159
	s_clause 0x4
	buffer_load_dword v149, off, s[0:3], 0 offset:388
	buffer_load_dword v165, off, s[0:3], 0 offset:396
	;; [unrolled: 1-line block ×5, first 2 shown]
	v_mul_f32_e32 v128, v4, v125
	v_add_f32_e32 v0, v0, v167
	v_add_f32_e32 v1, v1, v158
	v_fma_f32 v125, v4, v121, -v10
	v_fmac_f32_e32 v128, v5, v121
	v_add_f32_e32 v0, v0, v156
	s_clause 0x3
	buffer_load_dword v156, off, s[0:3], 0 offset:376
	buffer_load_dword v158, off, s[0:3], 0 offset:368
	;; [unrolled: 1-line block ×4, first 2 shown]
	v_add_f32_e32 v1, v1, v162
	v_add_f32_e32 v0, v0, v168
	;; [unrolled: 1-line block ×4, first 2 shown]
	s_clause 0x3
	buffer_load_dword v162, off, s[0:3], 0 offset:408
	buffer_load_dword v163, off, s[0:3], 0 offset:400
	;; [unrolled: 1-line block ×4, first 2 shown]
	v_add_f32_e32 v1, v1, v161
	buffer_load_dword v161, off, s[0:3], 0 offset:416
	v_add_f32_e32 v0, v0, v169
	buffer_load_dword v169, off, s[0:3], 0
	v_add_f32_e32 v1, v1, v160
	v_add_f32_e32 v0, v0, v173
	;; [unrolled: 1-line block ×4, first 2 shown]
	ds_read2_b64 v[0:3], v118 offset0:91 offset1:92
	v_add_f32_e32 v8, v8, v122
	v_add_f32_e32 v9, v9, v133
	;; [unrolled: 1-line block ×4, first 2 shown]
	ds_read2_b64 v[8:11], v118 offset0:93 offset1:94
	v_add_f32_e32 v5, v122, v119
	v_add_f32_e32 v4, v4, v141
	s_waitcnt vmcnt(34)
	v_mul_f32_e32 v119, v7, v134
	s_waitcnt vmcnt(33) lgkmcnt(1)
	v_mul_f32_e32 v132, v0, v135
	v_mul_f32_e32 v121, v1, v135
	;; [unrolled: 1-line block ×3, first 2 shown]
	s_waitcnt vmcnt(29)
	v_fma_f32 v130, v6, v139, -v119
	v_fmac_f32_e32 v132, v1, v138
	v_add_f32_e32 v1, v5, v120
	v_fma_f32 v133, v0, v138, -v121
	v_add_f32_e32 v0, v4, v144
	v_fmac_f32_e32 v129, v7, v139
	ds_read2_b64 v[4:7], v118 offset0:95 offset1:96
	ds_read2_b64 v[119:122], v118 offset0:97 offset1:98
	v_add_f32_e32 v1, v1, v123
	s_waitcnt vmcnt(27) lgkmcnt(2)
	v_mul_f32_e32 v135, v8, v143
	v_add_f32_e32 v0, v0, v124
	v_mul_f32_e32 v124, v9, v143
	v_mul_f32_e32 v134, v2, v142
	v_add_f32_e32 v1, v1, v127
	v_fmac_f32_e32 v135, v9, v136
	v_mul_f32_e32 v123, v3, v142
	v_fma_f32 v136, v8, v136, -v124
	v_add_f32_e32 v8, v0, v128
	v_add_f32_e32 v9, v1, v125
	s_waitcnt vmcnt(26)
	v_mul_f32_e32 v138, v10, v131
	v_mul_f32_e32 v127, v11, v131
	v_fmac_f32_e32 v134, v3, v137
	v_fma_f32 v131, v2, v137, -v123
	v_add_f32_e32 v140, v9, v130
	v_add_f32_e32 v137, v8, v129
	ds_read2_b64 v[0:3], v118 offset0:99 offset1:100
	ds_read2_b64 v[123:126], v118 offset0:101 offset1:102
	s_waitcnt vmcnt(22)
	v_fmac_f32_e32 v138, v11, v148
	v_fma_f32 v139, v10, v148, -v127
	v_add_f32_e32 v133, v140, v133
	ds_read2_b64 v[8:11], v118 offset0:103 offset1:104
	ds_read2_b64 v[127:130], v118 offset0:105 offset1:106
	v_add_f32_e32 v118, v137, v132
	s_waitcnt vmcnt(21) lgkmcnt(5)
	v_mul_f32_e32 v137, v5, v150
	v_mul_f32_e32 v132, v4, v150
	v_add_f32_e32 v131, v133, v131
	s_waitcnt vmcnt(20)
	v_mul_f32_e32 v141, v7, v152
	v_add_f32_e32 v118, v118, v134
	v_fma_f32 v4, v4, v147, -v137
	v_mul_f32_e32 v140, v6, v152
	v_add_f32_e32 v131, v131, v136
	v_fmac_f32_e32 v132, v5, v147
	v_add_f32_e32 v118, v118, v135
	s_waitcnt vmcnt(19) lgkmcnt(4)
	v_mul_f32_e32 v137, v120, v151
	v_fma_f32 v6, v6, v146, -v141
	v_add_f32_e32 v131, v131, v139
	v_mul_f32_e32 v134, v119, v151
	v_add_f32_e32 v118, v118, v138
	v_fmac_f32_e32 v140, v7, v146
	s_waitcnt vmcnt(18)
	v_mul_f32_e32 v142, v122, v153
	v_add_f32_e32 v4, v131, v4
	v_fma_f32 v119, v119, v145, -v137
	v_add_f32_e32 v118, v118, v132
	v_mul_f32_e32 v5, v121, v153
	v_fmac_f32_e32 v134, v120, v145
	v_add_f32_e32 v4, v4, v6
	s_waitcnt vmcnt(17) lgkmcnt(3)
	v_mul_f32_e32 v133, v0, v154
	v_add_f32_e32 v6, v118, v140
	v_mul_f32_e32 v118, v1, v154
	s_waitcnt vmcnt(6)
	v_fma_f32 v120, v121, v172, -v142
	v_add_f32_e32 v4, v4, v119
	v_fmac_f32_e32 v5, v122, v172
	v_add_f32_e32 v6, v6, v134
	v_mul_f32_e32 v119, v3, v155
	v_fmac_f32_e32 v133, v1, v167
	v_fma_f32 v0, v0, v167, -v118
	v_add_f32_e32 v1, v4, v120
	v_mul_f32_e32 v135, v2, v155
	v_add_f32_e32 v4, v6, v5
	s_waitcnt lgkmcnt(2)
	v_mul_f32_e32 v5, v124, v157
	v_fma_f32 v2, v2, v158, -v119
	v_add_f32_e32 v0, v1, v0
	v_mul_f32_e32 v136, v123, v157
	v_fmac_f32_e32 v135, v3, v158
	v_add_f32_e32 v1, v4, v133
	v_mul_f32_e32 v3, v126, v149
	v_fma_f32 v4, v123, v156, -v5
	v_add_f32_e32 v0, v0, v2
	v_mul_f32_e32 v7, v125, v149
	v_fmac_f32_e32 v136, v124, v156
	v_add_f32_e32 v1, v1, v135
	s_waitcnt lgkmcnt(1)
	v_mul_f32_e32 v2, v9, v165
	s_waitcnt vmcnt(2)
	v_fma_f32 v3, v125, v168, -v3
	v_add_f32_e32 v0, v0, v4
	v_mul_f32_e32 v141, v8, v165
	v_fmac_f32_e32 v7, v126, v168
	v_add_f32_e32 v1, v1, v136
	v_mul_f32_e32 v4, v11, v170
	v_fma_f32 v2, v8, v166, -v2
	v_add_f32_e32 v0, v0, v3
	v_mul_f32_e32 v138, v10, v170
	v_fmac_f32_e32 v141, v9, v166
	v_add_f32_e32 v1, v1, v7
	s_waitcnt lgkmcnt(0)
	v_mul_f32_e32 v3, v128, v171
	v_fma_f32 v4, v10, v163, -v4
	v_add_f32_e32 v0, v0, v2
	v_mul_f32_e32 v139, v127, v171
	v_fmac_f32_e32 v138, v11, v163
	v_add_f32_e32 v1, v1, v141
	v_mul_f32_e32 v2, v130, v159
	v_fma_f32 v3, v127, v162, -v3
	v_add_f32_e32 v0, v0, v4
	v_mul_f32_e32 v131, v129, v159
	v_fmac_f32_e32 v139, v128, v162
	v_add_f32_e32 v1, v1, v138
	s_waitcnt vmcnt(1)
	v_fma_f32 v2, v129, v161, -v2
	v_add_f32_e32 v0, v0, v3
	v_fmac_f32_e32 v131, v130, v161
	v_add_f32_e32 v1, v1, v139
	v_add_f32_e32 v0, v0, v2
	;; [unrolled: 1-line block ×3, first 2 shown]
	s_waitcnt vmcnt(0)
	v_sub_f32_e32 v0, v169, v0
	v_sub_f32_e32 v1, v164, v1
	buffer_store_dword v0, off, s[0:3], 0
	buffer_store_dword v1, off, s[0:3], 0 offset:4
	s_cbranch_vccz .LBB52_436
; %bb.332:
	v_mov_b32_e32 v0, 0
	global_load_dword v1, v0, s[20:21] offset:204
	s_waitcnt vmcnt(0)
	v_add_nc_u32_e32 v1, -1, v1
	v_cmp_ne_u32_e32 vcc_lo, 51, v1
	s_cbranch_vccz .LBB52_334
; %bb.333:
	v_lshlrev_b32_e32 v1, 3, v1
	s_clause 0x3
	buffer_load_dword v2, v1, s[0:3], 0 offen
	buffer_load_dword v3, v1, s[0:3], 0 offen offset:4
	buffer_load_dword v4, off, s[0:3], 0 offset:408
	buffer_load_dword v5, off, s[0:3], 0 offset:412
	s_waitcnt vmcnt(3)
	buffer_store_dword v2, off, s[0:3], 0 offset:408
	s_waitcnt vmcnt(2)
	buffer_store_dword v3, off, s[0:3], 0 offset:412
	s_waitcnt vmcnt(1)
	buffer_store_dword v4, v1, s[0:3], 0 offen
	s_waitcnt vmcnt(0)
	buffer_store_dword v5, v1, s[0:3], 0 offen offset:4
.LBB52_334:
	global_load_dword v0, v0, s[20:21] offset:200
	s_waitcnt vmcnt(0)
	v_add_nc_u32_e32 v0, -1, v0
	v_cmp_eq_u32_e32 vcc_lo, 50, v0
	s_cbranch_vccnz .LBB52_336
; %bb.335:
	v_lshlrev_b32_e32 v0, 3, v0
	s_clause 0x3
	buffer_load_dword v1, v0, s[0:3], 0 offen
	buffer_load_dword v2, v0, s[0:3], 0 offen offset:4
	buffer_load_dword v3, off, s[0:3], 0 offset:404
	buffer_load_dword v4, off, s[0:3], 0 offset:400
	s_waitcnt vmcnt(3)
	buffer_store_dword v1, off, s[0:3], 0 offset:400
	s_waitcnt vmcnt(2)
	buffer_store_dword v2, off, s[0:3], 0 offset:404
	s_waitcnt vmcnt(1)
	buffer_store_dword v3, v0, s[0:3], 0 offen offset:4
	s_waitcnt vmcnt(0)
	buffer_store_dword v4, v0, s[0:3], 0 offen
.LBB52_336:
	v_mov_b32_e32 v0, 0
	global_load_dword v1, v0, s[20:21] offset:196
	s_waitcnt vmcnt(0)
	v_add_nc_u32_e32 v1, -1, v1
	v_cmp_eq_u32_e32 vcc_lo, 49, v1
	s_cbranch_vccnz .LBB52_338
; %bb.337:
	v_lshlrev_b32_e32 v1, 3, v1
	s_clause 0x3
	buffer_load_dword v2, v1, s[0:3], 0 offen
	buffer_load_dword v3, v1, s[0:3], 0 offen offset:4
	buffer_load_dword v4, off, s[0:3], 0 offset:392
	buffer_load_dword v5, off, s[0:3], 0 offset:396
	s_waitcnt vmcnt(3)
	buffer_store_dword v2, off, s[0:3], 0 offset:392
	s_waitcnt vmcnt(2)
	buffer_store_dword v3, off, s[0:3], 0 offset:396
	s_waitcnt vmcnt(1)
	buffer_store_dword v4, v1, s[0:3], 0 offen
	s_waitcnt vmcnt(0)
	buffer_store_dword v5, v1, s[0:3], 0 offen offset:4
.LBB52_338:
	global_load_dword v0, v0, s[20:21] offset:192
	s_waitcnt vmcnt(0)
	v_add_nc_u32_e32 v0, -1, v0
	v_cmp_eq_u32_e32 vcc_lo, 48, v0
	s_cbranch_vccnz .LBB52_340
; %bb.339:
	v_lshlrev_b32_e32 v0, 3, v0
	s_clause 0x3
	buffer_load_dword v1, v0, s[0:3], 0 offen
	buffer_load_dword v2, v0, s[0:3], 0 offen offset:4
	buffer_load_dword v3, off, s[0:3], 0 offset:388
	buffer_load_dword v4, off, s[0:3], 0 offset:384
	s_waitcnt vmcnt(3)
	buffer_store_dword v1, off, s[0:3], 0 offset:384
	s_waitcnt vmcnt(2)
	buffer_store_dword v2, off, s[0:3], 0 offset:388
	s_waitcnt vmcnt(1)
	buffer_store_dword v3, v0, s[0:3], 0 offen offset:4
	s_waitcnt vmcnt(0)
	buffer_store_dword v4, v0, s[0:3], 0 offen
.LBB52_340:
	v_mov_b32_e32 v0, 0
	global_load_dword v1, v0, s[20:21] offset:188
	s_waitcnt vmcnt(0)
	v_add_nc_u32_e32 v1, -1, v1
	v_cmp_eq_u32_e32 vcc_lo, 47, v1
	s_cbranch_vccnz .LBB52_342
; %bb.341:
	v_lshlrev_b32_e32 v1, 3, v1
	s_clause 0x3
	buffer_load_dword v2, v1, s[0:3], 0 offen
	buffer_load_dword v3, v1, s[0:3], 0 offen offset:4
	buffer_load_dword v4, off, s[0:3], 0 offset:376
	buffer_load_dword v5, off, s[0:3], 0 offset:380
	s_waitcnt vmcnt(3)
	buffer_store_dword v2, off, s[0:3], 0 offset:376
	s_waitcnt vmcnt(2)
	buffer_store_dword v3, off, s[0:3], 0 offset:380
	s_waitcnt vmcnt(1)
	buffer_store_dword v4, v1, s[0:3], 0 offen
	s_waitcnt vmcnt(0)
	buffer_store_dword v5, v1, s[0:3], 0 offen offset:4
.LBB52_342:
	;; [unrolled: 43-line block ×25, first 2 shown]
	global_load_dword v0, v0, s[20:21]
	s_waitcnt vmcnt(0)
	v_add_nc_u32_e32 v0, -1, v0
	v_cmp_eq_u32_e32 vcc_lo, 0, v0
	s_cbranch_vccnz .LBB52_436
; %bb.435:
	v_lshlrev_b32_e32 v0, 3, v0
	s_clause 0x3
	buffer_load_dword v1, v0, s[0:3], 0 offen
	buffer_load_dword v2, v0, s[0:3], 0 offen offset:4
	buffer_load_dword v3, off, s[0:3], 0 offset:4
	buffer_load_dword v4, off, s[0:3], 0
	s_waitcnt vmcnt(3)
	buffer_store_dword v1, off, s[0:3], 0
	s_waitcnt vmcnt(2)
	buffer_store_dword v2, off, s[0:3], 0 offset:4
	s_waitcnt vmcnt(1)
	buffer_store_dword v3, v0, s[0:3], 0 offen offset:4
	s_waitcnt vmcnt(0)
	buffer_store_dword v4, v0, s[0:3], 0 offen
.LBB52_436:
	s_clause 0x3e
	buffer_load_dword v0, off, s[0:3], 0
	buffer_load_dword v1, off, s[0:3], 0 offset:4
	buffer_load_dword v2, off, s[0:3], 0 offset:8
	buffer_load_dword v3, off, s[0:3], 0 offset:12
	buffer_load_dword v4, off, s[0:3], 0 offset:16
	buffer_load_dword v5, off, s[0:3], 0 offset:20
	buffer_load_dword v6, off, s[0:3], 0 offset:24
	buffer_load_dword v7, off, s[0:3], 0 offset:28
	buffer_load_dword v8, off, s[0:3], 0 offset:32
	buffer_load_dword v9, off, s[0:3], 0 offset:36
	buffer_load_dword v10, off, s[0:3], 0 offset:40
	buffer_load_dword v11, off, s[0:3], 0 offset:44
	buffer_load_dword v118, off, s[0:3], 0 offset:48
	buffer_load_dword v119, off, s[0:3], 0 offset:52
	buffer_load_dword v120, off, s[0:3], 0 offset:56
	buffer_load_dword v121, off, s[0:3], 0 offset:60
	buffer_load_dword v123, off, s[0:3], 0 offset:68
	buffer_load_dword v124, off, s[0:3], 0 offset:72
	buffer_load_dword v125, off, s[0:3], 0 offset:76
	buffer_load_dword v126, off, s[0:3], 0 offset:80
	buffer_load_dword v127, off, s[0:3], 0 offset:84
	buffer_load_dword v128, off, s[0:3], 0 offset:88
	buffer_load_dword v129, off, s[0:3], 0 offset:92
	buffer_load_dword v122, off, s[0:3], 0 offset:64
	buffer_load_dword v130, off, s[0:3], 0 offset:96
	buffer_load_dword v131, off, s[0:3], 0 offset:100
	buffer_load_dword v132, off, s[0:3], 0 offset:104
	buffer_load_dword v133, off, s[0:3], 0 offset:108
	buffer_load_dword v134, off, s[0:3], 0 offset:112
	buffer_load_dword v135, off, s[0:3], 0 offset:116
	buffer_load_dword v136, off, s[0:3], 0 offset:120
	buffer_load_dword v137, off, s[0:3], 0 offset:124
	buffer_load_dword v138, off, s[0:3], 0 offset:128
	buffer_load_dword v139, off, s[0:3], 0 offset:132
	buffer_load_dword v140, off, s[0:3], 0 offset:136
	buffer_load_dword v141, off, s[0:3], 0 offset:140
	buffer_load_dword v142, off, s[0:3], 0 offset:144
	buffer_load_dword v143, off, s[0:3], 0 offset:148
	buffer_load_dword v144, off, s[0:3], 0 offset:152
	buffer_load_dword v145, off, s[0:3], 0 offset:156
	buffer_load_dword v146, off, s[0:3], 0 offset:160
	buffer_load_dword v147, off, s[0:3], 0 offset:164
	buffer_load_dword v148, off, s[0:3], 0 offset:168
	buffer_load_dword v149, off, s[0:3], 0 offset:172
	buffer_load_dword v150, off, s[0:3], 0 offset:176
	buffer_load_dword v151, off, s[0:3], 0 offset:180
	buffer_load_dword v152, off, s[0:3], 0 offset:184
	buffer_load_dword v153, off, s[0:3], 0 offset:188
	buffer_load_dword v154, off, s[0:3], 0 offset:192
	buffer_load_dword v155, off, s[0:3], 0 offset:196
	buffer_load_dword v156, off, s[0:3], 0 offset:200
	buffer_load_dword v157, off, s[0:3], 0 offset:204
	buffer_load_dword v158, off, s[0:3], 0 offset:208
	buffer_load_dword v159, off, s[0:3], 0 offset:212
	buffer_load_dword v160, off, s[0:3], 0 offset:216
	buffer_load_dword v161, off, s[0:3], 0 offset:220
	buffer_load_dword v162, off, s[0:3], 0 offset:224
	buffer_load_dword v163, off, s[0:3], 0 offset:228
	buffer_load_dword v164, off, s[0:3], 0 offset:232
	buffer_load_dword v165, off, s[0:3], 0 offset:236
	buffer_load_dword v166, off, s[0:3], 0 offset:240
	buffer_load_dword v167, off, s[0:3], 0 offset:244
	buffer_load_dword v168, off, s[0:3], 0 offset:248
	s_clause 0x2a
	buffer_load_dword v169, off, s[0:3], 0 offset:252
	buffer_load_dword v170, off, s[0:3], 0 offset:256
	;; [unrolled: 1-line block ×43, first 2 shown]
	s_waitcnt vmcnt(62)
	global_store_dwordx2 v[100:101], v[0:1], off
	global_store_dwordx2 v[102:103], v[2:3], off
	;; [unrolled: 1-line block ×22, first 2 shown]
	s_waitcnt vmcnt(60)
	global_store_dwordx2 v[52:53], v[150:151], off
	s_waitcnt vmcnt(58)
	global_store_dwordx2 v[54:55], v[152:153], off
	;; [unrolled: 2-line block ×31, first 2 shown]
	s_endpgm
	.section	.rodata,"a",@progbits
	.p2align	6, 0x0
	.amdhsa_kernel _ZN9rocsolver6v33100L18getri_kernel_smallILi53E19rocblas_complex_numIfEPS3_EEvT1_iilPiilS6_bb
		.amdhsa_group_segment_fixed_size 856
		.amdhsa_private_segment_fixed_size 432
		.amdhsa_kernarg_size 60
		.amdhsa_user_sgpr_count 6
		.amdhsa_user_sgpr_private_segment_buffer 1
		.amdhsa_user_sgpr_dispatch_ptr 0
		.amdhsa_user_sgpr_queue_ptr 0
		.amdhsa_user_sgpr_kernarg_segment_ptr 1
		.amdhsa_user_sgpr_dispatch_id 0
		.amdhsa_user_sgpr_flat_scratch_init 0
		.amdhsa_user_sgpr_private_segment_size 0
		.amdhsa_wavefront_size32 1
		.amdhsa_uses_dynamic_stack 0
		.amdhsa_system_sgpr_private_segment_wavefront_offset 1
		.amdhsa_system_sgpr_workgroup_id_x 1
		.amdhsa_system_sgpr_workgroup_id_y 0
		.amdhsa_system_sgpr_workgroup_id_z 0
		.amdhsa_system_sgpr_workgroup_info 0
		.amdhsa_system_vgpr_workitem_id 0
		.amdhsa_next_free_vgpr 250
		.amdhsa_next_free_sgpr 23
		.amdhsa_reserve_vcc 1
		.amdhsa_reserve_flat_scratch 0
		.amdhsa_float_round_mode_32 0
		.amdhsa_float_round_mode_16_64 0
		.amdhsa_float_denorm_mode_32 3
		.amdhsa_float_denorm_mode_16_64 3
		.amdhsa_dx10_clamp 1
		.amdhsa_ieee_mode 1
		.amdhsa_fp16_overflow 0
		.amdhsa_workgroup_processor_mode 1
		.amdhsa_memory_ordered 1
		.amdhsa_forward_progress 1
		.amdhsa_shared_vgpr_count 0
		.amdhsa_exception_fp_ieee_invalid_op 0
		.amdhsa_exception_fp_denorm_src 0
		.amdhsa_exception_fp_ieee_div_zero 0
		.amdhsa_exception_fp_ieee_overflow 0
		.amdhsa_exception_fp_ieee_underflow 0
		.amdhsa_exception_fp_ieee_inexact 0
		.amdhsa_exception_int_div_zero 0
	.end_amdhsa_kernel
	.section	.text._ZN9rocsolver6v33100L18getri_kernel_smallILi53E19rocblas_complex_numIfEPS3_EEvT1_iilPiilS6_bb,"axG",@progbits,_ZN9rocsolver6v33100L18getri_kernel_smallILi53E19rocblas_complex_numIfEPS3_EEvT1_iilPiilS6_bb,comdat
.Lfunc_end52:
	.size	_ZN9rocsolver6v33100L18getri_kernel_smallILi53E19rocblas_complex_numIfEPS3_EEvT1_iilPiilS6_bb, .Lfunc_end52-_ZN9rocsolver6v33100L18getri_kernel_smallILi53E19rocblas_complex_numIfEPS3_EEvT1_iilPiilS6_bb
                                        ; -- End function
	.set _ZN9rocsolver6v33100L18getri_kernel_smallILi53E19rocblas_complex_numIfEPS3_EEvT1_iilPiilS6_bb.num_vgpr, 250
	.set _ZN9rocsolver6v33100L18getri_kernel_smallILi53E19rocblas_complex_numIfEPS3_EEvT1_iilPiilS6_bb.num_agpr, 0
	.set _ZN9rocsolver6v33100L18getri_kernel_smallILi53E19rocblas_complex_numIfEPS3_EEvT1_iilPiilS6_bb.numbered_sgpr, 23
	.set _ZN9rocsolver6v33100L18getri_kernel_smallILi53E19rocblas_complex_numIfEPS3_EEvT1_iilPiilS6_bb.num_named_barrier, 0
	.set _ZN9rocsolver6v33100L18getri_kernel_smallILi53E19rocblas_complex_numIfEPS3_EEvT1_iilPiilS6_bb.private_seg_size, 432
	.set _ZN9rocsolver6v33100L18getri_kernel_smallILi53E19rocblas_complex_numIfEPS3_EEvT1_iilPiilS6_bb.uses_vcc, 1
	.set _ZN9rocsolver6v33100L18getri_kernel_smallILi53E19rocblas_complex_numIfEPS3_EEvT1_iilPiilS6_bb.uses_flat_scratch, 0
	.set _ZN9rocsolver6v33100L18getri_kernel_smallILi53E19rocblas_complex_numIfEPS3_EEvT1_iilPiilS6_bb.has_dyn_sized_stack, 0
	.set _ZN9rocsolver6v33100L18getri_kernel_smallILi53E19rocblas_complex_numIfEPS3_EEvT1_iilPiilS6_bb.has_recursion, 0
	.set _ZN9rocsolver6v33100L18getri_kernel_smallILi53E19rocblas_complex_numIfEPS3_EEvT1_iilPiilS6_bb.has_indirect_call, 0
	.section	.AMDGPU.csdata,"",@progbits
; Kernel info:
; codeLenInByte = 106784
; TotalNumSgprs: 25
; NumVgprs: 250
; ScratchSize: 432
; MemoryBound: 0
; FloatMode: 240
; IeeeMode: 1
; LDSByteSize: 856 bytes/workgroup (compile time only)
; SGPRBlocks: 0
; VGPRBlocks: 31
; NumSGPRsForWavesPerEU: 25
; NumVGPRsForWavesPerEU: 250
; Occupancy: 4
; WaveLimiterHint : 1
; COMPUTE_PGM_RSRC2:SCRATCH_EN: 1
; COMPUTE_PGM_RSRC2:USER_SGPR: 6
; COMPUTE_PGM_RSRC2:TRAP_HANDLER: 0
; COMPUTE_PGM_RSRC2:TGID_X_EN: 1
; COMPUTE_PGM_RSRC2:TGID_Y_EN: 0
; COMPUTE_PGM_RSRC2:TGID_Z_EN: 0
; COMPUTE_PGM_RSRC2:TIDIG_COMP_CNT: 0
	.section	.text._ZN9rocsolver6v33100L18getri_kernel_smallILi54E19rocblas_complex_numIfEPS3_EEvT1_iilPiilS6_bb,"axG",@progbits,_ZN9rocsolver6v33100L18getri_kernel_smallILi54E19rocblas_complex_numIfEPS3_EEvT1_iilPiilS6_bb,comdat
	.globl	_ZN9rocsolver6v33100L18getri_kernel_smallILi54E19rocblas_complex_numIfEPS3_EEvT1_iilPiilS6_bb ; -- Begin function _ZN9rocsolver6v33100L18getri_kernel_smallILi54E19rocblas_complex_numIfEPS3_EEvT1_iilPiilS6_bb
	.p2align	8
	.type	_ZN9rocsolver6v33100L18getri_kernel_smallILi54E19rocblas_complex_numIfEPS3_EEvT1_iilPiilS6_bb,@function
_ZN9rocsolver6v33100L18getri_kernel_smallILi54E19rocblas_complex_numIfEPS3_EEvT1_iilPiilS6_bb: ; @_ZN9rocsolver6v33100L18getri_kernel_smallILi54E19rocblas_complex_numIfEPS3_EEvT1_iilPiilS6_bb
; %bb.0:
	s_add_u32 s0, s0, s7
	s_addc_u32 s1, s1, 0
	s_mov_b32 s7, exec_lo
	v_cmpx_gt_u32_e32 54, v0
	s_cbranch_execz .LBB53_230
; %bb.1:
	s_clause 0x2
	s_load_dword s7, s[4:5], 0x38
	s_load_dwordx4 s[16:19], s[4:5], 0x10
	s_load_dwordx4 s[8:11], s[4:5], 0x28
                                        ; implicit-def: $sgpr20_sgpr21
	s_waitcnt lgkmcnt(0)
	s_bitcmp1_b32 s7, 8
	s_cselect_b32 s22, -1, 0
	s_bfe_u32 s12, s7, 0x10008
	s_ashr_i32 s7, s6, 31
	s_cmp_eq_u32 s12, 0
	s_cbranch_scc1 .LBB53_3
; %bb.2:
	s_load_dword s12, s[4:5], 0x20
	s_mul_i32 s13, s8, s7
	s_mul_hi_u32 s14, s8, s6
	s_mul_i32 s9, s9, s6
	s_add_i32 s13, s14, s13
	s_mul_i32 s8, s8, s6
	s_add_i32 s9, s13, s9
	s_lshl_b64 s[8:9], s[8:9], 2
	s_waitcnt lgkmcnt(0)
	s_ashr_i32 s13, s12, 31
	s_add_u32 s14, s18, s8
	s_addc_u32 s15, s19, s9
	s_lshl_b64 s[8:9], s[12:13], 2
	s_add_u32 s20, s14, s8
	s_addc_u32 s21, s15, s9
.LBB53_3:
	s_clause 0x1
	s_load_dwordx4 s[12:15], s[4:5], 0x0
	s_load_dword s8, s[4:5], 0x38
	s_mul_i32 s4, s16, s7
	s_mul_hi_u32 s5, s16, s6
	s_mul_i32 s9, s17, s6
	s_add_i32 s5, s5, s4
	s_mul_i32 s4, s16, s6
	s_add_i32 s5, s5, s9
	s_lshl_b64 s[4:5], s[4:5], 3
	s_waitcnt lgkmcnt(0)
	v_add3_u32 v1, s15, s15, v0
	s_ashr_i32 s17, s14, 31
	s_mov_b32 s16, s14
	s_add_u32 s9, s12, s4
	s_addc_u32 s12, s13, s5
	v_add_nc_u32_e32 v3, s15, v1
	v_ashrrev_i32_e32 v2, 31, v1
	s_lshl_b64 s[4:5], s[16:17], 3
	s_add_u32 s4, s9, s4
	v_add_nc_u32_e32 v5, s15, v3
	v_ashrrev_i32_e32 v4, 31, v3
	v_lshlrev_b64 v[1:2], 3, v[1:2]
	s_addc_u32 s5, s12, s5
	s_ashr_i32 s13, s15, 31
	v_ashrrev_i32_e32 v6, 31, v5
	v_add_nc_u32_e32 v7, s15, v5
	v_lshlrev_b64 v[3:4], 3, v[3:4]
	v_add_co_u32 v9, vcc_lo, s4, v1
	v_add_co_ci_u32_e64 v10, null, s5, v2, vcc_lo
	v_lshlrev_b64 v[1:2], 3, v[5:6]
	v_ashrrev_i32_e32 v8, 31, v7
	v_add_nc_u32_e32 v5, s15, v7
	v_add_co_u32 v11, vcc_lo, s4, v3
	v_add_co_ci_u32_e64 v12, null, s5, v4, vcc_lo
	v_lshlrev_b64 v[3:4], 3, v[7:8]
	v_ashrrev_i32_e32 v6, 31, v5
	v_add_nc_u32_e32 v7, s15, v5
	v_add_co_u32 v13, vcc_lo, s4, v1
	v_add_co_ci_u32_e64 v14, null, s5, v2, vcc_lo
	v_lshlrev_b64 v[1:2], 3, v[5:6]
	v_ashrrev_i32_e32 v8, 31, v7
	v_add_nc_u32_e32 v5, s15, v7
	v_add_co_u32 v15, vcc_lo, s4, v3
	v_add_co_ci_u32_e64 v16, null, s5, v4, vcc_lo
	v_lshlrev_b64 v[3:4], 3, v[7:8]
	v_ashrrev_i32_e32 v6, 31, v5
	v_add_nc_u32_e32 v7, s15, v5
	v_add_co_u32 v17, vcc_lo, s4, v1
	v_add_co_ci_u32_e64 v18, null, s5, v2, vcc_lo
	v_lshlrev_b64 v[1:2], 3, v[5:6]
	v_ashrrev_i32_e32 v8, 31, v7
	v_add_nc_u32_e32 v5, s15, v7
	v_add_co_u32 v19, vcc_lo, s4, v3
	v_add_co_ci_u32_e64 v20, null, s5, v4, vcc_lo
	v_lshlrev_b64 v[3:4], 3, v[7:8]
	v_ashrrev_i32_e32 v6, 31, v5
	v_add_nc_u32_e32 v7, s15, v5
	v_add_co_u32 v21, vcc_lo, s4, v1
	v_add_co_ci_u32_e64 v22, null, s5, v2, vcc_lo
	v_lshlrev_b64 v[1:2], 3, v[5:6]
	v_ashrrev_i32_e32 v8, 31, v7
	v_add_nc_u32_e32 v5, s15, v7
	v_add_co_u32 v23, vcc_lo, s4, v3
	v_add_co_ci_u32_e64 v24, null, s5, v4, vcc_lo
	v_lshlrev_b64 v[3:4], 3, v[7:8]
	v_ashrrev_i32_e32 v6, 31, v5
	v_add_nc_u32_e32 v7, s15, v5
	v_add_co_u32 v25, vcc_lo, s4, v1
	v_add_co_ci_u32_e64 v26, null, s5, v2, vcc_lo
	v_lshlrev_b64 v[1:2], 3, v[5:6]
	v_ashrrev_i32_e32 v8, 31, v7
	v_add_nc_u32_e32 v5, s15, v7
	v_add_co_u32 v27, vcc_lo, s4, v3
	v_add_co_ci_u32_e64 v28, null, s5, v4, vcc_lo
	v_lshlrev_b64 v[3:4], 3, v[7:8]
	v_ashrrev_i32_e32 v6, 31, v5
	v_add_nc_u32_e32 v7, s15, v5
	v_add_co_u32 v29, vcc_lo, s4, v1
	v_add_co_ci_u32_e64 v30, null, s5, v2, vcc_lo
	v_lshlrev_b64 v[1:2], 3, v[5:6]
	v_ashrrev_i32_e32 v8, 31, v7
	v_add_nc_u32_e32 v5, s15, v7
	v_add_co_u32 v31, vcc_lo, s4, v3
	v_add_co_ci_u32_e64 v32, null, s5, v4, vcc_lo
	v_lshlrev_b64 v[3:4], 3, v[7:8]
	v_ashrrev_i32_e32 v6, 31, v5
	v_add_nc_u32_e32 v7, s15, v5
	v_add_co_u32 v33, vcc_lo, s4, v1
	v_add_co_ci_u32_e64 v34, null, s5, v2, vcc_lo
	v_lshlrev_b64 v[1:2], 3, v[5:6]
	v_ashrrev_i32_e32 v8, 31, v7
	v_add_nc_u32_e32 v5, s15, v7
	v_add_co_u32 v35, vcc_lo, s4, v3
	v_add_co_ci_u32_e64 v36, null, s5, v4, vcc_lo
	v_lshlrev_b64 v[3:4], 3, v[7:8]
	v_ashrrev_i32_e32 v6, 31, v5
	v_add_nc_u32_e32 v7, s15, v5
	v_add_co_u32 v37, vcc_lo, s4, v1
	v_add_co_ci_u32_e64 v38, null, s5, v2, vcc_lo
	v_lshlrev_b64 v[1:2], 3, v[5:6]
	v_ashrrev_i32_e32 v8, 31, v7
	v_add_nc_u32_e32 v5, s15, v7
	v_add_co_u32 v39, vcc_lo, s4, v3
	v_add_co_ci_u32_e64 v40, null, s5, v4, vcc_lo
	v_lshlrev_b64 v[3:4], 3, v[7:8]
	v_ashrrev_i32_e32 v6, 31, v5
	v_add_nc_u32_e32 v7, s15, v5
	v_add_co_u32 v41, vcc_lo, s4, v1
	v_add_co_ci_u32_e64 v42, null, s5, v2, vcc_lo
	v_lshlrev_b64 v[1:2], 3, v[5:6]
	v_ashrrev_i32_e32 v8, 31, v7
	v_add_nc_u32_e32 v5, s15, v7
	v_add_co_u32 v43, vcc_lo, s4, v3
	v_add_co_ci_u32_e64 v44, null, s5, v4, vcc_lo
	v_lshlrev_b64 v[3:4], 3, v[7:8]
	v_ashrrev_i32_e32 v6, 31, v5
	v_add_nc_u32_e32 v7, s15, v5
	v_add_co_u32 v45, vcc_lo, s4, v1
	v_add_co_ci_u32_e64 v46, null, s5, v2, vcc_lo
	v_lshlrev_b64 v[1:2], 3, v[5:6]
	v_ashrrev_i32_e32 v8, 31, v7
	v_add_nc_u32_e32 v5, s15, v7
	v_add_co_u32 v47, vcc_lo, s4, v3
	v_add_co_ci_u32_e64 v48, null, s5, v4, vcc_lo
	v_lshlrev_b64 v[3:4], 3, v[7:8]
	v_ashrrev_i32_e32 v6, 31, v5
	v_add_nc_u32_e32 v7, s15, v5
	v_add_co_u32 v49, vcc_lo, s4, v1
	v_add_co_ci_u32_e64 v50, null, s5, v2, vcc_lo
	v_lshlrev_b64 v[1:2], 3, v[5:6]
	v_ashrrev_i32_e32 v8, 31, v7
	v_add_nc_u32_e32 v5, s15, v7
	v_add_co_u32 v51, vcc_lo, s4, v3
	v_add_co_ci_u32_e64 v52, null, s5, v4, vcc_lo
	v_lshlrev_b64 v[3:4], 3, v[7:8]
	v_ashrrev_i32_e32 v6, 31, v5
	v_add_nc_u32_e32 v7, s15, v5
	v_add_co_u32 v53, vcc_lo, s4, v1
	v_add_co_ci_u32_e64 v54, null, s5, v2, vcc_lo
	v_lshlrev_b64 v[1:2], 3, v[5:6]
	v_ashrrev_i32_e32 v8, 31, v7
	v_add_nc_u32_e32 v5, s15, v7
	v_add_co_u32 v55, vcc_lo, s4, v3
	v_add_co_ci_u32_e64 v56, null, s5, v4, vcc_lo
	v_lshlrev_b64 v[3:4], 3, v[7:8]
	v_ashrrev_i32_e32 v6, 31, v5
	v_add_nc_u32_e32 v7, s15, v5
	v_add_co_u32 v57, vcc_lo, s4, v1
	v_add_co_ci_u32_e64 v58, null, s5, v2, vcc_lo
	v_lshlrev_b64 v[1:2], 3, v[5:6]
	v_ashrrev_i32_e32 v8, 31, v7
	v_add_nc_u32_e32 v5, s15, v7
	v_add_co_u32 v59, vcc_lo, s4, v3
	v_add_co_ci_u32_e64 v60, null, s5, v4, vcc_lo
	v_lshlrev_b64 v[3:4], 3, v[7:8]
	v_ashrrev_i32_e32 v6, 31, v5
	v_add_nc_u32_e32 v7, s15, v5
	v_add_co_u32 v61, vcc_lo, s4, v1
	v_add_co_ci_u32_e64 v62, null, s5, v2, vcc_lo
	v_lshlrev_b64 v[1:2], 3, v[5:6]
	v_ashrrev_i32_e32 v8, 31, v7
	v_add_nc_u32_e32 v5, s15, v7
	v_add_co_u32 v63, vcc_lo, s4, v3
	v_add_co_ci_u32_e64 v64, null, s5, v4, vcc_lo
	v_lshlrev_b64 v[3:4], 3, v[7:8]
	v_ashrrev_i32_e32 v6, 31, v5
	v_add_nc_u32_e32 v7, s15, v5
	v_add_co_u32 v65, vcc_lo, s4, v1
	v_add_co_ci_u32_e64 v66, null, s5, v2, vcc_lo
	v_lshlrev_b64 v[1:2], 3, v[5:6]
	v_ashrrev_i32_e32 v8, 31, v7
	v_add_nc_u32_e32 v5, s15, v7
	v_add_co_u32 v67, vcc_lo, s4, v3
	v_add_co_ci_u32_e64 v68, null, s5, v4, vcc_lo
	v_lshlrev_b64 v[3:4], 3, v[7:8]
	v_ashrrev_i32_e32 v6, 31, v5
	v_add_nc_u32_e32 v7, s15, v5
	v_add_co_u32 v69, vcc_lo, s4, v1
	v_add_co_ci_u32_e64 v70, null, s5, v2, vcc_lo
	v_lshlrev_b64 v[1:2], 3, v[5:6]
	v_ashrrev_i32_e32 v8, 31, v7
	v_add_nc_u32_e32 v5, s15, v7
	v_add_co_u32 v71, vcc_lo, s4, v3
	v_add_co_ci_u32_e64 v72, null, s5, v4, vcc_lo
	v_lshlrev_b64 v[3:4], 3, v[7:8]
	v_ashrrev_i32_e32 v6, 31, v5
	v_add_nc_u32_e32 v7, s15, v5
	v_add_co_u32 v73, vcc_lo, s4, v1
	v_add_co_ci_u32_e64 v74, null, s5, v2, vcc_lo
	v_lshlrev_b64 v[1:2], 3, v[5:6]
	v_ashrrev_i32_e32 v8, 31, v7
	v_add_nc_u32_e32 v5, s15, v7
	v_add_co_u32 v75, vcc_lo, s4, v3
	v_add_co_ci_u32_e64 v76, null, s5, v4, vcc_lo
	v_lshlrev_b64 v[3:4], 3, v[7:8]
	v_ashrrev_i32_e32 v6, 31, v5
	v_add_nc_u32_e32 v7, s15, v5
	v_add_co_u32 v77, vcc_lo, s4, v1
	v_add_co_ci_u32_e64 v78, null, s5, v2, vcc_lo
	v_lshlrev_b64 v[1:2], 3, v[5:6]
	v_ashrrev_i32_e32 v8, 31, v7
	v_add_nc_u32_e32 v5, s15, v7
	v_add_co_u32 v79, vcc_lo, s4, v3
	v_add_co_ci_u32_e64 v80, null, s5, v4, vcc_lo
	v_lshlrev_b64 v[3:4], 3, v[7:8]
	v_ashrrev_i32_e32 v6, 31, v5
	v_add_nc_u32_e32 v7, s15, v5
	v_add_co_u32 v81, vcc_lo, s4, v1
	v_add_co_ci_u32_e64 v82, null, s5, v2, vcc_lo
	v_lshlrev_b64 v[1:2], 3, v[5:6]
	v_ashrrev_i32_e32 v8, 31, v7
	v_add_nc_u32_e32 v5, s15, v7
	v_add_co_u32 v83, vcc_lo, s4, v3
	v_add_co_ci_u32_e64 v84, null, s5, v4, vcc_lo
	v_lshlrev_b64 v[3:4], 3, v[7:8]
	v_ashrrev_i32_e32 v6, 31, v5
	v_add_nc_u32_e32 v7, s15, v5
	v_add_co_u32 v85, vcc_lo, s4, v1
	v_add_co_ci_u32_e64 v86, null, s5, v2, vcc_lo
	v_lshlrev_b64 v[1:2], 3, v[5:6]
	v_ashrrev_i32_e32 v8, 31, v7
	v_add_nc_u32_e32 v5, s15, v7
	v_add_co_u32 v87, vcc_lo, s4, v3
	v_add_co_ci_u32_e64 v88, null, s5, v4, vcc_lo
	v_lshlrev_b64 v[3:4], 3, v[7:8]
	v_add_nc_u32_e32 v7, s15, v5
	v_ashrrev_i32_e32 v6, 31, v5
	v_add_co_u32 v89, vcc_lo, s4, v1
	v_add_co_ci_u32_e64 v90, null, s5, v2, vcc_lo
	v_ashrrev_i32_e32 v8, 31, v7
	v_lshlrev_b64 v[1:2], 3, v[5:6]
	v_add_co_u32 v91, vcc_lo, s4, v3
	v_add_co_ci_u32_e64 v92, null, s5, v4, vcc_lo
	v_lshlrev_b64 v[3:4], 3, v[7:8]
	v_add_co_u32 v93, vcc_lo, s4, v1
	v_add_nc_u32_e32 v1, s15, v7
	v_add_co_ci_u32_e64 v94, null, s5, v2, vcc_lo
	v_add_co_u32 v95, vcc_lo, s4, v3
	v_add_co_ci_u32_e64 v96, null, s5, v4, vcc_lo
	v_add_nc_u32_e32 v4, s15, v1
	v_lshlrev_b32_e32 v3, 3, v0
	v_ashrrev_i32_e32 v2, 31, v1
	s_mov_b32 s12, s15
	v_add_nc_u32_e32 v105, s15, v4
	v_ashrrev_i32_e32 v5, 31, v4
	v_add_co_u32 v99, s9, s4, v3
	v_lshlrev_b64 v[1:2], 3, v[1:2]
	v_add_nc_u32_e32 v107, s15, v105
	v_ashrrev_i32_e32 v106, 31, v105
	v_add_co_ci_u32_e64 v100, null, s5, 0, s9
	s_lshl_b64 s[12:13], s[12:13], 3
	v_add_nc_u32_e32 v109, s15, v107
	v_ashrrev_i32_e32 v108, 31, v107
	v_lshlrev_b64 v[4:5], 3, v[4:5]
	v_add_co_u32 v101, vcc_lo, v99, s12
	v_add_nc_u32_e32 v111, s15, v109
	v_ashrrev_i32_e32 v110, 31, v109
	v_lshlrev_b64 v[105:106], 3, v[105:106]
	v_add_co_ci_u32_e64 v102, null, s13, v100, vcc_lo
	v_add_nc_u32_e32 v113, s15, v111
	v_ashrrev_i32_e32 v112, 31, v111
	v_add_co_u32 v97, vcc_lo, s4, v1
	v_lshlrev_b64 v[107:108], 3, v[107:108]
	v_add_nc_u32_e32 v115, s15, v113
	v_ashrrev_i32_e32 v114, 31, v113
	v_add_co_ci_u32_e64 v98, null, s5, v2, vcc_lo
	v_add_co_u32 v103, vcc_lo, s4, v4
	v_lshlrev_b64 v[109:110], 3, v[109:110]
	v_ashrrev_i32_e32 v116, 31, v115
	v_add_co_ci_u32_e64 v104, null, s5, v5, vcc_lo
	v_add_co_u32 v105, vcc_lo, s4, v105
	v_lshlrev_b64 v[111:112], 3, v[111:112]
	v_add_co_ci_u32_e64 v106, null, s5, v106, vcc_lo
	v_add_co_u32 v107, vcc_lo, s4, v107
	v_lshlrev_b64 v[113:114], 3, v[113:114]
	;; [unrolled: 3-line block ×3, first 2 shown]
	v_add_co_ci_u32_e64 v110, null, s5, v110, vcc_lo
	v_add_co_u32 v111, vcc_lo, s4, v111
	v_add_co_ci_u32_e64 v112, null, s5, v112, vcc_lo
	v_add_co_u32 v113, vcc_lo, s4, v113
	;; [unrolled: 2-line block ×3, first 2 shown]
	v_add_co_ci_u32_e64 v116, null, s5, v116, vcc_lo
	s_clause 0x35
	global_load_dwordx2 v[6:7], v3, s[4:5]
	global_load_dwordx2 v[117:118], v[101:102], off
	global_load_dwordx2 v[119:120], v[9:10], off
	;; [unrolled: 1-line block ×53, first 2 shown]
	s_mov_b32 s5, -1
	s_bitcmp0_b32 s8, 0
	s_waitcnt vmcnt(53)
	buffer_store_dword v7, off, s[0:3], 0 offset:4
	buffer_store_dword v6, off, s[0:3], 0
	s_waitcnt vmcnt(52)
	buffer_store_dword v118, off, s[0:3], 0 offset:12
	buffer_store_dword v117, off, s[0:3], 0 offset:8
	s_waitcnt vmcnt(51)
	buffer_store_dword v120, off, s[0:3], 0 offset:20
	buffer_store_dword v119, off, s[0:3], 0 offset:16
	;; [unrolled: 3-line block ×53, first 2 shown]
	s_cbranch_scc1 .LBB53_228
; %bb.4:
	v_cmp_eq_u32_e64 s4, 0, v0
	s_and_saveexec_b32 s5, s4
; %bb.5:
	v_mov_b32_e32 v1, 0
	ds_write_b32 v1, v1 offset:864
; %bb.6:
	s_or_b32 exec_lo, exec_lo, s5
	v_lshl_add_u32 v5, v0, 3, 0
	s_waitcnt lgkmcnt(0)
	s_waitcnt_vscnt null, 0x0
	s_barrier
	buffer_gl0_inv
	s_clause 0x1
	buffer_load_dword v1, v5, s[0:3], 0 offen
	buffer_load_dword v2, v5, s[0:3], 0 offen offset:4
	s_waitcnt vmcnt(1)
	v_cmp_eq_f32_e32 vcc_lo, 0, v1
	s_waitcnt vmcnt(0)
	v_cmp_eq_f32_e64 s5, 0, v2
	s_and_b32 s5, vcc_lo, s5
	s_and_saveexec_b32 s8, s5
	s_cbranch_execz .LBB53_10
; %bb.7:
	v_mov_b32_e32 v1, 0
	s_mov_b32 s9, 0
	ds_read_b32 v2, v1 offset:864
	s_waitcnt lgkmcnt(0)
	v_readfirstlane_b32 s5, v2
	v_add_nc_u32_e32 v2, 1, v0
	s_cmp_eq_u32 s5, 0
	v_cmp_gt_i32_e32 vcc_lo, s5, v2
	s_cselect_b32 s12, -1, 0
	s_or_b32 s12, s12, vcc_lo
	s_and_b32 exec_lo, exec_lo, s12
	s_cbranch_execz .LBB53_10
; %bb.8:
	v_mov_b32_e32 v4, s5
.LBB53_9:                               ; =>This Inner Loop Header: Depth=1
	ds_cmpst_rtn_b32 v4, v1, v4, v2 offset:864
	s_waitcnt lgkmcnt(0)
	v_cmp_ne_u32_e32 vcc_lo, 0, v4
	v_cmp_le_i32_e64 s5, v4, v2
	s_and_b32 s5, vcc_lo, s5
	s_and_b32 s5, exec_lo, s5
	s_or_b32 s9, s5, s9
	s_andn2_b32 exec_lo, exec_lo, s9
	s_cbranch_execnz .LBB53_9
.LBB53_10:
	s_or_b32 exec_lo, exec_lo, s8
	v_mov_b32_e32 v1, 0
	s_barrier
	buffer_gl0_inv
	ds_read_b32 v2, v1 offset:864
	s_and_saveexec_b32 s5, s4
	s_cbranch_execz .LBB53_12
; %bb.11:
	s_lshl_b64 s[8:9], s[6:7], 2
	s_add_u32 s8, s10, s8
	s_addc_u32 s9, s11, s9
	s_waitcnt lgkmcnt(0)
	global_store_dword v1, v2, s[8:9]
.LBB53_12:
	s_or_b32 exec_lo, exec_lo, s5
	s_waitcnt lgkmcnt(0)
	v_cmp_ne_u32_e32 vcc_lo, 0, v2
	s_mov_b32 s5, 0
	s_cbranch_vccnz .LBB53_228
; %bb.13:
	s_clause 0x1
	buffer_load_dword v2, v5, s[0:3], 0 offen
	buffer_load_dword v4, v5, s[0:3], 0 offen offset:4
                                        ; implicit-def: $vgpr7
                                        ; implicit-def: $vgpr6
                                        ; implicit-def: $vgpr1
	s_waitcnt vmcnt(0)
	v_cmp_ngt_f32_e64 s5, |v2|, |v4|
	s_and_saveexec_b32 s8, s5
	s_xor_b32 s5, exec_lo, s8
	s_cbranch_execz .LBB53_15
; %bb.14:
	v_div_scale_f32 v1, null, v4, v4, v2
	v_div_scale_f32 v8, vcc_lo, v2, v4, v2
	v_rcp_f32_e32 v6, v1
	v_fma_f32 v7, -v1, v6, 1.0
	v_fmac_f32_e32 v6, v7, v6
	v_mul_f32_e32 v7, v8, v6
	v_fma_f32 v117, -v1, v7, v8
	v_fmac_f32_e32 v7, v117, v6
	v_fma_f32 v1, -v1, v7, v8
	v_div_fmas_f32 v1, v1, v6, v7
	v_div_fixup_f32 v1, v1, v4, v2
	v_fmac_f32_e32 v4, v2, v1
	v_div_scale_f32 v2, null, v4, v4, 1.0
	v_rcp_f32_e32 v6, v2
	v_fma_f32 v7, -v2, v6, 1.0
	v_fmac_f32_e32 v6, v7, v6
	v_div_scale_f32 v7, vcc_lo, 1.0, v4, 1.0
	v_mul_f32_e32 v8, v7, v6
	v_fma_f32 v117, -v2, v8, v7
	v_fmac_f32_e32 v8, v117, v6
	v_fma_f32 v2, -v2, v8, v7
	v_div_fmas_f32 v2, v2, v6, v8
	v_div_fixup_f32 v2, v2, v4, 1.0
                                        ; implicit-def: $vgpr4
	v_mul_f32_e32 v7, v1, v2
	v_xor_b32_e32 v6, 0x80000000, v2
                                        ; implicit-def: $vgpr2
	v_xor_b32_e32 v1, 0x80000000, v7
.LBB53_15:
	s_andn2_saveexec_b32 s5, s5
	s_cbranch_execz .LBB53_17
; %bb.16:
	v_div_scale_f32 v1, null, v2, v2, v4
	v_div_scale_f32 v8, vcc_lo, v4, v2, v4
	v_rcp_f32_e32 v6, v1
	v_fma_f32 v7, -v1, v6, 1.0
	v_fmac_f32_e32 v6, v7, v6
	v_mul_f32_e32 v7, v8, v6
	v_fma_f32 v117, -v1, v7, v8
	v_fmac_f32_e32 v7, v117, v6
	v_fma_f32 v1, -v1, v7, v8
	v_div_fmas_f32 v1, v1, v6, v7
	v_div_fixup_f32 v6, v1, v2, v4
	v_fmac_f32_e32 v2, v4, v6
	v_div_scale_f32 v1, null, v2, v2, 1.0
	v_div_scale_f32 v8, vcc_lo, 1.0, v2, 1.0
	v_rcp_f32_e32 v4, v1
	v_fma_f32 v7, -v1, v4, 1.0
	v_fmac_f32_e32 v4, v7, v4
	v_mul_f32_e32 v7, v8, v4
	v_fma_f32 v117, -v1, v7, v8
	v_fmac_f32_e32 v7, v117, v4
	v_fma_f32 v1, -v1, v7, v8
	v_div_fmas_f32 v1, v1, v4, v7
	v_div_fixup_f32 v7, v1, v2, 1.0
	v_xor_b32_e32 v1, 0x80000000, v7
	v_mul_f32_e64 v6, v6, -v7
.LBB53_17:
	s_or_b32 exec_lo, exec_lo, s5
	buffer_store_dword v7, v5, s[0:3], 0 offen
	buffer_store_dword v6, v5, s[0:3], 0 offen offset:4
	s_clause 0x1
	buffer_load_dword v8, off, s[0:3], 0 offset:12
	buffer_load_dword v7, off, s[0:3], 0 offset:8
	v_xor_b32_e32 v2, 0x80000000, v6
	v_add_nc_u32_e32 v4, 0x1b0, v3
	s_waitcnt vmcnt(0)
	ds_write2_b64 v3, v[1:2], v[7:8] offset1:54
	s_waitcnt lgkmcnt(0)
	s_waitcnt_vscnt null, 0x0
	s_barrier
	buffer_gl0_inv
	s_and_saveexec_b32 s5, s4
	s_cbranch_execz .LBB53_19
; %bb.18:
	s_clause 0x1
	buffer_load_dword v8, v5, s[0:3], 0 offen offset:4
	buffer_load_dword v117, v5, s[0:3], 0 offen
	ds_read_b64 v[1:2], v4
	v_mov_b32_e32 v6, 0
	ds_read_b64 v[6:7], v6 offset:8
	s_waitcnt vmcnt(1) lgkmcnt(1)
	v_mul_f32_e32 v118, v1, v8
	v_mul_f32_e32 v8, v2, v8
	s_waitcnt vmcnt(0)
	v_fmac_f32_e32 v118, v2, v117
	v_fma_f32 v1, v1, v117, -v8
	v_add_f32_e32 v2, 0, v118
	v_add_f32_e32 v1, 0, v1
	s_waitcnt lgkmcnt(0)
	v_mul_f32_e32 v8, v2, v7
	v_mul_f32_e32 v7, v1, v7
	v_fma_f32 v1, v1, v6, -v8
	v_fmac_f32_e32 v7, v2, v6
	buffer_store_dword v1, off, s[0:3], 0 offset:8
	buffer_store_dword v7, off, s[0:3], 0 offset:12
.LBB53_19:
	s_or_b32 exec_lo, exec_lo, s5
	s_waitcnt_vscnt null, 0x0
	s_barrier
	buffer_gl0_inv
	s_clause 0x1
	buffer_load_dword v1, off, s[0:3], 0 offset:16
	buffer_load_dword v2, off, s[0:3], 0 offset:20
	s_mov_b32 s5, exec_lo
	s_waitcnt vmcnt(0)
	ds_write_b64 v4, v[1:2]
	s_waitcnt lgkmcnt(0)
	s_barrier
	buffer_gl0_inv
	v_cmpx_gt_u32_e32 2, v0
	s_cbranch_execz .LBB53_23
; %bb.20:
	s_clause 0x1
	buffer_load_dword v6, v5, s[0:3], 0 offen offset:4
	buffer_load_dword v5, v5, s[0:3], 0 offen
	ds_read_b64 v[1:2], v4
	s_waitcnt vmcnt(1) lgkmcnt(0)
	v_mul_f32_e32 v7, v2, v6
	v_mul_f32_e32 v6, v1, v6
	s_waitcnt vmcnt(0)
	v_fma_f32 v1, v1, v5, -v7
	v_fmac_f32_e32 v6, v2, v5
	v_add_f32_e32 v2, 0, v1
	v_add_f32_e32 v1, 0, v6
	s_and_saveexec_b32 s8, s4
	s_cbranch_execz .LBB53_22
; %bb.21:
	s_clause 0x1
	buffer_load_dword v7, off, s[0:3], 0 offset:12
	buffer_load_dword v8, off, s[0:3], 0 offset:8
	v_mov_b32_e32 v5, 0
	ds_read_b64 v[5:6], v5 offset:440
	s_waitcnt vmcnt(1) lgkmcnt(0)
	v_mul_f32_e32 v117, v5, v7
	v_mul_f32_e32 v7, v6, v7
	s_waitcnt vmcnt(0)
	v_fmac_f32_e32 v117, v6, v8
	v_fma_f32 v5, v5, v8, -v7
	v_add_f32_e32 v1, v1, v117
	v_add_f32_e32 v2, v2, v5
.LBB53_22:
	s_or_b32 exec_lo, exec_lo, s8
	v_mov_b32_e32 v5, 0
	ds_read_b64 v[5:6], v5 offset:16
	s_waitcnt lgkmcnt(0)
	v_mul_f32_e32 v7, v1, v6
	v_mul_f32_e32 v6, v2, v6
	v_fma_f32 v2, v2, v5, -v7
	v_fmac_f32_e32 v6, v1, v5
	buffer_store_dword v2, off, s[0:3], 0 offset:16
	buffer_store_dword v6, off, s[0:3], 0 offset:20
.LBB53_23:
	s_or_b32 exec_lo, exec_lo, s5
	s_waitcnt_vscnt null, 0x0
	s_barrier
	buffer_gl0_inv
	s_clause 0x1
	buffer_load_dword v5, off, s[0:3], 0 offset:24
	buffer_load_dword v6, off, s[0:3], 0 offset:28
	v_add_nc_u32_e32 v1, -1, v0
	s_mov_b32 s4, exec_lo
	s_waitcnt vmcnt(0)
	ds_write_b64 v4, v[5:6]
	s_waitcnt lgkmcnt(0)
	s_barrier
	buffer_gl0_inv
	v_cmpx_gt_u32_e32 3, v0
	s_cbranch_execz .LBB53_27
; %bb.24:
	v_add_nc_u32_e32 v5, -1, v0
	v_add_nc_u32_e32 v6, 0x1b0, v3
	v_mov_b32_e32 v7, v3
	v_mov_b32_e32 v2, 0
	;; [unrolled: 1-line block ×3, first 2 shown]
	s_mov_b32 s5, 0
	.p2align	6
.LBB53_25:                              ; =>This Inner Loop Header: Depth=1
	s_clause 0x1
	buffer_load_dword v119, v7, s[0:3], 0 offen offset:4
	buffer_load_dword v120, v7, s[0:3], 0 offen
	ds_read_b64 v[117:118], v6
	v_add_nc_u32_e32 v5, 1, v5
	v_add_nc_u32_e32 v6, 8, v6
	;; [unrolled: 1-line block ×3, first 2 shown]
	v_cmp_lt_u32_e32 vcc_lo, 1, v5
	s_or_b32 s5, vcc_lo, s5
	s_waitcnt vmcnt(1) lgkmcnt(0)
	v_mul_f32_e32 v121, v118, v119
	v_mul_f32_e32 v119, v117, v119
	s_waitcnt vmcnt(0)
	v_fma_f32 v117, v117, v120, -v121
	v_fmac_f32_e32 v119, v118, v120
	v_add_f32_e32 v8, v8, v117
	v_add_f32_e32 v2, v2, v119
	s_andn2_b32 exec_lo, exec_lo, s5
	s_cbranch_execnz .LBB53_25
; %bb.26:
	s_or_b32 exec_lo, exec_lo, s5
	v_mov_b32_e32 v5, 0
	ds_read_b64 v[5:6], v5 offset:24
	s_waitcnt lgkmcnt(0)
	v_mul_f32_e32 v7, v2, v6
	v_mul_f32_e32 v6, v8, v6
	v_fma_f32 v7, v8, v5, -v7
	v_fmac_f32_e32 v6, v2, v5
	buffer_store_dword v7, off, s[0:3], 0 offset:24
	buffer_store_dword v6, off, s[0:3], 0 offset:28
.LBB53_27:
	s_or_b32 exec_lo, exec_lo, s4
	s_waitcnt_vscnt null, 0x0
	s_barrier
	buffer_gl0_inv
	s_clause 0x1
	buffer_load_dword v5, off, s[0:3], 0 offset:32
	buffer_load_dword v6, off, s[0:3], 0 offset:36
	s_mov_b32 s4, exec_lo
	s_waitcnt vmcnt(0)
	ds_write_b64 v4, v[5:6]
	s_waitcnt lgkmcnt(0)
	s_barrier
	buffer_gl0_inv
	v_cmpx_gt_u32_e32 4, v0
	s_cbranch_execz .LBB53_31
; %bb.28:
	v_add_nc_u32_e32 v5, -1, v0
	v_add_nc_u32_e32 v6, 0x1b0, v3
	v_mov_b32_e32 v7, v3
	v_mov_b32_e32 v2, 0
	v_mov_b32_e32 v8, 0
	s_mov_b32 s5, 0
	.p2align	6
.LBB53_29:                              ; =>This Inner Loop Header: Depth=1
	s_clause 0x1
	buffer_load_dword v119, v7, s[0:3], 0 offen offset:4
	buffer_load_dword v120, v7, s[0:3], 0 offen
	ds_read_b64 v[117:118], v6
	v_add_nc_u32_e32 v5, 1, v5
	v_add_nc_u32_e32 v6, 8, v6
	;; [unrolled: 1-line block ×3, first 2 shown]
	v_cmp_lt_u32_e32 vcc_lo, 2, v5
	s_or_b32 s5, vcc_lo, s5
	s_waitcnt vmcnt(1) lgkmcnt(0)
	v_mul_f32_e32 v121, v118, v119
	v_mul_f32_e32 v119, v117, v119
	s_waitcnt vmcnt(0)
	v_fma_f32 v117, v117, v120, -v121
	v_fmac_f32_e32 v119, v118, v120
	v_add_f32_e32 v8, v8, v117
	v_add_f32_e32 v2, v2, v119
	s_andn2_b32 exec_lo, exec_lo, s5
	s_cbranch_execnz .LBB53_29
; %bb.30:
	s_or_b32 exec_lo, exec_lo, s5
	v_mov_b32_e32 v5, 0
	ds_read_b64 v[5:6], v5 offset:32
	s_waitcnt lgkmcnt(0)
	v_mul_f32_e32 v7, v2, v6
	v_mul_f32_e32 v6, v8, v6
	v_fma_f32 v7, v8, v5, -v7
	v_fmac_f32_e32 v6, v2, v5
	buffer_store_dword v7, off, s[0:3], 0 offset:32
	buffer_store_dword v6, off, s[0:3], 0 offset:36
.LBB53_31:
	s_or_b32 exec_lo, exec_lo, s4
	s_waitcnt_vscnt null, 0x0
	s_barrier
	buffer_gl0_inv
	s_clause 0x1
	buffer_load_dword v5, off, s[0:3], 0 offset:40
	buffer_load_dword v6, off, s[0:3], 0 offset:44
	s_mov_b32 s4, exec_lo
	s_waitcnt vmcnt(0)
	ds_write_b64 v4, v[5:6]
	s_waitcnt lgkmcnt(0)
	s_barrier
	buffer_gl0_inv
	v_cmpx_gt_u32_e32 5, v0
	s_cbranch_execz .LBB53_35
; %bb.32:
	v_add_nc_u32_e32 v5, -1, v0
	v_add_nc_u32_e32 v6, 0x1b0, v3
	v_mov_b32_e32 v7, v3
	v_mov_b32_e32 v2, 0
	;; [unrolled: 1-line block ×3, first 2 shown]
	s_mov_b32 s5, 0
	.p2align	6
.LBB53_33:                              ; =>This Inner Loop Header: Depth=1
	s_clause 0x1
	buffer_load_dword v119, v7, s[0:3], 0 offen offset:4
	buffer_load_dword v120, v7, s[0:3], 0 offen
	ds_read_b64 v[117:118], v6
	v_add_nc_u32_e32 v5, 1, v5
	v_add_nc_u32_e32 v6, 8, v6
	;; [unrolled: 1-line block ×3, first 2 shown]
	v_cmp_lt_u32_e32 vcc_lo, 3, v5
	s_or_b32 s5, vcc_lo, s5
	s_waitcnt vmcnt(1) lgkmcnt(0)
	v_mul_f32_e32 v121, v118, v119
	v_mul_f32_e32 v119, v117, v119
	s_waitcnt vmcnt(0)
	v_fma_f32 v117, v117, v120, -v121
	v_fmac_f32_e32 v119, v118, v120
	v_add_f32_e32 v8, v8, v117
	v_add_f32_e32 v2, v2, v119
	s_andn2_b32 exec_lo, exec_lo, s5
	s_cbranch_execnz .LBB53_33
; %bb.34:
	s_or_b32 exec_lo, exec_lo, s5
	v_mov_b32_e32 v5, 0
	ds_read_b64 v[5:6], v5 offset:40
	s_waitcnt lgkmcnt(0)
	v_mul_f32_e32 v7, v2, v6
	v_mul_f32_e32 v6, v8, v6
	v_fma_f32 v7, v8, v5, -v7
	v_fmac_f32_e32 v6, v2, v5
	buffer_store_dword v7, off, s[0:3], 0 offset:40
	buffer_store_dword v6, off, s[0:3], 0 offset:44
.LBB53_35:
	s_or_b32 exec_lo, exec_lo, s4
	s_waitcnt_vscnt null, 0x0
	s_barrier
	buffer_gl0_inv
	s_clause 0x1
	buffer_load_dword v5, off, s[0:3], 0 offset:48
	buffer_load_dword v6, off, s[0:3], 0 offset:52
	s_mov_b32 s4, exec_lo
	s_waitcnt vmcnt(0)
	ds_write_b64 v4, v[5:6]
	s_waitcnt lgkmcnt(0)
	s_barrier
	buffer_gl0_inv
	v_cmpx_gt_u32_e32 6, v0
	s_cbranch_execz .LBB53_39
; %bb.36:
	v_add_nc_u32_e32 v5, -1, v0
	v_add_nc_u32_e32 v6, 0x1b0, v3
	v_mov_b32_e32 v7, v3
	v_mov_b32_e32 v2, 0
	;; [unrolled: 1-line block ×3, first 2 shown]
	s_mov_b32 s5, 0
	.p2align	6
.LBB53_37:                              ; =>This Inner Loop Header: Depth=1
	s_clause 0x1
	buffer_load_dword v119, v7, s[0:3], 0 offen offset:4
	buffer_load_dword v120, v7, s[0:3], 0 offen
	ds_read_b64 v[117:118], v6
	v_add_nc_u32_e32 v5, 1, v5
	v_add_nc_u32_e32 v6, 8, v6
	v_add_nc_u32_e32 v7, 8, v7
	v_cmp_lt_u32_e32 vcc_lo, 4, v5
	s_or_b32 s5, vcc_lo, s5
	s_waitcnt vmcnt(1) lgkmcnt(0)
	v_mul_f32_e32 v121, v118, v119
	v_mul_f32_e32 v119, v117, v119
	s_waitcnt vmcnt(0)
	v_fma_f32 v117, v117, v120, -v121
	v_fmac_f32_e32 v119, v118, v120
	v_add_f32_e32 v8, v8, v117
	v_add_f32_e32 v2, v2, v119
	s_andn2_b32 exec_lo, exec_lo, s5
	s_cbranch_execnz .LBB53_37
; %bb.38:
	s_or_b32 exec_lo, exec_lo, s5
	v_mov_b32_e32 v5, 0
	ds_read_b64 v[5:6], v5 offset:48
	s_waitcnt lgkmcnt(0)
	v_mul_f32_e32 v7, v2, v6
	v_mul_f32_e32 v6, v8, v6
	v_fma_f32 v7, v8, v5, -v7
	v_fmac_f32_e32 v6, v2, v5
	buffer_store_dword v7, off, s[0:3], 0 offset:48
	buffer_store_dword v6, off, s[0:3], 0 offset:52
.LBB53_39:
	s_or_b32 exec_lo, exec_lo, s4
	s_waitcnt_vscnt null, 0x0
	s_barrier
	buffer_gl0_inv
	s_clause 0x1
	buffer_load_dword v5, off, s[0:3], 0 offset:56
	buffer_load_dword v6, off, s[0:3], 0 offset:60
	s_mov_b32 s4, exec_lo
	s_waitcnt vmcnt(0)
	ds_write_b64 v4, v[5:6]
	s_waitcnt lgkmcnt(0)
	s_barrier
	buffer_gl0_inv
	v_cmpx_gt_u32_e32 7, v0
	s_cbranch_execz .LBB53_43
; %bb.40:
	v_add_nc_u32_e32 v5, -1, v0
	v_add_nc_u32_e32 v6, 0x1b0, v3
	v_mov_b32_e32 v7, v3
	v_mov_b32_e32 v2, 0
	;; [unrolled: 1-line block ×3, first 2 shown]
	s_mov_b32 s5, 0
	.p2align	6
.LBB53_41:                              ; =>This Inner Loop Header: Depth=1
	s_clause 0x1
	buffer_load_dword v119, v7, s[0:3], 0 offen offset:4
	buffer_load_dword v120, v7, s[0:3], 0 offen
	ds_read_b64 v[117:118], v6
	v_add_nc_u32_e32 v5, 1, v5
	v_add_nc_u32_e32 v6, 8, v6
	;; [unrolled: 1-line block ×3, first 2 shown]
	v_cmp_lt_u32_e32 vcc_lo, 5, v5
	s_or_b32 s5, vcc_lo, s5
	s_waitcnt vmcnt(1) lgkmcnt(0)
	v_mul_f32_e32 v121, v118, v119
	v_mul_f32_e32 v119, v117, v119
	s_waitcnt vmcnt(0)
	v_fma_f32 v117, v117, v120, -v121
	v_fmac_f32_e32 v119, v118, v120
	v_add_f32_e32 v8, v8, v117
	v_add_f32_e32 v2, v2, v119
	s_andn2_b32 exec_lo, exec_lo, s5
	s_cbranch_execnz .LBB53_41
; %bb.42:
	s_or_b32 exec_lo, exec_lo, s5
	v_mov_b32_e32 v5, 0
	ds_read_b64 v[5:6], v5 offset:56
	s_waitcnt lgkmcnt(0)
	v_mul_f32_e32 v7, v2, v6
	v_mul_f32_e32 v6, v8, v6
	v_fma_f32 v7, v8, v5, -v7
	v_fmac_f32_e32 v6, v2, v5
	buffer_store_dword v7, off, s[0:3], 0 offset:56
	buffer_store_dword v6, off, s[0:3], 0 offset:60
.LBB53_43:
	s_or_b32 exec_lo, exec_lo, s4
	s_waitcnt_vscnt null, 0x0
	s_barrier
	buffer_gl0_inv
	s_clause 0x1
	buffer_load_dword v5, off, s[0:3], 0 offset:64
	buffer_load_dword v6, off, s[0:3], 0 offset:68
	s_mov_b32 s4, exec_lo
	s_waitcnt vmcnt(0)
	ds_write_b64 v4, v[5:6]
	s_waitcnt lgkmcnt(0)
	s_barrier
	buffer_gl0_inv
	v_cmpx_gt_u32_e32 8, v0
	s_cbranch_execz .LBB53_47
; %bb.44:
	v_add_nc_u32_e32 v5, -1, v0
	v_add_nc_u32_e32 v6, 0x1b0, v3
	v_mov_b32_e32 v7, v3
	v_mov_b32_e32 v2, 0
	;; [unrolled: 1-line block ×3, first 2 shown]
	s_mov_b32 s5, 0
	.p2align	6
.LBB53_45:                              ; =>This Inner Loop Header: Depth=1
	s_clause 0x1
	buffer_load_dword v119, v7, s[0:3], 0 offen offset:4
	buffer_load_dword v120, v7, s[0:3], 0 offen
	ds_read_b64 v[117:118], v6
	v_add_nc_u32_e32 v5, 1, v5
	v_add_nc_u32_e32 v6, 8, v6
	;; [unrolled: 1-line block ×3, first 2 shown]
	v_cmp_lt_u32_e32 vcc_lo, 6, v5
	s_or_b32 s5, vcc_lo, s5
	s_waitcnt vmcnt(1) lgkmcnt(0)
	v_mul_f32_e32 v121, v118, v119
	v_mul_f32_e32 v119, v117, v119
	s_waitcnt vmcnt(0)
	v_fma_f32 v117, v117, v120, -v121
	v_fmac_f32_e32 v119, v118, v120
	v_add_f32_e32 v8, v8, v117
	v_add_f32_e32 v2, v2, v119
	s_andn2_b32 exec_lo, exec_lo, s5
	s_cbranch_execnz .LBB53_45
; %bb.46:
	s_or_b32 exec_lo, exec_lo, s5
	v_mov_b32_e32 v5, 0
	ds_read_b64 v[5:6], v5 offset:64
	s_waitcnt lgkmcnt(0)
	v_mul_f32_e32 v7, v2, v6
	v_mul_f32_e32 v6, v8, v6
	v_fma_f32 v7, v8, v5, -v7
	v_fmac_f32_e32 v6, v2, v5
	buffer_store_dword v7, off, s[0:3], 0 offset:64
	buffer_store_dword v6, off, s[0:3], 0 offset:68
.LBB53_47:
	s_or_b32 exec_lo, exec_lo, s4
	s_waitcnt_vscnt null, 0x0
	s_barrier
	buffer_gl0_inv
	s_clause 0x1
	buffer_load_dword v5, off, s[0:3], 0 offset:72
	buffer_load_dword v6, off, s[0:3], 0 offset:76
	s_mov_b32 s4, exec_lo
	s_waitcnt vmcnt(0)
	ds_write_b64 v4, v[5:6]
	s_waitcnt lgkmcnt(0)
	s_barrier
	buffer_gl0_inv
	v_cmpx_gt_u32_e32 9, v0
	s_cbranch_execz .LBB53_51
; %bb.48:
	v_add_nc_u32_e32 v5, -1, v0
	v_add_nc_u32_e32 v6, 0x1b0, v3
	v_mov_b32_e32 v7, v3
	v_mov_b32_e32 v2, 0
	;; [unrolled: 1-line block ×3, first 2 shown]
	s_mov_b32 s5, 0
	.p2align	6
.LBB53_49:                              ; =>This Inner Loop Header: Depth=1
	s_clause 0x1
	buffer_load_dword v119, v7, s[0:3], 0 offen offset:4
	buffer_load_dword v120, v7, s[0:3], 0 offen
	ds_read_b64 v[117:118], v6
	v_add_nc_u32_e32 v5, 1, v5
	v_add_nc_u32_e32 v6, 8, v6
	;; [unrolled: 1-line block ×3, first 2 shown]
	v_cmp_lt_u32_e32 vcc_lo, 7, v5
	s_or_b32 s5, vcc_lo, s5
	s_waitcnt vmcnt(1) lgkmcnt(0)
	v_mul_f32_e32 v121, v118, v119
	v_mul_f32_e32 v119, v117, v119
	s_waitcnt vmcnt(0)
	v_fma_f32 v117, v117, v120, -v121
	v_fmac_f32_e32 v119, v118, v120
	v_add_f32_e32 v8, v8, v117
	v_add_f32_e32 v2, v2, v119
	s_andn2_b32 exec_lo, exec_lo, s5
	s_cbranch_execnz .LBB53_49
; %bb.50:
	s_or_b32 exec_lo, exec_lo, s5
	v_mov_b32_e32 v5, 0
	ds_read_b64 v[5:6], v5 offset:72
	s_waitcnt lgkmcnt(0)
	v_mul_f32_e32 v7, v2, v6
	v_mul_f32_e32 v6, v8, v6
	v_fma_f32 v7, v8, v5, -v7
	v_fmac_f32_e32 v6, v2, v5
	buffer_store_dword v7, off, s[0:3], 0 offset:72
	buffer_store_dword v6, off, s[0:3], 0 offset:76
.LBB53_51:
	s_or_b32 exec_lo, exec_lo, s4
	s_waitcnt_vscnt null, 0x0
	s_barrier
	buffer_gl0_inv
	s_clause 0x1
	buffer_load_dword v5, off, s[0:3], 0 offset:80
	buffer_load_dword v6, off, s[0:3], 0 offset:84
	s_mov_b32 s4, exec_lo
	s_waitcnt vmcnt(0)
	ds_write_b64 v4, v[5:6]
	s_waitcnt lgkmcnt(0)
	s_barrier
	buffer_gl0_inv
	v_cmpx_gt_u32_e32 10, v0
	s_cbranch_execz .LBB53_55
; %bb.52:
	v_add_nc_u32_e32 v5, -1, v0
	v_add_nc_u32_e32 v6, 0x1b0, v3
	v_mov_b32_e32 v7, v3
	v_mov_b32_e32 v2, 0
	;; [unrolled: 1-line block ×3, first 2 shown]
	s_mov_b32 s5, 0
	.p2align	6
.LBB53_53:                              ; =>This Inner Loop Header: Depth=1
	s_clause 0x1
	buffer_load_dword v119, v7, s[0:3], 0 offen offset:4
	buffer_load_dword v120, v7, s[0:3], 0 offen
	ds_read_b64 v[117:118], v6
	v_add_nc_u32_e32 v5, 1, v5
	v_add_nc_u32_e32 v6, 8, v6
	;; [unrolled: 1-line block ×3, first 2 shown]
	v_cmp_lt_u32_e32 vcc_lo, 8, v5
	s_or_b32 s5, vcc_lo, s5
	s_waitcnt vmcnt(1) lgkmcnt(0)
	v_mul_f32_e32 v121, v118, v119
	v_mul_f32_e32 v119, v117, v119
	s_waitcnt vmcnt(0)
	v_fma_f32 v117, v117, v120, -v121
	v_fmac_f32_e32 v119, v118, v120
	v_add_f32_e32 v8, v8, v117
	v_add_f32_e32 v2, v2, v119
	s_andn2_b32 exec_lo, exec_lo, s5
	s_cbranch_execnz .LBB53_53
; %bb.54:
	s_or_b32 exec_lo, exec_lo, s5
	v_mov_b32_e32 v5, 0
	ds_read_b64 v[5:6], v5 offset:80
	s_waitcnt lgkmcnt(0)
	v_mul_f32_e32 v7, v2, v6
	v_mul_f32_e32 v6, v8, v6
	v_fma_f32 v7, v8, v5, -v7
	v_fmac_f32_e32 v6, v2, v5
	buffer_store_dword v7, off, s[0:3], 0 offset:80
	buffer_store_dword v6, off, s[0:3], 0 offset:84
.LBB53_55:
	s_or_b32 exec_lo, exec_lo, s4
	s_waitcnt_vscnt null, 0x0
	s_barrier
	buffer_gl0_inv
	s_clause 0x1
	buffer_load_dword v5, off, s[0:3], 0 offset:88
	buffer_load_dword v6, off, s[0:3], 0 offset:92
	s_mov_b32 s4, exec_lo
	s_waitcnt vmcnt(0)
	ds_write_b64 v4, v[5:6]
	s_waitcnt lgkmcnt(0)
	s_barrier
	buffer_gl0_inv
	v_cmpx_gt_u32_e32 11, v0
	s_cbranch_execz .LBB53_59
; %bb.56:
	v_add_nc_u32_e32 v5, -1, v0
	v_add_nc_u32_e32 v6, 0x1b0, v3
	v_mov_b32_e32 v7, v3
	v_mov_b32_e32 v2, 0
	;; [unrolled: 1-line block ×3, first 2 shown]
	s_mov_b32 s5, 0
	.p2align	6
.LBB53_57:                              ; =>This Inner Loop Header: Depth=1
	s_clause 0x1
	buffer_load_dword v119, v7, s[0:3], 0 offen offset:4
	buffer_load_dword v120, v7, s[0:3], 0 offen
	ds_read_b64 v[117:118], v6
	v_add_nc_u32_e32 v5, 1, v5
	v_add_nc_u32_e32 v6, 8, v6
	;; [unrolled: 1-line block ×3, first 2 shown]
	v_cmp_lt_u32_e32 vcc_lo, 9, v5
	s_or_b32 s5, vcc_lo, s5
	s_waitcnt vmcnt(1) lgkmcnt(0)
	v_mul_f32_e32 v121, v118, v119
	v_mul_f32_e32 v119, v117, v119
	s_waitcnt vmcnt(0)
	v_fma_f32 v117, v117, v120, -v121
	v_fmac_f32_e32 v119, v118, v120
	v_add_f32_e32 v8, v8, v117
	v_add_f32_e32 v2, v2, v119
	s_andn2_b32 exec_lo, exec_lo, s5
	s_cbranch_execnz .LBB53_57
; %bb.58:
	s_or_b32 exec_lo, exec_lo, s5
	v_mov_b32_e32 v5, 0
	ds_read_b64 v[5:6], v5 offset:88
	s_waitcnt lgkmcnt(0)
	v_mul_f32_e32 v7, v2, v6
	v_mul_f32_e32 v6, v8, v6
	v_fma_f32 v7, v8, v5, -v7
	v_fmac_f32_e32 v6, v2, v5
	buffer_store_dword v7, off, s[0:3], 0 offset:88
	buffer_store_dword v6, off, s[0:3], 0 offset:92
.LBB53_59:
	s_or_b32 exec_lo, exec_lo, s4
	s_waitcnt_vscnt null, 0x0
	s_barrier
	buffer_gl0_inv
	s_clause 0x1
	buffer_load_dword v5, off, s[0:3], 0 offset:96
	buffer_load_dword v6, off, s[0:3], 0 offset:100
	s_mov_b32 s4, exec_lo
	s_waitcnt vmcnt(0)
	ds_write_b64 v4, v[5:6]
	s_waitcnt lgkmcnt(0)
	s_barrier
	buffer_gl0_inv
	v_cmpx_gt_u32_e32 12, v0
	s_cbranch_execz .LBB53_63
; %bb.60:
	v_add_nc_u32_e32 v5, -1, v0
	v_add_nc_u32_e32 v6, 0x1b0, v3
	v_mov_b32_e32 v7, v3
	v_mov_b32_e32 v2, 0
	v_mov_b32_e32 v8, 0
	s_mov_b32 s5, 0
	.p2align	6
.LBB53_61:                              ; =>This Inner Loop Header: Depth=1
	s_clause 0x1
	buffer_load_dword v119, v7, s[0:3], 0 offen offset:4
	buffer_load_dword v120, v7, s[0:3], 0 offen
	ds_read_b64 v[117:118], v6
	v_add_nc_u32_e32 v5, 1, v5
	v_add_nc_u32_e32 v6, 8, v6
	;; [unrolled: 1-line block ×3, first 2 shown]
	v_cmp_lt_u32_e32 vcc_lo, 10, v5
	s_or_b32 s5, vcc_lo, s5
	s_waitcnt vmcnt(1) lgkmcnt(0)
	v_mul_f32_e32 v121, v118, v119
	v_mul_f32_e32 v119, v117, v119
	s_waitcnt vmcnt(0)
	v_fma_f32 v117, v117, v120, -v121
	v_fmac_f32_e32 v119, v118, v120
	v_add_f32_e32 v8, v8, v117
	v_add_f32_e32 v2, v2, v119
	s_andn2_b32 exec_lo, exec_lo, s5
	s_cbranch_execnz .LBB53_61
; %bb.62:
	s_or_b32 exec_lo, exec_lo, s5
	v_mov_b32_e32 v5, 0
	ds_read_b64 v[5:6], v5 offset:96
	s_waitcnt lgkmcnt(0)
	v_mul_f32_e32 v7, v2, v6
	v_mul_f32_e32 v6, v8, v6
	v_fma_f32 v7, v8, v5, -v7
	v_fmac_f32_e32 v6, v2, v5
	buffer_store_dword v7, off, s[0:3], 0 offset:96
	buffer_store_dword v6, off, s[0:3], 0 offset:100
.LBB53_63:
	s_or_b32 exec_lo, exec_lo, s4
	s_waitcnt_vscnt null, 0x0
	s_barrier
	buffer_gl0_inv
	s_clause 0x1
	buffer_load_dword v5, off, s[0:3], 0 offset:104
	buffer_load_dword v6, off, s[0:3], 0 offset:108
	s_mov_b32 s4, exec_lo
	s_waitcnt vmcnt(0)
	ds_write_b64 v4, v[5:6]
	s_waitcnt lgkmcnt(0)
	s_barrier
	buffer_gl0_inv
	v_cmpx_gt_u32_e32 13, v0
	s_cbranch_execz .LBB53_67
; %bb.64:
	v_add_nc_u32_e32 v5, -1, v0
	v_add_nc_u32_e32 v6, 0x1b0, v3
	v_mov_b32_e32 v7, v3
	v_mov_b32_e32 v2, 0
	;; [unrolled: 1-line block ×3, first 2 shown]
	s_mov_b32 s5, 0
	.p2align	6
.LBB53_65:                              ; =>This Inner Loop Header: Depth=1
	s_clause 0x1
	buffer_load_dword v119, v7, s[0:3], 0 offen offset:4
	buffer_load_dword v120, v7, s[0:3], 0 offen
	ds_read_b64 v[117:118], v6
	v_add_nc_u32_e32 v5, 1, v5
	v_add_nc_u32_e32 v6, 8, v6
	v_add_nc_u32_e32 v7, 8, v7
	v_cmp_lt_u32_e32 vcc_lo, 11, v5
	s_or_b32 s5, vcc_lo, s5
	s_waitcnt vmcnt(1) lgkmcnt(0)
	v_mul_f32_e32 v121, v118, v119
	v_mul_f32_e32 v119, v117, v119
	s_waitcnt vmcnt(0)
	v_fma_f32 v117, v117, v120, -v121
	v_fmac_f32_e32 v119, v118, v120
	v_add_f32_e32 v8, v8, v117
	v_add_f32_e32 v2, v2, v119
	s_andn2_b32 exec_lo, exec_lo, s5
	s_cbranch_execnz .LBB53_65
; %bb.66:
	s_or_b32 exec_lo, exec_lo, s5
	v_mov_b32_e32 v5, 0
	ds_read_b64 v[5:6], v5 offset:104
	s_waitcnt lgkmcnt(0)
	v_mul_f32_e32 v7, v2, v6
	v_mul_f32_e32 v6, v8, v6
	v_fma_f32 v7, v8, v5, -v7
	v_fmac_f32_e32 v6, v2, v5
	buffer_store_dword v7, off, s[0:3], 0 offset:104
	buffer_store_dword v6, off, s[0:3], 0 offset:108
.LBB53_67:
	s_or_b32 exec_lo, exec_lo, s4
	s_waitcnt_vscnt null, 0x0
	s_barrier
	buffer_gl0_inv
	s_clause 0x1
	buffer_load_dword v5, off, s[0:3], 0 offset:112
	buffer_load_dword v6, off, s[0:3], 0 offset:116
	s_mov_b32 s4, exec_lo
	s_waitcnt vmcnt(0)
	ds_write_b64 v4, v[5:6]
	s_waitcnt lgkmcnt(0)
	s_barrier
	buffer_gl0_inv
	v_cmpx_gt_u32_e32 14, v0
	s_cbranch_execz .LBB53_71
; %bb.68:
	v_add_nc_u32_e32 v5, -1, v0
	v_add_nc_u32_e32 v6, 0x1b0, v3
	v_mov_b32_e32 v7, v3
	v_mov_b32_e32 v2, 0
	;; [unrolled: 1-line block ×3, first 2 shown]
	s_mov_b32 s5, 0
	.p2align	6
.LBB53_69:                              ; =>This Inner Loop Header: Depth=1
	s_clause 0x1
	buffer_load_dword v119, v7, s[0:3], 0 offen offset:4
	buffer_load_dword v120, v7, s[0:3], 0 offen
	ds_read_b64 v[117:118], v6
	v_add_nc_u32_e32 v5, 1, v5
	v_add_nc_u32_e32 v6, 8, v6
	;; [unrolled: 1-line block ×3, first 2 shown]
	v_cmp_lt_u32_e32 vcc_lo, 12, v5
	s_or_b32 s5, vcc_lo, s5
	s_waitcnt vmcnt(1) lgkmcnt(0)
	v_mul_f32_e32 v121, v118, v119
	v_mul_f32_e32 v119, v117, v119
	s_waitcnt vmcnt(0)
	v_fma_f32 v117, v117, v120, -v121
	v_fmac_f32_e32 v119, v118, v120
	v_add_f32_e32 v8, v8, v117
	v_add_f32_e32 v2, v2, v119
	s_andn2_b32 exec_lo, exec_lo, s5
	s_cbranch_execnz .LBB53_69
; %bb.70:
	s_or_b32 exec_lo, exec_lo, s5
	v_mov_b32_e32 v5, 0
	ds_read_b64 v[5:6], v5 offset:112
	s_waitcnt lgkmcnt(0)
	v_mul_f32_e32 v7, v2, v6
	v_mul_f32_e32 v6, v8, v6
	v_fma_f32 v7, v8, v5, -v7
	v_fmac_f32_e32 v6, v2, v5
	buffer_store_dword v7, off, s[0:3], 0 offset:112
	buffer_store_dword v6, off, s[0:3], 0 offset:116
.LBB53_71:
	s_or_b32 exec_lo, exec_lo, s4
	s_waitcnt_vscnt null, 0x0
	s_barrier
	buffer_gl0_inv
	s_clause 0x1
	buffer_load_dword v5, off, s[0:3], 0 offset:120
	buffer_load_dword v6, off, s[0:3], 0 offset:124
	s_mov_b32 s4, exec_lo
	s_waitcnt vmcnt(0)
	ds_write_b64 v4, v[5:6]
	s_waitcnt lgkmcnt(0)
	s_barrier
	buffer_gl0_inv
	v_cmpx_gt_u32_e32 15, v0
	s_cbranch_execz .LBB53_75
; %bb.72:
	v_add_nc_u32_e32 v5, -1, v0
	v_add_nc_u32_e32 v6, 0x1b0, v3
	v_mov_b32_e32 v7, v3
	v_mov_b32_e32 v2, 0
	v_mov_b32_e32 v8, 0
	s_mov_b32 s5, 0
	.p2align	6
.LBB53_73:                              ; =>This Inner Loop Header: Depth=1
	s_clause 0x1
	buffer_load_dword v119, v7, s[0:3], 0 offen offset:4
	buffer_load_dword v120, v7, s[0:3], 0 offen
	ds_read_b64 v[117:118], v6
	v_add_nc_u32_e32 v5, 1, v5
	v_add_nc_u32_e32 v6, 8, v6
	v_add_nc_u32_e32 v7, 8, v7
	v_cmp_lt_u32_e32 vcc_lo, 13, v5
	s_or_b32 s5, vcc_lo, s5
	s_waitcnt vmcnt(1) lgkmcnt(0)
	v_mul_f32_e32 v121, v118, v119
	v_mul_f32_e32 v119, v117, v119
	s_waitcnt vmcnt(0)
	v_fma_f32 v117, v117, v120, -v121
	v_fmac_f32_e32 v119, v118, v120
	v_add_f32_e32 v8, v8, v117
	v_add_f32_e32 v2, v2, v119
	s_andn2_b32 exec_lo, exec_lo, s5
	s_cbranch_execnz .LBB53_73
; %bb.74:
	s_or_b32 exec_lo, exec_lo, s5
	v_mov_b32_e32 v5, 0
	ds_read_b64 v[5:6], v5 offset:120
	s_waitcnt lgkmcnt(0)
	v_mul_f32_e32 v7, v2, v6
	v_mul_f32_e32 v6, v8, v6
	v_fma_f32 v7, v8, v5, -v7
	v_fmac_f32_e32 v6, v2, v5
	buffer_store_dword v7, off, s[0:3], 0 offset:120
	buffer_store_dword v6, off, s[0:3], 0 offset:124
.LBB53_75:
	s_or_b32 exec_lo, exec_lo, s4
	s_waitcnt_vscnt null, 0x0
	s_barrier
	buffer_gl0_inv
	s_clause 0x1
	buffer_load_dword v5, off, s[0:3], 0 offset:128
	buffer_load_dword v6, off, s[0:3], 0 offset:132
	s_mov_b32 s4, exec_lo
	s_waitcnt vmcnt(0)
	ds_write_b64 v4, v[5:6]
	s_waitcnt lgkmcnt(0)
	s_barrier
	buffer_gl0_inv
	v_cmpx_gt_u32_e32 16, v0
	s_cbranch_execz .LBB53_79
; %bb.76:
	v_add_nc_u32_e32 v5, -1, v0
	v_add_nc_u32_e32 v6, 0x1b0, v3
	v_mov_b32_e32 v7, v3
	v_mov_b32_e32 v2, 0
	;; [unrolled: 1-line block ×3, first 2 shown]
	s_mov_b32 s5, 0
	.p2align	6
.LBB53_77:                              ; =>This Inner Loop Header: Depth=1
	s_clause 0x1
	buffer_load_dword v119, v7, s[0:3], 0 offen offset:4
	buffer_load_dword v120, v7, s[0:3], 0 offen
	ds_read_b64 v[117:118], v6
	v_add_nc_u32_e32 v5, 1, v5
	v_add_nc_u32_e32 v6, 8, v6
	;; [unrolled: 1-line block ×3, first 2 shown]
	v_cmp_lt_u32_e32 vcc_lo, 14, v5
	s_or_b32 s5, vcc_lo, s5
	s_waitcnt vmcnt(1) lgkmcnt(0)
	v_mul_f32_e32 v121, v118, v119
	v_mul_f32_e32 v119, v117, v119
	s_waitcnt vmcnt(0)
	v_fma_f32 v117, v117, v120, -v121
	v_fmac_f32_e32 v119, v118, v120
	v_add_f32_e32 v8, v8, v117
	v_add_f32_e32 v2, v2, v119
	s_andn2_b32 exec_lo, exec_lo, s5
	s_cbranch_execnz .LBB53_77
; %bb.78:
	s_or_b32 exec_lo, exec_lo, s5
	v_mov_b32_e32 v5, 0
	ds_read_b64 v[5:6], v5 offset:128
	s_waitcnt lgkmcnt(0)
	v_mul_f32_e32 v7, v2, v6
	v_mul_f32_e32 v6, v8, v6
	v_fma_f32 v7, v8, v5, -v7
	v_fmac_f32_e32 v6, v2, v5
	buffer_store_dword v7, off, s[0:3], 0 offset:128
	buffer_store_dword v6, off, s[0:3], 0 offset:132
.LBB53_79:
	s_or_b32 exec_lo, exec_lo, s4
	s_waitcnt_vscnt null, 0x0
	s_barrier
	buffer_gl0_inv
	s_clause 0x1
	buffer_load_dword v5, off, s[0:3], 0 offset:136
	buffer_load_dword v6, off, s[0:3], 0 offset:140
	s_mov_b32 s4, exec_lo
	s_waitcnt vmcnt(0)
	ds_write_b64 v4, v[5:6]
	s_waitcnt lgkmcnt(0)
	s_barrier
	buffer_gl0_inv
	v_cmpx_gt_u32_e32 17, v0
	s_cbranch_execz .LBB53_83
; %bb.80:
	v_add_nc_u32_e32 v5, -1, v0
	v_add_nc_u32_e32 v6, 0x1b0, v3
	v_mov_b32_e32 v7, v3
	v_mov_b32_e32 v2, 0
	v_mov_b32_e32 v8, 0
	s_mov_b32 s5, 0
	.p2align	6
.LBB53_81:                              ; =>This Inner Loop Header: Depth=1
	s_clause 0x1
	buffer_load_dword v119, v7, s[0:3], 0 offen offset:4
	buffer_load_dword v120, v7, s[0:3], 0 offen
	ds_read_b64 v[117:118], v6
	v_add_nc_u32_e32 v5, 1, v5
	v_add_nc_u32_e32 v6, 8, v6
	;; [unrolled: 1-line block ×3, first 2 shown]
	v_cmp_lt_u32_e32 vcc_lo, 15, v5
	s_or_b32 s5, vcc_lo, s5
	s_waitcnt vmcnt(1) lgkmcnt(0)
	v_mul_f32_e32 v121, v118, v119
	v_mul_f32_e32 v119, v117, v119
	s_waitcnt vmcnt(0)
	v_fma_f32 v117, v117, v120, -v121
	v_fmac_f32_e32 v119, v118, v120
	v_add_f32_e32 v8, v8, v117
	v_add_f32_e32 v2, v2, v119
	s_andn2_b32 exec_lo, exec_lo, s5
	s_cbranch_execnz .LBB53_81
; %bb.82:
	s_or_b32 exec_lo, exec_lo, s5
	v_mov_b32_e32 v5, 0
	ds_read_b64 v[5:6], v5 offset:136
	s_waitcnt lgkmcnt(0)
	v_mul_f32_e32 v7, v2, v6
	v_mul_f32_e32 v6, v8, v6
	v_fma_f32 v7, v8, v5, -v7
	v_fmac_f32_e32 v6, v2, v5
	buffer_store_dword v7, off, s[0:3], 0 offset:136
	buffer_store_dword v6, off, s[0:3], 0 offset:140
.LBB53_83:
	s_or_b32 exec_lo, exec_lo, s4
	s_waitcnt_vscnt null, 0x0
	s_barrier
	buffer_gl0_inv
	s_clause 0x1
	buffer_load_dword v5, off, s[0:3], 0 offset:144
	buffer_load_dword v6, off, s[0:3], 0 offset:148
	s_mov_b32 s4, exec_lo
	s_waitcnt vmcnt(0)
	ds_write_b64 v4, v[5:6]
	s_waitcnt lgkmcnt(0)
	s_barrier
	buffer_gl0_inv
	v_cmpx_gt_u32_e32 18, v0
	s_cbranch_execz .LBB53_87
; %bb.84:
	v_add_nc_u32_e32 v5, -1, v0
	v_add_nc_u32_e32 v6, 0x1b0, v3
	v_mov_b32_e32 v7, v3
	v_mov_b32_e32 v2, 0
	;; [unrolled: 1-line block ×3, first 2 shown]
	s_mov_b32 s5, 0
	.p2align	6
.LBB53_85:                              ; =>This Inner Loop Header: Depth=1
	s_clause 0x1
	buffer_load_dword v119, v7, s[0:3], 0 offen offset:4
	buffer_load_dword v120, v7, s[0:3], 0 offen
	ds_read_b64 v[117:118], v6
	v_add_nc_u32_e32 v5, 1, v5
	v_add_nc_u32_e32 v6, 8, v6
	;; [unrolled: 1-line block ×3, first 2 shown]
	v_cmp_lt_u32_e32 vcc_lo, 16, v5
	s_or_b32 s5, vcc_lo, s5
	s_waitcnt vmcnt(1) lgkmcnt(0)
	v_mul_f32_e32 v121, v118, v119
	v_mul_f32_e32 v119, v117, v119
	s_waitcnt vmcnt(0)
	v_fma_f32 v117, v117, v120, -v121
	v_fmac_f32_e32 v119, v118, v120
	v_add_f32_e32 v8, v8, v117
	v_add_f32_e32 v2, v2, v119
	s_andn2_b32 exec_lo, exec_lo, s5
	s_cbranch_execnz .LBB53_85
; %bb.86:
	s_or_b32 exec_lo, exec_lo, s5
	v_mov_b32_e32 v5, 0
	ds_read_b64 v[5:6], v5 offset:144
	s_waitcnt lgkmcnt(0)
	v_mul_f32_e32 v7, v2, v6
	v_mul_f32_e32 v6, v8, v6
	v_fma_f32 v7, v8, v5, -v7
	v_fmac_f32_e32 v6, v2, v5
	buffer_store_dword v7, off, s[0:3], 0 offset:144
	buffer_store_dword v6, off, s[0:3], 0 offset:148
.LBB53_87:
	s_or_b32 exec_lo, exec_lo, s4
	s_waitcnt_vscnt null, 0x0
	s_barrier
	buffer_gl0_inv
	s_clause 0x1
	buffer_load_dword v5, off, s[0:3], 0 offset:152
	buffer_load_dword v6, off, s[0:3], 0 offset:156
	s_mov_b32 s4, exec_lo
	s_waitcnt vmcnt(0)
	ds_write_b64 v4, v[5:6]
	s_waitcnt lgkmcnt(0)
	s_barrier
	buffer_gl0_inv
	v_cmpx_gt_u32_e32 19, v0
	s_cbranch_execz .LBB53_91
; %bb.88:
	v_add_nc_u32_e32 v5, -1, v0
	v_add_nc_u32_e32 v6, 0x1b0, v3
	v_mov_b32_e32 v7, v3
	v_mov_b32_e32 v2, 0
	;; [unrolled: 1-line block ×3, first 2 shown]
	s_mov_b32 s5, 0
	.p2align	6
.LBB53_89:                              ; =>This Inner Loop Header: Depth=1
	s_clause 0x1
	buffer_load_dword v119, v7, s[0:3], 0 offen offset:4
	buffer_load_dword v120, v7, s[0:3], 0 offen
	ds_read_b64 v[117:118], v6
	v_add_nc_u32_e32 v5, 1, v5
	v_add_nc_u32_e32 v6, 8, v6
	;; [unrolled: 1-line block ×3, first 2 shown]
	v_cmp_lt_u32_e32 vcc_lo, 17, v5
	s_or_b32 s5, vcc_lo, s5
	s_waitcnt vmcnt(1) lgkmcnt(0)
	v_mul_f32_e32 v121, v118, v119
	v_mul_f32_e32 v119, v117, v119
	s_waitcnt vmcnt(0)
	v_fma_f32 v117, v117, v120, -v121
	v_fmac_f32_e32 v119, v118, v120
	v_add_f32_e32 v8, v8, v117
	v_add_f32_e32 v2, v2, v119
	s_andn2_b32 exec_lo, exec_lo, s5
	s_cbranch_execnz .LBB53_89
; %bb.90:
	s_or_b32 exec_lo, exec_lo, s5
	v_mov_b32_e32 v5, 0
	ds_read_b64 v[5:6], v5 offset:152
	s_waitcnt lgkmcnt(0)
	v_mul_f32_e32 v7, v2, v6
	v_mul_f32_e32 v6, v8, v6
	v_fma_f32 v7, v8, v5, -v7
	v_fmac_f32_e32 v6, v2, v5
	buffer_store_dword v7, off, s[0:3], 0 offset:152
	buffer_store_dword v6, off, s[0:3], 0 offset:156
.LBB53_91:
	s_or_b32 exec_lo, exec_lo, s4
	s_waitcnt_vscnt null, 0x0
	s_barrier
	buffer_gl0_inv
	s_clause 0x1
	buffer_load_dword v5, off, s[0:3], 0 offset:160
	buffer_load_dword v6, off, s[0:3], 0 offset:164
	s_mov_b32 s4, exec_lo
	s_waitcnt vmcnt(0)
	ds_write_b64 v4, v[5:6]
	s_waitcnt lgkmcnt(0)
	s_barrier
	buffer_gl0_inv
	v_cmpx_gt_u32_e32 20, v0
	s_cbranch_execz .LBB53_95
; %bb.92:
	v_add_nc_u32_e32 v5, -1, v0
	v_add_nc_u32_e32 v6, 0x1b0, v3
	v_mov_b32_e32 v7, v3
	v_mov_b32_e32 v2, 0
	;; [unrolled: 1-line block ×3, first 2 shown]
	s_mov_b32 s5, 0
	.p2align	6
.LBB53_93:                              ; =>This Inner Loop Header: Depth=1
	s_clause 0x1
	buffer_load_dword v119, v7, s[0:3], 0 offen offset:4
	buffer_load_dword v120, v7, s[0:3], 0 offen
	ds_read_b64 v[117:118], v6
	v_add_nc_u32_e32 v5, 1, v5
	v_add_nc_u32_e32 v6, 8, v6
	;; [unrolled: 1-line block ×3, first 2 shown]
	v_cmp_lt_u32_e32 vcc_lo, 18, v5
	s_or_b32 s5, vcc_lo, s5
	s_waitcnt vmcnt(1) lgkmcnt(0)
	v_mul_f32_e32 v121, v118, v119
	v_mul_f32_e32 v119, v117, v119
	s_waitcnt vmcnt(0)
	v_fma_f32 v117, v117, v120, -v121
	v_fmac_f32_e32 v119, v118, v120
	v_add_f32_e32 v8, v8, v117
	v_add_f32_e32 v2, v2, v119
	s_andn2_b32 exec_lo, exec_lo, s5
	s_cbranch_execnz .LBB53_93
; %bb.94:
	s_or_b32 exec_lo, exec_lo, s5
	v_mov_b32_e32 v5, 0
	ds_read_b64 v[5:6], v5 offset:160
	s_waitcnt lgkmcnt(0)
	v_mul_f32_e32 v7, v2, v6
	v_mul_f32_e32 v6, v8, v6
	v_fma_f32 v7, v8, v5, -v7
	v_fmac_f32_e32 v6, v2, v5
	buffer_store_dword v7, off, s[0:3], 0 offset:160
	buffer_store_dword v6, off, s[0:3], 0 offset:164
.LBB53_95:
	s_or_b32 exec_lo, exec_lo, s4
	s_waitcnt_vscnt null, 0x0
	s_barrier
	buffer_gl0_inv
	s_clause 0x1
	buffer_load_dword v5, off, s[0:3], 0 offset:168
	buffer_load_dword v6, off, s[0:3], 0 offset:172
	s_mov_b32 s4, exec_lo
	s_waitcnt vmcnt(0)
	ds_write_b64 v4, v[5:6]
	s_waitcnt lgkmcnt(0)
	s_barrier
	buffer_gl0_inv
	v_cmpx_gt_u32_e32 21, v0
	s_cbranch_execz .LBB53_99
; %bb.96:
	v_add_nc_u32_e32 v5, -1, v0
	v_add_nc_u32_e32 v6, 0x1b0, v3
	v_mov_b32_e32 v7, v3
	v_mov_b32_e32 v2, 0
	;; [unrolled: 1-line block ×3, first 2 shown]
	s_mov_b32 s5, 0
	.p2align	6
.LBB53_97:                              ; =>This Inner Loop Header: Depth=1
	s_clause 0x1
	buffer_load_dword v119, v7, s[0:3], 0 offen offset:4
	buffer_load_dword v120, v7, s[0:3], 0 offen
	ds_read_b64 v[117:118], v6
	v_add_nc_u32_e32 v5, 1, v5
	v_add_nc_u32_e32 v6, 8, v6
	;; [unrolled: 1-line block ×3, first 2 shown]
	v_cmp_lt_u32_e32 vcc_lo, 19, v5
	s_or_b32 s5, vcc_lo, s5
	s_waitcnt vmcnt(1) lgkmcnt(0)
	v_mul_f32_e32 v121, v118, v119
	v_mul_f32_e32 v119, v117, v119
	s_waitcnt vmcnt(0)
	v_fma_f32 v117, v117, v120, -v121
	v_fmac_f32_e32 v119, v118, v120
	v_add_f32_e32 v8, v8, v117
	v_add_f32_e32 v2, v2, v119
	s_andn2_b32 exec_lo, exec_lo, s5
	s_cbranch_execnz .LBB53_97
; %bb.98:
	s_or_b32 exec_lo, exec_lo, s5
	v_mov_b32_e32 v5, 0
	ds_read_b64 v[5:6], v5 offset:168
	s_waitcnt lgkmcnt(0)
	v_mul_f32_e32 v7, v2, v6
	v_mul_f32_e32 v6, v8, v6
	v_fma_f32 v7, v8, v5, -v7
	v_fmac_f32_e32 v6, v2, v5
	buffer_store_dword v7, off, s[0:3], 0 offset:168
	buffer_store_dword v6, off, s[0:3], 0 offset:172
.LBB53_99:
	s_or_b32 exec_lo, exec_lo, s4
	s_waitcnt_vscnt null, 0x0
	s_barrier
	buffer_gl0_inv
	s_clause 0x1
	buffer_load_dword v5, off, s[0:3], 0 offset:176
	buffer_load_dword v6, off, s[0:3], 0 offset:180
	s_mov_b32 s4, exec_lo
	s_waitcnt vmcnt(0)
	ds_write_b64 v4, v[5:6]
	s_waitcnt lgkmcnt(0)
	s_barrier
	buffer_gl0_inv
	v_cmpx_gt_u32_e32 22, v0
	s_cbranch_execz .LBB53_103
; %bb.100:
	v_add_nc_u32_e32 v5, -1, v0
	v_add_nc_u32_e32 v6, 0x1b0, v3
	v_mov_b32_e32 v7, v3
	v_mov_b32_e32 v2, 0
	;; [unrolled: 1-line block ×3, first 2 shown]
	s_mov_b32 s5, 0
	.p2align	6
.LBB53_101:                             ; =>This Inner Loop Header: Depth=1
	s_clause 0x1
	buffer_load_dword v119, v7, s[0:3], 0 offen offset:4
	buffer_load_dword v120, v7, s[0:3], 0 offen
	ds_read_b64 v[117:118], v6
	v_add_nc_u32_e32 v5, 1, v5
	v_add_nc_u32_e32 v6, 8, v6
	;; [unrolled: 1-line block ×3, first 2 shown]
	v_cmp_lt_u32_e32 vcc_lo, 20, v5
	s_or_b32 s5, vcc_lo, s5
	s_waitcnt vmcnt(1) lgkmcnt(0)
	v_mul_f32_e32 v121, v118, v119
	v_mul_f32_e32 v119, v117, v119
	s_waitcnt vmcnt(0)
	v_fma_f32 v117, v117, v120, -v121
	v_fmac_f32_e32 v119, v118, v120
	v_add_f32_e32 v8, v8, v117
	v_add_f32_e32 v2, v2, v119
	s_andn2_b32 exec_lo, exec_lo, s5
	s_cbranch_execnz .LBB53_101
; %bb.102:
	s_or_b32 exec_lo, exec_lo, s5
	v_mov_b32_e32 v5, 0
	ds_read_b64 v[5:6], v5 offset:176
	s_waitcnt lgkmcnt(0)
	v_mul_f32_e32 v7, v2, v6
	v_mul_f32_e32 v6, v8, v6
	v_fma_f32 v7, v8, v5, -v7
	v_fmac_f32_e32 v6, v2, v5
	buffer_store_dword v7, off, s[0:3], 0 offset:176
	buffer_store_dword v6, off, s[0:3], 0 offset:180
.LBB53_103:
	s_or_b32 exec_lo, exec_lo, s4
	s_waitcnt_vscnt null, 0x0
	s_barrier
	buffer_gl0_inv
	s_clause 0x1
	buffer_load_dword v5, off, s[0:3], 0 offset:184
	buffer_load_dword v6, off, s[0:3], 0 offset:188
	s_mov_b32 s4, exec_lo
	s_waitcnt vmcnt(0)
	ds_write_b64 v4, v[5:6]
	s_waitcnt lgkmcnt(0)
	s_barrier
	buffer_gl0_inv
	v_cmpx_gt_u32_e32 23, v0
	s_cbranch_execz .LBB53_107
; %bb.104:
	v_add_nc_u32_e32 v5, -1, v0
	v_add_nc_u32_e32 v6, 0x1b0, v3
	v_mov_b32_e32 v7, v3
	v_mov_b32_e32 v2, 0
	;; [unrolled: 1-line block ×3, first 2 shown]
	s_mov_b32 s5, 0
	.p2align	6
.LBB53_105:                             ; =>This Inner Loop Header: Depth=1
	s_clause 0x1
	buffer_load_dword v119, v7, s[0:3], 0 offen offset:4
	buffer_load_dword v120, v7, s[0:3], 0 offen
	ds_read_b64 v[117:118], v6
	v_add_nc_u32_e32 v5, 1, v5
	v_add_nc_u32_e32 v6, 8, v6
	;; [unrolled: 1-line block ×3, first 2 shown]
	v_cmp_lt_u32_e32 vcc_lo, 21, v5
	s_or_b32 s5, vcc_lo, s5
	s_waitcnt vmcnt(1) lgkmcnt(0)
	v_mul_f32_e32 v121, v118, v119
	v_mul_f32_e32 v119, v117, v119
	s_waitcnt vmcnt(0)
	v_fma_f32 v117, v117, v120, -v121
	v_fmac_f32_e32 v119, v118, v120
	v_add_f32_e32 v8, v8, v117
	v_add_f32_e32 v2, v2, v119
	s_andn2_b32 exec_lo, exec_lo, s5
	s_cbranch_execnz .LBB53_105
; %bb.106:
	s_or_b32 exec_lo, exec_lo, s5
	v_mov_b32_e32 v5, 0
	ds_read_b64 v[5:6], v5 offset:184
	s_waitcnt lgkmcnt(0)
	v_mul_f32_e32 v7, v2, v6
	v_mul_f32_e32 v6, v8, v6
	v_fma_f32 v7, v8, v5, -v7
	v_fmac_f32_e32 v6, v2, v5
	buffer_store_dword v7, off, s[0:3], 0 offset:184
	buffer_store_dword v6, off, s[0:3], 0 offset:188
.LBB53_107:
	s_or_b32 exec_lo, exec_lo, s4
	s_waitcnt_vscnt null, 0x0
	s_barrier
	buffer_gl0_inv
	s_clause 0x1
	buffer_load_dword v5, off, s[0:3], 0 offset:192
	buffer_load_dword v6, off, s[0:3], 0 offset:196
	s_mov_b32 s4, exec_lo
	s_waitcnt vmcnt(0)
	ds_write_b64 v4, v[5:6]
	s_waitcnt lgkmcnt(0)
	s_barrier
	buffer_gl0_inv
	v_cmpx_gt_u32_e32 24, v0
	s_cbranch_execz .LBB53_111
; %bb.108:
	v_add_nc_u32_e32 v5, -1, v0
	v_add_nc_u32_e32 v6, 0x1b0, v3
	v_mov_b32_e32 v7, v3
	v_mov_b32_e32 v2, 0
	;; [unrolled: 1-line block ×3, first 2 shown]
	s_mov_b32 s5, 0
	.p2align	6
.LBB53_109:                             ; =>This Inner Loop Header: Depth=1
	s_clause 0x1
	buffer_load_dword v119, v7, s[0:3], 0 offen offset:4
	buffer_load_dword v120, v7, s[0:3], 0 offen
	ds_read_b64 v[117:118], v6
	v_add_nc_u32_e32 v5, 1, v5
	v_add_nc_u32_e32 v6, 8, v6
	;; [unrolled: 1-line block ×3, first 2 shown]
	v_cmp_lt_u32_e32 vcc_lo, 22, v5
	s_or_b32 s5, vcc_lo, s5
	s_waitcnt vmcnt(1) lgkmcnt(0)
	v_mul_f32_e32 v121, v118, v119
	v_mul_f32_e32 v119, v117, v119
	s_waitcnt vmcnt(0)
	v_fma_f32 v117, v117, v120, -v121
	v_fmac_f32_e32 v119, v118, v120
	v_add_f32_e32 v8, v8, v117
	v_add_f32_e32 v2, v2, v119
	s_andn2_b32 exec_lo, exec_lo, s5
	s_cbranch_execnz .LBB53_109
; %bb.110:
	s_or_b32 exec_lo, exec_lo, s5
	v_mov_b32_e32 v5, 0
	ds_read_b64 v[5:6], v5 offset:192
	s_waitcnt lgkmcnt(0)
	v_mul_f32_e32 v7, v2, v6
	v_mul_f32_e32 v6, v8, v6
	v_fma_f32 v7, v8, v5, -v7
	v_fmac_f32_e32 v6, v2, v5
	buffer_store_dword v7, off, s[0:3], 0 offset:192
	buffer_store_dword v6, off, s[0:3], 0 offset:196
.LBB53_111:
	s_or_b32 exec_lo, exec_lo, s4
	s_waitcnt_vscnt null, 0x0
	s_barrier
	buffer_gl0_inv
	s_clause 0x1
	buffer_load_dword v5, off, s[0:3], 0 offset:200
	buffer_load_dword v6, off, s[0:3], 0 offset:204
	s_mov_b32 s4, exec_lo
	s_waitcnt vmcnt(0)
	ds_write_b64 v4, v[5:6]
	s_waitcnt lgkmcnt(0)
	s_barrier
	buffer_gl0_inv
	v_cmpx_gt_u32_e32 25, v0
	s_cbranch_execz .LBB53_115
; %bb.112:
	v_add_nc_u32_e32 v5, -1, v0
	v_add_nc_u32_e32 v6, 0x1b0, v3
	v_mov_b32_e32 v7, v3
	v_mov_b32_e32 v2, 0
	;; [unrolled: 1-line block ×3, first 2 shown]
	s_mov_b32 s5, 0
	.p2align	6
.LBB53_113:                             ; =>This Inner Loop Header: Depth=1
	s_clause 0x1
	buffer_load_dword v119, v7, s[0:3], 0 offen offset:4
	buffer_load_dword v120, v7, s[0:3], 0 offen
	ds_read_b64 v[117:118], v6
	v_add_nc_u32_e32 v5, 1, v5
	v_add_nc_u32_e32 v6, 8, v6
	;; [unrolled: 1-line block ×3, first 2 shown]
	v_cmp_lt_u32_e32 vcc_lo, 23, v5
	s_or_b32 s5, vcc_lo, s5
	s_waitcnt vmcnt(1) lgkmcnt(0)
	v_mul_f32_e32 v121, v118, v119
	v_mul_f32_e32 v119, v117, v119
	s_waitcnt vmcnt(0)
	v_fma_f32 v117, v117, v120, -v121
	v_fmac_f32_e32 v119, v118, v120
	v_add_f32_e32 v8, v8, v117
	v_add_f32_e32 v2, v2, v119
	s_andn2_b32 exec_lo, exec_lo, s5
	s_cbranch_execnz .LBB53_113
; %bb.114:
	s_or_b32 exec_lo, exec_lo, s5
	v_mov_b32_e32 v5, 0
	ds_read_b64 v[5:6], v5 offset:200
	s_waitcnt lgkmcnt(0)
	v_mul_f32_e32 v7, v2, v6
	v_mul_f32_e32 v6, v8, v6
	v_fma_f32 v7, v8, v5, -v7
	v_fmac_f32_e32 v6, v2, v5
	buffer_store_dword v7, off, s[0:3], 0 offset:200
	buffer_store_dword v6, off, s[0:3], 0 offset:204
.LBB53_115:
	s_or_b32 exec_lo, exec_lo, s4
	s_waitcnt_vscnt null, 0x0
	s_barrier
	buffer_gl0_inv
	s_clause 0x1
	buffer_load_dword v5, off, s[0:3], 0 offset:208
	buffer_load_dword v6, off, s[0:3], 0 offset:212
	s_mov_b32 s4, exec_lo
	s_waitcnt vmcnt(0)
	ds_write_b64 v4, v[5:6]
	s_waitcnt lgkmcnt(0)
	s_barrier
	buffer_gl0_inv
	v_cmpx_gt_u32_e32 26, v0
	s_cbranch_execz .LBB53_119
; %bb.116:
	v_add_nc_u32_e32 v5, -1, v0
	v_add_nc_u32_e32 v6, 0x1b0, v3
	v_mov_b32_e32 v7, v3
	v_mov_b32_e32 v2, 0
	;; [unrolled: 1-line block ×3, first 2 shown]
	s_mov_b32 s5, 0
	.p2align	6
.LBB53_117:                             ; =>This Inner Loop Header: Depth=1
	s_clause 0x1
	buffer_load_dword v119, v7, s[0:3], 0 offen offset:4
	buffer_load_dword v120, v7, s[0:3], 0 offen
	ds_read_b64 v[117:118], v6
	v_add_nc_u32_e32 v5, 1, v5
	v_add_nc_u32_e32 v6, 8, v6
	;; [unrolled: 1-line block ×3, first 2 shown]
	v_cmp_lt_u32_e32 vcc_lo, 24, v5
	s_or_b32 s5, vcc_lo, s5
	s_waitcnt vmcnt(1) lgkmcnt(0)
	v_mul_f32_e32 v121, v118, v119
	v_mul_f32_e32 v119, v117, v119
	s_waitcnt vmcnt(0)
	v_fma_f32 v117, v117, v120, -v121
	v_fmac_f32_e32 v119, v118, v120
	v_add_f32_e32 v8, v8, v117
	v_add_f32_e32 v2, v2, v119
	s_andn2_b32 exec_lo, exec_lo, s5
	s_cbranch_execnz .LBB53_117
; %bb.118:
	s_or_b32 exec_lo, exec_lo, s5
	v_mov_b32_e32 v5, 0
	ds_read_b64 v[5:6], v5 offset:208
	s_waitcnt lgkmcnt(0)
	v_mul_f32_e32 v7, v2, v6
	v_mul_f32_e32 v6, v8, v6
	v_fma_f32 v7, v8, v5, -v7
	v_fmac_f32_e32 v6, v2, v5
	buffer_store_dword v7, off, s[0:3], 0 offset:208
	buffer_store_dword v6, off, s[0:3], 0 offset:212
.LBB53_119:
	s_or_b32 exec_lo, exec_lo, s4
	s_waitcnt_vscnt null, 0x0
	s_barrier
	buffer_gl0_inv
	s_clause 0x1
	buffer_load_dword v5, off, s[0:3], 0 offset:216
	buffer_load_dword v6, off, s[0:3], 0 offset:220
	s_mov_b32 s4, exec_lo
	s_waitcnt vmcnt(0)
	ds_write_b64 v4, v[5:6]
	s_waitcnt lgkmcnt(0)
	s_barrier
	buffer_gl0_inv
	v_cmpx_gt_u32_e32 27, v0
	s_cbranch_execz .LBB53_123
; %bb.120:
	v_add_nc_u32_e32 v5, -1, v0
	v_add_nc_u32_e32 v6, 0x1b0, v3
	v_mov_b32_e32 v7, v3
	v_mov_b32_e32 v2, 0
	;; [unrolled: 1-line block ×3, first 2 shown]
	s_mov_b32 s5, 0
	.p2align	6
.LBB53_121:                             ; =>This Inner Loop Header: Depth=1
	s_clause 0x1
	buffer_load_dword v119, v7, s[0:3], 0 offen offset:4
	buffer_load_dword v120, v7, s[0:3], 0 offen
	ds_read_b64 v[117:118], v6
	v_add_nc_u32_e32 v5, 1, v5
	v_add_nc_u32_e32 v6, 8, v6
	v_add_nc_u32_e32 v7, 8, v7
	v_cmp_lt_u32_e32 vcc_lo, 25, v5
	s_or_b32 s5, vcc_lo, s5
	s_waitcnt vmcnt(1) lgkmcnt(0)
	v_mul_f32_e32 v121, v118, v119
	v_mul_f32_e32 v119, v117, v119
	s_waitcnt vmcnt(0)
	v_fma_f32 v117, v117, v120, -v121
	v_fmac_f32_e32 v119, v118, v120
	v_add_f32_e32 v8, v8, v117
	v_add_f32_e32 v2, v2, v119
	s_andn2_b32 exec_lo, exec_lo, s5
	s_cbranch_execnz .LBB53_121
; %bb.122:
	s_or_b32 exec_lo, exec_lo, s5
	v_mov_b32_e32 v5, 0
	ds_read_b64 v[5:6], v5 offset:216
	s_waitcnt lgkmcnt(0)
	v_mul_f32_e32 v7, v2, v6
	v_mul_f32_e32 v6, v8, v6
	v_fma_f32 v7, v8, v5, -v7
	v_fmac_f32_e32 v6, v2, v5
	buffer_store_dword v7, off, s[0:3], 0 offset:216
	buffer_store_dword v6, off, s[0:3], 0 offset:220
.LBB53_123:
	s_or_b32 exec_lo, exec_lo, s4
	s_waitcnt_vscnt null, 0x0
	s_barrier
	buffer_gl0_inv
	s_clause 0x1
	buffer_load_dword v5, off, s[0:3], 0 offset:224
	buffer_load_dword v6, off, s[0:3], 0 offset:228
	s_mov_b32 s4, exec_lo
	s_waitcnt vmcnt(0)
	ds_write_b64 v4, v[5:6]
	s_waitcnt lgkmcnt(0)
	s_barrier
	buffer_gl0_inv
	v_cmpx_gt_u32_e32 28, v0
	s_cbranch_execz .LBB53_127
; %bb.124:
	v_add_nc_u32_e32 v5, -1, v0
	v_add_nc_u32_e32 v6, 0x1b0, v3
	v_mov_b32_e32 v7, v3
	v_mov_b32_e32 v2, 0
	;; [unrolled: 1-line block ×3, first 2 shown]
	s_mov_b32 s5, 0
	.p2align	6
.LBB53_125:                             ; =>This Inner Loop Header: Depth=1
	s_clause 0x1
	buffer_load_dword v119, v7, s[0:3], 0 offen offset:4
	buffer_load_dword v120, v7, s[0:3], 0 offen
	ds_read_b64 v[117:118], v6
	v_add_nc_u32_e32 v5, 1, v5
	v_add_nc_u32_e32 v6, 8, v6
	;; [unrolled: 1-line block ×3, first 2 shown]
	v_cmp_lt_u32_e32 vcc_lo, 26, v5
	s_or_b32 s5, vcc_lo, s5
	s_waitcnt vmcnt(1) lgkmcnt(0)
	v_mul_f32_e32 v121, v118, v119
	v_mul_f32_e32 v119, v117, v119
	s_waitcnt vmcnt(0)
	v_fma_f32 v117, v117, v120, -v121
	v_fmac_f32_e32 v119, v118, v120
	v_add_f32_e32 v8, v8, v117
	v_add_f32_e32 v2, v2, v119
	s_andn2_b32 exec_lo, exec_lo, s5
	s_cbranch_execnz .LBB53_125
; %bb.126:
	s_or_b32 exec_lo, exec_lo, s5
	v_mov_b32_e32 v5, 0
	ds_read_b64 v[5:6], v5 offset:224
	s_waitcnt lgkmcnt(0)
	v_mul_f32_e32 v7, v2, v6
	v_mul_f32_e32 v6, v8, v6
	v_fma_f32 v7, v8, v5, -v7
	v_fmac_f32_e32 v6, v2, v5
	buffer_store_dword v7, off, s[0:3], 0 offset:224
	buffer_store_dword v6, off, s[0:3], 0 offset:228
.LBB53_127:
	s_or_b32 exec_lo, exec_lo, s4
	s_waitcnt_vscnt null, 0x0
	s_barrier
	buffer_gl0_inv
	s_clause 0x1
	buffer_load_dword v5, off, s[0:3], 0 offset:232
	buffer_load_dword v6, off, s[0:3], 0 offset:236
	s_mov_b32 s4, exec_lo
	s_waitcnt vmcnt(0)
	ds_write_b64 v4, v[5:6]
	s_waitcnt lgkmcnt(0)
	s_barrier
	buffer_gl0_inv
	v_cmpx_gt_u32_e32 29, v0
	s_cbranch_execz .LBB53_131
; %bb.128:
	v_add_nc_u32_e32 v5, -1, v0
	v_add_nc_u32_e32 v6, 0x1b0, v3
	v_mov_b32_e32 v7, v3
	v_mov_b32_e32 v2, 0
	;; [unrolled: 1-line block ×3, first 2 shown]
	s_mov_b32 s5, 0
	.p2align	6
.LBB53_129:                             ; =>This Inner Loop Header: Depth=1
	s_clause 0x1
	buffer_load_dword v119, v7, s[0:3], 0 offen offset:4
	buffer_load_dword v120, v7, s[0:3], 0 offen
	ds_read_b64 v[117:118], v6
	v_add_nc_u32_e32 v5, 1, v5
	v_add_nc_u32_e32 v6, 8, v6
	;; [unrolled: 1-line block ×3, first 2 shown]
	v_cmp_lt_u32_e32 vcc_lo, 27, v5
	s_or_b32 s5, vcc_lo, s5
	s_waitcnt vmcnt(1) lgkmcnt(0)
	v_mul_f32_e32 v121, v118, v119
	v_mul_f32_e32 v119, v117, v119
	s_waitcnt vmcnt(0)
	v_fma_f32 v117, v117, v120, -v121
	v_fmac_f32_e32 v119, v118, v120
	v_add_f32_e32 v8, v8, v117
	v_add_f32_e32 v2, v2, v119
	s_andn2_b32 exec_lo, exec_lo, s5
	s_cbranch_execnz .LBB53_129
; %bb.130:
	s_or_b32 exec_lo, exec_lo, s5
	v_mov_b32_e32 v5, 0
	ds_read_b64 v[5:6], v5 offset:232
	s_waitcnt lgkmcnt(0)
	v_mul_f32_e32 v7, v2, v6
	v_mul_f32_e32 v6, v8, v6
	v_fma_f32 v7, v8, v5, -v7
	v_fmac_f32_e32 v6, v2, v5
	buffer_store_dword v7, off, s[0:3], 0 offset:232
	buffer_store_dword v6, off, s[0:3], 0 offset:236
.LBB53_131:
	s_or_b32 exec_lo, exec_lo, s4
	s_waitcnt_vscnt null, 0x0
	s_barrier
	buffer_gl0_inv
	s_clause 0x1
	buffer_load_dword v5, off, s[0:3], 0 offset:240
	buffer_load_dword v6, off, s[0:3], 0 offset:244
	s_mov_b32 s4, exec_lo
	s_waitcnt vmcnt(0)
	ds_write_b64 v4, v[5:6]
	s_waitcnt lgkmcnt(0)
	s_barrier
	buffer_gl0_inv
	v_cmpx_gt_u32_e32 30, v0
	s_cbranch_execz .LBB53_135
; %bb.132:
	v_add_nc_u32_e32 v5, -1, v0
	v_add_nc_u32_e32 v6, 0x1b0, v3
	v_mov_b32_e32 v7, v3
	v_mov_b32_e32 v2, 0
	;; [unrolled: 1-line block ×3, first 2 shown]
	s_mov_b32 s5, 0
	.p2align	6
.LBB53_133:                             ; =>This Inner Loop Header: Depth=1
	s_clause 0x1
	buffer_load_dword v119, v7, s[0:3], 0 offen offset:4
	buffer_load_dword v120, v7, s[0:3], 0 offen
	ds_read_b64 v[117:118], v6
	v_add_nc_u32_e32 v5, 1, v5
	v_add_nc_u32_e32 v6, 8, v6
	v_add_nc_u32_e32 v7, 8, v7
	v_cmp_lt_u32_e32 vcc_lo, 28, v5
	s_or_b32 s5, vcc_lo, s5
	s_waitcnt vmcnt(1) lgkmcnt(0)
	v_mul_f32_e32 v121, v118, v119
	v_mul_f32_e32 v119, v117, v119
	s_waitcnt vmcnt(0)
	v_fma_f32 v117, v117, v120, -v121
	v_fmac_f32_e32 v119, v118, v120
	v_add_f32_e32 v8, v8, v117
	v_add_f32_e32 v2, v2, v119
	s_andn2_b32 exec_lo, exec_lo, s5
	s_cbranch_execnz .LBB53_133
; %bb.134:
	s_or_b32 exec_lo, exec_lo, s5
	v_mov_b32_e32 v5, 0
	ds_read_b64 v[5:6], v5 offset:240
	s_waitcnt lgkmcnt(0)
	v_mul_f32_e32 v7, v2, v6
	v_mul_f32_e32 v6, v8, v6
	v_fma_f32 v7, v8, v5, -v7
	v_fmac_f32_e32 v6, v2, v5
	buffer_store_dword v7, off, s[0:3], 0 offset:240
	buffer_store_dword v6, off, s[0:3], 0 offset:244
.LBB53_135:
	s_or_b32 exec_lo, exec_lo, s4
	s_waitcnt_vscnt null, 0x0
	s_barrier
	buffer_gl0_inv
	s_clause 0x1
	buffer_load_dword v5, off, s[0:3], 0 offset:248
	buffer_load_dword v6, off, s[0:3], 0 offset:252
	s_mov_b32 s4, exec_lo
	s_waitcnt vmcnt(0)
	ds_write_b64 v4, v[5:6]
	s_waitcnt lgkmcnt(0)
	s_barrier
	buffer_gl0_inv
	v_cmpx_gt_u32_e32 31, v0
	s_cbranch_execz .LBB53_139
; %bb.136:
	v_add_nc_u32_e32 v5, -1, v0
	v_add_nc_u32_e32 v6, 0x1b0, v3
	v_mov_b32_e32 v7, v3
	v_mov_b32_e32 v2, 0
	;; [unrolled: 1-line block ×3, first 2 shown]
	s_mov_b32 s5, 0
	.p2align	6
.LBB53_137:                             ; =>This Inner Loop Header: Depth=1
	s_clause 0x1
	buffer_load_dword v119, v7, s[0:3], 0 offen offset:4
	buffer_load_dword v120, v7, s[0:3], 0 offen
	ds_read_b64 v[117:118], v6
	v_add_nc_u32_e32 v5, 1, v5
	v_add_nc_u32_e32 v6, 8, v6
	;; [unrolled: 1-line block ×3, first 2 shown]
	v_cmp_lt_u32_e32 vcc_lo, 29, v5
	s_or_b32 s5, vcc_lo, s5
	s_waitcnt vmcnt(1) lgkmcnt(0)
	v_mul_f32_e32 v121, v118, v119
	v_mul_f32_e32 v119, v117, v119
	s_waitcnt vmcnt(0)
	v_fma_f32 v117, v117, v120, -v121
	v_fmac_f32_e32 v119, v118, v120
	v_add_f32_e32 v8, v8, v117
	v_add_f32_e32 v2, v2, v119
	s_andn2_b32 exec_lo, exec_lo, s5
	s_cbranch_execnz .LBB53_137
; %bb.138:
	s_or_b32 exec_lo, exec_lo, s5
	v_mov_b32_e32 v5, 0
	ds_read_b64 v[5:6], v5 offset:248
	s_waitcnt lgkmcnt(0)
	v_mul_f32_e32 v7, v2, v6
	v_mul_f32_e32 v6, v8, v6
	v_fma_f32 v7, v8, v5, -v7
	v_fmac_f32_e32 v6, v2, v5
	buffer_store_dword v7, off, s[0:3], 0 offset:248
	buffer_store_dword v6, off, s[0:3], 0 offset:252
.LBB53_139:
	s_or_b32 exec_lo, exec_lo, s4
	s_waitcnt_vscnt null, 0x0
	s_barrier
	buffer_gl0_inv
	s_clause 0x1
	buffer_load_dword v5, off, s[0:3], 0 offset:256
	buffer_load_dword v6, off, s[0:3], 0 offset:260
	s_mov_b32 s4, exec_lo
	s_waitcnt vmcnt(0)
	ds_write_b64 v4, v[5:6]
	s_waitcnt lgkmcnt(0)
	s_barrier
	buffer_gl0_inv
	v_cmpx_gt_u32_e32 32, v0
	s_cbranch_execz .LBB53_143
; %bb.140:
	v_add_nc_u32_e32 v5, -1, v0
	v_add_nc_u32_e32 v6, 0x1b0, v3
	v_mov_b32_e32 v7, v3
	v_mov_b32_e32 v2, 0
	;; [unrolled: 1-line block ×3, first 2 shown]
	s_mov_b32 s5, 0
	.p2align	6
.LBB53_141:                             ; =>This Inner Loop Header: Depth=1
	s_clause 0x1
	buffer_load_dword v119, v7, s[0:3], 0 offen offset:4
	buffer_load_dword v120, v7, s[0:3], 0 offen
	ds_read_b64 v[117:118], v6
	v_add_nc_u32_e32 v5, 1, v5
	v_add_nc_u32_e32 v6, 8, v6
	v_add_nc_u32_e32 v7, 8, v7
	v_cmp_lt_u32_e32 vcc_lo, 30, v5
	s_or_b32 s5, vcc_lo, s5
	s_waitcnt vmcnt(1) lgkmcnt(0)
	v_mul_f32_e32 v121, v118, v119
	v_mul_f32_e32 v119, v117, v119
	s_waitcnt vmcnt(0)
	v_fma_f32 v117, v117, v120, -v121
	v_fmac_f32_e32 v119, v118, v120
	v_add_f32_e32 v8, v8, v117
	v_add_f32_e32 v2, v2, v119
	s_andn2_b32 exec_lo, exec_lo, s5
	s_cbranch_execnz .LBB53_141
; %bb.142:
	s_or_b32 exec_lo, exec_lo, s5
	v_mov_b32_e32 v5, 0
	ds_read_b64 v[5:6], v5 offset:256
	s_waitcnt lgkmcnt(0)
	v_mul_f32_e32 v7, v2, v6
	v_mul_f32_e32 v6, v8, v6
	v_fma_f32 v7, v8, v5, -v7
	v_fmac_f32_e32 v6, v2, v5
	buffer_store_dword v7, off, s[0:3], 0 offset:256
	buffer_store_dword v6, off, s[0:3], 0 offset:260
.LBB53_143:
	s_or_b32 exec_lo, exec_lo, s4
	s_waitcnt_vscnt null, 0x0
	s_barrier
	buffer_gl0_inv
	s_clause 0x1
	buffer_load_dword v5, off, s[0:3], 0 offset:264
	buffer_load_dword v6, off, s[0:3], 0 offset:268
	s_mov_b32 s4, exec_lo
	s_waitcnt vmcnt(0)
	ds_write_b64 v4, v[5:6]
	s_waitcnt lgkmcnt(0)
	s_barrier
	buffer_gl0_inv
	v_cmpx_gt_u32_e32 33, v0
	s_cbranch_execz .LBB53_147
; %bb.144:
	v_add_nc_u32_e32 v5, -1, v0
	v_add_nc_u32_e32 v6, 0x1b0, v3
	v_mov_b32_e32 v7, v3
	v_mov_b32_e32 v2, 0
	;; [unrolled: 1-line block ×3, first 2 shown]
	s_mov_b32 s5, 0
	.p2align	6
.LBB53_145:                             ; =>This Inner Loop Header: Depth=1
	s_clause 0x1
	buffer_load_dword v119, v7, s[0:3], 0 offen offset:4
	buffer_load_dword v120, v7, s[0:3], 0 offen
	ds_read_b64 v[117:118], v6
	v_add_nc_u32_e32 v5, 1, v5
	v_add_nc_u32_e32 v6, 8, v6
	;; [unrolled: 1-line block ×3, first 2 shown]
	v_cmp_lt_u32_e32 vcc_lo, 31, v5
	s_or_b32 s5, vcc_lo, s5
	s_waitcnt vmcnt(1) lgkmcnt(0)
	v_mul_f32_e32 v121, v118, v119
	v_mul_f32_e32 v119, v117, v119
	s_waitcnt vmcnt(0)
	v_fma_f32 v117, v117, v120, -v121
	v_fmac_f32_e32 v119, v118, v120
	v_add_f32_e32 v8, v8, v117
	v_add_f32_e32 v2, v2, v119
	s_andn2_b32 exec_lo, exec_lo, s5
	s_cbranch_execnz .LBB53_145
; %bb.146:
	s_or_b32 exec_lo, exec_lo, s5
	v_mov_b32_e32 v5, 0
	ds_read_b64 v[5:6], v5 offset:264
	s_waitcnt lgkmcnt(0)
	v_mul_f32_e32 v7, v2, v6
	v_mul_f32_e32 v6, v8, v6
	v_fma_f32 v7, v8, v5, -v7
	v_fmac_f32_e32 v6, v2, v5
	buffer_store_dword v7, off, s[0:3], 0 offset:264
	buffer_store_dword v6, off, s[0:3], 0 offset:268
.LBB53_147:
	s_or_b32 exec_lo, exec_lo, s4
	s_waitcnt_vscnt null, 0x0
	s_barrier
	buffer_gl0_inv
	s_clause 0x1
	buffer_load_dword v5, off, s[0:3], 0 offset:272
	buffer_load_dword v6, off, s[0:3], 0 offset:276
	s_mov_b32 s4, exec_lo
	s_waitcnt vmcnt(0)
	ds_write_b64 v4, v[5:6]
	s_waitcnt lgkmcnt(0)
	s_barrier
	buffer_gl0_inv
	v_cmpx_gt_u32_e32 34, v0
	s_cbranch_execz .LBB53_151
; %bb.148:
	v_add_nc_u32_e32 v5, -1, v0
	v_add_nc_u32_e32 v6, 0x1b0, v3
	v_mov_b32_e32 v7, v3
	v_mov_b32_e32 v2, 0
	;; [unrolled: 1-line block ×3, first 2 shown]
	s_mov_b32 s5, 0
	.p2align	6
.LBB53_149:                             ; =>This Inner Loop Header: Depth=1
	s_clause 0x1
	buffer_load_dword v119, v7, s[0:3], 0 offen offset:4
	buffer_load_dword v120, v7, s[0:3], 0 offen
	ds_read_b64 v[117:118], v6
	v_add_nc_u32_e32 v5, 1, v5
	v_add_nc_u32_e32 v6, 8, v6
	;; [unrolled: 1-line block ×3, first 2 shown]
	v_cmp_lt_u32_e32 vcc_lo, 32, v5
	s_or_b32 s5, vcc_lo, s5
	s_waitcnt vmcnt(1) lgkmcnt(0)
	v_mul_f32_e32 v121, v118, v119
	v_mul_f32_e32 v119, v117, v119
	s_waitcnt vmcnt(0)
	v_fma_f32 v117, v117, v120, -v121
	v_fmac_f32_e32 v119, v118, v120
	v_add_f32_e32 v8, v8, v117
	v_add_f32_e32 v2, v2, v119
	s_andn2_b32 exec_lo, exec_lo, s5
	s_cbranch_execnz .LBB53_149
; %bb.150:
	s_or_b32 exec_lo, exec_lo, s5
	v_mov_b32_e32 v5, 0
	ds_read_b64 v[5:6], v5 offset:272
	s_waitcnt lgkmcnt(0)
	v_mul_f32_e32 v7, v2, v6
	v_mul_f32_e32 v6, v8, v6
	v_fma_f32 v7, v8, v5, -v7
	v_fmac_f32_e32 v6, v2, v5
	buffer_store_dword v7, off, s[0:3], 0 offset:272
	buffer_store_dword v6, off, s[0:3], 0 offset:276
.LBB53_151:
	s_or_b32 exec_lo, exec_lo, s4
	s_waitcnt_vscnt null, 0x0
	s_barrier
	buffer_gl0_inv
	s_clause 0x1
	buffer_load_dword v5, off, s[0:3], 0 offset:280
	buffer_load_dword v6, off, s[0:3], 0 offset:284
	s_mov_b32 s4, exec_lo
	s_waitcnt vmcnt(0)
	ds_write_b64 v4, v[5:6]
	s_waitcnt lgkmcnt(0)
	s_barrier
	buffer_gl0_inv
	v_cmpx_gt_u32_e32 35, v0
	s_cbranch_execz .LBB53_155
; %bb.152:
	v_add_nc_u32_e32 v5, -1, v0
	v_add_nc_u32_e32 v6, 0x1b0, v3
	v_mov_b32_e32 v7, v3
	v_mov_b32_e32 v2, 0
	;; [unrolled: 1-line block ×3, first 2 shown]
	s_mov_b32 s5, 0
	.p2align	6
.LBB53_153:                             ; =>This Inner Loop Header: Depth=1
	s_clause 0x1
	buffer_load_dword v119, v7, s[0:3], 0 offen offset:4
	buffer_load_dword v120, v7, s[0:3], 0 offen
	ds_read_b64 v[117:118], v6
	v_add_nc_u32_e32 v5, 1, v5
	v_add_nc_u32_e32 v6, 8, v6
	;; [unrolled: 1-line block ×3, first 2 shown]
	v_cmp_lt_u32_e32 vcc_lo, 33, v5
	s_or_b32 s5, vcc_lo, s5
	s_waitcnt vmcnt(1) lgkmcnt(0)
	v_mul_f32_e32 v121, v118, v119
	v_mul_f32_e32 v119, v117, v119
	s_waitcnt vmcnt(0)
	v_fma_f32 v117, v117, v120, -v121
	v_fmac_f32_e32 v119, v118, v120
	v_add_f32_e32 v8, v8, v117
	v_add_f32_e32 v2, v2, v119
	s_andn2_b32 exec_lo, exec_lo, s5
	s_cbranch_execnz .LBB53_153
; %bb.154:
	s_or_b32 exec_lo, exec_lo, s5
	v_mov_b32_e32 v5, 0
	ds_read_b64 v[5:6], v5 offset:280
	s_waitcnt lgkmcnt(0)
	v_mul_f32_e32 v7, v2, v6
	v_mul_f32_e32 v6, v8, v6
	v_fma_f32 v7, v8, v5, -v7
	v_fmac_f32_e32 v6, v2, v5
	buffer_store_dword v7, off, s[0:3], 0 offset:280
	buffer_store_dword v6, off, s[0:3], 0 offset:284
.LBB53_155:
	s_or_b32 exec_lo, exec_lo, s4
	s_waitcnt_vscnt null, 0x0
	s_barrier
	buffer_gl0_inv
	s_clause 0x1
	buffer_load_dword v5, off, s[0:3], 0 offset:288
	buffer_load_dword v6, off, s[0:3], 0 offset:292
	s_mov_b32 s4, exec_lo
	s_waitcnt vmcnt(0)
	ds_write_b64 v4, v[5:6]
	s_waitcnt lgkmcnt(0)
	s_barrier
	buffer_gl0_inv
	v_cmpx_gt_u32_e32 36, v0
	s_cbranch_execz .LBB53_159
; %bb.156:
	v_add_nc_u32_e32 v5, -1, v0
	v_add_nc_u32_e32 v6, 0x1b0, v3
	v_mov_b32_e32 v7, v3
	v_mov_b32_e32 v2, 0
	;; [unrolled: 1-line block ×3, first 2 shown]
	s_mov_b32 s5, 0
	.p2align	6
.LBB53_157:                             ; =>This Inner Loop Header: Depth=1
	s_clause 0x1
	buffer_load_dword v119, v7, s[0:3], 0 offen offset:4
	buffer_load_dword v120, v7, s[0:3], 0 offen
	ds_read_b64 v[117:118], v6
	v_add_nc_u32_e32 v5, 1, v5
	v_add_nc_u32_e32 v6, 8, v6
	;; [unrolled: 1-line block ×3, first 2 shown]
	v_cmp_lt_u32_e32 vcc_lo, 34, v5
	s_or_b32 s5, vcc_lo, s5
	s_waitcnt vmcnt(1) lgkmcnt(0)
	v_mul_f32_e32 v121, v118, v119
	v_mul_f32_e32 v119, v117, v119
	s_waitcnt vmcnt(0)
	v_fma_f32 v117, v117, v120, -v121
	v_fmac_f32_e32 v119, v118, v120
	v_add_f32_e32 v8, v8, v117
	v_add_f32_e32 v2, v2, v119
	s_andn2_b32 exec_lo, exec_lo, s5
	s_cbranch_execnz .LBB53_157
; %bb.158:
	s_or_b32 exec_lo, exec_lo, s5
	v_mov_b32_e32 v5, 0
	ds_read_b64 v[5:6], v5 offset:288
	s_waitcnt lgkmcnt(0)
	v_mul_f32_e32 v7, v2, v6
	v_mul_f32_e32 v6, v8, v6
	v_fma_f32 v7, v8, v5, -v7
	v_fmac_f32_e32 v6, v2, v5
	buffer_store_dword v7, off, s[0:3], 0 offset:288
	buffer_store_dword v6, off, s[0:3], 0 offset:292
.LBB53_159:
	s_or_b32 exec_lo, exec_lo, s4
	s_waitcnt_vscnt null, 0x0
	s_barrier
	buffer_gl0_inv
	s_clause 0x1
	buffer_load_dword v5, off, s[0:3], 0 offset:296
	buffer_load_dword v6, off, s[0:3], 0 offset:300
	s_mov_b32 s4, exec_lo
	s_waitcnt vmcnt(0)
	ds_write_b64 v4, v[5:6]
	s_waitcnt lgkmcnt(0)
	s_barrier
	buffer_gl0_inv
	v_cmpx_gt_u32_e32 37, v0
	s_cbranch_execz .LBB53_163
; %bb.160:
	v_add_nc_u32_e32 v5, -1, v0
	v_add_nc_u32_e32 v6, 0x1b0, v3
	v_mov_b32_e32 v7, v3
	v_mov_b32_e32 v2, 0
	;; [unrolled: 1-line block ×3, first 2 shown]
	s_mov_b32 s5, 0
	.p2align	6
.LBB53_161:                             ; =>This Inner Loop Header: Depth=1
	s_clause 0x1
	buffer_load_dword v119, v7, s[0:3], 0 offen offset:4
	buffer_load_dword v120, v7, s[0:3], 0 offen
	ds_read_b64 v[117:118], v6
	v_add_nc_u32_e32 v5, 1, v5
	v_add_nc_u32_e32 v6, 8, v6
	v_add_nc_u32_e32 v7, 8, v7
	v_cmp_lt_u32_e32 vcc_lo, 35, v5
	s_or_b32 s5, vcc_lo, s5
	s_waitcnt vmcnt(1) lgkmcnt(0)
	v_mul_f32_e32 v121, v118, v119
	v_mul_f32_e32 v119, v117, v119
	s_waitcnt vmcnt(0)
	v_fma_f32 v117, v117, v120, -v121
	v_fmac_f32_e32 v119, v118, v120
	v_add_f32_e32 v8, v8, v117
	v_add_f32_e32 v2, v2, v119
	s_andn2_b32 exec_lo, exec_lo, s5
	s_cbranch_execnz .LBB53_161
; %bb.162:
	s_or_b32 exec_lo, exec_lo, s5
	v_mov_b32_e32 v5, 0
	ds_read_b64 v[5:6], v5 offset:296
	s_waitcnt lgkmcnt(0)
	v_mul_f32_e32 v7, v2, v6
	v_mul_f32_e32 v6, v8, v6
	v_fma_f32 v7, v8, v5, -v7
	v_fmac_f32_e32 v6, v2, v5
	buffer_store_dword v7, off, s[0:3], 0 offset:296
	buffer_store_dword v6, off, s[0:3], 0 offset:300
.LBB53_163:
	s_or_b32 exec_lo, exec_lo, s4
	s_waitcnt_vscnt null, 0x0
	s_barrier
	buffer_gl0_inv
	s_clause 0x1
	buffer_load_dword v5, off, s[0:3], 0 offset:304
	buffer_load_dword v6, off, s[0:3], 0 offset:308
	s_mov_b32 s4, exec_lo
	s_waitcnt vmcnt(0)
	ds_write_b64 v4, v[5:6]
	s_waitcnt lgkmcnt(0)
	s_barrier
	buffer_gl0_inv
	v_cmpx_gt_u32_e32 38, v0
	s_cbranch_execz .LBB53_167
; %bb.164:
	v_add_nc_u32_e32 v5, -1, v0
	v_add_nc_u32_e32 v6, 0x1b0, v3
	v_mov_b32_e32 v7, v3
	v_mov_b32_e32 v2, 0
	;; [unrolled: 1-line block ×3, first 2 shown]
	s_mov_b32 s5, 0
	.p2align	6
.LBB53_165:                             ; =>This Inner Loop Header: Depth=1
	s_clause 0x1
	buffer_load_dword v119, v7, s[0:3], 0 offen offset:4
	buffer_load_dword v120, v7, s[0:3], 0 offen
	ds_read_b64 v[117:118], v6
	v_add_nc_u32_e32 v5, 1, v5
	v_add_nc_u32_e32 v6, 8, v6
	;; [unrolled: 1-line block ×3, first 2 shown]
	v_cmp_lt_u32_e32 vcc_lo, 36, v5
	s_or_b32 s5, vcc_lo, s5
	s_waitcnt vmcnt(1) lgkmcnt(0)
	v_mul_f32_e32 v121, v118, v119
	v_mul_f32_e32 v119, v117, v119
	s_waitcnt vmcnt(0)
	v_fma_f32 v117, v117, v120, -v121
	v_fmac_f32_e32 v119, v118, v120
	v_add_f32_e32 v8, v8, v117
	v_add_f32_e32 v2, v2, v119
	s_andn2_b32 exec_lo, exec_lo, s5
	s_cbranch_execnz .LBB53_165
; %bb.166:
	s_or_b32 exec_lo, exec_lo, s5
	v_mov_b32_e32 v5, 0
	ds_read_b64 v[5:6], v5 offset:304
	s_waitcnt lgkmcnt(0)
	v_mul_f32_e32 v7, v2, v6
	v_mul_f32_e32 v6, v8, v6
	v_fma_f32 v7, v8, v5, -v7
	v_fmac_f32_e32 v6, v2, v5
	buffer_store_dword v7, off, s[0:3], 0 offset:304
	buffer_store_dword v6, off, s[0:3], 0 offset:308
.LBB53_167:
	s_or_b32 exec_lo, exec_lo, s4
	s_waitcnt_vscnt null, 0x0
	s_barrier
	buffer_gl0_inv
	s_clause 0x1
	buffer_load_dword v5, off, s[0:3], 0 offset:312
	buffer_load_dword v6, off, s[0:3], 0 offset:316
	s_mov_b32 s4, exec_lo
	s_waitcnt vmcnt(0)
	ds_write_b64 v4, v[5:6]
	s_waitcnt lgkmcnt(0)
	s_barrier
	buffer_gl0_inv
	v_cmpx_gt_u32_e32 39, v0
	s_cbranch_execz .LBB53_171
; %bb.168:
	v_add_nc_u32_e32 v5, -1, v0
	v_add_nc_u32_e32 v6, 0x1b0, v3
	v_mov_b32_e32 v7, v3
	v_mov_b32_e32 v2, 0
	;; [unrolled: 1-line block ×3, first 2 shown]
	s_mov_b32 s5, 0
	.p2align	6
.LBB53_169:                             ; =>This Inner Loop Header: Depth=1
	s_clause 0x1
	buffer_load_dword v119, v7, s[0:3], 0 offen offset:4
	buffer_load_dword v120, v7, s[0:3], 0 offen
	ds_read_b64 v[117:118], v6
	v_add_nc_u32_e32 v5, 1, v5
	v_add_nc_u32_e32 v6, 8, v6
	;; [unrolled: 1-line block ×3, first 2 shown]
	v_cmp_lt_u32_e32 vcc_lo, 37, v5
	s_or_b32 s5, vcc_lo, s5
	s_waitcnt vmcnt(1) lgkmcnt(0)
	v_mul_f32_e32 v121, v118, v119
	v_mul_f32_e32 v119, v117, v119
	s_waitcnt vmcnt(0)
	v_fma_f32 v117, v117, v120, -v121
	v_fmac_f32_e32 v119, v118, v120
	v_add_f32_e32 v8, v8, v117
	v_add_f32_e32 v2, v2, v119
	s_andn2_b32 exec_lo, exec_lo, s5
	s_cbranch_execnz .LBB53_169
; %bb.170:
	s_or_b32 exec_lo, exec_lo, s5
	v_mov_b32_e32 v5, 0
	ds_read_b64 v[5:6], v5 offset:312
	s_waitcnt lgkmcnt(0)
	v_mul_f32_e32 v7, v2, v6
	v_mul_f32_e32 v6, v8, v6
	v_fma_f32 v7, v8, v5, -v7
	v_fmac_f32_e32 v6, v2, v5
	buffer_store_dword v7, off, s[0:3], 0 offset:312
	buffer_store_dword v6, off, s[0:3], 0 offset:316
.LBB53_171:
	s_or_b32 exec_lo, exec_lo, s4
	s_waitcnt_vscnt null, 0x0
	s_barrier
	buffer_gl0_inv
	s_clause 0x1
	buffer_load_dword v5, off, s[0:3], 0 offset:320
	buffer_load_dword v6, off, s[0:3], 0 offset:324
	s_mov_b32 s4, exec_lo
	s_waitcnt vmcnt(0)
	ds_write_b64 v4, v[5:6]
	s_waitcnt lgkmcnt(0)
	s_barrier
	buffer_gl0_inv
	v_cmpx_gt_u32_e32 40, v0
	s_cbranch_execz .LBB53_175
; %bb.172:
	v_add_nc_u32_e32 v5, -1, v0
	v_add_nc_u32_e32 v6, 0x1b0, v3
	v_mov_b32_e32 v7, v3
	v_mov_b32_e32 v2, 0
	;; [unrolled: 1-line block ×3, first 2 shown]
	s_mov_b32 s5, 0
	.p2align	6
.LBB53_173:                             ; =>This Inner Loop Header: Depth=1
	s_clause 0x1
	buffer_load_dword v119, v7, s[0:3], 0 offen offset:4
	buffer_load_dword v120, v7, s[0:3], 0 offen
	ds_read_b64 v[117:118], v6
	v_add_nc_u32_e32 v5, 1, v5
	v_add_nc_u32_e32 v6, 8, v6
	;; [unrolled: 1-line block ×3, first 2 shown]
	v_cmp_lt_u32_e32 vcc_lo, 38, v5
	s_or_b32 s5, vcc_lo, s5
	s_waitcnt vmcnt(1) lgkmcnt(0)
	v_mul_f32_e32 v121, v118, v119
	v_mul_f32_e32 v119, v117, v119
	s_waitcnt vmcnt(0)
	v_fma_f32 v117, v117, v120, -v121
	v_fmac_f32_e32 v119, v118, v120
	v_add_f32_e32 v8, v8, v117
	v_add_f32_e32 v2, v2, v119
	s_andn2_b32 exec_lo, exec_lo, s5
	s_cbranch_execnz .LBB53_173
; %bb.174:
	s_or_b32 exec_lo, exec_lo, s5
	v_mov_b32_e32 v5, 0
	ds_read_b64 v[5:6], v5 offset:320
	s_waitcnt lgkmcnt(0)
	v_mul_f32_e32 v7, v2, v6
	v_mul_f32_e32 v6, v8, v6
	v_fma_f32 v7, v8, v5, -v7
	v_fmac_f32_e32 v6, v2, v5
	buffer_store_dword v7, off, s[0:3], 0 offset:320
	buffer_store_dword v6, off, s[0:3], 0 offset:324
.LBB53_175:
	s_or_b32 exec_lo, exec_lo, s4
	s_waitcnt_vscnt null, 0x0
	s_barrier
	buffer_gl0_inv
	s_clause 0x1
	buffer_load_dword v5, off, s[0:3], 0 offset:328
	buffer_load_dword v6, off, s[0:3], 0 offset:332
	s_mov_b32 s4, exec_lo
	s_waitcnt vmcnt(0)
	ds_write_b64 v4, v[5:6]
	s_waitcnt lgkmcnt(0)
	s_barrier
	buffer_gl0_inv
	v_cmpx_gt_u32_e32 41, v0
	s_cbranch_execz .LBB53_179
; %bb.176:
	v_add_nc_u32_e32 v5, -1, v0
	v_add_nc_u32_e32 v6, 0x1b0, v3
	v_mov_b32_e32 v7, v3
	v_mov_b32_e32 v2, 0
	;; [unrolled: 1-line block ×3, first 2 shown]
	s_mov_b32 s5, 0
	.p2align	6
.LBB53_177:                             ; =>This Inner Loop Header: Depth=1
	s_clause 0x1
	buffer_load_dword v119, v7, s[0:3], 0 offen offset:4
	buffer_load_dword v120, v7, s[0:3], 0 offen
	ds_read_b64 v[117:118], v6
	v_add_nc_u32_e32 v5, 1, v5
	v_add_nc_u32_e32 v6, 8, v6
	;; [unrolled: 1-line block ×3, first 2 shown]
	v_cmp_lt_u32_e32 vcc_lo, 39, v5
	s_or_b32 s5, vcc_lo, s5
	s_waitcnt vmcnt(1) lgkmcnt(0)
	v_mul_f32_e32 v121, v118, v119
	v_mul_f32_e32 v119, v117, v119
	s_waitcnt vmcnt(0)
	v_fma_f32 v117, v117, v120, -v121
	v_fmac_f32_e32 v119, v118, v120
	v_add_f32_e32 v8, v8, v117
	v_add_f32_e32 v2, v2, v119
	s_andn2_b32 exec_lo, exec_lo, s5
	s_cbranch_execnz .LBB53_177
; %bb.178:
	s_or_b32 exec_lo, exec_lo, s5
	v_mov_b32_e32 v5, 0
	ds_read_b64 v[5:6], v5 offset:328
	s_waitcnt lgkmcnt(0)
	v_mul_f32_e32 v7, v2, v6
	v_mul_f32_e32 v6, v8, v6
	v_fma_f32 v7, v8, v5, -v7
	v_fmac_f32_e32 v6, v2, v5
	buffer_store_dword v7, off, s[0:3], 0 offset:328
	buffer_store_dword v6, off, s[0:3], 0 offset:332
.LBB53_179:
	s_or_b32 exec_lo, exec_lo, s4
	s_waitcnt_vscnt null, 0x0
	s_barrier
	buffer_gl0_inv
	s_clause 0x1
	buffer_load_dword v5, off, s[0:3], 0 offset:336
	buffer_load_dword v6, off, s[0:3], 0 offset:340
	s_mov_b32 s4, exec_lo
	s_waitcnt vmcnt(0)
	ds_write_b64 v4, v[5:6]
	s_waitcnt lgkmcnt(0)
	s_barrier
	buffer_gl0_inv
	v_cmpx_gt_u32_e32 42, v0
	s_cbranch_execz .LBB53_183
; %bb.180:
	v_add_nc_u32_e32 v5, -1, v0
	v_add_nc_u32_e32 v6, 0x1b0, v3
	v_mov_b32_e32 v7, v3
	v_mov_b32_e32 v2, 0
	;; [unrolled: 1-line block ×3, first 2 shown]
	s_mov_b32 s5, 0
	.p2align	6
.LBB53_181:                             ; =>This Inner Loop Header: Depth=1
	s_clause 0x1
	buffer_load_dword v119, v7, s[0:3], 0 offen offset:4
	buffer_load_dword v120, v7, s[0:3], 0 offen
	ds_read_b64 v[117:118], v6
	v_add_nc_u32_e32 v5, 1, v5
	v_add_nc_u32_e32 v6, 8, v6
	;; [unrolled: 1-line block ×3, first 2 shown]
	v_cmp_lt_u32_e32 vcc_lo, 40, v5
	s_or_b32 s5, vcc_lo, s5
	s_waitcnt vmcnt(1) lgkmcnt(0)
	v_mul_f32_e32 v121, v118, v119
	v_mul_f32_e32 v119, v117, v119
	s_waitcnt vmcnt(0)
	v_fma_f32 v117, v117, v120, -v121
	v_fmac_f32_e32 v119, v118, v120
	v_add_f32_e32 v8, v8, v117
	v_add_f32_e32 v2, v2, v119
	s_andn2_b32 exec_lo, exec_lo, s5
	s_cbranch_execnz .LBB53_181
; %bb.182:
	s_or_b32 exec_lo, exec_lo, s5
	v_mov_b32_e32 v5, 0
	ds_read_b64 v[5:6], v5 offset:336
	s_waitcnt lgkmcnt(0)
	v_mul_f32_e32 v7, v2, v6
	v_mul_f32_e32 v6, v8, v6
	v_fma_f32 v7, v8, v5, -v7
	v_fmac_f32_e32 v6, v2, v5
	buffer_store_dword v7, off, s[0:3], 0 offset:336
	buffer_store_dword v6, off, s[0:3], 0 offset:340
.LBB53_183:
	s_or_b32 exec_lo, exec_lo, s4
	s_waitcnt_vscnt null, 0x0
	s_barrier
	buffer_gl0_inv
	s_clause 0x1
	buffer_load_dword v5, off, s[0:3], 0 offset:344
	buffer_load_dword v6, off, s[0:3], 0 offset:348
	s_mov_b32 s4, exec_lo
	s_waitcnt vmcnt(0)
	ds_write_b64 v4, v[5:6]
	s_waitcnt lgkmcnt(0)
	s_barrier
	buffer_gl0_inv
	v_cmpx_gt_u32_e32 43, v0
	s_cbranch_execz .LBB53_187
; %bb.184:
	v_add_nc_u32_e32 v5, -1, v0
	v_add_nc_u32_e32 v6, 0x1b0, v3
	v_mov_b32_e32 v7, v3
	v_mov_b32_e32 v2, 0
	v_mov_b32_e32 v8, 0
	s_mov_b32 s5, 0
	.p2align	6
.LBB53_185:                             ; =>This Inner Loop Header: Depth=1
	s_clause 0x1
	buffer_load_dword v119, v7, s[0:3], 0 offen offset:4
	buffer_load_dword v120, v7, s[0:3], 0 offen
	ds_read_b64 v[117:118], v6
	v_add_nc_u32_e32 v5, 1, v5
	v_add_nc_u32_e32 v6, 8, v6
	;; [unrolled: 1-line block ×3, first 2 shown]
	v_cmp_lt_u32_e32 vcc_lo, 41, v5
	s_or_b32 s5, vcc_lo, s5
	s_waitcnt vmcnt(1) lgkmcnt(0)
	v_mul_f32_e32 v121, v118, v119
	v_mul_f32_e32 v119, v117, v119
	s_waitcnt vmcnt(0)
	v_fma_f32 v117, v117, v120, -v121
	v_fmac_f32_e32 v119, v118, v120
	v_add_f32_e32 v8, v8, v117
	v_add_f32_e32 v2, v2, v119
	s_andn2_b32 exec_lo, exec_lo, s5
	s_cbranch_execnz .LBB53_185
; %bb.186:
	s_or_b32 exec_lo, exec_lo, s5
	v_mov_b32_e32 v5, 0
	ds_read_b64 v[5:6], v5 offset:344
	s_waitcnt lgkmcnt(0)
	v_mul_f32_e32 v7, v2, v6
	v_mul_f32_e32 v6, v8, v6
	v_fma_f32 v7, v8, v5, -v7
	v_fmac_f32_e32 v6, v2, v5
	buffer_store_dword v7, off, s[0:3], 0 offset:344
	buffer_store_dword v6, off, s[0:3], 0 offset:348
.LBB53_187:
	s_or_b32 exec_lo, exec_lo, s4
	s_waitcnt_vscnt null, 0x0
	s_barrier
	buffer_gl0_inv
	s_clause 0x1
	buffer_load_dword v5, off, s[0:3], 0 offset:352
	buffer_load_dword v6, off, s[0:3], 0 offset:356
	s_mov_b32 s4, exec_lo
	s_waitcnt vmcnt(0)
	ds_write_b64 v4, v[5:6]
	s_waitcnt lgkmcnt(0)
	s_barrier
	buffer_gl0_inv
	v_cmpx_gt_u32_e32 44, v0
	s_cbranch_execz .LBB53_191
; %bb.188:
	v_add_nc_u32_e32 v5, -1, v0
	v_add_nc_u32_e32 v6, 0x1b0, v3
	v_mov_b32_e32 v7, v3
	v_mov_b32_e32 v2, 0
	;; [unrolled: 1-line block ×3, first 2 shown]
	s_mov_b32 s5, 0
	.p2align	6
.LBB53_189:                             ; =>This Inner Loop Header: Depth=1
	s_clause 0x1
	buffer_load_dword v119, v7, s[0:3], 0 offen offset:4
	buffer_load_dword v120, v7, s[0:3], 0 offen
	ds_read_b64 v[117:118], v6
	v_add_nc_u32_e32 v5, 1, v5
	v_add_nc_u32_e32 v6, 8, v6
	;; [unrolled: 1-line block ×3, first 2 shown]
	v_cmp_lt_u32_e32 vcc_lo, 42, v5
	s_or_b32 s5, vcc_lo, s5
	s_waitcnt vmcnt(1) lgkmcnt(0)
	v_mul_f32_e32 v121, v118, v119
	v_mul_f32_e32 v119, v117, v119
	s_waitcnt vmcnt(0)
	v_fma_f32 v117, v117, v120, -v121
	v_fmac_f32_e32 v119, v118, v120
	v_add_f32_e32 v8, v8, v117
	v_add_f32_e32 v2, v2, v119
	s_andn2_b32 exec_lo, exec_lo, s5
	s_cbranch_execnz .LBB53_189
; %bb.190:
	s_or_b32 exec_lo, exec_lo, s5
	v_mov_b32_e32 v5, 0
	ds_read_b64 v[5:6], v5 offset:352
	s_waitcnt lgkmcnt(0)
	v_mul_f32_e32 v7, v2, v6
	v_mul_f32_e32 v6, v8, v6
	v_fma_f32 v7, v8, v5, -v7
	v_fmac_f32_e32 v6, v2, v5
	buffer_store_dword v7, off, s[0:3], 0 offset:352
	buffer_store_dword v6, off, s[0:3], 0 offset:356
.LBB53_191:
	s_or_b32 exec_lo, exec_lo, s4
	s_waitcnt_vscnt null, 0x0
	s_barrier
	buffer_gl0_inv
	s_clause 0x1
	buffer_load_dword v5, off, s[0:3], 0 offset:360
	buffer_load_dword v6, off, s[0:3], 0 offset:364
	s_mov_b32 s4, exec_lo
	s_waitcnt vmcnt(0)
	ds_write_b64 v4, v[5:6]
	s_waitcnt lgkmcnt(0)
	s_barrier
	buffer_gl0_inv
	v_cmpx_gt_u32_e32 45, v0
	s_cbranch_execz .LBB53_195
; %bb.192:
	v_add_nc_u32_e32 v5, -1, v0
	v_add_nc_u32_e32 v6, 0x1b0, v3
	v_mov_b32_e32 v7, v3
	v_mov_b32_e32 v2, 0
	;; [unrolled: 1-line block ×3, first 2 shown]
	s_mov_b32 s5, 0
	.p2align	6
.LBB53_193:                             ; =>This Inner Loop Header: Depth=1
	s_clause 0x1
	buffer_load_dword v119, v7, s[0:3], 0 offen offset:4
	buffer_load_dword v120, v7, s[0:3], 0 offen
	ds_read_b64 v[117:118], v6
	v_add_nc_u32_e32 v5, 1, v5
	v_add_nc_u32_e32 v6, 8, v6
	;; [unrolled: 1-line block ×3, first 2 shown]
	v_cmp_lt_u32_e32 vcc_lo, 43, v5
	s_or_b32 s5, vcc_lo, s5
	s_waitcnt vmcnt(1) lgkmcnt(0)
	v_mul_f32_e32 v121, v118, v119
	v_mul_f32_e32 v119, v117, v119
	s_waitcnt vmcnt(0)
	v_fma_f32 v117, v117, v120, -v121
	v_fmac_f32_e32 v119, v118, v120
	v_add_f32_e32 v8, v8, v117
	v_add_f32_e32 v2, v2, v119
	s_andn2_b32 exec_lo, exec_lo, s5
	s_cbranch_execnz .LBB53_193
; %bb.194:
	s_or_b32 exec_lo, exec_lo, s5
	v_mov_b32_e32 v5, 0
	ds_read_b64 v[5:6], v5 offset:360
	s_waitcnt lgkmcnt(0)
	v_mul_f32_e32 v7, v2, v6
	v_mul_f32_e32 v6, v8, v6
	v_fma_f32 v7, v8, v5, -v7
	v_fmac_f32_e32 v6, v2, v5
	buffer_store_dword v7, off, s[0:3], 0 offset:360
	buffer_store_dword v6, off, s[0:3], 0 offset:364
.LBB53_195:
	s_or_b32 exec_lo, exec_lo, s4
	s_waitcnt_vscnt null, 0x0
	s_barrier
	buffer_gl0_inv
	s_clause 0x1
	buffer_load_dword v5, off, s[0:3], 0 offset:368
	buffer_load_dword v6, off, s[0:3], 0 offset:372
	s_mov_b32 s4, exec_lo
	s_waitcnt vmcnt(0)
	ds_write_b64 v4, v[5:6]
	s_waitcnt lgkmcnt(0)
	s_barrier
	buffer_gl0_inv
	v_cmpx_gt_u32_e32 46, v0
	s_cbranch_execz .LBB53_199
; %bb.196:
	v_add_nc_u32_e32 v5, -1, v0
	v_add_nc_u32_e32 v6, 0x1b0, v3
	v_mov_b32_e32 v7, v3
	v_mov_b32_e32 v2, 0
	;; [unrolled: 1-line block ×3, first 2 shown]
	s_mov_b32 s5, 0
	.p2align	6
.LBB53_197:                             ; =>This Inner Loop Header: Depth=1
	s_clause 0x1
	buffer_load_dword v119, v7, s[0:3], 0 offen offset:4
	buffer_load_dword v120, v7, s[0:3], 0 offen
	ds_read_b64 v[117:118], v6
	v_add_nc_u32_e32 v5, 1, v5
	v_add_nc_u32_e32 v6, 8, v6
	;; [unrolled: 1-line block ×3, first 2 shown]
	v_cmp_lt_u32_e32 vcc_lo, 44, v5
	s_or_b32 s5, vcc_lo, s5
	s_waitcnt vmcnt(1) lgkmcnt(0)
	v_mul_f32_e32 v121, v118, v119
	v_mul_f32_e32 v119, v117, v119
	s_waitcnt vmcnt(0)
	v_fma_f32 v117, v117, v120, -v121
	v_fmac_f32_e32 v119, v118, v120
	v_add_f32_e32 v8, v8, v117
	v_add_f32_e32 v2, v2, v119
	s_andn2_b32 exec_lo, exec_lo, s5
	s_cbranch_execnz .LBB53_197
; %bb.198:
	s_or_b32 exec_lo, exec_lo, s5
	v_mov_b32_e32 v5, 0
	ds_read_b64 v[5:6], v5 offset:368
	s_waitcnt lgkmcnt(0)
	v_mul_f32_e32 v7, v2, v6
	v_mul_f32_e32 v6, v8, v6
	v_fma_f32 v7, v8, v5, -v7
	v_fmac_f32_e32 v6, v2, v5
	buffer_store_dword v7, off, s[0:3], 0 offset:368
	buffer_store_dword v6, off, s[0:3], 0 offset:372
.LBB53_199:
	s_or_b32 exec_lo, exec_lo, s4
	s_waitcnt_vscnt null, 0x0
	s_barrier
	buffer_gl0_inv
	s_clause 0x1
	buffer_load_dword v5, off, s[0:3], 0 offset:376
	buffer_load_dword v6, off, s[0:3], 0 offset:380
	s_mov_b32 s4, exec_lo
	s_waitcnt vmcnt(0)
	ds_write_b64 v4, v[5:6]
	s_waitcnt lgkmcnt(0)
	s_barrier
	buffer_gl0_inv
	v_cmpx_gt_u32_e32 47, v0
	s_cbranch_execz .LBB53_203
; %bb.200:
	v_add_nc_u32_e32 v5, -1, v0
	v_add_nc_u32_e32 v6, 0x1b0, v3
	v_mov_b32_e32 v7, v3
	v_mov_b32_e32 v2, 0
	;; [unrolled: 1-line block ×3, first 2 shown]
	s_mov_b32 s5, 0
	.p2align	6
.LBB53_201:                             ; =>This Inner Loop Header: Depth=1
	s_clause 0x1
	buffer_load_dword v119, v7, s[0:3], 0 offen offset:4
	buffer_load_dword v120, v7, s[0:3], 0 offen
	ds_read_b64 v[117:118], v6
	v_add_nc_u32_e32 v5, 1, v5
	v_add_nc_u32_e32 v6, 8, v6
	;; [unrolled: 1-line block ×3, first 2 shown]
	v_cmp_lt_u32_e32 vcc_lo, 45, v5
	s_or_b32 s5, vcc_lo, s5
	s_waitcnt vmcnt(1) lgkmcnt(0)
	v_mul_f32_e32 v121, v118, v119
	v_mul_f32_e32 v119, v117, v119
	s_waitcnt vmcnt(0)
	v_fma_f32 v117, v117, v120, -v121
	v_fmac_f32_e32 v119, v118, v120
	v_add_f32_e32 v8, v8, v117
	v_add_f32_e32 v2, v2, v119
	s_andn2_b32 exec_lo, exec_lo, s5
	s_cbranch_execnz .LBB53_201
; %bb.202:
	s_or_b32 exec_lo, exec_lo, s5
	v_mov_b32_e32 v5, 0
	ds_read_b64 v[5:6], v5 offset:376
	s_waitcnt lgkmcnt(0)
	v_mul_f32_e32 v7, v2, v6
	v_mul_f32_e32 v6, v8, v6
	v_fma_f32 v7, v8, v5, -v7
	v_fmac_f32_e32 v6, v2, v5
	buffer_store_dword v7, off, s[0:3], 0 offset:376
	buffer_store_dword v6, off, s[0:3], 0 offset:380
.LBB53_203:
	s_or_b32 exec_lo, exec_lo, s4
	s_waitcnt_vscnt null, 0x0
	s_barrier
	buffer_gl0_inv
	s_clause 0x1
	buffer_load_dword v5, off, s[0:3], 0 offset:384
	buffer_load_dword v6, off, s[0:3], 0 offset:388
	s_mov_b32 s4, exec_lo
	s_waitcnt vmcnt(0)
	ds_write_b64 v4, v[5:6]
	s_waitcnt lgkmcnt(0)
	s_barrier
	buffer_gl0_inv
	v_cmpx_gt_u32_e32 48, v0
	s_cbranch_execz .LBB53_207
; %bb.204:
	v_add_nc_u32_e32 v5, -1, v0
	v_add_nc_u32_e32 v6, 0x1b0, v3
	v_mov_b32_e32 v7, v3
	v_mov_b32_e32 v2, 0
	;; [unrolled: 1-line block ×3, first 2 shown]
	s_mov_b32 s5, 0
	.p2align	6
.LBB53_205:                             ; =>This Inner Loop Header: Depth=1
	s_clause 0x1
	buffer_load_dword v119, v7, s[0:3], 0 offen offset:4
	buffer_load_dword v120, v7, s[0:3], 0 offen
	ds_read_b64 v[117:118], v6
	v_add_nc_u32_e32 v5, 1, v5
	v_add_nc_u32_e32 v6, 8, v6
	;; [unrolled: 1-line block ×3, first 2 shown]
	v_cmp_lt_u32_e32 vcc_lo, 46, v5
	s_or_b32 s5, vcc_lo, s5
	s_waitcnt vmcnt(1) lgkmcnt(0)
	v_mul_f32_e32 v121, v118, v119
	v_mul_f32_e32 v119, v117, v119
	s_waitcnt vmcnt(0)
	v_fma_f32 v117, v117, v120, -v121
	v_fmac_f32_e32 v119, v118, v120
	v_add_f32_e32 v8, v8, v117
	v_add_f32_e32 v2, v2, v119
	s_andn2_b32 exec_lo, exec_lo, s5
	s_cbranch_execnz .LBB53_205
; %bb.206:
	s_or_b32 exec_lo, exec_lo, s5
	v_mov_b32_e32 v5, 0
	ds_read_b64 v[5:6], v5 offset:384
	s_waitcnt lgkmcnt(0)
	v_mul_f32_e32 v7, v2, v6
	v_mul_f32_e32 v6, v8, v6
	v_fma_f32 v7, v8, v5, -v7
	v_fmac_f32_e32 v6, v2, v5
	buffer_store_dword v7, off, s[0:3], 0 offset:384
	buffer_store_dword v6, off, s[0:3], 0 offset:388
.LBB53_207:
	s_or_b32 exec_lo, exec_lo, s4
	s_waitcnt_vscnt null, 0x0
	s_barrier
	buffer_gl0_inv
	s_clause 0x1
	buffer_load_dword v5, off, s[0:3], 0 offset:392
	buffer_load_dword v6, off, s[0:3], 0 offset:396
	s_mov_b32 s4, exec_lo
	s_waitcnt vmcnt(0)
	ds_write_b64 v4, v[5:6]
	s_waitcnt lgkmcnt(0)
	s_barrier
	buffer_gl0_inv
	v_cmpx_gt_u32_e32 49, v0
	s_cbranch_execz .LBB53_211
; %bb.208:
	v_add_nc_u32_e32 v5, -1, v0
	v_add_nc_u32_e32 v6, 0x1b0, v3
	v_mov_b32_e32 v7, v3
	v_mov_b32_e32 v2, 0
	;; [unrolled: 1-line block ×3, first 2 shown]
	s_mov_b32 s5, 0
	.p2align	6
.LBB53_209:                             ; =>This Inner Loop Header: Depth=1
	s_clause 0x1
	buffer_load_dword v119, v7, s[0:3], 0 offen offset:4
	buffer_load_dword v120, v7, s[0:3], 0 offen
	ds_read_b64 v[117:118], v6
	v_add_nc_u32_e32 v5, 1, v5
	v_add_nc_u32_e32 v6, 8, v6
	;; [unrolled: 1-line block ×3, first 2 shown]
	v_cmp_lt_u32_e32 vcc_lo, 47, v5
	s_or_b32 s5, vcc_lo, s5
	s_waitcnt vmcnt(1) lgkmcnt(0)
	v_mul_f32_e32 v121, v118, v119
	v_mul_f32_e32 v119, v117, v119
	s_waitcnt vmcnt(0)
	v_fma_f32 v117, v117, v120, -v121
	v_fmac_f32_e32 v119, v118, v120
	v_add_f32_e32 v8, v8, v117
	v_add_f32_e32 v2, v2, v119
	s_andn2_b32 exec_lo, exec_lo, s5
	s_cbranch_execnz .LBB53_209
; %bb.210:
	s_or_b32 exec_lo, exec_lo, s5
	v_mov_b32_e32 v5, 0
	ds_read_b64 v[5:6], v5 offset:392
	s_waitcnt lgkmcnt(0)
	v_mul_f32_e32 v7, v2, v6
	v_mul_f32_e32 v6, v8, v6
	v_fma_f32 v7, v8, v5, -v7
	v_fmac_f32_e32 v6, v2, v5
	buffer_store_dword v7, off, s[0:3], 0 offset:392
	buffer_store_dword v6, off, s[0:3], 0 offset:396
.LBB53_211:
	s_or_b32 exec_lo, exec_lo, s4
	s_waitcnt_vscnt null, 0x0
	s_barrier
	buffer_gl0_inv
	s_clause 0x1
	buffer_load_dword v5, off, s[0:3], 0 offset:400
	buffer_load_dword v6, off, s[0:3], 0 offset:404
	s_mov_b32 s4, exec_lo
	s_waitcnt vmcnt(0)
	ds_write_b64 v4, v[5:6]
	s_waitcnt lgkmcnt(0)
	s_barrier
	buffer_gl0_inv
	v_cmpx_gt_u32_e32 50, v0
	s_cbranch_execz .LBB53_215
; %bb.212:
	v_add_nc_u32_e32 v5, -1, v0
	v_add_nc_u32_e32 v6, 0x1b0, v3
	v_mov_b32_e32 v7, v3
	v_mov_b32_e32 v2, 0
	;; [unrolled: 1-line block ×3, first 2 shown]
	s_mov_b32 s5, 0
	.p2align	6
.LBB53_213:                             ; =>This Inner Loop Header: Depth=1
	s_clause 0x1
	buffer_load_dword v119, v7, s[0:3], 0 offen offset:4
	buffer_load_dword v120, v7, s[0:3], 0 offen
	ds_read_b64 v[117:118], v6
	v_add_nc_u32_e32 v5, 1, v5
	v_add_nc_u32_e32 v6, 8, v6
	;; [unrolled: 1-line block ×3, first 2 shown]
	v_cmp_lt_u32_e32 vcc_lo, 48, v5
	s_or_b32 s5, vcc_lo, s5
	s_waitcnt vmcnt(1) lgkmcnt(0)
	v_mul_f32_e32 v121, v118, v119
	v_mul_f32_e32 v119, v117, v119
	s_waitcnt vmcnt(0)
	v_fma_f32 v117, v117, v120, -v121
	v_fmac_f32_e32 v119, v118, v120
	v_add_f32_e32 v8, v8, v117
	v_add_f32_e32 v2, v2, v119
	s_andn2_b32 exec_lo, exec_lo, s5
	s_cbranch_execnz .LBB53_213
; %bb.214:
	s_or_b32 exec_lo, exec_lo, s5
	v_mov_b32_e32 v5, 0
	ds_read_b64 v[5:6], v5 offset:400
	s_waitcnt lgkmcnt(0)
	v_mul_f32_e32 v7, v2, v6
	v_mul_f32_e32 v6, v8, v6
	v_fma_f32 v7, v8, v5, -v7
	v_fmac_f32_e32 v6, v2, v5
	buffer_store_dword v7, off, s[0:3], 0 offset:400
	buffer_store_dword v6, off, s[0:3], 0 offset:404
.LBB53_215:
	s_or_b32 exec_lo, exec_lo, s4
	s_waitcnt_vscnt null, 0x0
	s_barrier
	buffer_gl0_inv
	s_clause 0x1
	buffer_load_dword v5, off, s[0:3], 0 offset:408
	buffer_load_dword v6, off, s[0:3], 0 offset:412
	s_mov_b32 s4, exec_lo
	s_waitcnt vmcnt(0)
	ds_write_b64 v4, v[5:6]
	s_waitcnt lgkmcnt(0)
	s_barrier
	buffer_gl0_inv
	v_cmpx_gt_u32_e32 51, v0
	s_cbranch_execz .LBB53_219
; %bb.216:
	v_add_nc_u32_e32 v5, -1, v0
	v_add_nc_u32_e32 v6, 0x1b0, v3
	v_mov_b32_e32 v7, v3
	v_mov_b32_e32 v2, 0
	;; [unrolled: 1-line block ×3, first 2 shown]
	s_mov_b32 s5, 0
	.p2align	6
.LBB53_217:                             ; =>This Inner Loop Header: Depth=1
	s_clause 0x1
	buffer_load_dword v119, v7, s[0:3], 0 offen offset:4
	buffer_load_dword v120, v7, s[0:3], 0 offen
	ds_read_b64 v[117:118], v6
	v_add_nc_u32_e32 v5, 1, v5
	v_add_nc_u32_e32 v6, 8, v6
	;; [unrolled: 1-line block ×3, first 2 shown]
	v_cmp_lt_u32_e32 vcc_lo, 49, v5
	s_or_b32 s5, vcc_lo, s5
	s_waitcnt vmcnt(1) lgkmcnt(0)
	v_mul_f32_e32 v121, v118, v119
	v_mul_f32_e32 v119, v117, v119
	s_waitcnt vmcnt(0)
	v_fma_f32 v117, v117, v120, -v121
	v_fmac_f32_e32 v119, v118, v120
	v_add_f32_e32 v8, v8, v117
	v_add_f32_e32 v2, v2, v119
	s_andn2_b32 exec_lo, exec_lo, s5
	s_cbranch_execnz .LBB53_217
; %bb.218:
	s_or_b32 exec_lo, exec_lo, s5
	v_mov_b32_e32 v5, 0
	ds_read_b64 v[5:6], v5 offset:408
	s_waitcnt lgkmcnt(0)
	v_mul_f32_e32 v7, v2, v6
	v_mul_f32_e32 v6, v8, v6
	v_fma_f32 v7, v8, v5, -v7
	v_fmac_f32_e32 v6, v2, v5
	buffer_store_dword v7, off, s[0:3], 0 offset:408
	buffer_store_dword v6, off, s[0:3], 0 offset:412
.LBB53_219:
	s_or_b32 exec_lo, exec_lo, s4
	s_waitcnt_vscnt null, 0x0
	s_barrier
	buffer_gl0_inv
	s_clause 0x1
	buffer_load_dword v5, off, s[0:3], 0 offset:416
	buffer_load_dword v6, off, s[0:3], 0 offset:420
	s_mov_b32 s4, exec_lo
	s_waitcnt vmcnt(0)
	ds_write_b64 v4, v[5:6]
	s_waitcnt lgkmcnt(0)
	s_barrier
	buffer_gl0_inv
	v_cmpx_gt_u32_e32 52, v0
	s_cbranch_execz .LBB53_223
; %bb.220:
	v_add_nc_u32_e32 v5, -1, v0
	v_add_nc_u32_e32 v6, 0x1b0, v3
	v_mov_b32_e32 v7, v3
	v_mov_b32_e32 v2, 0
	;; [unrolled: 1-line block ×3, first 2 shown]
	s_mov_b32 s5, 0
	.p2align	6
.LBB53_221:                             ; =>This Inner Loop Header: Depth=1
	s_clause 0x1
	buffer_load_dword v119, v7, s[0:3], 0 offen offset:4
	buffer_load_dword v120, v7, s[0:3], 0 offen
	ds_read_b64 v[117:118], v6
	v_add_nc_u32_e32 v5, 1, v5
	v_add_nc_u32_e32 v6, 8, v6
	;; [unrolled: 1-line block ×3, first 2 shown]
	v_cmp_lt_u32_e32 vcc_lo, 50, v5
	s_or_b32 s5, vcc_lo, s5
	s_waitcnt vmcnt(1) lgkmcnt(0)
	v_mul_f32_e32 v121, v118, v119
	v_mul_f32_e32 v119, v117, v119
	s_waitcnt vmcnt(0)
	v_fma_f32 v117, v117, v120, -v121
	v_fmac_f32_e32 v119, v118, v120
	v_add_f32_e32 v8, v8, v117
	v_add_f32_e32 v2, v2, v119
	s_andn2_b32 exec_lo, exec_lo, s5
	s_cbranch_execnz .LBB53_221
; %bb.222:
	s_or_b32 exec_lo, exec_lo, s5
	v_mov_b32_e32 v5, 0
	ds_read_b64 v[5:6], v5 offset:416
	s_waitcnt lgkmcnt(0)
	v_mul_f32_e32 v7, v2, v6
	v_mul_f32_e32 v6, v8, v6
	v_fma_f32 v7, v8, v5, -v7
	v_fmac_f32_e32 v6, v2, v5
	buffer_store_dword v7, off, s[0:3], 0 offset:416
	buffer_store_dword v6, off, s[0:3], 0 offset:420
.LBB53_223:
	s_or_b32 exec_lo, exec_lo, s4
	s_waitcnt_vscnt null, 0x0
	s_barrier
	buffer_gl0_inv
	s_clause 0x1
	buffer_load_dword v5, off, s[0:3], 0 offset:424
	buffer_load_dword v6, off, s[0:3], 0 offset:428
	s_mov_b32 s4, exec_lo
	s_waitcnt vmcnt(0)
	ds_write_b64 v4, v[5:6]
	s_waitcnt lgkmcnt(0)
	s_barrier
	buffer_gl0_inv
	v_cmpx_ne_u32_e32 53, v0
	s_cbranch_execz .LBB53_227
; %bb.224:
	v_mov_b32_e32 v2, 0
	v_mov_b32_e32 v5, 0
	s_mov_b32 s5, 0
	.p2align	6
.LBB53_225:                             ; =>This Inner Loop Header: Depth=1
	s_clause 0x1
	buffer_load_dword v8, v3, s[0:3], 0 offen offset:4
	buffer_load_dword v117, v3, s[0:3], 0 offen
	ds_read_b64 v[6:7], v4
	v_add_nc_u32_e32 v1, 1, v1
	v_add_nc_u32_e32 v4, 8, v4
	;; [unrolled: 1-line block ×3, first 2 shown]
	v_cmp_lt_u32_e32 vcc_lo, 51, v1
	s_or_b32 s5, vcc_lo, s5
	s_waitcnt vmcnt(1) lgkmcnt(0)
	v_mul_f32_e32 v118, v7, v8
	v_mul_f32_e32 v8, v6, v8
	s_waitcnt vmcnt(0)
	v_fma_f32 v6, v6, v117, -v118
	v_fmac_f32_e32 v8, v7, v117
	v_add_f32_e32 v5, v5, v6
	v_add_f32_e32 v2, v2, v8
	s_andn2_b32 exec_lo, exec_lo, s5
	s_cbranch_execnz .LBB53_225
; %bb.226:
	s_or_b32 exec_lo, exec_lo, s5
	v_mov_b32_e32 v1, 0
	ds_read_b64 v[3:4], v1 offset:424
	s_waitcnt lgkmcnt(0)
	v_mul_f32_e32 v1, v2, v4
	v_mul_f32_e32 v4, v5, v4
	v_fma_f32 v1, v5, v3, -v1
	v_fmac_f32_e32 v4, v2, v3
	buffer_store_dword v1, off, s[0:3], 0 offset:424
	buffer_store_dword v4, off, s[0:3], 0 offset:428
.LBB53_227:
	s_or_b32 exec_lo, exec_lo, s4
	s_mov_b32 s5, -1
	s_waitcnt_vscnt null, 0x0
	s_barrier
	buffer_gl0_inv
.LBB53_228:
	s_and_b32 vcc_lo, exec_lo, s5
	s_cbranch_vccz .LBB53_230
; %bb.229:
	s_lshl_b64 s[4:5], s[6:7], 2
	v_mov_b32_e32 v1, 0
	s_add_u32 s4, s10, s4
	s_addc_u32 s5, s11, s5
	global_load_dword v1, v1, s[4:5]
	s_waitcnt vmcnt(0)
	v_cmp_ne_u32_e32 vcc_lo, 0, v1
	s_cbranch_vccz .LBB53_231
.LBB53_230:
	s_endpgm
.LBB53_231:
	v_lshl_add_u32 v117, v0, 3, 0x1b0
	s_mov_b32 s4, exec_lo
	v_cmpx_eq_u32_e32 53, v0
	s_cbranch_execz .LBB53_233
; %bb.232:
	s_clause 0x1
	buffer_load_dword v1, off, s[0:3], 0 offset:416
	buffer_load_dword v2, off, s[0:3], 0 offset:420
	v_mov_b32_e32 v3, 0
	buffer_store_dword v3, off, s[0:3], 0 offset:416
	buffer_store_dword v3, off, s[0:3], 0 offset:420
	s_waitcnt vmcnt(0)
	ds_write_b64 v117, v[1:2]
.LBB53_233:
	s_or_b32 exec_lo, exec_lo, s4
	s_waitcnt lgkmcnt(0)
	s_waitcnt_vscnt null, 0x0
	s_barrier
	buffer_gl0_inv
	s_clause 0x3
	buffer_load_dword v4, off, s[0:3], 0 offset:428
	buffer_load_dword v5, off, s[0:3], 0 offset:424
	;; [unrolled: 1-line block ×4, first 2 shown]
	v_mov_b32_e32 v1, 0
	s_mov_b32 s4, exec_lo
	ds_read_b64 v[2:3], v1 offset:856
	s_waitcnt vmcnt(3) lgkmcnt(0)
	v_mul_f32_e32 v8, v3, v4
	v_mul_f32_e32 v4, v2, v4
	s_waitcnt vmcnt(2)
	v_fma_f32 v2, v2, v5, -v8
	v_fmac_f32_e32 v4, v3, v5
	v_add_f32_e32 v2, 0, v2
	v_add_f32_e32 v3, 0, v4
	s_waitcnt vmcnt(1)
	v_sub_f32_e32 v2, v6, v2
	s_waitcnt vmcnt(0)
	v_sub_f32_e32 v3, v7, v3
	buffer_store_dword v2, off, s[0:3], 0 offset:416
	buffer_store_dword v3, off, s[0:3], 0 offset:420
	v_cmpx_lt_u32_e32 51, v0
	s_cbranch_execz .LBB53_235
; %bb.234:
	s_clause 0x1
	buffer_load_dword v2, off, s[0:3], 0 offset:408
	buffer_load_dword v3, off, s[0:3], 0 offset:412
	buffer_store_dword v1, off, s[0:3], 0 offset:408
	buffer_store_dword v1, off, s[0:3], 0 offset:412
	s_waitcnt vmcnt(0)
	ds_write_b64 v117, v[2:3]
.LBB53_235:
	s_or_b32 exec_lo, exec_lo, s4
	s_waitcnt lgkmcnt(0)
	s_waitcnt_vscnt null, 0x0
	s_barrier
	buffer_gl0_inv
	s_clause 0x5
	buffer_load_dword v5, off, s[0:3], 0 offset:420
	buffer_load_dword v6, off, s[0:3], 0 offset:428
	;; [unrolled: 1-line block ×6, first 2 shown]
	ds_read_b128 v[1:4], v1 offset:848
	s_mov_b32 s4, exec_lo
	s_waitcnt vmcnt(5) lgkmcnt(0)
	v_mul_f32_e32 v120, v2, v5
	v_mul_f32_e32 v5, v1, v5
	s_waitcnt vmcnt(4)
	v_mul_f32_e32 v121, v3, v6
	v_mul_f32_e32 v6, v4, v6
	s_waitcnt vmcnt(3)
	v_fma_f32 v1, v1, v7, -v120
	v_fmac_f32_e32 v5, v2, v7
	s_waitcnt vmcnt(2)
	v_fmac_f32_e32 v121, v4, v8
	v_fma_f32 v2, v3, v8, -v6
	v_add_f32_e32 v1, 0, v1
	v_add_f32_e32 v3, 0, v5
	;; [unrolled: 1-line block ×4, first 2 shown]
	s_waitcnt vmcnt(1)
	v_sub_f32_e32 v1, v118, v1
	s_waitcnt vmcnt(0)
	v_sub_f32_e32 v2, v119, v2
	buffer_store_dword v1, off, s[0:3], 0 offset:408
	buffer_store_dword v2, off, s[0:3], 0 offset:412
	v_cmpx_lt_u32_e32 50, v0
	s_cbranch_execz .LBB53_237
; %bb.236:
	s_clause 0x1
	buffer_load_dword v1, off, s[0:3], 0 offset:400
	buffer_load_dword v2, off, s[0:3], 0 offset:404
	v_mov_b32_e32 v3, 0
	buffer_store_dword v3, off, s[0:3], 0 offset:400
	buffer_store_dword v3, off, s[0:3], 0 offset:404
	s_waitcnt vmcnt(0)
	ds_write_b64 v117, v[1:2]
.LBB53_237:
	s_or_b32 exec_lo, exec_lo, s4
	s_waitcnt lgkmcnt(0)
	s_waitcnt_vscnt null, 0x0
	s_barrier
	buffer_gl0_inv
	s_clause 0x7
	buffer_load_dword v8, off, s[0:3], 0 offset:412
	buffer_load_dword v118, off, s[0:3], 0 offset:420
	;; [unrolled: 1-line block ×8, first 2 shown]
	v_mov_b32_e32 v1, 0
	ds_read2_b64 v[2:5], v1 offset0:105 offset1:106
	ds_read_b64 v[6:7], v1 offset:856
	s_mov_b32 s4, exec_lo
	s_waitcnt vmcnt(7) lgkmcnt(1)
	v_mul_f32_e32 v125, v3, v8
	v_mul_f32_e32 v8, v2, v8
	s_waitcnt vmcnt(6)
	v_mul_f32_e32 v126, v4, v118
	v_mul_f32_e32 v118, v5, v118
	s_waitcnt vmcnt(5) lgkmcnt(0)
	v_mul_f32_e32 v127, v6, v119
	s_waitcnt vmcnt(4)
	v_fma_f32 v2, v2, v120, -v125
	v_fmac_f32_e32 v8, v3, v120
	v_mul_f32_e32 v3, v7, v119
	s_waitcnt vmcnt(3)
	v_fma_f32 v4, v4, v121, -v118
	v_fmac_f32_e32 v126, v5, v121
	v_add_f32_e32 v2, 0, v2
	v_add_f32_e32 v5, 0, v8
	s_waitcnt vmcnt(2)
	v_fma_f32 v3, v6, v122, -v3
	v_fmac_f32_e32 v127, v7, v122
	v_add_f32_e32 v2, v2, v4
	v_add_f32_e32 v4, v5, v126
	v_add_f32_e32 v2, v2, v3
	v_add_f32_e32 v3, v4, v127
	s_waitcnt vmcnt(1)
	v_sub_f32_e32 v2, v123, v2
	s_waitcnt vmcnt(0)
	v_sub_f32_e32 v3, v124, v3
	buffer_store_dword v2, off, s[0:3], 0 offset:400
	buffer_store_dword v3, off, s[0:3], 0 offset:404
	v_cmpx_lt_u32_e32 49, v0
	s_cbranch_execz .LBB53_239
; %bb.238:
	s_clause 0x1
	buffer_load_dword v2, off, s[0:3], 0 offset:392
	buffer_load_dword v3, off, s[0:3], 0 offset:396
	buffer_store_dword v1, off, s[0:3], 0 offset:392
	buffer_store_dword v1, off, s[0:3], 0 offset:396
	s_waitcnt vmcnt(0)
	ds_write_b64 v117, v[2:3]
.LBB53_239:
	s_or_b32 exec_lo, exec_lo, s4
	s_waitcnt lgkmcnt(0)
	s_waitcnt_vscnt null, 0x0
	s_barrier
	buffer_gl0_inv
	s_clause 0x9
	buffer_load_dword v6, off, s[0:3], 0 offset:404
	buffer_load_dword v7, off, s[0:3], 0 offset:412
	;; [unrolled: 1-line block ×10, first 2 shown]
	ds_read_b128 v[2:5], v1 offset:832
	ds_read_b128 v[118:121], v1 offset:848
	s_mov_b32 s4, exec_lo
	s_waitcnt vmcnt(9) lgkmcnt(1)
	v_mul_f32_e32 v1, v2, v6
	v_mul_f32_e32 v6, v3, v6
	s_waitcnt vmcnt(8)
	v_mul_f32_e32 v129, v4, v7
	v_mul_f32_e32 v7, v5, v7
	s_waitcnt vmcnt(7) lgkmcnt(0)
	v_mul_f32_e32 v130, v118, v8
	s_waitcnt vmcnt(5)
	v_fmac_f32_e32 v1, v3, v123
	v_fma_f32 v2, v2, v123, -v6
	v_mul_f32_e32 v3, v119, v8
	s_waitcnt vmcnt(4)
	v_fma_f32 v4, v4, v124, -v7
	v_fmac_f32_e32 v129, v5, v124
	v_add_f32_e32 v1, 0, v1
	v_add_f32_e32 v2, 0, v2
	v_mul_f32_e32 v5, v121, v122
	s_waitcnt vmcnt(3)
	v_fma_f32 v3, v118, v125, -v3
	v_mul_f32_e32 v131, v120, v122
	v_fmac_f32_e32 v130, v119, v125
	v_add_f32_e32 v2, v2, v4
	v_add_f32_e32 v1, v1, v129
	s_waitcnt vmcnt(2)
	v_fma_f32 v4, v120, v126, -v5
	v_fmac_f32_e32 v131, v121, v126
	v_add_f32_e32 v2, v2, v3
	v_add_f32_e32 v1, v1, v130
	;; [unrolled: 1-line block ×4, first 2 shown]
	s_waitcnt vmcnt(1)
	v_sub_f32_e32 v2, v127, v2
	s_waitcnt vmcnt(0)
	v_sub_f32_e32 v1, v128, v1
	buffer_store_dword v2, off, s[0:3], 0 offset:392
	buffer_store_dword v1, off, s[0:3], 0 offset:396
	v_cmpx_lt_u32_e32 48, v0
	s_cbranch_execz .LBB53_241
; %bb.240:
	s_clause 0x1
	buffer_load_dword v1, off, s[0:3], 0 offset:384
	buffer_load_dword v2, off, s[0:3], 0 offset:388
	v_mov_b32_e32 v3, 0
	buffer_store_dword v3, off, s[0:3], 0 offset:384
	buffer_store_dword v3, off, s[0:3], 0 offset:388
	s_waitcnt vmcnt(0)
	ds_write_b64 v117, v[1:2]
.LBB53_241:
	s_or_b32 exec_lo, exec_lo, s4
	s_waitcnt lgkmcnt(0)
	s_waitcnt_vscnt null, 0x0
	s_barrier
	buffer_gl0_inv
	s_clause 0xb
	buffer_load_dword v8, off, s[0:3], 0 offset:396
	buffer_load_dword v122, off, s[0:3], 0 offset:404
	buffer_load_dword v123, off, s[0:3], 0 offset:412
	buffer_load_dword v124, off, s[0:3], 0 offset:420
	buffer_load_dword v125, off, s[0:3], 0 offset:428
	buffer_load_dword v126, off, s[0:3], 0 offset:392
	buffer_load_dword v127, off, s[0:3], 0 offset:400
	buffer_load_dword v128, off, s[0:3], 0 offset:408
	buffer_load_dword v129, off, s[0:3], 0 offset:416
	buffer_load_dword v130, off, s[0:3], 0 offset:424
	buffer_load_dword v131, off, s[0:3], 0 offset:384
	buffer_load_dword v132, off, s[0:3], 0 offset:388
	v_mov_b32_e32 v1, 0
	ds_read2_b64 v[2:5], v1 offset0:103 offset1:104
	ds_read2_b64 v[118:121], v1 offset0:105 offset1:106
	ds_read_b64 v[6:7], v1 offset:856
	s_mov_b32 s4, exec_lo
	s_waitcnt vmcnt(11) lgkmcnt(2)
	v_mul_f32_e32 v133, v2, v8
	v_mul_f32_e32 v8, v3, v8
	s_waitcnt vmcnt(10)
	v_mul_f32_e32 v134, v4, v122
	v_mul_f32_e32 v122, v5, v122
	s_waitcnt vmcnt(9) lgkmcnt(1)
	v_mul_f32_e32 v135, v118, v123
	s_waitcnt vmcnt(6)
	v_fmac_f32_e32 v133, v3, v126
	v_fma_f32 v2, v2, v126, -v8
	v_mul_f32_e32 v3, v119, v123
	s_waitcnt vmcnt(5)
	v_fma_f32 v4, v4, v127, -v122
	v_fmac_f32_e32 v134, v5, v127
	v_add_f32_e32 v5, 0, v133
	v_add_f32_e32 v2, 0, v2
	v_mul_f32_e32 v8, v121, v124
	s_waitcnt vmcnt(4)
	v_fma_f32 v3, v118, v128, -v3
	v_mul_f32_e32 v136, v120, v124
	v_fmac_f32_e32 v135, v119, v128
	v_add_f32_e32 v2, v2, v4
	v_add_f32_e32 v4, v5, v134
	s_waitcnt lgkmcnt(0)
	v_mul_f32_e32 v5, v7, v125
	s_waitcnt vmcnt(3)
	v_fma_f32 v8, v120, v129, -v8
	v_mul_f32_e32 v137, v6, v125
	v_add_f32_e32 v2, v2, v3
	v_fmac_f32_e32 v136, v121, v129
	v_add_f32_e32 v3, v4, v135
	s_waitcnt vmcnt(2)
	v_fma_f32 v4, v6, v130, -v5
	v_fmac_f32_e32 v137, v7, v130
	v_add_f32_e32 v2, v2, v8
	v_add_f32_e32 v3, v3, v136
	;; [unrolled: 1-line block ×4, first 2 shown]
	s_waitcnt vmcnt(1)
	v_sub_f32_e32 v2, v131, v2
	s_waitcnt vmcnt(0)
	v_sub_f32_e32 v3, v132, v3
	buffer_store_dword v2, off, s[0:3], 0 offset:384
	buffer_store_dword v3, off, s[0:3], 0 offset:388
	v_cmpx_lt_u32_e32 47, v0
	s_cbranch_execz .LBB53_243
; %bb.242:
	s_clause 0x1
	buffer_load_dword v2, off, s[0:3], 0 offset:376
	buffer_load_dword v3, off, s[0:3], 0 offset:380
	buffer_store_dword v1, off, s[0:3], 0 offset:376
	buffer_store_dword v1, off, s[0:3], 0 offset:380
	s_waitcnt vmcnt(0)
	ds_write_b64 v117, v[2:3]
.LBB53_243:
	s_or_b32 exec_lo, exec_lo, s4
	s_waitcnt lgkmcnt(0)
	s_waitcnt_vscnt null, 0x0
	s_barrier
	buffer_gl0_inv
	s_clause 0xd
	buffer_load_dword v6, off, s[0:3], 0 offset:388
	buffer_load_dword v7, off, s[0:3], 0 offset:396
	;; [unrolled: 1-line block ×14, first 2 shown]
	ds_read_b128 v[2:5], v1 offset:816
	ds_read_b128 v[118:121], v1 offset:832
	;; [unrolled: 1-line block ×3, first 2 shown]
	s_mov_b32 s4, exec_lo
	s_waitcnt vmcnt(13) lgkmcnt(2)
	v_mul_f32_e32 v1, v2, v6
	v_mul_f32_e32 v6, v3, v6
	s_waitcnt vmcnt(12)
	v_mul_f32_e32 v137, v4, v7
	v_mul_f32_e32 v7, v5, v7
	s_waitcnt vmcnt(11) lgkmcnt(1)
	v_mul_f32_e32 v138, v118, v8
	s_waitcnt vmcnt(10)
	v_mul_f32_e32 v139, v120, v126
	s_waitcnt vmcnt(7)
	v_fma_f32 v2, v2, v129, -v6
	v_fmac_f32_e32 v1, v3, v129
	v_mul_f32_e32 v3, v119, v8
	s_waitcnt vmcnt(6)
	v_fma_f32 v4, v4, v130, -v7
	v_fmac_f32_e32 v137, v5, v130
	v_add_f32_e32 v2, 0, v2
	v_add_f32_e32 v1, 0, v1
	v_mul_f32_e32 v5, v121, v126
	s_waitcnt vmcnt(5)
	v_fma_f32 v3, v118, v131, -v3
	v_fmac_f32_e32 v138, v119, v131
	v_add_f32_e32 v2, v2, v4
	v_add_f32_e32 v1, v1, v137
	s_waitcnt lgkmcnt(0)
	v_mul_f32_e32 v4, v123, v127
	s_waitcnt vmcnt(4)
	v_fma_f32 v5, v120, v132, -v5
	v_mul_f32_e32 v140, v122, v127
	v_add_f32_e32 v2, v2, v3
	v_fmac_f32_e32 v139, v121, v132
	v_add_f32_e32 v1, v1, v138
	v_mul_f32_e32 v3, v125, v128
	s_waitcnt vmcnt(3)
	v_fma_f32 v4, v122, v133, -v4
	v_add_f32_e32 v2, v2, v5
	v_mul_f32_e32 v141, v124, v128
	v_fmac_f32_e32 v140, v123, v133
	v_add_f32_e32 v1, v1, v139
	s_waitcnt vmcnt(2)
	v_fma_f32 v3, v124, v134, -v3
	v_add_f32_e32 v2, v2, v4
	v_fmac_f32_e32 v141, v125, v134
	v_add_f32_e32 v1, v1, v140
	v_add_f32_e32 v2, v2, v3
	;; [unrolled: 1-line block ×3, first 2 shown]
	s_waitcnt vmcnt(1)
	v_sub_f32_e32 v2, v135, v2
	s_waitcnt vmcnt(0)
	v_sub_f32_e32 v1, v136, v1
	buffer_store_dword v2, off, s[0:3], 0 offset:376
	buffer_store_dword v1, off, s[0:3], 0 offset:380
	v_cmpx_lt_u32_e32 46, v0
	s_cbranch_execz .LBB53_245
; %bb.244:
	s_clause 0x1
	buffer_load_dword v1, off, s[0:3], 0 offset:368
	buffer_load_dword v2, off, s[0:3], 0 offset:372
	v_mov_b32_e32 v3, 0
	buffer_store_dword v3, off, s[0:3], 0 offset:368
	buffer_store_dword v3, off, s[0:3], 0 offset:372
	s_waitcnt vmcnt(0)
	ds_write_b64 v117, v[1:2]
.LBB53_245:
	s_or_b32 exec_lo, exec_lo, s4
	s_waitcnt lgkmcnt(0)
	s_waitcnt_vscnt null, 0x0
	s_barrier
	buffer_gl0_inv
	s_clause 0xf
	buffer_load_dword v8, off, s[0:3], 0 offset:380
	buffer_load_dword v126, off, s[0:3], 0 offset:388
	;; [unrolled: 1-line block ×16, first 2 shown]
	v_mov_b32_e32 v1, 0
	ds_read2_b64 v[2:5], v1 offset0:101 offset1:102
	ds_read2_b64 v[118:121], v1 offset0:103 offset1:104
	;; [unrolled: 1-line block ×3, first 2 shown]
	ds_read_b64 v[6:7], v1 offset:856
	s_mov_b32 s4, exec_lo
	s_waitcnt vmcnt(15) lgkmcnt(3)
	v_mul_f32_e32 v141, v2, v8
	v_mul_f32_e32 v8, v3, v8
	s_waitcnt vmcnt(14)
	v_mul_f32_e32 v142, v4, v126
	v_mul_f32_e32 v126, v5, v126
	s_waitcnt vmcnt(13) lgkmcnt(2)
	v_mul_f32_e32 v143, v118, v127
	s_waitcnt vmcnt(12)
	v_mul_f32_e32 v144, v120, v128
	s_waitcnt vmcnt(11) lgkmcnt(1)
	v_mul_f32_e32 v145, v122, v129
	s_waitcnt vmcnt(8)
	v_fma_f32 v2, v2, v132, -v8
	v_fmac_f32_e32 v141, v3, v132
	v_mul_f32_e32 v3, v119, v127
	s_waitcnt vmcnt(7)
	v_fma_f32 v4, v4, v133, -v126
	v_fmac_f32_e32 v142, v5, v133
	v_add_f32_e32 v2, 0, v2
	v_add_f32_e32 v5, 0, v141
	v_mul_f32_e32 v8, v121, v128
	s_waitcnt vmcnt(6)
	v_fma_f32 v3, v118, v134, -v3
	v_fmac_f32_e32 v143, v119, v134
	v_add_f32_e32 v2, v2, v4
	v_add_f32_e32 v4, v5, v142
	;; [unrolled: 6-line block ×3, first 2 shown]
	v_mul_f32_e32 v4, v125, v130
	s_waitcnt vmcnt(4)
	v_fma_f32 v5, v122, v136, -v5
	v_mul_f32_e32 v146, v124, v130
	v_add_f32_e32 v2, v2, v8
	v_fmac_f32_e32 v145, v123, v136
	v_add_f32_e32 v3, v3, v144
	s_waitcnt lgkmcnt(0)
	v_mul_f32_e32 v8, v7, v131
	s_waitcnt vmcnt(3)
	v_fma_f32 v4, v124, v137, -v4
	v_add_f32_e32 v2, v2, v5
	v_mul_f32_e32 v147, v6, v131
	v_fmac_f32_e32 v146, v125, v137
	v_add_f32_e32 v3, v3, v145
	s_waitcnt vmcnt(2)
	v_fma_f32 v5, v6, v138, -v8
	v_add_f32_e32 v2, v2, v4
	v_fmac_f32_e32 v147, v7, v138
	v_add_f32_e32 v3, v3, v146
	v_add_f32_e32 v2, v2, v5
	;; [unrolled: 1-line block ×3, first 2 shown]
	s_waitcnt vmcnt(1)
	v_sub_f32_e32 v2, v139, v2
	s_waitcnt vmcnt(0)
	v_sub_f32_e32 v3, v140, v3
	buffer_store_dword v2, off, s[0:3], 0 offset:368
	buffer_store_dword v3, off, s[0:3], 0 offset:372
	v_cmpx_lt_u32_e32 45, v0
	s_cbranch_execz .LBB53_247
; %bb.246:
	s_clause 0x1
	buffer_load_dword v2, off, s[0:3], 0 offset:360
	buffer_load_dword v3, off, s[0:3], 0 offset:364
	buffer_store_dword v1, off, s[0:3], 0 offset:360
	buffer_store_dword v1, off, s[0:3], 0 offset:364
	s_waitcnt vmcnt(0)
	ds_write_b64 v117, v[2:3]
.LBB53_247:
	s_or_b32 exec_lo, exec_lo, s4
	s_waitcnt lgkmcnt(0)
	s_waitcnt_vscnt null, 0x0
	s_barrier
	buffer_gl0_inv
	s_clause 0x11
	buffer_load_dword v6, off, s[0:3], 0 offset:372
	buffer_load_dword v7, off, s[0:3], 0 offset:380
	;; [unrolled: 1-line block ×18, first 2 shown]
	ds_read_b128 v[2:5], v1 offset:800
	ds_read_b128 v[118:121], v1 offset:816
	;; [unrolled: 1-line block ×4, first 2 shown]
	s_mov_b32 s4, exec_lo
	s_waitcnt vmcnt(17) lgkmcnt(3)
	v_mul_f32_e32 v1, v2, v6
	v_mul_f32_e32 v6, v3, v6
	s_waitcnt vmcnt(16)
	v_mul_f32_e32 v145, v4, v7
	v_mul_f32_e32 v7, v5, v7
	s_waitcnt vmcnt(15) lgkmcnt(2)
	v_mul_f32_e32 v146, v118, v8
	s_waitcnt vmcnt(14)
	v_mul_f32_e32 v147, v120, v130
	s_waitcnt vmcnt(13) lgkmcnt(1)
	v_mul_f32_e32 v148, v122, v131
	s_waitcnt vmcnt(12)
	v_mul_f32_e32 v149, v124, v132
	s_waitcnt vmcnt(9)
	v_fma_f32 v2, v2, v135, -v6
	v_fmac_f32_e32 v1, v3, v135
	v_mul_f32_e32 v3, v119, v8
	s_waitcnt vmcnt(8)
	v_fma_f32 v4, v4, v136, -v7
	v_fmac_f32_e32 v145, v5, v136
	v_add_f32_e32 v2, 0, v2
	v_add_f32_e32 v1, 0, v1
	v_mul_f32_e32 v5, v121, v130
	s_waitcnt vmcnt(7)
	v_fma_f32 v3, v118, v137, -v3
	v_fmac_f32_e32 v146, v119, v137
	v_add_f32_e32 v2, v2, v4
	v_add_f32_e32 v1, v1, v145
	;; [unrolled: 6-line block ×4, first 2 shown]
	s_waitcnt lgkmcnt(0)
	v_mul_f32_e32 v5, v127, v133
	s_waitcnt vmcnt(4)
	v_fma_f32 v3, v124, v140, -v3
	v_mul_f32_e32 v150, v126, v133
	v_add_f32_e32 v2, v2, v4
	v_fmac_f32_e32 v149, v125, v140
	v_add_f32_e32 v1, v1, v148
	v_mul_f32_e32 v4, v129, v134
	s_waitcnt vmcnt(3)
	v_fma_f32 v5, v126, v141, -v5
	v_add_f32_e32 v2, v2, v3
	v_mul_f32_e32 v151, v128, v134
	v_fmac_f32_e32 v150, v127, v141
	v_add_f32_e32 v1, v1, v149
	s_waitcnt vmcnt(2)
	v_fma_f32 v3, v128, v142, -v4
	v_add_f32_e32 v2, v2, v5
	v_fmac_f32_e32 v151, v129, v142
	v_add_f32_e32 v1, v1, v150
	v_add_f32_e32 v2, v2, v3
	;; [unrolled: 1-line block ×3, first 2 shown]
	s_waitcnt vmcnt(1)
	v_sub_f32_e32 v2, v143, v2
	s_waitcnt vmcnt(0)
	v_sub_f32_e32 v1, v144, v1
	buffer_store_dword v2, off, s[0:3], 0 offset:360
	buffer_store_dword v1, off, s[0:3], 0 offset:364
	v_cmpx_lt_u32_e32 44, v0
	s_cbranch_execz .LBB53_249
; %bb.248:
	s_clause 0x1
	buffer_load_dword v1, off, s[0:3], 0 offset:352
	buffer_load_dword v2, off, s[0:3], 0 offset:356
	v_mov_b32_e32 v3, 0
	buffer_store_dword v3, off, s[0:3], 0 offset:352
	buffer_store_dword v3, off, s[0:3], 0 offset:356
	s_waitcnt vmcnt(0)
	ds_write_b64 v117, v[1:2]
.LBB53_249:
	s_or_b32 exec_lo, exec_lo, s4
	s_waitcnt lgkmcnt(0)
	s_waitcnt_vscnt null, 0x0
	s_barrier
	buffer_gl0_inv
	s_clause 0x13
	buffer_load_dword v8, off, s[0:3], 0 offset:364
	buffer_load_dword v130, off, s[0:3], 0 offset:372
	;; [unrolled: 1-line block ×20, first 2 shown]
	v_mov_b32_e32 v1, 0
	ds_read2_b64 v[2:5], v1 offset0:99 offset1:100
	ds_read2_b64 v[118:121], v1 offset0:101 offset1:102
	;; [unrolled: 1-line block ×4, first 2 shown]
	ds_read_b64 v[6:7], v1 offset:856
	s_mov_b32 s4, exec_lo
	s_waitcnt vmcnt(19) lgkmcnt(4)
	v_mul_f32_e32 v149, v2, v8
	v_mul_f32_e32 v8, v3, v8
	s_waitcnt vmcnt(18)
	v_mul_f32_e32 v150, v4, v130
	v_mul_f32_e32 v130, v5, v130
	s_waitcnt vmcnt(17) lgkmcnt(3)
	v_mul_f32_e32 v151, v118, v131
	s_waitcnt vmcnt(16)
	v_mul_f32_e32 v152, v120, v132
	s_waitcnt vmcnt(15) lgkmcnt(2)
	v_mul_f32_e32 v153, v122, v133
	s_waitcnt vmcnt(14)
	v_mul_f32_e32 v154, v124, v134
	s_waitcnt vmcnt(13) lgkmcnt(1)
	v_mul_f32_e32 v155, v126, v135
	s_waitcnt vmcnt(10)
	v_fma_f32 v2, v2, v138, -v8
	v_fmac_f32_e32 v149, v3, v138
	v_mul_f32_e32 v3, v119, v131
	s_waitcnt vmcnt(9)
	v_fma_f32 v4, v4, v139, -v130
	v_fmac_f32_e32 v150, v5, v139
	v_add_f32_e32 v2, 0, v2
	v_add_f32_e32 v5, 0, v149
	v_mul_f32_e32 v8, v121, v132
	s_waitcnt vmcnt(8)
	v_fma_f32 v3, v118, v140, -v3
	v_fmac_f32_e32 v151, v119, v140
	v_add_f32_e32 v2, v2, v4
	v_add_f32_e32 v4, v5, v150
	;; [unrolled: 6-line block ×5, first 2 shown]
	v_mul_f32_e32 v5, v129, v136
	s_waitcnt vmcnt(4)
	v_fma_f32 v8, v126, v144, -v8
	v_mul_f32_e32 v156, v128, v136
	v_add_f32_e32 v2, v2, v4
	v_fmac_f32_e32 v155, v127, v144
	v_add_f32_e32 v3, v3, v154
	s_waitcnt lgkmcnt(0)
	v_mul_f32_e32 v4, v7, v137
	s_waitcnt vmcnt(3)
	v_fma_f32 v5, v128, v145, -v5
	v_add_f32_e32 v2, v2, v8
	v_mul_f32_e32 v157, v6, v137
	v_fmac_f32_e32 v156, v129, v145
	v_add_f32_e32 v3, v3, v155
	s_waitcnt vmcnt(2)
	v_fma_f32 v4, v6, v146, -v4
	v_add_f32_e32 v2, v2, v5
	v_fmac_f32_e32 v157, v7, v146
	v_add_f32_e32 v3, v3, v156
	v_add_f32_e32 v2, v2, v4
	;; [unrolled: 1-line block ×3, first 2 shown]
	s_waitcnt vmcnt(1)
	v_sub_f32_e32 v2, v147, v2
	s_waitcnt vmcnt(0)
	v_sub_f32_e32 v3, v148, v3
	buffer_store_dword v2, off, s[0:3], 0 offset:352
	buffer_store_dword v3, off, s[0:3], 0 offset:356
	v_cmpx_lt_u32_e32 43, v0
	s_cbranch_execz .LBB53_251
; %bb.250:
	s_clause 0x1
	buffer_load_dword v2, off, s[0:3], 0 offset:344
	buffer_load_dword v3, off, s[0:3], 0 offset:348
	buffer_store_dword v1, off, s[0:3], 0 offset:344
	buffer_store_dword v1, off, s[0:3], 0 offset:348
	s_waitcnt vmcnt(0)
	ds_write_b64 v117, v[2:3]
.LBB53_251:
	s_or_b32 exec_lo, exec_lo, s4
	s_waitcnt lgkmcnt(0)
	s_waitcnt_vscnt null, 0x0
	s_barrier
	buffer_gl0_inv
	s_clause 0x15
	buffer_load_dword v6, off, s[0:3], 0 offset:356
	buffer_load_dword v7, off, s[0:3], 0 offset:364
	;; [unrolled: 1-line block ×22, first 2 shown]
	ds_read_b128 v[2:5], v1 offset:784
	ds_read_b128 v[118:121], v1 offset:800
	;; [unrolled: 1-line block ×5, first 2 shown]
	s_mov_b32 s4, exec_lo
	s_waitcnt vmcnt(21) lgkmcnt(4)
	v_mul_f32_e32 v1, v2, v6
	v_mul_f32_e32 v6, v3, v6
	s_waitcnt vmcnt(20)
	v_mul_f32_e32 v153, v4, v7
	v_mul_f32_e32 v7, v5, v7
	s_waitcnt vmcnt(19) lgkmcnt(3)
	v_mul_f32_e32 v154, v118, v8
	s_waitcnt vmcnt(18)
	v_mul_f32_e32 v155, v120, v134
	s_waitcnt vmcnt(17) lgkmcnt(2)
	v_mul_f32_e32 v156, v122, v135
	s_waitcnt vmcnt(16)
	v_mul_f32_e32 v157, v124, v136
	s_waitcnt vmcnt(15) lgkmcnt(1)
	v_mul_f32_e32 v158, v126, v137
	s_waitcnt vmcnt(14)
	v_mul_f32_e32 v159, v128, v138
	s_waitcnt vmcnt(11)
	v_fma_f32 v2, v2, v141, -v6
	v_fmac_f32_e32 v1, v3, v141
	v_mul_f32_e32 v3, v119, v8
	s_waitcnt vmcnt(10)
	v_fma_f32 v4, v4, v142, -v7
	v_fmac_f32_e32 v153, v5, v142
	v_add_f32_e32 v2, 0, v2
	v_add_f32_e32 v1, 0, v1
	v_mul_f32_e32 v5, v121, v134
	s_waitcnt vmcnt(9)
	v_fma_f32 v3, v118, v143, -v3
	v_fmac_f32_e32 v154, v119, v143
	v_add_f32_e32 v2, v2, v4
	v_add_f32_e32 v1, v1, v153
	;; [unrolled: 6-line block ×6, first 2 shown]
	s_waitcnt lgkmcnt(0)
	v_mul_f32_e32 v3, v131, v139
	s_waitcnt vmcnt(4)
	v_fma_f32 v4, v128, v148, -v4
	v_mul_f32_e32 v160, v130, v139
	v_add_f32_e32 v2, v2, v5
	v_fmac_f32_e32 v159, v129, v148
	v_add_f32_e32 v1, v1, v158
	v_mul_f32_e32 v5, v133, v140
	s_waitcnt vmcnt(3)
	v_fma_f32 v3, v130, v149, -v3
	v_add_f32_e32 v2, v2, v4
	v_mul_f32_e32 v161, v132, v140
	v_fmac_f32_e32 v160, v131, v149
	v_add_f32_e32 v1, v1, v159
	s_waitcnt vmcnt(2)
	v_fma_f32 v4, v132, v150, -v5
	v_add_f32_e32 v2, v2, v3
	v_fmac_f32_e32 v161, v133, v150
	v_add_f32_e32 v1, v1, v160
	v_add_f32_e32 v2, v2, v4
	;; [unrolled: 1-line block ×3, first 2 shown]
	s_waitcnt vmcnt(1)
	v_sub_f32_e32 v2, v151, v2
	s_waitcnt vmcnt(0)
	v_sub_f32_e32 v1, v152, v1
	buffer_store_dword v2, off, s[0:3], 0 offset:344
	buffer_store_dword v1, off, s[0:3], 0 offset:348
	v_cmpx_lt_u32_e32 42, v0
	s_cbranch_execz .LBB53_253
; %bb.252:
	s_clause 0x1
	buffer_load_dword v1, off, s[0:3], 0 offset:336
	buffer_load_dword v2, off, s[0:3], 0 offset:340
	v_mov_b32_e32 v3, 0
	buffer_store_dword v3, off, s[0:3], 0 offset:336
	buffer_store_dword v3, off, s[0:3], 0 offset:340
	s_waitcnt vmcnt(0)
	ds_write_b64 v117, v[1:2]
.LBB53_253:
	s_or_b32 exec_lo, exec_lo, s4
	s_waitcnt lgkmcnt(0)
	s_waitcnt_vscnt null, 0x0
	s_barrier
	buffer_gl0_inv
	s_clause 0x17
	buffer_load_dword v8, off, s[0:3], 0 offset:348
	buffer_load_dword v134, off, s[0:3], 0 offset:356
	;; [unrolled: 1-line block ×24, first 2 shown]
	v_mov_b32_e32 v1, 0
	ds_read2_b64 v[2:5], v1 offset0:97 offset1:98
	ds_read2_b64 v[118:121], v1 offset0:99 offset1:100
	;; [unrolled: 1-line block ×5, first 2 shown]
	ds_read_b64 v[6:7], v1 offset:856
	s_mov_b32 s4, exec_lo
	s_waitcnt vmcnt(23) lgkmcnt(5)
	v_mul_f32_e32 v157, v2, v8
	v_mul_f32_e32 v8, v3, v8
	s_waitcnt vmcnt(22)
	v_mul_f32_e32 v158, v4, v134
	v_mul_f32_e32 v134, v5, v134
	s_waitcnt vmcnt(21) lgkmcnt(4)
	v_mul_f32_e32 v159, v118, v135
	s_waitcnt vmcnt(20)
	v_mul_f32_e32 v160, v120, v136
	s_waitcnt vmcnt(19) lgkmcnt(3)
	v_mul_f32_e32 v161, v122, v137
	s_waitcnt vmcnt(18)
	;; [unrolled: 4-line block ×4, first 2 shown]
	v_fma_f32 v2, v2, v144, -v8
	v_fmac_f32_e32 v157, v3, v144
	v_mul_f32_e32 v3, v119, v135
	s_waitcnt vmcnt(11)
	v_fma_f32 v4, v4, v145, -v134
	v_fmac_f32_e32 v158, v5, v145
	v_add_f32_e32 v2, 0, v2
	v_add_f32_e32 v5, 0, v157
	v_mul_f32_e32 v8, v121, v136
	s_waitcnt vmcnt(10)
	v_fma_f32 v3, v118, v146, -v3
	v_fmac_f32_e32 v159, v119, v146
	v_add_f32_e32 v2, v2, v4
	v_add_f32_e32 v4, v5, v158
	;; [unrolled: 6-line block ×7, first 2 shown]
	v_mul_f32_e32 v8, v133, v142
	s_waitcnt vmcnt(4)
	v_fma_f32 v4, v130, v152, -v4
	v_mul_f32_e32 v166, v132, v142
	v_add_f32_e32 v2, v2, v5
	v_fmac_f32_e32 v165, v131, v152
	v_add_f32_e32 v3, v3, v164
	s_waitcnt lgkmcnt(0)
	v_mul_f32_e32 v5, v7, v143
	s_waitcnt vmcnt(3)
	v_fma_f32 v8, v132, v153, -v8
	v_add_f32_e32 v2, v2, v4
	v_mul_f32_e32 v167, v6, v143
	v_fmac_f32_e32 v166, v133, v153
	v_add_f32_e32 v3, v3, v165
	s_waitcnt vmcnt(2)
	v_fma_f32 v4, v6, v154, -v5
	v_add_f32_e32 v2, v2, v8
	v_fmac_f32_e32 v167, v7, v154
	v_add_f32_e32 v3, v3, v166
	v_add_f32_e32 v2, v2, v4
	;; [unrolled: 1-line block ×3, first 2 shown]
	s_waitcnt vmcnt(1)
	v_sub_f32_e32 v2, v155, v2
	s_waitcnt vmcnt(0)
	v_sub_f32_e32 v3, v156, v3
	buffer_store_dword v2, off, s[0:3], 0 offset:336
	buffer_store_dword v3, off, s[0:3], 0 offset:340
	v_cmpx_lt_u32_e32 41, v0
	s_cbranch_execz .LBB53_255
; %bb.254:
	s_clause 0x1
	buffer_load_dword v2, off, s[0:3], 0 offset:328
	buffer_load_dword v3, off, s[0:3], 0 offset:332
	buffer_store_dword v1, off, s[0:3], 0 offset:328
	buffer_store_dword v1, off, s[0:3], 0 offset:332
	s_waitcnt vmcnt(0)
	ds_write_b64 v117, v[2:3]
.LBB53_255:
	s_or_b32 exec_lo, exec_lo, s4
	s_waitcnt lgkmcnt(0)
	s_waitcnt_vscnt null, 0x0
	s_barrier
	buffer_gl0_inv
	s_clause 0x19
	buffer_load_dword v6, off, s[0:3], 0 offset:340
	buffer_load_dword v7, off, s[0:3], 0 offset:348
	;; [unrolled: 1-line block ×26, first 2 shown]
	ds_read_b128 v[2:5], v1 offset:768
	ds_read_b128 v[118:121], v1 offset:784
	;; [unrolled: 1-line block ×6, first 2 shown]
	s_mov_b32 s4, exec_lo
	s_waitcnt vmcnt(25) lgkmcnt(5)
	v_mul_f32_e32 v1, v2, v6
	v_mul_f32_e32 v6, v3, v6
	s_waitcnt vmcnt(24)
	v_mul_f32_e32 v161, v4, v7
	v_mul_f32_e32 v7, v5, v7
	s_waitcnt vmcnt(23) lgkmcnt(4)
	v_mul_f32_e32 v162, v118, v8
	s_waitcnt vmcnt(22)
	v_mul_f32_e32 v163, v120, v138
	s_waitcnt vmcnt(21) lgkmcnt(3)
	v_mul_f32_e32 v164, v122, v139
	s_waitcnt vmcnt(20)
	;; [unrolled: 4-line block ×4, first 2 shown]
	v_mul_f32_e32 v169, v132, v144
	s_waitcnt vmcnt(13)
	v_fma_f32 v2, v2, v147, -v6
	v_fmac_f32_e32 v1, v3, v147
	v_mul_f32_e32 v3, v119, v8
	s_waitcnt vmcnt(12)
	v_fma_f32 v4, v4, v148, -v7
	v_fmac_f32_e32 v161, v5, v148
	v_add_f32_e32 v2, 0, v2
	v_add_f32_e32 v1, 0, v1
	v_mul_f32_e32 v5, v121, v138
	s_waitcnt vmcnt(11)
	v_fma_f32 v3, v118, v149, -v3
	v_fmac_f32_e32 v162, v119, v149
	v_add_f32_e32 v2, v2, v4
	v_add_f32_e32 v1, v1, v161
	;; [unrolled: 6-line block ×8, first 2 shown]
	s_waitcnt lgkmcnt(0)
	v_mul_f32_e32 v4, v135, v145
	s_waitcnt vmcnt(4)
	v_fma_f32 v5, v132, v156, -v5
	v_mul_f32_e32 v170, v134, v145
	v_add_f32_e32 v2, v2, v3
	v_fmac_f32_e32 v169, v133, v156
	v_add_f32_e32 v1, v1, v168
	v_mul_f32_e32 v3, v137, v146
	s_waitcnt vmcnt(3)
	v_fma_f32 v4, v134, v157, -v4
	v_add_f32_e32 v2, v2, v5
	v_mul_f32_e32 v171, v136, v146
	v_fmac_f32_e32 v170, v135, v157
	v_add_f32_e32 v1, v1, v169
	s_waitcnt vmcnt(2)
	v_fma_f32 v3, v136, v158, -v3
	v_add_f32_e32 v2, v2, v4
	v_fmac_f32_e32 v171, v137, v158
	v_add_f32_e32 v1, v1, v170
	v_add_f32_e32 v2, v2, v3
	v_add_f32_e32 v1, v1, v171
	s_waitcnt vmcnt(1)
	v_sub_f32_e32 v2, v159, v2
	s_waitcnt vmcnt(0)
	v_sub_f32_e32 v1, v160, v1
	buffer_store_dword v2, off, s[0:3], 0 offset:328
	buffer_store_dword v1, off, s[0:3], 0 offset:332
	v_cmpx_lt_u32_e32 40, v0
	s_cbranch_execz .LBB53_257
; %bb.256:
	s_clause 0x1
	buffer_load_dword v1, off, s[0:3], 0 offset:320
	buffer_load_dword v2, off, s[0:3], 0 offset:324
	v_mov_b32_e32 v3, 0
	buffer_store_dword v3, off, s[0:3], 0 offset:320
	buffer_store_dword v3, off, s[0:3], 0 offset:324
	s_waitcnt vmcnt(0)
	ds_write_b64 v117, v[1:2]
.LBB53_257:
	s_or_b32 exec_lo, exec_lo, s4
	s_waitcnt lgkmcnt(0)
	s_waitcnt_vscnt null, 0x0
	s_barrier
	buffer_gl0_inv
	s_clause 0x1b
	buffer_load_dword v8, off, s[0:3], 0 offset:332
	buffer_load_dword v138, off, s[0:3], 0 offset:340
	;; [unrolled: 1-line block ×28, first 2 shown]
	v_mov_b32_e32 v1, 0
	ds_read2_b64 v[2:5], v1 offset0:95 offset1:96
	ds_read2_b64 v[118:121], v1 offset0:97 offset1:98
	;; [unrolled: 1-line block ×6, first 2 shown]
	ds_read_b64 v[6:7], v1 offset:856
	s_mov_b32 s4, exec_lo
	s_waitcnt vmcnt(27) lgkmcnt(6)
	v_mul_f32_e32 v165, v2, v8
	v_mul_f32_e32 v8, v3, v8
	s_waitcnt vmcnt(26)
	v_mul_f32_e32 v166, v4, v138
	v_mul_f32_e32 v138, v5, v138
	s_waitcnt vmcnt(25) lgkmcnt(5)
	v_mul_f32_e32 v167, v118, v139
	s_waitcnt vmcnt(24)
	v_mul_f32_e32 v168, v120, v140
	s_waitcnt vmcnt(23) lgkmcnt(4)
	v_mul_f32_e32 v169, v122, v141
	s_waitcnt vmcnt(22)
	;; [unrolled: 4-line block ×5, first 2 shown]
	v_fma_f32 v2, v2, v150, -v8
	v_fmac_f32_e32 v165, v3, v150
	v_mul_f32_e32 v3, v119, v139
	s_waitcnt vmcnt(13)
	v_fma_f32 v4, v4, v151, -v138
	v_fmac_f32_e32 v166, v5, v151
	v_add_f32_e32 v2, 0, v2
	v_add_f32_e32 v5, 0, v165
	v_mul_f32_e32 v8, v121, v140
	s_waitcnt vmcnt(12)
	v_fma_f32 v3, v118, v152, -v3
	v_fmac_f32_e32 v167, v119, v152
	v_add_f32_e32 v2, v2, v4
	v_add_f32_e32 v4, v5, v166
	;; [unrolled: 6-line block ×9, first 2 shown]
	v_mul_f32_e32 v4, v137, v148
	s_waitcnt vmcnt(4)
	v_fma_f32 v5, v134, v160, -v5
	v_mul_f32_e32 v176, v136, v148
	v_add_f32_e32 v2, v2, v8
	v_fmac_f32_e32 v175, v135, v160
	v_add_f32_e32 v3, v3, v174
	s_waitcnt lgkmcnt(0)
	v_mul_f32_e32 v8, v7, v149
	s_waitcnt vmcnt(3)
	v_fma_f32 v4, v136, v161, -v4
	v_add_f32_e32 v2, v2, v5
	v_mul_f32_e32 v177, v6, v149
	v_fmac_f32_e32 v176, v137, v161
	v_add_f32_e32 v3, v3, v175
	s_waitcnt vmcnt(2)
	v_fma_f32 v5, v6, v162, -v8
	v_add_f32_e32 v2, v2, v4
	v_fmac_f32_e32 v177, v7, v162
	v_add_f32_e32 v3, v3, v176
	v_add_f32_e32 v2, v2, v5
	;; [unrolled: 1-line block ×3, first 2 shown]
	s_waitcnt vmcnt(1)
	v_sub_f32_e32 v2, v163, v2
	s_waitcnt vmcnt(0)
	v_sub_f32_e32 v3, v164, v3
	buffer_store_dword v2, off, s[0:3], 0 offset:320
	buffer_store_dword v3, off, s[0:3], 0 offset:324
	v_cmpx_lt_u32_e32 39, v0
	s_cbranch_execz .LBB53_259
; %bb.258:
	s_clause 0x1
	buffer_load_dword v2, off, s[0:3], 0 offset:312
	buffer_load_dword v3, off, s[0:3], 0 offset:316
	buffer_store_dword v1, off, s[0:3], 0 offset:312
	buffer_store_dword v1, off, s[0:3], 0 offset:316
	s_waitcnt vmcnt(0)
	ds_write_b64 v117, v[2:3]
.LBB53_259:
	s_or_b32 exec_lo, exec_lo, s4
	s_waitcnt lgkmcnt(0)
	s_waitcnt_vscnt null, 0x0
	s_barrier
	buffer_gl0_inv
	s_clause 0x1d
	buffer_load_dword v6, off, s[0:3], 0 offset:324
	buffer_load_dword v7, off, s[0:3], 0 offset:332
	;; [unrolled: 1-line block ×30, first 2 shown]
	ds_read_b128 v[2:5], v1 offset:752
	ds_read_b128 v[118:121], v1 offset:768
	;; [unrolled: 1-line block ×7, first 2 shown]
	s_mov_b32 s4, exec_lo
	s_waitcnt vmcnt(29) lgkmcnt(6)
	v_mul_f32_e32 v1, v2, v6
	v_mul_f32_e32 v6, v3, v6
	s_waitcnt vmcnt(28)
	v_mul_f32_e32 v169, v4, v7
	v_mul_f32_e32 v7, v5, v7
	s_waitcnt vmcnt(27) lgkmcnt(5)
	v_mul_f32_e32 v170, v118, v8
	s_waitcnt vmcnt(26)
	v_mul_f32_e32 v171, v120, v142
	s_waitcnt vmcnt(25) lgkmcnt(4)
	v_mul_f32_e32 v172, v122, v143
	s_waitcnt vmcnt(24)
	;; [unrolled: 4-line block ×5, first 2 shown]
	v_mul_f32_e32 v179, v136, v150
	s_waitcnt vmcnt(15)
	v_fma_f32 v2, v2, v153, -v6
	v_fmac_f32_e32 v1, v3, v153
	v_mul_f32_e32 v3, v119, v8
	s_waitcnt vmcnt(14)
	v_fma_f32 v4, v4, v154, -v7
	v_fmac_f32_e32 v169, v5, v154
	v_add_f32_e32 v2, 0, v2
	v_add_f32_e32 v1, 0, v1
	v_mul_f32_e32 v5, v121, v142
	s_waitcnt vmcnt(13)
	v_fma_f32 v3, v118, v155, -v3
	v_fmac_f32_e32 v170, v119, v155
	v_add_f32_e32 v2, v2, v4
	v_add_f32_e32 v1, v1, v169
	;; [unrolled: 6-line block ×10, first 2 shown]
	s_waitcnt lgkmcnt(0)
	v_mul_f32_e32 v5, v139, v151
	s_waitcnt vmcnt(4)
	v_fma_f32 v3, v136, v164, -v3
	v_mul_f32_e32 v180, v138, v151
	v_add_f32_e32 v2, v2, v4
	v_fmac_f32_e32 v179, v137, v164
	v_add_f32_e32 v1, v1, v178
	v_mul_f32_e32 v4, v141, v152
	s_waitcnt vmcnt(3)
	v_fma_f32 v5, v138, v165, -v5
	v_add_f32_e32 v2, v2, v3
	v_mul_f32_e32 v181, v140, v152
	v_fmac_f32_e32 v180, v139, v165
	v_add_f32_e32 v1, v1, v179
	s_waitcnt vmcnt(2)
	v_fma_f32 v3, v140, v166, -v4
	v_add_f32_e32 v2, v2, v5
	v_fmac_f32_e32 v181, v141, v166
	v_add_f32_e32 v1, v1, v180
	v_add_f32_e32 v2, v2, v3
	;; [unrolled: 1-line block ×3, first 2 shown]
	s_waitcnt vmcnt(1)
	v_sub_f32_e32 v2, v167, v2
	s_waitcnt vmcnt(0)
	v_sub_f32_e32 v1, v168, v1
	buffer_store_dword v2, off, s[0:3], 0 offset:312
	buffer_store_dword v1, off, s[0:3], 0 offset:316
	v_cmpx_lt_u32_e32 38, v0
	s_cbranch_execz .LBB53_261
; %bb.260:
	s_clause 0x1
	buffer_load_dword v1, off, s[0:3], 0 offset:304
	buffer_load_dword v2, off, s[0:3], 0 offset:308
	v_mov_b32_e32 v3, 0
	buffer_store_dword v3, off, s[0:3], 0 offset:304
	buffer_store_dword v3, off, s[0:3], 0 offset:308
	s_waitcnt vmcnt(0)
	ds_write_b64 v117, v[1:2]
.LBB53_261:
	s_or_b32 exec_lo, exec_lo, s4
	s_waitcnt lgkmcnt(0)
	s_waitcnt_vscnt null, 0x0
	s_barrier
	buffer_gl0_inv
	s_clause 0x1f
	buffer_load_dword v8, off, s[0:3], 0 offset:316
	buffer_load_dword v142, off, s[0:3], 0 offset:324
	;; [unrolled: 1-line block ×32, first 2 shown]
	v_mov_b32_e32 v1, 0
	ds_read2_b64 v[2:5], v1 offset0:93 offset1:94
	ds_read2_b64 v[118:121], v1 offset0:95 offset1:96
	;; [unrolled: 1-line block ×7, first 2 shown]
	ds_read_b64 v[6:7], v1 offset:856
	s_mov_b32 s4, exec_lo
	s_waitcnt vmcnt(31) lgkmcnt(7)
	v_mul_f32_e32 v173, v2, v8
	v_mul_f32_e32 v8, v3, v8
	s_waitcnt vmcnt(30)
	v_mul_f32_e32 v174, v4, v142
	v_mul_f32_e32 v142, v5, v142
	s_waitcnt vmcnt(29) lgkmcnt(6)
	v_mul_f32_e32 v175, v118, v143
	s_waitcnt vmcnt(28)
	v_mul_f32_e32 v176, v120, v144
	s_waitcnt vmcnt(27) lgkmcnt(5)
	v_mul_f32_e32 v177, v122, v145
	s_waitcnt vmcnt(26)
	;; [unrolled: 4-line block ×6, first 2 shown]
	v_fma_f32 v2, v2, v156, -v8
	v_fmac_f32_e32 v173, v3, v156
	v_mul_f32_e32 v3, v119, v143
	s_waitcnt vmcnt(15)
	v_fma_f32 v4, v4, v157, -v142
	v_fmac_f32_e32 v174, v5, v157
	v_add_f32_e32 v2, 0, v2
	v_add_f32_e32 v5, 0, v173
	v_mul_f32_e32 v8, v121, v144
	s_waitcnt vmcnt(14)
	v_fma_f32 v3, v118, v158, -v3
	v_fmac_f32_e32 v175, v119, v158
	v_add_f32_e32 v2, v2, v4
	v_add_f32_e32 v4, v5, v174
	;; [unrolled: 6-line block ×11, first 2 shown]
	v_mul_f32_e32 v5, v141, v154
	s_waitcnt vmcnt(4)
	v_fma_f32 v8, v138, v168, -v8
	v_mul_f32_e32 v186, v140, v154
	v_add_f32_e32 v2, v2, v4
	v_fmac_f32_e32 v185, v139, v168
	v_add_f32_e32 v3, v3, v184
	s_waitcnt lgkmcnt(0)
	v_mul_f32_e32 v4, v7, v155
	s_waitcnt vmcnt(3)
	v_fma_f32 v5, v140, v169, -v5
	v_add_f32_e32 v2, v2, v8
	v_mul_f32_e32 v187, v6, v155
	v_fmac_f32_e32 v186, v141, v169
	v_add_f32_e32 v3, v3, v185
	s_waitcnt vmcnt(2)
	v_fma_f32 v4, v6, v170, -v4
	v_add_f32_e32 v2, v2, v5
	v_fmac_f32_e32 v187, v7, v170
	v_add_f32_e32 v3, v3, v186
	v_add_f32_e32 v2, v2, v4
	;; [unrolled: 1-line block ×3, first 2 shown]
	s_waitcnt vmcnt(1)
	v_sub_f32_e32 v2, v171, v2
	s_waitcnt vmcnt(0)
	v_sub_f32_e32 v3, v172, v3
	buffer_store_dword v2, off, s[0:3], 0 offset:304
	buffer_store_dword v3, off, s[0:3], 0 offset:308
	v_cmpx_lt_u32_e32 37, v0
	s_cbranch_execz .LBB53_263
; %bb.262:
	s_clause 0x1
	buffer_load_dword v2, off, s[0:3], 0 offset:296
	buffer_load_dword v3, off, s[0:3], 0 offset:300
	buffer_store_dword v1, off, s[0:3], 0 offset:296
	buffer_store_dword v1, off, s[0:3], 0 offset:300
	s_waitcnt vmcnt(0)
	ds_write_b64 v117, v[2:3]
.LBB53_263:
	s_or_b32 exec_lo, exec_lo, s4
	s_waitcnt lgkmcnt(0)
	s_waitcnt_vscnt null, 0x0
	s_barrier
	buffer_gl0_inv
	s_clause 0x21
	buffer_load_dword v6, off, s[0:3], 0 offset:308
	buffer_load_dword v7, off, s[0:3], 0 offset:316
	;; [unrolled: 1-line block ×34, first 2 shown]
	ds_read_b128 v[2:5], v1 offset:736
	ds_read_b128 v[118:121], v1 offset:752
	;; [unrolled: 1-line block ×8, first 2 shown]
	s_mov_b32 s4, exec_lo
	s_waitcnt vmcnt(33) lgkmcnt(7)
	v_mul_f32_e32 v1, v2, v6
	v_mul_f32_e32 v6, v3, v6
	s_waitcnt vmcnt(32)
	v_mul_f32_e32 v177, v4, v7
	v_mul_f32_e32 v7, v5, v7
	s_waitcnt vmcnt(31) lgkmcnt(6)
	v_mul_f32_e32 v178, v118, v8
	s_waitcnt vmcnt(30)
	v_mul_f32_e32 v179, v120, v146
	s_waitcnt vmcnt(29) lgkmcnt(5)
	v_mul_f32_e32 v180, v122, v147
	s_waitcnt vmcnt(28)
	;; [unrolled: 4-line block ×6, first 2 shown]
	v_mul_f32_e32 v189, v140, v156
	s_waitcnt vmcnt(17)
	v_fma_f32 v2, v2, v159, -v6
	v_fmac_f32_e32 v1, v3, v159
	v_mul_f32_e32 v3, v119, v8
	s_waitcnt vmcnt(16)
	v_fma_f32 v4, v4, v160, -v7
	v_fmac_f32_e32 v177, v5, v160
	v_add_f32_e32 v2, 0, v2
	v_add_f32_e32 v1, 0, v1
	v_mul_f32_e32 v5, v121, v146
	s_waitcnt vmcnt(15)
	v_fma_f32 v3, v118, v161, -v3
	v_fmac_f32_e32 v178, v119, v161
	v_add_f32_e32 v2, v2, v4
	v_add_f32_e32 v1, v1, v177
	;; [unrolled: 6-line block ×12, first 2 shown]
	s_waitcnt lgkmcnt(0)
	v_mul_f32_e32 v3, v143, v157
	s_waitcnt vmcnt(4)
	v_fma_f32 v4, v140, v172, -v4
	v_mul_f32_e32 v190, v142, v157
	v_add_f32_e32 v2, v2, v5
	v_fmac_f32_e32 v189, v141, v172
	v_add_f32_e32 v1, v1, v188
	v_mul_f32_e32 v5, v145, v158
	s_waitcnt vmcnt(3)
	v_fma_f32 v3, v142, v173, -v3
	v_add_f32_e32 v2, v2, v4
	v_mul_f32_e32 v191, v144, v158
	v_fmac_f32_e32 v190, v143, v173
	v_add_f32_e32 v1, v1, v189
	s_waitcnt vmcnt(2)
	v_fma_f32 v4, v144, v174, -v5
	v_add_f32_e32 v2, v2, v3
	v_fmac_f32_e32 v191, v145, v174
	v_add_f32_e32 v1, v1, v190
	v_add_f32_e32 v2, v2, v4
	;; [unrolled: 1-line block ×3, first 2 shown]
	s_waitcnt vmcnt(1)
	v_sub_f32_e32 v2, v175, v2
	s_waitcnt vmcnt(0)
	v_sub_f32_e32 v1, v176, v1
	buffer_store_dword v2, off, s[0:3], 0 offset:296
	buffer_store_dword v1, off, s[0:3], 0 offset:300
	v_cmpx_lt_u32_e32 36, v0
	s_cbranch_execz .LBB53_265
; %bb.264:
	s_clause 0x1
	buffer_load_dword v1, off, s[0:3], 0 offset:288
	buffer_load_dword v2, off, s[0:3], 0 offset:292
	v_mov_b32_e32 v3, 0
	buffer_store_dword v3, off, s[0:3], 0 offset:288
	buffer_store_dword v3, off, s[0:3], 0 offset:292
	s_waitcnt vmcnt(0)
	ds_write_b64 v117, v[1:2]
.LBB53_265:
	s_or_b32 exec_lo, exec_lo, s4
	s_waitcnt lgkmcnt(0)
	s_waitcnt_vscnt null, 0x0
	s_barrier
	buffer_gl0_inv
	s_clause 0x23
	buffer_load_dword v8, off, s[0:3], 0 offset:300
	buffer_load_dword v146, off, s[0:3], 0 offset:308
	;; [unrolled: 1-line block ×36, first 2 shown]
	v_mov_b32_e32 v1, 0
	ds_read2_b64 v[2:5], v1 offset0:91 offset1:92
	ds_read2_b64 v[118:121], v1 offset0:93 offset1:94
	;; [unrolled: 1-line block ×8, first 2 shown]
	ds_read_b64 v[6:7], v1 offset:856
	s_mov_b32 s4, exec_lo
	s_waitcnt vmcnt(35) lgkmcnt(8)
	v_mul_f32_e32 v181, v2, v8
	v_mul_f32_e32 v8, v3, v8
	s_waitcnt vmcnt(34)
	v_mul_f32_e32 v182, v4, v146
	v_mul_f32_e32 v146, v5, v146
	s_waitcnt vmcnt(33) lgkmcnt(7)
	v_mul_f32_e32 v183, v118, v147
	s_waitcnt vmcnt(32)
	v_mul_f32_e32 v184, v120, v148
	s_waitcnt vmcnt(31) lgkmcnt(6)
	v_mul_f32_e32 v185, v122, v149
	s_waitcnt vmcnt(30)
	;; [unrolled: 4-line block ×7, first 2 shown]
	v_fma_f32 v2, v2, v162, -v8
	v_fmac_f32_e32 v181, v3, v162
	v_mul_f32_e32 v3, v119, v147
	s_waitcnt vmcnt(17)
	v_fma_f32 v4, v4, v163, -v146
	v_fmac_f32_e32 v182, v5, v163
	v_add_f32_e32 v2, 0, v2
	v_add_f32_e32 v5, 0, v181
	v_mul_f32_e32 v8, v121, v148
	s_waitcnt vmcnt(16)
	v_fma_f32 v3, v118, v164, -v3
	v_fmac_f32_e32 v183, v119, v164
	v_add_f32_e32 v2, v2, v4
	v_add_f32_e32 v4, v5, v182
	;; [unrolled: 6-line block ×13, first 2 shown]
	v_mul_f32_e32 v8, v145, v160
	s_waitcnt vmcnt(4)
	v_fma_f32 v4, v142, v176, -v4
	v_mul_f32_e32 v196, v144, v160
	v_add_f32_e32 v2, v2, v5
	v_fmac_f32_e32 v195, v143, v176
	v_add_f32_e32 v3, v3, v194
	s_waitcnt lgkmcnt(0)
	v_mul_f32_e32 v5, v7, v161
	s_waitcnt vmcnt(3)
	v_fma_f32 v8, v144, v177, -v8
	v_add_f32_e32 v2, v2, v4
	v_mul_f32_e32 v197, v6, v161
	v_fmac_f32_e32 v196, v145, v177
	v_add_f32_e32 v3, v3, v195
	s_waitcnt vmcnt(2)
	v_fma_f32 v4, v6, v178, -v5
	v_add_f32_e32 v2, v2, v8
	v_fmac_f32_e32 v197, v7, v178
	v_add_f32_e32 v3, v3, v196
	v_add_f32_e32 v2, v2, v4
	;; [unrolled: 1-line block ×3, first 2 shown]
	s_waitcnt vmcnt(1)
	v_sub_f32_e32 v2, v179, v2
	s_waitcnt vmcnt(0)
	v_sub_f32_e32 v3, v180, v3
	buffer_store_dword v2, off, s[0:3], 0 offset:288
	buffer_store_dword v3, off, s[0:3], 0 offset:292
	v_cmpx_lt_u32_e32 35, v0
	s_cbranch_execz .LBB53_267
; %bb.266:
	s_clause 0x1
	buffer_load_dword v2, off, s[0:3], 0 offset:280
	buffer_load_dword v3, off, s[0:3], 0 offset:284
	buffer_store_dword v1, off, s[0:3], 0 offset:280
	buffer_store_dword v1, off, s[0:3], 0 offset:284
	s_waitcnt vmcnt(0)
	ds_write_b64 v117, v[2:3]
.LBB53_267:
	s_or_b32 exec_lo, exec_lo, s4
	s_waitcnt lgkmcnt(0)
	s_waitcnt_vscnt null, 0x0
	s_barrier
	buffer_gl0_inv
	s_clause 0x25
	buffer_load_dword v6, off, s[0:3], 0 offset:292
	buffer_load_dword v7, off, s[0:3], 0 offset:300
	;; [unrolled: 1-line block ×38, first 2 shown]
	ds_read_b128 v[2:5], v1 offset:720
	ds_read_b128 v[118:121], v1 offset:736
	;; [unrolled: 1-line block ×9, first 2 shown]
	s_mov_b32 s4, exec_lo
	s_waitcnt vmcnt(37) lgkmcnt(8)
	v_mul_f32_e32 v1, v2, v6
	v_mul_f32_e32 v6, v3, v6
	s_waitcnt vmcnt(36)
	v_mul_f32_e32 v185, v4, v7
	v_mul_f32_e32 v7, v5, v7
	s_waitcnt vmcnt(35) lgkmcnt(7)
	v_mul_f32_e32 v186, v118, v8
	s_waitcnt vmcnt(34)
	v_mul_f32_e32 v187, v120, v150
	s_waitcnt vmcnt(33) lgkmcnt(6)
	v_mul_f32_e32 v188, v122, v151
	s_waitcnt vmcnt(32)
	;; [unrolled: 4-line block ×7, first 2 shown]
	v_mul_f32_e32 v199, v144, v162
	s_waitcnt vmcnt(19)
	v_fma_f32 v2, v2, v165, -v6
	v_fmac_f32_e32 v1, v3, v165
	v_mul_f32_e32 v3, v119, v8
	s_waitcnt vmcnt(18)
	v_fma_f32 v4, v4, v166, -v7
	v_fmac_f32_e32 v185, v5, v166
	v_add_f32_e32 v2, 0, v2
	v_add_f32_e32 v1, 0, v1
	v_mul_f32_e32 v5, v121, v150
	s_waitcnt vmcnt(17)
	v_fma_f32 v3, v118, v167, -v3
	v_fmac_f32_e32 v186, v119, v167
	v_add_f32_e32 v2, v2, v4
	v_add_f32_e32 v1, v1, v185
	;; [unrolled: 6-line block ×14, first 2 shown]
	s_waitcnt lgkmcnt(0)
	v_mul_f32_e32 v4, v147, v163
	s_waitcnt vmcnt(4)
	v_fma_f32 v5, v144, v180, -v5
	v_mul_f32_e32 v200, v146, v163
	v_add_f32_e32 v2, v2, v3
	v_fmac_f32_e32 v199, v145, v180
	v_add_f32_e32 v1, v1, v198
	v_mul_f32_e32 v3, v149, v164
	s_waitcnt vmcnt(3)
	v_fma_f32 v4, v146, v181, -v4
	v_add_f32_e32 v2, v2, v5
	v_mul_f32_e32 v201, v148, v164
	v_fmac_f32_e32 v200, v147, v181
	v_add_f32_e32 v1, v1, v199
	s_waitcnt vmcnt(2)
	v_fma_f32 v3, v148, v182, -v3
	v_add_f32_e32 v2, v2, v4
	v_fmac_f32_e32 v201, v149, v182
	v_add_f32_e32 v1, v1, v200
	v_add_f32_e32 v2, v2, v3
	;; [unrolled: 1-line block ×3, first 2 shown]
	s_waitcnt vmcnt(1)
	v_sub_f32_e32 v2, v183, v2
	s_waitcnt vmcnt(0)
	v_sub_f32_e32 v1, v184, v1
	buffer_store_dword v2, off, s[0:3], 0 offset:280
	buffer_store_dword v1, off, s[0:3], 0 offset:284
	v_cmpx_lt_u32_e32 34, v0
	s_cbranch_execz .LBB53_269
; %bb.268:
	s_clause 0x1
	buffer_load_dword v1, off, s[0:3], 0 offset:272
	buffer_load_dword v2, off, s[0:3], 0 offset:276
	v_mov_b32_e32 v3, 0
	buffer_store_dword v3, off, s[0:3], 0 offset:272
	buffer_store_dword v3, off, s[0:3], 0 offset:276
	s_waitcnt vmcnt(0)
	ds_write_b64 v117, v[1:2]
.LBB53_269:
	s_or_b32 exec_lo, exec_lo, s4
	s_waitcnt lgkmcnt(0)
	s_waitcnt_vscnt null, 0x0
	s_barrier
	buffer_gl0_inv
	s_clause 0x27
	buffer_load_dword v8, off, s[0:3], 0 offset:284
	buffer_load_dword v150, off, s[0:3], 0 offset:292
	;; [unrolled: 1-line block ×40, first 2 shown]
	v_mov_b32_e32 v1, 0
	ds_read2_b64 v[2:5], v1 offset0:89 offset1:90
	ds_read2_b64 v[118:121], v1 offset0:91 offset1:92
	;; [unrolled: 1-line block ×9, first 2 shown]
	ds_read_b64 v[6:7], v1 offset:856
	s_mov_b32 s4, exec_lo
	s_waitcnt vmcnt(39) lgkmcnt(9)
	v_mul_f32_e32 v189, v2, v8
	v_mul_f32_e32 v8, v3, v8
	s_waitcnt vmcnt(38)
	v_mul_f32_e32 v190, v4, v150
	v_mul_f32_e32 v150, v5, v150
	s_waitcnt vmcnt(37) lgkmcnt(8)
	v_mul_f32_e32 v191, v118, v151
	s_waitcnt vmcnt(36)
	v_mul_f32_e32 v192, v120, v152
	s_waitcnt vmcnt(35) lgkmcnt(7)
	v_mul_f32_e32 v193, v122, v153
	s_waitcnt vmcnt(34)
	;; [unrolled: 4-line block ×8, first 2 shown]
	v_fma_f32 v2, v2, v168, -v8
	v_fmac_f32_e32 v189, v3, v168
	v_mul_f32_e32 v3, v119, v151
	s_waitcnt vmcnt(19)
	v_fma_f32 v4, v4, v169, -v150
	v_fmac_f32_e32 v190, v5, v169
	v_add_f32_e32 v2, 0, v2
	v_add_f32_e32 v5, 0, v189
	v_mul_f32_e32 v8, v121, v152
	s_waitcnt vmcnt(18)
	v_fma_f32 v3, v118, v170, -v3
	v_fmac_f32_e32 v191, v119, v170
	v_add_f32_e32 v2, v2, v4
	v_add_f32_e32 v4, v5, v190
	v_mul_f32_e32 v5, v123, v153
	s_waitcnt vmcnt(17)
	v_fma_f32 v8, v120, v171, -v8
	v_fmac_f32_e32 v192, v121, v171
	v_add_f32_e32 v2, v2, v3
	v_add_f32_e32 v3, v4, v191
	v_mul_f32_e32 v4, v125, v154
	s_waitcnt vmcnt(16)
	v_fma_f32 v5, v122, v172, -v5
	v_fmac_f32_e32 v193, v123, v172
	v_add_f32_e32 v2, v2, v8
	v_add_f32_e32 v3, v3, v192
	v_mul_f32_e32 v8, v127, v155
	s_waitcnt vmcnt(15)
	v_fma_f32 v4, v124, v173, -v4
	v_fmac_f32_e32 v194, v125, v173
	v_add_f32_e32 v2, v2, v5
	v_add_f32_e32 v3, v3, v193
	v_mul_f32_e32 v5, v129, v156
	s_waitcnt vmcnt(14)
	v_fma_f32 v8, v126, v174, -v8
	v_fmac_f32_e32 v195, v127, v174
	v_add_f32_e32 v2, v2, v4
	v_add_f32_e32 v3, v3, v194
	v_mul_f32_e32 v4, v131, v157
	s_waitcnt vmcnt(13)
	v_fma_f32 v5, v128, v175, -v5
	v_fmac_f32_e32 v196, v129, v175
	v_add_f32_e32 v2, v2, v8
	v_add_f32_e32 v3, v3, v195
	v_mul_f32_e32 v8, v133, v158
	s_waitcnt vmcnt(12)
	v_fma_f32 v4, v130, v176, -v4
	v_fmac_f32_e32 v197, v131, v176
	v_add_f32_e32 v2, v2, v5
	v_add_f32_e32 v3, v3, v196
	v_mul_f32_e32 v5, v135, v159
	s_waitcnt vmcnt(11)
	v_fma_f32 v8, v132, v177, -v8
	v_fmac_f32_e32 v198, v133, v177
	v_add_f32_e32 v2, v2, v4
	v_add_f32_e32 v3, v3, v197
	v_mul_f32_e32 v4, v137, v160
	s_waitcnt vmcnt(10)
	v_fma_f32 v5, v134, v178, -v5
	v_fmac_f32_e32 v199, v135, v178
	v_add_f32_e32 v2, v2, v8
	v_add_f32_e32 v3, v3, v198
	v_mul_f32_e32 v8, v139, v161
	s_waitcnt vmcnt(9)
	v_fma_f32 v4, v136, v179, -v4
	v_fmac_f32_e32 v200, v137, v179
	v_add_f32_e32 v2, v2, v5
	v_add_f32_e32 v3, v3, v199
	v_mul_f32_e32 v5, v141, v162
	s_waitcnt vmcnt(8)
	v_fma_f32 v8, v138, v180, -v8
	v_fmac_f32_e32 v201, v139, v180
	v_add_f32_e32 v2, v2, v4
	v_add_f32_e32 v3, v3, v200
	v_mul_f32_e32 v4, v143, v163
	s_waitcnt vmcnt(7)
	v_fma_f32 v5, v140, v181, -v5
	v_fmac_f32_e32 v202, v141, v181
	v_add_f32_e32 v2, v2, v8
	v_add_f32_e32 v3, v3, v201
	v_mul_f32_e32 v8, v145, v164
	s_waitcnt vmcnt(6)
	v_fma_f32 v4, v142, v182, -v4
	v_fmac_f32_e32 v203, v143, v182
	v_add_f32_e32 v2, v2, v5
	v_add_f32_e32 v3, v3, v202
	v_mul_f32_e32 v5, v147, v165
	s_waitcnt vmcnt(5)
	v_fma_f32 v8, v144, v183, -v8
	v_fmac_f32_e32 v204, v145, v183
	v_add_f32_e32 v2, v2, v4
	v_add_f32_e32 v3, v3, v203
	v_mul_f32_e32 v4, v149, v166
	s_waitcnt vmcnt(4)
	v_fma_f32 v5, v146, v184, -v5
	v_mul_f32_e32 v206, v148, v166
	v_add_f32_e32 v2, v2, v8
	v_fmac_f32_e32 v205, v147, v184
	v_add_f32_e32 v3, v3, v204
	s_waitcnt lgkmcnt(0)
	v_mul_f32_e32 v8, v7, v167
	s_waitcnt vmcnt(3)
	v_fma_f32 v4, v148, v185, -v4
	v_add_f32_e32 v2, v2, v5
	v_mul_f32_e32 v207, v6, v167
	v_fmac_f32_e32 v206, v149, v185
	v_add_f32_e32 v3, v3, v205
	s_waitcnt vmcnt(2)
	v_fma_f32 v5, v6, v186, -v8
	v_add_f32_e32 v2, v2, v4
	v_fmac_f32_e32 v207, v7, v186
	v_add_f32_e32 v3, v3, v206
	v_add_f32_e32 v2, v2, v5
	;; [unrolled: 1-line block ×3, first 2 shown]
	s_waitcnt vmcnt(1)
	v_sub_f32_e32 v2, v187, v2
	s_waitcnt vmcnt(0)
	v_sub_f32_e32 v3, v188, v3
	buffer_store_dword v2, off, s[0:3], 0 offset:272
	buffer_store_dword v3, off, s[0:3], 0 offset:276
	v_cmpx_lt_u32_e32 33, v0
	s_cbranch_execz .LBB53_271
; %bb.270:
	s_clause 0x1
	buffer_load_dword v2, off, s[0:3], 0 offset:264
	buffer_load_dword v3, off, s[0:3], 0 offset:268
	buffer_store_dword v1, off, s[0:3], 0 offset:264
	buffer_store_dword v1, off, s[0:3], 0 offset:268
	s_waitcnt vmcnt(0)
	ds_write_b64 v117, v[2:3]
.LBB53_271:
	s_or_b32 exec_lo, exec_lo, s4
	s_waitcnt lgkmcnt(0)
	s_waitcnt_vscnt null, 0x0
	s_barrier
	buffer_gl0_inv
	s_clause 0x29
	buffer_load_dword v6, off, s[0:3], 0 offset:276
	buffer_load_dword v7, off, s[0:3], 0 offset:284
	;; [unrolled: 1-line block ×42, first 2 shown]
	ds_read_b128 v[2:5], v1 offset:704
	ds_read_b128 v[118:121], v1 offset:720
	;; [unrolled: 1-line block ×10, first 2 shown]
	s_mov_b32 s4, exec_lo
	s_waitcnt vmcnt(41) lgkmcnt(9)
	v_mul_f32_e32 v1, v2, v6
	v_mul_f32_e32 v6, v3, v6
	s_waitcnt vmcnt(40)
	v_mul_f32_e32 v193, v4, v7
	v_mul_f32_e32 v7, v5, v7
	s_waitcnt vmcnt(39) lgkmcnt(8)
	v_mul_f32_e32 v194, v118, v8
	s_waitcnt vmcnt(38)
	v_mul_f32_e32 v195, v120, v154
	s_waitcnt vmcnt(37) lgkmcnt(7)
	v_mul_f32_e32 v196, v122, v155
	s_waitcnt vmcnt(36)
	;; [unrolled: 4-line block ×8, first 2 shown]
	v_mul_f32_e32 v209, v148, v168
	s_waitcnt vmcnt(21)
	v_fma_f32 v2, v2, v171, -v6
	v_fmac_f32_e32 v1, v3, v171
	v_mul_f32_e32 v3, v119, v8
	s_waitcnt vmcnt(20)
	v_fma_f32 v4, v4, v172, -v7
	v_fmac_f32_e32 v193, v5, v172
	v_add_f32_e32 v2, 0, v2
	v_add_f32_e32 v1, 0, v1
	v_mul_f32_e32 v5, v121, v154
	s_waitcnt vmcnt(19)
	v_fma_f32 v3, v118, v173, -v3
	v_fmac_f32_e32 v194, v119, v173
	v_add_f32_e32 v2, v2, v4
	v_add_f32_e32 v1, v1, v193
	;; [unrolled: 6-line block ×16, first 2 shown]
	s_waitcnt lgkmcnt(0)
	v_mul_f32_e32 v5, v151, v169
	s_waitcnt vmcnt(4)
	v_fma_f32 v3, v148, v188, -v3
	v_mul_f32_e32 v210, v150, v169
	v_add_f32_e32 v2, v2, v4
	v_fmac_f32_e32 v209, v149, v188
	v_add_f32_e32 v1, v1, v208
	v_mul_f32_e32 v4, v153, v170
	s_waitcnt vmcnt(3)
	v_fma_f32 v5, v150, v189, -v5
	v_add_f32_e32 v2, v2, v3
	v_mul_f32_e32 v211, v152, v170
	v_fmac_f32_e32 v210, v151, v189
	v_add_f32_e32 v1, v1, v209
	s_waitcnt vmcnt(2)
	v_fma_f32 v3, v152, v190, -v4
	v_add_f32_e32 v2, v2, v5
	v_fmac_f32_e32 v211, v153, v190
	v_add_f32_e32 v1, v1, v210
	v_add_f32_e32 v2, v2, v3
	v_add_f32_e32 v1, v1, v211
	s_waitcnt vmcnt(1)
	v_sub_f32_e32 v2, v191, v2
	s_waitcnt vmcnt(0)
	v_sub_f32_e32 v1, v192, v1
	buffer_store_dword v2, off, s[0:3], 0 offset:264
	buffer_store_dword v1, off, s[0:3], 0 offset:268
	v_cmpx_lt_u32_e32 32, v0
	s_cbranch_execz .LBB53_273
; %bb.272:
	s_clause 0x1
	buffer_load_dword v1, off, s[0:3], 0 offset:256
	buffer_load_dword v2, off, s[0:3], 0 offset:260
	v_mov_b32_e32 v3, 0
	buffer_store_dword v3, off, s[0:3], 0 offset:256
	buffer_store_dword v3, off, s[0:3], 0 offset:260
	s_waitcnt vmcnt(0)
	ds_write_b64 v117, v[1:2]
.LBB53_273:
	s_or_b32 exec_lo, exec_lo, s4
	s_waitcnt lgkmcnt(0)
	s_waitcnt_vscnt null, 0x0
	s_barrier
	buffer_gl0_inv
	s_clause 0x2b
	buffer_load_dword v8, off, s[0:3], 0 offset:268
	buffer_load_dword v154, off, s[0:3], 0 offset:276
	;; [unrolled: 1-line block ×44, first 2 shown]
	v_mov_b32_e32 v1, 0
	ds_read2_b64 v[2:5], v1 offset0:87 offset1:88
	ds_read2_b64 v[118:121], v1 offset0:89 offset1:90
	;; [unrolled: 1-line block ×10, first 2 shown]
	ds_read_b64 v[6:7], v1 offset:856
	s_mov_b32 s4, exec_lo
	s_waitcnt vmcnt(43) lgkmcnt(10)
	v_mul_f32_e32 v197, v2, v8
	v_mul_f32_e32 v8, v3, v8
	s_waitcnt vmcnt(42)
	v_mul_f32_e32 v198, v4, v154
	v_mul_f32_e32 v154, v5, v154
	s_waitcnt vmcnt(41) lgkmcnt(9)
	v_mul_f32_e32 v199, v118, v155
	s_waitcnt vmcnt(40)
	v_mul_f32_e32 v200, v120, v156
	s_waitcnt vmcnt(39) lgkmcnt(8)
	v_mul_f32_e32 v201, v122, v157
	s_waitcnt vmcnt(38)
	;; [unrolled: 4-line block ×9, first 2 shown]
	v_fma_f32 v2, v2, v174, -v8
	v_fmac_f32_e32 v197, v3, v174
	v_mul_f32_e32 v3, v119, v155
	s_waitcnt vmcnt(21)
	v_fma_f32 v4, v4, v175, -v154
	v_fmac_f32_e32 v198, v5, v175
	v_add_f32_e32 v2, 0, v2
	v_add_f32_e32 v5, 0, v197
	v_mul_f32_e32 v8, v121, v156
	s_waitcnt vmcnt(20)
	v_fma_f32 v3, v118, v176, -v3
	v_fmac_f32_e32 v199, v119, v176
	v_add_f32_e32 v2, v2, v4
	v_add_f32_e32 v4, v5, v198
	;; [unrolled: 6-line block ×17, first 2 shown]
	v_mul_f32_e32 v5, v153, v172
	s_waitcnt vmcnt(4)
	v_fma_f32 v8, v150, v192, -v8
	v_mul_f32_e32 v216, v152, v172
	v_add_f32_e32 v2, v2, v4
	v_fmac_f32_e32 v215, v151, v192
	v_add_f32_e32 v3, v3, v214
	s_waitcnt lgkmcnt(0)
	v_mul_f32_e32 v4, v7, v173
	s_waitcnt vmcnt(3)
	v_fma_f32 v5, v152, v193, -v5
	v_add_f32_e32 v2, v2, v8
	v_mul_f32_e32 v217, v6, v173
	v_fmac_f32_e32 v216, v153, v193
	v_add_f32_e32 v3, v3, v215
	s_waitcnt vmcnt(2)
	v_fma_f32 v4, v6, v194, -v4
	v_add_f32_e32 v2, v2, v5
	v_fmac_f32_e32 v217, v7, v194
	v_add_f32_e32 v3, v3, v216
	v_add_f32_e32 v2, v2, v4
	;; [unrolled: 1-line block ×3, first 2 shown]
	s_waitcnt vmcnt(1)
	v_sub_f32_e32 v2, v195, v2
	s_waitcnt vmcnt(0)
	v_sub_f32_e32 v3, v196, v3
	buffer_store_dword v2, off, s[0:3], 0 offset:256
	buffer_store_dword v3, off, s[0:3], 0 offset:260
	v_cmpx_lt_u32_e32 31, v0
	s_cbranch_execz .LBB53_275
; %bb.274:
	s_clause 0x1
	buffer_load_dword v2, off, s[0:3], 0 offset:248
	buffer_load_dword v3, off, s[0:3], 0 offset:252
	buffer_store_dword v1, off, s[0:3], 0 offset:248
	buffer_store_dword v1, off, s[0:3], 0 offset:252
	s_waitcnt vmcnt(0)
	ds_write_b64 v117, v[2:3]
.LBB53_275:
	s_or_b32 exec_lo, exec_lo, s4
	s_waitcnt lgkmcnt(0)
	s_waitcnt_vscnt null, 0x0
	s_barrier
	buffer_gl0_inv
	s_clause 0x2d
	buffer_load_dword v6, off, s[0:3], 0 offset:260
	buffer_load_dword v7, off, s[0:3], 0 offset:268
	;; [unrolled: 1-line block ×46, first 2 shown]
	ds_read_b128 v[2:5], v1 offset:688
	ds_read_b128 v[118:121], v1 offset:704
	;; [unrolled: 1-line block ×11, first 2 shown]
	s_mov_b32 s4, exec_lo
	s_waitcnt vmcnt(45) lgkmcnt(10)
	v_mul_f32_e32 v1, v2, v6
	v_mul_f32_e32 v6, v3, v6
	s_waitcnt vmcnt(44)
	v_mul_f32_e32 v201, v4, v7
	v_mul_f32_e32 v7, v5, v7
	s_waitcnt vmcnt(43) lgkmcnt(9)
	v_mul_f32_e32 v202, v118, v8
	s_waitcnt vmcnt(42)
	v_mul_f32_e32 v203, v120, v158
	s_waitcnt vmcnt(41) lgkmcnt(8)
	v_mul_f32_e32 v204, v122, v159
	s_waitcnt vmcnt(40)
	;; [unrolled: 4-line block ×9, first 2 shown]
	v_mul_f32_e32 v219, v152, v174
	s_waitcnt vmcnt(23)
	v_fma_f32 v2, v2, v177, -v6
	v_fmac_f32_e32 v1, v3, v177
	v_mul_f32_e32 v3, v119, v8
	s_waitcnt vmcnt(22)
	v_fma_f32 v4, v4, v178, -v7
	v_fmac_f32_e32 v201, v5, v178
	v_add_f32_e32 v2, 0, v2
	v_add_f32_e32 v1, 0, v1
	v_mul_f32_e32 v5, v121, v158
	s_waitcnt vmcnt(21)
	v_fma_f32 v3, v118, v179, -v3
	v_fmac_f32_e32 v202, v119, v179
	v_add_f32_e32 v2, v2, v4
	v_add_f32_e32 v1, v1, v201
	;; [unrolled: 6-line block ×18, first 2 shown]
	s_waitcnt lgkmcnt(0)
	v_mul_f32_e32 v3, v155, v175
	s_waitcnt vmcnt(4)
	v_fma_f32 v4, v152, v196, -v4
	v_mul_f32_e32 v220, v154, v175
	v_add_f32_e32 v2, v2, v5
	v_fmac_f32_e32 v219, v153, v196
	v_add_f32_e32 v1, v1, v218
	v_mul_f32_e32 v5, v157, v176
	s_waitcnt vmcnt(3)
	v_fma_f32 v3, v154, v197, -v3
	v_add_f32_e32 v2, v2, v4
	v_mul_f32_e32 v221, v156, v176
	v_fmac_f32_e32 v220, v155, v197
	v_add_f32_e32 v1, v1, v219
	s_waitcnt vmcnt(2)
	v_fma_f32 v4, v156, v198, -v5
	v_add_f32_e32 v2, v2, v3
	v_fmac_f32_e32 v221, v157, v198
	v_add_f32_e32 v1, v1, v220
	v_add_f32_e32 v2, v2, v4
	;; [unrolled: 1-line block ×3, first 2 shown]
	s_waitcnt vmcnt(1)
	v_sub_f32_e32 v2, v199, v2
	s_waitcnt vmcnt(0)
	v_sub_f32_e32 v1, v200, v1
	buffer_store_dword v2, off, s[0:3], 0 offset:248
	buffer_store_dword v1, off, s[0:3], 0 offset:252
	v_cmpx_lt_u32_e32 30, v0
	s_cbranch_execz .LBB53_277
; %bb.276:
	s_clause 0x1
	buffer_load_dword v1, off, s[0:3], 0 offset:240
	buffer_load_dword v2, off, s[0:3], 0 offset:244
	v_mov_b32_e32 v3, 0
	buffer_store_dword v3, off, s[0:3], 0 offset:240
	buffer_store_dword v3, off, s[0:3], 0 offset:244
	s_waitcnt vmcnt(0)
	ds_write_b64 v117, v[1:2]
.LBB53_277:
	s_or_b32 exec_lo, exec_lo, s4
	s_waitcnt lgkmcnt(0)
	s_waitcnt_vscnt null, 0x0
	s_barrier
	buffer_gl0_inv
	s_clause 0x2f
	buffer_load_dword v8, off, s[0:3], 0 offset:252
	buffer_load_dword v158, off, s[0:3], 0 offset:260
	;; [unrolled: 1-line block ×48, first 2 shown]
	v_mov_b32_e32 v1, 0
	ds_read2_b64 v[2:5], v1 offset0:85 offset1:86
	ds_read2_b64 v[118:121], v1 offset0:87 offset1:88
	;; [unrolled: 1-line block ×11, first 2 shown]
	ds_read_b64 v[6:7], v1 offset:856
	s_mov_b32 s4, exec_lo
	s_waitcnt vmcnt(47) lgkmcnt(11)
	v_mul_f32_e32 v205, v2, v8
	v_mul_f32_e32 v8, v3, v8
	s_waitcnt vmcnt(46)
	v_mul_f32_e32 v206, v4, v158
	v_mul_f32_e32 v158, v5, v158
	s_waitcnt vmcnt(45) lgkmcnt(10)
	v_mul_f32_e32 v207, v118, v159
	s_waitcnt vmcnt(44)
	v_mul_f32_e32 v208, v120, v160
	s_waitcnt vmcnt(43) lgkmcnt(9)
	v_mul_f32_e32 v209, v122, v161
	s_waitcnt vmcnt(42)
	;; [unrolled: 4-line block ×10, first 2 shown]
	v_fma_f32 v2, v2, v180, -v8
	v_fmac_f32_e32 v205, v3, v180
	v_mul_f32_e32 v3, v119, v159
	s_waitcnt vmcnt(23)
	v_fma_f32 v4, v4, v181, -v158
	v_fmac_f32_e32 v206, v5, v181
	v_add_f32_e32 v2, 0, v2
	v_add_f32_e32 v5, 0, v205
	v_mul_f32_e32 v8, v121, v160
	s_waitcnt vmcnt(22)
	v_fma_f32 v3, v118, v182, -v3
	v_fmac_f32_e32 v207, v119, v182
	v_add_f32_e32 v2, v2, v4
	v_add_f32_e32 v4, v5, v206
	v_mul_f32_e32 v5, v123, v161
	s_waitcnt vmcnt(21)
	v_fma_f32 v8, v120, v183, -v8
	v_fmac_f32_e32 v208, v121, v183
	v_add_f32_e32 v2, v2, v3
	v_add_f32_e32 v3, v4, v207
	v_mul_f32_e32 v4, v125, v162
	s_waitcnt vmcnt(20)
	v_fma_f32 v5, v122, v184, -v5
	v_fmac_f32_e32 v209, v123, v184
	v_add_f32_e32 v2, v2, v8
	v_add_f32_e32 v3, v3, v208
	v_mul_f32_e32 v8, v127, v163
	s_waitcnt vmcnt(19)
	v_fma_f32 v4, v124, v185, -v4
	v_fmac_f32_e32 v210, v125, v185
	v_add_f32_e32 v2, v2, v5
	v_add_f32_e32 v3, v3, v209
	v_mul_f32_e32 v5, v129, v164
	s_waitcnt vmcnt(18)
	v_fma_f32 v8, v126, v186, -v8
	v_fmac_f32_e32 v211, v127, v186
	v_add_f32_e32 v2, v2, v4
	v_add_f32_e32 v3, v3, v210
	v_mul_f32_e32 v4, v131, v165
	s_waitcnt vmcnt(17)
	v_fma_f32 v5, v128, v187, -v5
	v_fmac_f32_e32 v212, v129, v187
	v_add_f32_e32 v2, v2, v8
	v_add_f32_e32 v3, v3, v211
	v_mul_f32_e32 v8, v133, v166
	s_waitcnt vmcnt(16)
	v_fma_f32 v4, v130, v188, -v4
	v_fmac_f32_e32 v213, v131, v188
	v_add_f32_e32 v2, v2, v5
	v_add_f32_e32 v3, v3, v212
	v_mul_f32_e32 v5, v135, v167
	s_waitcnt vmcnt(15)
	v_fma_f32 v8, v132, v189, -v8
	v_fmac_f32_e32 v214, v133, v189
	v_add_f32_e32 v2, v2, v4
	v_add_f32_e32 v3, v3, v213
	v_mul_f32_e32 v4, v137, v168
	s_waitcnt vmcnt(14)
	v_fma_f32 v5, v134, v190, -v5
	v_fmac_f32_e32 v215, v135, v190
	v_add_f32_e32 v2, v2, v8
	v_add_f32_e32 v3, v3, v214
	v_mul_f32_e32 v8, v139, v169
	s_waitcnt vmcnt(13)
	v_fma_f32 v4, v136, v191, -v4
	v_fmac_f32_e32 v216, v137, v191
	v_add_f32_e32 v2, v2, v5
	v_add_f32_e32 v3, v3, v215
	v_mul_f32_e32 v5, v141, v170
	s_waitcnt vmcnt(12)
	v_fma_f32 v8, v138, v192, -v8
	v_fmac_f32_e32 v217, v139, v192
	v_add_f32_e32 v2, v2, v4
	v_add_f32_e32 v3, v3, v216
	v_mul_f32_e32 v4, v143, v171
	s_waitcnt vmcnt(11)
	v_fma_f32 v5, v140, v193, -v5
	v_fmac_f32_e32 v218, v141, v193
	v_add_f32_e32 v2, v2, v8
	v_add_f32_e32 v3, v3, v217
	v_mul_f32_e32 v8, v145, v172
	s_waitcnt vmcnt(10)
	v_fma_f32 v4, v142, v194, -v4
	v_fmac_f32_e32 v219, v143, v194
	v_add_f32_e32 v2, v2, v5
	v_add_f32_e32 v3, v3, v218
	v_mul_f32_e32 v5, v147, v173
	s_waitcnt vmcnt(9)
	v_fma_f32 v8, v144, v195, -v8
	v_fmac_f32_e32 v220, v145, v195
	v_add_f32_e32 v2, v2, v4
	v_add_f32_e32 v3, v3, v219
	v_mul_f32_e32 v4, v149, v174
	s_waitcnt vmcnt(8)
	v_fma_f32 v5, v146, v196, -v5
	v_fmac_f32_e32 v221, v147, v196
	v_add_f32_e32 v2, v2, v8
	v_add_f32_e32 v3, v3, v220
	v_mul_f32_e32 v8, v151, v175
	s_waitcnt vmcnt(7)
	v_fma_f32 v4, v148, v197, -v4
	v_fmac_f32_e32 v222, v149, v197
	v_add_f32_e32 v2, v2, v5
	v_add_f32_e32 v3, v3, v221
	v_mul_f32_e32 v5, v153, v176
	s_waitcnt vmcnt(6)
	v_fma_f32 v8, v150, v198, -v8
	v_fmac_f32_e32 v223, v151, v198
	v_add_f32_e32 v2, v2, v4
	v_add_f32_e32 v3, v3, v222
	v_mul_f32_e32 v4, v155, v177
	s_waitcnt vmcnt(5)
	v_fma_f32 v5, v152, v199, -v5
	v_fmac_f32_e32 v224, v153, v199
	v_add_f32_e32 v2, v2, v8
	v_add_f32_e32 v3, v3, v223
	v_mul_f32_e32 v8, v157, v178
	s_waitcnt vmcnt(4)
	v_fma_f32 v4, v154, v200, -v4
	v_mul_f32_e32 v226, v156, v178
	v_add_f32_e32 v2, v2, v5
	v_fmac_f32_e32 v225, v155, v200
	v_add_f32_e32 v3, v3, v224
	s_waitcnt lgkmcnt(0)
	v_mul_f32_e32 v5, v7, v179
	s_waitcnt vmcnt(3)
	v_fma_f32 v8, v156, v201, -v8
	v_add_f32_e32 v2, v2, v4
	v_mul_f32_e32 v227, v6, v179
	v_fmac_f32_e32 v226, v157, v201
	v_add_f32_e32 v3, v3, v225
	s_waitcnt vmcnt(2)
	v_fma_f32 v4, v6, v202, -v5
	v_add_f32_e32 v2, v2, v8
	v_fmac_f32_e32 v227, v7, v202
	v_add_f32_e32 v3, v3, v226
	v_add_f32_e32 v2, v2, v4
	;; [unrolled: 1-line block ×3, first 2 shown]
	s_waitcnt vmcnt(1)
	v_sub_f32_e32 v2, v203, v2
	s_waitcnt vmcnt(0)
	v_sub_f32_e32 v3, v204, v3
	buffer_store_dword v2, off, s[0:3], 0 offset:240
	buffer_store_dword v3, off, s[0:3], 0 offset:244
	v_cmpx_lt_u32_e32 29, v0
	s_cbranch_execz .LBB53_279
; %bb.278:
	s_clause 0x1
	buffer_load_dword v2, off, s[0:3], 0 offset:232
	buffer_load_dword v3, off, s[0:3], 0 offset:236
	buffer_store_dword v1, off, s[0:3], 0 offset:232
	buffer_store_dword v1, off, s[0:3], 0 offset:236
	s_waitcnt vmcnt(0)
	ds_write_b64 v117, v[2:3]
.LBB53_279:
	s_or_b32 exec_lo, exec_lo, s4
	s_waitcnt lgkmcnt(0)
	s_waitcnt_vscnt null, 0x0
	s_barrier
	buffer_gl0_inv
	s_clause 0x31
	buffer_load_dword v6, off, s[0:3], 0 offset:244
	buffer_load_dword v7, off, s[0:3], 0 offset:252
	;; [unrolled: 1-line block ×50, first 2 shown]
	ds_read_b128 v[2:5], v1 offset:672
	ds_read_b128 v[118:121], v1 offset:688
	;; [unrolled: 1-line block ×12, first 2 shown]
	s_mov_b32 s4, exec_lo
	s_waitcnt vmcnt(49) lgkmcnt(11)
	v_mul_f32_e32 v1, v2, v6
	v_mul_f32_e32 v6, v3, v6
	s_waitcnt vmcnt(48)
	v_mul_f32_e32 v209, v4, v7
	v_mul_f32_e32 v7, v5, v7
	s_waitcnt vmcnt(47) lgkmcnt(10)
	v_mul_f32_e32 v210, v118, v8
	s_waitcnt vmcnt(46)
	v_mul_f32_e32 v211, v120, v162
	s_waitcnt vmcnt(45) lgkmcnt(9)
	v_mul_f32_e32 v212, v122, v163
	s_waitcnt vmcnt(44)
	;; [unrolled: 4-line block ×10, first 2 shown]
	v_mul_f32_e32 v229, v156, v180
	s_waitcnt vmcnt(25)
	v_fma_f32 v2, v2, v183, -v6
	v_fmac_f32_e32 v1, v3, v183
	v_mul_f32_e32 v3, v119, v8
	s_waitcnt vmcnt(24)
	v_fma_f32 v4, v4, v184, -v7
	v_fmac_f32_e32 v209, v5, v184
	v_add_f32_e32 v2, 0, v2
	v_add_f32_e32 v1, 0, v1
	v_mul_f32_e32 v5, v121, v162
	s_waitcnt vmcnt(23)
	v_fma_f32 v3, v118, v185, -v3
	v_fmac_f32_e32 v210, v119, v185
	v_add_f32_e32 v2, v2, v4
	v_add_f32_e32 v1, v1, v209
	;; [unrolled: 6-line block ×20, first 2 shown]
	s_waitcnt lgkmcnt(0)
	v_mul_f32_e32 v4, v159, v181
	s_waitcnt vmcnt(4)
	v_fma_f32 v5, v156, v204, -v5
	v_mul_f32_e32 v230, v158, v181
	v_add_f32_e32 v2, v2, v3
	v_fmac_f32_e32 v229, v157, v204
	v_add_f32_e32 v1, v1, v228
	v_mul_f32_e32 v3, v161, v182
	s_waitcnt vmcnt(3)
	v_fma_f32 v4, v158, v205, -v4
	v_add_f32_e32 v2, v2, v5
	v_mul_f32_e32 v231, v160, v182
	v_fmac_f32_e32 v230, v159, v205
	v_add_f32_e32 v1, v1, v229
	s_waitcnt vmcnt(2)
	v_fma_f32 v3, v160, v206, -v3
	v_add_f32_e32 v2, v2, v4
	v_fmac_f32_e32 v231, v161, v206
	v_add_f32_e32 v1, v1, v230
	v_add_f32_e32 v2, v2, v3
	;; [unrolled: 1-line block ×3, first 2 shown]
	s_waitcnt vmcnt(1)
	v_sub_f32_e32 v2, v207, v2
	s_waitcnt vmcnt(0)
	v_sub_f32_e32 v1, v208, v1
	buffer_store_dword v2, off, s[0:3], 0 offset:232
	buffer_store_dword v1, off, s[0:3], 0 offset:236
	v_cmpx_lt_u32_e32 28, v0
	s_cbranch_execz .LBB53_281
; %bb.280:
	s_clause 0x1
	buffer_load_dword v1, off, s[0:3], 0 offset:224
	buffer_load_dword v2, off, s[0:3], 0 offset:228
	v_mov_b32_e32 v3, 0
	buffer_store_dword v3, off, s[0:3], 0 offset:224
	buffer_store_dword v3, off, s[0:3], 0 offset:228
	s_waitcnt vmcnt(0)
	ds_write_b64 v117, v[1:2]
.LBB53_281:
	s_or_b32 exec_lo, exec_lo, s4
	s_waitcnt lgkmcnt(0)
	s_waitcnt_vscnt null, 0x0
	s_barrier
	buffer_gl0_inv
	s_clause 0x33
	buffer_load_dword v8, off, s[0:3], 0 offset:236
	buffer_load_dword v162, off, s[0:3], 0 offset:244
	;; [unrolled: 1-line block ×52, first 2 shown]
	v_mov_b32_e32 v1, 0
	ds_read2_b64 v[2:5], v1 offset0:83 offset1:84
	ds_read2_b64 v[118:121], v1 offset0:85 offset1:86
	ds_read2_b64 v[122:125], v1 offset0:87 offset1:88
	ds_read2_b64 v[126:129], v1 offset0:89 offset1:90
	ds_read2_b64 v[130:133], v1 offset0:91 offset1:92
	ds_read2_b64 v[134:137], v1 offset0:93 offset1:94
	ds_read2_b64 v[138:141], v1 offset0:95 offset1:96
	ds_read2_b64 v[142:145], v1 offset0:97 offset1:98
	ds_read2_b64 v[146:149], v1 offset0:99 offset1:100
	ds_read2_b64 v[150:153], v1 offset0:101 offset1:102
	ds_read2_b64 v[154:157], v1 offset0:103 offset1:104
	ds_read2_b64 v[158:161], v1 offset0:105 offset1:106
	ds_read_b64 v[6:7], v1 offset:856
	s_mov_b32 s4, exec_lo
	s_waitcnt vmcnt(51) lgkmcnt(12)
	v_mul_f32_e32 v213, v2, v8
	v_mul_f32_e32 v8, v3, v8
	s_waitcnt vmcnt(50)
	v_mul_f32_e32 v214, v4, v162
	v_mul_f32_e32 v162, v5, v162
	s_waitcnt vmcnt(49) lgkmcnt(11)
	v_mul_f32_e32 v215, v118, v163
	s_waitcnt vmcnt(48)
	v_mul_f32_e32 v216, v120, v164
	s_waitcnt vmcnt(47) lgkmcnt(10)
	v_mul_f32_e32 v217, v122, v165
	s_waitcnt vmcnt(46)
	;; [unrolled: 4-line block ×11, first 2 shown]
	v_fma_f32 v2, v2, v186, -v8
	v_fmac_f32_e32 v213, v3, v186
	v_mul_f32_e32 v3, v119, v163
	s_waitcnt vmcnt(25)
	v_fma_f32 v4, v4, v187, -v162
	v_fmac_f32_e32 v214, v5, v187
	v_add_f32_e32 v2, 0, v2
	v_add_f32_e32 v5, 0, v213
	v_mul_f32_e32 v8, v121, v164
	s_waitcnt vmcnt(24)
	v_fma_f32 v3, v118, v188, -v3
	v_fmac_f32_e32 v215, v119, v188
	v_add_f32_e32 v2, v2, v4
	v_add_f32_e32 v4, v5, v214
	;; [unrolled: 6-line block ×21, first 2 shown]
	v_mul_f32_e32 v4, v161, v184
	s_waitcnt vmcnt(4)
	v_fma_f32 v5, v158, v208, -v5
	v_mul_f32_e32 v236, v160, v184
	v_add_f32_e32 v2, v2, v8
	v_fmac_f32_e32 v235, v159, v208
	v_add_f32_e32 v3, v3, v234
	s_waitcnt lgkmcnt(0)
	v_mul_f32_e32 v8, v7, v185
	s_waitcnt vmcnt(3)
	v_fma_f32 v4, v160, v209, -v4
	v_add_f32_e32 v2, v2, v5
	v_mul_f32_e32 v237, v6, v185
	v_fmac_f32_e32 v236, v161, v209
	v_add_f32_e32 v3, v3, v235
	s_waitcnt vmcnt(2)
	v_fma_f32 v5, v6, v210, -v8
	v_add_f32_e32 v2, v2, v4
	v_fmac_f32_e32 v237, v7, v210
	v_add_f32_e32 v3, v3, v236
	v_add_f32_e32 v2, v2, v5
	v_add_f32_e32 v3, v3, v237
	s_waitcnt vmcnt(1)
	v_sub_f32_e32 v2, v211, v2
	s_waitcnt vmcnt(0)
	v_sub_f32_e32 v3, v212, v3
	buffer_store_dword v2, off, s[0:3], 0 offset:224
	buffer_store_dword v3, off, s[0:3], 0 offset:228
	v_cmpx_lt_u32_e32 27, v0
	s_cbranch_execz .LBB53_283
; %bb.282:
	s_clause 0x1
	buffer_load_dword v2, off, s[0:3], 0 offset:216
	buffer_load_dword v3, off, s[0:3], 0 offset:220
	buffer_store_dword v1, off, s[0:3], 0 offset:216
	buffer_store_dword v1, off, s[0:3], 0 offset:220
	s_waitcnt vmcnt(0)
	ds_write_b64 v117, v[2:3]
.LBB53_283:
	s_or_b32 exec_lo, exec_lo, s4
	s_waitcnt lgkmcnt(0)
	s_waitcnt_vscnt null, 0x0
	s_barrier
	buffer_gl0_inv
	s_clause 0x35
	buffer_load_dword v6, off, s[0:3], 0 offset:228
	buffer_load_dword v7, off, s[0:3], 0 offset:236
	;; [unrolled: 1-line block ×54, first 2 shown]
	ds_read_b128 v[2:5], v1 offset:656
	ds_read_b128 v[118:121], v1 offset:672
	;; [unrolled: 1-line block ×13, first 2 shown]
	s_mov_b32 s4, exec_lo
	s_waitcnt vmcnt(53) lgkmcnt(12)
	v_mul_f32_e32 v1, v2, v6
	v_mul_f32_e32 v6, v3, v6
	s_waitcnt vmcnt(52)
	v_mul_f32_e32 v217, v4, v7
	v_mul_f32_e32 v7, v5, v7
	s_waitcnt vmcnt(51) lgkmcnt(11)
	v_mul_f32_e32 v218, v118, v8
	s_waitcnt vmcnt(50)
	v_mul_f32_e32 v219, v120, v166
	s_waitcnt vmcnt(49) lgkmcnt(10)
	v_mul_f32_e32 v220, v122, v167
	s_waitcnt vmcnt(48)
	;; [unrolled: 4-line block ×11, first 2 shown]
	v_mul_f32_e32 v239, v160, v186
	s_waitcnt vmcnt(27)
	v_fma_f32 v2, v2, v189, -v6
	v_fmac_f32_e32 v1, v3, v189
	v_mul_f32_e32 v3, v119, v8
	s_waitcnt vmcnt(26)
	v_fma_f32 v4, v4, v190, -v7
	v_fmac_f32_e32 v217, v5, v190
	v_add_f32_e32 v2, 0, v2
	v_add_f32_e32 v1, 0, v1
	v_mul_f32_e32 v5, v121, v166
	s_waitcnt vmcnt(25)
	v_fma_f32 v3, v118, v191, -v3
	v_fmac_f32_e32 v218, v119, v191
	v_add_f32_e32 v2, v2, v4
	v_add_f32_e32 v1, v1, v217
	;; [unrolled: 6-line block ×22, first 2 shown]
	s_waitcnt lgkmcnt(0)
	v_mul_f32_e32 v5, v163, v187
	s_waitcnt vmcnt(4)
	v_fma_f32 v3, v160, v212, -v3
	v_mul_f32_e32 v240, v162, v187
	v_add_f32_e32 v2, v2, v4
	v_fmac_f32_e32 v239, v161, v212
	v_add_f32_e32 v1, v1, v238
	v_mul_f32_e32 v4, v165, v188
	s_waitcnt vmcnt(3)
	v_fma_f32 v5, v162, v213, -v5
	v_add_f32_e32 v2, v2, v3
	v_mul_f32_e32 v241, v164, v188
	v_fmac_f32_e32 v240, v163, v213
	v_add_f32_e32 v1, v1, v239
	s_waitcnt vmcnt(2)
	v_fma_f32 v3, v164, v214, -v4
	v_add_f32_e32 v2, v2, v5
	v_fmac_f32_e32 v241, v165, v214
	v_add_f32_e32 v1, v1, v240
	v_add_f32_e32 v2, v2, v3
	;; [unrolled: 1-line block ×3, first 2 shown]
	s_waitcnt vmcnt(1)
	v_sub_f32_e32 v2, v215, v2
	s_waitcnt vmcnt(0)
	v_sub_f32_e32 v1, v216, v1
	buffer_store_dword v2, off, s[0:3], 0 offset:216
	buffer_store_dword v1, off, s[0:3], 0 offset:220
	v_cmpx_lt_u32_e32 26, v0
	s_cbranch_execz .LBB53_285
; %bb.284:
	s_clause 0x1
	buffer_load_dword v1, off, s[0:3], 0 offset:208
	buffer_load_dword v2, off, s[0:3], 0 offset:212
	v_mov_b32_e32 v3, 0
	buffer_store_dword v3, off, s[0:3], 0 offset:208
	buffer_store_dword v3, off, s[0:3], 0 offset:212
	s_waitcnt vmcnt(0)
	ds_write_b64 v117, v[1:2]
.LBB53_285:
	s_or_b32 exec_lo, exec_lo, s4
	s_waitcnt lgkmcnt(0)
	s_waitcnt_vscnt null, 0x0
	s_barrier
	buffer_gl0_inv
	s_clause 0x37
	buffer_load_dword v8, off, s[0:3], 0 offset:220
	buffer_load_dword v166, off, s[0:3], 0 offset:228
	;; [unrolled: 1-line block ×56, first 2 shown]
	v_mov_b32_e32 v1, 0
	ds_read2_b64 v[2:5], v1 offset0:81 offset1:82
	ds_read2_b64 v[118:121], v1 offset0:83 offset1:84
	;; [unrolled: 1-line block ×13, first 2 shown]
	ds_read_b64 v[6:7], v1 offset:856
	s_mov_b32 s4, exec_lo
	s_waitcnt vmcnt(55) lgkmcnt(13)
	v_mul_f32_e32 v221, v2, v8
	v_mul_f32_e32 v8, v3, v8
	s_waitcnt vmcnt(54)
	v_mul_f32_e32 v222, v4, v166
	v_mul_f32_e32 v166, v5, v166
	s_waitcnt vmcnt(53) lgkmcnt(12)
	v_mul_f32_e32 v223, v118, v167
	s_waitcnt vmcnt(52)
	v_mul_f32_e32 v224, v120, v168
	s_waitcnt vmcnt(51) lgkmcnt(11)
	v_mul_f32_e32 v225, v122, v169
	s_waitcnt vmcnt(50)
	v_mul_f32_e32 v226, v124, v170
	s_waitcnt vmcnt(49) lgkmcnt(10)
	v_mul_f32_e32 v227, v126, v171
	s_waitcnt vmcnt(48)
	v_mul_f32_e32 v228, v128, v172
	s_waitcnt vmcnt(47) lgkmcnt(9)
	v_mul_f32_e32 v229, v130, v173
	s_waitcnt vmcnt(46)
	v_mul_f32_e32 v230, v132, v174
	s_waitcnt vmcnt(45) lgkmcnt(8)
	v_mul_f32_e32 v231, v134, v175
	s_waitcnt vmcnt(44)
	v_mul_f32_e32 v232, v136, v176
	s_waitcnt vmcnt(43) lgkmcnt(7)
	v_mul_f32_e32 v233, v138, v177
	s_waitcnt vmcnt(42)
	v_mul_f32_e32 v234, v140, v178
	s_waitcnt vmcnt(41) lgkmcnt(6)
	v_mul_f32_e32 v235, v142, v179
	s_waitcnt vmcnt(40)
	v_mul_f32_e32 v236, v144, v180
	s_waitcnt vmcnt(39) lgkmcnt(5)
	v_mul_f32_e32 v237, v146, v181
	s_waitcnt vmcnt(38)
	v_mul_f32_e32 v238, v148, v182
	s_waitcnt vmcnt(37) lgkmcnt(4)
	v_mul_f32_e32 v239, v150, v183
	s_waitcnt vmcnt(36)
	v_mul_f32_e32 v240, v152, v184
	s_waitcnt vmcnt(35) lgkmcnt(3)
	v_mul_f32_e32 v241, v154, v185
	s_waitcnt vmcnt(34)
	v_mul_f32_e32 v242, v156, v186
	s_waitcnt vmcnt(33) lgkmcnt(2)
	v_mul_f32_e32 v243, v158, v187
	s_waitcnt vmcnt(32)
	v_mul_f32_e32 v244, v160, v188
	s_waitcnt vmcnt(31) lgkmcnt(1)
	v_mul_f32_e32 v245, v162, v189
	s_waitcnt vmcnt(28)
	v_fma_f32 v2, v2, v192, -v8
	v_fmac_f32_e32 v221, v3, v192
	v_mul_f32_e32 v3, v119, v167
	s_waitcnt vmcnt(27)
	v_fma_f32 v4, v4, v193, -v166
	v_fmac_f32_e32 v222, v5, v193
	v_add_f32_e32 v2, 0, v2
	v_add_f32_e32 v5, 0, v221
	v_mul_f32_e32 v8, v121, v168
	s_waitcnt vmcnt(26)
	v_fma_f32 v3, v118, v194, -v3
	v_fmac_f32_e32 v223, v119, v194
	v_add_f32_e32 v2, v2, v4
	v_add_f32_e32 v4, v5, v222
	;; [unrolled: 6-line block ×23, first 2 shown]
	v_mul_f32_e32 v5, v165, v190
	s_waitcnt vmcnt(4)
	v_fma_f32 v8, v162, v216, -v8
	v_mul_f32_e32 v246, v164, v190
	v_add_f32_e32 v2, v2, v4
	v_fmac_f32_e32 v245, v163, v216
	v_add_f32_e32 v3, v3, v244
	s_waitcnt lgkmcnt(0)
	v_mul_f32_e32 v4, v7, v191
	s_waitcnt vmcnt(3)
	v_fma_f32 v5, v164, v217, -v5
	v_add_f32_e32 v2, v2, v8
	v_mul_f32_e32 v247, v6, v191
	v_fmac_f32_e32 v246, v165, v217
	v_add_f32_e32 v3, v3, v245
	s_waitcnt vmcnt(2)
	v_fma_f32 v4, v6, v218, -v4
	v_add_f32_e32 v2, v2, v5
	v_fmac_f32_e32 v247, v7, v218
	v_add_f32_e32 v3, v3, v246
	v_add_f32_e32 v2, v2, v4
	;; [unrolled: 1-line block ×3, first 2 shown]
	s_waitcnt vmcnt(1)
	v_sub_f32_e32 v2, v219, v2
	s_waitcnt vmcnt(0)
	v_sub_f32_e32 v3, v220, v3
	buffer_store_dword v2, off, s[0:3], 0 offset:208
	buffer_store_dword v3, off, s[0:3], 0 offset:212
	v_cmpx_lt_u32_e32 25, v0
	s_cbranch_execz .LBB53_287
; %bb.286:
	s_clause 0x1
	buffer_load_dword v2, off, s[0:3], 0 offset:200
	buffer_load_dword v3, off, s[0:3], 0 offset:204
	buffer_store_dword v1, off, s[0:3], 0 offset:200
	buffer_store_dword v1, off, s[0:3], 0 offset:204
	s_waitcnt vmcnt(0)
	ds_write_b64 v117, v[2:3]
.LBB53_287:
	s_or_b32 exec_lo, exec_lo, s4
	s_waitcnt lgkmcnt(0)
	s_waitcnt_vscnt null, 0x0
	s_barrier
	buffer_gl0_inv
	s_clause 0x39
	buffer_load_dword v6, off, s[0:3], 0 offset:212
	buffer_load_dword v7, off, s[0:3], 0 offset:220
	;; [unrolled: 1-line block ×58, first 2 shown]
	ds_read_b128 v[2:5], v1 offset:640
	ds_read_b128 v[118:121], v1 offset:656
	;; [unrolled: 1-line block ×14, first 2 shown]
	s_mov_b32 s4, exec_lo
	s_waitcnt vmcnt(57) lgkmcnt(13)
	v_mul_f32_e32 v1, v2, v6
	v_mul_f32_e32 v6, v3, v6
	s_waitcnt vmcnt(56)
	v_mul_f32_e32 v225, v4, v7
	v_mul_f32_e32 v7, v5, v7
	s_waitcnt vmcnt(55) lgkmcnt(12)
	v_mul_f32_e32 v226, v118, v8
	s_waitcnt vmcnt(54)
	v_mul_f32_e32 v227, v120, v170
	s_waitcnt vmcnt(53) lgkmcnt(11)
	v_mul_f32_e32 v228, v122, v171
	s_waitcnt vmcnt(52)
	;; [unrolled: 4-line block ×12, first 2 shown]
	v_mul_f32_e32 v249, v164, v192
	s_waitcnt vmcnt(29)
	v_fma_f32 v2, v2, v195, -v6
	v_fmac_f32_e32 v1, v3, v195
	v_mul_f32_e32 v3, v119, v8
	s_waitcnt vmcnt(28)
	v_fma_f32 v4, v4, v196, -v7
	v_fmac_f32_e32 v225, v5, v196
	v_add_f32_e32 v2, 0, v2
	v_add_f32_e32 v1, 0, v1
	v_mul_f32_e32 v5, v121, v170
	s_waitcnt vmcnt(27)
	v_fma_f32 v3, v118, v197, -v3
	v_fmac_f32_e32 v226, v119, v197
	v_add_f32_e32 v2, v2, v4
	v_add_f32_e32 v1, v1, v225
	v_mul_f32_e32 v4, v123, v171
	s_waitcnt vmcnt(26)
	v_fma_f32 v5, v120, v198, -v5
	v_fmac_f32_e32 v227, v121, v198
	v_add_f32_e32 v2, v2, v3
	v_add_f32_e32 v1, v1, v226
	v_mul_f32_e32 v3, v125, v172
	s_waitcnt vmcnt(25)
	v_fma_f32 v4, v122, v199, -v4
	v_fmac_f32_e32 v228, v123, v199
	v_add_f32_e32 v2, v2, v5
	v_add_f32_e32 v1, v1, v227
	v_mul_f32_e32 v5, v127, v173
	s_waitcnt vmcnt(24)
	v_fma_f32 v3, v124, v200, -v3
	v_fmac_f32_e32 v229, v125, v200
	v_add_f32_e32 v2, v2, v4
	v_add_f32_e32 v1, v1, v228
	v_mul_f32_e32 v4, v129, v174
	s_waitcnt vmcnt(23)
	v_fma_f32 v5, v126, v201, -v5
	v_fmac_f32_e32 v230, v127, v201
	v_add_f32_e32 v2, v2, v3
	v_add_f32_e32 v1, v1, v229
	v_mul_f32_e32 v3, v131, v175
	s_waitcnt vmcnt(22)
	v_fma_f32 v4, v128, v202, -v4
	v_fmac_f32_e32 v231, v129, v202
	v_add_f32_e32 v2, v2, v5
	v_add_f32_e32 v1, v1, v230
	v_mul_f32_e32 v5, v133, v176
	s_waitcnt vmcnt(21)
	v_fma_f32 v3, v130, v203, -v3
	v_fmac_f32_e32 v232, v131, v203
	v_add_f32_e32 v2, v2, v4
	v_add_f32_e32 v1, v1, v231
	v_mul_f32_e32 v4, v135, v177
	s_waitcnt vmcnt(20)
	v_fma_f32 v5, v132, v204, -v5
	v_fmac_f32_e32 v233, v133, v204
	v_add_f32_e32 v2, v2, v3
	v_add_f32_e32 v1, v1, v232
	v_mul_f32_e32 v3, v137, v178
	s_waitcnt vmcnt(19)
	v_fma_f32 v4, v134, v205, -v4
	v_fmac_f32_e32 v234, v135, v205
	v_add_f32_e32 v2, v2, v5
	v_add_f32_e32 v1, v1, v233
	v_mul_f32_e32 v5, v139, v179
	s_waitcnt vmcnt(18)
	v_fma_f32 v3, v136, v206, -v3
	v_fmac_f32_e32 v235, v137, v206
	v_add_f32_e32 v2, v2, v4
	v_add_f32_e32 v1, v1, v234
	v_mul_f32_e32 v4, v141, v180
	s_waitcnt vmcnt(17)
	v_fma_f32 v5, v138, v207, -v5
	v_fmac_f32_e32 v236, v139, v207
	v_add_f32_e32 v2, v2, v3
	v_add_f32_e32 v1, v1, v235
	v_mul_f32_e32 v3, v143, v181
	s_waitcnt vmcnt(16)
	v_fma_f32 v4, v140, v208, -v4
	v_fmac_f32_e32 v237, v141, v208
	v_add_f32_e32 v2, v2, v5
	v_add_f32_e32 v1, v1, v236
	v_mul_f32_e32 v5, v145, v182
	s_waitcnt vmcnt(15)
	v_fma_f32 v3, v142, v209, -v3
	v_fmac_f32_e32 v238, v143, v209
	v_add_f32_e32 v2, v2, v4
	v_add_f32_e32 v1, v1, v237
	v_mul_f32_e32 v4, v147, v183
	s_waitcnt vmcnt(14)
	v_fma_f32 v5, v144, v210, -v5
	v_fmac_f32_e32 v239, v145, v210
	v_add_f32_e32 v2, v2, v3
	v_add_f32_e32 v1, v1, v238
	v_mul_f32_e32 v3, v149, v184
	s_waitcnt vmcnt(13)
	v_fma_f32 v4, v146, v211, -v4
	v_fmac_f32_e32 v240, v147, v211
	v_add_f32_e32 v2, v2, v5
	v_add_f32_e32 v1, v1, v239
	v_mul_f32_e32 v5, v151, v185
	s_waitcnt vmcnt(12)
	v_fma_f32 v3, v148, v212, -v3
	v_fmac_f32_e32 v241, v149, v212
	v_add_f32_e32 v2, v2, v4
	v_add_f32_e32 v1, v1, v240
	v_mul_f32_e32 v4, v153, v186
	s_waitcnt vmcnt(11)
	v_fma_f32 v5, v150, v213, -v5
	v_fmac_f32_e32 v242, v151, v213
	v_add_f32_e32 v2, v2, v3
	v_add_f32_e32 v1, v1, v241
	v_mul_f32_e32 v3, v155, v187
	s_waitcnt vmcnt(10)
	v_fma_f32 v4, v152, v214, -v4
	v_fmac_f32_e32 v243, v153, v214
	v_add_f32_e32 v2, v2, v5
	v_add_f32_e32 v1, v1, v242
	v_mul_f32_e32 v5, v157, v188
	s_waitcnt vmcnt(9)
	v_fma_f32 v3, v154, v215, -v3
	v_fmac_f32_e32 v244, v155, v215
	v_add_f32_e32 v2, v2, v4
	v_add_f32_e32 v1, v1, v243
	v_mul_f32_e32 v4, v159, v189
	s_waitcnt vmcnt(8)
	v_fma_f32 v5, v156, v216, -v5
	v_fmac_f32_e32 v245, v157, v216
	v_add_f32_e32 v2, v2, v3
	v_add_f32_e32 v1, v1, v244
	v_mul_f32_e32 v3, v161, v190
	s_waitcnt vmcnt(7)
	v_fma_f32 v4, v158, v217, -v4
	v_fmac_f32_e32 v246, v159, v217
	v_add_f32_e32 v2, v2, v5
	v_add_f32_e32 v1, v1, v245
	v_mul_f32_e32 v5, v163, v191
	s_waitcnt vmcnt(6)
	v_fma_f32 v3, v160, v218, -v3
	v_fmac_f32_e32 v247, v161, v218
	v_add_f32_e32 v2, v2, v4
	v_add_f32_e32 v1, v1, v246
	v_mul_f32_e32 v4, v165, v192
	s_waitcnt vmcnt(5)
	v_fma_f32 v5, v162, v219, -v5
	v_fmac_f32_e32 v248, v163, v219
	v_add_f32_e32 v2, v2, v3
	v_add_f32_e32 v1, v1, v247
	s_waitcnt lgkmcnt(0)
	v_mul_f32_e32 v3, v167, v193
	s_waitcnt vmcnt(4)
	v_fma_f32 v4, v164, v220, -v4
	v_mul_f32_e32 v250, v166, v193
	v_add_f32_e32 v2, v2, v5
	v_fmac_f32_e32 v249, v165, v220
	v_add_f32_e32 v1, v1, v248
	v_mul_f32_e32 v5, v169, v194
	s_waitcnt vmcnt(3)
	v_fma_f32 v3, v166, v221, -v3
	v_add_f32_e32 v2, v2, v4
	v_mul_f32_e32 v251, v168, v194
	v_fmac_f32_e32 v250, v167, v221
	v_add_f32_e32 v1, v1, v249
	s_waitcnt vmcnt(2)
	v_fma_f32 v4, v168, v222, -v5
	v_add_f32_e32 v2, v2, v3
	v_fmac_f32_e32 v251, v169, v222
	v_add_f32_e32 v1, v1, v250
	v_add_f32_e32 v2, v2, v4
	;; [unrolled: 1-line block ×3, first 2 shown]
	s_waitcnt vmcnt(1)
	v_sub_f32_e32 v2, v223, v2
	s_waitcnt vmcnt(0)
	v_sub_f32_e32 v1, v224, v1
	buffer_store_dword v2, off, s[0:3], 0 offset:200
	buffer_store_dword v1, off, s[0:3], 0 offset:204
	v_cmpx_lt_u32_e32 24, v0
	s_cbranch_execz .LBB53_289
; %bb.288:
	s_clause 0x1
	buffer_load_dword v1, off, s[0:3], 0 offset:192
	buffer_load_dword v2, off, s[0:3], 0 offset:196
	v_mov_b32_e32 v3, 0
	buffer_store_dword v3, off, s[0:3], 0 offset:192
	buffer_store_dword v3, off, s[0:3], 0 offset:196
	s_waitcnt vmcnt(0)
	ds_write_b64 v117, v[1:2]
.LBB53_289:
	s_or_b32 exec_lo, exec_lo, s4
	s_waitcnt lgkmcnt(0)
	s_waitcnt_vscnt null, 0x0
	s_barrier
	buffer_gl0_inv
	s_clause 0x1b
	buffer_load_dword v2, off, s[0:3], 0 offset:204
	buffer_load_dword v4, off, s[0:3], 0 offset:212
	;; [unrolled: 1-line block ×28, first 2 shown]
	v_mov_b32_e32 v1, 0
	ds_read2_b64 v[143:146], v1 offset0:79 offset1:80
	ds_read2_b64 v[147:150], v1 offset0:81 offset1:82
	s_clause 0xa
	buffer_load_dword v139, off, s[0:3], 0 offset:308
	buffer_load_dword v137, off, s[0:3], 0 offset:316
	;; [unrolled: 1-line block ×11, first 2 shown]
	ds_read2_b64 v[151:154], v1 offset0:83 offset1:84
	ds_read2_b64 v[155:158], v1 offset0:85 offset1:86
	s_mov_b32 s4, exec_lo
	s_waitcnt vmcnt(38) lgkmcnt(3)
	v_mul_f32_e32 v166, v143, v2
	v_mul_f32_e32 v2, v144, v2
	s_waitcnt vmcnt(37)
	v_mul_f32_e32 v167, v145, v4
	v_mul_f32_e32 v4, v146, v4
	s_waitcnt vmcnt(36) lgkmcnt(2)
	v_mul_f32_e32 v168, v147, v6
	v_mul_f32_e32 v6, v148, v6
	s_waitcnt vmcnt(33)
	v_fmac_f32_e32 v166, v144, v8
	v_fma_f32 v8, v143, v8, -v2
	s_waitcnt vmcnt(32)
	v_mul_f32_e32 v169, v149, v7
	v_mul_f32_e32 v2, v150, v7
	v_fmac_f32_e32 v167, v146, v5
	v_fma_f32 v7, v145, v5, -v4
	v_fmac_f32_e32 v168, v148, v3
	v_fma_f32 v6, v147, v3, -v6
	s_waitcnt vmcnt(28)
	v_fmac_f32_e32 v169, v150, v126
	v_fma_f32 v126, v149, v126, -v2
	ds_read2_b64 v[2:5], v1 offset0:87 offset1:88
	ds_read2_b64 v[143:146], v1 offset0:89 offset1:90
	s_waitcnt vmcnt(27) lgkmcnt(3)
	v_mul_f32_e32 v147, v151, v125
	v_mul_f32_e32 v125, v152, v125
	s_waitcnt vmcnt(26)
	v_mul_f32_e32 v148, v153, v124
	v_mul_f32_e32 v124, v154, v124
	s_waitcnt vmcnt(24) lgkmcnt(2)
	v_mul_f32_e32 v150, v157, v122
	v_fmac_f32_e32 v147, v152, v121
	v_fma_f32 v125, v151, v121, -v125
	v_mul_f32_e32 v121, v158, v122
	v_mul_f32_e32 v149, v155, v123
	;; [unrolled: 1-line block ×3, first 2 shown]
	v_fmac_f32_e32 v148, v154, v120
	v_fma_f32 v124, v153, v120, -v124
	s_waitcnt vmcnt(20)
	v_fmac_f32_e32 v150, v158, v138
	v_fma_f32 v138, v157, v138, -v121
	s_clause 0x3
	buffer_load_dword v151, off, s[0:3], 0 offset:356
	buffer_load_dword v152, off, s[0:3], 0 offset:364
	;; [unrolled: 1-line block ×4, first 2 shown]
	v_fmac_f32_e32 v149, v156, v118
	v_fma_f32 v118, v155, v118, -v123
	s_clause 0x3
	buffer_load_dword v155, off, s[0:3], 0 offset:388
	buffer_load_dword v156, off, s[0:3], 0 offset:396
	;; [unrolled: 1-line block ×4, first 2 shown]
	s_waitcnt vmcnt(27) lgkmcnt(1)
	v_mul_f32_e32 v170, v2, v135
	v_mul_f32_e32 v120, v3, v135
	s_waitcnt vmcnt(26)
	v_mul_f32_e32 v135, v4, v133
	v_mul_f32_e32 v121, v5, v133
	s_waitcnt vmcnt(25) lgkmcnt(0)
	v_mul_f32_e32 v133, v143, v132
	v_fmac_f32_e32 v170, v3, v131
	v_fma_f32 v131, v2, v131, -v120
	v_mul_f32_e32 v120, v144, v132
	v_fmac_f32_e32 v135, v5, v129
	v_fma_f32 v129, v4, v129, -v121
	ds_read2_b64 v[2:5], v1 offset0:91 offset1:92
	s_waitcnt vmcnt(24)
	v_mul_f32_e32 v132, v145, v130
	v_mul_f32_e32 v121, v146, v130
	v_fma_f32 v143, v143, v127, -v120
	v_add_f32_e32 v120, 0, v166
	buffer_load_dword v171, off, s[0:3], 0 offset:420
	v_fmac_f32_e32 v133, v144, v127
	s_waitcnt vmcnt(21)
	v_fmac_f32_e32 v132, v146, v142
	v_fma_f32 v142, v145, v142, -v121
	s_clause 0x4
	buffer_load_dword v144, off, s[0:3], 0 offset:376
	buffer_load_dword v145, off, s[0:3], 0 offset:368
	;; [unrolled: 1-line block ×5, first 2 shown]
	v_add_f32_e32 v8, 0, v8
	v_add_f32_e32 v120, v120, v167
	v_add_f32_e32 v7, v8, v7
	v_add_f32_e32 v8, v120, v168
	ds_read2_b64 v[120:123], v1 offset0:93 offset1:94
	v_add_f32_e32 v6, v7, v6
	s_waitcnt vmcnt(25) lgkmcnt(1)
	v_mul_f32_e32 v7, v2, v141
	v_add_f32_e32 v8, v8, v169
	v_mul_f32_e32 v127, v3, v141
	v_fmac_f32_e32 v7, v3, v140
	v_add_f32_e32 v3, v8, v147
	s_clause 0x3
	buffer_load_dword v8, off, s[0:3], 0 offset:408
	buffer_load_dword v141, off, s[0:3], 0 offset:400
	;; [unrolled: 1-line block ×4, first 2 shown]
	v_fma_f32 v140, v2, v140, -v127
	v_add_f32_e32 v2, v6, v126
	v_add_f32_e32 v3, v3, v148
	s_clause 0x2
	buffer_load_dword v148, off, s[0:3], 0 offset:424
	buffer_load_dword v168, off, s[0:3], 0 offset:416
	;; [unrolled: 1-line block ×3, first 2 shown]
	v_add_f32_e32 v2, v2, v125
	v_add_f32_e32 v6, v3, v149
	s_waitcnt vmcnt(31)
	v_mul_f32_e32 v149, v4, v139
	v_mul_f32_e32 v3, v5, v139
	v_add_f32_e32 v2, v2, v124
	s_waitcnt vmcnt(30) lgkmcnt(0)
	v_mul_f32_e32 v130, v121, v137
	v_add_f32_e32 v6, v6, v150
	v_fmac_f32_e32 v149, v5, v136
	v_fma_f32 v136, v4, v136, -v3
	v_add_f32_e32 v118, v2, v118
	ds_read2_b64 v[2:5], v1 offset0:95 offset1:96
	ds_read2_b64 v[124:127], v1 offset0:97 offset1:98
	v_add_f32_e32 v6, v6, v170
	v_fma_f32 v139, v120, v128, -v130
	v_add_f32_e32 v118, v118, v138
	v_mul_f32_e32 v138, v120, v137
	s_waitcnt vmcnt(29)
	v_mul_f32_e32 v137, v122, v134
	v_add_f32_e32 v6, v6, v135
	v_add_f32_e32 v118, v118, v131
	v_mul_f32_e32 v131, v123, v134
	v_fmac_f32_e32 v138, v121, v128
	v_add_f32_e32 v6, v6, v133
	s_waitcnt vmcnt(22)
	v_fmac_f32_e32 v137, v123, v164
	v_add_f32_e32 v118, v118, v129
	v_fma_f32 v150, v122, v164, -v131
	ds_read2_b64 v[120:123], v1 offset0:99 offset1:100
	ds_read2_b64 v[128:131], v1 offset0:101 offset1:102
	v_add_f32_e32 v118, v118, v143
	s_waitcnt lgkmcnt(3)
	v_mul_f32_e32 v143, v2, v159
	v_mul_f32_e32 v134, v3, v159
	;; [unrolled: 1-line block ×3, first 2 shown]
	v_add_f32_e32 v118, v118, v142
	v_fmac_f32_e32 v143, v3, v119
	v_fma_f32 v119, v2, v119, -v134
	v_add_f32_e32 v2, v6, v132
	v_mul_f32_e32 v142, v5, v161
	v_add_f32_e32 v6, v118, v140
	v_fmac_f32_e32 v159, v5, v160
	ds_read2_b64 v[132:135], v1 offset0:103 offset1:104
	v_add_f32_e32 v140, v2, v7
	v_fma_f32 v118, v4, v160, -v142
	v_add_f32_e32 v136, v6, v136
	s_waitcnt lgkmcnt(3)
	v_mul_f32_e32 v142, v124, v162
	ds_read2_b64 v[2:5], v1 offset0:105 offset1:106
	v_add_f32_e32 v140, v140, v149
	ds_read_b64 v[6:7], v1 offset:856
	v_add_f32_e32 v136, v136, v139
	v_mul_f32_e32 v139, v125, v162
	v_fmac_f32_e32 v142, v125, v163
	v_add_f32_e32 v138, v140, v138
	v_add_f32_e32 v136, v136, v150
	v_fma_f32 v124, v124, v163, -v139
	v_add_f32_e32 v137, v138, v137
	v_add_f32_e32 v119, v136, v119
	;; [unrolled: 1-line block ×7, first 2 shown]
	s_waitcnt vmcnt(20)
	v_mul_f32_e32 v149, v126, v151
	v_mul_f32_e32 v151, v127, v151
	s_waitcnt vmcnt(19) lgkmcnt(4)
	v_mul_f32_e32 v143, v121, v152
	v_mul_f32_e32 v140, v120, v152
	s_waitcnt vmcnt(18)
	v_mul_f32_e32 v150, v122, v153
	s_waitcnt vmcnt(17) lgkmcnt(3)
	v_mul_f32_e32 v160, v128, v154
	s_waitcnt vmcnt(16)
	v_mul_f32_e32 v138, v130, v155
	s_waitcnt vmcnt(15) lgkmcnt(2)
	;; [unrolled: 4-line block ×3, first 2 shown]
	v_mul_f32_e32 v139, v2, v158
	s_waitcnt vmcnt(11)
	v_fmac_f32_e32 v160, v129, v144
	s_waitcnt vmcnt(10)
	v_fmac_f32_e32 v150, v123, v145
	s_waitcnt vmcnt(9)
	v_fma_f32 v120, v120, v146, -v143
	s_waitcnt vmcnt(8)
	v_fma_f32 v126, v126, v166, -v151
	v_fmac_f32_e32 v149, v127, v166
	v_mul_f32_e32 v127, v123, v153
	v_fmac_f32_e32 v140, v121, v146
	v_mul_f32_e32 v119, v4, v171
	v_add_f32_e32 v118, v118, v126
	v_add_f32_e32 v121, v124, v149
	v_mul_f32_e32 v124, v129, v154
	v_fma_f32 v122, v122, v145, -v127
	s_waitcnt vmcnt(7) lgkmcnt(0)
	v_mul_f32_e32 v152, v6, v172
	v_add_f32_e32 v118, v118, v120
	v_add_f32_e32 v120, v121, v140
	v_mul_f32_e32 v121, v131, v155
	v_fma_f32 v123, v128, v144, -v124
	v_add_f32_e32 v118, v118, v122
	v_add_f32_e32 v120, v120, v150
	v_mul_f32_e32 v122, v133, v156
	s_waitcnt vmcnt(5)
	v_fmac_f32_e32 v125, v135, v141
	s_waitcnt vmcnt(4)
	v_fmac_f32_e32 v136, v133, v147
	s_waitcnt vmcnt(3)
	v_fma_f32 v121, v130, v167, -v121
	v_add_f32_e32 v118, v118, v123
	v_fmac_f32_e32 v138, v131, v167
	v_add_f32_e32 v120, v120, v160
	v_mul_f32_e32 v123, v135, v157
	v_fma_f32 v122, v132, v147, -v122
	v_add_f32_e32 v118, v118, v121
	v_mul_f32_e32 v121, v3, v158
	v_add_f32_e32 v120, v120, v138
	v_fma_f32 v123, v134, v141, -v123
	v_fmac_f32_e32 v139, v3, v8
	v_add_f32_e32 v118, v118, v122
	v_mul_f32_e32 v122, v5, v171
	v_add_f32_e32 v120, v120, v136
	v_fma_f32 v2, v2, v8, -v121
	s_waitcnt vmcnt(1)
	v_fmac_f32_e32 v119, v5, v168
	v_add_f32_e32 v3, v118, v123
	v_mul_f32_e32 v118, v7, v172
	v_add_f32_e32 v8, v120, v125
	v_fma_f32 v4, v4, v168, -v122
	v_fmac_f32_e32 v152, v7, v148
	v_add_f32_e32 v2, v3, v2
	v_fma_f32 v5, v6, v148, -v118
	v_add_f32_e32 v3, v8, v139
	v_add_f32_e32 v2, v2, v4
	;; [unrolled: 1-line block ×5, first 2 shown]
	s_waitcnt vmcnt(0)
	v_sub_f32_e32 v2, v169, v2
	v_sub_f32_e32 v3, v165, v3
	buffer_store_dword v2, off, s[0:3], 0 offset:192
	buffer_store_dword v3, off, s[0:3], 0 offset:196
	v_cmpx_lt_u32_e32 23, v0
	s_cbranch_execz .LBB53_291
; %bb.290:
	s_clause 0x1
	buffer_load_dword v2, off, s[0:3], 0 offset:184
	buffer_load_dword v3, off, s[0:3], 0 offset:188
	buffer_store_dword v1, off, s[0:3], 0 offset:184
	buffer_store_dword v1, off, s[0:3], 0 offset:188
	s_waitcnt vmcnt(0)
	ds_write_b64 v117, v[2:3]
.LBB53_291:
	s_or_b32 exec_lo, exec_lo, s4
	s_waitcnt lgkmcnt(0)
	s_waitcnt_vscnt null, 0x0
	s_barrier
	buffer_gl0_inv
	s_clause 0x1b
	buffer_load_dword v3, off, s[0:3], 0 offset:196
	buffer_load_dword v4, off, s[0:3], 0 offset:204
	;; [unrolled: 1-line block ×28, first 2 shown]
	ds_read_b128 v[141:144], v1 offset:624
	ds_read_b128 v[145:148], v1 offset:640
	s_clause 0x1
	buffer_load_dword v137, off, s[0:3], 0 offset:300
	buffer_load_dword v134, off, s[0:3], 0 offset:308
	ds_read_b128 v[149:152], v1 offset:656
	ds_read_b128 v[153:156], v1 offset:672
	;; [unrolled: 1-line block ×3, first 2 shown]
	buffer_load_dword v161, off, s[0:3], 0 offset:188
	s_mov_b32 s4, exec_lo
	s_waitcnt vmcnt(30) lgkmcnt(4)
	v_mul_f32_e32 v162, v141, v3
	s_waitcnt vmcnt(29)
	v_mul_f32_e32 v163, v143, v4
	v_mul_f32_e32 v3, v142, v3
	;; [unrolled: 1-line block ×3, first 2 shown]
	s_waitcnt vmcnt(28) lgkmcnt(3)
	v_mul_f32_e32 v164, v145, v5
	v_mul_f32_e32 v5, v146, v5
	s_waitcnt vmcnt(24)
	v_fmac_f32_e32 v162, v142, v8
	v_fmac_f32_e32 v163, v144, v7
	v_fma_f32 v8, v141, v8, -v3
	v_fma_f32 v7, v143, v7, -v4
	s_clause 0x7
	buffer_load_dword v141, off, s[0:3], 0 offset:316
	buffer_load_dword v142, off, s[0:3], 0 offset:320
	;; [unrolled: 1-line block ×8, first 2 shown]
	v_mul_f32_e32 v165, v147, v6
	v_mul_f32_e32 v6, v148, v6
	v_fmac_f32_e32 v164, v146, v2
	v_fma_f32 v145, v145, v2, -v5
	ds_read_b128 v[2:5], v1 offset:704
	s_waitcnt vmcnt(28)
	v_fmac_f32_e32 v165, v148, v125
	v_fma_f32 v6, v147, v125, -v6
	s_waitcnt vmcnt(27) lgkmcnt(3)
	v_mul_f32_e32 v125, v149, v123
	v_mul_f32_e32 v123, v150, v123
	s_waitcnt vmcnt(26)
	v_mul_f32_e32 v146, v151, v124
	v_mul_f32_e32 v124, v152, v124
	s_waitcnt vmcnt(25) lgkmcnt(2)
	v_mul_f32_e32 v147, v153, v122
	v_mul_f32_e32 v122, v154, v122
	v_fmac_f32_e32 v125, v150, v120
	v_fma_f32 v120, v149, v120, -v123
	s_waitcnt vmcnt(24)
	v_mul_f32_e32 v123, v155, v121
	v_mul_f32_e32 v121, v156, v121
	v_fmac_f32_e32 v146, v152, v119
	v_fma_f32 v124, v151, v119, -v124
	s_waitcnt vmcnt(23) lgkmcnt(1)
	v_mul_f32_e32 v148, v157, v126
	s_waitcnt vmcnt(22)
	v_mul_f32_e32 v149, v159, v129
	v_mul_f32_e32 v119, v158, v126
	;; [unrolled: 1-line block ×3, first 2 shown]
	v_fmac_f32_e32 v147, v154, v118
	v_fma_f32 v122, v153, v118, -v122
	s_waitcnt vmcnt(18)
	v_fmac_f32_e32 v123, v156, v136
	v_fma_f32 v129, v155, v136, -v121
	s_clause 0x7
	buffer_load_dword v150, off, s[0:3], 0 offset:348
	buffer_load_dword v151, off, s[0:3], 0 offset:352
	;; [unrolled: 1-line block ×8, first 2 shown]
	v_fmac_f32_e32 v149, v160, v132
	v_fma_f32 v126, v159, v132, -v126
	s_waitcnt vmcnt(25) lgkmcnt(0)
	v_mul_f32_e32 v132, v2, v131
	v_mul_f32_e32 v118, v3, v131
	v_fmac_f32_e32 v148, v158, v133
	v_fma_f32 v133, v157, v133, -v119
	v_add_f32_e32 v119, 0, v162
	v_fmac_f32_e32 v132, v3, v127
	v_fma_f32 v127, v2, v127, -v118
	s_waitcnt vmcnt(24)
	v_mul_f32_e32 v131, v4, v130
	v_mul_f32_e32 v2, v5, v130
	v_add_f32_e32 v8, 0, v8
	s_clause 0x5
	buffer_load_dword v157, off, s[0:3], 0 offset:380
	buffer_load_dword v158, off, s[0:3], 0 offset:388
	;; [unrolled: 1-line block ×6, first 2 shown]
	v_add_f32_e32 v118, v119, v163
	s_waitcnt vmcnt(26)
	v_fmac_f32_e32 v131, v5, v140
	v_fma_f32 v130, v4, v140, -v2
	ds_read_b128 v[2:5], v1 offset:720
	v_add_f32_e32 v7, v8, v7
	buffer_load_dword v162, off, s[0:3], 0 offset:428
	v_add_f32_e32 v8, v118, v164
	v_add_f32_e32 v7, v7, v145
	s_clause 0x3
	buffer_load_dword v140, off, s[0:3], 0 offset:400
	buffer_load_dword v145, off, s[0:3], 0 offset:392
	;; [unrolled: 1-line block ×4, first 2 shown]
	v_add_f32_e32 v8, v8, v165
	v_add_f32_e32 v6, v7, v6
	v_add_f32_e32 v7, v8, v125
	v_add_f32_e32 v6, v6, v120
	ds_read_b128 v[118:121], v1 offset:736
	v_add_f32_e32 v7, v7, v146
	s_waitcnt vmcnt(30) lgkmcnt(1)
	v_mul_f32_e32 v8, v2, v139
	v_mul_f32_e32 v125, v3, v139
	s_waitcnt vmcnt(29)
	v_mul_f32_e32 v146, v4, v137
	v_fmac_f32_e32 v8, v3, v138
	v_fma_f32 v136, v2, v138, -v125
	v_add_f32_e32 v2, v6, v124
	v_add_f32_e32 v3, v7, v147
	s_clause 0x3
	buffer_load_dword v6, off, s[0:3], 0 offset:424
	buffer_load_dword v7, off, s[0:3], 0 offset:416
	;; [unrolled: 1-line block ×4, first 2 shown]
	v_fmac_f32_e32 v146, v5, v135
	v_add_f32_e32 v2, v2, v122
	v_add_f32_e32 v3, v3, v123
	v_mul_f32_e32 v122, v5, v137
	v_add_f32_e32 v123, v2, v129
	v_add_f32_e32 v129, v3, v148
	v_fma_f32 v135, v4, v135, -v122
	ds_read_b128 v[2:5], v1 offset:752
	s_waitcnt vmcnt(32) lgkmcnt(1)
	v_mul_f32_e32 v137, v118, v134
	v_add_f32_e32 v133, v123, v133
	ds_read_b128 v[122:125], v1 offset:768
	v_add_f32_e32 v129, v129, v149
	v_mul_f32_e32 v134, v119, v134
	v_fmac_f32_e32 v137, v119, v128
	v_add_f32_e32 v126, v133, v126
	v_add_f32_e32 v132, v129, v132
	;; [unrolled: 1-line block ×6, first 2 shown]
	s_waitcnt vmcnt(30)
	v_mul_f32_e32 v133, v121, v141
	v_mul_f32_e32 v147, v120, v141
	v_fma_f32 v141, v118, v128, -v134
	s_waitcnt vmcnt(28) lgkmcnt(1)
	v_mul_f32_e32 v149, v2, v143
	s_waitcnt vmcnt(27)
	v_mul_f32_e32 v165, v4, v144
	v_mul_f32_e32 v132, v3, v143
	s_waitcnt vmcnt(26) lgkmcnt(0)
	v_mul_f32_e32 v134, v123, v166
	s_waitcnt vmcnt(23)
	v_fma_f32 v148, v120, v169, -v133
	v_add_f32_e32 v133, v126, v127
	v_fmac_f32_e32 v147, v121, v169
	ds_read_b128 v[118:121], v1 offset:784
	ds_read_b128 v[126:129], v1 offset:800
	v_mul_f32_e32 v143, v122, v166
	v_fmac_f32_e32 v149, v3, v142
	v_add_f32_e32 v130, v133, v130
	v_mul_f32_e32 v133, v5, v144
	v_fmac_f32_e32 v165, v5, v168
	v_fma_f32 v142, v2, v142, -v132
	v_fma_f32 v122, v122, v167, -v134
	v_add_f32_e32 v136, v130, v136
	v_fma_f32 v144, v4, v168, -v133
	ds_read_b128 v[2:5], v1 offset:816
	ds_read_b128 v[130:133], v1 offset:832
	v_add_f32_e32 v8, v8, v147
	v_fmac_f32_e32 v143, v123, v167
	v_add_f32_e32 v146, v136, v135
	ds_read_b128 v[134:137], v1 offset:848
	v_add_f32_e32 v8, v8, v149
	v_add_f32_e32 v1, v146, v141
	s_waitcnt vmcnt(22)
	v_mul_f32_e32 v141, v125, v150
	v_mul_f32_e32 v123, v124, v150
	v_add_f32_e32 v8, v8, v165
	s_waitcnt vmcnt(20) lgkmcnt(4)
	v_mul_f32_e32 v146, v118, v152
	v_add_f32_e32 v1, v1, v148
	v_mul_f32_e32 v148, v119, v152
	s_waitcnt vmcnt(15)
	v_fma_f32 v124, v124, v170, -v141
	v_fmac_f32_e32 v123, v125, v170
	v_add_f32_e32 v8, v8, v143
	v_add_f32_e32 v1, v1, v142
	v_fma_f32 v118, v118, v151, -v148
	v_mul_f32_e32 v147, v120, v153
	v_fmac_f32_e32 v146, v119, v151
	v_add_f32_e32 v8, v8, v123
	v_add_f32_e32 v1, v1, v144
	v_mul_f32_e32 v144, v121, v153
	s_waitcnt lgkmcnt(3)
	v_mul_f32_e32 v119, v127, v154
	v_mul_f32_e32 v125, v126, v154
	v_fmac_f32_e32 v147, v121, v156
	v_add_f32_e32 v1, v1, v122
	v_fma_f32 v120, v120, v156, -v144
	v_add_f32_e32 v8, v8, v146
	v_fma_f32 v119, v126, v155, -v119
	s_waitcnt vmcnt(14)
	v_mul_f32_e32 v141, v128, v157
	v_add_f32_e32 v1, v1, v124
	v_fmac_f32_e32 v125, v127, v155
	v_add_f32_e32 v8, v8, v147
	s_waitcnt vmcnt(13) lgkmcnt(2)
	v_mul_f32_e32 v142, v2, v158
	s_waitcnt vmcnt(12)
	v_mul_f32_e32 v149, v4, v159
	v_add_f32_e32 v1, v1, v118
	v_mul_f32_e32 v118, v129, v157
	s_waitcnt vmcnt(4)
	v_fmac_f32_e32 v141, v129, v164
	v_add_f32_e32 v8, v8, v125
	v_fmac_f32_e32 v142, v3, v163
	v_add_f32_e32 v1, v1, v120
	v_mul_f32_e32 v120, v3, v158
	v_fma_f32 v118, v128, v164, -v118
	v_add_f32_e32 v3, v8, v141
	s_waitcnt lgkmcnt(1)
	v_mul_f32_e32 v8, v131, v160
	v_add_f32_e32 v1, v1, v119
	v_mul_f32_e32 v119, v5, v159
	v_fma_f32 v2, v2, v163, -v120
	v_mul_f32_e32 v150, v130, v160
	v_fmac_f32_e32 v149, v5, v145
	v_add_f32_e32 v1, v1, v118
	v_fma_f32 v4, v4, v145, -v119
	v_fma_f32 v5, v130, v140, -v8
	v_mul_f32_e32 v152, v132, v171
	v_fmac_f32_e32 v150, v131, v140
	v_add_f32_e32 v1, v1, v2
	v_add_f32_e32 v2, v3, v142
	v_mul_f32_e32 v3, v133, v171
	s_waitcnt lgkmcnt(0)
	v_mul_f32_e32 v153, v134, v172
	s_waitcnt vmcnt(1)
	v_fmac_f32_e32 v152, v133, v138
	v_add_f32_e32 v1, v1, v4
	v_add_f32_e32 v2, v2, v149
	v_mul_f32_e32 v4, v135, v172
	v_fma_f32 v3, v132, v138, -v3
	v_mul_f32_e32 v122, v136, v162
	v_add_f32_e32 v1, v1, v5
	v_add_f32_e32 v2, v2, v150
	v_mul_f32_e32 v5, v137, v162
	v_fma_f32 v4, v134, v7, -v4
	v_fmac_f32_e32 v153, v135, v7
	v_add_f32_e32 v1, v1, v3
	v_add_f32_e32 v2, v2, v152
	v_fma_f32 v3, v136, v6, -v5
	v_fmac_f32_e32 v122, v137, v6
	v_add_f32_e32 v1, v1, v4
	v_add_f32_e32 v2, v2, v153
	v_add_f32_e32 v1, v1, v3
	v_add_f32_e32 v2, v2, v122
	s_waitcnt vmcnt(0)
	v_sub_f32_e32 v1, v139, v1
	v_sub_f32_e32 v2, v161, v2
	buffer_store_dword v1, off, s[0:3], 0 offset:184
	buffer_store_dword v2, off, s[0:3], 0 offset:188
	v_cmpx_lt_u32_e32 22, v0
	s_cbranch_execz .LBB53_293
; %bb.292:
	s_clause 0x1
	buffer_load_dword v1, off, s[0:3], 0 offset:176
	buffer_load_dword v2, off, s[0:3], 0 offset:180
	v_mov_b32_e32 v3, 0
	buffer_store_dword v3, off, s[0:3], 0 offset:176
	buffer_store_dword v3, off, s[0:3], 0 offset:180
	s_waitcnt vmcnt(0)
	ds_write_b64 v117, v[1:2]
.LBB53_293:
	s_or_b32 exec_lo, exec_lo, s4
	s_waitcnt lgkmcnt(0)
	s_waitcnt_vscnt null, 0x0
	s_barrier
	buffer_gl0_inv
	s_clause 0x23
	buffer_load_dword v3, off, s[0:3], 0 offset:188
	buffer_load_dword v4, off, s[0:3], 0 offset:196
	;; [unrolled: 1-line block ×36, first 2 shown]
	v_mov_b32_e32 v1, 0
	ds_read2_b64 v[142:145], v1 offset0:77 offset1:78
	ds_read2_b64 v[146:149], v1 offset0:79 offset1:80
	;; [unrolled: 1-line block ×3, first 2 shown]
	s_clause 0x3
	buffer_load_dword v163, off, s[0:3], 0 offset:316
	buffer_load_dword v164, off, s[0:3], 0 offset:324
	;; [unrolled: 1-line block ×4, first 2 shown]
	ds_read2_b64 v[154:157], v1 offset0:83 offset1:84
	s_mov_b32 s4, exec_lo
	s_waitcnt vmcnt(39) lgkmcnt(3)
	v_mul_f32_e32 v167, v142, v3
	v_mul_f32_e32 v3, v143, v3
	s_waitcnt vmcnt(38)
	v_mul_f32_e32 v168, v144, v4
	v_mul_f32_e32 v4, v145, v4
	s_waitcnt vmcnt(35)
	v_fmac_f32_e32 v167, v143, v118
	v_fma_f32 v169, v142, v118, -v3
	s_waitcnt vmcnt(34) lgkmcnt(2)
	v_mul_f32_e32 v170, v146, v8
	v_mul_f32_e32 v3, v147, v8
	v_fmac_f32_e32 v168, v145, v5
	v_fma_f32 v8, v144, v5, -v4
	ds_read2_b64 v[142:145], v1 offset0:85 offset1:86
	s_waitcnt vmcnt(33)
	v_mul_f32_e32 v4, v149, v6
	v_mul_f32_e32 v171, v148, v6
	v_fmac_f32_e32 v170, v147, v2
	v_fma_f32 v6, v146, v2, -v3
	s_waitcnt vmcnt(32) lgkmcnt(2)
	v_mul_f32_e32 v146, v150, v7
	s_waitcnt vmcnt(28)
	v_fma_f32 v147, v148, v125, -v4
	ds_read2_b64 v[2:5], v1 offset0:87 offset1:88
	v_mul_f32_e32 v7, v151, v7
	s_waitcnt vmcnt(27)
	v_mul_f32_e32 v118, v153, v124
	v_mul_f32_e32 v148, v152, v124
	v_fmac_f32_e32 v171, v149, v125
	s_waitcnt vmcnt(26) lgkmcnt(2)
	v_mul_f32_e32 v149, v154, v121
	v_fma_f32 v7, v150, v123, -v7
	v_fma_f32 v150, v152, v120, -v118
	v_mul_f32_e32 v118, v155, v121
	v_fmac_f32_e32 v148, v153, v120
	v_fmac_f32_e32 v146, v151, v123
	s_waitcnt vmcnt(25)
	v_mul_f32_e32 v151, v156, v122
	v_mul_f32_e32 v120, v157, v122
	v_fma_f32 v153, v154, v119, -v118
	s_waitcnt vmcnt(19) lgkmcnt(1)
	v_mul_f32_e32 v154, v144, v132
	v_mul_f32_e32 v132, v145, v132
	;; [unrolled: 1-line block ×4, first 2 shown]
	v_fmac_f32_e32 v149, v155, v119
	v_fmac_f32_e32 v154, v145, v128
	v_fma_f32 v128, v144, v128, -v132
	s_waitcnt vmcnt(17) lgkmcnt(0)
	v_mul_f32_e32 v132, v4, v129
	v_mul_f32_e32 v129, v5, v129
	v_fmac_f32_e32 v151, v157, v133
	v_fma_f32 v133, v156, v133, -v120
	ds_read2_b64 v[118:121], v1 offset0:89 offset1:90
	ds_read2_b64 v[122:125], v1 offset0:91 offset1:92
	v_fmac_f32_e32 v152, v143, v130
	v_fma_f32 v126, v142, v130, -v126
	s_waitcnt vmcnt(13)
	v_fmac_f32_e32 v132, v5, v141
	v_fma_f32 v129, v4, v141, -v129
	s_clause 0x6
	buffer_load_dword v141, off, s[0:3], 0 offset:336
	buffer_load_dword v142, off, s[0:3], 0 offset:348
	;; [unrolled: 1-line block ×7, first 2 shown]
	v_mul_f32_e32 v130, v2, v131
	v_mul_f32_e32 v131, v3, v131
	v_fmac_f32_e32 v130, v3, v127
	v_fma_f32 v127, v2, v127, -v131
	s_waitcnt vmcnt(19) lgkmcnt(1)
	v_mul_f32_e32 v131, v118, v140
	v_mul_f32_e32 v2, v119, v140
	s_waitcnt vmcnt(16) lgkmcnt(0)
	v_mul_f32_e32 v174, v124, v138
	v_mul_f32_e32 v140, v120, v139
	;; [unrolled: 1-line block ×3, first 2 shown]
	v_fmac_f32_e32 v131, v119, v136
	v_fma_f32 v136, v118, v136, -v2
	v_mul_f32_e32 v2, v125, v138
	s_waitcnt vmcnt(11)
	v_fmac_f32_e32 v174, v125, v162
	v_mul_f32_e32 v139, v122, v137
	v_mul_f32_e32 v4, v123, v137
	s_clause 0x3
	buffer_load_dword v137, off, s[0:3], 0 offset:372
	buffer_load_dword v157, off, s[0:3], 0 offset:380
	buffer_load_dword v172, off, s[0:3], 0 offset:388
	buffer_load_dword v173, off, s[0:3], 0 offset:396
	v_fma_f32 v162, v124, v162, -v2
	v_add_f32_e32 v2, 0, v167
	s_clause 0x3
	buffer_load_dword v138, off, s[0:3], 0 offset:404
	buffer_load_dword v175, off, s[0:3], 0 offset:412
	;; [unrolled: 1-line block ×4, first 2 shown]
	v_fmac_f32_e32 v140, v121, v135
	v_fma_f32 v135, v120, v135, -v3
	v_add_f32_e32 v2, v2, v168
	s_clause 0x3
	buffer_load_dword v167, off, s[0:3], 0 offset:392
	buffer_load_dword v168, off, s[0:3], 0 offset:384
	buffer_load_dword v178, off, s[0:3], 0 offset:376
	buffer_load_dword v179, off, s[0:3], 0 offset:368
	v_add_f32_e32 v3, 0, v169
	v_fmac_f32_e32 v139, v123, v134
	v_fma_f32 v134, v122, v134, -v4
	v_add_f32_e32 v2, v2, v170
	v_add_f32_e32 v3, v3, v8
	;; [unrolled: 1-line block ×3, first 2 shown]
	s_clause 0x3
	buffer_load_dword v8, off, s[0:3], 0 offset:424
	buffer_load_dword v169, off, s[0:3], 0 offset:416
	;; [unrolled: 1-line block ×4, first 2 shown]
	v_add_f32_e32 v3, v3, v6
	ds_read2_b64 v[118:121], v1 offset0:95 offset1:96
	v_add_f32_e32 v2, v2, v146
	v_add_f32_e32 v3, v3, v147
	buffer_load_dword v147, off, s[0:3], 0 offset:176
	v_add_f32_e32 v6, v2, v148
	v_add_f32_e32 v3, v3, v7
	;; [unrolled: 1-line block ×4, first 2 shown]
	ds_read2_b64 v[2:5], v1 offset0:93 offset1:94
	v_add_f32_e32 v6, v6, v151
	v_add_f32_e32 v7, v7, v153
	s_waitcnt vmcnt(25) lgkmcnt(1)
	v_mul_f32_e32 v151, v120, v165
	v_add_f32_e32 v6, v6, v152
	v_add_f32_e32 v7, v7, v133
	v_add_f32_e32 v6, v6, v154
	v_add_f32_e32 v7, v7, v126
	v_add_f32_e32 v6, v6, v130
	v_mul_f32_e32 v130, v119, v159
	v_add_f32_e32 v7, v7, v128
	s_waitcnt lgkmcnt(0)
	v_mul_f32_e32 v146, v2, v163
	v_mul_f32_e32 v122, v3, v163
	v_add_f32_e32 v6, v6, v132
	v_mul_f32_e32 v148, v4, v164
	v_mul_f32_e32 v123, v5, v164
	v_fmac_f32_e32 v146, v3, v161
	v_add_f32_e32 v3, v7, v127
	v_add_f32_e32 v6, v6, v131
	v_fma_f32 v149, v2, v161, -v122
	v_fmac_f32_e32 v148, v5, v160
	v_fma_f32 v150, v4, v160, -v123
	v_add_f32_e32 v7, v3, v129
	v_add_f32_e32 v6, v6, v140
	ds_read2_b64 v[2:5], v1 offset0:97 offset1:98
	ds_read2_b64 v[122:125], v1 offset0:99 offset1:100
	v_fma_f32 v152, v118, v158, -v130
	ds_read2_b64 v[126:129], v1 offset0:101 offset1:102
	ds_read2_b64 v[130:133], v1 offset0:103 offset1:104
	v_add_f32_e32 v7, v7, v136
	v_mul_f32_e32 v136, v118, v159
	v_add_f32_e32 v7, v7, v135
	v_mul_f32_e32 v135, v121, v165
	v_fmac_f32_e32 v136, v119, v158
	v_add_f32_e32 v7, v7, v134
	s_waitcnt vmcnt(23)
	v_fma_f32 v134, v120, v141, -v135
	v_add_f32_e32 v135, v6, v139
	v_add_f32_e32 v139, v7, v162
	s_waitcnt vmcnt(22) lgkmcnt(3)
	v_mul_f32_e32 v140, v2, v142
	v_mul_f32_e32 v142, v3, v142
	v_fmac_f32_e32 v151, v121, v141
	v_add_f32_e32 v135, v135, v174
	v_add_f32_e32 v139, v139, v149
	s_waitcnt vmcnt(21)
	v_mul_f32_e32 v141, v4, v143
	v_mul_f32_e32 v143, v5, v143
	s_waitcnt vmcnt(17)
	v_fma_f32 v2, v2, v156, -v142
	v_add_f32_e32 v135, v135, v146
	v_add_f32_e32 v139, v139, v150
	v_fmac_f32_e32 v140, v3, v156
	s_waitcnt lgkmcnt(2)
	v_mul_f32_e32 v142, v123, v144
	v_fma_f32 v4, v4, v155, -v143
	v_add_f32_e32 v135, v135, v148
	v_add_f32_e32 v139, v139, v152
	v_mul_f32_e32 v146, v122, v144
	v_fmac_f32_e32 v141, v5, v155
	v_fma_f32 v122, v122, v145, -v142
	v_add_f32_e32 v135, v135, v136
	v_add_f32_e32 v134, v139, v134
	v_fmac_f32_e32 v146, v123, v145
	ds_read2_b64 v[118:121], v1 offset0:105 offset1:106
	ds_read_b64 v[6:7], v1 offset:856
	v_add_f32_e32 v135, v135, v151
	v_add_f32_e32 v2, v134, v2
	s_waitcnt vmcnt(16)
	v_mul_f32_e32 v134, v125, v137
	v_mul_f32_e32 v149, v124, v137
	s_waitcnt vmcnt(15) lgkmcnt(3)
	v_mul_f32_e32 v150, v126, v157
	v_add_f32_e32 v5, v135, v140
	v_add_f32_e32 v2, v2, v4
	s_waitcnt vmcnt(14)
	v_mul_f32_e32 v148, v128, v172
	s_waitcnt vmcnt(13) lgkmcnt(2)
	v_mul_f32_e32 v152, v130, v173
	s_waitcnt vmcnt(12)
	v_mul_f32_e32 v3, v132, v138
	v_add_f32_e32 v4, v5, v141
	v_mul_f32_e32 v5, v127, v157
	v_add_f32_e32 v2, v2, v122
	s_waitcnt vmcnt(5)
	v_fma_f32 v123, v124, v179, -v134
	v_fmac_f32_e32 v149, v125, v179
	v_add_f32_e32 v4, v4, v146
	v_mul_f32_e32 v122, v129, v172
	v_fma_f32 v5, v126, v178, -v5
	v_add_f32_e32 v2, v2, v123
	v_fmac_f32_e32 v150, v127, v178
	v_add_f32_e32 v4, v4, v149
	v_mul_f32_e32 v123, v131, v173
	v_fma_f32 v122, v128, v168, -v122
	v_add_f32_e32 v2, v2, v5
	;; [unrolled: 5-line block ×3, first 2 shown]
	v_fmac_f32_e32 v152, v131, v167
	v_add_f32_e32 v4, v4, v148
	s_waitcnt lgkmcnt(1)
	v_mul_f32_e32 v122, v119, v175
	s_waitcnt vmcnt(1)
	v_fma_f32 v5, v132, v171, -v5
	v_add_f32_e32 v2, v2, v123
	v_mul_f32_e32 v136, v118, v175
	v_fmac_f32_e32 v3, v133, v171
	v_add_f32_e32 v4, v4, v152
	v_mul_f32_e32 v123, v121, v176
	v_fma_f32 v118, v118, v170, -v122
	v_add_f32_e32 v2, v2, v5
	v_mul_f32_e32 v139, v120, v176
	v_fmac_f32_e32 v136, v119, v170
	v_add_f32_e32 v3, v4, v3
	s_waitcnt lgkmcnt(0)
	v_mul_f32_e32 v4, v7, v177
	v_fma_f32 v5, v120, v169, -v123
	v_add_f32_e32 v2, v2, v118
	v_mul_f32_e32 v144, v6, v177
	v_fmac_f32_e32 v139, v121, v169
	v_add_f32_e32 v3, v3, v136
	v_fma_f32 v4, v6, v8, -v4
	v_add_f32_e32 v2, v2, v5
	v_fmac_f32_e32 v144, v7, v8
	v_add_f32_e32 v3, v3, v139
	v_add_f32_e32 v2, v2, v4
	;; [unrolled: 1-line block ×3, first 2 shown]
	s_waitcnt vmcnt(0)
	v_sub_f32_e32 v2, v147, v2
	v_sub_f32_e32 v3, v166, v3
	buffer_store_dword v2, off, s[0:3], 0 offset:176
	buffer_store_dword v3, off, s[0:3], 0 offset:180
	v_cmpx_lt_u32_e32 21, v0
	s_cbranch_execz .LBB53_295
; %bb.294:
	s_clause 0x1
	buffer_load_dword v2, off, s[0:3], 0 offset:168
	buffer_load_dword v3, off, s[0:3], 0 offset:172
	buffer_store_dword v1, off, s[0:3], 0 offset:168
	buffer_store_dword v1, off, s[0:3], 0 offset:172
	s_waitcnt vmcnt(0)
	ds_write_b64 v117, v[2:3]
.LBB53_295:
	s_or_b32 exec_lo, exec_lo, s4
	s_waitcnt lgkmcnt(0)
	s_waitcnt_vscnt null, 0x0
	s_barrier
	buffer_gl0_inv
	s_clause 0x23
	buffer_load_dword v3, off, s[0:3], 0 offset:180
	buffer_load_dword v4, off, s[0:3], 0 offset:188
	buffer_load_dword v5, off, s[0:3], 0 offset:196
	buffer_load_dword v2, off, s[0:3], 0 offset:192
	buffer_load_dword v6, off, s[0:3], 0 offset:184
	buffer_load_dword v8, off, s[0:3], 0 offset:176
	buffer_load_dword v7, off, s[0:3], 0 offset:204
	buffer_load_dword v118, off, s[0:3], 0 offset:224
	buffer_load_dword v119, off, s[0:3], 0 offset:216
	buffer_load_dword v120, off, s[0:3], 0 offset:208
	buffer_load_dword v125, off, s[0:3], 0 offset:200
	buffer_load_dword v124, off, s[0:3], 0 offset:212
	buffer_load_dword v123, off, s[0:3], 0 offset:220
	buffer_load_dword v121, off, s[0:3], 0 offset:228
	buffer_load_dword v122, off, s[0:3], 0 offset:236
	buffer_load_dword v126, off, s[0:3], 0 offset:256
	buffer_load_dword v129, off, s[0:3], 0 offset:248
	buffer_load_dword v130, off, s[0:3], 0 offset:240
	buffer_load_dword v133, off, s[0:3], 0 offset:232
	buffer_load_dword v131, off, s[0:3], 0 offset:244
	buffer_load_dword v132, off, s[0:3], 0 offset:252
	buffer_load_dword v128, off, s[0:3], 0 offset:260
	buffer_load_dword v127, off, s[0:3], 0 offset:268
	buffer_load_dword v134, off, s[0:3], 0 offset:288
	buffer_load_dword v135, off, s[0:3], 0 offset:280
	buffer_load_dword v137, off, s[0:3], 0 offset:272
	buffer_load_dword v141, off, s[0:3], 0 offset:264
	buffer_load_dword v139, off, s[0:3], 0 offset:276
	buffer_load_dword v140, off, s[0:3], 0 offset:284
	buffer_load_dword v138, off, s[0:3], 0 offset:292
	buffer_load_dword v136, off, s[0:3], 0 offset:300
	buffer_load_dword v158, off, s[0:3], 0 offset:320
	buffer_load_dword v159, off, s[0:3], 0 offset:324
	buffer_load_dword v160, off, s[0:3], 0 offset:312
	buffer_load_dword v161, off, s[0:3], 0 offset:304
	buffer_load_dword v162, off, s[0:3], 0 offset:296
	ds_read_b128 v[142:145], v1 offset:608
	ds_read_b128 v[146:149], v1 offset:624
	s_clause 0x1
	buffer_load_dword v163, off, s[0:3], 0 offset:308
	buffer_load_dword v164, off, s[0:3], 0 offset:316
	ds_read_b128 v[150:153], v1 offset:640
	ds_read_b128 v[154:157], v1 offset:656
	buffer_load_dword v165, off, s[0:3], 0 offset:172
	s_mov_b32 s4, exec_lo
	s_waitcnt vmcnt(38) lgkmcnt(3)
	v_mul_f32_e32 v166, v142, v3
	v_mul_f32_e32 v3, v143, v3
	s_waitcnt vmcnt(37)
	v_mul_f32_e32 v167, v144, v4
	v_mul_f32_e32 v4, v145, v4
	s_waitcnt vmcnt(36) lgkmcnt(2)
	v_mul_f32_e32 v168, v146, v5
	s_waitcnt vmcnt(33)
	v_fmac_f32_e32 v166, v143, v8
	v_fma_f32 v8, v142, v8, -v3
	v_mul_f32_e32 v3, v147, v5
	s_waitcnt vmcnt(32)
	v_mul_f32_e32 v5, v149, v7
	v_mul_f32_e32 v169, v148, v7
	v_fmac_f32_e32 v167, v145, v6
	v_fma_f32 v6, v144, v6, -v4
	v_fmac_f32_e32 v168, v147, v2
	v_fma_f32 v7, v146, v2, -v3
	s_waitcnt vmcnt(28)
	v_fma_f32 v146, v148, v125, -v5
	ds_read_b128 v[2:5], v1 offset:672
	ds_read_b128 v[142:145], v1 offset:688
	s_waitcnt vmcnt(27) lgkmcnt(3)
	v_mul_f32_e32 v147, v150, v124
	v_mul_f32_e32 v124, v151, v124
	v_fmac_f32_e32 v169, v149, v125
	s_waitcnt vmcnt(26)
	v_mul_f32_e32 v148, v152, v123
	v_mul_f32_e32 v123, v153, v123
	s_waitcnt vmcnt(25) lgkmcnt(2)
	v_mul_f32_e32 v149, v154, v121
	v_fmac_f32_e32 v147, v151, v120
	v_fma_f32 v150, v150, v120, -v124
	s_waitcnt vmcnt(24)
	v_mul_f32_e32 v151, v156, v122
	v_mul_f32_e32 v120, v155, v121
	;; [unrolled: 1-line block ×3, first 2 shown]
	v_fmac_f32_e32 v148, v153, v119
	v_fma_f32 v152, v152, v119, -v123
	v_fmac_f32_e32 v149, v155, v118
	s_waitcnt vmcnt(20)
	v_fmac_f32_e32 v151, v157, v133
	v_fma_f32 v153, v154, v118, -v120
	v_fma_f32 v133, v156, v133, -v121
	ds_read_b128 v[118:121], v1 offset:704
	ds_read_b128 v[122:125], v1 offset:720
	s_waitcnt vmcnt(19) lgkmcnt(3)
	v_mul_f32_e32 v154, v2, v131
	s_waitcnt vmcnt(18)
	v_mul_f32_e32 v155, v4, v132
	v_mul_f32_e32 v131, v3, v131
	;; [unrolled: 1-line block ×3, first 2 shown]
	buffer_load_dword v156, off, s[0:3], 0 offset:332
	v_fmac_f32_e32 v154, v3, v130
	v_fmac_f32_e32 v155, v5, v129
	v_fma_f32 v130, v2, v130, -v131
	v_fma_f32 v129, v4, v129, -v132
	s_clause 0x3
	buffer_load_dword v157, off, s[0:3], 0 offset:352
	buffer_load_dword v170, off, s[0:3], 0 offset:344
	;; [unrolled: 1-line block ×4, first 2 shown]
	s_waitcnt vmcnt(22) lgkmcnt(2)
	v_mul_f32_e32 v132, v142, v128
	v_mul_f32_e32 v2, v143, v128
	s_waitcnt vmcnt(21)
	v_mul_f32_e32 v3, v145, v127
	v_mul_f32_e32 v128, v144, v127
	v_fmac_f32_e32 v132, v143, v126
	v_fma_f32 v126, v142, v126, -v2
	buffer_load_dword v142, off, s[0:3], 0 offset:340
	s_waitcnt vmcnt(18)
	v_fma_f32 v127, v144, v141, -v3
	s_waitcnt vmcnt(17) lgkmcnt(1)
	v_mul_f32_e32 v144, v118, v139
	v_mul_f32_e32 v2, v119, v139
	v_fmac_f32_e32 v128, v145, v141
	s_clause 0x1
	buffer_load_dword v141, off, s[0:3], 0 offset:348
	buffer_load_dword v143, off, s[0:3], 0 offset:356
	s_waitcnt vmcnt(18)
	v_mul_f32_e32 v145, v120, v140
	v_mul_f32_e32 v3, v121, v140
	v_fmac_f32_e32 v144, v119, v137
	v_fma_f32 v137, v118, v137, -v2
	s_waitcnt vmcnt(16) lgkmcnt(0)
	v_mul_f32_e32 v2, v125, v136
	v_fmac_f32_e32 v145, v121, v135
	v_fma_f32 v135, v120, v135, -v3
	v_mul_f32_e32 v174, v124, v136
	v_add_f32_e32 v3, 0, v8
	s_waitcnt vmcnt(11)
	v_fma_f32 v136, v124, v162, -v2
	v_add_f32_e32 v2, 0, v166
	v_mul_f32_e32 v139, v122, v138
	v_mul_f32_e32 v4, v123, v138
	s_clause 0x5
	buffer_load_dword v138, off, s[0:3], 0 offset:364
	buffer_load_dword v140, off, s[0:3], 0 offset:372
	;; [unrolled: 1-line block ×6, first 2 shown]
	v_fmac_f32_e32 v174, v125, v162
	s_clause 0x2
	buffer_load_dword v162, off, s[0:3], 0 offset:412
	buffer_load_dword v177, off, s[0:3], 0 offset:420
	;; [unrolled: 1-line block ×3, first 2 shown]
	v_add_f32_e32 v2, v2, v167
	v_add_f32_e32 v3, v3, v6
	s_clause 0x3
	buffer_load_dword v6, off, s[0:3], 0 offset:384
	buffer_load_dword v166, off, s[0:3], 0 offset:376
	;; [unrolled: 1-line block ×4, first 2 shown]
	v_fmac_f32_e32 v139, v123, v134
	v_fma_f32 v134, v122, v134, -v4
	v_add_f32_e32 v2, v2, v168
	v_add_f32_e32 v3, v3, v7
	;; [unrolled: 1-line block ×4, first 2 shown]
	s_clause 0x3
	buffer_load_dword v7, off, s[0:3], 0 offset:416
	buffer_load_dword v146, off, s[0:3], 0 offset:408
	;; [unrolled: 1-line block ×4, first 2 shown]
	v_add_f32_e32 v2, v2, v147
	buffer_load_dword v147, off, s[0:3], 0 offset:424
	v_add_f32_e32 v3, v3, v150
	buffer_load_dword v150, off, s[0:3], 0 offset:168
	v_add_f32_e32 v2, v2, v148
	v_add_f32_e32 v3, v3, v152
	;; [unrolled: 1-line block ×4, first 2 shown]
	ds_read_b128 v[2:5], v1 offset:736
	v_add_f32_e32 v118, v118, v151
	v_add_f32_e32 v119, v119, v133
	;; [unrolled: 1-line block ×4, first 2 shown]
	ds_read_b128 v[118:121], v1 offset:752
	v_add_f32_e32 v122, v122, v155
	v_add_f32_e32 v123, v123, v129
	;; [unrolled: 1-line block ×4, first 2 shown]
	s_waitcnt vmcnt(29) lgkmcnt(1)
	v_mul_f32_e32 v148, v2, v163
	v_mul_f32_e32 v124, v3, v163
	s_waitcnt vmcnt(28)
	v_mul_f32_e32 v149, v4, v164
	v_mul_f32_e32 v125, v5, v164
	v_add_f32_e32 v128, v122, v128
	v_fmac_f32_e32 v148, v3, v161
	v_fma_f32 v151, v2, v161, -v124
	v_fmac_f32_e32 v149, v5, v160
	v_fma_f32 v152, v4, v160, -v125
	ds_read_b128 v[2:5], v1 offset:768
	ds_read_b128 v[122:125], v1 offset:784
	v_add_f32_e32 v126, v126, v127
	s_waitcnt lgkmcnt(2)
	v_mul_f32_e32 v153, v118, v159
	v_add_f32_e32 v127, v128, v144
	v_mul_f32_e32 v128, v119, v159
	v_add_f32_e32 v126, v126, v137
	v_fmac_f32_e32 v153, v119, v158
	v_add_f32_e32 v119, v127, v145
	v_fma_f32 v144, v118, v158, -v128
	v_add_f32_e32 v130, v126, v135
	v_add_f32_e32 v134, v130, v134
	s_waitcnt vmcnt(26)
	v_mul_f32_e32 v154, v120, v156
	v_mul_f32_e32 v129, v121, v156
	s_waitcnt vmcnt(22)
	v_fmac_f32_e32 v154, v121, v131
	v_fma_f32 v145, v120, v131, -v129
	v_add_f32_e32 v131, v119, v139
	ds_read_b128 v[118:121], v1 offset:800
	ds_read_b128 v[126:129], v1 offset:816
	v_add_f32_e32 v137, v131, v174
	s_waitcnt vmcnt(21) lgkmcnt(3)
	v_mul_f32_e32 v139, v2, v142
	v_mul_f32_e32 v135, v3, v142
	v_add_f32_e32 v142, v134, v136
	ds_read_b128 v[130:133], v1 offset:832
	v_fmac_f32_e32 v139, v3, v171
	v_fma_f32 v2, v2, v171, -v135
	v_add_f32_e32 v3, v137, v148
	ds_read_b128 v[134:137], v1 offset:848
	v_add_f32_e32 v1, v142, v151
	s_waitcnt vmcnt(20)
	v_mul_f32_e32 v142, v4, v141
	v_mul_f32_e32 v141, v5, v141
	v_add_f32_e32 v3, v3, v149
	s_waitcnt vmcnt(19) lgkmcnt(4)
	v_mul_f32_e32 v148, v122, v143
	v_add_f32_e32 v1, v1, v152
	v_mul_f32_e32 v143, v123, v143
	v_fma_f32 v4, v4, v170, -v141
	v_add_f32_e32 v3, v3, v153
	v_fmac_f32_e32 v142, v5, v170
	v_add_f32_e32 v1, v1, v144
	s_waitcnt vmcnt(18)
	v_mul_f32_e32 v149, v124, v138
	v_mul_f32_e32 v138, v125, v138
	v_add_f32_e32 v3, v3, v154
	v_fma_f32 v122, v122, v157, -v143
	v_add_f32_e32 v1, v1, v145
	v_fmac_f32_e32 v148, v123, v157
	s_waitcnt vmcnt(6)
	v_fma_f32 v123, v124, v178, -v138
	s_waitcnt lgkmcnt(3)
	v_mul_f32_e32 v5, v118, v140
	v_fmac_f32_e32 v149, v125, v178
	v_add_f32_e32 v1, v1, v2
	v_add_f32_e32 v2, v3, v139
	v_mul_f32_e32 v141, v120, v172
	v_fmac_f32_e32 v5, v119, v167
	s_waitcnt lgkmcnt(2)
	v_mul_f32_e32 v144, v126, v173
	v_add_f32_e32 v1, v1, v4
	v_add_f32_e32 v2, v2, v142
	v_mul_f32_e32 v4, v119, v140
	v_fmac_f32_e32 v141, v121, v166
	v_mul_f32_e32 v151, v128, v175
	v_add_f32_e32 v1, v1, v122
	v_add_f32_e32 v2, v2, v148
	v_mul_f32_e32 v122, v121, v172
	v_fma_f32 v4, v118, v167, -v4
	v_mul_f32_e32 v118, v127, v173
	v_add_f32_e32 v1, v1, v123
	v_add_f32_e32 v2, v2, v149
	v_fma_f32 v119, v120, v166, -v122
	v_fmac_f32_e32 v144, v127, v6
	s_waitcnt lgkmcnt(1)
	v_mul_f32_e32 v152, v130, v176
	v_add_f32_e32 v1, v1, v4
	v_add_f32_e32 v2, v2, v5
	v_mul_f32_e32 v4, v129, v175
	v_fma_f32 v5, v126, v6, -v118
	v_mul_f32_e32 v6, v131, v176
	v_add_f32_e32 v1, v1, v119
	v_add_f32_e32 v2, v2, v141
	s_waitcnt vmcnt(2)
	v_fma_f32 v4, v128, v169, -v4
	v_fmac_f32_e32 v151, v129, v169
	v_fma_f32 v6, v130, v168, -v6
	v_add_f32_e32 v1, v1, v5
	v_add_f32_e32 v2, v2, v144
	v_mul_f32_e32 v5, v133, v162
	v_mul_f32_e32 v145, v132, v162
	v_fmac_f32_e32 v152, v131, v168
	v_add_f32_e32 v1, v1, v4
	v_add_f32_e32 v2, v2, v151
	s_waitcnt lgkmcnt(0)
	v_mul_f32_e32 v4, v135, v177
	v_fma_f32 v5, v132, v146, -v5
	v_mul_f32_e32 v153, v134, v177
	v_add_f32_e32 v1, v1, v6
	v_fmac_f32_e32 v145, v133, v146
	v_add_f32_e32 v2, v2, v152
	v_mul_f32_e32 v6, v137, v8
	v_fma_f32 v4, v134, v7, -v4
	v_add_f32_e32 v1, v1, v5
	v_mul_f32_e32 v3, v136, v8
	v_fmac_f32_e32 v153, v135, v7
	v_add_f32_e32 v2, v2, v145
	s_waitcnt vmcnt(1)
	v_fma_f32 v5, v136, v147, -v6
	v_add_f32_e32 v1, v1, v4
	v_fmac_f32_e32 v3, v137, v147
	v_add_f32_e32 v2, v2, v153
	v_add_f32_e32 v1, v1, v5
	;; [unrolled: 1-line block ×3, first 2 shown]
	s_waitcnt vmcnt(0)
	v_sub_f32_e32 v1, v150, v1
	v_sub_f32_e32 v2, v165, v2
	buffer_store_dword v1, off, s[0:3], 0 offset:168
	buffer_store_dword v2, off, s[0:3], 0 offset:172
	v_cmpx_lt_u32_e32 20, v0
	s_cbranch_execz .LBB53_297
; %bb.296:
	s_clause 0x1
	buffer_load_dword v1, off, s[0:3], 0 offset:160
	buffer_load_dword v2, off, s[0:3], 0 offset:164
	v_mov_b32_e32 v3, 0
	buffer_store_dword v3, off, s[0:3], 0 offset:160
	buffer_store_dword v3, off, s[0:3], 0 offset:164
	s_waitcnt vmcnt(0)
	ds_write_b64 v117, v[1:2]
.LBB53_297:
	s_or_b32 exec_lo, exec_lo, s4
	s_waitcnt lgkmcnt(0)
	s_waitcnt_vscnt null, 0x0
	s_barrier
	buffer_gl0_inv
	s_clause 0x23
	buffer_load_dword v119, off, s[0:3], 0 offset:172
	buffer_load_dword v121, off, s[0:3], 0 offset:180
	;; [unrolled: 1-line block ×36, first 2 shown]
	v_mov_b32_e32 v118, 0
	ds_read2_b64 v[5:8], v118 offset0:75 offset1:76
	ds_read2_b64 v[1:4], v118 offset0:77 offset1:78
	buffer_load_dword v163, off, s[0:3], 0 offset:164
	ds_read2_b64 v[155:158], v118 offset0:79 offset1:80
	ds_read2_b64 v[159:162], v118 offset0:81 offset1:82
	s_mov_b32 s4, exec_lo
	s_waitcnt vmcnt(36) lgkmcnt(3)
	v_mul_f32_e32 v164, v5, v119
	s_waitcnt vmcnt(35)
	v_mul_f32_e32 v165, v7, v121
	v_mul_f32_e32 v119, v6, v119
	;; [unrolled: 1-line block ×3, first 2 shown]
	s_waitcnt vmcnt(34) lgkmcnt(2)
	v_mul_f32_e32 v166, v1, v122
	v_mul_f32_e32 v122, v2, v122
	s_waitcnt vmcnt(30)
	v_mul_f32_e32 v167, v3, v123
	v_mul_f32_e32 v123, v4, v123
	v_fmac_f32_e32 v164, v6, v125
	v_fmac_f32_e32 v165, v8, v124
	v_fma_f32 v125, v5, v125, -v119
	v_fma_f32 v124, v7, v124, -v121
	ds_read2_b64 v[5:8], v118 offset0:83 offset1:84
	v_fmac_f32_e32 v166, v2, v120
	v_fma_f32 v168, v1, v120, -v122
	ds_read2_b64 v[119:122], v118 offset0:85 offset1:86
	s_waitcnt vmcnt(26)
	v_fmac_f32_e32 v167, v4, v134
	v_fma_f32 v123, v3, v134, -v123
	s_waitcnt vmcnt(25) lgkmcnt(3)
	v_mul_f32_e32 v134, v155, v132
	s_waitcnt vmcnt(24)
	v_mul_f32_e32 v169, v157, v133
	v_mul_f32_e32 v1, v156, v132
	;; [unrolled: 1-line block ×3, first 2 shown]
	s_clause 0x1
	buffer_load_dword v132, off, s[0:3], 0 offset:308
	buffer_load_dword v133, off, s[0:3], 0 offset:316
	v_fmac_f32_e32 v134, v156, v129
	v_fmac_f32_e32 v169, v158, v127
	v_fma_f32 v129, v155, v129, -v1
	v_fma_f32 v127, v157, v127, -v2
	ds_read2_b64 v[1:4], v118 offset0:87 offset1:88
	s_waitcnt vmcnt(25) lgkmcnt(3)
	v_mul_f32_e32 v155, v159, v130
	v_mul_f32_e32 v130, v160, v130
	s_waitcnt vmcnt(24)
	v_mul_f32_e32 v156, v161, v128
	v_mul_f32_e32 v128, v162, v128
	s_waitcnt vmcnt(23) lgkmcnt(2)
	v_mul_f32_e32 v157, v5, v131
	v_fmac_f32_e32 v155, v160, v126
	v_fma_f32 v126, v159, v126, -v130
	s_waitcnt vmcnt(22)
	v_mul_f32_e32 v130, v7, v135
	v_mul_f32_e32 v131, v6, v131
	;; [unrolled: 1-line block ×3, first 2 shown]
	s_waitcnt vmcnt(18)
	v_fma_f32 v128, v161, v142, -v128
	v_fmac_f32_e32 v157, v6, v140
	v_fmac_f32_e32 v130, v8, v139
	v_fma_f32 v131, v5, v140, -v131
	v_fma_f32 v135, v7, v139, -v135
	s_clause 0x5
	buffer_load_dword v139, off, s[0:3], 0 offset:324
	buffer_load_dword v140, off, s[0:3], 0 offset:332
	;; [unrolled: 1-line block ×6, first 2 shown]
	v_fmac_f32_e32 v156, v162, v142
	s_waitcnt vmcnt(23) lgkmcnt(1)
	v_mul_f32_e32 v142, v119, v141
	v_mul_f32_e32 v141, v120, v141
	s_waitcnt vmcnt(22)
	v_mul_f32_e32 v162, v121, v137
	v_mul_f32_e32 v137, v122, v137
	ds_read2_b64 v[5:8], v118 offset0:89 offset1:90
	v_fmac_f32_e32 v142, v120, v136
	v_fma_f32 v119, v119, v136, -v141
	s_waitcnt vmcnt(18)
	v_fmac_f32_e32 v162, v122, v153
	v_fma_f32 v120, v121, v153, -v137
	s_waitcnt vmcnt(17) lgkmcnt(1)
	v_mul_f32_e32 v121, v1, v151
	v_mul_f32_e32 v122, v2, v151
	s_clause 0x1
	buffer_load_dword v141, off, s[0:3], 0 offset:340
	buffer_load_dword v151, off, s[0:3], 0 offset:348
	v_add_f32_e32 v125, 0, v125
	s_waitcnt vmcnt(18)
	v_mul_f32_e32 v136, v3, v152
	v_mul_f32_e32 v137, v4, v152
	v_fma_f32 v122, v1, v148, -v122
	v_add_f32_e32 v1, 0, v164
	v_add_f32_e32 v124, v125, v124
	v_fmac_f32_e32 v121, v2, v148
	v_fmac_f32_e32 v136, v4, v147
	v_fma_f32 v137, v3, v147, -v137
	v_add_f32_e32 v164, v1, v165
	s_clause 0x3
	buffer_load_dword v147, off, s[0:3], 0 offset:356
	buffer_load_dword v148, off, s[0:3], 0 offset:364
	;; [unrolled: 1-line block ×4, first 2 shown]
	ds_read2_b64 v[1:4], v118 offset0:91 offset1:92
	s_waitcnt vmcnt(21) lgkmcnt(1)
	v_mul_f32_e32 v165, v5, v146
	v_mul_f32_e32 v125, v6, v146
	v_add_f32_e32 v146, v164, v166
	s_waitcnt vmcnt(20)
	v_mul_f32_e32 v164, v7, v145
	v_mul_f32_e32 v145, v8, v145
	v_fmac_f32_e32 v165, v6, v143
	v_fma_f32 v143, v5, v143, -v125
	v_add_f32_e32 v5, v146, v167
	v_add_f32_e32 v124, v124, v168
	s_clause 0x3
	buffer_load_dword v146, off, s[0:3], 0 offset:388
	buffer_load_dword v166, off, s[0:3], 0 offset:396
	buffer_load_dword v167, off, s[0:3], 0 offset:404
	buffer_load_dword v168, off, s[0:3], 0 offset:412
	s_waitcnt vmcnt(20)
	v_fmac_f32_e32 v164, v8, v154
	v_fma_f32 v145, v7, v154, -v145
	v_add_f32_e32 v5, v5, v134
	s_clause 0x5
	buffer_load_dword v154, off, s[0:3], 0 offset:420
	buffer_load_dword v134, off, s[0:3], 0 offset:376
	;; [unrolled: 1-line block ×6, first 2 shown]
	v_add_f32_e32 v6, v124, v123
	v_add_f32_e32 v5, v5, v169
	s_waitcnt vmcnt(25) lgkmcnt(0)
	v_mul_f32_e32 v125, v2, v150
	v_add_f32_e32 v6, v6, v129
	v_add_f32_e32 v124, v5, v155
	v_mul_f32_e32 v155, v1, v150
	v_add_f32_e32 v123, v6, v127
	ds_read2_b64 v[5:8], v118 offset0:93 offset1:94
	v_add_f32_e32 v124, v124, v156
	v_fmac_f32_e32 v155, v2, v149
	v_fma_f32 v127, v1, v149, -v125
	v_add_f32_e32 v123, v123, v126
	v_add_f32_e32 v2, v124, v157
	s_clause 0x5
	buffer_load_dword v149, off, s[0:3], 0 offset:408
	buffer_load_dword v150, off, s[0:3], 0 offset:400
	;; [unrolled: 1-line block ×6, first 2 shown]
	v_add_f32_e32 v1, v123, v128
	v_add_f32_e32 v2, v2, v130
	;; [unrolled: 1-line block ×5, first 2 shown]
	buffer_load_dword v135, off, s[0:3], 0 offset:160
	v_add_f32_e32 v123, v123, v162
	v_add_f32_e32 v119, v1, v119
	;; [unrolled: 1-line block ×6, first 2 shown]
	ds_read2_b64 v[119:122], v118 offset0:97 offset1:98
	v_add_f32_e32 v129, v129, v165
	v_add_f32_e32 v128, v125, v137
	;; [unrolled: 1-line block ×4, first 2 shown]
	s_waitcnt vmcnt(30)
	v_mul_f32_e32 v142, v3, v132
	v_mul_f32_e32 v2, v4, v132
	s_waitcnt vmcnt(29) lgkmcnt(1)
	v_mul_f32_e32 v124, v6, v133
	v_fmac_f32_e32 v142, v4, v144
	v_fma_f32 v131, v3, v144, -v2
	ds_read2_b64 v[1:4], v118 offset0:95 offset1:96
	v_mul_f32_e32 v144, v5, v133
	v_fmac_f32_e32 v144, v6, v138
	v_fma_f32 v138, v5, v138, -v124
	s_waitcnt vmcnt(28)
	v_mul_f32_e32 v133, v7, v139
	v_mul_f32_e32 v126, v8, v139
	s_waitcnt vmcnt(23)
	v_fmac_f32_e32 v133, v8, v161
	v_fma_f32 v137, v7, v161, -v126
	ds_read2_b64 v[5:8], v118 offset0:99 offset1:100
	ds_read2_b64 v[123:126], v118 offset0:101 offset1:102
	s_waitcnt lgkmcnt(2)
	v_mul_f32_e32 v130, v2, v140
	v_mul_f32_e32 v136, v1, v140
	v_fma_f32 v140, v1, v160, -v130
	v_add_f32_e32 v1, v129, v164
	s_waitcnt vmcnt(22)
	v_mul_f32_e32 v139, v3, v141
	v_mul_f32_e32 v132, v4, v141
	v_add_f32_e32 v141, v128, v127
	v_fmac_f32_e32 v136, v2, v160
	v_add_f32_e32 v145, v1, v155
	v_fmac_f32_e32 v139, v4, v159
	v_fma_f32 v143, v3, v159, -v132
	v_add_f32_e32 v141, v141, v131
	s_waitcnt vmcnt(21)
	v_mul_f32_e32 v155, v119, v151
	v_add_f32_e32 v142, v145, v142
	s_waitcnt vmcnt(20)
	v_mul_f32_e32 v145, v121, v147
	v_mul_f32_e32 v147, v122, v147
	v_add_f32_e32 v138, v141, v138
	v_mul_f32_e32 v141, v120, v151
	v_add_f32_e32 v142, v142, v144
	v_fmac_f32_e32 v155, v120, v158
	ds_read2_b64 v[127:130], v118 offset0:103 offset1:104
	ds_read2_b64 v[1:4], v118 offset0:105 offset1:106
	v_add_f32_e32 v137, v138, v137
	v_add_f32_e32 v133, v142, v133
	v_fma_f32 v119, v119, v158, -v141
	s_waitcnt vmcnt(19) lgkmcnt(3)
	v_mul_f32_e32 v144, v5, v148
	s_waitcnt vmcnt(18)
	v_mul_f32_e32 v138, v7, v152
	v_add_f32_e32 v137, v137, v140
	v_add_f32_e32 v133, v133, v136
	s_waitcnt vmcnt(17) lgkmcnt(2)
	v_mul_f32_e32 v151, v123, v153
	s_waitcnt vmcnt(9)
	v_fmac_f32_e32 v144, v6, v171
	s_waitcnt vmcnt(8)
	v_fma_f32 v121, v121, v172, -v147
	v_add_f32_e32 v137, v137, v143
	v_add_f32_e32 v133, v133, v139
	v_mul_f32_e32 v143, v6, v148
	v_fmac_f32_e32 v145, v122, v172
	v_fmac_f32_e32 v138, v8, v170
	v_add_f32_e32 v119, v137, v119
	v_add_f32_e32 v122, v133, v155
	v_mul_f32_e32 v133, v8, v152
	v_fma_f32 v5, v5, v171, -v143
	v_mul_f32_e32 v8, v126, v146
	v_add_f32_e32 v6, v119, v121
	v_add_f32_e32 v119, v122, v145
	v_mul_f32_e32 v121, v124, v153
	v_fma_f32 v7, v7, v170, -v133
	v_mul_f32_e32 v142, v125, v146
	v_add_f32_e32 v5, v6, v5
	v_add_f32_e32 v6, v119, v144
	v_fma_f32 v119, v123, v134, -v121
	v_fmac_f32_e32 v151, v124, v134
	ds_read_b64 v[131:132], v118 offset:856
	v_add_f32_e32 v5, v5, v7
	v_add_f32_e32 v6, v6, v138
	s_waitcnt lgkmcnt(2)
	v_mul_f32_e32 v7, v128, v166
	s_waitcnt vmcnt(3)
	v_fma_f32 v8, v125, v157, -v8
	v_mul_f32_e32 v140, v127, v166
	v_add_f32_e32 v5, v5, v119
	v_fmac_f32_e32 v142, v126, v157
	v_add_f32_e32 v6, v6, v151
	v_mul_f32_e32 v119, v130, v167
	v_fma_f32 v7, v127, v156, -v7
	v_add_f32_e32 v5, v5, v8
	v_mul_f32_e32 v120, v129, v167
	v_fmac_f32_e32 v140, v128, v156
	v_add_f32_e32 v6, v6, v142
	s_waitcnt lgkmcnt(1)
	v_mul_f32_e32 v136, v1, v168
	v_mul_f32_e32 v8, v2, v168
	v_fma_f32 v119, v129, v150, -v119
	v_add_f32_e32 v5, v5, v7
	v_fmac_f32_e32 v120, v130, v150
	v_add_f32_e32 v6, v6, v140
	v_mul_f32_e32 v7, v4, v154
	v_fmac_f32_e32 v136, v2, v149
	v_fma_f32 v1, v1, v149, -v8
	v_add_f32_e32 v2, v5, v119
	v_mul_f32_e32 v141, v3, v154
	v_add_f32_e32 v5, v6, v120
	s_waitcnt lgkmcnt(0)
	v_mul_f32_e32 v6, v132, v173
	s_waitcnt vmcnt(1)
	v_fma_f32 v3, v3, v174, -v7
	v_add_f32_e32 v1, v2, v1
	v_mul_f32_e32 v139, v131, v173
	v_fmac_f32_e32 v141, v4, v174
	v_add_f32_e32 v2, v5, v136
	v_fma_f32 v4, v131, v169, -v6
	v_add_f32_e32 v1, v1, v3
	v_fmac_f32_e32 v139, v132, v169
	v_add_f32_e32 v2, v2, v141
	v_add_f32_e32 v1, v1, v4
	;; [unrolled: 1-line block ×3, first 2 shown]
	s_waitcnt vmcnt(0)
	v_sub_f32_e32 v1, v135, v1
	v_sub_f32_e32 v2, v163, v2
	buffer_store_dword v1, off, s[0:3], 0 offset:160
	buffer_store_dword v2, off, s[0:3], 0 offset:164
	v_cmpx_lt_u32_e32 19, v0
	s_cbranch_execz .LBB53_299
; %bb.298:
	s_clause 0x1
	buffer_load_dword v1, off, s[0:3], 0 offset:152
	buffer_load_dword v2, off, s[0:3], 0 offset:156
	buffer_store_dword v118, off, s[0:3], 0 offset:152
	buffer_store_dword v118, off, s[0:3], 0 offset:156
	s_waitcnt vmcnt(0)
	ds_write_b64 v117, v[1:2]
.LBB53_299:
	s_or_b32 exec_lo, exec_lo, s4
	s_waitcnt lgkmcnt(0)
	s_waitcnt_vscnt null, 0x0
	s_barrier
	buffer_gl0_inv
	s_clause 0x23
	buffer_load_dword v153, off, s[0:3], 0 offset:164
	buffer_load_dword v154, off, s[0:3], 0 offset:172
	;; [unrolled: 1-line block ×36, first 2 shown]
	ds_read_b128 v[5:8], v118 offset:592
	ds_read_b128 v[1:4], v118 offset:608
	;; [unrolled: 1-line block ×3, first 2 shown]
	s_clause 0x1
	buffer_load_dword v163, off, s[0:3], 0 offset:300
	buffer_load_dword v164, off, s[0:3], 0 offset:308
	ds_read_b128 v[159:162], v118 offset:640
	buffer_load_dword v167, off, s[0:3], 0 offset:156
	s_mov_b32 s4, exec_lo
	s_waitcnt vmcnt(38) lgkmcnt(3)
	v_mul_f32_e32 v165, v5, v153
	s_waitcnt vmcnt(37)
	v_mul_f32_e32 v166, v7, v154
	v_mul_f32_e32 v153, v6, v153
	;; [unrolled: 1-line block ×3, first 2 shown]
	s_waitcnt vmcnt(34)
	v_fmac_f32_e32 v165, v6, v125
	v_fmac_f32_e32 v166, v8, v124
	v_fma_f32 v125, v5, v125, -v153
	v_fma_f32 v124, v7, v124, -v154
	ds_read_b128 v[5:8], v118 offset:656
	s_waitcnt vmcnt(33) lgkmcnt(3)
	v_mul_f32_e32 v153, v1, v122
	v_mul_f32_e32 v122, v2, v122
	s_waitcnt vmcnt(32)
	v_mul_f32_e32 v154, v3, v121
	v_mul_f32_e32 v121, v4, v121
	s_waitcnt vmcnt(31) lgkmcnt(2)
	v_mul_f32_e32 v168, v155, v120
	v_fmac_f32_e32 v153, v2, v119
	v_fma_f32 v169, v1, v119, -v122
	s_waitcnt vmcnt(30)
	v_mul_f32_e32 v170, v157, v123
	v_mul_f32_e32 v119, v156, v120
	;; [unrolled: 1-line block ×3, first 2 shown]
	s_waitcnt vmcnt(26)
	v_fmac_f32_e32 v154, v4, v131
	v_fma_f32 v123, v3, v131, -v121
	ds_read_b128 v[1:4], v118 offset:672
	v_fmac_f32_e32 v168, v156, v130
	v_fma_f32 v130, v155, v130, -v119
	s_waitcnt vmcnt(25) lgkmcnt(2)
	v_mul_f32_e32 v131, v159, v127
	s_waitcnt vmcnt(24)
	v_mul_f32_e32 v155, v161, v128
	v_mul_f32_e32 v127, v160, v127
	;; [unrolled: 1-line block ×3, first 2 shown]
	v_fmac_f32_e32 v170, v158, v129
	v_fma_f32 v129, v157, v129, -v120
	ds_read_b128 v[119:122], v118 offset:688
	v_fmac_f32_e32 v131, v160, v126
	s_waitcnt vmcnt(19)
	v_fmac_f32_e32 v155, v162, v142
	v_fma_f32 v126, v159, v126, -v127
	v_fma_f32 v127, v161, v142, -v128
	s_clause 0x4
	buffer_load_dword v128, off, s[0:3], 0 offset:316
	buffer_load_dword v142, off, s[0:3], 0 offset:336
	;; [unrolled: 1-line block ×5, first 2 shown]
	s_waitcnt lgkmcnt(2)
	v_mul_f32_e32 v156, v5, v132
	v_mul_f32_e32 v132, v6, v132
	s_waitcnt vmcnt(23)
	v_mul_f32_e32 v160, v7, v138
	v_mul_f32_e32 v138, v8, v138
	v_fmac_f32_e32 v156, v6, v137
	v_fma_f32 v5, v5, v137, -v132
	s_waitcnt vmcnt(22) lgkmcnt(1)
	v_mul_f32_e32 v132, v1, v135
	v_fmac_f32_e32 v160, v8, v134
	v_fma_f32 v134, v7, v134, -v138
	s_waitcnt vmcnt(21)
	v_mul_f32_e32 v137, v3, v136
	v_mul_f32_e32 v6, v2, v135
	;; [unrolled: 1-line block ×3, first 2 shown]
	s_clause 0x2
	buffer_load_dword v135, off, s[0:3], 0 offset:324
	buffer_load_dword v136, off, s[0:3], 0 offset:332
	;; [unrolled: 1-line block ×3, first 2 shown]
	v_fmac_f32_e32 v132, v2, v133
	s_waitcnt vmcnt(20)
	v_fmac_f32_e32 v137, v4, v151
	v_fma_f32 v133, v1, v133, -v6
	v_fma_f32 v151, v3, v151, -v7
	ds_read_b128 v[1:4], v118 offset:704
	v_add_f32_e32 v6, 0, v165
	v_add_f32_e32 v7, 0, v125
	s_waitcnt vmcnt(19) lgkmcnt(1)
	v_mul_f32_e32 v161, v119, v148
	s_waitcnt vmcnt(18)
	v_mul_f32_e32 v162, v121, v149
	v_mul_f32_e32 v8, v120, v148
	v_add_f32_e32 v6, v6, v166
	v_mul_f32_e32 v125, v122, v149
	v_add_f32_e32 v7, v7, v124
	v_fmac_f32_e32 v161, v120, v146
	v_fmac_f32_e32 v162, v122, v145
	v_add_f32_e32 v6, v6, v153
	v_fma_f32 v119, v119, v146, -v8
	v_fma_f32 v124, v121, v145, -v125
	v_add_f32_e32 v7, v7, v169
	s_clause 0x7
	buffer_load_dword v145, off, s[0:3], 0 offset:348
	buffer_load_dword v146, off, s[0:3], 0 offset:356
	;; [unrolled: 1-line block ×8, first 2 shown]
	v_add_f32_e32 v6, v6, v154
	v_add_f32_e32 v7, v7, v123
	s_waitcnt vmcnt(25) lgkmcnt(0)
	v_mul_f32_e32 v8, v2, v143
	v_mul_f32_e32 v125, v1, v143
	s_clause 0x3
	buffer_load_dword v143, off, s[0:3], 0 offset:380
	buffer_load_dword v154, off, s[0:3], 0 offset:388
	;; [unrolled: 1-line block ×4, first 2 shown]
	v_fma_f32 v123, v1, v140, -v8
	v_add_f32_e32 v1, v6, v168
	v_fmac_f32_e32 v125, v2, v140
	v_add_f32_e32 v6, v7, v130
	s_waitcnt vmcnt(28)
	v_mul_f32_e32 v130, v3, v141
	v_mul_f32_e32 v2, v4, v141
	v_add_f32_e32 v7, v1, v170
	s_clause 0x2
	buffer_load_dword v140, off, s[0:3], 0 offset:412
	buffer_load_dword v168, off, s[0:3], 0 offset:420
	;; [unrolled: 1-line block ×3, first 2 shown]
	s_waitcnt vmcnt(27)
	v_fmac_f32_e32 v130, v4, v152
	v_fma_f32 v152, v3, v152, -v2
	ds_read_b128 v[1:4], v118 offset:720
	v_add_f32_e32 v7, v7, v131
	v_add_f32_e32 v6, v6, v129
	;; [unrolled: 1-line block ×3, first 2 shown]
	s_clause 0x3
	buffer_load_dword v155, off, s[0:3], 0 offset:400
	buffer_load_dword v170, off, s[0:3], 0 offset:392
	;; [unrolled: 1-line block ×4, first 2 shown]
	v_add_f32_e32 v6, v6, v126
	v_add_f32_e32 v120, v7, v156
	;; [unrolled: 1-line block ×5, first 2 shown]
	ds_read_b128 v[5:8], v118 offset:736
	s_waitcnt vmcnt(30) lgkmcnt(1)
	v_mul_f32_e32 v127, v1, v150
	v_mul_f32_e32 v122, v2, v150
	s_waitcnt vmcnt(29)
	v_mul_f32_e32 v131, v3, v163
	v_fmac_f32_e32 v127, v2, v147
	v_fma_f32 v129, v1, v147, -v122
	s_clause 0x3
	buffer_load_dword v147, off, s[0:3], 0 offset:424
	buffer_load_dword v150, off, s[0:3], 0 offset:416
	;; [unrolled: 1-line block ×4, first 2 shown]
	v_add_f32_e32 v1, v121, v134
	v_add_f32_e32 v2, v120, v132
	v_mul_f32_e32 v120, v4, v163
	v_fmac_f32_e32 v131, v4, v144
	v_add_f32_e32 v1, v1, v133
	v_add_f32_e32 v2, v2, v137
	v_fma_f32 v132, v3, v144, -v120
	v_add_f32_e32 v121, v1, v151
	v_add_f32_e32 v126, v2, v161
	ds_read_b128 v[1:4], v118 offset:752
	s_waitcnt vmcnt(32) lgkmcnt(1)
	v_mul_f32_e32 v134, v5, v164
	v_mul_f32_e32 v137, v6, v164
	v_add_f32_e32 v133, v121, v119
	ds_read_b128 v[119:122], v118 offset:768
	v_add_f32_e32 v126, v126, v162
	v_fmac_f32_e32 v134, v6, v139
	v_fma_f32 v137, v5, v139, -v137
	v_add_f32_e32 v124, v133, v124
	v_add_f32_e32 v133, v126, v125
	;; [unrolled: 1-line block ×5, first 2 shown]
	s_waitcnt vmcnt(30)
	v_mul_f32_e32 v144, v7, v128
	v_mul_f32_e32 v128, v8, v128
	s_waitcnt vmcnt(26)
	v_fmac_f32_e32 v144, v8, v159
	v_fma_f32 v139, v7, v159, -v128
	v_add_f32_e32 v128, v124, v123
	ds_read_b128 v[5:8], v118 offset:784
	ds_read_b128 v[123:126], v118 offset:800
	v_add_f32_e32 v128, v128, v152
	s_waitcnt vmcnt(25) lgkmcnt(3)
	v_mul_f32_e32 v151, v1, v135
	v_mul_f32_e32 v133, v2, v135
	s_waitcnt vmcnt(24)
	v_mul_f32_e32 v152, v3, v136
	v_mul_f32_e32 v135, v4, v136
	s_waitcnt vmcnt(23) lgkmcnt(2)
	v_mul_f32_e32 v136, v119, v138
	v_fmac_f32_e32 v151, v2, v158
	v_fma_f32 v158, v1, v158, -v133
	v_add_f32_e32 v133, v128, v129
	v_fmac_f32_e32 v152, v4, v157
	v_fma_f32 v135, v3, v157, -v135
	v_mul_f32_e32 v138, v120, v138
	ds_read_b128 v[1:4], v118 offset:816
	ds_read_b128 v[127:130], v118 offset:832
	v_add_f32_e32 v157, v133, v132
	v_fmac_f32_e32 v136, v120, v142
	v_add_f32_e32 v120, v131, v134
	ds_read_b128 v[131:134], v118 offset:848
	v_fma_f32 v119, v119, v142, -v138
	v_add_f32_e32 v118, v157, v137
	s_waitcnt vmcnt(22)
	v_mul_f32_e32 v138, v122, v145
	v_add_f32_e32 v120, v120, v144
	v_mul_f32_e32 v137, v121, v145
	s_waitcnt vmcnt(21) lgkmcnt(4)
	v_mul_f32_e32 v142, v5, v146
	v_add_f32_e32 v118, v118, v139
	v_mul_f32_e32 v144, v6, v146
	v_add_f32_e32 v120, v120, v151
	s_waitcnt vmcnt(15)
	v_fma_f32 v121, v121, v169, -v138
	v_fmac_f32_e32 v137, v122, v169
	v_add_f32_e32 v118, v118, v158
	v_fmac_f32_e32 v142, v6, v166
	v_add_f32_e32 v120, v120, v152
	v_fma_f32 v5, v5, v166, -v144
	v_mul_f32_e32 v139, v7, v148
	v_add_f32_e32 v118, v118, v135
	v_mul_f32_e32 v135, v8, v148
	s_waitcnt lgkmcnt(3)
	v_mul_f32_e32 v122, v123, v149
	s_waitcnt vmcnt(14)
	v_mul_f32_e32 v138, v125, v143
	v_fmac_f32_e32 v139, v8, v165
	v_add_f32_e32 v118, v118, v119
	v_add_f32_e32 v119, v120, v136
	v_fma_f32 v7, v7, v165, -v135
	v_mul_f32_e32 v8, v126, v143
	v_fmac_f32_e32 v122, v124, v153
	v_add_f32_e32 v6, v118, v121
	v_add_f32_e32 v118, v119, v137
	v_mul_f32_e32 v119, v124, v149
	s_waitcnt vmcnt(13) lgkmcnt(2)
	v_mul_f32_e32 v145, v1, v154
	s_waitcnt vmcnt(12)
	v_mul_f32_e32 v146, v3, v171
	v_add_f32_e32 v5, v6, v5
	v_add_f32_e32 v6, v118, v142
	v_fma_f32 v118, v123, v153, -v119
	s_waitcnt vmcnt(4)
	v_fma_f32 v8, v125, v174, -v8
	v_fmac_f32_e32 v138, v126, v174
	v_add_f32_e32 v5, v5, v7
	v_add_f32_e32 v6, v6, v139
	v_mul_f32_e32 v7, v2, v154
	v_fmac_f32_e32 v145, v2, v173
	s_waitcnt lgkmcnt(1)
	v_mul_f32_e32 v151, v127, v172
	v_add_f32_e32 v5, v5, v118
	v_add_f32_e32 v6, v6, v122
	v_mul_f32_e32 v118, v4, v171
	v_fma_f32 v1, v1, v173, -v7
	v_fmac_f32_e32 v146, v4, v170
	v_add_f32_e32 v2, v5, v8
	v_add_f32_e32 v5, v6, v138
	v_mul_f32_e32 v6, v128, v172
	v_fma_f32 v3, v3, v170, -v118
	v_mul_f32_e32 v4, v130, v140
	v_add_f32_e32 v1, v2, v1
	v_add_f32_e32 v2, v5, v145
	v_fma_f32 v5, v127, v155, -v6
	v_mul_f32_e32 v148, v129, v140
	v_fmac_f32_e32 v151, v128, v155
	v_add_f32_e32 v1, v1, v3
	v_add_f32_e32 v2, v2, v146
	s_waitcnt lgkmcnt(0)
	v_mul_f32_e32 v3, v132, v168
	s_waitcnt vmcnt(1)
	v_fma_f32 v4, v129, v156, -v4
	v_mul_f32_e32 v152, v131, v168
	v_add_f32_e32 v1, v1, v5
	v_fmac_f32_e32 v148, v130, v156
	v_add_f32_e32 v2, v2, v151
	v_mul_f32_e32 v5, v134, v141
	v_fma_f32 v3, v131, v150, -v3
	v_add_f32_e32 v1, v1, v4
	v_mul_f32_e32 v120, v133, v141
	v_fmac_f32_e32 v152, v132, v150
	v_add_f32_e32 v2, v2, v148
	v_fma_f32 v4, v133, v147, -v5
	v_add_f32_e32 v1, v1, v3
	v_fmac_f32_e32 v120, v134, v147
	v_add_f32_e32 v2, v2, v152
	v_add_f32_e32 v1, v1, v4
	;; [unrolled: 1-line block ×3, first 2 shown]
	s_waitcnt vmcnt(0)
	v_sub_f32_e32 v1, v160, v1
	v_sub_f32_e32 v2, v167, v2
	buffer_store_dword v1, off, s[0:3], 0 offset:152
	buffer_store_dword v2, off, s[0:3], 0 offset:156
	v_cmpx_lt_u32_e32 18, v0
	s_cbranch_execz .LBB53_301
; %bb.300:
	s_clause 0x1
	buffer_load_dword v1, off, s[0:3], 0 offset:144
	buffer_load_dword v2, off, s[0:3], 0 offset:148
	v_mov_b32_e32 v3, 0
	buffer_store_dword v3, off, s[0:3], 0 offset:144
	buffer_store_dword v3, off, s[0:3], 0 offset:148
	s_waitcnt vmcnt(0)
	ds_write_b64 v117, v[1:2]
.LBB53_301:
	s_or_b32 exec_lo, exec_lo, s4
	s_waitcnt lgkmcnt(0)
	s_waitcnt_vscnt null, 0x0
	s_barrier
	buffer_gl0_inv
	s_clause 0x2a
	buffer_load_dword v7, off, s[0:3], 0 offset:156
	buffer_load_dword v8, off, s[0:3], 0 offset:164
	;; [unrolled: 1-line block ×43, first 2 shown]
	v_mov_b32_e32 v1, 0
	ds_read2_b64 v[150:153], v1 offset0:73 offset1:74
	ds_read2_b64 v[154:157], v1 offset0:75 offset1:76
	;; [unrolled: 1-line block ×3, first 2 shown]
	buffer_load_dword v168, off, s[0:3], 0 offset:148
	s_mov_b32 s4, exec_lo
	s_waitcnt vmcnt(43) lgkmcnt(2)
	v_mul_f32_e32 v166, v150, v7
	s_waitcnt vmcnt(42)
	v_mul_f32_e32 v167, v152, v8
	v_mul_f32_e32 v7, v151, v7
	v_mul_f32_e32 v8, v153, v8
	s_waitcnt vmcnt(39)
	v_fmac_f32_e32 v166, v151, v6
	v_fmac_f32_e32 v167, v153, v5
	v_fma_f32 v169, v150, v6, -v7
	v_fma_f32 v170, v152, v5, -v8
	ds_read2_b64 v[5:8], v1 offset0:79 offset1:80
	ds_read2_b64 v[150:153], v1 offset0:81 offset1:82
	s_waitcnt vmcnt(38) lgkmcnt(3)
	v_mul_f32_e32 v171, v154, v3
	v_mul_f32_e32 v3, v155, v3
	s_waitcnt vmcnt(37)
	v_mul_f32_e32 v172, v156, v4
	v_mul_f32_e32 v4, v157, v4
	s_waitcnt vmcnt(32) lgkmcnt(2)
	v_mul_f32_e32 v174, v158, v125
	v_fmac_f32_e32 v171, v155, v2
	v_fma_f32 v173, v154, v2, -v3
	v_mul_f32_e32 v2, v159, v125
	s_waitcnt vmcnt(31)
	v_mul_f32_e32 v175, v160, v124
	v_mul_f32_e32 v3, v161, v124
	v_fmac_f32_e32 v172, v157, v126
	v_fma_f32 v126, v156, v126, -v4
	v_fmac_f32_e32 v174, v159, v121
	v_fma_f32 v158, v158, v121, -v2
	;; [unrolled: 2-line block ×3, first 2 shown]
	ds_read2_b64 v[154:157], v1 offset0:83 offset1:84
	s_waitcnt vmcnt(30) lgkmcnt(2)
	v_mul_f32_e32 v159, v5, v122
	v_mul_f32_e32 v2, v6, v122
	s_waitcnt vmcnt(29)
	v_mul_f32_e32 v161, v7, v120
	v_mul_f32_e32 v3, v8, v120
	s_waitcnt vmcnt(28) lgkmcnt(1)
	v_mul_f32_e32 v176, v150, v123
	v_fmac_f32_e32 v159, v6, v118
	v_fma_f32 v6, v5, v118, -v2
	s_waitcnt vmcnt(24)
	v_fmac_f32_e32 v161, v8, v133
	v_fma_f32 v7, v7, v133, -v3
	s_waitcnt vmcnt(23)
	v_mul_f32_e32 v8, v152, v132
	v_mul_f32_e32 v118, v151, v123
	;; [unrolled: 1-line block ×3, first 2 shown]
	ds_read2_b64 v[2:5], v1 offset0:85 offset1:86
	v_fmac_f32_e32 v176, v151, v131
	v_fmac_f32_e32 v8, v153, v128
	v_fma_f32 v131, v150, v131, -v118
	v_fma_f32 v128, v152, v128, -v119
	ds_read2_b64 v[118:121], v1 offset0:87 offset1:88
	s_waitcnt vmcnt(22) lgkmcnt(2)
	v_mul_f32_e32 v132, v154, v130
	v_mul_f32_e32 v122, v155, v130
	s_waitcnt vmcnt(21)
	v_mul_f32_e32 v130, v156, v129
	v_mul_f32_e32 v123, v157, v129
	buffer_load_dword v129, off, s[0:3], 0 offset:316
	v_fmac_f32_e32 v132, v155, v127
	v_fma_f32 v127, v154, v127, -v122
	s_waitcnt vmcnt(18)
	v_fmac_f32_e32 v130, v157, v141
	v_fma_f32 v133, v156, v141, -v123
	s_waitcnt vmcnt(17) lgkmcnt(1)
	v_mul_f32_e32 v141, v2, v139
	s_waitcnt vmcnt(16)
	v_mul_f32_e32 v150, v4, v140
	v_mul_f32_e32 v122, v3, v139
	v_mul_f32_e32 v123, v5, v140
	v_fmac_f32_e32 v141, v3, v136
	v_fmac_f32_e32 v150, v5, v135
	v_fma_f32 v136, v2, v136, -v122
	v_fma_f32 v135, v4, v135, -v123
	ds_read2_b64 v[2:5], v1 offset0:89 offset1:90
	s_waitcnt vmcnt(15) lgkmcnt(1)
	v_mul_f32_e32 v139, v118, v138
	v_mul_f32_e32 v124, v119, v138
	s_waitcnt vmcnt(14)
	v_mul_f32_e32 v138, v120, v137
	v_mul_f32_e32 v137, v121, v137
	v_fmac_f32_e32 v139, v119, v134
	v_fma_f32 v134, v118, v134, -v124
	ds_read2_b64 v[122:125], v1 offset0:91 offset1:92
	s_waitcnt vmcnt(10)
	v_fmac_f32_e32 v138, v121, v149
	v_fma_f32 v137, v120, v149, -v137
	s_clause 0x1
	buffer_load_dword v140, off, s[0:3], 0 offset:324
	buffer_load_dword v149, off, s[0:3], 0 offset:332
	s_waitcnt vmcnt(11) lgkmcnt(1)
	v_mul_f32_e32 v151, v2, v148
	v_mul_f32_e32 v118, v3, v148
	s_waitcnt vmcnt(10)
	v_mul_f32_e32 v152, v4, v147
	v_mul_f32_e32 v119, v5, v147
	buffer_load_dword v148, off, s[0:3], 0 offset:340
	v_fmac_f32_e32 v151, v3, v145
	v_fma_f32 v145, v2, v145, -v118
	v_fmac_f32_e32 v152, v5, v143
	s_waitcnt vmcnt(10) lgkmcnt(0)
	v_mul_f32_e32 v147, v122, v146
	v_mul_f32_e32 v2, v123, v146
	s_waitcnt vmcnt(9)
	v_mul_f32_e32 v3, v125, v144
	s_clause 0x3
	buffer_load_dword v146, off, s[0:3], 0 offset:360
	buffer_load_dword v153, off, s[0:3], 0 offset:352
	;; [unrolled: 1-line block ×4, first 2 shown]
	v_mul_f32_e32 v156, v124, v144
	v_fmac_f32_e32 v147, v123, v142
	v_fma_f32 v142, v122, v142, -v2
	v_add_f32_e32 v2, 0, v166
	s_clause 0x1
	buffer_load_dword v144, off, s[0:3], 0 offset:348
	buffer_load_dword v166, off, s[0:3], 0 offset:364
	s_waitcnt vmcnt(11)
	v_fma_f32 v157, v124, v165, -v3
	v_add_f32_e32 v3, 0, v169
	v_add_f32_e32 v2, v2, v167
	v_fmac_f32_e32 v156, v125, v165
	s_clause 0x4
	buffer_load_dword v165, off, s[0:3], 0 offset:356
	buffer_load_dword v167, off, s[0:3], 0 offset:372
	;; [unrolled: 1-line block ×5, first 2 shown]
	v_add_f32_e32 v3, v3, v170
	v_add_f32_e32 v2, v2, v171
	s_clause 0x1
	buffer_load_dword v170, off, s[0:3], 0 offset:404
	buffer_load_dword v171, off, s[0:3], 0 offset:412
	v_fma_f32 v143, v4, v143, -v119
	v_add_f32_e32 v3, v3, v173
	v_add_f32_e32 v2, v2, v172
	s_clause 0x1
	buffer_load_dword v172, off, s[0:3], 0 offset:420
	buffer_load_dword v173, off, s[0:3], 0 offset:428
	v_add_f32_e32 v3, v3, v126
	v_add_f32_e32 v2, v2, v174
	;; [unrolled: 1-line block ×4, first 2 shown]
	s_clause 0x3
	buffer_load_dword v158, off, s[0:3], 0 offset:392
	buffer_load_dword v174, off, s[0:3], 0 offset:384
	;; [unrolled: 1-line block ×4, first 2 shown]
	v_add_f32_e32 v3, v3, v160
	v_add_f32_e32 v2, v2, v159
	;; [unrolled: 1-line block ×4, first 2 shown]
	s_clause 0x4
	buffer_load_dword v159, off, s[0:3], 0 offset:424
	buffer_load_dword v160, off, s[0:3], 0 offset:416
	;; [unrolled: 1-line block ×5, first 2 shown]
	ds_read2_b64 v[118:121], v1 offset0:95 offset1:96
	v_add_f32_e32 v3, v3, v7
	v_add_f32_e32 v2, v2, v176
	;; [unrolled: 1-line block ×5, first 2 shown]
	ds_read2_b64 v[2:5], v1 offset0:93 offset1:94
	v_add_f32_e32 v6, v6, v132
	v_add_f32_e32 v7, v7, v127
	;; [unrolled: 1-line block ×14, first 2 shown]
	s_waitcnt vmcnt(27) lgkmcnt(0)
	v_mul_f32_e32 v8, v2, v129
	v_mul_f32_e32 v122, v3, v129
	v_fmac_f32_e32 v8, v3, v164
	v_add_f32_e32 v3, v7, v134
	v_fma_f32 v134, v2, v164, -v122
	v_add_f32_e32 v8, v141, v8
	v_add_f32_e32 v7, v3, v137
	;; [unrolled: 1-line block ×5, first 2 shown]
	s_waitcnt vmcnt(26)
	v_mul_f32_e32 v135, v4, v140
	v_mul_f32_e32 v123, v5, v140
	v_add_f32_e32 v142, v7, v157
	s_waitcnt vmcnt(25)
	v_mul_f32_e32 v130, v119, v149
	v_mul_f32_e32 v137, v118, v149
	v_fmac_f32_e32 v135, v5, v163
	v_fma_f32 v136, v4, v163, -v123
	ds_read2_b64 v[2:5], v1 offset0:97 offset1:98
	ds_read2_b64 v[122:125], v1 offset0:99 offset1:100
	v_add_f32_e32 v134, v142, v134
	v_fma_f32 v140, v118, v162, -v130
	v_fmac_f32_e32 v137, v119, v162
	v_add_f32_e32 v8, v8, v135
	ds_read2_b64 v[126:129], v1 offset0:101 offset1:102
	ds_read2_b64 v[130:133], v1 offset0:103 offset1:104
	s_waitcnt vmcnt(24)
	v_mul_f32_e32 v139, v121, v148
	v_add_f32_e32 v134, v134, v136
	v_mul_f32_e32 v138, v120, v148
	v_add_f32_e32 v8, v8, v137
	v_add_f32_e32 v134, v134, v140
	s_waitcnt vmcnt(20)
	v_fma_f32 v139, v120, v155, -v139
	v_fmac_f32_e32 v138, v121, v155
	ds_read2_b64 v[118:121], v1 offset0:105 offset1:106
	ds_read_b64 v[6:7], v1 offset:856
	s_waitcnt vmcnt(19) lgkmcnt(5)
	v_mul_f32_e32 v142, v3, v144
	v_mul_f32_e32 v143, v2, v144
	v_add_f32_e32 v134, v134, v139
	v_add_f32_e32 v8, v8, v138
	s_waitcnt vmcnt(18) lgkmcnt(4)
	v_mul_f32_e32 v141, v122, v166
	v_fma_f32 v2, v2, v154, -v142
	s_waitcnt vmcnt(17)
	v_mul_f32_e32 v144, v5, v165
	v_mul_f32_e32 v145, v4, v165
	v_fmac_f32_e32 v143, v3, v154
	v_mul_f32_e32 v142, v123, v166
	v_add_f32_e32 v2, v134, v2
	v_fma_f32 v4, v4, v153, -v144
	v_fmac_f32_e32 v145, v5, v153
	v_add_f32_e32 v5, v8, v143
	s_waitcnt vmcnt(16)
	v_mul_f32_e32 v8, v125, v167
	v_fma_f32 v122, v122, v146, -v142
	v_add_f32_e32 v2, v2, v4
	v_mul_f32_e32 v136, v124, v167
	v_fmac_f32_e32 v141, v123, v146
	v_add_f32_e32 v4, v5, v145
	s_waitcnt vmcnt(15) lgkmcnt(3)
	v_mul_f32_e32 v5, v127, v169
	v_add_f32_e32 v2, v2, v122
	v_mul_f32_e32 v147, v126, v169
	s_waitcnt vmcnt(14)
	v_mul_f32_e32 v122, v129, v177
	v_add_f32_e32 v4, v4, v141
	s_waitcnt vmcnt(5)
	v_fma_f32 v8, v124, v179, -v8
	v_fmac_f32_e32 v136, v125, v179
	v_fma_f32 v5, v126, v175, -v5
	v_mul_f32_e32 v135, v128, v177
	v_fmac_f32_e32 v147, v127, v175
	v_add_f32_e32 v2, v2, v8
	v_add_f32_e32 v4, v4, v136
	s_waitcnt lgkmcnt(2)
	v_mul_f32_e32 v8, v131, v178
	v_fma_f32 v122, v128, v174, -v122
	v_mul_f32_e32 v140, v130, v178
	v_add_f32_e32 v2, v2, v5
	v_fmac_f32_e32 v135, v129, v174
	v_add_f32_e32 v4, v4, v147
	v_mul_f32_e32 v5, v133, v170
	v_fma_f32 v8, v130, v158, -v8
	v_add_f32_e32 v2, v2, v122
	v_mul_f32_e32 v3, v132, v170
	v_fmac_f32_e32 v140, v131, v158
	v_add_f32_e32 v4, v4, v135
	s_waitcnt lgkmcnt(1)
	v_mul_f32_e32 v122, v119, v171
	s_waitcnt vmcnt(1)
	v_fma_f32 v5, v132, v180, -v5
	v_add_f32_e32 v2, v2, v8
	v_mul_f32_e32 v137, v118, v171
	v_fmac_f32_e32 v3, v133, v180
	v_add_f32_e32 v4, v4, v140
	v_mul_f32_e32 v8, v121, v172
	v_fma_f32 v118, v118, v161, -v122
	v_add_f32_e32 v2, v2, v5
	v_mul_f32_e32 v139, v120, v172
	v_fmac_f32_e32 v137, v119, v161
	v_add_f32_e32 v3, v4, v3
	s_waitcnt lgkmcnt(0)
	v_mul_f32_e32 v4, v7, v173
	v_fma_f32 v5, v120, v160, -v8
	v_add_f32_e32 v2, v2, v118
	v_mul_f32_e32 v138, v6, v173
	v_fmac_f32_e32 v139, v121, v160
	v_add_f32_e32 v3, v3, v137
	v_fma_f32 v4, v6, v159, -v4
	v_add_f32_e32 v2, v2, v5
	v_fmac_f32_e32 v138, v7, v159
	v_add_f32_e32 v3, v3, v139
	v_add_f32_e32 v2, v2, v4
	;; [unrolled: 1-line block ×3, first 2 shown]
	s_waitcnt vmcnt(0)
	v_sub_f32_e32 v2, v181, v2
	v_sub_f32_e32 v3, v168, v3
	buffer_store_dword v2, off, s[0:3], 0 offset:144
	buffer_store_dword v3, off, s[0:3], 0 offset:148
	v_cmpx_lt_u32_e32 17, v0
	s_cbranch_execz .LBB53_303
; %bb.302:
	s_clause 0x1
	buffer_load_dword v2, off, s[0:3], 0 offset:136
	buffer_load_dword v3, off, s[0:3], 0 offset:140
	buffer_store_dword v1, off, s[0:3], 0 offset:136
	buffer_store_dword v1, off, s[0:3], 0 offset:140
	s_waitcnt vmcnt(0)
	ds_write_b64 v117, v[2:3]
.LBB53_303:
	s_or_b32 exec_lo, exec_lo, s4
	s_waitcnt lgkmcnt(0)
	s_waitcnt_vscnt null, 0x0
	s_barrier
	buffer_gl0_inv
	s_clause 0x2a
	buffer_load_dword v2, off, s[0:3], 0 offset:148
	buffer_load_dword v3, off, s[0:3], 0 offset:156
	;; [unrolled: 1-line block ×43, first 2 shown]
	ds_read_b128 v[4:7], v1 offset:576
	ds_read_b128 v[118:121], v1 offset:592
	;; [unrolled: 1-line block ×3, first 2 shown]
	buffer_load_dword v169, off, s[0:3], 0 offset:140
	s_mov_b32 s4, exec_lo
	s_waitcnt vmcnt(43) lgkmcnt(2)
	v_mul_f32_e32 v166, v5, v2
	v_mul_f32_e32 v167, v4, v2
	s_waitcnt vmcnt(42)
	v_mul_f32_e32 v2, v7, v3
	v_mul_f32_e32 v168, v6, v3
	s_waitcnt vmcnt(39)
	v_fma_f32 v166, v4, v127, -v166
	v_fmac_f32_e32 v167, v5, v127
	v_fma_f32 v6, v6, v126, -v2
	ds_read_b128 v[2:5], v1 offset:624
	v_fmac_f32_e32 v168, v7, v126
	s_waitcnt vmcnt(38) lgkmcnt(2)
	v_mul_f32_e32 v7, v118, v128
	v_mul_f32_e32 v126, v119, v128
	s_waitcnt vmcnt(37)
	v_mul_f32_e32 v127, v120, v129
	v_mul_f32_e32 v128, v121, v129
	s_waitcnt vmcnt(32) lgkmcnt(1)
	v_mul_f32_e32 v129, v123, v134
	v_fmac_f32_e32 v7, v119, v8
	v_fma_f32 v8, v118, v8, -v126
	v_fmac_f32_e32 v127, v121, v133
	v_fma_f32 v126, v120, v133, -v128
	ds_read_b128 v[118:121], v1 offset:640
	v_mul_f32_e32 v128, v122, v134
	s_waitcnt vmcnt(31)
	v_mul_f32_e32 v133, v124, v135
	v_mul_f32_e32 v134, v125, v135
	v_fma_f32 v129, v122, v132, -v129
	v_fmac_f32_e32 v128, v123, v132
	v_fmac_f32_e32 v133, v125, v131
	v_fma_f32 v131, v124, v131, -v134
	ds_read_b128 v[122:125], v1 offset:656
	s_waitcnt vmcnt(30) lgkmcnt(2)
	v_mul_f32_e32 v132, v2, v136
	v_mul_f32_e32 v134, v3, v136
	s_waitcnt vmcnt(29)
	v_mul_f32_e32 v135, v4, v137
	v_mul_f32_e32 v136, v5, v137
	v_fmac_f32_e32 v132, v3, v130
	v_fma_f32 v130, v2, v130, -v134
	s_waitcnt vmcnt(25)
	v_fmac_f32_e32 v135, v5, v141
	v_fma_f32 v134, v4, v141, -v136
	ds_read_b128 v[2:5], v1 offset:672
	s_waitcnt vmcnt(24) lgkmcnt(2)
	v_mul_f32_e32 v136, v118, v142
	v_mul_f32_e32 v137, v119, v142
	s_waitcnt vmcnt(23)
	v_mul_f32_e32 v141, v120, v143
	v_mul_f32_e32 v142, v121, v143
	v_fmac_f32_e32 v136, v119, v140
	v_fma_f32 v137, v118, v140, -v137
	v_fmac_f32_e32 v141, v121, v139
	v_fma_f32 v139, v120, v139, -v142
	ds_read_b128 v[118:121], v1 offset:688
	s_waitcnt vmcnt(22) lgkmcnt(2)
	v_mul_f32_e32 v140, v122, v144
	v_mul_f32_e32 v142, v123, v144
	s_waitcnt vmcnt(21)
	v_mul_f32_e32 v143, v124, v145
	v_mul_f32_e32 v144, v125, v145
	v_fmac_f32_e32 v140, v123, v138
	v_fma_f32 v138, v122, v138, -v142
	s_waitcnt vmcnt(17)
	v_fmac_f32_e32 v143, v125, v149
	v_fma_f32 v142, v124, v149, -v144
	s_waitcnt vmcnt(16) lgkmcnt(1)
	v_mul_f32_e32 v144, v2, v150
	v_mul_f32_e32 v145, v3, v150
	s_waitcnt vmcnt(15)
	v_mul_f32_e32 v149, v4, v151
	v_mul_f32_e32 v150, v5, v151
	ds_read_b128 v[122:125], v1 offset:704
	v_fmac_f32_e32 v144, v3, v148
	v_fma_f32 v145, v2, v148, -v145
	v_fmac_f32_e32 v149, v5, v147
	v_fma_f32 v147, v4, v147, -v150
	s_clause 0x1
	buffer_load_dword v148, off, s[0:3], 0 offset:308
	buffer_load_dword v150, off, s[0:3], 0 offset:316
	s_waitcnt vmcnt(16) lgkmcnt(1)
	v_mul_f32_e32 v151, v118, v152
	v_mul_f32_e32 v2, v119, v152
	s_waitcnt vmcnt(15)
	v_mul_f32_e32 v152, v120, v153
	v_mul_f32_e32 v3, v121, v153
	v_fmac_f32_e32 v151, v119, v146
	v_fma_f32 v146, v118, v146, -v2
	s_waitcnt vmcnt(11)
	v_fmac_f32_e32 v152, v121, v157
	v_fma_f32 v153, v120, v157, -v3
	buffer_load_dword v157, off, s[0:3], 0 offset:324
	ds_read_b128 v[2:5], v1 offset:720
	s_waitcnt vmcnt(11) lgkmcnt(1)
	v_mul_f32_e32 v170, v122, v158
	v_mul_f32_e32 v118, v123, v158
	s_waitcnt vmcnt(10)
	v_mul_f32_e32 v158, v124, v159
	v_mul_f32_e32 v119, v125, v159
	s_clause 0x5
	buffer_load_dword v159, off, s[0:3], 0 offset:332
	buffer_load_dword v171, off, s[0:3], 0 offset:352
	;; [unrolled: 1-line block ×6, first 2 shown]
	v_fmac_f32_e32 v170, v123, v156
	v_fma_f32 v156, v122, v156, -v118
	v_fmac_f32_e32 v158, v125, v155
	v_fma_f32 v155, v124, v155, -v119
	s_waitcnt vmcnt(15) lgkmcnt(0)
	v_mul_f32_e32 v175, v2, v160
	v_mul_f32_e32 v118, v3, v160
	s_waitcnt vmcnt(14)
	v_mul_f32_e32 v160, v4, v161
	v_fmac_f32_e32 v175, v3, v154
	v_add_f32_e32 v3, 0, v166
	v_fma_f32 v154, v2, v154, -v118
	v_add_f32_e32 v2, 0, v167
	v_mul_f32_e32 v118, v5, v161
	s_clause 0x1
	buffer_load_dword v161, off, s[0:3], 0 offset:356
	buffer_load_dword v166, off, s[0:3], 0 offset:364
	v_add_f32_e32 v3, v3, v6
	buffer_load_dword v6, off, s[0:3], 0 offset:348
	v_add_f32_e32 v2, v2, v168
	s_waitcnt vmcnt(13)
	v_fmac_f32_e32 v160, v5, v165
	v_fma_f32 v165, v4, v165, -v118
	v_add_f32_e32 v3, v3, v8
	v_add_f32_e32 v2, v2, v7
	s_clause 0x11
	buffer_load_dword v7, off, s[0:3], 0 offset:372
	buffer_load_dword v8, off, s[0:3], 0 offset:380
	;; [unrolled: 1-line block ×18, first 2 shown]
	v_add_f32_e32 v3, v3, v126
	v_add_f32_e32 v2, v2, v127
	;; [unrolled: 1-line block ×16, first 2 shown]
	ds_read_b128 v[2:5], v1 offset:736
	v_add_f32_e32 v118, v118, v142
	v_add_f32_e32 v119, v119, v143
	v_add_f32_e32 v122, v118, v145
	v_add_f32_e32 v123, v119, v144
	ds_read_b128 v[118:121], v1 offset:752
	v_add_f32_e32 v122, v122, v147
	v_add_f32_e32 v123, v123, v149
	;; [unrolled: 1-line block ×11, first 2 shown]
	s_waitcnt vmcnt(29) lgkmcnt(1)
	v_mul_f32_e32 v138, v2, v148
	v_mul_f32_e32 v124, v3, v148
	s_waitcnt vmcnt(28)
	v_mul_f32_e32 v139, v4, v150
	v_mul_f32_e32 v125, v5, v150
	v_fmac_f32_e32 v138, v3, v164
	v_fma_f32 v134, v2, v164, -v124
	v_fmac_f32_e32 v139, v5, v163
	v_fma_f32 v140, v4, v163, -v125
	ds_read_b128 v[2:5], v1 offset:768
	ds_read_b128 v[122:125], v1 offset:784
	s_waitcnt vmcnt(27) lgkmcnt(2)
	v_mul_f32_e32 v141, v118, v157
	v_mul_f32_e32 v128, v119, v157
	v_fmac_f32_e32 v141, v119, v162
	v_add_f32_e32 v119, v127, v155
	v_fma_f32 v143, v118, v162, -v128
	s_waitcnt vmcnt(26)
	v_mul_f32_e32 v142, v120, v159
	v_mul_f32_e32 v129, v121, v159
	v_add_f32_e32 v131, v119, v154
	s_waitcnt vmcnt(22)
	v_fmac_f32_e32 v142, v121, v174
	v_fma_f32 v144, v120, v174, -v129
	v_add_f32_e32 v137, v131, v165
	ds_read_b128 v[118:121], v1 offset:800
	ds_read_b128 v[126:129], v1 offset:816
	s_waitcnt vmcnt(21) lgkmcnt(3)
	v_mul_f32_e32 v145, v2, v176
	v_mul_f32_e32 v136, v3, v176
	ds_read_b128 v[130:133], v1 offset:832
	v_fmac_f32_e32 v145, v3, v173
	v_add_f32_e32 v3, v137, v134
	v_fma_f32 v2, v2, v173, -v136
	ds_read_b128 v[134:137], v1 offset:848
	v_add_f32_e32 v1, v146, v138
	v_add_f32_e32 v3, v3, v140
	s_waitcnt vmcnt(20) lgkmcnt(4)
	v_mul_f32_e32 v146, v123, v161
	v_add_f32_e32 v1, v1, v139
	v_mul_f32_e32 v140, v122, v161
	v_add_f32_e32 v3, v3, v143
	s_waitcnt vmcnt(18)
	v_mul_f32_e32 v138, v4, v6
	v_mul_f32_e32 v6, v5, v6
	v_add_f32_e32 v1, v1, v141
	v_fma_f32 v122, v122, v171, -v146
	v_add_f32_e32 v3, v3, v144
	v_fmac_f32_e32 v138, v5, v172
	v_fma_f32 v4, v4, v172, -v6
	v_add_f32_e32 v1, v1, v142
	v_mul_f32_e32 v142, v125, v166
	v_add_f32_e32 v2, v3, v2
	v_mul_f32_e32 v139, v124, v166
	v_fmac_f32_e32 v140, v123, v171
	v_add_f32_e32 v1, v1, v145
	s_waitcnt vmcnt(17) lgkmcnt(3)
	v_mul_f32_e32 v5, v118, v7
	v_add_f32_e32 v2, v2, v4
	v_mul_f32_e32 v4, v119, v7
	s_waitcnt vmcnt(6)
	v_fma_f32 v7, v124, v184, -v142
	v_add_f32_e32 v1, v1, v138
	v_fmac_f32_e32 v139, v125, v184
	v_add_f32_e32 v2, v2, v122
	v_mul_f32_e32 v6, v120, v8
	v_mul_f32_e32 v8, v121, v8
	v_add_f32_e32 v1, v1, v140
	v_fma_f32 v4, v118, v183, -v4
	v_add_f32_e32 v2, v2, v7
	v_fmac_f32_e32 v5, v119, v183
	s_waitcnt lgkmcnt(2)
	v_mul_f32_e32 v7, v127, v167
	v_add_f32_e32 v1, v1, v139
	v_fma_f32 v8, v120, v182, -v8
	v_add_f32_e32 v2, v2, v4
	v_mul_f32_e32 v141, v126, v167
	v_fmac_f32_e32 v6, v121, v182
	v_add_f32_e32 v1, v1, v5
	v_mul_f32_e32 v4, v129, v168
	v_fma_f32 v5, v126, v181, -v7
	v_add_f32_e32 v2, v2, v8
	v_mul_f32_e32 v143, v128, v168
	v_fmac_f32_e32 v141, v127, v181
	v_add_f32_e32 v1, v1, v6
	s_waitcnt lgkmcnt(1)
	v_mul_f32_e32 v6, v131, v177
	s_waitcnt vmcnt(2)
	v_fma_f32 v4, v128, v188, -v4
	v_add_f32_e32 v2, v2, v5
	v_mul_f32_e32 v147, v130, v177
	v_fmac_f32_e32 v143, v129, v188
	v_add_f32_e32 v1, v1, v141
	v_mul_f32_e32 v5, v133, v178
	v_fma_f32 v6, v130, v187, -v6
	v_add_f32_e32 v2, v2, v4
	v_mul_f32_e32 v144, v132, v178
	v_fmac_f32_e32 v147, v131, v187
	v_add_f32_e32 v1, v1, v143
	s_waitcnt lgkmcnt(0)
	v_mul_f32_e32 v4, v135, v179
	v_fma_f32 v5, v132, v186, -v5
	v_add_f32_e32 v2, v2, v6
	v_mul_f32_e32 v148, v134, v179
	v_fmac_f32_e32 v144, v133, v186
	v_add_f32_e32 v1, v1, v147
	v_mul_f32_e32 v6, v137, v180
	v_fma_f32 v4, v134, v185, -v4
	v_add_f32_e32 v2, v2, v5
	v_mul_f32_e32 v3, v136, v180
	v_fmac_f32_e32 v148, v135, v185
	v_add_f32_e32 v1, v1, v144
	s_waitcnt vmcnt(1)
	v_fma_f32 v5, v136, v189, -v6
	v_add_f32_e32 v2, v2, v4
	v_fmac_f32_e32 v3, v137, v189
	v_add_f32_e32 v1, v1, v148
	v_add_f32_e32 v2, v2, v5
	;; [unrolled: 1-line block ×3, first 2 shown]
	s_waitcnt vmcnt(0)
	v_sub_f32_e32 v2, v190, v2
	v_sub_f32_e32 v1, v169, v1
	buffer_store_dword v2, off, s[0:3], 0 offset:136
	buffer_store_dword v1, off, s[0:3], 0 offset:140
	v_cmpx_lt_u32_e32 16, v0
	s_cbranch_execz .LBB53_305
; %bb.304:
	s_clause 0x1
	buffer_load_dword v1, off, s[0:3], 0 offset:128
	buffer_load_dword v2, off, s[0:3], 0 offset:132
	v_mov_b32_e32 v3, 0
	buffer_store_dword v3, off, s[0:3], 0 offset:128
	buffer_store_dword v3, off, s[0:3], 0 offset:132
	s_waitcnt vmcnt(0)
	ds_write_b64 v117, v[1:2]
.LBB53_305:
	s_or_b32 exec_lo, exec_lo, s4
	s_waitcnt lgkmcnt(0)
	s_waitcnt_vscnt null, 0x0
	s_barrier
	buffer_gl0_inv
	s_clause 0x2b
	buffer_load_dword v6, off, s[0:3], 0 offset:140
	buffer_load_dword v7, off, s[0:3], 0 offset:152
	;; [unrolled: 1-line block ×44, first 2 shown]
	v_mov_b32_e32 v1, 0
	ds_read2_b64 v[2:5], v1 offset0:71 offset1:72
	ds_read2_b64 v[118:121], v1 offset0:73 offset1:74
	;; [unrolled: 1-line block ×3, first 2 shown]
	buffer_load_dword v168, off, s[0:3], 0 offset:132
	s_mov_b32 s4, exec_lo
	s_waitcnt vmcnt(44) lgkmcnt(2)
	v_mul_f32_e32 v167, v3, v6
	v_mul_f32_e32 v6, v2, v6
	s_waitcnt vmcnt(41)
	v_fma_f32 v167, v2, v126, -v167
	v_fmac_f32_e32 v6, v3, v126
	s_waitcnt vmcnt(40)
	v_mul_f32_e32 v126, v4, v127
	v_mul_f32_e32 v2, v5, v127
	s_waitcnt vmcnt(39) lgkmcnt(1)
	v_mul_f32_e32 v127, v118, v128
	v_mul_f32_e32 v128, v119, v128
	v_add_f32_e32 v6, 0, v6
	v_fmac_f32_e32 v126, v5, v8
	v_fma_f32 v8, v4, v8, -v2
	ds_read2_b64 v[2:5], v1 offset0:77 offset1:78
	v_fmac_f32_e32 v127, v119, v7
	v_fma_f32 v7, v118, v7, -v128
	s_waitcnt vmcnt(38)
	v_mul_f32_e32 v128, v120, v129
	v_mul_f32_e32 v118, v121, v129
	v_add_f32_e32 v6, v6, v126
	s_waitcnt vmcnt(34)
	v_fmac_f32_e32 v128, v121, v133
	v_fma_f32 v129, v120, v133, -v118
	s_waitcnt vmcnt(33) lgkmcnt(1)
	v_mul_f32_e32 v133, v122, v134
	v_mul_f32_e32 v134, v123, v134
	ds_read2_b64 v[118:121], v1 offset0:79 offset1:80
	v_add_f32_e32 v6, v6, v127
	v_fmac_f32_e32 v133, v123, v132
	v_fma_f32 v132, v122, v132, -v134
	s_waitcnt vmcnt(32)
	v_mul_f32_e32 v134, v124, v135
	v_mul_f32_e32 v122, v125, v135
	v_add_f32_e32 v6, v6, v128
	s_waitcnt vmcnt(31) lgkmcnt(1)
	v_mul_f32_e32 v135, v2, v136
	v_mul_f32_e32 v136, v3, v136
	v_fmac_f32_e32 v134, v125, v131
	v_fma_f32 v131, v124, v131, -v122
	ds_read2_b64 v[122:125], v1 offset0:81 offset1:82
	v_fmac_f32_e32 v135, v3, v130
	v_fma_f32 v130, v2, v130, -v136
	s_waitcnt vmcnt(30)
	v_mul_f32_e32 v136, v4, v137
	v_mul_f32_e32 v2, v5, v137
	v_add_f32_e32 v6, v6, v133
	s_waitcnt vmcnt(26)
	v_fmac_f32_e32 v136, v5, v141
	v_fma_f32 v137, v4, v141, -v2
	ds_read2_b64 v[2:5], v1 offset0:83 offset1:84
	s_waitcnt vmcnt(25) lgkmcnt(2)
	v_mul_f32_e32 v141, v118, v142
	v_mul_f32_e32 v142, v119, v142
	v_add_f32_e32 v6, v6, v134
	v_fmac_f32_e32 v141, v119, v140
	v_fma_f32 v140, v118, v140, -v142
	s_waitcnt vmcnt(24)
	v_mul_f32_e32 v142, v120, v143
	v_mul_f32_e32 v118, v121, v143
	s_waitcnt vmcnt(23) lgkmcnt(1)
	v_mul_f32_e32 v143, v122, v144
	v_mul_f32_e32 v144, v123, v144
	v_add_f32_e32 v6, v6, v135
	v_fmac_f32_e32 v142, v121, v139
	v_fma_f32 v139, v120, v139, -v118
	ds_read2_b64 v[118:121], v1 offset0:85 offset1:86
	v_fmac_f32_e32 v143, v123, v138
	v_fma_f32 v138, v122, v138, -v144
	s_waitcnt vmcnt(22)
	v_mul_f32_e32 v144, v124, v145
	v_mul_f32_e32 v122, v125, v145
	s_waitcnt vmcnt(18)
	v_fmac_f32_e32 v144, v125, v149
	v_fma_f32 v145, v124, v149, -v122
	s_waitcnt vmcnt(17) lgkmcnt(1)
	v_mul_f32_e32 v149, v2, v150
	v_mul_f32_e32 v122, v3, v150
	s_waitcnt vmcnt(16)
	v_mul_f32_e32 v150, v4, v151
	v_mul_f32_e32 v151, v5, v151
	v_fmac_f32_e32 v149, v3, v148
	v_fma_f32 v148, v2, v148, -v122
	ds_read2_b64 v[122:125], v1 offset0:87 offset1:88
	v_fmac_f32_e32 v150, v5, v147
	v_fma_f32 v147, v4, v147, -v151
	s_clause 0x1
	buffer_load_dword v151, off, s[0:3], 0 offset:308
	buffer_load_dword v169, off, s[0:3], 0 offset:316
	v_add_f32_e32 v4, 0, v167
	s_waitcnt vmcnt(17) lgkmcnt(1)
	v_mul_f32_e32 v170, v118, v152
	v_mul_f32_e32 v2, v119, v152
	s_waitcnt vmcnt(16)
	v_mul_f32_e32 v3, v121, v153
	v_mul_f32_e32 v152, v120, v153
	v_add_f32_e32 v8, v4, v8
	v_fmac_f32_e32 v170, v119, v146
	v_fma_f32 v146, v118, v146, -v2
	s_waitcnt vmcnt(12)
	v_fma_f32 v153, v120, v157, -v3
	ds_read2_b64 v[2:5], v1 offset0:89 offset1:90
	v_add_f32_e32 v7, v8, v7
	buffer_load_dword v171, off, s[0:3], 0 offset:324
	v_fmac_f32_e32 v152, v121, v157
	v_add_f32_e32 v7, v7, v129
	s_waitcnt vmcnt(12) lgkmcnt(1)
	v_mul_f32_e32 v157, v122, v158
	v_mul_f32_e32 v118, v123, v158
	s_clause 0x3
	buffer_load_dword v8, off, s[0:3], 0 offset:344
	buffer_load_dword v158, off, s[0:3], 0 offset:336
	buffer_load_dword v167, off, s[0:3], 0 offset:328
	buffer_load_dword v126, off, s[0:3], 0 offset:320
	s_waitcnt vmcnt(15)
	v_mul_f32_e32 v127, v124, v159
	v_add_f32_e32 v7, v7, v132
	v_fmac_f32_e32 v157, v123, v156
	v_fma_f32 v122, v122, v156, -v118
	s_clause 0x1
	buffer_load_dword v156, off, s[0:3], 0 offset:332
	buffer_load_dword v172, off, s[0:3], 0 offset:340
	v_mul_f32_e32 v118, v125, v159
	buffer_load_dword v159, off, s[0:3], 0 offset:348
	v_add_f32_e32 v7, v7, v131
	v_fmac_f32_e32 v127, v125, v155
	s_waitcnt vmcnt(17) lgkmcnt(0)
	v_mul_f32_e32 v131, v2, v160
	v_mul_f32_e32 v123, v3, v160
	v_add_f32_e32 v7, v7, v130
	v_fma_f32 v128, v124, v155, -v118
	s_waitcnt vmcnt(16)
	v_mul_f32_e32 v130, v4, v161
	v_mul_f32_e32 v124, v5, v161
	v_fmac_f32_e32 v131, v3, v154
	v_fma_f32 v132, v2, v154, -v123
	v_add_f32_e32 v2, v7, v137
	v_add_f32_e32 v3, v6, v136
	s_clause 0x3
	buffer_load_dword v155, off, s[0:3], 0 offset:356
	buffer_load_dword v173, off, s[0:3], 0 offset:364
	;; [unrolled: 1-line block ×4, first 2 shown]
	ds_read2_b64 v[118:121], v1 offset0:91 offset1:92
	s_clause 0x3
	buffer_load_dword v134, off, s[0:3], 0 offset:388
	buffer_load_dword v135, off, s[0:3], 0 offset:396
	;; [unrolled: 1-line block ×4, first 2 shown]
	s_waitcnt vmcnt(20)
	v_fmac_f32_e32 v130, v5, v165
	v_fma_f32 v6, v4, v165, -v124
	buffer_load_dword v154, off, s[0:3], 0 offset:420
	v_add_f32_e32 v2, v2, v140
	v_add_f32_e32 v3, v3, v141
	s_clause 0x4
	buffer_load_dword v140, off, s[0:3], 0 offset:376
	buffer_load_dword v141, off, s[0:3], 0 offset:368
	;; [unrolled: 1-line block ×5, first 2 shown]
	v_add_f32_e32 v2, v2, v139
	v_add_f32_e32 v7, v3, v142
	;; [unrolled: 1-line block ×4, first 2 shown]
	ds_read2_b64 v[2:5], v1 offset0:93 offset1:94
	s_waitcnt vmcnt(25) lgkmcnt(1)
	v_mul_f32_e32 v124, v119, v166
	v_add_f32_e32 v7, v7, v144
	s_clause 0x3
	buffer_load_dword v139, off, s[0:3], 0 offset:408
	buffer_load_dword v142, off, s[0:3], 0 offset:400
	;; [unrolled: 1-line block ×4, first 2 shown]
	v_add_f32_e32 v123, v123, v145
	v_mul_f32_e32 v138, v118, v166
	v_fma_f32 v133, v118, v164, -v124
	v_add_f32_e32 v7, v7, v149
	v_add_f32_e32 v118, v123, v148
	v_fmac_f32_e32 v138, v119, v164
	v_add_f32_e32 v7, v7, v150
	v_add_f32_e32 v118, v118, v147
	s_clause 0x2
	buffer_load_dword v145, off, s[0:3], 0 offset:424
	buffer_load_dword v147, off, s[0:3], 0 offset:416
	;; [unrolled: 1-line block ×3, first 2 shown]
	v_add_f32_e32 v7, v7, v170
	v_add_f32_e32 v123, v118, v146
	;; [unrolled: 1-line block ×6, first 2 shown]
	ds_read2_b64 v[122:125], v1 offset0:97 offset1:98
	v_add_f32_e32 v7, v7, v127
	v_add_f32_e32 v152, v152, v128
	;; [unrolled: 1-line block ×8, first 2 shown]
	s_waitcnt vmcnt(30)
	v_mul_f32_e32 v146, v120, v151
	v_mul_f32_e32 v118, v121, v151
	s_waitcnt vmcnt(29) lgkmcnt(1)
	v_mul_f32_e32 v129, v3, v169
	v_mul_f32_e32 v150, v2, v169
	v_fmac_f32_e32 v146, v121, v163
	v_fma_f32 v149, v120, v163, -v118
	ds_read2_b64 v[118:121], v1 offset0:95 offset1:96
	v_fma_f32 v157, v2, v162, -v129
	v_fmac_f32_e32 v150, v3, v162
	v_add_f32_e32 v138, v138, v146
	v_add_f32_e32 v149, v6, v149
	s_waitcnt vmcnt(28)
	v_mul_f32_e32 v153, v5, v171
	v_mul_f32_e32 v151, v4, v171
	v_add_f32_e32 v138, v138, v150
	v_add_f32_e32 v149, v149, v157
	s_waitcnt vmcnt(24)
	v_fma_f32 v153, v4, v126, -v153
	v_fmac_f32_e32 v151, v5, v126
	ds_read2_b64 v[2:5], v1 offset0:99 offset1:100
	ds_read2_b64 v[126:129], v1 offset0:101 offset1:102
	;; [unrolled: 1-line block ×3, first 2 shown]
	ds_read_b64 v[6:7], v1 offset:856
	v_add_f32_e32 v149, v149, v153
	v_add_f32_e32 v138, v138, v151
	s_waitcnt vmcnt(23) lgkmcnt(4)
	v_mul_f32_e32 v152, v118, v156
	v_mul_f32_e32 v156, v119, v156
	s_waitcnt vmcnt(22)
	v_mul_f32_e32 v162, v120, v172
	v_mul_f32_e32 v163, v121, v172
	s_waitcnt vmcnt(21)
	v_mul_f32_e32 v157, v123, v159
	v_fmac_f32_e32 v152, v119, v167
	v_fma_f32 v156, v118, v167, -v156
	v_fmac_f32_e32 v162, v121, v158
	v_fma_f32 v158, v120, v158, -v163
	v_mul_f32_e32 v163, v122, v159
	ds_read2_b64 v[118:121], v1 offset0:105 offset1:106
	v_add_f32_e32 v149, v149, v156
	s_waitcnt vmcnt(20)
	v_mul_f32_e32 v146, v124, v155
	v_mul_f32_e32 v155, v125, v155
	v_fmac_f32_e32 v163, v123, v8
	v_add_f32_e32 v123, v138, v152
	v_fma_f32 v8, v122, v8, -v157
	v_add_f32_e32 v149, v149, v158
	s_waitcnt vmcnt(19) lgkmcnt(4)
	v_mul_f32_e32 v150, v2, v173
	v_mul_f32_e32 v157, v3, v173
	v_add_f32_e32 v123, v123, v162
	s_waitcnt vmcnt(8)
	v_fma_f32 v124, v124, v161, -v155
	v_add_f32_e32 v8, v149, v8
	v_fmac_f32_e32 v146, v125, v161
	v_mul_f32_e32 v125, v5, v174
	v_add_f32_e32 v123, v123, v163
	v_fmac_f32_e32 v150, v3, v160
	v_fma_f32 v2, v2, v160, -v157
	v_add_f32_e32 v3, v8, v124
	v_mul_f32_e32 v153, v4, v174
	v_add_f32_e32 v8, v123, v146
	s_waitcnt lgkmcnt(3)
	v_mul_f32_e32 v123, v127, v175
	v_fma_f32 v4, v4, v141, -v125
	v_add_f32_e32 v2, v3, v2
	v_mul_f32_e32 v159, v126, v175
	v_fmac_f32_e32 v153, v5, v141
	v_add_f32_e32 v3, v8, v150
	v_mul_f32_e32 v5, v129, v134
	v_fma_f32 v8, v126, v140, -v123
	v_add_f32_e32 v2, v2, v4
	v_mul_f32_e32 v151, v128, v134
	v_fmac_f32_e32 v159, v127, v140
	v_add_f32_e32 v3, v3, v153
	s_waitcnt lgkmcnt(2)
	v_mul_f32_e32 v4, v131, v135
	s_waitcnt vmcnt(3)
	v_fma_f32 v5, v128, v144, -v5
	v_add_f32_e32 v2, v2, v8
	v_mul_f32_e32 v156, v130, v135
	v_fmac_f32_e32 v151, v129, v144
	v_add_f32_e32 v3, v3, v159
	v_mul_f32_e32 v8, v133, v136
	v_fma_f32 v4, v130, v143, -v4
	v_add_f32_e32 v2, v2, v5
	v_mul_f32_e32 v122, v132, v136
	v_fmac_f32_e32 v156, v131, v143
	v_add_f32_e32 v3, v3, v151
	s_waitcnt lgkmcnt(0)
	v_mul_f32_e32 v5, v119, v137
	v_fma_f32 v8, v132, v142, -v8
	v_add_f32_e32 v2, v2, v4
	v_mul_f32_e32 v138, v118, v137
	v_fmac_f32_e32 v122, v133, v142
	v_add_f32_e32 v3, v3, v156
	v_mul_f32_e32 v4, v121, v154
	v_fma_f32 v5, v118, v139, -v5
	v_add_f32_e32 v2, v2, v8
	v_mul_f32_e32 v152, v120, v154
	v_fmac_f32_e32 v138, v119, v139
	v_add_f32_e32 v3, v3, v122
	v_mul_f32_e32 v8, v7, v165
	s_waitcnt vmcnt(1)
	v_fma_f32 v4, v120, v147, -v4
	v_add_f32_e32 v2, v2, v5
	v_mul_f32_e32 v158, v6, v165
	v_fmac_f32_e32 v152, v121, v147
	v_add_f32_e32 v3, v3, v138
	v_fma_f32 v5, v6, v145, -v8
	v_add_f32_e32 v2, v2, v4
	v_fmac_f32_e32 v158, v7, v145
	v_add_f32_e32 v3, v3, v152
	v_add_f32_e32 v2, v2, v5
	;; [unrolled: 1-line block ×3, first 2 shown]
	s_waitcnt vmcnt(0)
	v_sub_f32_e32 v2, v148, v2
	v_sub_f32_e32 v3, v168, v3
	buffer_store_dword v2, off, s[0:3], 0 offset:128
	buffer_store_dword v3, off, s[0:3], 0 offset:132
	v_cmpx_lt_u32_e32 15, v0
	s_cbranch_execz .LBB53_307
; %bb.306:
	s_clause 0x1
	buffer_load_dword v2, off, s[0:3], 0 offset:120
	buffer_load_dword v3, off, s[0:3], 0 offset:124
	buffer_store_dword v1, off, s[0:3], 0 offset:120
	buffer_store_dword v1, off, s[0:3], 0 offset:124
	s_waitcnt vmcnt(0)
	ds_write_b64 v117, v[2:3]
.LBB53_307:
	s_or_b32 exec_lo, exec_lo, s4
	s_waitcnt lgkmcnt(0)
	s_waitcnt_vscnt null, 0x0
	s_barrier
	buffer_gl0_inv
	s_clause 0x2b
	buffer_load_dword v6, off, s[0:3], 0 offset:132
	buffer_load_dword v7, off, s[0:3], 0 offset:144
	buffer_load_dword v8, off, s[0:3], 0 offset:136
	buffer_load_dword v126, off, s[0:3], 0 offset:128
	buffer_load_dword v127, off, s[0:3], 0 offset:140
	buffer_load_dword v128, off, s[0:3], 0 offset:148
	buffer_load_dword v129, off, s[0:3], 0 offset:156
	buffer_load_dword v130, off, s[0:3], 0 offset:176
	buffer_load_dword v131, off, s[0:3], 0 offset:168
	buffer_load_dword v132, off, s[0:3], 0 offset:160
	buffer_load_dword v133, off, s[0:3], 0 offset:152
	buffer_load_dword v134, off, s[0:3], 0 offset:164
	buffer_load_dword v135, off, s[0:3], 0 offset:172
	buffer_load_dword v136, off, s[0:3], 0 offset:180
	buffer_load_dword v137, off, s[0:3], 0 offset:188
	buffer_load_dword v138, off, s[0:3], 0 offset:208
	buffer_load_dword v139, off, s[0:3], 0 offset:200
	buffer_load_dword v140, off, s[0:3], 0 offset:192
	buffer_load_dword v141, off, s[0:3], 0 offset:184
	buffer_load_dword v142, off, s[0:3], 0 offset:196
	buffer_load_dword v143, off, s[0:3], 0 offset:204
	buffer_load_dword v144, off, s[0:3], 0 offset:212
	buffer_load_dword v145, off, s[0:3], 0 offset:220
	buffer_load_dword v146, off, s[0:3], 0 offset:240
	buffer_load_dword v147, off, s[0:3], 0 offset:232
	buffer_load_dword v148, off, s[0:3], 0 offset:224
	buffer_load_dword v149, off, s[0:3], 0 offset:216
	buffer_load_dword v150, off, s[0:3], 0 offset:228
	buffer_load_dword v151, off, s[0:3], 0 offset:236
	buffer_load_dword v152, off, s[0:3], 0 offset:244
	buffer_load_dword v153, off, s[0:3], 0 offset:252
	buffer_load_dword v154, off, s[0:3], 0 offset:272
	buffer_load_dword v155, off, s[0:3], 0 offset:264
	buffer_load_dword v156, off, s[0:3], 0 offset:256
	buffer_load_dword v157, off, s[0:3], 0 offset:248
	buffer_load_dword v158, off, s[0:3], 0 offset:260
	buffer_load_dword v159, off, s[0:3], 0 offset:268
	buffer_load_dword v160, off, s[0:3], 0 offset:276
	buffer_load_dword v161, off, s[0:3], 0 offset:284
	buffer_load_dword v162, off, s[0:3], 0 offset:304
	buffer_load_dword v163, off, s[0:3], 0 offset:296
	buffer_load_dword v164, off, s[0:3], 0 offset:288
	buffer_load_dword v165, off, s[0:3], 0 offset:280
	buffer_load_dword v166, off, s[0:3], 0 offset:292
	ds_read_b128 v[2:5], v1 offset:560
	ds_read_b128 v[118:121], v1 offset:576
	;; [unrolled: 1-line block ×3, first 2 shown]
	buffer_load_dword v168, off, s[0:3], 0 offset:124
	s_mov_b32 s4, exec_lo
	s_waitcnt vmcnt(44) lgkmcnt(2)
	v_mul_f32_e32 v167, v3, v6
	v_mul_f32_e32 v6, v2, v6
	s_waitcnt vmcnt(41)
	v_fma_f32 v167, v2, v126, -v167
	v_fmac_f32_e32 v6, v3, v126
	s_waitcnt vmcnt(40)
	v_mul_f32_e32 v126, v4, v127
	v_mul_f32_e32 v2, v5, v127
	s_waitcnt vmcnt(39) lgkmcnt(1)
	v_mul_f32_e32 v127, v118, v128
	v_mul_f32_e32 v128, v119, v128
	v_add_f32_e32 v6, 0, v6
	v_fmac_f32_e32 v126, v5, v8
	v_fma_f32 v8, v4, v8, -v2
	ds_read_b128 v[2:5], v1 offset:608
	v_fmac_f32_e32 v127, v119, v7
	v_fma_f32 v7, v118, v7, -v128
	s_waitcnt vmcnt(38)
	v_mul_f32_e32 v128, v120, v129
	v_mul_f32_e32 v118, v121, v129
	v_add_f32_e32 v6, v6, v126
	s_waitcnt vmcnt(34)
	v_fmac_f32_e32 v128, v121, v133
	v_fma_f32 v129, v120, v133, -v118
	s_waitcnt vmcnt(33) lgkmcnt(1)
	v_mul_f32_e32 v133, v122, v134
	v_mul_f32_e32 v134, v123, v134
	ds_read_b128 v[118:121], v1 offset:624
	v_add_f32_e32 v6, v6, v127
	v_fmac_f32_e32 v133, v123, v132
	v_fma_f32 v132, v122, v132, -v134
	s_waitcnt vmcnt(32)
	v_mul_f32_e32 v134, v124, v135
	v_mul_f32_e32 v122, v125, v135
	v_add_f32_e32 v6, v6, v128
	s_waitcnt vmcnt(31) lgkmcnt(1)
	v_mul_f32_e32 v135, v2, v136
	v_mul_f32_e32 v136, v3, v136
	v_fmac_f32_e32 v134, v125, v131
	v_fma_f32 v131, v124, v131, -v122
	ds_read_b128 v[122:125], v1 offset:640
	v_fmac_f32_e32 v135, v3, v130
	v_fma_f32 v130, v2, v130, -v136
	s_waitcnt vmcnt(30)
	v_mul_f32_e32 v136, v4, v137
	v_mul_f32_e32 v2, v5, v137
	v_add_f32_e32 v6, v6, v133
	s_waitcnt vmcnt(26)
	v_fmac_f32_e32 v136, v5, v141
	v_fma_f32 v137, v4, v141, -v2
	s_waitcnt vmcnt(25) lgkmcnt(1)
	v_mul_f32_e32 v141, v118, v142
	v_mul_f32_e32 v2, v119, v142
	s_waitcnt vmcnt(24)
	v_mul_f32_e32 v142, v120, v143
	v_mul_f32_e32 v143, v121, v143
	v_add_f32_e32 v6, v6, v134
	v_fmac_f32_e32 v141, v119, v140
	v_fma_f32 v140, v118, v140, -v2
	ds_read_b128 v[2:5], v1 offset:656
	v_fmac_f32_e32 v142, v121, v139
	v_fma_f32 v139, v120, v139, -v143
	ds_read_b128 v[118:121], v1 offset:672
	s_waitcnt vmcnt(23) lgkmcnt(2)
	v_mul_f32_e32 v143, v122, v144
	v_mul_f32_e32 v144, v123, v144
	v_fmac_f32_e32 v143, v123, v138
	v_fma_f32 v122, v122, v138, -v144
	s_waitcnt vmcnt(22)
	v_mul_f32_e32 v123, v124, v145
	v_mul_f32_e32 v138, v125, v145
	s_waitcnt vmcnt(18)
	v_fmac_f32_e32 v123, v125, v149
	v_fma_f32 v124, v124, v149, -v138
	s_clause 0x1
	buffer_load_dword v125, off, s[0:3], 0 offset:300
	buffer_load_dword v138, off, s[0:3], 0 offset:308
	s_waitcnt vmcnt(19) lgkmcnt(1)
	v_mul_f32_e32 v144, v2, v150
	v_mul_f32_e32 v145, v3, v150
	s_waitcnt vmcnt(18)
	v_mul_f32_e32 v149, v4, v151
	v_mul_f32_e32 v150, v5, v151
	s_waitcnt vmcnt(17) lgkmcnt(0)
	v_mul_f32_e32 v151, v118, v152
	v_mul_f32_e32 v152, v119, v152
	v_fmac_f32_e32 v144, v3, v148
	v_fma_f32 v145, v2, v148, -v145
	v_fmac_f32_e32 v149, v5, v147
	v_fmac_f32_e32 v151, v119, v146
	v_fma_f32 v146, v118, v146, -v152
	v_add_f32_e32 v118, 0, v167
	v_fma_f32 v147, v4, v147, -v150
	ds_read_b128 v[2:5], v1 offset:688
	s_waitcnt vmcnt(16)
	v_mul_f32_e32 v148, v120, v153
	v_mul_f32_e32 v153, v121, v153
	v_add_f32_e32 v8, v118, v8
	s_waitcnt vmcnt(12)
	v_fmac_f32_e32 v148, v121, v157
	v_fma_f32 v150, v120, v157, -v153
	s_clause 0x4
	buffer_load_dword v152, off, s[0:3], 0 offset:316
	buffer_load_dword v153, off, s[0:3], 0 offset:336
	;; [unrolled: 1-line block ×5, first 2 shown]
	v_add_f32_e32 v7, v8, v7
	s_clause 0x2
	buffer_load_dword v8, off, s[0:3], 0 offset:324
	buffer_load_dword v170, off, s[0:3], 0 offset:332
	;; [unrolled: 1-line block ×3, first 2 shown]
	ds_read_b128 v[118:121], v1 offset:704
	v_add_f32_e32 v7, v7, v129
	v_add_f32_e32 v7, v7, v132
	s_waitcnt vmcnt(19) lgkmcnt(1)
	v_mul_f32_e32 v126, v2, v158
	v_mul_f32_e32 v127, v3, v158
	s_waitcnt vmcnt(18)
	v_mul_f32_e32 v128, v4, v159
	v_mul_f32_e32 v129, v5, v159
	v_fmac_f32_e32 v126, v3, v156
	v_add_f32_e32 v3, v7, v131
	v_fma_f32 v7, v2, v156, -v127
	v_fmac_f32_e32 v128, v5, v155
	v_fma_f32 v127, v4, v155, -v129
	v_add_f32_e32 v2, v3, v130
	v_add_f32_e32 v3, v6, v135
	s_clause 0x7
	buffer_load_dword v6, off, s[0:3], 0 offset:348
	buffer_load_dword v155, off, s[0:3], 0 offset:356
	;; [unrolled: 1-line block ×8, first 2 shown]
	s_waitcnt vmcnt(25) lgkmcnt(0)
	v_mul_f32_e32 v4, v119, v160
	v_mul_f32_e32 v129, v118, v160
	v_add_f32_e32 v2, v2, v137
	v_add_f32_e32 v3, v3, v136
	s_clause 0x3
	buffer_load_dword v160, off, s[0:3], 0 offset:380
	buffer_load_dword v175, off, s[0:3], 0 offset:388
	;; [unrolled: 1-line block ×4, first 2 shown]
	v_fma_f32 v130, v118, v154, -v4
	v_fmac_f32_e32 v129, v119, v154
	v_add_f32_e32 v2, v2, v140
	v_add_f32_e32 v118, v3, v141
	s_waitcnt vmcnt(28)
	v_mul_f32_e32 v3, v121, v161
	s_clause 0x1
	buffer_load_dword v140, off, s[0:3], 0 offset:412
	buffer_load_dword v154, off, s[0:3], 0 offset:420
	v_mul_f32_e32 v131, v120, v161
	v_add_f32_e32 v119, v2, v139
	v_add_f32_e32 v118, v118, v142
	s_waitcnt vmcnt(26)
	v_fma_f32 v132, v120, v165, -v3
	ds_read_b128 v[2:5], v1 offset:720
	buffer_load_dword v139, off, s[0:3], 0 offset:428
	v_add_f32_e32 v119, v119, v122
	v_add_f32_e32 v118, v118, v143
	s_clause 0x3
	buffer_load_dword v141, off, s[0:3], 0 offset:400
	buffer_load_dword v142, off, s[0:3], 0 offset:392
	;; [unrolled: 1-line block ×4, first 2 shown]
	v_fmac_f32_e32 v131, v121, v165
	v_add_f32_e32 v119, v119, v124
	v_add_f32_e32 v118, v118, v123
	;; [unrolled: 1-line block ×4, first 2 shown]
	ds_read_b128 v[118:121], v1 offset:736
	v_add_f32_e32 v122, v122, v147
	s_waitcnt vmcnt(30) lgkmcnt(1)
	v_mul_f32_e32 v133, v2, v166
	v_mul_f32_e32 v124, v3, v166
	v_fmac_f32_e32 v133, v3, v164
	v_add_f32_e32 v3, v122, v146
	s_clause 0x3
	buffer_load_dword v144, off, s[0:3], 0 offset:424
	buffer_load_dword v145, off, s[0:3], 0 offset:416
	;; [unrolled: 1-line block ×4, first 2 shown]
	v_fma_f32 v134, v2, v164, -v124
	v_add_f32_e32 v2, v123, v149
	v_add_f32_e32 v3, v3, v150
	v_add_f32_e32 v2, v2, v151
	v_add_f32_e32 v7, v3, v7
	v_add_f32_e32 v123, v2, v148
	v_add_f32_e32 v7, v7, v127
	v_add_f32_e32 v126, v123, v126
	v_add_f32_e32 v7, v7, v130
	v_add_f32_e32 v126, v126, v128
	v_add_f32_e32 v7, v7, v132
	v_add_f32_e32 v130, v126, v129
	v_add_f32_e32 v7, v7, v134
	v_add_f32_e32 v130, v130, v131
	s_waitcnt vmcnt(32)
	v_mul_f32_e32 v135, v4, v125
	v_mul_f32_e32 v122, v5, v125
	s_waitcnt vmcnt(31) lgkmcnt(0)
	v_mul_f32_e32 v148, v118, v138
	v_mul_f32_e32 v127, v119, v138
	v_fmac_f32_e32 v135, v5, v163
	v_fma_f32 v136, v4, v163, -v122
	ds_read_b128 v[2:5], v1 offset:752
	ds_read_b128 v[122:125], v1 offset:768
	v_fmac_f32_e32 v148, v119, v162
	v_fma_f32 v137, v118, v162, -v127
	v_add_f32_e32 v162, v130, v133
	v_add_f32_e32 v7, v7, v136
	;; [unrolled: 1-line block ×4, first 2 shown]
	s_waitcnt vmcnt(30)
	v_mul_f32_e32 v128, v121, v152
	v_mul_f32_e32 v138, v120, v152
	s_waitcnt vmcnt(26)
	v_fma_f32 v149, v120, v169, -v128
	v_fmac_f32_e32 v138, v121, v169
	s_waitcnt vmcnt(25) lgkmcnt(1)
	v_mul_f32_e32 v150, v2, v8
	v_mul_f32_e32 v8, v3, v8
	s_waitcnt vmcnt(24)
	v_mul_f32_e32 v151, v4, v170
	v_mul_f32_e32 v131, v5, v170
	s_waitcnt vmcnt(23) lgkmcnt(0)
	v_mul_f32_e32 v134, v123, v171
	ds_read_b128 v[118:121], v1 offset:784
	ds_read_b128 v[126:129], v1 offset:800
	v_mul_f32_e32 v152, v122, v171
	v_fmac_f32_e32 v150, v3, v167
	v_fma_f32 v8, v2, v167, -v8
	v_fmac_f32_e32 v151, v5, v157
	v_fma_f32 v157, v4, v157, -v131
	ds_read_b128 v[2:5], v1 offset:816
	ds_read_b128 v[130:133], v1 offset:832
	v_fma_f32 v122, v122, v153, -v134
	ds_read_b128 v[134:137], v1 offset:848
	v_add_f32_e32 v1, v162, v148
	v_add_f32_e32 v7, v7, v149
	v_fmac_f32_e32 v152, v123, v153
	s_waitcnt vmcnt(22)
	v_mul_f32_e32 v123, v124, v6
	v_mul_f32_e32 v6, v125, v6
	v_add_f32_e32 v1, v1, v138
	v_add_f32_e32 v7, v7, v8
	s_waitcnt vmcnt(15)
	v_fmac_f32_e32 v123, v125, v174
	v_fma_f32 v6, v124, v174, -v6
	v_add_f32_e32 v1, v1, v150
	v_add_f32_e32 v7, v7, v157
	s_waitcnt lgkmcnt(4)
	v_mul_f32_e32 v149, v119, v155
	v_mul_f32_e32 v148, v118, v155
	;; [unrolled: 1-line block ×3, first 2 shown]
	v_add_f32_e32 v1, v1, v151
	v_add_f32_e32 v7, v7, v122
	v_mul_f32_e32 v151, v121, v156
	v_fma_f32 v118, v118, v173, -v149
	v_fmac_f32_e32 v148, v119, v173
	v_add_f32_e32 v1, v1, v152
	v_add_f32_e32 v6, v7, v6
	s_waitcnt lgkmcnt(3)
	v_mul_f32_e32 v7, v127, v158
	v_fma_f32 v119, v120, v172, -v151
	v_mul_f32_e32 v124, v126, v158
	v_add_f32_e32 v1, v1, v123
	v_add_f32_e32 v6, v6, v118
	v_fmac_f32_e32 v138, v121, v172
	s_waitcnt vmcnt(14)
	v_mul_f32_e32 v118, v129, v160
	v_fma_f32 v7, v126, v159, -v7
	v_add_f32_e32 v1, v1, v148
	v_add_f32_e32 v6, v6, v119
	v_mul_f32_e32 v125, v128, v160
	v_fmac_f32_e32 v124, v127, v159
	s_waitcnt vmcnt(13) lgkmcnt(2)
	v_mul_f32_e32 v8, v2, v175
	v_add_f32_e32 v1, v1, v138
	v_mul_f32_e32 v119, v3, v175
	s_waitcnt vmcnt(4)
	v_fma_f32 v118, v128, v161, -v118
	v_add_f32_e32 v6, v6, v7
	v_fmac_f32_e32 v125, v129, v161
	v_add_f32_e32 v1, v1, v124
	v_mul_f32_e32 v7, v5, v176
	v_fmac_f32_e32 v8, v3, v143
	v_fma_f32 v2, v2, v143, -v119
	v_add_f32_e32 v3, v6, v118
	v_mul_f32_e32 v150, v4, v176
	v_add_f32_e32 v1, v1, v125
	s_waitcnt lgkmcnt(1)
	v_mul_f32_e32 v6, v131, v177
	v_fma_f32 v4, v4, v142, -v7
	v_add_f32_e32 v2, v3, v2
	v_mul_f32_e32 v153, v130, v177
	v_fmac_f32_e32 v150, v5, v142
	v_add_f32_e32 v1, v1, v8
	v_mul_f32_e32 v3, v133, v140
	v_fma_f32 v5, v130, v141, -v6
	v_add_f32_e32 v2, v2, v4
	v_mul_f32_e32 v155, v132, v140
	v_fmac_f32_e32 v153, v131, v141
	v_add_f32_e32 v1, v1, v150
	s_waitcnt lgkmcnt(0)
	v_mul_f32_e32 v4, v135, v154
	s_waitcnt vmcnt(1)
	v_fma_f32 v3, v132, v146, -v3
	v_add_f32_e32 v2, v2, v5
	v_mul_f32_e32 v156, v134, v154
	v_fmac_f32_e32 v155, v133, v146
	v_add_f32_e32 v1, v1, v153
	v_mul_f32_e32 v5, v137, v139
	v_fma_f32 v4, v134, v145, -v4
	v_add_f32_e32 v2, v2, v3
	v_mul_f32_e32 v122, v136, v139
	v_fmac_f32_e32 v156, v135, v145
	v_add_f32_e32 v1, v1, v155
	v_fma_f32 v3, v136, v144, -v5
	v_add_f32_e32 v2, v2, v4
	v_fmac_f32_e32 v122, v137, v144
	v_add_f32_e32 v1, v1, v156
	v_add_f32_e32 v2, v2, v3
	v_add_f32_e32 v1, v1, v122
	s_waitcnt vmcnt(0)
	v_sub_f32_e32 v2, v147, v2
	v_sub_f32_e32 v1, v168, v1
	buffer_store_dword v2, off, s[0:3], 0 offset:120
	buffer_store_dword v1, off, s[0:3], 0 offset:124
	v_cmpx_lt_u32_e32 14, v0
	s_cbranch_execz .LBB53_309
; %bb.308:
	s_clause 0x1
	buffer_load_dword v1, off, s[0:3], 0 offset:112
	buffer_load_dword v2, off, s[0:3], 0 offset:116
	v_mov_b32_e32 v3, 0
	buffer_store_dword v3, off, s[0:3], 0 offset:112
	buffer_store_dword v3, off, s[0:3], 0 offset:116
	s_waitcnt vmcnt(0)
	ds_write_b64 v117, v[1:2]
.LBB53_309:
	s_or_b32 exec_lo, exec_lo, s4
	s_waitcnt lgkmcnt(0)
	s_waitcnt_vscnt null, 0x0
	s_barrier
	buffer_gl0_inv
	s_clause 0x2c
	buffer_load_dword v6, off, s[0:3], 0 offset:124
	buffer_load_dword v7, off, s[0:3], 0 offset:132
	;; [unrolled: 1-line block ×45, first 2 shown]
	v_mov_b32_e32 v1, 0
	ds_read2_b64 v[2:5], v1 offset0:69 offset1:70
	ds_read2_b64 v[118:121], v1 offset0:71 offset1:72
	s_clause 0x2
	buffer_load_dword v166, off, s[0:3], 0 offset:116
	buffer_load_dword v167, off, s[0:3], 0 offset:300
	;; [unrolled: 1-line block ×3, first 2 shown]
	s_mov_b32 s4, exec_lo
	s_waitcnt vmcnt(47) lgkmcnt(1)
	v_mul_f32_e32 v164, v3, v6
	v_mul_f32_e32 v6, v2, v6
	s_waitcnt vmcnt(46)
	v_mul_f32_e32 v165, v4, v7
	v_mul_f32_e32 v7, v5, v7
	s_waitcnt vmcnt(43)
	v_fma_f32 v164, v2, v123, -v164
	v_fmac_f32_e32 v6, v3, v123
	v_fmac_f32_e32 v165, v5, v122
	v_fma_f32 v7, v4, v122, -v7
	ds_read2_b64 v[2:5], v1 offset0:73 offset1:74
	s_waitcnt vmcnt(42) lgkmcnt(1)
	v_mul_f32_e32 v122, v118, v124
	v_mul_f32_e32 v123, v119, v124
	s_waitcnt vmcnt(41)
	v_mul_f32_e32 v124, v120, v125
	v_mul_f32_e32 v125, v121, v125
	v_fmac_f32_e32 v122, v119, v8
	v_fma_f32 v8, v118, v8, -v123
	s_waitcnt vmcnt(37)
	v_fmac_f32_e32 v124, v121, v129
	v_fma_f32 v123, v120, v129, -v125
	ds_read2_b64 v[118:121], v1 offset0:75 offset1:76
	s_waitcnt vmcnt(36) lgkmcnt(1)
	v_mul_f32_e32 v125, v2, v130
	v_mul_f32_e32 v129, v3, v130
	s_waitcnt vmcnt(35)
	v_mul_f32_e32 v130, v4, v131
	v_mul_f32_e32 v131, v5, v131
	v_fmac_f32_e32 v125, v3, v128
	v_fma_f32 v128, v2, v128, -v129
	v_fmac_f32_e32 v130, v5, v127
	v_fma_f32 v127, v4, v127, -v131
	ds_read2_b64 v[2:5], v1 offset0:77 offset1:78
	s_waitcnt vmcnt(34) lgkmcnt(1)
	v_mul_f32_e32 v129, v118, v132
	v_mul_f32_e32 v131, v119, v132
	s_waitcnt vmcnt(33)
	v_mul_f32_e32 v132, v120, v133
	v_mul_f32_e32 v133, v121, v133
	v_fmac_f32_e32 v129, v119, v126
	v_fma_f32 v126, v118, v126, -v131
	s_waitcnt vmcnt(29)
	v_fmac_f32_e32 v132, v121, v137
	v_fma_f32 v131, v120, v137, -v133
	ds_read2_b64 v[118:121], v1 offset0:79 offset1:80
	s_waitcnt vmcnt(28) lgkmcnt(1)
	v_mul_f32_e32 v133, v2, v138
	v_mul_f32_e32 v137, v3, v138
	s_waitcnt vmcnt(27)
	v_mul_f32_e32 v138, v4, v139
	v_mul_f32_e32 v139, v5, v139
	v_fmac_f32_e32 v133, v3, v136
	v_fma_f32 v136, v2, v136, -v137
	;; [unrolled: 23-line block ×5, first 2 shown]
	v_fmac_f32_e32 v162, v5, v159
	v_fma_f32 v159, v4, v159, -v163
	s_clause 0x3
	buffer_load_dword v161, off, s[0:3], 0 offset:328
	buffer_load_dword v163, off, s[0:3], 0 offset:320
	;; [unrolled: 1-line block ×4, first 2 shown]
	s_waitcnt vmcnt(5) lgkmcnt(0)
	v_mul_f32_e32 v170, v118, v167
	v_mul_f32_e32 v3, v119, v167
	s_waitcnt vmcnt(4)
	v_mul_f32_e32 v167, v120, v168
	v_mul_f32_e32 v4, v121, v168
	s_clause 0x1
	buffer_load_dword v168, off, s[0:3], 0 offset:316
	buffer_load_dword v172, off, s[0:3], 0 offset:324
	v_fmac_f32_e32 v170, v119, v158
	v_fma_f32 v158, v118, v158, -v3
	v_add_f32_e32 v3, 0, v6
	buffer_load_dword v6, off, s[0:3], 0 offset:340
	v_add_f32_e32 v3, v3, v165
	v_add_f32_e32 v3, v3, v122
	;; [unrolled: 1-line block ×17, first 2 shown]
	s_waitcnt vmcnt(3)
	v_fmac_f32_e32 v167, v121, v2
	v_fma_f32 v171, v120, v2, -v4
	v_add_f32_e32 v2, 0, v164
	buffer_load_dword v164, off, s[0:3], 0 offset:332
	v_add_f32_e32 v2, v2, v7
	v_add_f32_e32 v2, v2, v8
	s_clause 0xa
	buffer_load_dword v8, off, s[0:3], 0 offset:360
	buffer_load_dword v165, off, s[0:3], 0 offset:352
	;; [unrolled: 1-line block ×11, first 2 shown]
	v_add_f32_e32 v2, v2, v123
	s_clause 0x3
	buffer_load_dword v181, off, s[0:3], 0 offset:404
	buffer_load_dword v182, off, s[0:3], 0 offset:412
	;; [unrolled: 1-line block ×4, first 2 shown]
	v_add_f32_e32 v2, v2, v128
	v_add_f32_e32 v2, v2, v127
	;; [unrolled: 1-line block ×9, first 2 shown]
	s_clause 0x3
	buffer_load_dword v135, off, s[0:3], 0 offset:392
	buffer_load_dword v136, off, s[0:3], 0 offset:384
	;; [unrolled: 1-line block ×4, first 2 shown]
	v_add_f32_e32 v2, v2, v134
	v_add_f32_e32 v2, v2, v139
	s_clause 0x4
	buffer_load_dword v134, off, s[0:3], 0 offset:424
	buffer_load_dword v137, off, s[0:3], 0 offset:416
	;; [unrolled: 1-line block ×5, first 2 shown]
	v_add_f32_e32 v2, v2, v144
	v_add_f32_e32 v118, v2, v143
	ds_read2_b64 v[2:5], v1 offset0:93 offset1:94
	v_add_f32_e32 v118, v118, v142
	v_add_f32_e32 v118, v118, v147
	;; [unrolled: 1-line block ×3, first 2 shown]
	ds_read2_b64 v[118:121], v1 offset0:95 offset1:96
	v_add_f32_e32 v123, v123, v151
	s_waitcnt vmcnt(27) lgkmcnt(1)
	v_mul_f32_e32 v141, v2, v168
	v_mul_f32_e32 v124, v3, v168
	s_waitcnt vmcnt(26)
	v_mul_f32_e32 v142, v4, v172
	v_mul_f32_e32 v125, v5, v172
	v_fmac_f32_e32 v141, v3, v169
	v_add_f32_e32 v3, v123, v150
	v_fma_f32 v143, v2, v169, -v124
	v_fmac_f32_e32 v142, v5, v163
	v_fma_f32 v144, v4, v163, -v125
	v_add_f32_e32 v130, v3, v155
	ds_read2_b64 v[2:5], v1 offset0:97 offset1:98
	ds_read2_b64 v[122:125], v1 offset0:99 offset1:100
	;; [unrolled: 1-line block ×3, first 2 shown]
	s_waitcnt vmcnt(25) lgkmcnt(3)
	v_mul_f32_e32 v146, v120, v6
	v_add_f32_e32 v130, v130, v160
	v_mul_f32_e32 v6, v121, v6
	v_add_f32_e32 v130, v130, v159
	s_waitcnt vmcnt(24)
	v_mul_f32_e32 v132, v119, v164
	v_mul_f32_e32 v145, v118, v164
	v_fma_f32 v147, v118, v161, -v132
	v_add_f32_e32 v118, v131, v162
	v_fmac_f32_e32 v145, v119, v161
	v_add_f32_e32 v119, v130, v158
	ds_read2_b64 v[130:133], v1 offset0:103 offset1:104
	s_waitcnt vmcnt(20)
	v_fma_f32 v148, v120, v7, -v6
	v_add_f32_e32 v149, v118, v170
	v_fmac_f32_e32 v146, v121, v7
	v_add_f32_e32 v150, v119, v171
	s_waitcnt vmcnt(19) lgkmcnt(3)
	v_mul_f32_e32 v151, v2, v174
	s_waitcnt vmcnt(18)
	v_mul_f32_e32 v153, v5, v175
	v_add_f32_e32 v149, v149, v167
	v_mul_f32_e32 v152, v4, v175
	v_add_f32_e32 v143, v150, v143
	v_mul_f32_e32 v150, v3, v174
	v_fmac_f32_e32 v151, v3, v173
	v_add_f32_e32 v141, v149, v141
	s_waitcnt vmcnt(17) lgkmcnt(2)
	v_mul_f32_e32 v149, v122, v176
	v_add_f32_e32 v143, v143, v144
	v_fma_f32 v2, v2, v173, -v150
	v_mul_f32_e32 v150, v123, v176
	v_add_f32_e32 v141, v141, v142
	v_fma_f32 v4, v4, v165, -v153
	v_add_f32_e32 v143, v143, v147
	v_fmac_f32_e32 v152, v5, v165
	v_fmac_f32_e32 v149, v123, v8
	v_add_f32_e32 v141, v141, v145
	v_fma_f32 v8, v122, v8, -v150
	v_add_f32_e32 v143, v143, v148
	s_waitcnt vmcnt(16)
	v_mul_f32_e32 v144, v124, v177
	ds_read2_b64 v[118:121], v1 offset0:105 offset1:106
	ds_read_b64 v[6:7], v1 offset:856
	v_add_f32_e32 v141, v141, v146
	s_waitcnt vmcnt(15) lgkmcnt(3)
	v_mul_f32_e32 v154, v126, v178
	v_add_f32_e32 v2, v143, v2
	s_waitcnt vmcnt(14)
	v_mul_f32_e32 v142, v128, v179
	s_waitcnt vmcnt(13) lgkmcnt(2)
	v_mul_f32_e32 v147, v130, v180
	v_add_f32_e32 v5, v141, v151
	v_mul_f32_e32 v141, v125, v177
	v_add_f32_e32 v2, v2, v4
	s_waitcnt vmcnt(6)
	v_fmac_f32_e32 v154, v127, v185
	s_waitcnt vmcnt(5)
	v_fmac_f32_e32 v144, v125, v186
	v_add_f32_e32 v4, v5, v152
	v_mul_f32_e32 v5, v127, v178
	v_fma_f32 v122, v124, v186, -v141
	v_add_f32_e32 v2, v2, v8
	v_mul_f32_e32 v8, v129, v179
	v_add_f32_e32 v4, v4, v149
	v_fma_f32 v5, v126, v185, -v5
	v_fmac_f32_e32 v142, v129, v136
	v_add_f32_e32 v2, v2, v122
	v_mul_f32_e32 v122, v131, v180
	v_add_f32_e32 v4, v4, v144
	v_fma_f32 v8, v128, v136, -v8
	v_mul_f32_e32 v3, v132, v181
	v_add_f32_e32 v2, v2, v5
	v_mul_f32_e32 v5, v133, v181
	v_add_f32_e32 v4, v4, v154
	v_fma_f32 v122, v130, v135, -v122
	v_fmac_f32_e32 v147, v131, v135
	v_add_f32_e32 v2, v2, v8
	s_waitcnt lgkmcnt(1)
	v_mul_f32_e32 v8, v119, v182
	v_add_f32_e32 v4, v4, v142
	s_waitcnt vmcnt(1)
	v_fma_f32 v5, v132, v139, -v5
	v_mul_f32_e32 v145, v118, v182
	v_add_f32_e32 v2, v2, v122
	v_fmac_f32_e32 v3, v133, v139
	v_add_f32_e32 v4, v4, v147
	v_mul_f32_e32 v122, v121, v183
	v_fma_f32 v8, v118, v138, -v8
	v_add_f32_e32 v2, v2, v5
	v_mul_f32_e32 v148, v120, v183
	v_fmac_f32_e32 v145, v119, v138
	v_add_f32_e32 v3, v4, v3
	s_waitcnt lgkmcnt(0)
	v_mul_f32_e32 v4, v7, v184
	v_fma_f32 v5, v120, v137, -v122
	v_add_f32_e32 v2, v2, v8
	v_mul_f32_e32 v146, v6, v184
	v_fmac_f32_e32 v148, v121, v137
	v_add_f32_e32 v3, v3, v145
	v_fma_f32 v4, v6, v134, -v4
	v_add_f32_e32 v2, v2, v5
	v_fmac_f32_e32 v146, v7, v134
	v_add_f32_e32 v3, v3, v148
	v_add_f32_e32 v2, v2, v4
	;; [unrolled: 1-line block ×3, first 2 shown]
	s_waitcnt vmcnt(0)
	v_sub_f32_e32 v2, v140, v2
	v_sub_f32_e32 v3, v166, v3
	buffer_store_dword v2, off, s[0:3], 0 offset:112
	buffer_store_dword v3, off, s[0:3], 0 offset:116
	v_cmpx_lt_u32_e32 13, v0
	s_cbranch_execz .LBB53_311
; %bb.310:
	s_clause 0x1
	buffer_load_dword v2, off, s[0:3], 0 offset:104
	buffer_load_dword v3, off, s[0:3], 0 offset:108
	buffer_store_dword v1, off, s[0:3], 0 offset:104
	buffer_store_dword v1, off, s[0:3], 0 offset:108
	s_waitcnt vmcnt(0)
	ds_write_b64 v117, v[2:3]
.LBB53_311:
	s_or_b32 exec_lo, exec_lo, s4
	s_waitcnt lgkmcnt(0)
	s_waitcnt_vscnt null, 0x0
	s_barrier
	buffer_gl0_inv
	s_clause 0x2c
	buffer_load_dword v6, off, s[0:3], 0 offset:116
	buffer_load_dword v7, off, s[0:3], 0 offset:124
	buffer_load_dword v8, off, s[0:3], 0 offset:128
	buffer_load_dword v122, off, s[0:3], 0 offset:120
	buffer_load_dword v123, off, s[0:3], 0 offset:112
	buffer_load_dword v124, off, s[0:3], 0 offset:132
	buffer_load_dword v125, off, s[0:3], 0 offset:140
	buffer_load_dword v126, off, s[0:3], 0 offset:160
	buffer_load_dword v127, off, s[0:3], 0 offset:152
	buffer_load_dword v128, off, s[0:3], 0 offset:144
	buffer_load_dword v129, off, s[0:3], 0 offset:136
	buffer_load_dword v130, off, s[0:3], 0 offset:148
	buffer_load_dword v131, off, s[0:3], 0 offset:156
	buffer_load_dword v132, off, s[0:3], 0 offset:164
	buffer_load_dword v133, off, s[0:3], 0 offset:172
	buffer_load_dword v134, off, s[0:3], 0 offset:192
	buffer_load_dword v135, off, s[0:3], 0 offset:184
	buffer_load_dword v136, off, s[0:3], 0 offset:176
	buffer_load_dword v137, off, s[0:3], 0 offset:168
	buffer_load_dword v138, off, s[0:3], 0 offset:180
	buffer_load_dword v139, off, s[0:3], 0 offset:188
	buffer_load_dword v140, off, s[0:3], 0 offset:196
	buffer_load_dword v141, off, s[0:3], 0 offset:204
	buffer_load_dword v142, off, s[0:3], 0 offset:224
	buffer_load_dword v143, off, s[0:3], 0 offset:216
	buffer_load_dword v144, off, s[0:3], 0 offset:208
	buffer_load_dword v145, off, s[0:3], 0 offset:200
	buffer_load_dword v146, off, s[0:3], 0 offset:212
	buffer_load_dword v147, off, s[0:3], 0 offset:220
	buffer_load_dword v148, off, s[0:3], 0 offset:228
	buffer_load_dword v149, off, s[0:3], 0 offset:236
	buffer_load_dword v150, off, s[0:3], 0 offset:256
	buffer_load_dword v151, off, s[0:3], 0 offset:248
	buffer_load_dword v152, off, s[0:3], 0 offset:240
	buffer_load_dword v153, off, s[0:3], 0 offset:232
	buffer_load_dword v154, off, s[0:3], 0 offset:244
	buffer_load_dword v155, off, s[0:3], 0 offset:252
	buffer_load_dword v156, off, s[0:3], 0 offset:260
	buffer_load_dword v157, off, s[0:3], 0 offset:268
	buffer_load_dword v158, off, s[0:3], 0 offset:288
	buffer_load_dword v159, off, s[0:3], 0 offset:280
	buffer_load_dword v160, off, s[0:3], 0 offset:272
	buffer_load_dword v161, off, s[0:3], 0 offset:264
	buffer_load_dword v162, off, s[0:3], 0 offset:276
	buffer_load_dword v163, off, s[0:3], 0 offset:284
	ds_read_b128 v[2:5], v1 offset:544
	ds_read_b128 v[118:121], v1 offset:560
	s_clause 0x2
	buffer_load_dword v166, off, s[0:3], 0 offset:108
	buffer_load_dword v167, off, s[0:3], 0 offset:292
	;; [unrolled: 1-line block ×3, first 2 shown]
	s_mov_b32 s4, exec_lo
	s_waitcnt vmcnt(47) lgkmcnt(1)
	v_mul_f32_e32 v164, v3, v6
	v_mul_f32_e32 v6, v2, v6
	s_waitcnt vmcnt(46)
	v_mul_f32_e32 v165, v4, v7
	v_mul_f32_e32 v7, v5, v7
	s_waitcnt vmcnt(43)
	v_fma_f32 v164, v2, v123, -v164
	v_fmac_f32_e32 v6, v3, v123
	v_fmac_f32_e32 v165, v5, v122
	v_fma_f32 v7, v4, v122, -v7
	ds_read_b128 v[2:5], v1 offset:576
	s_waitcnt vmcnt(42) lgkmcnt(1)
	v_mul_f32_e32 v122, v118, v124
	v_mul_f32_e32 v123, v119, v124
	s_waitcnt vmcnt(41)
	v_mul_f32_e32 v124, v120, v125
	v_mul_f32_e32 v125, v121, v125
	v_fmac_f32_e32 v122, v119, v8
	v_fma_f32 v8, v118, v8, -v123
	s_waitcnt vmcnt(37)
	v_fmac_f32_e32 v124, v121, v129
	v_fma_f32 v123, v120, v129, -v125
	ds_read_b128 v[118:121], v1 offset:592
	s_waitcnt vmcnt(36) lgkmcnt(1)
	v_mul_f32_e32 v125, v2, v130
	v_mul_f32_e32 v129, v3, v130
	s_waitcnt vmcnt(35)
	v_mul_f32_e32 v130, v4, v131
	v_mul_f32_e32 v131, v5, v131
	v_fmac_f32_e32 v125, v3, v128
	v_fma_f32 v128, v2, v128, -v129
	v_fmac_f32_e32 v130, v5, v127
	v_fma_f32 v127, v4, v127, -v131
	ds_read_b128 v[2:5], v1 offset:608
	s_waitcnt vmcnt(34) lgkmcnt(1)
	v_mul_f32_e32 v129, v118, v132
	v_mul_f32_e32 v131, v119, v132
	s_waitcnt vmcnt(33)
	v_mul_f32_e32 v132, v120, v133
	v_mul_f32_e32 v133, v121, v133
	v_fmac_f32_e32 v129, v119, v126
	v_fma_f32 v126, v118, v126, -v131
	s_waitcnt vmcnt(29)
	v_fmac_f32_e32 v132, v121, v137
	v_fma_f32 v131, v120, v137, -v133
	ds_read_b128 v[118:121], v1 offset:624
	s_waitcnt vmcnt(28) lgkmcnt(1)
	v_mul_f32_e32 v133, v2, v138
	v_mul_f32_e32 v137, v3, v138
	s_waitcnt vmcnt(27)
	v_mul_f32_e32 v138, v4, v139
	v_mul_f32_e32 v139, v5, v139
	v_fmac_f32_e32 v133, v3, v136
	v_fma_f32 v136, v2, v136, -v137
	;; [unrolled: 23-line block ×5, first 2 shown]
	v_fmac_f32_e32 v162, v5, v159
	v_fma_f32 v159, v4, v159, -v163
	s_clause 0x5
	buffer_load_dword v161, off, s[0:3], 0 offset:320
	buffer_load_dword v163, off, s[0:3], 0 offset:312
	;; [unrolled: 1-line block ×6, first 2 shown]
	v_add_f32_e32 v4, 0, v6
	buffer_load_dword v6, off, s[0:3], 0 offset:324
	v_add_f32_e32 v3, 0, v164
	s_waitcnt vmcnt(8) lgkmcnt(0)
	v_mul_f32_e32 v5, v119, v167
	s_waitcnt vmcnt(7)
	v_mul_f32_e32 v174, v120, v168
	v_add_f32_e32 v4, v4, v165
	v_add_f32_e32 v3, v3, v7
	v_mul_f32_e32 v7, v118, v167
	v_add_f32_e32 v4, v4, v122
	v_add_f32_e32 v3, v3, v8
	s_clause 0x7
	buffer_load_dword v8, off, s[0:3], 0 offset:332
	buffer_load_dword v164, off, s[0:3], 0 offset:352
	;; [unrolled: 1-line block ×8, first 2 shown]
	v_add_f32_e32 v3, v3, v123
	v_add_f32_e32 v4, v4, v124
	v_fmac_f32_e32 v7, v119, v158
	v_fma_f32 v158, v118, v158, -v5
	v_mul_f32_e32 v5, v121, v168
	v_add_f32_e32 v3, v3, v128
	v_add_f32_e32 v4, v4, v125
	s_clause 0x7
	buffer_load_dword v168, off, s[0:3], 0 offset:348
	buffer_load_dword v177, off, s[0:3], 0 offset:372
	;; [unrolled: 1-line block ×8, first 2 shown]
	v_add_f32_e32 v3, v3, v127
	v_add_f32_e32 v4, v4, v130
	buffer_load_dword v184, off, s[0:3], 0 offset:428
	s_waitcnt vmcnt(20)
	v_fmac_f32_e32 v174, v121, v2
	v_fma_f32 v130, v120, v2, -v5
	v_add_f32_e32 v2, v3, v126
	v_add_f32_e32 v3, v4, v129
	;; [unrolled: 1-line block ×8, first 2 shown]
	s_clause 0x3
	buffer_load_dword v138, off, s[0:3], 0 offset:384
	buffer_load_dword v185, off, s[0:3], 0 offset:376
	;; [unrolled: 1-line block ×4, first 2 shown]
	v_add_f32_e32 v2, v2, v134
	v_add_f32_e32 v3, v3, v137
	;; [unrolled: 1-line block ×4, first 2 shown]
	s_clause 0x3
	buffer_load_dword v139, off, s[0:3], 0 offset:416
	buffer_load_dword v140, off, s[0:3], 0 offset:408
	;; [unrolled: 1-line block ×4, first 2 shown]
	v_add_f32_e32 v2, v2, v144
	buffer_load_dword v144, off, s[0:3], 0 offset:424
	v_add_f32_e32 v3, v3, v141
	buffer_load_dword v141, off, s[0:3], 0 offset:104
	v_add_f32_e32 v2, v2, v143
	v_add_f32_e32 v3, v3, v146
	;; [unrolled: 1-line block ×4, first 2 shown]
	ds_read_b128 v[2:5], v1 offset:736
	v_add_f32_e32 v118, v118, v147
	v_add_f32_e32 v119, v119, v148
	;; [unrolled: 1-line block ×4, first 2 shown]
	ds_read_b128 v[118:121], v1 offset:752
	v_add_f32_e32 v122, v122, v151
	v_add_f32_e32 v123, v123, v154
	;; [unrolled: 1-line block ×4, first 2 shown]
	s_waitcnt vmcnt(29) lgkmcnt(1)
	v_mul_f32_e32 v142, v2, v170
	v_mul_f32_e32 v124, v3, v170
	s_waitcnt vmcnt(28)
	v_mul_f32_e32 v143, v4, v171
	v_mul_f32_e32 v125, v5, v171
	v_add_f32_e32 v127, v122, v155
	v_fmac_f32_e32 v142, v3, v169
	v_fma_f32 v134, v2, v169, -v124
	v_fmac_f32_e32 v143, v5, v163
	v_fma_f32 v145, v4, v163, -v125
	ds_read_b128 v[2:5], v1 offset:768
	ds_read_b128 v[122:125], v1 offset:784
	v_add_f32_e32 v126, v126, v156
	s_waitcnt vmcnt(27) lgkmcnt(2)
	v_mul_f32_e32 v146, v118, v6
	v_add_f32_e32 v127, v127, v160
	v_mul_f32_e32 v6, v119, v6
	s_waitcnt vmcnt(26)
	v_mul_f32_e32 v147, v120, v8
	v_add_f32_e32 v126, v126, v157
	v_fmac_f32_e32 v146, v119, v161
	v_add_f32_e32 v119, v127, v159
	v_mul_f32_e32 v8, v121, v8
	v_fma_f32 v6, v118, v161, -v6
	v_add_f32_e32 v131, v126, v162
	s_waitcnt vmcnt(22)
	v_fmac_f32_e32 v147, v121, v172
	v_add_f32_e32 v132, v119, v158
	v_fma_f32 v8, v120, v172, -v8
	ds_read_b128 v[118:121], v1 offset:800
	ds_read_b128 v[126:129], v1 offset:816
	v_add_f32_e32 v7, v131, v7
	v_add_f32_e32 v136, v132, v130
	s_waitcnt vmcnt(21) lgkmcnt(3)
	v_mul_f32_e32 v148, v2, v173
	v_mul_f32_e32 v135, v3, v173
	v_add_f32_e32 v7, v7, v174
	ds_read_b128 v[130:133], v1 offset:832
	s_waitcnt vmcnt(20) lgkmcnt(3)
	v_mul_f32_e32 v149, v123, v175
	v_fmac_f32_e32 v148, v3, v167
	v_add_f32_e32 v3, v136, v134
	v_fma_f32 v2, v2, v167, -v135
	ds_read_b128 v[134:137], v1 offset:848
	v_add_f32_e32 v1, v7, v142
	s_waitcnt vmcnt(18)
	v_mul_f32_e32 v142, v5, v168
	v_add_f32_e32 v3, v3, v145
	v_mul_f32_e32 v7, v4, v168
	v_mul_f32_e32 v145, v122, v175
	v_add_f32_e32 v1, v1, v143
	v_fma_f32 v4, v4, v165, -v142
	v_add_f32_e32 v3, v3, v6
	v_fmac_f32_e32 v7, v5, v165
	v_fma_f32 v122, v122, v164, -v149
	v_add_f32_e32 v1, v1, v146
	v_mul_f32_e32 v143, v124, v176
	v_add_f32_e32 v3, v3, v8
	v_mul_f32_e32 v8, v125, v176
	v_fmac_f32_e32 v145, v123, v164
	v_add_f32_e32 v1, v1, v147
	s_waitcnt vmcnt(17) lgkmcnt(3)
	v_mul_f32_e32 v5, v118, v177
	v_add_f32_e32 v2, v3, v2
	s_waitcnt vmcnt(16)
	v_mul_f32_e32 v142, v120, v178
	s_waitcnt vmcnt(15) lgkmcnt(2)
	v_mul_f32_e32 v6, v126, v179
	v_add_f32_e32 v1, v1, v148
	s_waitcnt vmcnt(14)
	v_mul_f32_e32 v146, v128, v180
	v_add_f32_e32 v2, v2, v4
	v_mul_f32_e32 v4, v119, v177
	s_waitcnt vmcnt(13) lgkmcnt(1)
	v_mul_f32_e32 v150, v130, v181
	v_add_f32_e32 v1, v1, v7
	s_waitcnt vmcnt(12)
	v_mul_f32_e32 v147, v132, v182
	v_add_f32_e32 v2, v2, v122
	s_waitcnt vmcnt(11) lgkmcnt(0)
	v_mul_f32_e32 v151, v134, v183
	s_waitcnt vmcnt(10)
	v_mul_f32_e32 v3, v136, v184
	v_add_f32_e32 v1, v1, v145
	s_waitcnt vmcnt(9)
	v_fmac_f32_e32 v6, v127, v138
	s_waitcnt vmcnt(8)
	v_fmac_f32_e32 v142, v121, v185
	s_waitcnt vmcnt(7)
	v_fma_f32 v4, v118, v186, -v4
	s_waitcnt vmcnt(6)
	v_fma_f32 v7, v124, v187, -v8
	v_fmac_f32_e32 v143, v125, v187
	v_mul_f32_e32 v8, v121, v178
	v_fmac_f32_e32 v5, v119, v186
	v_add_f32_e32 v2, v2, v7
	v_add_f32_e32 v1, v1, v143
	v_mul_f32_e32 v7, v127, v179
	v_fma_f32 v8, v120, v185, -v8
	s_waitcnt vmcnt(3)
	v_fmac_f32_e32 v150, v131, v188
	v_add_f32_e32 v2, v2, v4
	v_add_f32_e32 v1, v1, v5
	v_mul_f32_e32 v4, v129, v180
	v_fma_f32 v5, v126, v138, -v7
	v_mul_f32_e32 v7, v131, v181
	v_add_f32_e32 v2, v2, v8
	v_add_f32_e32 v1, v1, v142
	s_waitcnt vmcnt(2)
	v_fma_f32 v4, v128, v189, -v4
	v_fmac_f32_e32 v146, v129, v189
	v_fmac_f32_e32 v147, v133, v140
	v_add_f32_e32 v2, v2, v5
	v_add_f32_e32 v1, v1, v6
	v_mul_f32_e32 v5, v133, v182
	v_fma_f32 v6, v130, v188, -v7
	v_fmac_f32_e32 v151, v135, v139
	v_add_f32_e32 v2, v2, v4
	v_add_f32_e32 v1, v1, v146
	v_mul_f32_e32 v4, v135, v183
	v_fma_f32 v5, v132, v140, -v5
	s_waitcnt vmcnt(1)
	v_fmac_f32_e32 v3, v137, v144
	v_add_f32_e32 v2, v2, v6
	v_add_f32_e32 v1, v1, v150
	v_mul_f32_e32 v6, v137, v184
	v_fma_f32 v4, v134, v139, -v4
	v_add_f32_e32 v2, v2, v5
	v_add_f32_e32 v1, v1, v147
	v_fma_f32 v5, v136, v144, -v6
	v_add_f32_e32 v2, v2, v4
	v_add_f32_e32 v1, v1, v151
	;; [unrolled: 1-line block ×4, first 2 shown]
	s_waitcnt vmcnt(0)
	v_sub_f32_e32 v2, v141, v2
	v_sub_f32_e32 v1, v166, v1
	buffer_store_dword v2, off, s[0:3], 0 offset:104
	buffer_store_dword v1, off, s[0:3], 0 offset:108
	v_cmpx_lt_u32_e32 12, v0
	s_cbranch_execz .LBB53_313
; %bb.312:
	s_clause 0x1
	buffer_load_dword v1, off, s[0:3], 0 offset:96
	buffer_load_dword v2, off, s[0:3], 0 offset:100
	v_mov_b32_e32 v3, 0
	buffer_store_dword v3, off, s[0:3], 0 offset:96
	buffer_store_dword v3, off, s[0:3], 0 offset:100
	s_waitcnt vmcnt(0)
	ds_write_b64 v117, v[1:2]
.LBB53_313:
	s_or_b32 exec_lo, exec_lo, s4
	s_waitcnt lgkmcnt(0)
	s_waitcnt_vscnt null, 0x0
	s_barrier
	buffer_gl0_inv
	s_clause 0x24
	buffer_load_dword v2, off, s[0:3], 0 offset:108
	buffer_load_dword v3, off, s[0:3], 0 offset:116
	;; [unrolled: 1-line block ×37, first 2 shown]
	v_mov_b32_e32 v1, 0
	ds_read2_b64 v[126:129], v1 offset0:67 offset1:68
	ds_read2_b64 v[130:133], v1 offset0:69 offset1:70
	;; [unrolled: 1-line block ×3, first 2 shown]
	s_clause 0x1
	buffer_load_dword v164, off, s[0:3], 0 offset:252
	buffer_load_dword v165, off, s[0:3], 0 offset:100
	ds_read2_b64 v[138:141], v1 offset0:73 offset1:74
	s_mov_b32 s4, exec_lo
	s_waitcnt vmcnt(38) lgkmcnt(3)
	v_mul_f32_e32 v166, v127, v2
	v_mul_f32_e32 v2, v126, v2
	s_waitcnt vmcnt(37)
	v_mul_f32_e32 v167, v128, v3
	v_mul_f32_e32 v3, v129, v3
	s_waitcnt vmcnt(34)
	v_fma_f32 v166, v126, v144, -v166
	v_fmac_f32_e32 v2, v127, v144
	v_fmac_f32_e32 v167, v129, v143
	v_fma_f32 v3, v128, v143, -v3
	ds_read2_b64 v[126:129], v1 offset0:75 offset1:76
	s_waitcnt vmcnt(33) lgkmcnt(3)
	v_mul_f32_e32 v143, v130, v145
	v_mul_f32_e32 v144, v131, v145
	s_waitcnt vmcnt(32)
	v_mul_f32_e32 v145, v132, v146
	v_mul_f32_e32 v146, v133, v146
	s_waitcnt vmcnt(31) lgkmcnt(2)
	v_mul_f32_e32 v168, v134, v147
	v_fmac_f32_e32 v143, v131, v142
	v_fma_f32 v142, v130, v142, -v144
	s_waitcnt vmcnt(26)
	v_fmac_f32_e32 v145, v133, v152
	v_fma_f32 v146, v132, v152, -v146
	ds_read2_b64 v[130:133], v1 offset0:77 offset1:78
	v_mul_f32_e32 v147, v135, v147
	v_mul_f32_e32 v144, v136, v148
	;; [unrolled: 1-line block ×3, first 2 shown]
	v_fmac_f32_e32 v168, v135, v151
	s_waitcnt vmcnt(24) lgkmcnt(2)
	v_mul_f32_e32 v152, v140, v154
	v_fma_f32 v147, v134, v151, -v147
	v_fmac_f32_e32 v144, v137, v150
	v_fma_f32 v148, v136, v150, -v148
	v_mul_f32_e32 v150, v138, v153
	v_mul_f32_e32 v151, v139, v153
	;; [unrolled: 1-line block ×3, first 2 shown]
	ds_read2_b64 v[134:137], v1 offset0:79 offset1:80
	s_waitcnt vmcnt(19)
	v_fmac_f32_e32 v152, v141, v157
	v_fmac_f32_e32 v150, v139, v149
	v_fma_f32 v138, v138, v149, -v151
	v_fma_f32 v139, v140, v157, -v153
	s_clause 0x4
	buffer_load_dword v140, off, s[0:3], 0 offset:260
	buffer_load_dword v141, off, s[0:3], 0 offset:280
	;; [unrolled: 1-line block ×5, first 2 shown]
	s_waitcnt lgkmcnt(2)
	v_mul_f32_e32 v154, v126, v155
	v_mul_f32_e32 v155, v127, v155
	s_waitcnt vmcnt(23)
	v_mul_f32_e32 v157, v128, v158
	v_mul_f32_e32 v158, v129, v158
	s_waitcnt vmcnt(21) lgkmcnt(1)
	v_mul_f32_e32 v169, v132, v160
	v_fmac_f32_e32 v154, v127, v156
	v_fma_f32 v155, v126, v156, -v155
	v_mul_f32_e32 v156, v130, v159
	v_mul_f32_e32 v126, v131, v159
	buffer_load_dword v159, off, s[0:3], 0 offset:268
	v_fmac_f32_e32 v157, v129, v123
	v_fma_f32 v158, v128, v123, -v158
	v_mul_f32_e32 v123, v133, v160
	v_fmac_f32_e32 v156, v131, v8
	v_fma_f32 v8, v130, v8, -v126
	ds_read2_b64 v[126:129], v1 offset0:81 offset1:82
	s_waitcnt vmcnt(18)
	v_fmac_f32_e32 v169, v133, v161
	v_fma_f32 v160, v132, v161, -v123
	ds_read2_b64 v[130:133], v1 offset0:83 offset1:84
	s_waitcnt vmcnt(17) lgkmcnt(2)
	v_mul_f32_e32 v161, v134, v162
	v_mul_f32_e32 v123, v135, v162
	s_waitcnt vmcnt(16)
	v_mul_f32_e32 v162, v136, v163
	v_mul_f32_e32 v163, v137, v163
	v_add_f32_e32 v2, 0, v2
	v_fmac_f32_e32 v161, v135, v124
	v_fma_f32 v134, v134, v124, -v123
	v_fmac_f32_e32 v162, v137, v118
	v_fma_f32 v135, v136, v118, -v163
	s_clause 0x2
	buffer_load_dword v136, off, s[0:3], 0 offset:276
	buffer_load_dword v137, off, s[0:3], 0 offset:284
	;; [unrolled: 1-line block ×3, first 2 shown]
	s_waitcnt vmcnt(18) lgkmcnt(1)
	v_mul_f32_e32 v163, v126, v120
	v_mul_f32_e32 v118, v127, v120
	s_waitcnt vmcnt(17)
	v_mul_f32_e32 v170, v128, v119
	v_mul_f32_e32 v119, v129, v119
	v_fmac_f32_e32 v163, v127, v5
	v_fma_f32 v127, v126, v5, -v118
	s_waitcnt vmcnt(13)
	v_fmac_f32_e32 v170, v129, v125
	s_waitcnt vmcnt(12) lgkmcnt(0)
	v_mul_f32_e32 v129, v130, v122
	v_mul_f32_e32 v5, v131, v122
	s_waitcnt vmcnt(11)
	v_mul_f32_e32 v122, v132, v121
	v_mul_f32_e32 v118, v133, v121
	v_fma_f32 v128, v128, v125, -v119
	ds_read2_b64 v[123:126], v1 offset0:85 offset1:86
	v_fmac_f32_e32 v129, v131, v7
	v_fma_f32 v7, v130, v7, -v5
	v_fmac_f32_e32 v122, v133, v6
	v_fma_f32 v6, v132, v6, -v118
	s_clause 0x4
	buffer_load_dword v130, off, s[0:3], 0 offset:312
	buffer_load_dword v131, off, s[0:3], 0 offset:304
	;; [unrolled: 1-line block ×5, first 2 shown]
	v_add_f32_e32 v5, 0, v166
	v_add_f32_e32 v3, v5, v3
	;; [unrolled: 1-line block ×3, first 2 shown]
	s_waitcnt vmcnt(15) lgkmcnt(0)
	v_mul_f32_e32 v166, v123, v164
	v_mul_f32_e32 v118, v124, v164
	v_add_f32_e32 v119, v119, v146
	v_fmac_f32_e32 v166, v124, v4
	buffer_load_dword v124, off, s[0:3], 0 offset:308
	v_fma_f32 v123, v123, v4, -v118
	v_add_f32_e32 v118, v2, v167
	ds_read2_b64 v[2:5], v1 offset0:87 offset1:88
	v_add_f32_e32 v119, v119, v147
	v_add_f32_e32 v118, v118, v143
	buffer_load_dword v143, off, s[0:3], 0 offset:324
	v_add_f32_e32 v118, v118, v145
	v_add_f32_e32 v145, v119, v148
	;; [unrolled: 1-line block ×3, first 2 shown]
	s_waitcnt vmcnt(15)
	v_mul_f32_e32 v142, v125, v140
	v_mul_f32_e32 v120, v126, v140
	buffer_load_dword v140, off, s[0:3], 0 offset:316
	s_waitcnt vmcnt(12)
	v_fmac_f32_e32 v142, v126, v153
	v_add_f32_e32 v126, v118, v168
	v_fma_f32 v125, v125, v153, -v120
	ds_read2_b64 v[118:121], v1 offset0:89 offset1:90
	v_add_f32_e32 v126, v126, v144
	s_clause 0x3
	buffer_load_dword v144, off, s[0:3], 0 offset:344
	buffer_load_dword v145, off, s[0:3], 0 offset:336
	;; [unrolled: 1-line block ×4, first 2 shown]
	s_waitcnt vmcnt(15) lgkmcnt(1)
	v_mul_f32_e32 v146, v2, v159
	v_mul_f32_e32 v147, v3, v159
	v_fmac_f32_e32 v146, v3, v151
	v_fma_f32 v147, v2, v151, -v147
	v_add_f32_e32 v2, v126, v150
	s_clause 0x1
	buffer_load_dword v150, off, s[0:3], 0 offset:332
	buffer_load_dword v151, off, s[0:3], 0 offset:340
	v_add_f32_e32 v3, v138, v139
	buffer_load_dword v138, off, s[0:3], 0 offset:348
	v_add_f32_e32 v2, v2, v152
	v_add_f32_e32 v3, v3, v155
	;; [unrolled: 1-line block ×3, first 2 shown]
	s_waitcnt vmcnt(17)
	v_mul_f32_e32 v126, v4, v136
	v_add_f32_e32 v158, v3, v158
	v_mul_f32_e32 v136, v5, v136
	v_add_f32_e32 v139, v139, v157
	s_waitcnt vmcnt(16) lgkmcnt(0)
	v_mul_f32_e32 v157, v118, v137
	v_add_f32_e32 v8, v158, v8
	v_mul_f32_e32 v137, v119, v137
	v_fmac_f32_e32 v126, v5, v149
	v_add_f32_e32 v139, v139, v156
	v_fma_f32 v136, v4, v149, -v136
	s_clause 0x3
	buffer_load_dword v149, off, s[0:3], 0 offset:356
	buffer_load_dword v152, off, s[0:3], 0 offset:364
	;; [unrolled: 1-line block ×4, first 2 shown]
	ds_read2_b64 v[2:5], v1 offset0:91 offset1:92
	v_add_f32_e32 v8, v8, v160
	s_waitcnt vmcnt(19)
	v_mul_f32_e32 v158, v120, v171
	v_mul_f32_e32 v156, v121, v171
	v_fma_f32 v137, v118, v141, -v137
	v_add_f32_e32 v118, v139, v169
	v_add_f32_e32 v8, v8, v134
	v_fmac_f32_e32 v157, v119, v141
	s_clause 0x3
	buffer_load_dword v139, off, s[0:3], 0 offset:388
	buffer_load_dword v141, off, s[0:3], 0 offset:396
	buffer_load_dword v159, off, s[0:3], 0 offset:404
	buffer_load_dword v160, off, s[0:3], 0 offset:412
	v_add_f32_e32 v118, v118, v161
	v_add_f32_e32 v8, v8, v135
	s_waitcnt vmcnt(19)
	v_fmac_f32_e32 v158, v121, v133
	v_fma_f32 v133, v120, v133, -v156
	s_clause 0x5
	buffer_load_dword v156, off, s[0:3], 0 offset:420
	buffer_load_dword v134, off, s[0:3], 0 offset:376
	;; [unrolled: 1-line block ×6, first 2 shown]
	v_add_f32_e32 v135, v118, v162
	v_add_f32_e32 v8, v8, v127
	ds_read2_b64 v[118:121], v1 offset0:93 offset1:94
	s_waitcnt vmcnt(24) lgkmcnt(1)
	v_mul_f32_e32 v162, v3, v172
	v_add_f32_e32 v127, v135, v163
	v_mul_f32_e32 v135, v2, v172
	v_add_f32_e32 v8, v8, v128
	v_fmac_f32_e32 v135, v3, v132
	v_fma_f32 v132, v2, v132, -v162
	v_add_f32_e32 v3, v8, v7
	s_clause 0x3
	buffer_load_dword v8, off, s[0:3], 0 offset:408
	buffer_load_dword v162, off, s[0:3], 0 offset:400
	;; [unrolled: 1-line block ×4, first 2 shown]
	v_add_f32_e32 v2, v127, v170
	s_clause 0x2
	buffer_load_dword v170, off, s[0:3], 0 offset:424
	buffer_load_dword v171, off, s[0:3], 0 offset:416
	;; [unrolled: 1-line block ×3, first 2 shown]
	v_add_f32_e32 v3, v3, v6
	s_waitcnt vmcnt(30)
	v_mul_f32_e32 v173, v4, v124
	v_add_f32_e32 v2, v2, v129
	v_add_f32_e32 v6, v3, v123
	v_mul_f32_e32 v3, v5, v124
	v_add_f32_e32 v2, v2, v122
	v_fmac_f32_e32 v173, v5, v131
	s_waitcnt vmcnt(29) lgkmcnt(0)
	v_mul_f32_e32 v128, v121, v143
	v_add_f32_e32 v6, v6, v125
	ds_read2_b64 v[122:125], v1 offset0:97 offset1:98
	v_add_f32_e32 v7, v2, v166
	v_fma_f32 v166, v4, v131, -v3
	ds_read2_b64 v[2:5], v1 offset0:95 offset1:96
	v_add_f32_e32 v6, v6, v147
	v_add_f32_e32 v7, v7, v142
	;; [unrolled: 1-line block ×9, first 2 shown]
	s_waitcnt vmcnt(28)
	v_mul_f32_e32 v142, v118, v140
	v_mul_f32_e32 v127, v119, v140
	v_mul_f32_e32 v140, v120, v143
	v_fmac_f32_e32 v142, v119, v130
	v_fma_f32 v143, v118, v130, -v127
	s_waitcnt vmcnt(24)
	v_fma_f32 v136, v120, v153, -v128
	v_fmac_f32_e32 v140, v121, v153
	ds_read2_b64 v[118:121], v1 offset0:99 offset1:100
	ds_read2_b64 v[126:129], v1 offset0:101 offset1:102
	s_waitcnt vmcnt(23) lgkmcnt(2)
	v_mul_f32_e32 v137, v2, v150
	v_mul_f32_e32 v130, v3, v150
	s_waitcnt vmcnt(22)
	v_mul_f32_e32 v146, v4, v151
	v_mul_f32_e32 v147, v5, v151
	s_waitcnt vmcnt(21)
	v_mul_f32_e32 v150, v122, v138
	v_fmac_f32_e32 v137, v3, v148
	v_fma_f32 v148, v2, v148, -v130
	v_add_f32_e32 v2, v7, v158
	v_fmac_f32_e32 v146, v5, v145
	v_fma_f32 v145, v4, v145, -v147
	v_add_f32_e32 v147, v6, v166
	v_mul_f32_e32 v138, v123, v138
	v_add_f32_e32 v135, v2, v135
	v_fmac_f32_e32 v150, v123, v144
	ds_read2_b64 v[130:133], v1 offset0:103 offset1:104
	ds_read2_b64 v[2:5], v1 offset0:105 offset1:106
	v_add_f32_e32 v143, v147, v143
	v_add_f32_e32 v135, v135, v173
	v_fma_f32 v122, v122, v144, -v138
	s_waitcnt vmcnt(20)
	v_mul_f32_e32 v147, v125, v149
	v_mul_f32_e32 v151, v124, v149
	v_add_f32_e32 v136, v143, v136
	v_add_f32_e32 v135, v135, v142
	s_waitcnt vmcnt(19) lgkmcnt(3)
	v_mul_f32_e32 v142, v118, v152
	v_mul_f32_e32 v144, v119, v152
	s_waitcnt vmcnt(18)
	v_mul_f32_e32 v143, v120, v154
	v_add_f32_e32 v136, v136, v148
	v_add_f32_e32 v135, v135, v140
	s_waitcnt vmcnt(17) lgkmcnt(2)
	v_mul_f32_e32 v149, v126, v155
	s_waitcnt vmcnt(16)
	v_mul_f32_e32 v140, v128, v139
	ds_read_b64 v[6:7], v1 offset:856
	v_add_f32_e32 v136, v136, v145
	v_add_f32_e32 v135, v135, v137
	s_waitcnt vmcnt(15) lgkmcnt(2)
	v_mul_f32_e32 v148, v130, v141
	s_waitcnt vmcnt(11)
	v_fmac_f32_e32 v149, v127, v134
	v_add_f32_e32 v122, v136, v122
	v_add_f32_e32 v135, v135, v146
	s_waitcnt vmcnt(8)
	v_fma_f32 v124, v124, v167, -v147
	v_fmac_f32_e32 v151, v125, v167
	v_fmac_f32_e32 v142, v119, v164
	v_fma_f32 v118, v118, v164, -v144
	v_add_f32_e32 v125, v135, v150
	v_mul_f32_e32 v135, v121, v154
	v_add_f32_e32 v119, v122, v124
	v_mul_f32_e32 v124, v127, v155
	v_fmac_f32_e32 v143, v121, v161
	v_add_f32_e32 v122, v125, v151
	v_fma_f32 v120, v120, v161, -v135
	v_add_f32_e32 v118, v119, v118
	v_mul_f32_e32 v121, v129, v139
	v_mul_f32_e32 v123, v132, v159
	v_add_f32_e32 v119, v122, v142
	v_fma_f32 v122, v126, v134, -v124
	v_add_f32_e32 v118, v118, v120
	v_mul_f32_e32 v120, v131, v141
	s_waitcnt vmcnt(3)
	v_fma_f32 v121, v128, v169, -v121
	v_add_f32_e32 v119, v119, v143
	v_fmac_f32_e32 v140, v129, v169
	v_add_f32_e32 v118, v118, v122
	v_mul_f32_e32 v122, v133, v159
	v_fma_f32 v120, v130, v163, -v120
	v_add_f32_e32 v119, v119, v149
	v_fmac_f32_e32 v148, v131, v163
	v_add_f32_e32 v118, v118, v121
	s_waitcnt lgkmcnt(1)
	v_mul_f32_e32 v137, v2, v160
	v_mul_f32_e32 v121, v3, v160
	v_add_f32_e32 v119, v119, v140
	v_fma_f32 v122, v132, v162, -v122
	v_add_f32_e32 v118, v118, v120
	v_fmac_f32_e32 v123, v133, v162
	v_mul_f32_e32 v120, v5, v156
	v_add_f32_e32 v119, v119, v148
	v_fmac_f32_e32 v137, v3, v8
	v_fma_f32 v2, v2, v8, -v121
	v_add_f32_e32 v3, v118, v122
	v_mul_f32_e32 v138, v4, v156
	v_add_f32_e32 v8, v119, v123
	s_waitcnt lgkmcnt(0)
	v_mul_f32_e32 v118, v7, v168
	s_waitcnt vmcnt(1)
	v_fma_f32 v4, v4, v171, -v120
	v_add_f32_e32 v2, v3, v2
	v_mul_f32_e32 v145, v6, v168
	v_fmac_f32_e32 v138, v5, v171
	v_add_f32_e32 v3, v8, v137
	v_fma_f32 v5, v6, v170, -v118
	v_add_f32_e32 v2, v2, v4
	v_fmac_f32_e32 v145, v7, v170
	v_add_f32_e32 v3, v3, v138
	v_add_f32_e32 v2, v2, v5
	;; [unrolled: 1-line block ×3, first 2 shown]
	s_waitcnt vmcnt(0)
	v_sub_f32_e32 v2, v172, v2
	v_sub_f32_e32 v3, v165, v3
	buffer_store_dword v2, off, s[0:3], 0 offset:96
	buffer_store_dword v3, off, s[0:3], 0 offset:100
	v_cmpx_lt_u32_e32 11, v0
	s_cbranch_execz .LBB53_315
; %bb.314:
	s_clause 0x1
	buffer_load_dword v2, off, s[0:3], 0 offset:88
	buffer_load_dword v3, off, s[0:3], 0 offset:92
	buffer_store_dword v1, off, s[0:3], 0 offset:88
	buffer_store_dword v1, off, s[0:3], 0 offset:92
	s_waitcnt vmcnt(0)
	ds_write_b64 v117, v[2:3]
.LBB53_315:
	s_or_b32 exec_lo, exec_lo, s4
	s_waitcnt lgkmcnt(0)
	s_waitcnt_vscnt null, 0x0
	s_barrier
	buffer_gl0_inv
	s_clause 0x24
	buffer_load_dword v146, off, s[0:3], 0 offset:100
	buffer_load_dword v2, off, s[0:3], 0 offset:108
	;; [unrolled: 1-line block ×37, first 2 shown]
	ds_read_b128 v[130:133], v1 offset:528
	ds_read_b128 v[134:137], v1 offset:544
	ds_read_b128 v[138:141], v1 offset:560
	s_clause 0x1
	buffer_load_dword v164, off, s[0:3], 0 offset:244
	buffer_load_dword v165, off, s[0:3], 0 offset:252
	ds_read_b128 v[142:145], v1 offset:576
	buffer_load_dword v167, off, s[0:3], 0 offset:92
	s_mov_b32 s4, exec_lo
	s_waitcnt vmcnt(39) lgkmcnt(3)
	v_mul_f32_e32 v166, v131, v146
	v_mul_f32_e32 v146, v130, v146
	s_waitcnt vmcnt(38)
	v_mul_f32_e32 v168, v132, v2
	v_mul_f32_e32 v2, v133, v2
	s_waitcnt vmcnt(35)
	v_fma_f32 v166, v130, v149, -v166
	v_fmac_f32_e32 v146, v131, v149
	v_fmac_f32_e32 v168, v133, v148
	v_fma_f32 v2, v132, v148, -v2
	s_waitcnt vmcnt(33) lgkmcnt(2)
	v_mul_f32_e32 v148, v136, v151
	v_mul_f32_e32 v131, v137, v151
	;; [unrolled: 1-line block ×4, first 2 shown]
	s_waitcnt vmcnt(32) lgkmcnt(1)
	v_mul_f32_e32 v150, v138, v152
	v_mul_f32_e32 v151, v139, v152
	s_waitcnt vmcnt(28)
	v_fmac_f32_e32 v148, v137, v155
	v_fma_f32 v152, v136, v155, -v131
	s_waitcnt vmcnt(27)
	v_mul_f32_e32 v155, v140, v156
	v_mul_f32_e32 v156, v141, v156
	v_fmac_f32_e32 v149, v135, v147
	v_fma_f32 v147, v134, v147, -v130
	ds_read_b128 v[130:133], v1 offset:592
	ds_read_b128 v[134:137], v1 offset:608
	v_fmac_f32_e32 v150, v139, v154
	v_fma_f32 v151, v138, v154, -v151
	s_waitcnt vmcnt(26) lgkmcnt(2)
	v_mul_f32_e32 v154, v142, v157
	v_mul_f32_e32 v138, v143, v157
	v_fmac_f32_e32 v155, v141, v153
	v_fma_f32 v153, v140, v153, -v156
	s_waitcnt vmcnt(25)
	v_mul_f32_e32 v156, v144, v158
	v_mul_f32_e32 v139, v145, v158
	s_clause 0x3
	buffer_load_dword v157, off, s[0:3], 0 offset:272
	buffer_load_dword v158, off, s[0:3], 0 offset:264
	;; [unrolled: 1-line block ×4, first 2 shown]
	v_fmac_f32_e32 v154, v143, v120
	v_fma_f32 v142, v142, v120, -v138
	s_waitcnt vmcnt(25)
	v_fmac_f32_e32 v156, v145, v159
	v_fma_f32 v143, v144, v159, -v139
	ds_read_b128 v[138:141], v1 offset:624
	s_clause 0x1
	buffer_load_dword v171, off, s[0:3], 0 offset:260
	buffer_load_dword v172, off, s[0:3], 0 offset:268
	s_waitcnt vmcnt(26) lgkmcnt(2)
	v_mul_f32_e32 v144, v130, v160
	v_mul_f32_e32 v120, v131, v160
	s_waitcnt vmcnt(25)
	v_mul_f32_e32 v145, v132, v161
	v_mul_f32_e32 v159, v133, v161
	s_waitcnt vmcnt(24) lgkmcnt(1)
	v_mul_f32_e32 v161, v134, v162
	v_fmac_f32_e32 v144, v131, v127
	v_fma_f32 v160, v130, v127, -v120
	v_fmac_f32_e32 v145, v133, v121
	v_fma_f32 v159, v132, v121, -v159
	ds_read_b128 v[130:133], v1 offset:640
	v_mul_f32_e32 v120, v135, v162
	s_waitcnt vmcnt(23)
	v_mul_f32_e32 v121, v137, v126
	v_mul_f32_e32 v162, v136, v126
	v_fmac_f32_e32 v161, v135, v6
	v_fma_f32 v6, v134, v6, -v120
	s_waitcnt vmcnt(19)
	v_fma_f32 v134, v136, v163, -v121
	s_waitcnt vmcnt(18) lgkmcnt(1)
	v_mul_f32_e32 v135, v138, v129
	v_mul_f32_e32 v120, v139, v129
	s_waitcnt vmcnt(17)
	v_mul_f32_e32 v136, v140, v128
	v_mul_f32_e32 v121, v141, v128
	ds_read_b128 v[126:129], v1 offset:656
	v_fmac_f32_e32 v162, v137, v163
	v_fmac_f32_e32 v135, v139, v122
	buffer_load_dword v137, off, s[0:3], 0 offset:276
	v_fma_f32 v122, v138, v122, -v120
	v_fmac_f32_e32 v136, v141, v8
	v_fma_f32 v8, v140, v8, -v121
	s_waitcnt vmcnt(16) lgkmcnt(1)
	v_mul_f32_e32 v139, v132, v118
	v_mul_f32_e32 v118, v133, v118
	;; [unrolled: 1-line block ×4, first 2 shown]
	s_waitcnt vmcnt(12)
	v_fmac_f32_e32 v139, v133, v125
	v_fma_f32 v125, v132, v125, -v118
	buffer_load_dword v132, off, s[0:3], 0 offset:284
	v_fmac_f32_e32 v138, v131, v4
	v_fma_f32 v130, v130, v4, -v119
	ds_read_b128 v[118:121], v1 offset:672
	s_waitcnt vmcnt(12) lgkmcnt(1)
	v_mul_f32_e32 v131, v126, v124
	v_mul_f32_e32 v4, v127, v124
	s_waitcnt vmcnt(11)
	v_mul_f32_e32 v124, v128, v123
	v_mul_f32_e32 v123, v129, v123
	v_fmac_f32_e32 v131, v127, v7
	v_fma_f32 v7, v126, v7, -v4
	v_fmac_f32_e32 v124, v129, v5
	v_fma_f32 v123, v128, v5, -v123
	s_clause 0x4
	buffer_load_dword v126, off, s[0:3], 0 offset:304
	buffer_load_dword v127, off, s[0:3], 0 offset:296
	;; [unrolled: 1-line block ×5, first 2 shown]
	v_add_f32_e32 v4, 0, v166
	v_add_f32_e32 v5, 0, v146
	s_clause 0x1
	buffer_load_dword v140, off, s[0:3], 0 offset:300
	buffer_load_dword v141, off, s[0:3], 0 offset:308
	v_add_f32_e32 v2, v4, v2
	v_add_f32_e32 v4, v5, v168
	s_waitcnt vmcnt(17) lgkmcnt(0)
	v_mul_f32_e32 v146, v118, v164
	v_mul_f32_e32 v5, v119, v164
	v_add_f32_e32 v2, v2, v147
	v_add_f32_e32 v4, v4, v149
	s_waitcnt vmcnt(16)
	v_mul_f32_e32 v149, v121, v165
	v_fmac_f32_e32 v146, v119, v3
	v_fma_f32 v163, v118, v3, -v5
	v_add_f32_e32 v118, v2, v152
	v_add_f32_e32 v119, v4, v148
	ds_read_b128 v[2:5], v1 offset:688
	v_mul_f32_e32 v147, v120, v165
	v_add_f32_e32 v118, v118, v151
	v_add_f32_e32 v119, v119, v150
	;; [unrolled: 1-line block ×10, first 2 shown]
	s_waitcnt vmcnt(11)
	v_fma_f32 v148, v120, v170, -v149
	s_clause 0x7
	buffer_load_dword v149, off, s[0:3], 0 offset:316
	buffer_load_dword v150, off, s[0:3], 0 offset:336
	;; [unrolled: 1-line block ×8, first 2 shown]
	v_fmac_f32_e32 v147, v121, v170
	ds_read_b128 v[118:121], v1 offset:704
	s_waitcnt vmcnt(18) lgkmcnt(1)
	v_mul_f32_e32 v156, v2, v171
	v_mul_f32_e32 v165, v3, v171
	s_waitcnt vmcnt(17)
	v_mul_f32_e32 v155, v4, v172
	v_mul_f32_e32 v160, v5, v172
	v_fmac_f32_e32 v156, v3, v169
	v_add_f32_e32 v3, v143, v159
	v_add_f32_e32 v143, v144, v145
	v_fma_f32 v144, v2, v169, -v165
	v_fmac_f32_e32 v155, v5, v158
	v_fma_f32 v145, v4, v158, -v160
	v_add_f32_e32 v2, v3, v6
	v_add_f32_e32 v3, v143, v161
	s_clause 0x7
	buffer_load_dword v6, off, s[0:3], 0 offset:348
	buffer_load_dword v143, off, s[0:3], 0 offset:356
	;; [unrolled: 1-line block ×8, first 2 shown]
	v_add_f32_e32 v2, v2, v134
	v_add_f32_e32 v3, v3, v162
	s_clause 0x3
	buffer_load_dword v162, off, s[0:3], 0 offset:380
	buffer_load_dword v169, off, s[0:3], 0 offset:388
	;; [unrolled: 1-line block ×4, first 2 shown]
	v_add_f32_e32 v2, v2, v122
	v_add_f32_e32 v8, v2, v8
	s_waitcnt vmcnt(28) lgkmcnt(0)
	v_mul_f32_e32 v4, v119, v137
	v_mul_f32_e32 v168, v118, v137
	v_add_f32_e32 v8, v8, v130
	v_fma_f32 v134, v118, v157, -v4
	v_add_f32_e32 v118, v3, v135
	v_fmac_f32_e32 v168, v119, v157
	s_clause 0x2
	buffer_load_dword v157, off, s[0:3], 0 offset:412
	buffer_load_dword v172, off, s[0:3], 0 offset:420
	;; [unrolled: 1-line block ×3, first 2 shown]
	v_add_f32_e32 v8, v8, v125
	v_add_f32_e32 v118, v118, v136
	s_waitcnt vmcnt(30)
	v_mul_f32_e32 v3, v121, v132
	v_mul_f32_e32 v135, v120, v132
	v_add_f32_e32 v7, v8, v7
	v_add_f32_e32 v118, v118, v138
	;; [unrolled: 1-line block ×4, first 2 shown]
	s_waitcnt vmcnt(26)
	v_fma_f32 v132, v120, v129, -v3
	ds_read_b128 v[2:5], v1 offset:720
	s_clause 0x3
	buffer_load_dword v138, off, s[0:3], 0 offset:400
	buffer_load_dword v174, off, s[0:3], 0 offset:392
	;; [unrolled: 1-line block ×4, first 2 shown]
	v_add_f32_e32 v8, v118, v131
	v_fmac_f32_e32 v135, v121, v129
	ds_read_b128 v[118:121], v1 offset:736
	s_waitcnt vmcnt(29) lgkmcnt(1)
	v_mul_f32_e32 v130, v2, v133
	v_mul_f32_e32 v122, v3, v133
	s_waitcnt vmcnt(28)
	v_mul_f32_e32 v136, v4, v140
	s_waitcnt vmcnt(27) lgkmcnt(0)
	v_mul_f32_e32 v129, v119, v141
	v_fmac_f32_e32 v130, v3, v128
	v_fma_f32 v131, v2, v128, -v122
	v_add_f32_e32 v2, v8, v124
	v_add_f32_e32 v3, v7, v163
	s_clause 0x2
	buffer_load_dword v7, off, s[0:3], 0 offset:424
	buffer_load_dword v8, off, s[0:3], 0 offset:416
	buffer_load_dword v139, off, s[0:3], 0 offset:408
	v_mul_f32_e32 v122, v5, v140
	v_fmac_f32_e32 v136, v5, v127
	v_add_f32_e32 v2, v2, v146
	buffer_load_dword v146, off, s[0:3], 0 offset:88
	v_add_f32_e32 v3, v3, v148
	v_fma_f32 v133, v4, v127, -v122
	v_mul_f32_e32 v140, v118, v141
	v_add_f32_e32 v123, v2, v147
	v_add_f32_e32 v127, v3, v144
	ds_read_b128 v[2:5], v1 offset:752
	v_fma_f32 v144, v118, v126, -v129
	v_add_f32_e32 v128, v123, v156
	ds_read_b128 v[122:125], v1 offset:768
	v_add_f32_e32 v127, v127, v145
	v_fmac_f32_e32 v140, v119, v126
	v_add_f32_e32 v128, v128, v155
	v_add_f32_e32 v134, v127, v134
	;; [unrolled: 1-line block ×4, first 2 shown]
	s_waitcnt vmcnt(30)
	v_mul_f32_e32 v137, v121, v149
	v_mul_f32_e32 v141, v120, v149
	s_waitcnt vmcnt(25) lgkmcnt(1)
	v_mul_f32_e32 v147, v2, v142
	v_mul_f32_e32 v134, v3, v142
	v_fma_f32 v145, v120, v164, -v137
	v_add_f32_e32 v137, v128, v168
	s_waitcnt vmcnt(23) lgkmcnt(0)
	v_mul_f32_e32 v148, v122, v154
	v_fmac_f32_e32 v147, v3, v152
	v_fma_f32 v152, v2, v152, -v134
	v_mul_f32_e32 v142, v4, v153
	v_add_f32_e32 v135, v137, v135
	v_mul_f32_e32 v137, v5, v153
	v_mul_f32_e32 v149, v123, v154
	v_fmac_f32_e32 v148, v123, v150
	v_fmac_f32_e32 v141, v121, v164
	v_add_f32_e32 v134, v135, v130
	v_add_f32_e32 v135, v131, v133
	ds_read_b128 v[118:121], v1 offset:784
	ds_read_b128 v[126:129], v1 offset:800
	v_fmac_f32_e32 v142, v5, v151
	v_fma_f32 v151, v4, v151, -v137
	v_add_f32_e32 v153, v134, v136
	v_add_f32_e32 v123, v135, v144
	ds_read_b128 v[2:5], v1 offset:816
	ds_read_b128 v[130:133], v1 offset:832
	;; [unrolled: 1-line block ×3, first 2 shown]
	v_fma_f32 v122, v122, v150, -v149
	v_add_f32_e32 v1, v153, v140
	v_add_f32_e32 v123, v123, v145
	s_waitcnt vmcnt(22)
	v_mul_f32_e32 v140, v124, v6
	v_mul_f32_e32 v6, v125, v6
	v_add_f32_e32 v1, v1, v141
	v_add_f32_e32 v123, v123, v152
	s_waitcnt vmcnt(15)
	v_fmac_f32_e32 v140, v125, v166
	v_fma_f32 v6, v124, v166, -v6
	v_add_f32_e32 v1, v1, v147
	v_add_f32_e32 v123, v123, v151
	s_waitcnt lgkmcnt(4)
	v_mul_f32_e32 v144, v118, v143
	v_mul_f32_e32 v143, v119, v143
	;; [unrolled: 1-line block ×3, first 2 shown]
	v_add_f32_e32 v1, v1, v142
	v_add_f32_e32 v122, v123, v122
	v_mul_f32_e32 v142, v121, v158
	v_fma_f32 v118, v118, v165, -v143
	v_fmac_f32_e32 v144, v119, v165
	v_add_f32_e32 v1, v1, v148
	v_add_f32_e32 v6, v122, v6
	s_waitcnt lgkmcnt(3)
	v_mul_f32_e32 v119, v127, v159
	v_fma_f32 v120, v120, v161, -v142
	v_mul_f32_e32 v124, v126, v159
	v_add_f32_e32 v1, v1, v140
	v_add_f32_e32 v6, v6, v118
	v_fmac_f32_e32 v141, v121, v161
	s_waitcnt vmcnt(14)
	v_mul_f32_e32 v118, v129, v162
	v_fma_f32 v119, v126, v160, -v119
	v_add_f32_e32 v1, v1, v144
	v_add_f32_e32 v6, v6, v120
	v_mul_f32_e32 v125, v128, v162
	v_fmac_f32_e32 v124, v127, v160
	s_waitcnt vmcnt(13) lgkmcnt(2)
	v_mul_f32_e32 v145, v2, v169
	v_add_f32_e32 v1, v1, v141
	v_mul_f32_e32 v120, v3, v169
	v_add_f32_e32 v6, v6, v119
	s_waitcnt vmcnt(4)
	v_fma_f32 v118, v128, v176, -v118
	v_fmac_f32_e32 v125, v129, v176
	v_add_f32_e32 v1, v1, v124
	v_mul_f32_e32 v119, v5, v170
	v_fmac_f32_e32 v145, v3, v175
	v_fma_f32 v2, v2, v175, -v120
	v_add_f32_e32 v3, v6, v118
	v_mul_f32_e32 v147, v4, v170
	v_add_f32_e32 v1, v1, v125
	s_waitcnt lgkmcnt(1)
	v_mul_f32_e32 v6, v131, v171
	v_fma_f32 v4, v4, v174, -v119
	v_add_f32_e32 v2, v3, v2
	v_mul_f32_e32 v149, v130, v171
	v_fmac_f32_e32 v147, v5, v174
	v_add_f32_e32 v1, v1, v145
	v_mul_f32_e32 v3, v133, v157
	v_fma_f32 v5, v130, v138, -v6
	v_add_f32_e32 v2, v2, v4
	v_mul_f32_e32 v150, v132, v157
	v_fmac_f32_e32 v149, v131, v138
	v_add_f32_e32 v1, v1, v147
	s_waitcnt lgkmcnt(0)
	v_mul_f32_e32 v4, v135, v172
	v_add_f32_e32 v2, v2, v5
	v_mul_f32_e32 v151, v134, v172
	v_mul_f32_e32 v5, v137, v173
	v_add_f32_e32 v1, v1, v149
	v_mul_f32_e32 v123, v136, v173
	s_waitcnt vmcnt(2)
	v_fma_f32 v4, v134, v8, -v4
	s_waitcnt vmcnt(1)
	v_fma_f32 v3, v132, v139, -v3
	v_fmac_f32_e32 v150, v133, v139
	v_fmac_f32_e32 v151, v135, v8
	;; [unrolled: 1-line block ×3, first 2 shown]
	v_add_f32_e32 v2, v2, v3
	v_add_f32_e32 v1, v1, v150
	v_fma_f32 v3, v136, v7, -v5
	v_add_f32_e32 v2, v2, v4
	v_add_f32_e32 v1, v1, v151
	;; [unrolled: 1-line block ×4, first 2 shown]
	s_waitcnt vmcnt(0)
	v_sub_f32_e32 v2, v146, v2
	v_sub_f32_e32 v1, v167, v1
	buffer_store_dword v2, off, s[0:3], 0 offset:88
	buffer_store_dword v1, off, s[0:3], 0 offset:92
	v_cmpx_lt_u32_e32 10, v0
	s_cbranch_execz .LBB53_317
; %bb.316:
	s_clause 0x1
	buffer_load_dword v1, off, s[0:3], 0 offset:80
	buffer_load_dword v2, off, s[0:3], 0 offset:84
	v_mov_b32_e32 v3, 0
	buffer_store_dword v3, off, s[0:3], 0 offset:80
	buffer_store_dword v3, off, s[0:3], 0 offset:84
	s_waitcnt vmcnt(0)
	ds_write_b64 v117, v[1:2]
.LBB53_317:
	s_or_b32 exec_lo, exec_lo, s4
	s_waitcnt lgkmcnt(0)
	s_waitcnt_vscnt null, 0x0
	s_barrier
	buffer_gl0_inv
	s_clause 0x2c
	buffer_load_dword v156, off, s[0:3], 0 offset:92
	buffer_load_dword v157, off, s[0:3], 0 offset:100
	;; [unrolled: 1-line block ×45, first 2 shown]
	v_mov_b32_e32 v1, 0
	ds_read2_b64 v[148:151], v1 offset0:65 offset1:66
	ds_read2_b64 v[152:155], v1 offset0:67 offset1:68
	buffer_load_dword v166, off, s[0:3], 0 offset:84
	s_mov_b32 s4, exec_lo
	s_waitcnt vmcnt(45) lgkmcnt(1)
	v_mul_f32_e32 v164, v149, v156
	v_mul_f32_e32 v156, v148, v156
	s_waitcnt vmcnt(44)
	v_mul_f32_e32 v165, v150, v157
	v_mul_f32_e32 v157, v151, v157
	s_waitcnt vmcnt(41)
	v_fma_f32 v164, v148, v145, -v164
	v_fmac_f32_e32 v156, v149, v145
	v_fmac_f32_e32 v165, v151, v141
	v_fma_f32 v157, v150, v141, -v157
	ds_read2_b64 v[148:151], v1 offset0:69 offset1:70
	s_waitcnt vmcnt(40) lgkmcnt(1)
	v_mul_f32_e32 v167, v152, v140
	v_mul_f32_e32 v140, v153, v140
	s_waitcnt vmcnt(39)
	v_mul_f32_e32 v168, v154, v138
	v_mul_f32_e32 v138, v155, v138
	v_fmac_f32_e32 v167, v153, v127
	v_fma_f32 v127, v152, v127, -v140
	s_waitcnt vmcnt(35)
	v_fmac_f32_e32 v168, v155, v146
	v_fma_f32 v169, v154, v146, -v138
	ds_read2_b64 v[152:155], v1 offset0:71 offset1:72
	s_waitcnt vmcnt(34) lgkmcnt(1)
	v_mul_f32_e32 v170, v148, v144
	v_mul_f32_e32 v138, v149, v144
	s_waitcnt vmcnt(33)
	v_mul_f32_e32 v171, v150, v143
	v_mul_f32_e32 v140, v151, v143
	ds_read2_b64 v[143:146], v1 offset0:73 offset1:74
	v_fmac_f32_e32 v170, v149, v135
	v_fma_f32 v135, v148, v135, -v138
	v_fmac_f32_e32 v171, v151, v130
	v_fma_f32 v172, v150, v130, -v140
	ds_read2_b64 v[148:151], v1 offset0:75 offset1:76
	s_waitcnt vmcnt(32) lgkmcnt(2)
	v_mul_f32_e32 v173, v152, v134
	v_mul_f32_e32 v130, v153, v134
	s_waitcnt vmcnt(31)
	v_mul_f32_e32 v134, v154, v132
	v_mul_f32_e32 v132, v155, v132
	v_fmac_f32_e32 v173, v153, v8
	v_fma_f32 v8, v152, v8, -v130
	s_waitcnt vmcnt(27)
	v_fmac_f32_e32 v134, v155, v142
	v_fma_f32 v152, v154, v142, -v132
	s_waitcnt vmcnt(26) lgkmcnt(1)
	v_mul_f32_e32 v153, v143, v139
	v_mul_f32_e32 v130, v144, v139
	s_waitcnt vmcnt(25)
	v_mul_f32_e32 v154, v145, v137
	v_mul_f32_e32 v132, v146, v137
	ds_read2_b64 v[137:140], v1 offset0:77 offset1:78
	v_fmac_f32_e32 v153, v144, v128
	v_fma_f32 v128, v143, v128, -v130
	ds_read2_b64 v[141:144], v1 offset0:79 offset1:80
	v_fmac_f32_e32 v154, v146, v122
	v_fma_f32 v145, v145, v122, -v132
	s_waitcnt vmcnt(24) lgkmcnt(2)
	v_mul_f32_e32 v146, v148, v126
	v_mul_f32_e32 v122, v149, v126
	s_waitcnt vmcnt(23)
	v_mul_f32_e32 v126, v150, v124
	v_mul_f32_e32 v124, v151, v124
	v_fmac_f32_e32 v146, v149, v4
	v_fma_f32 v148, v148, v4, -v122
	s_waitcnt vmcnt(19)
	v_fmac_f32_e32 v126, v151, v136
	v_fma_f32 v136, v150, v136, -v124
	s_waitcnt vmcnt(18) lgkmcnt(1)
	v_mul_f32_e32 v149, v137, v133
	v_mul_f32_e32 v4, v138, v133
	s_waitcnt vmcnt(17)
	v_mul_f32_e32 v150, v139, v131
	v_mul_f32_e32 v122, v140, v131
	ds_read2_b64 v[130:133], v1 offset0:81 offset1:82
	v_fmac_f32_e32 v149, v138, v121
	v_fma_f32 v137, v137, v121, -v4
	v_fmac_f32_e32 v150, v140, v118
	v_fma_f32 v138, v139, v118, -v122
	s_waitcnt vmcnt(15) lgkmcnt(1)
	v_mul_f32_e32 v140, v143, v119
	v_mul_f32_e32 v118, v144, v119
	;; [unrolled: 1-line block ×4, first 2 shown]
	s_waitcnt vmcnt(11)
	v_fmac_f32_e32 v140, v144, v129
	v_fma_f32 v129, v143, v129, -v118
	ds_read2_b64 v[118:121], v1 offset0:83 offset1:84
	v_fmac_f32_e32 v139, v142, v3
	v_fma_f32 v141, v141, v3, -v4
	s_waitcnt vmcnt(10) lgkmcnt(1)
	v_mul_f32_e32 v142, v130, v125
	v_mul_f32_e32 v3, v131, v125
	s_waitcnt vmcnt(9)
	v_mul_f32_e32 v143, v132, v123
	v_mul_f32_e32 v4, v133, v123
	ds_read2_b64 v[122:125], v1 offset0:85 offset1:86
	v_fmac_f32_e32 v142, v131, v7
	v_fma_f32 v7, v130, v7, -v3
	v_fmac_f32_e32 v143, v133, v5
	v_fma_f32 v130, v132, v5, -v4
	buffer_load_dword v132, off, s[0:3], 0 offset:268
	s_waitcnt vmcnt(8) lgkmcnt(1)
	v_mul_f32_e32 v4, v121, v147
	v_mul_f32_e32 v131, v118, v6
	;; [unrolled: 1-line block ×4, first 2 shown]
	s_waitcnt vmcnt(4)
	v_fma_f32 v144, v120, v161, -v4
	buffer_load_dword v120, off, s[0:3], 0 offset:276
	v_fmac_f32_e32 v131, v119, v2
	v_fma_f32 v133, v118, v2, -v3
	ds_read2_b64 v[2:5], v1 offset0:87 offset1:88
	v_fmac_f32_e32 v6, v121, v161
	s_waitcnt vmcnt(4) lgkmcnt(1)
	v_mul_f32_e32 v147, v122, v162
	v_mul_f32_e32 v118, v123, v162
	s_waitcnt vmcnt(3)
	v_mul_f32_e32 v151, v124, v163
	v_mul_f32_e32 v119, v125, v163
	v_fmac_f32_e32 v147, v123, v160
	v_fma_f32 v122, v122, v160, -v118
	v_fmac_f32_e32 v151, v125, v159
	v_fma_f32 v123, v124, v159, -v119
	s_clause 0x4
	buffer_load_dword v124, off, s[0:3], 0 offset:296
	buffer_load_dword v125, off, s[0:3], 0 offset:288
	;; [unrolled: 1-line block ×5, first 2 shown]
	s_waitcnt vmcnt(6) lgkmcnt(0)
	v_mul_f32_e32 v160, v2, v132
	v_mul_f32_e32 v119, v3, v132
	v_fmac_f32_e32 v160, v3, v158
	v_fma_f32 v132, v2, v158, -v119
	s_waitcnt vmcnt(5)
	v_mul_f32_e32 v158, v4, v120
	v_mul_f32_e32 v2, v5, v120
	s_waitcnt vmcnt(1)
	v_fmac_f32_e32 v158, v5, v118
	v_fma_f32 v161, v4, v118, -v2
	ds_read2_b64 v[2:5], v1 offset0:89 offset1:90
	ds_read2_b64 v[118:121], v1 offset0:91 offset1:92
	s_waitcnt vmcnt(0) lgkmcnt(1)
	v_mul_f32_e32 v162, v2, v159
	v_mul_f32_e32 v159, v3, v159
	v_fmac_f32_e32 v162, v3, v155
	v_fma_f32 v155, v2, v155, -v159
	buffer_load_dword v2, off, s[0:3], 0 offset:292
	s_waitcnt vmcnt(0)
	v_mul_f32_e32 v159, v4, v2
	v_mul_f32_e32 v2, v5, v2
	v_fmac_f32_e32 v159, v5, v125
	v_fma_f32 v163, v4, v125, -v2
	buffer_load_dword v2, off, s[0:3], 0 offset:300
	s_waitcnt vmcnt(0) lgkmcnt(0)
	v_mul_f32_e32 v174, v118, v2
	v_mul_f32_e32 v2, v119, v2
	v_fmac_f32_e32 v174, v119, v124
	v_fma_f32 v175, v118, v124, -v2
	s_clause 0x4
	buffer_load_dword v2, off, s[0:3], 0 offset:308
	buffer_load_dword v176, off, s[0:3], 0 offset:328
	;; [unrolled: 1-line block ×5, first 2 shown]
	s_waitcnt vmcnt(4)
	v_mul_f32_e32 v177, v120, v2
	v_mul_f32_e32 v2, v121, v2
	s_waitcnt vmcnt(0)
	v_fmac_f32_e32 v177, v121, v3
	v_fma_f32 v178, v120, v3, -v2
	v_add_f32_e32 v2, 0, v164
	v_add_f32_e32 v3, 0, v156
	buffer_load_dword v156, off, s[0:3], 0 offset:324
	v_add_f32_e32 v2, v2, v157
	v_add_f32_e32 v3, v3, v165
	buffer_load_dword v157, off, s[0:3], 0 offset:340
	v_add_f32_e32 v2, v2, v127
	buffer_load_dword v127, off, s[0:3], 0 offset:316
	v_add_f32_e32 v3, v3, v167
	v_add_f32_e32 v2, v2, v169
	;; [unrolled: 1-line block ×4, first 2 shown]
	buffer_load_dword v135, off, s[0:3], 0 offset:332
	v_add_f32_e32 v3, v3, v170
	v_add_f32_e32 v2, v2, v172
	;; [unrolled: 1-line block ×4, first 2 shown]
	s_clause 0x3
	buffer_load_dword v8, off, s[0:3], 0 offset:360
	buffer_load_dword v164, off, s[0:3], 0 offset:352
	;; [unrolled: 1-line block ×4, first 2 shown]
	v_add_f32_e32 v3, v3, v173
	v_add_f32_e32 v2, v2, v152
	s_clause 0x1
	buffer_load_dword v152, off, s[0:3], 0 offset:348
	buffer_load_dword v168, off, s[0:3], 0 offset:356
	v_add_f32_e32 v3, v3, v134
	buffer_load_dword v134, off, s[0:3], 0 offset:364
	v_add_f32_e32 v2, v2, v128
	v_add_f32_e32 v3, v3, v153
	;; [unrolled: 1-line block ×3, first 2 shown]
	s_clause 0x3
	buffer_load_dword v145, off, s[0:3], 0 offset:372
	buffer_load_dword v153, off, s[0:3], 0 offset:380
	;; [unrolled: 1-line block ×4, first 2 shown]
	v_add_f32_e32 v3, v3, v154
	v_add_f32_e32 v2, v2, v148
	s_clause 0x1
	buffer_load_dword v148, off, s[0:3], 0 offset:404
	buffer_load_dword v154, off, s[0:3], 0 offset:412
	v_add_f32_e32 v3, v3, v146
	v_add_f32_e32 v2, v2, v136
	s_clause 0x1
	buffer_load_dword v136, off, s[0:3], 0 offset:420
	buffer_load_dword v146, off, s[0:3], 0 offset:428
	v_add_f32_e32 v3, v3, v126
	v_add_f32_e32 v2, v2, v137
	;; [unrolled: 1-line block ×4, first 2 shown]
	s_clause 0x3
	buffer_load_dword v137, off, s[0:3], 0 offset:392
	buffer_load_dword v138, off, s[0:3], 0 offset:384
	;; [unrolled: 1-line block ×4, first 2 shown]
	v_add_f32_e32 v3, v3, v150
	v_add_f32_e32 v2, v2, v141
	;; [unrolled: 1-line block ×3, first 2 shown]
	s_clause 0x3
	buffer_load_dword v139, off, s[0:3], 0 offset:424
	buffer_load_dword v141, off, s[0:3], 0 offset:416
	;; [unrolled: 1-line block ×4, first 2 shown]
	v_add_f32_e32 v2, v2, v129
	v_add_f32_e32 v3, v3, v140
	buffer_load_dword v140, off, s[0:3], 0 offset:80
	v_add_f32_e32 v2, v2, v7
	v_add_f32_e32 v3, v3, v142
	;; [unrolled: 1-line block ×4, first 2 shown]
	ds_read2_b64 v[2:5], v1 offset0:93 offset1:94
	v_add_f32_e32 v7, v7, v133
	v_add_f32_e32 v118, v118, v131
	;; [unrolled: 1-line block ×4, first 2 shown]
	ds_read2_b64 v[118:121], v1 offset0:95 offset1:96
	v_add_f32_e32 v7, v7, v122
	v_add_f32_e32 v6, v6, v147
	;; [unrolled: 1-line block ×8, first 2 shown]
	s_waitcnt vmcnt(27) lgkmcnt(1)
	v_mul_f32_e32 v143, v4, v156
	v_mul_f32_e32 v123, v5, v156
	v_fmac_f32_e32 v143, v5, v124
	v_fma_f32 v147, v4, v124, -v123
	s_waitcnt vmcnt(25)
	v_mul_f32_e32 v142, v2, v127
	v_mul_f32_e32 v122, v3, v127
	v_fmac_f32_e32 v142, v3, v125
	v_add_f32_e32 v3, v7, v132
	v_fma_f32 v144, v2, v125, -v122
	s_waitcnt vmcnt(24) lgkmcnt(0)
	v_mul_f32_e32 v151, v118, v135
	v_add_f32_e32 v7, v3, v161
	ds_read2_b64 v[2:5], v1 offset0:97 offset1:98
	ds_read2_b64 v[122:125], v1 offset0:99 offset1:100
	v_mul_f32_e32 v130, v119, v135
	v_mul_f32_e32 v135, v120, v157
	v_fmac_f32_e32 v151, v119, v176
	v_add_f32_e32 v7, v7, v155
	v_mul_f32_e32 v155, v121, v157
	v_add_f32_e32 v157, v6, v174
	v_fma_f32 v156, v118, v176, -v130
	ds_read2_b64 v[126:129], v1 offset0:101 offset1:102
	ds_read2_b64 v[130:133], v1 offset0:103 offset1:104
	v_add_f32_e32 v7, v7, v163
	v_add_f32_e32 v157, v157, v177
	s_waitcnt vmcnt(20)
	v_fma_f32 v155, v120, v167, -v155
	v_fmac_f32_e32 v135, v121, v167
	v_add_f32_e32 v7, v7, v175
	v_add_f32_e32 v142, v157, v142
	s_waitcnt vmcnt(19) lgkmcnt(3)
	v_mul_f32_e32 v159, v2, v152
	v_add_f32_e32 v158, v7, v178
	v_add_f32_e32 v142, v142, v143
	v_mul_f32_e32 v152, v3, v152
	s_waitcnt vmcnt(18)
	v_mul_f32_e32 v160, v4, v168
	v_fmac_f32_e32 v159, v3, v165
	v_add_f32_e32 v144, v158, v144
	v_add_f32_e32 v142, v142, v151
	v_mul_f32_e32 v158, v5, v168
	v_fma_f32 v2, v2, v165, -v152
	s_waitcnt vmcnt(17) lgkmcnt(2)
	v_mul_f32_e32 v157, v122, v134
	v_add_f32_e32 v144, v144, v147
	v_add_f32_e32 v135, v142, v135
	v_mul_f32_e32 v134, v123, v134
	v_fma_f32 v4, v4, v164, -v158
	v_fmac_f32_e32 v160, v5, v164
	v_add_f32_e32 v144, v144, v156
	v_add_f32_e32 v5, v135, v159
	s_waitcnt vmcnt(16)
	v_mul_f32_e32 v135, v125, v145
	v_fmac_f32_e32 v157, v123, v8
	v_fma_f32 v8, v122, v8, -v134
	v_add_f32_e32 v144, v144, v155
	v_mul_f32_e32 v147, v124, v145
	ds_read2_b64 v[118:121], v1 offset0:105 offset1:106
	ds_read_b64 v[6:7], v1 offset:856
	s_waitcnt vmcnt(5)
	v_fma_f32 v122, v124, v171, -v135
	s_waitcnt lgkmcnt(3)
	v_mul_f32_e32 v161, v126, v153
	v_add_f32_e32 v2, v144, v2
	v_fmac_f32_e32 v147, v125, v171
	v_mul_f32_e32 v143, v128, v169
	s_waitcnt lgkmcnt(2)
	v_mul_f32_e32 v156, v130, v170
	v_fmac_f32_e32 v161, v127, v149
	v_add_f32_e32 v2, v2, v4
	v_add_f32_e32 v4, v5, v160
	v_mul_f32_e32 v5, v127, v153
	v_fmac_f32_e32 v143, v129, v138
	v_mul_f32_e32 v3, v132, v148
	v_add_f32_e32 v2, v2, v8
	v_add_f32_e32 v4, v4, v157
	v_mul_f32_e32 v8, v129, v169
	v_fma_f32 v5, v126, v149, -v5
	v_fmac_f32_e32 v156, v131, v137
	v_add_f32_e32 v2, v2, v122
	v_add_f32_e32 v4, v4, v147
	v_mul_f32_e32 v122, v131, v170
	v_fma_f32 v8, v128, v138, -v8
	s_waitcnt lgkmcnt(1)
	v_mul_f32_e32 v151, v118, v154
	v_add_f32_e32 v2, v2, v5
	v_add_f32_e32 v4, v4, v161
	v_mul_f32_e32 v5, v133, v148
	v_fma_f32 v122, v130, v137, -v122
	s_waitcnt vmcnt(1)
	v_fmac_f32_e32 v3, v133, v172
	v_add_f32_e32 v2, v2, v8
	v_add_f32_e32 v4, v4, v143
	v_mul_f32_e32 v8, v119, v154
	v_fma_f32 v5, v132, v172, -v5
	v_mul_f32_e32 v152, v120, v136
	v_add_f32_e32 v2, v2, v122
	v_add_f32_e32 v4, v4, v156
	v_mul_f32_e32 v122, v121, v136
	v_fma_f32 v8, v118, v150, -v8
	v_fmac_f32_e32 v151, v119, v150
	v_add_f32_e32 v2, v2, v5
	v_add_f32_e32 v3, v4, v3
	s_waitcnt lgkmcnt(0)
	v_mul_f32_e32 v4, v7, v146
	v_fma_f32 v5, v120, v141, -v122
	v_mul_f32_e32 v142, v6, v146
	v_add_f32_e32 v2, v2, v8
	v_fmac_f32_e32 v152, v121, v141
	v_add_f32_e32 v3, v3, v151
	v_fma_f32 v4, v6, v139, -v4
	v_fmac_f32_e32 v142, v7, v139
	v_add_f32_e32 v2, v2, v5
	v_add_f32_e32 v3, v3, v152
	;; [unrolled: 1-line block ×4, first 2 shown]
	s_waitcnt vmcnt(0)
	v_sub_f32_e32 v2, v140, v2
	v_sub_f32_e32 v3, v166, v3
	buffer_store_dword v2, off, s[0:3], 0 offset:80
	buffer_store_dword v3, off, s[0:3], 0 offset:84
	v_cmpx_lt_u32_e32 9, v0
	s_cbranch_execz .LBB53_319
; %bb.318:
	s_clause 0x1
	buffer_load_dword v2, off, s[0:3], 0 offset:72
	buffer_load_dword v3, off, s[0:3], 0 offset:76
	buffer_store_dword v1, off, s[0:3], 0 offset:72
	buffer_store_dword v1, off, s[0:3], 0 offset:76
	s_waitcnt vmcnt(0)
	ds_write_b64 v117, v[2:3]
.LBB53_319:
	s_or_b32 exec_lo, exec_lo, s4
	s_waitcnt lgkmcnt(0)
	s_waitcnt_vscnt null, 0x0
	s_barrier
	buffer_gl0_inv
	s_clause 0x2c
	buffer_load_dword v156, off, s[0:3], 0 offset:84
	buffer_load_dword v157, off, s[0:3], 0 offset:92
	;; [unrolled: 1-line block ×45, first 2 shown]
	ds_read_b128 v[148:151], v1 offset:512
	ds_read_b128 v[152:155], v1 offset:528
	buffer_load_dword v166, off, s[0:3], 0 offset:76
	s_mov_b32 s4, exec_lo
	s_waitcnt vmcnt(45) lgkmcnt(1)
	v_mul_f32_e32 v164, v149, v156
	v_mul_f32_e32 v156, v148, v156
	s_waitcnt vmcnt(44)
	v_mul_f32_e32 v165, v150, v157
	v_mul_f32_e32 v157, v151, v157
	s_waitcnt vmcnt(41)
	v_fma_f32 v164, v148, v146, -v164
	v_fmac_f32_e32 v156, v149, v146
	v_fmac_f32_e32 v165, v151, v142
	v_fma_f32 v157, v150, v142, -v157
	ds_read_b128 v[148:151], v1 offset:544
	s_waitcnt vmcnt(40) lgkmcnt(1)
	v_mul_f32_e32 v167, v152, v141
	v_mul_f32_e32 v141, v153, v141
	s_waitcnt vmcnt(39)
	v_mul_f32_e32 v168, v154, v139
	v_mul_f32_e32 v139, v155, v139
	v_fmac_f32_e32 v167, v153, v128
	v_fma_f32 v128, v152, v128, -v141
	s_waitcnt vmcnt(35)
	v_fmac_f32_e32 v168, v155, v147
	v_fma_f32 v169, v154, v147, -v139
	ds_read_b128 v[152:155], v1 offset:560
	s_waitcnt vmcnt(34) lgkmcnt(1)
	v_mul_f32_e32 v170, v148, v145
	v_mul_f32_e32 v139, v149, v145
	s_waitcnt vmcnt(33)
	v_mul_f32_e32 v171, v150, v144
	v_mul_f32_e32 v141, v151, v144
	ds_read_b128 v[144:147], v1 offset:576
	v_fmac_f32_e32 v170, v149, v136
	v_fma_f32 v136, v148, v136, -v139
	v_fmac_f32_e32 v171, v151, v131
	v_fma_f32 v172, v150, v131, -v141
	ds_read_b128 v[148:151], v1 offset:592
	s_waitcnt vmcnt(32) lgkmcnt(2)
	v_mul_f32_e32 v173, v152, v135
	v_mul_f32_e32 v131, v153, v135
	s_waitcnt vmcnt(31)
	v_mul_f32_e32 v135, v154, v133
	v_mul_f32_e32 v133, v155, v133
	v_fmac_f32_e32 v173, v153, v118
	v_fma_f32 v152, v152, v118, -v131
	s_waitcnt vmcnt(27)
	v_fmac_f32_e32 v135, v155, v143
	v_fma_f32 v153, v154, v143, -v133
	s_waitcnt vmcnt(26) lgkmcnt(1)
	v_mul_f32_e32 v154, v144, v140
	v_mul_f32_e32 v118, v145, v140
	s_waitcnt vmcnt(25)
	v_mul_f32_e32 v155, v146, v138
	v_mul_f32_e32 v131, v147, v138
	ds_read_b128 v[138:141], v1 offset:608
	v_fmac_f32_e32 v154, v145, v129
	v_fma_f32 v129, v144, v129, -v118
	ds_read_b128 v[142:145], v1 offset:624
	v_fmac_f32_e32 v155, v147, v123
	v_fma_f32 v146, v146, v123, -v131
	s_waitcnt vmcnt(24) lgkmcnt(2)
	v_mul_f32_e32 v147, v148, v127
	v_mul_f32_e32 v118, v149, v127
	s_waitcnt vmcnt(23)
	v_mul_f32_e32 v127, v150, v125
	v_mul_f32_e32 v123, v151, v125
	v_fmac_f32_e32 v147, v149, v4
	v_fma_f32 v148, v148, v4, -v118
	s_waitcnt vmcnt(19)
	v_fmac_f32_e32 v127, v151, v137
	v_fma_f32 v137, v150, v137, -v123
	s_waitcnt vmcnt(18) lgkmcnt(1)
	v_mul_f32_e32 v149, v138, v134
	v_mul_f32_e32 v4, v139, v134
	s_waitcnt vmcnt(17)
	v_mul_f32_e32 v150, v140, v132
	v_mul_f32_e32 v118, v141, v132
	ds_read_b128 v[131:134], v1 offset:640
	v_fmac_f32_e32 v149, v139, v122
	v_fma_f32 v138, v138, v122, -v4
	v_fmac_f32_e32 v150, v141, v119
	v_fma_f32 v139, v140, v119, -v118
	s_waitcnt vmcnt(15) lgkmcnt(1)
	v_mul_f32_e32 v141, v144, v120
	v_mul_f32_e32 v118, v145, v120
	;; [unrolled: 1-line block ×4, first 2 shown]
	s_waitcnt vmcnt(11)
	v_fmac_f32_e32 v141, v145, v130
	v_fma_f32 v130, v144, v130, -v118
	ds_read_b128 v[118:121], v1 offset:656
	v_fmac_f32_e32 v140, v143, v3
	v_fma_f32 v142, v142, v3, -v4
	s_waitcnt vmcnt(10) lgkmcnt(1)
	v_mul_f32_e32 v143, v131, v126
	v_mul_f32_e32 v3, v132, v126
	s_waitcnt vmcnt(9)
	v_mul_f32_e32 v126, v133, v124
	v_mul_f32_e32 v4, v134, v124
	ds_read_b128 v[122:125], v1 offset:672
	v_fmac_f32_e32 v143, v132, v8
	v_fma_f32 v8, v131, v8, -v3
	v_fmac_f32_e32 v126, v134, v5
	v_fma_f32 v131, v133, v5, -v4
	s_waitcnt vmcnt(8) lgkmcnt(1)
	v_mul_f32_e32 v132, v118, v7
	v_mul_f32_e32 v3, v119, v7
	s_waitcnt vmcnt(7)
	v_mul_f32_e32 v7, v120, v6
	v_mul_f32_e32 v4, v121, v6
	buffer_load_dword v6, off, s[0:3], 0 offset:260
	v_fmac_f32_e32 v132, v119, v2
	v_fma_f32 v133, v118, v2, -v3
	s_waitcnt vmcnt(4)
	v_fmac_f32_e32 v7, v121, v161
	v_fma_f32 v134, v120, v161, -v4
	buffer_load_dword v120, off, s[0:3], 0 offset:268
	ds_read_b128 v[2:5], v1 offset:688
	s_waitcnt vmcnt(4) lgkmcnt(1)
	v_mul_f32_e32 v144, v122, v162
	v_mul_f32_e32 v118, v123, v162
	s_waitcnt vmcnt(3)
	v_mul_f32_e32 v145, v124, v163
	v_mul_f32_e32 v119, v125, v163
	v_fmac_f32_e32 v144, v123, v160
	v_fma_f32 v122, v122, v160, -v118
	v_fmac_f32_e32 v145, v125, v159
	v_fma_f32 v123, v124, v159, -v119
	s_clause 0x4
	buffer_load_dword v124, off, s[0:3], 0 offset:288
	buffer_load_dword v125, off, s[0:3], 0 offset:280
	;; [unrolled: 1-line block ×5, first 2 shown]
	s_waitcnt vmcnt(6) lgkmcnt(0)
	v_mul_f32_e32 v160, v2, v6
	v_mul_f32_e32 v6, v3, v6
	v_fmac_f32_e32 v160, v3, v158
	v_fma_f32 v6, v2, v158, -v6
	s_waitcnt vmcnt(5)
	v_mul_f32_e32 v158, v4, v120
	v_mul_f32_e32 v2, v5, v120
	s_waitcnt vmcnt(1)
	v_fmac_f32_e32 v158, v5, v118
	v_fma_f32 v161, v4, v118, -v2
	ds_read_b128 v[2:5], v1 offset:704
	ds_read_b128 v[118:121], v1 offset:720
	s_waitcnt vmcnt(0) lgkmcnt(1)
	v_mul_f32_e32 v162, v2, v159
	v_mul_f32_e32 v159, v3, v159
	v_fmac_f32_e32 v162, v3, v151
	v_fma_f32 v151, v2, v151, -v159
	s_clause 0x1
	buffer_load_dword v2, off, s[0:3], 0 offset:284
	buffer_load_dword v3, off, s[0:3], 0 offset:292
	s_waitcnt vmcnt(1)
	v_mul_f32_e32 v159, v4, v2
	v_mul_f32_e32 v2, v5, v2
	v_fmac_f32_e32 v159, v5, v125
	v_fma_f32 v163, v4, v125, -v2
	v_add_f32_e32 v2, 0, v164
	buffer_load_dword v5, off, s[0:3], 0 offset:300
	v_add_f32_e32 v4, 0, v156
	v_add_f32_e32 v2, v2, v157
	;; [unrolled: 1-line block ×4, first 2 shown]
	s_clause 0x3
	buffer_load_dword v128, off, s[0:3], 0 offset:320
	buffer_load_dword v125, off, s[0:3], 0 offset:312
	;; [unrolled: 1-line block ×4, first 2 shown]
	v_add_f32_e32 v4, v4, v167
	s_clause 0x1
	buffer_load_dword v164, off, s[0:3], 0 offset:316
	buffer_load_dword v165, off, s[0:3], 0 offset:324
	v_add_f32_e32 v2, v2, v169
	s_waitcnt vmcnt(7) lgkmcnt(0)
	v_mul_f32_e32 v167, v118, v3
	v_add_f32_e32 v4, v4, v168
	v_mul_f32_e32 v3, v119, v3
	v_add_f32_e32 v2, v2, v136
	buffer_load_dword v136, off, s[0:3], 0 offset:308
	v_add_f32_e32 v4, v4, v170
	v_fma_f32 v168, v118, v124, -v3
	v_fmac_f32_e32 v167, v119, v124
	v_add_f32_e32 v2, v2, v172
	v_add_f32_e32 v4, v4, v171
	;; [unrolled: 1-line block ×3, first 2 shown]
	buffer_load_dword v152, off, s[0:3], 0 offset:332
	v_add_f32_e32 v4, v4, v173
	v_add_f32_e32 v2, v2, v153
	;; [unrolled: 1-line block ×3, first 2 shown]
	s_clause 0x5
	buffer_load_dword v153, off, s[0:3], 0 offset:352
	buffer_load_dword v169, off, s[0:3], 0 offset:344
	;; [unrolled: 1-line block ×6, first 2 shown]
	v_add_f32_e32 v2, v2, v129
	v_add_f32_e32 v3, v3, v154
	;; [unrolled: 1-line block ×4, first 2 shown]
	s_clause 0x1
	buffer_load_dword v146, off, s[0:3], 0 offset:348
	buffer_load_dword v155, off, s[0:3], 0 offset:356
	v_add_f32_e32 v2, v2, v148
	v_add_f32_e32 v3, v3, v147
	s_clause 0x6
	buffer_load_dword v147, off, s[0:3], 0 offset:372
	buffer_load_dword v148, off, s[0:3], 0 offset:380
	;; [unrolled: 1-line block ×7, first 2 shown]
	v_add_f32_e32 v2, v2, v137
	v_add_f32_e32 v3, v3, v127
	;; [unrolled: 1-line block ×4, first 2 shown]
	buffer_load_dword v138, off, s[0:3], 0 offset:428
	v_add_f32_e32 v2, v2, v139
	v_add_f32_e32 v3, v3, v150
	s_clause 0x3
	buffer_load_dword v139, off, s[0:3], 0 offset:384
	buffer_load_dword v149, off, s[0:3], 0 offset:376
	;; [unrolled: 1-line block ×4, first 2 shown]
	v_add_f32_e32 v2, v2, v142
	v_add_f32_e32 v3, v3, v140
	;; [unrolled: 1-line block ×4, first 2 shown]
	s_clause 0x3
	buffer_load_dword v140, off, s[0:3], 0 offset:416
	buffer_load_dword v141, off, s[0:3], 0 offset:408
	;; [unrolled: 1-line block ×4, first 2 shown]
	v_add_f32_e32 v2, v2, v8
	buffer_load_dword v8, off, s[0:3], 0 offset:424
	v_add_f32_e32 v3, v3, v143
	buffer_load_dword v143, off, s[0:3], 0 offset:72
	v_add_f32_e32 v2, v2, v131
	v_add_f32_e32 v3, v3, v126
	;; [unrolled: 1-line block ×20, first 2 shown]
	s_waitcnt vmcnt(34)
	v_mul_f32_e32 v154, v120, v5
	v_mul_f32_e32 v4, v121, v5
	s_waitcnt vmcnt(30)
	v_fmac_f32_e32 v154, v121, v157
	v_fma_f32 v157, v120, v157, -v4
	ds_read_b128 v[2:5], v1 offset:736
	ds_read_b128 v[118:121], v1 offset:752
	v_add_f32_e32 v7, v7, v154
	v_add_f32_e32 v6, v6, v157
	s_waitcnt vmcnt(27) lgkmcnt(1)
	v_mul_f32_e32 v144, v2, v136
	v_mul_f32_e32 v123, v3, v136
	;; [unrolled: 1-line block ×4, first 2 shown]
	s_waitcnt lgkmcnt(0)
	v_mul_f32_e32 v160, v118, v165
	v_fmac_f32_e32 v144, v3, v156
	v_fma_f32 v134, v2, v156, -v123
	v_fmac_f32_e32 v145, v5, v125
	v_fma_f32 v156, v4, v125, -v124
	ds_read_b128 v[2:5], v1 offset:768
	ds_read_b128 v[122:125], v1 offset:784
	v_mul_f32_e32 v126, v119, v165
	s_waitcnt vmcnt(26)
	v_mul_f32_e32 v151, v120, v152
	v_mul_f32_e32 v127, v121, v152
	v_fmac_f32_e32 v160, v119, v128
	v_fma_f32 v152, v118, v128, -v126
	s_waitcnt vmcnt(22)
	v_fmac_f32_e32 v151, v121, v170
	v_fma_f32 v158, v120, v170, -v127
	ds_read_b128 v[118:121], v1 offset:800
	ds_read_b128 v[126:129], v1 offset:816
	;; [unrolled: 1-line block ×3, first 2 shown]
	s_waitcnt vmcnt(21) lgkmcnt(4)
	v_mul_f32_e32 v159, v2, v171
	v_mul_f32_e32 v136, v3, v171
	v_fmac_f32_e32 v159, v3, v135
	v_add_f32_e32 v3, v6, v134
	v_fma_f32 v2, v2, v135, -v136
	ds_read_b128 v[134:137], v1 offset:848
	v_add_f32_e32 v1, v7, v144
	s_waitcnt vmcnt(19)
	v_mul_f32_e32 v7, v5, v146
	v_add_f32_e32 v3, v3, v156
	v_mul_f32_e32 v6, v4, v146
	s_waitcnt vmcnt(18) lgkmcnt(4)
	v_mul_f32_e32 v146, v123, v155
	v_add_f32_e32 v1, v1, v145
	v_fma_f32 v4, v4, v169, -v7
	v_add_f32_e32 v3, v3, v152
	v_mul_f32_e32 v144, v122, v155
	v_fmac_f32_e32 v6, v5, v169
	v_add_f32_e32 v1, v1, v160
	v_fma_f32 v122, v122, v153, -v146
	v_add_f32_e32 v3, v3, v158
	v_mul_f32_e32 v145, v124, v172
	v_fmac_f32_e32 v144, v123, v153
	v_add_f32_e32 v1, v1, v151
	v_mul_f32_e32 v151, v125, v172
	v_add_f32_e32 v2, v3, v2
	s_waitcnt vmcnt(17) lgkmcnt(3)
	v_mul_f32_e32 v5, v118, v147
	s_waitcnt vmcnt(6)
	v_fmac_f32_e32 v145, v125, v178
	v_add_f32_e32 v1, v1, v159
	v_mul_f32_e32 v7, v120, v148
	v_add_f32_e32 v2, v2, v4
	v_mul_f32_e32 v4, v119, v147
	v_fmac_f32_e32 v5, v119, v150
	v_add_f32_e32 v1, v1, v6
	v_fma_f32 v6, v124, v178, -v151
	v_add_f32_e32 v2, v2, v122
	v_mul_f32_e32 v122, v121, v148
	v_fma_f32 v4, v118, v150, -v4
	v_add_f32_e32 v1, v1, v144
	s_waitcnt lgkmcnt(2)
	v_mul_f32_e32 v152, v126, v173
	v_add_f32_e32 v2, v2, v6
	v_mul_f32_e32 v6, v127, v173
	v_fma_f32 v118, v120, v149, -v122
	v_add_f32_e32 v1, v1, v145
	v_fmac_f32_e32 v7, v121, v149
	v_add_f32_e32 v2, v2, v4
	v_mul_f32_e32 v4, v129, v174
	v_mul_f32_e32 v154, v128, v174
	v_add_f32_e32 v1, v1, v5
	v_fma_f32 v5, v126, v139, -v6
	v_add_f32_e32 v2, v2, v118
	v_fmac_f32_e32 v152, v127, v139
	s_waitcnt lgkmcnt(1)
	v_mul_f32_e32 v6, v131, v175
	v_add_f32_e32 v1, v1, v7
	s_waitcnt vmcnt(2)
	v_fma_f32 v4, v128, v179, -v4
	v_add_f32_e32 v2, v2, v5
	v_mul_f32_e32 v155, v130, v175
	v_fmac_f32_e32 v154, v129, v179
	v_add_f32_e32 v1, v1, v152
	v_mul_f32_e32 v5, v133, v176
	v_fma_f32 v6, v130, v142, -v6
	v_add_f32_e32 v2, v2, v4
	v_mul_f32_e32 v156, v132, v176
	v_fmac_f32_e32 v155, v131, v142
	v_add_f32_e32 v1, v1, v154
	s_waitcnt lgkmcnt(0)
	v_mul_f32_e32 v4, v135, v177
	v_fma_f32 v5, v132, v141, -v5
	v_add_f32_e32 v2, v2, v6
	v_mul_f32_e32 v157, v134, v177
	v_fmac_f32_e32 v156, v133, v141
	v_add_f32_e32 v1, v1, v155
	v_mul_f32_e32 v6, v137, v138
	v_fma_f32 v4, v134, v140, -v4
	v_add_f32_e32 v2, v2, v5
	v_mul_f32_e32 v3, v136, v138
	v_fmac_f32_e32 v157, v135, v140
	v_add_f32_e32 v1, v1, v156
	s_waitcnt vmcnt(1)
	v_fma_f32 v5, v136, v8, -v6
	v_add_f32_e32 v2, v2, v4
	v_fmac_f32_e32 v3, v137, v8
	v_add_f32_e32 v1, v1, v157
	v_add_f32_e32 v2, v2, v5
	v_add_f32_e32 v1, v1, v3
	s_waitcnt vmcnt(0)
	v_sub_f32_e32 v2, v143, v2
	v_sub_f32_e32 v1, v166, v1
	buffer_store_dword v2, off, s[0:3], 0 offset:72
	buffer_store_dword v1, off, s[0:3], 0 offset:76
	v_cmpx_lt_u32_e32 8, v0
	s_cbranch_execz .LBB53_321
; %bb.320:
	s_clause 0x1
	buffer_load_dword v1, off, s[0:3], 0 offset:64
	buffer_load_dword v2, off, s[0:3], 0 offset:68
	v_mov_b32_e32 v3, 0
	buffer_store_dword v3, off, s[0:3], 0 offset:64
	buffer_store_dword v3, off, s[0:3], 0 offset:68
	s_waitcnt vmcnt(0)
	ds_write_b64 v117, v[1:2]
.LBB53_321:
	s_or_b32 exec_lo, exec_lo, s4
	s_waitcnt lgkmcnt(0)
	s_waitcnt_vscnt null, 0x0
	s_barrier
	buffer_gl0_inv
	s_clause 0x2c
	buffer_load_dword v148, off, s[0:3], 0 offset:76
	buffer_load_dword v149, off, s[0:3], 0 offset:84
	;; [unrolled: 1-line block ×45, first 2 shown]
	v_mov_b32_e32 v1, 0
	ds_read2_b64 v[154:157], v1 offset0:63 offset1:64
	ds_read2_b64 v[158:161], v1 offset0:65 offset1:66
	buffer_load_dword v166, off, s[0:3], 0 offset:68
	s_mov_b32 s4, exec_lo
	s_waitcnt vmcnt(45) lgkmcnt(1)
	v_mul_f32_e32 v152, v154, v148
	v_mul_f32_e32 v165, v155, v148
	s_waitcnt vmcnt(44)
	v_mul_f32_e32 v148, v156, v149
	v_mul_f32_e32 v149, v157, v149
	s_waitcnt vmcnt(41)
	v_fmac_f32_e32 v152, v155, v119
	v_fma_f32 v165, v154, v119, -v165
	v_fmac_f32_e32 v148, v157, v7
	v_fma_f32 v149, v156, v7, -v149
	ds_read2_b64 v[154:157], v1 offset0:67 offset1:68
	s_waitcnt vmcnt(40) lgkmcnt(1)
	v_mul_f32_e32 v167, v158, v4
	s_waitcnt vmcnt(39)
	v_mul_f32_e32 v168, v160, v5
	v_mul_f32_e32 v4, v159, v4
	;; [unrolled: 1-line block ×3, first 2 shown]
	v_fmac_f32_e32 v167, v159, v2
	s_waitcnt vmcnt(35)
	v_fmac_f32_e32 v168, v161, v122
	v_fma_f32 v169, v158, v2, -v4
	v_fma_f32 v122, v160, v122, -v5
	ds_read2_b64 v[158:161], v1 offset0:69 offset1:70
	s_waitcnt vmcnt(34) lgkmcnt(1)
	v_mul_f32_e32 v170, v154, v121
	s_waitcnt vmcnt(33)
	v_mul_f32_e32 v171, v156, v120
	v_mul_f32_e32 v4, v157, v120
	;; [unrolled: 1-line block ×3, first 2 shown]
	v_fmac_f32_e32 v170, v155, v118
	v_fmac_f32_e32 v171, v157, v6
	v_fma_f32 v155, v156, v6, -v4
	ds_read2_b64 v[4:7], v1 offset0:71 offset1:72
	v_fma_f32 v154, v154, v118, -v2
	s_waitcnt vmcnt(32) lgkmcnt(1)
	v_mul_f32_e32 v156, v158, v8
	v_mul_f32_e32 v2, v159, v8
	s_waitcnt vmcnt(31)
	v_mul_f32_e32 v8, v160, v123
	v_mul_f32_e32 v118, v161, v123
	v_fmac_f32_e32 v156, v159, v3
	v_fma_f32 v123, v158, v3, -v2
	s_waitcnt vmcnt(27)
	v_fmac_f32_e32 v8, v161, v131
	v_fma_f32 v131, v160, v131, -v118
	ds_read2_b64 v[118:121], v1 offset0:73 offset1:74
	buffer_load_dword v161, off, s[0:3], 0 offset:260
	s_waitcnt vmcnt(27) lgkmcnt(1)
	v_mul_f32_e32 v157, v4, v129
	v_mul_f32_e32 v2, v5, v129
	s_waitcnt vmcnt(26)
	v_mul_f32_e32 v3, v7, v128
	v_mul_f32_e32 v129, v6, v128
	v_fmac_f32_e32 v157, v5, v127
	v_fma_f32 v127, v4, v127, -v2
	v_fma_f32 v6, v6, v125, -v3
	ds_read2_b64 v[2:5], v1 offset0:75 offset1:76
	v_fmac_f32_e32 v129, v7, v125
	s_waitcnt vmcnt(25) lgkmcnt(1)
	v_mul_f32_e32 v7, v118, v126
	v_mul_f32_e32 v125, v119, v126
	s_waitcnt vmcnt(24)
	v_mul_f32_e32 v126, v120, v130
	v_mul_f32_e32 v128, v121, v130
	v_fmac_f32_e32 v7, v119, v124
	v_fma_f32 v124, v118, v124, -v125
	s_waitcnt vmcnt(20)
	v_fmac_f32_e32 v126, v121, v139
	v_fma_f32 v125, v120, v139, -v128
	ds_read2_b64 v[118:121], v1 offset0:77 offset1:78
	s_waitcnt vmcnt(19) lgkmcnt(1)
	v_mul_f32_e32 v128, v2, v137
	v_mul_f32_e32 v130, v3, v137
	s_waitcnt vmcnt(18)
	v_mul_f32_e32 v137, v4, v136
	v_mul_f32_e32 v136, v5, v136
	v_fmac_f32_e32 v128, v3, v135
	v_fma_f32 v130, v2, v135, -v130
	v_fmac_f32_e32 v137, v5, v133
	v_fma_f32 v133, v4, v133, -v136
	ds_read2_b64 v[2:5], v1 offset0:79 offset1:80
	s_waitcnt vmcnt(17) lgkmcnt(1)
	v_mul_f32_e32 v135, v118, v134
	v_mul_f32_e32 v134, v119, v134
	s_waitcnt vmcnt(16)
	v_mul_f32_e32 v136, v120, v138
	v_mul_f32_e32 v138, v121, v138
	v_fmac_f32_e32 v135, v119, v132
	v_fma_f32 v132, v118, v132, -v134
	s_waitcnt vmcnt(12)
	v_fmac_f32_e32 v136, v121, v147
	v_fma_f32 v134, v120, v147, -v138
	ds_read2_b64 v[118:121], v1 offset0:81 offset1:82
	s_waitcnt vmcnt(11) lgkmcnt(1)
	v_mul_f32_e32 v138, v2, v145
	v_mul_f32_e32 v139, v3, v145
	s_waitcnt vmcnt(10)
	v_mul_f32_e32 v145, v4, v144
	v_mul_f32_e32 v144, v5, v144
	v_fmac_f32_e32 v138, v3, v143
	v_fma_f32 v139, v2, v143, -v139
	buffer_load_dword v143, off, s[0:3], 0 offset:252
	v_fmac_f32_e32 v145, v5, v141
	v_fma_f32 v141, v4, v141, -v144
	ds_read2_b64 v[2:5], v1 offset0:83 offset1:84
	s_waitcnt vmcnt(10) lgkmcnt(1)
	v_mul_f32_e32 v144, v118, v142
	v_mul_f32_e32 v142, v119, v142
	s_waitcnt vmcnt(9)
	v_mul_f32_e32 v147, v120, v146
	v_mul_f32_e32 v146, v121, v146
	v_fmac_f32_e32 v144, v119, v140
	v_fma_f32 v140, v118, v140, -v142
	s_waitcnt vmcnt(5)
	v_fmac_f32_e32 v147, v121, v162
	v_fma_f32 v142, v120, v162, -v146
	ds_read2_b64 v[118:121], v1 offset0:85 offset1:86
	s_waitcnt vmcnt(4) lgkmcnt(1)
	v_mul_f32_e32 v146, v2, v163
	v_mul_f32_e32 v158, v3, v163
	s_waitcnt vmcnt(3)
	v_mul_f32_e32 v159, v4, v164
	v_mul_f32_e32 v160, v5, v164
	v_fmac_f32_e32 v146, v3, v153
	v_fma_f32 v153, v2, v153, -v158
	v_fmac_f32_e32 v159, v5, v151
	v_fma_f32 v151, v4, v151, -v160
	s_clause 0x5
	buffer_load_dword v158, off, s[0:3], 0 offset:280
	buffer_load_dword v160, off, s[0:3], 0 offset:272
	;; [unrolled: 1-line block ×6, first 2 shown]
	v_add_f32_e32 v2, 0, v152
	v_add_f32_e32 v3, 0, v165
	;; [unrolled: 1-line block ×3, first 2 shown]
	buffer_load_dword v148, off, s[0:3], 0 offset:284
	v_add_f32_e32 v3, v3, v149
	buffer_load_dword v149, off, s[0:3], 0 offset:292
	v_add_f32_e32 v2, v2, v167
	v_add_f32_e32 v3, v3, v169
	;; [unrolled: 1-line block ×4, first 2 shown]
	s_clause 0x4
	buffer_load_dword v152, off, s[0:3], 0 offset:312
	buffer_load_dword v122, off, s[0:3], 0 offset:304
	;; [unrolled: 1-line block ×5, first 2 shown]
	v_add_f32_e32 v2, v2, v170
	v_add_f32_e32 v3, v3, v154
	;; [unrolled: 1-line block ×3, first 2 shown]
	s_waitcnt vmcnt(13) lgkmcnt(0)
	v_mul_f32_e32 v4, v119, v143
	v_mul_f32_e32 v154, v118, v143
	v_fma_f32 v143, v118, v150, -v4
	v_add_f32_e32 v118, v3, v155
	v_fmac_f32_e32 v154, v119, v150
	v_add_f32_e32 v119, v2, v156
	ds_read2_b64 v[2:5], v1 offset0:87 offset1:88
	v_mul_f32_e32 v150, v120, v161
	v_add_f32_e32 v118, v118, v123
	s_clause 0x1
	buffer_load_dword v123, off, s[0:3], 0 offset:308
	buffer_load_dword v155, off, s[0:3], 0 offset:324
	v_add_f32_e32 v8, v119, v8
	v_mul_f32_e32 v119, v121, v161
	v_add_f32_e32 v118, v118, v131
	buffer_load_dword v131, off, s[0:3], 0 offset:316
	v_add_f32_e32 v8, v8, v157
	v_add_f32_e32 v127, v118, v127
	;; [unrolled: 1-line block ×5, first 2 shown]
	s_waitcnt vmcnt(12)
	v_fmac_f32_e32 v150, v121, v163
	v_fma_f32 v156, v120, v163, -v119
	ds_read2_b64 v[118:121], v1 offset0:89 offset1:90
	s_waitcnt vmcnt(11) lgkmcnt(1)
	v_mul_f32_e32 v129, v2, v164
	v_mul_f32_e32 v157, v3, v164
	s_clause 0x3
	buffer_load_dword v8, off, s[0:3], 0 offset:344
	buffer_load_dword v161, off, s[0:3], 0 offset:336
	;; [unrolled: 1-line block ×4, first 2 shown]
	v_fmac_f32_e32 v129, v3, v162
	v_fma_f32 v157, v2, v162, -v157
	v_add_f32_e32 v2, v6, v124
	s_clause 0x1
	buffer_load_dword v6, off, s[0:3], 0 offset:332
	buffer_load_dword v162, off, s[0:3], 0 offset:340
	v_add_f32_e32 v3, v7, v126
	s_waitcnt vmcnt(16)
	v_mul_f32_e32 v124, v5, v172
	buffer_load_dword v164, off, s[0:3], 0 offset:348
	v_add_f32_e32 v2, v2, v125
	v_mul_f32_e32 v7, v4, v172
	v_add_f32_e32 v3, v3, v128
	v_fma_f32 v126, v4, v160, -v124
	v_add_f32_e32 v124, v2, v130
	v_fmac_f32_e32 v7, v5, v160
	v_add_f32_e32 v125, v3, v137
	s_waitcnt vmcnt(16) lgkmcnt(0)
	v_mul_f32_e32 v128, v119, v148
	v_mul_f32_e32 v130, v118, v148
	v_add_f32_e32 v124, v124, v133
	s_clause 0x3
	buffer_load_dword v160, off, s[0:3], 0 offset:356
	buffer_load_dword v169, off, s[0:3], 0 offset:364
	;; [unrolled: 1-line block ×4, first 2 shown]
	v_add_f32_e32 v125, v125, v135
	ds_read2_b64 v[2:5], v1 offset0:91 offset1:92
	v_fma_f32 v135, v118, v158, -v128
	v_add_f32_e32 v124, v124, v132
	s_waitcnt vmcnt(19)
	v_mul_f32_e32 v133, v120, v149
	v_add_f32_e32 v118, v125, v136
	v_mul_f32_e32 v132, v121, v149
	v_fmac_f32_e32 v130, v119, v158
	v_add_f32_e32 v119, v124, v134
	s_clause 0x3
	buffer_load_dword v134, off, s[0:3], 0 offset:388
	buffer_load_dword v136, off, s[0:3], 0 offset:396
	;; [unrolled: 1-line block ×4, first 2 shown]
	v_add_f32_e32 v118, v118, v138
	s_waitcnt vmcnt(19)
	v_fmac_f32_e32 v133, v121, v167
	v_fma_f32 v132, v120, v167, -v132
	buffer_load_dword v149, off, s[0:3], 0 offset:420
	v_add_f32_e32 v119, v119, v139
	s_clause 0x4
	buffer_load_dword v138, off, s[0:3], 0 offset:376
	buffer_load_dword v139, off, s[0:3], 0 offset:368
	buffer_load_dword v158, off, s[0:3], 0 offset:360
	buffer_load_dword v167, off, s[0:3], 0 offset:352
	buffer_load_dword v172, off, s[0:3], 0 offset:428
	v_add_f32_e32 v118, v118, v145
	v_add_f32_e32 v124, v119, v141
	;; [unrolled: 1-line block ×3, first 2 shown]
	s_waitcnt vmcnt(24) lgkmcnt(0)
	v_mul_f32_e32 v128, v3, v168
	ds_read2_b64 v[118:121], v1 offset0:93 offset1:94
	v_add_f32_e32 v124, v124, v140
	v_mul_f32_e32 v140, v2, v168
	v_add_f32_e32 v125, v125, v147
	v_fma_f32 v141, v2, v165, -v128
	v_add_f32_e32 v2, v124, v142
	v_fmac_f32_e32 v140, v3, v165
	v_add_f32_e32 v3, v125, v146
	s_clause 0x3
	buffer_load_dword v142, off, s[0:3], 0 offset:408
	buffer_load_dword v144, off, s[0:3], 0 offset:400
	;; [unrolled: 1-line block ×4, first 2 shown]
	v_add_f32_e32 v2, v2, v153
	s_clause 0x1
	buffer_load_dword v147, off, s[0:3], 0 offset:424
	buffer_load_dword v153, off, s[0:3], 0 offset:416
	v_add_f32_e32 v3, v3, v159
	v_add_f32_e32 v2, v2, v151
	buffer_load_dword v151, off, s[0:3], 0 offset:64
	v_add_f32_e32 v124, v3, v154
	s_waitcnt vmcnt(30)
	v_mul_f32_e32 v154, v4, v123
	v_mul_f32_e32 v3, v5, v123
	v_add_f32_e32 v123, v2, v143
	v_fmac_f32_e32 v154, v5, v122
	v_fma_f32 v143, v4, v122, -v3
	ds_read2_b64 v[2:5], v1 offset0:95 offset1:96
	v_add_f32_e32 v123, v123, v156
	v_add_f32_e32 v122, v124, v150
	s_waitcnt vmcnt(28) lgkmcnt(1)
	v_mul_f32_e32 v150, v118, v131
	v_mul_f32_e32 v128, v119, v131
	;; [unrolled: 1-line block ×3, first 2 shown]
	v_add_f32_e32 v131, v123, v157
	v_add_f32_e32 v129, v122, v129
	ds_read2_b64 v[122:125], v1 offset0:97 offset1:98
	v_mul_f32_e32 v155, v121, v155
	v_fmac_f32_e32 v150, v119, v152
	v_add_f32_e32 v131, v131, v126
	v_add_f32_e32 v7, v129, v7
	v_fma_f32 v152, v118, v152, -v128
	v_add_f32_e32 v131, v131, v135
	v_add_f32_e32 v7, v7, v130
	s_waitcnt vmcnt(24)
	v_fma_f32 v155, v120, v127, -v155
	v_fmac_f32_e32 v156, v121, v127
	ds_read2_b64 v[118:121], v1 offset0:99 offset1:100
	ds_read2_b64 v[126:129], v1 offset0:101 offset1:102
	s_waitcnt vmcnt(23) lgkmcnt(3)
	v_mul_f32_e32 v135, v2, v6
	v_mul_f32_e32 v6, v3, v6
	v_add_f32_e32 v130, v131, v132
	s_waitcnt vmcnt(22)
	v_mul_f32_e32 v157, v4, v162
	v_mul_f32_e32 v159, v5, v162
	v_fmac_f32_e32 v135, v3, v163
	v_fma_f32 v162, v2, v163, -v6
	v_add_f32_e32 v2, v7, v133
	v_add_f32_e32 v6, v130, v141
	v_fma_f32 v141, v4, v161, -v159
	s_waitcnt vmcnt(21) lgkmcnt(2)
	v_mul_f32_e32 v159, v122, v164
	v_fmac_f32_e32 v157, v5, v161
	v_add_f32_e32 v140, v2, v140
	v_add_f32_e32 v143, v6, v143
	ds_read2_b64 v[130:133], v1 offset0:103 offset1:104
	ds_read2_b64 v[2:5], v1 offset0:105 offset1:106
	v_fmac_f32_e32 v159, v123, v8
	v_add_f32_e32 v140, v140, v154
	v_add_f32_e32 v143, v143, v152
	v_mul_f32_e32 v152, v123, v164
	s_waitcnt vmcnt(20)
	v_mul_f32_e32 v154, v124, v160
	v_mul_f32_e32 v160, v125, v160
	v_add_f32_e32 v140, v140, v150
	v_add_f32_e32 v143, v143, v155
	v_fma_f32 v8, v122, v8, -v152
	s_waitcnt vmcnt(19) lgkmcnt(3)
	v_mul_f32_e32 v150, v118, v169
	s_waitcnt vmcnt(18)
	v_mul_f32_e32 v155, v120, v170
	v_add_f32_e32 v140, v140, v156
	v_add_f32_e32 v143, v143, v162
	s_waitcnt vmcnt(17) lgkmcnt(2)
	v_mul_f32_e32 v161, v126, v171
	s_waitcnt vmcnt(9)
	v_fmac_f32_e32 v150, v119, v158
	s_waitcnt vmcnt(8)
	v_fma_f32 v124, v124, v167, -v160
	v_add_f32_e32 v123, v140, v135
	v_add_f32_e32 v140, v143, v141
	v_mul_f32_e32 v143, v119, v169
	v_fmac_f32_e32 v154, v125, v167
	v_mul_f32_e32 v125, v121, v170
	v_add_f32_e32 v123, v123, v157
	v_add_f32_e32 v8, v140, v8
	v_fma_f32 v118, v118, v158, -v143
	v_fmac_f32_e32 v155, v121, v139
	v_fma_f32 v120, v120, v139, -v125
	v_add_f32_e32 v123, v123, v159
	v_add_f32_e32 v8, v8, v124
	v_mul_f32_e32 v156, v128, v134
	v_fmac_f32_e32 v161, v127, v138
	ds_read_b64 v[6:7], v1 offset:856
	v_add_f32_e32 v119, v123, v154
	v_mul_f32_e32 v123, v127, v171
	v_add_f32_e32 v8, v8, v118
	s_waitcnt lgkmcnt(2)
	v_mul_f32_e32 v162, v130, v136
	s_waitcnt vmcnt(3)
	v_fmac_f32_e32 v156, v129, v146
	v_add_f32_e32 v118, v119, v150
	v_mul_f32_e32 v119, v129, v134
	v_fma_f32 v121, v126, v138, -v123
	v_add_f32_e32 v8, v8, v120
	v_mul_f32_e32 v120, v131, v136
	v_add_f32_e32 v118, v118, v155
	v_fma_f32 v119, v128, v146, -v119
	v_mul_f32_e32 v122, v132, v137
	v_add_f32_e32 v8, v8, v121
	v_mul_f32_e32 v121, v133, v137
	v_add_f32_e32 v118, v118, v161
	v_fma_f32 v120, v130, v145, -v120
	v_fmac_f32_e32 v162, v131, v145
	v_add_f32_e32 v8, v8, v119
	s_waitcnt lgkmcnt(1)
	v_mul_f32_e32 v135, v2, v148
	v_add_f32_e32 v118, v118, v156
	v_mul_f32_e32 v119, v3, v148
	v_fma_f32 v121, v132, v144, -v121
	v_add_f32_e32 v8, v8, v120
	v_fmac_f32_e32 v122, v133, v144
	v_add_f32_e32 v118, v118, v162
	v_mul_f32_e32 v120, v5, v149
	v_fmac_f32_e32 v135, v3, v142
	v_fma_f32 v2, v2, v142, -v119
	v_add_f32_e32 v3, v8, v121
	v_mul_f32_e32 v141, v4, v149
	v_add_f32_e32 v8, v118, v122
	s_waitcnt lgkmcnt(0)
	v_mul_f32_e32 v118, v7, v172
	s_waitcnt vmcnt(1)
	v_fma_f32 v4, v4, v153, -v120
	v_add_f32_e32 v2, v3, v2
	v_mul_f32_e32 v152, v6, v172
	v_fmac_f32_e32 v141, v5, v153
	v_add_f32_e32 v3, v8, v135
	v_fma_f32 v5, v6, v147, -v118
	v_add_f32_e32 v2, v2, v4
	v_fmac_f32_e32 v152, v7, v147
	v_add_f32_e32 v3, v3, v141
	v_add_f32_e32 v2, v2, v5
	;; [unrolled: 1-line block ×3, first 2 shown]
	s_waitcnt vmcnt(0)
	v_sub_f32_e32 v2, v151, v2
	v_sub_f32_e32 v3, v166, v3
	buffer_store_dword v2, off, s[0:3], 0 offset:64
	buffer_store_dword v3, off, s[0:3], 0 offset:68
	v_cmpx_lt_u32_e32 7, v0
	s_cbranch_execz .LBB53_323
; %bb.322:
	s_clause 0x1
	buffer_load_dword v2, off, s[0:3], 0 offset:56
	buffer_load_dword v3, off, s[0:3], 0 offset:60
	buffer_store_dword v1, off, s[0:3], 0 offset:56
	buffer_store_dword v1, off, s[0:3], 0 offset:60
	s_waitcnt vmcnt(0)
	ds_write_b64 v117, v[2:3]
.LBB53_323:
	s_or_b32 exec_lo, exec_lo, s4
	s_waitcnt lgkmcnt(0)
	s_waitcnt_vscnt null, 0x0
	s_barrier
	buffer_gl0_inv
	s_clause 0x2c
	buffer_load_dword v148, off, s[0:3], 0 offset:68
	buffer_load_dword v149, off, s[0:3], 0 offset:76
	;; [unrolled: 1-line block ×45, first 2 shown]
	ds_read_b128 v[154:157], v1 offset:496
	ds_read_b128 v[158:161], v1 offset:512
	buffer_load_dword v166, off, s[0:3], 0 offset:60
	s_mov_b32 s4, exec_lo
	s_waitcnt vmcnt(45) lgkmcnt(1)
	v_mul_f32_e32 v151, v154, v148
	v_mul_f32_e32 v165, v155, v148
	s_waitcnt vmcnt(44)
	v_mul_f32_e32 v148, v156, v149
	v_mul_f32_e32 v149, v157, v149
	s_waitcnt vmcnt(41)
	v_fmac_f32_e32 v151, v155, v119
	v_fma_f32 v165, v154, v119, -v165
	v_fmac_f32_e32 v148, v157, v7
	v_fma_f32 v149, v156, v7, -v149
	ds_read_b128 v[154:157], v1 offset:528
	s_waitcnt vmcnt(40) lgkmcnt(1)
	v_mul_f32_e32 v167, v158, v4
	s_waitcnt vmcnt(39)
	v_mul_f32_e32 v168, v160, v5
	v_mul_f32_e32 v4, v159, v4
	;; [unrolled: 1-line block ×3, first 2 shown]
	v_fmac_f32_e32 v167, v159, v2
	s_waitcnt vmcnt(35)
	v_fmac_f32_e32 v168, v161, v122
	v_fma_f32 v169, v158, v2, -v4
	v_fma_f32 v122, v160, v122, -v5
	ds_read_b128 v[158:161], v1 offset:544
	s_waitcnt vmcnt(34) lgkmcnt(1)
	v_mul_f32_e32 v170, v154, v121
	s_waitcnt vmcnt(33)
	v_mul_f32_e32 v171, v156, v120
	v_mul_f32_e32 v4, v157, v120
	;; [unrolled: 1-line block ×3, first 2 shown]
	v_fmac_f32_e32 v170, v155, v118
	v_fmac_f32_e32 v171, v157, v6
	v_fma_f32 v155, v156, v6, -v4
	ds_read_b128 v[4:7], v1 offset:560
	v_fma_f32 v154, v154, v118, -v2
	s_waitcnt vmcnt(32) lgkmcnt(1)
	v_mul_f32_e32 v156, v158, v8
	v_mul_f32_e32 v2, v159, v8
	s_waitcnt vmcnt(31)
	v_mul_f32_e32 v8, v160, v123
	v_mul_f32_e32 v118, v161, v123
	v_fmac_f32_e32 v156, v159, v3
	v_fma_f32 v123, v158, v3, -v2
	s_waitcnt vmcnt(27)
	v_fmac_f32_e32 v8, v161, v131
	v_fma_f32 v131, v160, v131, -v118
	ds_read_b128 v[118:121], v1 offset:576
	buffer_load_dword v161, off, s[0:3], 0 offset:252
	s_waitcnt vmcnt(27) lgkmcnt(1)
	v_mul_f32_e32 v157, v4, v129
	v_mul_f32_e32 v2, v5, v129
	s_waitcnt vmcnt(26)
	v_mul_f32_e32 v3, v7, v128
	v_mul_f32_e32 v129, v6, v128
	v_fmac_f32_e32 v157, v5, v127
	v_fma_f32 v127, v4, v127, -v2
	v_fma_f32 v6, v6, v125, -v3
	ds_read_b128 v[2:5], v1 offset:592
	v_fmac_f32_e32 v129, v7, v125
	s_waitcnt vmcnt(25) lgkmcnt(1)
	v_mul_f32_e32 v7, v118, v126
	v_mul_f32_e32 v125, v119, v126
	s_waitcnt vmcnt(24)
	v_mul_f32_e32 v126, v120, v130
	v_mul_f32_e32 v128, v121, v130
	v_fmac_f32_e32 v7, v119, v124
	v_fma_f32 v124, v118, v124, -v125
	s_waitcnt vmcnt(20)
	v_fmac_f32_e32 v126, v121, v139
	v_fma_f32 v125, v120, v139, -v128
	ds_read_b128 v[118:121], v1 offset:608
	s_waitcnt vmcnt(19) lgkmcnt(1)
	v_mul_f32_e32 v128, v2, v137
	v_mul_f32_e32 v130, v3, v137
	s_waitcnt vmcnt(18)
	v_mul_f32_e32 v137, v4, v136
	v_mul_f32_e32 v136, v5, v136
	v_fmac_f32_e32 v128, v3, v135
	v_fma_f32 v130, v2, v135, -v130
	v_fmac_f32_e32 v137, v5, v133
	v_fma_f32 v133, v4, v133, -v136
	ds_read_b128 v[2:5], v1 offset:624
	s_waitcnt vmcnt(17) lgkmcnt(1)
	v_mul_f32_e32 v135, v118, v134
	v_mul_f32_e32 v134, v119, v134
	s_waitcnt vmcnt(16)
	v_mul_f32_e32 v136, v120, v138
	v_mul_f32_e32 v138, v121, v138
	v_fmac_f32_e32 v135, v119, v132
	v_fma_f32 v132, v118, v132, -v134
	s_waitcnt vmcnt(12)
	v_fmac_f32_e32 v136, v121, v147
	v_fma_f32 v134, v120, v147, -v138
	ds_read_b128 v[118:121], v1 offset:640
	buffer_load_dword v147, off, s[0:3], 0 offset:244
	s_waitcnt vmcnt(12) lgkmcnt(1)
	v_mul_f32_e32 v138, v2, v145
	v_mul_f32_e32 v139, v3, v145
	s_waitcnt vmcnt(11)
	v_mul_f32_e32 v145, v4, v144
	v_mul_f32_e32 v144, v5, v144
	v_fmac_f32_e32 v138, v3, v143
	v_fma_f32 v139, v2, v143, -v139
	v_fmac_f32_e32 v145, v5, v141
	v_fma_f32 v141, v4, v141, -v144
	ds_read_b128 v[2:5], v1 offset:656
	s_waitcnt vmcnt(10) lgkmcnt(1)
	v_mul_f32_e32 v143, v118, v142
	v_mul_f32_e32 v142, v119, v142
	s_waitcnt vmcnt(9)
	v_mul_f32_e32 v144, v120, v146
	v_mul_f32_e32 v146, v121, v146
	v_fmac_f32_e32 v143, v119, v140
	v_fma_f32 v140, v118, v140, -v142
	s_waitcnt vmcnt(5)
	v_fmac_f32_e32 v144, v121, v162
	v_fma_f32 v142, v120, v162, -v146
	ds_read_b128 v[118:121], v1 offset:672
	s_waitcnt vmcnt(4) lgkmcnt(1)
	v_mul_f32_e32 v146, v2, v163
	v_mul_f32_e32 v158, v3, v163
	s_waitcnt vmcnt(3)
	v_mul_f32_e32 v159, v4, v164
	v_mul_f32_e32 v160, v5, v164
	v_fmac_f32_e32 v146, v3, v153
	v_fma_f32 v153, v2, v153, -v158
	v_fmac_f32_e32 v159, v5, v152
	v_fma_f32 v152, v4, v152, -v160
	s_clause 0x5
	buffer_load_dword v158, off, s[0:3], 0 offset:272
	buffer_load_dword v160, off, s[0:3], 0 offset:264
	;; [unrolled: 1-line block ×6, first 2 shown]
	v_add_f32_e32 v2, 0, v151
	v_add_f32_e32 v3, 0, v165
	;; [unrolled: 1-line block ×3, first 2 shown]
	buffer_load_dword v148, off, s[0:3], 0 offset:276
	v_add_f32_e32 v3, v3, v149
	buffer_load_dword v149, off, s[0:3], 0 offset:284
	v_add_f32_e32 v2, v2, v167
	v_add_f32_e32 v3, v3, v169
	;; [unrolled: 1-line block ×4, first 2 shown]
	s_clause 0x4
	buffer_load_dword v151, off, s[0:3], 0 offset:304
	buffer_load_dword v122, off, s[0:3], 0 offset:296
	;; [unrolled: 1-line block ×5, first 2 shown]
	v_add_f32_e32 v2, v2, v170
	v_add_f32_e32 v3, v3, v154
	s_clause 0x1
	buffer_load_dword v154, off, s[0:3], 0 offset:300
	buffer_load_dword v169, off, s[0:3], 0 offset:308
	v_add_f32_e32 v2, v2, v171
	v_add_f32_e32 v3, v3, v155
	;; [unrolled: 1-line block ×10, first 2 shown]
	s_waitcnt vmcnt(16) lgkmcnt(0)
	v_mul_f32_e32 v123, v121, v161
	s_waitcnt vmcnt(15)
	v_mul_f32_e32 v155, v118, v147
	v_mul_f32_e32 v4, v119, v147
	;; [unrolled: 1-line block ×3, first 2 shown]
	v_fmac_f32_e32 v155, v119, v150
	v_fma_f32 v150, v118, v150, -v4
	v_add_f32_e32 v118, v3, v131
	ds_read_b128 v[2:5], v1 offset:688
	v_add_f32_e32 v118, v118, v127
	s_clause 0x4
	buffer_load_dword v127, off, s[0:3], 0 offset:316
	buffer_load_dword v156, off, s[0:3], 0 offset:336
	;; [unrolled: 1-line block ×5, first 2 shown]
	v_add_f32_e32 v6, v118, v6
	v_add_f32_e32 v6, v6, v124
	;; [unrolled: 1-line block ×5, first 2 shown]
	s_waitcnt vmcnt(16)
	v_fmac_f32_e32 v147, v121, v163
	v_fma_f32 v123, v120, v163, -v123
	s_clause 0x2
	buffer_load_dword v8, off, s[0:3], 0 offset:324
	buffer_load_dword v163, off, s[0:3], 0 offset:332
	;; [unrolled: 1-line block ×3, first 2 shown]
	ds_read_b128 v[118:121], v1 offset:704
	s_waitcnt vmcnt(18) lgkmcnt(1)
	v_mul_f32_e32 v124, v2, v164
	v_mul_f32_e32 v125, v3, v164
	s_waitcnt vmcnt(17)
	v_mul_f32_e32 v126, v4, v172
	v_mul_f32_e32 v128, v5, v172
	v_fmac_f32_e32 v124, v3, v162
	v_add_f32_e32 v3, v7, v137
	v_fma_f32 v7, v2, v162, -v125
	v_fmac_f32_e32 v126, v5, v160
	v_fma_f32 v128, v4, v160, -v128
	v_add_f32_e32 v2, v3, v135
	v_add_f32_e32 v3, v6, v132
	s_clause 0x7
	buffer_load_dword v6, off, s[0:3], 0 offset:348
	buffer_load_dword v160, off, s[0:3], 0 offset:356
	;; [unrolled: 1-line block ×8, first 2 shown]
	v_add_f32_e32 v2, v2, v136
	v_add_f32_e32 v3, v3, v134
	s_waitcnt vmcnt(24) lgkmcnt(0)
	v_mul_f32_e32 v129, v118, v148
	v_mul_f32_e32 v4, v119, v148
	v_add_f32_e32 v2, v2, v138
	s_clause 0x3
	buffer_load_dword v148, off, s[0:3], 0 offset:380
	buffer_load_dword v175, off, s[0:3], 0 offset:388
	;; [unrolled: 1-line block ×4, first 2 shown]
	s_waitcnt vmcnt(27)
	v_mul_f32_e32 v132, v120, v149
	v_fmac_f32_e32 v129, v119, v158
	v_fma_f32 v130, v118, v158, -v4
	v_add_f32_e32 v118, v3, v139
	v_add_f32_e32 v119, v2, v145
	v_mul_f32_e32 v3, v121, v149
	s_clause 0x2
	buffer_load_dword v138, off, s[0:3], 0 offset:412
	buffer_load_dword v158, off, s[0:3], 0 offset:420
	;; [unrolled: 1-line block ×3, first 2 shown]
	v_add_f32_e32 v118, v118, v141
	v_add_f32_e32 v119, v119, v143
	s_waitcnt vmcnt(26)
	v_fma_f32 v133, v120, v167, -v3
	ds_read_b128 v[2:5], v1 offset:720
	v_fmac_f32_e32 v132, v121, v167
	v_add_f32_e32 v118, v118, v140
	v_add_f32_e32 v119, v119, v144
	s_clause 0x3
	buffer_load_dword v140, off, s[0:3], 0 offset:400
	buffer_load_dword v141, off, s[0:3], 0 offset:392
	;; [unrolled: 1-line block ×4, first 2 shown]
	v_add_f32_e32 v118, v118, v142
	v_add_f32_e32 v125, v119, v146
	;; [unrolled: 1-line block ×3, first 2 shown]
	ds_read_b128 v[118:121], v1 offset:736
	s_clause 0x3
	buffer_load_dword v142, off, s[0:3], 0 offset:424
	buffer_load_dword v145, off, s[0:3], 0 offset:416
	buffer_load_dword v146, off, s[0:3], 0 offset:408
	buffer_load_dword v149, off, s[0:3], 0 offset:56
	v_add_f32_e32 v125, v125, v159
	s_waitcnt vmcnt(33) lgkmcnt(1)
	v_mul_f32_e32 v136, v3, v168
	v_mul_f32_e32 v135, v2, v168
	v_fma_f32 v136, v2, v165, -v136
	v_add_f32_e32 v2, v134, v152
	v_fmac_f32_e32 v135, v3, v165
	v_add_f32_e32 v3, v125, v155
	s_waitcnt vmcnt(32)
	v_mul_f32_e32 v134, v4, v154
	v_mul_f32_e32 v125, v5, v154
	v_add_f32_e32 v2, v2, v150
	v_add_f32_e32 v3, v3, v147
	v_fmac_f32_e32 v134, v5, v122
	v_fma_f32 v137, v4, v122, -v125
	v_add_f32_e32 v123, v2, v123
	s_waitcnt vmcnt(31) lgkmcnt(0)
	v_mul_f32_e32 v150, v119, v169
	v_add_f32_e32 v147, v3, v124
	ds_read_b128 v[2:5], v1 offset:752
	v_add_f32_e32 v7, v123, v7
	ds_read_b128 v[122:125], v1 offset:768
	v_add_f32_e32 v126, v147, v126
	v_mul_f32_e32 v147, v118, v169
	v_fma_f32 v150, v118, v151, -v150
	v_add_f32_e32 v7, v7, v128
	v_fmac_f32_e32 v147, v119, v151
	v_add_f32_e32 v151, v126, v129
	v_add_f32_e32 v7, v7, v130
	;; [unrolled: 1-line block ×8, first 2 shown]
	s_waitcnt vmcnt(30)
	v_mul_f32_e32 v152, v120, v127
	v_mul_f32_e32 v127, v121, v127
	s_waitcnt vmcnt(26)
	v_fmac_f32_e32 v152, v121, v161
	v_fma_f32 v153, v120, v161, -v127
	ds_read_b128 v[118:121], v1 offset:784
	ds_read_b128 v[126:129], v1 offset:800
	s_waitcnt vmcnt(25) lgkmcnt(3)
	v_mul_f32_e32 v151, v2, v8
	s_waitcnt vmcnt(24)
	v_mul_f32_e32 v154, v4, v163
	v_mul_f32_e32 v8, v3, v8
	v_mul_f32_e32 v132, v5, v163
	s_waitcnt vmcnt(23) lgkmcnt(2)
	v_mul_f32_e32 v155, v122, v170
	v_mul_f32_e32 v135, v123, v170
	v_fmac_f32_e32 v151, v3, v157
	v_fmac_f32_e32 v154, v5, v131
	v_fma_f32 v8, v2, v157, -v8
	v_fma_f32 v157, v4, v131, -v132
	ds_read_b128 v[2:5], v1 offset:816
	ds_read_b128 v[130:133], v1 offset:832
	v_fmac_f32_e32 v155, v123, v156
	v_fma_f32 v122, v122, v156, -v135
	v_add_f32_e32 v123, v134, v147
	ds_read_b128 v[134:137], v1 offset:848
	v_add_f32_e32 v1, v7, v150
	s_waitcnt vmcnt(22)
	v_mul_f32_e32 v7, v124, v6
	v_mul_f32_e32 v6, v125, v6
	v_add_f32_e32 v123, v123, v152
	s_waitcnt vmcnt(21) lgkmcnt(4)
	v_mul_f32_e32 v152, v119, v160
	v_add_f32_e32 v1, v1, v153
	v_mul_f32_e32 v147, v118, v160
	s_waitcnt vmcnt(15)
	v_fma_f32 v6, v124, v174, -v6
	v_fmac_f32_e32 v7, v125, v174
	v_fma_f32 v118, v118, v173, -v152
	v_add_f32_e32 v1, v1, v8
	v_add_f32_e32 v8, v123, v151
	v_mul_f32_e32 v150, v120, v162
	v_fmac_f32_e32 v147, v119, v173
	s_waitcnt lgkmcnt(3)
	v_mul_f32_e32 v124, v126, v164
	v_add_f32_e32 v1, v1, v157
	v_add_f32_e32 v8, v8, v154
	v_mul_f32_e32 v154, v121, v162
	v_fmac_f32_e32 v150, v121, v172
	s_waitcnt vmcnt(14)
	v_mul_f32_e32 v125, v128, v148
	v_add_f32_e32 v1, v1, v122
	v_add_f32_e32 v8, v8, v155
	v_fmac_f32_e32 v124, v127, v171
	s_waitcnt vmcnt(13) lgkmcnt(2)
	v_mul_f32_e32 v123, v2, v175
	s_waitcnt vmcnt(12)
	v_mul_f32_e32 v151, v4, v176
	v_add_f32_e32 v1, v1, v6
	v_add_f32_e32 v6, v8, v7
	v_mul_f32_e32 v7, v127, v164
	v_fma_f32 v8, v120, v172, -v154
	s_waitcnt vmcnt(4)
	v_fmac_f32_e32 v125, v129, v144
	v_add_f32_e32 v1, v1, v118
	v_add_f32_e32 v6, v6, v147
	v_mul_f32_e32 v118, v129, v148
	v_fma_f32 v7, v126, v171, -v7
	v_fmac_f32_e32 v123, v3, v143
	v_add_f32_e32 v1, v1, v8
	v_add_f32_e32 v6, v6, v150
	v_mul_f32_e32 v8, v3, v175
	v_fma_f32 v118, v128, v144, -v118
	s_waitcnt lgkmcnt(1)
	v_mul_f32_e32 v153, v130, v177
	v_add_f32_e32 v1, v1, v7
	v_add_f32_e32 v6, v6, v124
	v_mul_f32_e32 v7, v5, v176
	v_fma_f32 v2, v2, v143, -v8
	v_fmac_f32_e32 v151, v5, v141
	v_add_f32_e32 v1, v1, v118
	v_add_f32_e32 v3, v6, v125
	v_mul_f32_e32 v6, v131, v177
	v_fma_f32 v4, v4, v141, -v7
	v_mul_f32_e32 v156, v132, v138
	v_add_f32_e32 v1, v1, v2
	v_add_f32_e32 v2, v3, v123
	v_mul_f32_e32 v3, v133, v138
	v_fma_f32 v5, v130, v140, -v6
	v_fmac_f32_e32 v153, v131, v140
	v_add_f32_e32 v1, v1, v4
	v_add_f32_e32 v2, v2, v151
	s_waitcnt lgkmcnt(0)
	v_mul_f32_e32 v4, v135, v158
	s_waitcnt vmcnt(1)
	v_fma_f32 v3, v132, v146, -v3
	v_mul_f32_e32 v157, v134, v158
	v_add_f32_e32 v1, v1, v5
	v_fmac_f32_e32 v156, v133, v146
	v_add_f32_e32 v2, v2, v153
	v_mul_f32_e32 v5, v137, v139
	v_fma_f32 v4, v134, v145, -v4
	v_add_f32_e32 v1, v1, v3
	v_mul_f32_e32 v122, v136, v139
	v_fmac_f32_e32 v157, v135, v145
	v_add_f32_e32 v2, v2, v156
	v_fma_f32 v3, v136, v142, -v5
	v_add_f32_e32 v1, v1, v4
	v_fmac_f32_e32 v122, v137, v142
	v_add_f32_e32 v2, v2, v157
	v_add_f32_e32 v1, v1, v3
	v_add_f32_e32 v2, v2, v122
	s_waitcnt vmcnt(0)
	v_sub_f32_e32 v1, v149, v1
	v_sub_f32_e32 v2, v166, v2
	buffer_store_dword v1, off, s[0:3], 0 offset:56
	buffer_store_dword v2, off, s[0:3], 0 offset:60
	v_cmpx_lt_u32_e32 6, v0
	s_cbranch_execz .LBB53_325
; %bb.324:
	s_clause 0x1
	buffer_load_dword v1, off, s[0:3], 0 offset:48
	buffer_load_dword v2, off, s[0:3], 0 offset:52
	v_mov_b32_e32 v3, 0
	buffer_store_dword v3, off, s[0:3], 0 offset:48
	buffer_store_dword v3, off, s[0:3], 0 offset:52
	s_waitcnt vmcnt(0)
	ds_write_b64 v117, v[1:2]
.LBB53_325:
	s_or_b32 exec_lo, exec_lo, s4
	s_waitcnt lgkmcnt(0)
	s_waitcnt_vscnt null, 0x0
	s_barrier
	buffer_gl0_inv
	s_clause 0x2c
	buffer_load_dword v148, off, s[0:3], 0 offset:60
	buffer_load_dword v149, off, s[0:3], 0 offset:68
	;; [unrolled: 1-line block ×45, first 2 shown]
	v_mov_b32_e32 v1, 0
	ds_read2_b64 v[157:160], v1 offset0:61 offset1:62
	ds_read2_b64 v[161:164], v1 offset0:63 offset1:64
	buffer_load_dword v166, off, s[0:3], 0 offset:52
	s_mov_b32 s4, exec_lo
	s_waitcnt vmcnt(45) lgkmcnt(1)
	v_mul_f32_e32 v150, v157, v148
	v_mul_f32_e32 v165, v158, v148
	s_waitcnt vmcnt(44)
	v_mul_f32_e32 v148, v159, v149
	v_mul_f32_e32 v149, v160, v149
	s_waitcnt vmcnt(41)
	v_fmac_f32_e32 v150, v158, v119
	v_fma_f32 v165, v157, v119, -v165
	v_fmac_f32_e32 v148, v160, v7
	v_fma_f32 v149, v159, v7, -v149
	ds_read2_b64 v[157:160], v1 offset0:65 offset1:66
	s_waitcnt vmcnt(40) lgkmcnt(1)
	v_mul_f32_e32 v167, v161, v4
	s_waitcnt vmcnt(39)
	v_mul_f32_e32 v168, v163, v5
	v_mul_f32_e32 v4, v162, v4
	;; [unrolled: 1-line block ×3, first 2 shown]
	v_fmac_f32_e32 v167, v162, v2
	s_waitcnt vmcnt(35)
	v_fmac_f32_e32 v168, v164, v122
	v_fma_f32 v169, v161, v2, -v4
	v_fma_f32 v122, v163, v122, -v5
	ds_read2_b64 v[161:164], v1 offset0:67 offset1:68
	s_waitcnt vmcnt(34) lgkmcnt(1)
	v_mul_f32_e32 v170, v157, v121
	s_waitcnt vmcnt(33)
	v_mul_f32_e32 v171, v159, v120
	v_mul_f32_e32 v4, v160, v120
	;; [unrolled: 1-line block ×3, first 2 shown]
	v_fmac_f32_e32 v170, v158, v118
	v_fmac_f32_e32 v171, v160, v6
	v_fma_f32 v158, v159, v6, -v4
	ds_read2_b64 v[4:7], v1 offset0:69 offset1:70
	v_fma_f32 v157, v157, v118, -v2
	s_waitcnt vmcnt(32) lgkmcnt(1)
	v_mul_f32_e32 v159, v161, v8
	v_mul_f32_e32 v2, v162, v8
	s_waitcnt vmcnt(31)
	v_mul_f32_e32 v8, v163, v123
	v_mul_f32_e32 v118, v164, v123
	v_fmac_f32_e32 v159, v162, v3
	v_fma_f32 v123, v161, v3, -v2
	s_waitcnt vmcnt(27)
	v_fmac_f32_e32 v8, v164, v131
	v_fma_f32 v131, v163, v131, -v118
	ds_read2_b64 v[118:121], v1 offset0:71 offset1:72
	buffer_load_dword v161, off, s[0:3], 0 offset:244
	s_waitcnt vmcnt(27) lgkmcnt(1)
	v_mul_f32_e32 v160, v4, v129
	v_mul_f32_e32 v2, v5, v129
	s_waitcnt vmcnt(26)
	v_mul_f32_e32 v3, v7, v128
	v_mul_f32_e32 v129, v6, v128
	v_fmac_f32_e32 v160, v5, v127
	v_fma_f32 v127, v4, v127, -v2
	v_fma_f32 v6, v6, v125, -v3
	ds_read2_b64 v[2:5], v1 offset0:73 offset1:74
	v_fmac_f32_e32 v129, v7, v125
	s_waitcnt vmcnt(25) lgkmcnt(1)
	v_mul_f32_e32 v7, v118, v126
	v_mul_f32_e32 v125, v119, v126
	s_waitcnt vmcnt(24)
	v_mul_f32_e32 v126, v120, v130
	v_mul_f32_e32 v128, v121, v130
	v_fmac_f32_e32 v7, v119, v124
	v_fma_f32 v124, v118, v124, -v125
	s_waitcnt vmcnt(20)
	v_fmac_f32_e32 v126, v121, v139
	v_fma_f32 v125, v120, v139, -v128
	ds_read2_b64 v[118:121], v1 offset0:75 offset1:76
	s_waitcnt vmcnt(19) lgkmcnt(1)
	v_mul_f32_e32 v128, v2, v137
	v_mul_f32_e32 v130, v3, v137
	s_waitcnt vmcnt(18)
	v_mul_f32_e32 v137, v4, v136
	v_mul_f32_e32 v136, v5, v136
	v_fmac_f32_e32 v128, v3, v135
	v_fma_f32 v130, v2, v135, -v130
	v_fmac_f32_e32 v137, v5, v133
	v_fma_f32 v133, v4, v133, -v136
	ds_read2_b64 v[2:5], v1 offset0:77 offset1:78
	s_waitcnt vmcnt(17) lgkmcnt(1)
	v_mul_f32_e32 v135, v118, v134
	v_mul_f32_e32 v134, v119, v134
	s_waitcnt vmcnt(16)
	v_mul_f32_e32 v136, v120, v138
	v_mul_f32_e32 v138, v121, v138
	v_fmac_f32_e32 v135, v119, v132
	v_fma_f32 v132, v118, v132, -v134
	s_waitcnt vmcnt(12)
	v_fmac_f32_e32 v136, v121, v146
	v_fma_f32 v134, v120, v146, -v138
	ds_read2_b64 v[118:121], v1 offset0:79 offset1:80
	s_waitcnt vmcnt(11) lgkmcnt(1)
	v_mul_f32_e32 v138, v2, v145
	v_mul_f32_e32 v139, v3, v145
	s_waitcnt vmcnt(10)
	v_mul_f32_e32 v145, v4, v144
	v_mul_f32_e32 v144, v5, v144
	v_fmac_f32_e32 v138, v3, v143
	v_fma_f32 v139, v2, v143, -v139
	v_fmac_f32_e32 v145, v5, v141
	v_fma_f32 v141, v4, v141, -v144
	ds_read2_b64 v[2:5], v1 offset0:81 offset1:82
	s_waitcnt vmcnt(8) lgkmcnt(1)
	v_mul_f32_e32 v144, v120, v147
	v_mul_f32_e32 v146, v121, v147
	buffer_load_dword v147, off, s[0:3], 0 offset:236
	v_mul_f32_e32 v143, v118, v142
	v_mul_f32_e32 v142, v119, v142
	s_waitcnt vmcnt(5)
	v_fmac_f32_e32 v144, v121, v156
	v_fmac_f32_e32 v143, v119, v140
	v_fma_f32 v140, v118, v140, -v142
	v_fma_f32 v142, v120, v156, -v146
	ds_read2_b64 v[118:121], v1 offset0:83 offset1:84
	s_waitcnt vmcnt(4) lgkmcnt(1)
	v_mul_f32_e32 v146, v2, v155
	v_mul_f32_e32 v155, v3, v155
	s_waitcnt vmcnt(3)
	v_mul_f32_e32 v156, v4, v154
	v_mul_f32_e32 v154, v5, v154
	v_fmac_f32_e32 v146, v3, v153
	v_fma_f32 v153, v2, v153, -v155
	v_fmac_f32_e32 v156, v5, v152
	v_fma_f32 v152, v4, v152, -v154
	s_clause 0x4
	buffer_load_dword v154, off, s[0:3], 0 offset:264
	buffer_load_dword v155, off, s[0:3], 0 offset:256
	buffer_load_dword v162, off, s[0:3], 0 offset:248
	buffer_load_dword v2, off, s[0:3], 0 offset:240
	buffer_load_dword v163, off, s[0:3], 0 offset:252
	s_waitcnt vmcnt(5) lgkmcnt(0)
	v_mul_f32_e32 v164, v118, v147
	v_mul_f32_e32 v3, v119, v147
	v_fmac_f32_e32 v164, v119, v151
	v_fma_f32 v147, v118, v151, -v3
	v_mul_f32_e32 v151, v120, v161
	v_mul_f32_e32 v3, v121, v161
	s_waitcnt vmcnt(1)
	v_fmac_f32_e32 v151, v121, v2
	v_fma_f32 v161, v120, v2, -v3
	ds_read2_b64 v[2:5], v1 offset0:85 offset1:86
	ds_read2_b64 v[118:121], v1 offset0:87 offset1:88
	s_waitcnt vmcnt(0) lgkmcnt(1)
	v_mul_f32_e32 v172, v2, v163
	v_mul_f32_e32 v163, v3, v163
	v_fmac_f32_e32 v172, v3, v162
	v_fma_f32 v162, v2, v162, -v163
	buffer_load_dword v2, off, s[0:3], 0 offset:260
	s_waitcnt vmcnt(0)
	v_mul_f32_e32 v163, v4, v2
	v_mul_f32_e32 v2, v5, v2
	v_fmac_f32_e32 v163, v5, v155
	v_fma_f32 v155, v4, v155, -v2
	buffer_load_dword v2, off, s[0:3], 0 offset:268
	s_waitcnt vmcnt(0) lgkmcnt(0)
	v_mul_f32_e32 v173, v118, v2
	v_mul_f32_e32 v2, v119, v2
	v_fmac_f32_e32 v173, v119, v154
	v_fma_f32 v154, v118, v154, -v2
	s_clause 0x5
	buffer_load_dword v2, off, s[0:3], 0 offset:276
	buffer_load_dword v174, off, s[0:3], 0 offset:296
	;; [unrolled: 1-line block ×6, first 2 shown]
	s_waitcnt vmcnt(5)
	v_mul_f32_e32 v177, v120, v2
	v_mul_f32_e32 v2, v121, v2
	s_waitcnt vmcnt(1)
	v_fmac_f32_e32 v177, v121, v3
	v_fma_f32 v178, v120, v3, -v2
	ds_read2_b64 v[2:5], v1 offset0:89 offset1:90
	ds_read2_b64 v[118:121], v1 offset0:91 offset1:92
	s_waitcnt vmcnt(0) lgkmcnt(1)
	v_mul_f32_e32 v180, v2, v179
	v_mul_f32_e32 v179, v3, v179
	v_fmac_f32_e32 v180, v3, v176
	v_fma_f32 v176, v2, v176, -v179
	buffer_load_dword v2, off, s[0:3], 0 offset:292
	s_waitcnt vmcnt(0)
	v_mul_f32_e32 v179, v4, v2
	v_mul_f32_e32 v2, v5, v2
	v_fmac_f32_e32 v179, v5, v175
	v_fma_f32 v175, v4, v175, -v2
	buffer_load_dword v2, off, s[0:3], 0 offset:300
	s_waitcnt vmcnt(0) lgkmcnt(0)
	v_mul_f32_e32 v181, v118, v2
	v_mul_f32_e32 v2, v119, v2
	v_fmac_f32_e32 v181, v119, v174
	v_fma_f32 v174, v118, v174, -v2
	s_clause 0x4
	buffer_load_dword v2, off, s[0:3], 0 offset:308
	buffer_load_dword v182, off, s[0:3], 0 offset:328
	;; [unrolled: 1-line block ×5, first 2 shown]
	s_waitcnt vmcnt(4)
	v_mul_f32_e32 v185, v120, v2
	v_mul_f32_e32 v2, v121, v2
	s_waitcnt vmcnt(0)
	v_fmac_f32_e32 v185, v121, v3
	v_fma_f32 v186, v120, v3, -v2
	v_add_f32_e32 v2, 0, v150
	v_add_f32_e32 v3, 0, v165
	;; [unrolled: 1-line block ×8, first 2 shown]
	buffer_load_dword v122, off, s[0:3], 0 offset:316
	v_add_f32_e32 v2, v2, v170
	v_add_f32_e32 v3, v3, v157
	;; [unrolled: 1-line block ×6, first 2 shown]
	buffer_load_dword v123, off, s[0:3], 0 offset:324
	v_add_f32_e32 v2, v2, v8
	v_add_f32_e32 v3, v3, v131
	s_clause 0x1
	buffer_load_dword v8, off, s[0:3], 0 offset:332
	buffer_load_dword v131, off, s[0:3], 0 offset:340
	v_add_f32_e32 v2, v2, v160
	v_add_f32_e32 v3, v3, v127
	;; [unrolled: 1-line block ×4, first 2 shown]
	s_clause 0x6
	buffer_load_dword v148, off, s[0:3], 0 offset:360
	buffer_load_dword v149, off, s[0:3], 0 offset:352
	;; [unrolled: 1-line block ×7, first 2 shown]
	v_add_f32_e32 v2, v2, v7
	v_add_f32_e32 v3, v3, v124
	;; [unrolled: 1-line block ×8, first 2 shown]
	s_clause 0x3
	buffer_load_dword v137, off, s[0:3], 0 offset:372
	buffer_load_dword v160, off, s[0:3], 0 offset:380
	;; [unrolled: 1-line block ×4, first 2 shown]
	v_add_f32_e32 v2, v2, v135
	v_add_f32_e32 v3, v3, v132
	s_clause 0x1
	buffer_load_dword v135, off, s[0:3], 0 offset:404
	buffer_load_dword v168, off, s[0:3], 0 offset:412
	v_add_f32_e32 v2, v2, v136
	v_add_f32_e32 v3, v3, v134
	s_clause 0x1
	buffer_load_dword v136, off, s[0:3], 0 offset:420
	buffer_load_dword v169, off, s[0:3], 0 offset:428
	v_add_f32_e32 v2, v2, v138
	v_add_f32_e32 v3, v3, v139
	;; [unrolled: 1-line block ×3, first 2 shown]
	s_clause 0x3
	buffer_load_dword v134, off, s[0:3], 0 offset:392
	buffer_load_dword v138, off, s[0:3], 0 offset:384
	buffer_load_dword v139, off, s[0:3], 0 offset:376
	buffer_load_dword v145, off, s[0:3], 0 offset:368
	v_add_f32_e32 v3, v3, v141
	v_add_f32_e32 v2, v2, v143
	;; [unrolled: 1-line block ×4, first 2 shown]
	s_clause 0x3
	buffer_load_dword v140, off, s[0:3], 0 offset:424
	buffer_load_dword v141, off, s[0:3], 0 offset:416
	;; [unrolled: 1-line block ×4, first 2 shown]
	v_add_f32_e32 v3, v3, v142
	buffer_load_dword v142, off, s[0:3], 0 offset:48
	v_add_f32_e32 v2, v2, v146
	v_add_f32_e32 v3, v3, v153
	;; [unrolled: 1-line block ×4, first 2 shown]
	ds_read2_b64 v[2:5], v1 offset0:93 offset1:94
	v_add_f32_e32 v7, v7, v164
	v_add_f32_e32 v118, v118, v147
	;; [unrolled: 1-line block ×6, first 2 shown]
	ds_read2_b64 v[118:121], v1 offset0:95 offset1:96
	v_add_f32_e32 v7, v7, v163
	v_add_f32_e32 v124, v124, v155
	;; [unrolled: 1-line block ×8, first 2 shown]
	s_waitcnt vmcnt(27) lgkmcnt(1)
	v_mul_f32_e32 v146, v2, v122
	v_mul_f32_e32 v122, v3, v122
	v_fmac_f32_e32 v146, v3, v184
	v_add_f32_e32 v3, v124, v154
	v_fma_f32 v151, v2, v184, -v122
	v_add_f32_e32 v146, v156, v146
	v_add_f32_e32 v130, v3, v178
	s_waitcnt vmcnt(26)
	v_mul_f32_e32 v147, v4, v123
	v_add_f32_e32 v130, v130, v176
	v_mul_f32_e32 v123, v5, v123
	s_waitcnt vmcnt(25) lgkmcnt(0)
	v_mul_f32_e32 v153, v118, v8
	v_mul_f32_e32 v8, v119, v8
	v_add_f32_e32 v130, v130, v175
	v_fmac_f32_e32 v147, v5, v183
	v_fma_f32 v152, v4, v183, -v123
	ds_read2_b64 v[2:5], v1 offset0:97 offset1:98
	ds_read2_b64 v[122:125], v1 offset0:99 offset1:100
	v_fma_f32 v8, v118, v182, -v8
	v_add_f32_e32 v118, v130, v174
	s_waitcnt vmcnt(24)
	v_mul_f32_e32 v155, v121, v131
	v_mul_f32_e32 v154, v120, v131
	v_fmac_f32_e32 v153, v119, v182
	v_add_f32_e32 v146, v146, v147
	v_add_f32_e32 v161, v118, v186
	ds_read2_b64 v[126:129], v1 offset0:101 offset1:102
	ds_read2_b64 v[130:133], v1 offset0:103 offset1:104
	s_waitcnt vmcnt(20)
	v_fma_f32 v155, v120, v6, -v155
	v_fmac_f32_e32 v154, v121, v6
	v_add_f32_e32 v151, v161, v151
	v_add_f32_e32 v146, v146, v153
	ds_read2_b64 v[118:121], v1 offset0:105 offset1:106
	ds_read_b64 v[6:7], v1 offset:856
	v_add_f32_e32 v151, v151, v152
	v_add_f32_e32 v146, v146, v154
	s_waitcnt vmcnt(19) lgkmcnt(5)
	v_mul_f32_e32 v162, v2, v157
	v_mul_f32_e32 v157, v3, v157
	s_waitcnt vmcnt(18)
	v_mul_f32_e32 v163, v4, v158
	v_add_f32_e32 v8, v151, v8
	v_mul_f32_e32 v158, v5, v158
	v_fmac_f32_e32 v162, v3, v150
	v_fma_f32 v2, v2, v150, -v157
	s_waitcnt vmcnt(17) lgkmcnt(4)
	v_mul_f32_e32 v156, v122, v159
	v_add_f32_e32 v8, v8, v155
	v_mul_f32_e32 v155, v123, v159
	v_fma_f32 v4, v4, v149, -v158
	v_fmac_f32_e32 v163, v5, v149
	v_add_f32_e32 v5, v146, v162
	v_add_f32_e32 v2, v8, v2
	s_waitcnt vmcnt(16)
	v_mul_f32_e32 v8, v125, v137
	v_fma_f32 v122, v122, v148, -v155
	v_mul_f32_e32 v152, v124, v137
	v_fmac_f32_e32 v156, v123, v148
	v_add_f32_e32 v2, v2, v4
	v_add_f32_e32 v4, v5, v163
	s_waitcnt vmcnt(15) lgkmcnt(3)
	v_mul_f32_e32 v5, v127, v160
	v_mul_f32_e32 v161, v126, v160
	s_waitcnt vmcnt(14)
	v_mul_f32_e32 v147, v128, v165
	v_add_f32_e32 v2, v2, v122
	v_add_f32_e32 v4, v4, v156
	s_waitcnt vmcnt(5)
	v_fma_f32 v8, v124, v145, -v8
	v_fmac_f32_e32 v152, v125, v145
	v_mul_f32_e32 v122, v129, v165
	v_fma_f32 v5, v126, v139, -v5
	v_fmac_f32_e32 v161, v127, v139
	v_add_f32_e32 v2, v2, v8
	v_add_f32_e32 v4, v4, v152
	s_waitcnt lgkmcnt(2)
	v_mul_f32_e32 v8, v131, v167
	v_fma_f32 v122, v128, v138, -v122
	v_mul_f32_e32 v151, v130, v167
	v_add_f32_e32 v2, v2, v5
	v_fmac_f32_e32 v147, v129, v138
	v_add_f32_e32 v4, v4, v161
	v_mul_f32_e32 v5, v133, v135
	v_fma_f32 v8, v130, v134, -v8
	v_add_f32_e32 v2, v2, v122
	v_mul_f32_e32 v3, v132, v135
	v_fmac_f32_e32 v151, v131, v134
	v_add_f32_e32 v4, v4, v147
	s_waitcnt lgkmcnt(1)
	v_mul_f32_e32 v122, v119, v168
	s_waitcnt vmcnt(1)
	v_fma_f32 v5, v132, v144, -v5
	v_add_f32_e32 v2, v2, v8
	v_mul_f32_e32 v150, v118, v168
	v_fmac_f32_e32 v3, v133, v144
	v_add_f32_e32 v4, v4, v151
	v_mul_f32_e32 v8, v121, v136
	v_fma_f32 v118, v118, v143, -v122
	v_add_f32_e32 v2, v2, v5
	v_mul_f32_e32 v153, v120, v136
	v_fmac_f32_e32 v150, v119, v143
	v_add_f32_e32 v3, v4, v3
	s_waitcnt lgkmcnt(0)
	v_mul_f32_e32 v4, v7, v169
	v_fma_f32 v5, v120, v141, -v8
	v_add_f32_e32 v2, v2, v118
	v_mul_f32_e32 v154, v6, v169
	v_fmac_f32_e32 v153, v121, v141
	v_add_f32_e32 v3, v3, v150
	v_fma_f32 v4, v6, v140, -v4
	v_add_f32_e32 v2, v2, v5
	v_fmac_f32_e32 v154, v7, v140
	v_add_f32_e32 v3, v3, v153
	v_add_f32_e32 v2, v2, v4
	;; [unrolled: 1-line block ×3, first 2 shown]
	s_waitcnt vmcnt(0)
	v_sub_f32_e32 v2, v142, v2
	v_sub_f32_e32 v3, v166, v3
	buffer_store_dword v2, off, s[0:3], 0 offset:48
	buffer_store_dword v3, off, s[0:3], 0 offset:52
	v_cmpx_lt_u32_e32 5, v0
	s_cbranch_execz .LBB53_327
; %bb.326:
	s_clause 0x1
	buffer_load_dword v2, off, s[0:3], 0 offset:40
	buffer_load_dword v3, off, s[0:3], 0 offset:44
	buffer_store_dword v1, off, s[0:3], 0 offset:40
	buffer_store_dword v1, off, s[0:3], 0 offset:44
	s_waitcnt vmcnt(0)
	ds_write_b64 v117, v[2:3]
.LBB53_327:
	s_or_b32 exec_lo, exec_lo, s4
	s_waitcnt lgkmcnt(0)
	s_waitcnt_vscnt null, 0x0
	s_barrier
	buffer_gl0_inv
	s_clause 0x2c
	buffer_load_dword v148, off, s[0:3], 0 offset:52
	buffer_load_dword v149, off, s[0:3], 0 offset:60
	buffer_load_dword v2, off, s[0:3], 0 offset:64
	buffer_load_dword v7, off, s[0:3], 0 offset:56
	buffer_load_dword v119, off, s[0:3], 0 offset:48
	buffer_load_dword v4, off, s[0:3], 0 offset:68
	buffer_load_dword v5, off, s[0:3], 0 offset:76
	buffer_load_dword v3, off, s[0:3], 0 offset:96
	buffer_load_dword v6, off, s[0:3], 0 offset:88
	buffer_load_dword v118, off, s[0:3], 0 offset:80
	buffer_load_dword v122, off, s[0:3], 0 offset:72
	buffer_load_dword v121, off, s[0:3], 0 offset:84
	buffer_load_dword v120, off, s[0:3], 0 offset:92
	buffer_load_dword v8, off, s[0:3], 0 offset:100
	buffer_load_dword v123, off, s[0:3], 0 offset:108
	buffer_load_dword v124, off, s[0:3], 0 offset:128
	buffer_load_dword v125, off, s[0:3], 0 offset:120
	buffer_load_dword v127, off, s[0:3], 0 offset:112
	buffer_load_dword v131, off, s[0:3], 0 offset:104
	buffer_load_dword v129, off, s[0:3], 0 offset:116
	buffer_load_dword v128, off, s[0:3], 0 offset:124
	buffer_load_dword v126, off, s[0:3], 0 offset:132
	buffer_load_dword v130, off, s[0:3], 0 offset:140
	buffer_load_dword v132, off, s[0:3], 0 offset:160
	buffer_load_dword v133, off, s[0:3], 0 offset:152
	buffer_load_dword v135, off, s[0:3], 0 offset:144
	buffer_load_dword v139, off, s[0:3], 0 offset:136
	buffer_load_dword v137, off, s[0:3], 0 offset:148
	buffer_load_dword v136, off, s[0:3], 0 offset:156
	buffer_load_dword v134, off, s[0:3], 0 offset:164
	buffer_load_dword v138, off, s[0:3], 0 offset:172
	buffer_load_dword v140, off, s[0:3], 0 offset:192
	buffer_load_dword v141, off, s[0:3], 0 offset:184
	buffer_load_dword v143, off, s[0:3], 0 offset:176
	buffer_load_dword v147, off, s[0:3], 0 offset:168
	buffer_load_dword v145, off, s[0:3], 0 offset:180
	buffer_load_dword v144, off, s[0:3], 0 offset:188
	buffer_load_dword v142, off, s[0:3], 0 offset:196
	buffer_load_dword v146, off, s[0:3], 0 offset:204
	buffer_load_dword v151, off, s[0:3], 0 offset:224
	buffer_load_dword v152, off, s[0:3], 0 offset:216
	buffer_load_dword v153, off, s[0:3], 0 offset:208
	buffer_load_dword v156, off, s[0:3], 0 offset:200
	buffer_load_dword v155, off, s[0:3], 0 offset:212
	buffer_load_dword v154, off, s[0:3], 0 offset:220
	ds_read_b128 v[157:160], v1 offset:480
	ds_read_b128 v[161:164], v1 offset:496
	s_mov_b32 s4, exec_lo
	s_waitcnt vmcnt(44) lgkmcnt(1)
	v_mul_f32_e32 v150, v157, v148
	v_mul_f32_e32 v165, v158, v148
	s_waitcnt vmcnt(43)
	v_mul_f32_e32 v148, v159, v149
	v_mul_f32_e32 v166, v160, v149
	buffer_load_dword v149, off, s[0:3], 0 offset:44
	s_waitcnt vmcnt(41)
	v_fmac_f32_e32 v150, v158, v119
	v_fma_f32 v165, v157, v119, -v165
	v_fmac_f32_e32 v148, v160, v7
	v_fma_f32 v166, v159, v7, -v166
	ds_read_b128 v[157:160], v1 offset:512
	s_waitcnt vmcnt(40) lgkmcnt(1)
	v_mul_f32_e32 v167, v161, v4
	s_waitcnt vmcnt(39)
	v_mul_f32_e32 v168, v163, v5
	v_mul_f32_e32 v4, v162, v4
	;; [unrolled: 1-line block ×3, first 2 shown]
	v_fmac_f32_e32 v167, v162, v2
	s_waitcnt vmcnt(35)
	v_fmac_f32_e32 v168, v164, v122
	v_fma_f32 v169, v161, v2, -v4
	v_fma_f32 v122, v163, v122, -v5
	ds_read_b128 v[161:164], v1 offset:528
	s_waitcnt vmcnt(34) lgkmcnt(1)
	v_mul_f32_e32 v170, v157, v121
	s_waitcnt vmcnt(33)
	v_mul_f32_e32 v171, v159, v120
	v_mul_f32_e32 v4, v160, v120
	;; [unrolled: 1-line block ×3, first 2 shown]
	v_fmac_f32_e32 v170, v158, v118
	v_fmac_f32_e32 v171, v160, v6
	v_fma_f32 v158, v159, v6, -v4
	ds_read_b128 v[4:7], v1 offset:544
	v_fma_f32 v157, v157, v118, -v2
	s_waitcnt vmcnt(32) lgkmcnt(1)
	v_mul_f32_e32 v159, v161, v8
	v_mul_f32_e32 v2, v162, v8
	s_waitcnt vmcnt(31)
	v_mul_f32_e32 v8, v163, v123
	v_mul_f32_e32 v118, v164, v123
	v_fmac_f32_e32 v159, v162, v3
	v_fma_f32 v123, v161, v3, -v2
	s_waitcnt vmcnt(27)
	v_fmac_f32_e32 v8, v164, v131
	v_fma_f32 v131, v163, v131, -v118
	ds_read_b128 v[118:121], v1 offset:560
	buffer_load_dword v161, off, s[0:3], 0 offset:236
	s_waitcnt vmcnt(27) lgkmcnt(1)
	v_mul_f32_e32 v160, v4, v129
	v_mul_f32_e32 v2, v5, v129
	s_waitcnt vmcnt(26)
	v_mul_f32_e32 v3, v7, v128
	v_mul_f32_e32 v129, v6, v128
	v_fmac_f32_e32 v160, v5, v127
	v_fma_f32 v127, v4, v127, -v2
	v_fma_f32 v6, v6, v125, -v3
	ds_read_b128 v[2:5], v1 offset:576
	v_fmac_f32_e32 v129, v7, v125
	s_waitcnt vmcnt(25) lgkmcnt(1)
	v_mul_f32_e32 v7, v118, v126
	v_mul_f32_e32 v125, v119, v126
	s_waitcnt vmcnt(24)
	v_mul_f32_e32 v126, v120, v130
	v_mul_f32_e32 v128, v121, v130
	v_fmac_f32_e32 v7, v119, v124
	v_fma_f32 v124, v118, v124, -v125
	s_waitcnt vmcnt(20)
	v_fmac_f32_e32 v126, v121, v139
	v_fma_f32 v125, v120, v139, -v128
	ds_read_b128 v[118:121], v1 offset:592
	s_waitcnt vmcnt(19) lgkmcnt(1)
	v_mul_f32_e32 v128, v2, v137
	v_mul_f32_e32 v130, v3, v137
	s_waitcnt vmcnt(18)
	v_mul_f32_e32 v137, v4, v136
	v_mul_f32_e32 v136, v5, v136
	v_fmac_f32_e32 v128, v3, v135
	v_fma_f32 v130, v2, v135, -v130
	v_fmac_f32_e32 v137, v5, v133
	v_fma_f32 v133, v4, v133, -v136
	ds_read_b128 v[2:5], v1 offset:608
	s_waitcnt vmcnt(17) lgkmcnt(1)
	v_mul_f32_e32 v135, v118, v134
	v_mul_f32_e32 v134, v119, v134
	s_waitcnt vmcnt(16)
	v_mul_f32_e32 v136, v120, v138
	v_mul_f32_e32 v138, v121, v138
	v_fmac_f32_e32 v135, v119, v132
	v_fma_f32 v132, v118, v132, -v134
	s_waitcnt vmcnt(12)
	v_fmac_f32_e32 v136, v121, v147
	v_fma_f32 v134, v120, v147, -v138
	ds_read_b128 v[118:121], v1 offset:624
	buffer_load_dword v147, off, s[0:3], 0 offset:228
	s_waitcnt vmcnt(12) lgkmcnt(1)
	v_mul_f32_e32 v138, v2, v145
	v_mul_f32_e32 v139, v3, v145
	s_waitcnt vmcnt(11)
	v_mul_f32_e32 v145, v4, v144
	v_mul_f32_e32 v144, v5, v144
	v_fmac_f32_e32 v138, v3, v143
	v_fma_f32 v139, v2, v143, -v139
	v_fmac_f32_e32 v145, v5, v141
	v_fma_f32 v141, v4, v141, -v144
	ds_read_b128 v[2:5], v1 offset:640
	s_waitcnt vmcnt(10) lgkmcnt(1)
	v_mul_f32_e32 v143, v118, v142
	v_mul_f32_e32 v142, v119, v142
	s_waitcnt vmcnt(9)
	v_mul_f32_e32 v144, v120, v146
	v_mul_f32_e32 v146, v121, v146
	v_fmac_f32_e32 v143, v119, v140
	v_fma_f32 v140, v118, v140, -v142
	s_waitcnt vmcnt(5)
	v_fmac_f32_e32 v144, v121, v156
	v_fma_f32 v142, v120, v156, -v146
	ds_read_b128 v[118:121], v1 offset:656
	s_waitcnt vmcnt(4) lgkmcnt(1)
	v_mul_f32_e32 v146, v2, v155
	v_mul_f32_e32 v155, v3, v155
	s_waitcnt vmcnt(3)
	v_mul_f32_e32 v156, v4, v154
	v_mul_f32_e32 v154, v5, v154
	v_fmac_f32_e32 v146, v3, v153
	v_fma_f32 v153, v2, v153, -v155
	v_fmac_f32_e32 v156, v5, v152
	v_fma_f32 v152, v4, v152, -v154
	s_clause 0x4
	buffer_load_dword v154, off, s[0:3], 0 offset:256
	buffer_load_dword v155, off, s[0:3], 0 offset:248
	;; [unrolled: 1-line block ×5, first 2 shown]
	s_waitcnt vmcnt(5) lgkmcnt(0)
	v_mul_f32_e32 v164, v118, v147
	v_mul_f32_e32 v3, v119, v147
	v_fmac_f32_e32 v164, v119, v151
	v_fma_f32 v147, v118, v151, -v3
	v_mul_f32_e32 v151, v120, v161
	v_mul_f32_e32 v3, v121, v161
	s_waitcnt vmcnt(1)
	v_fmac_f32_e32 v151, v121, v2
	v_fma_f32 v161, v120, v2, -v3
	ds_read_b128 v[2:5], v1 offset:672
	ds_read_b128 v[118:121], v1 offset:688
	s_waitcnt vmcnt(0) lgkmcnt(1)
	v_mul_f32_e32 v172, v2, v163
	v_mul_f32_e32 v163, v3, v163
	v_fmac_f32_e32 v172, v3, v162
	v_fma_f32 v162, v2, v162, -v163
	buffer_load_dword v2, off, s[0:3], 0 offset:252
	s_waitcnt vmcnt(0)
	v_mul_f32_e32 v163, v4, v2
	v_mul_f32_e32 v2, v5, v2
	v_fmac_f32_e32 v163, v5, v155
	v_fma_f32 v155, v4, v155, -v2
	buffer_load_dword v2, off, s[0:3], 0 offset:260
	s_waitcnt vmcnt(0) lgkmcnt(0)
	v_mul_f32_e32 v173, v118, v2
	v_mul_f32_e32 v2, v119, v2
	v_fmac_f32_e32 v173, v119, v154
	v_fma_f32 v154, v118, v154, -v2
	s_clause 0x5
	buffer_load_dword v2, off, s[0:3], 0 offset:268
	buffer_load_dword v174, off, s[0:3], 0 offset:288
	;; [unrolled: 1-line block ×6, first 2 shown]
	s_waitcnt vmcnt(5)
	v_mul_f32_e32 v177, v120, v2
	v_mul_f32_e32 v2, v121, v2
	s_waitcnt vmcnt(1)
	v_fmac_f32_e32 v177, v121, v3
	v_fma_f32 v178, v120, v3, -v2
	ds_read_b128 v[2:5], v1 offset:704
	ds_read_b128 v[118:121], v1 offset:720
	s_waitcnt vmcnt(0) lgkmcnt(1)
	v_mul_f32_e32 v180, v2, v179
	v_mul_f32_e32 v179, v3, v179
	v_fmac_f32_e32 v180, v3, v176
	v_fma_f32 v176, v2, v176, -v179
	buffer_load_dword v2, off, s[0:3], 0 offset:284
	v_add_f32_e32 v3, 0, v165
	v_add_f32_e32 v3, v3, v166
	;; [unrolled: 1-line block ×22, first 2 shown]
	s_waitcnt vmcnt(0)
	v_mul_f32_e32 v179, v4, v2
	v_mul_f32_e32 v2, v5, v2
	v_fmac_f32_e32 v179, v5, v175
	v_fma_f32 v175, v4, v175, -v2
	s_clause 0x1
	buffer_load_dword v4, off, s[0:3], 0 offset:292
	buffer_load_dword v5, off, s[0:3], 0 offset:300
	v_add_f32_e32 v2, 0, v150
	v_add_f32_e32 v2, v2, v148
	;; [unrolled: 1-line block ×8, first 2 shown]
	s_clause 0x6
	buffer_load_dword v8, off, s[0:3], 0 offset:320
	buffer_load_dword v122, off, s[0:3], 0 offset:312
	;; [unrolled: 1-line block ×7, first 2 shown]
	v_add_f32_e32 v2, v2, v160
	v_add_f32_e32 v2, v2, v129
	;; [unrolled: 1-line block ×3, first 2 shown]
	buffer_load_dword v7, off, s[0:3], 0 offset:332
	v_add_f32_e32 v2, v2, v126
	s_clause 0x7
	buffer_load_dword v157, off, s[0:3], 0 offset:352
	buffer_load_dword v158, off, s[0:3], 0 offset:344
	;; [unrolled: 1-line block ×8, first 2 shown]
	v_add_f32_e32 v2, v2, v128
	s_clause 0x2
	buffer_load_dword v168, off, s[0:3], 0 offset:372
	buffer_load_dword v169, off, s[0:3], 0 offset:380
	;; [unrolled: 1-line block ×3, first 2 shown]
	v_add_f32_e32 v2, v2, v137
	v_add_f32_e32 v2, v2, v135
	;; [unrolled: 1-line block ×9, first 2 shown]
	s_waitcnt vmcnt(20) lgkmcnt(0)
	v_mul_f32_e32 v129, v118, v4
	v_mul_f32_e32 v4, v119, v4
	s_waitcnt vmcnt(19)
	v_mul_f32_e32 v130, v120, v5
	v_fmac_f32_e32 v129, v119, v174
	v_fma_f32 v150, v118, v174, -v4
	s_clause 0xe
	buffer_load_dword v171, off, s[0:3], 0 offset:396
	buffer_load_dword v174, off, s[0:3], 0 offset:404
	;; [unrolled: 1-line block ×15, first 2 shown]
	v_mul_f32_e32 v4, v121, v5
	v_add_f32_e32 v118, v2, v164
	v_add_f32_e32 v119, v3, v147
	;; [unrolled: 1-line block ×8, first 2 shown]
	s_waitcnt vmcnt(30)
	v_fma_f32 v137, v120, v131, -v4
	ds_read_b128 v[2:5], v1 offset:736
	v_fmac_f32_e32 v130, v121, v131
	ds_read_b128 v[118:121], v1 offset:752
	s_waitcnt vmcnt(29) lgkmcnt(1)
	v_mul_f32_e32 v134, v2, v148
	v_mul_f32_e32 v128, v3, v148
	s_waitcnt vmcnt(28)
	v_mul_f32_e32 v147, v4, v127
	v_mul_f32_e32 v127, v5, v127
	s_waitcnt vmcnt(27) lgkmcnt(0)
	v_mul_f32_e32 v152, v118, v6
	v_fmac_f32_e32 v134, v3, v123
	v_fma_f32 v148, v2, v123, -v128
	v_add_f32_e32 v123, v124, v173
	v_fma_f32 v151, v4, v122, -v127
	v_add_f32_e32 v127, v125, v154
	v_fmac_f32_e32 v147, v5, v122
	ds_read_b128 v[2:5], v1 offset:768
	v_add_f32_e32 v128, v123, v177
	v_mul_f32_e32 v6, v119, v6
	v_add_f32_e32 v127, v127, v178
	v_fmac_f32_e32 v152, v119, v8
	ds_read_b128 v[122:125], v1 offset:784
	v_add_f32_e32 v128, v128, v180
	v_fma_f32 v6, v118, v8, -v6
	v_add_f32_e32 v127, v127, v176
	s_waitcnt vmcnt(26)
	v_mul_f32_e32 v154, v120, v7
	v_mul_f32_e32 v7, v121, v7
	v_add_f32_e32 v119, v128, v179
	v_add_f32_e32 v8, v127, v175
	s_waitcnt vmcnt(22)
	v_fmac_f32_e32 v154, v121, v126
	v_fma_f32 v7, v120, v126, -v7
	v_add_f32_e32 v131, v119, v129
	ds_read_b128 v[118:121], v1 offset:800
	ds_read_b128 v[126:129], v1 offset:816
	v_add_f32_e32 v8, v8, v150
	s_waitcnt vmcnt(21) lgkmcnt(3)
	v_mul_f32_e32 v150, v2, v160
	v_mul_f32_e32 v135, v3, v160
	v_add_f32_e32 v136, v131, v130
	v_add_f32_e32 v8, v8, v137
	ds_read_b128 v[130:133], v1 offset:832
	v_fmac_f32_e32 v150, v3, v159
	v_fma_f32 v2, v2, v159, -v135
	v_add_f32_e32 v3, v136, v134
	ds_read_b128 v[134:137], v1 offset:848
	v_add_f32_e32 v1, v8, v148
	s_waitcnt vmcnt(20)
	v_mul_f32_e32 v148, v5, v165
	v_mul_f32_e32 v8, v4, v165
	v_add_f32_e32 v3, v3, v147
	s_waitcnt vmcnt(19) lgkmcnt(4)
	v_mul_f32_e32 v155, v123, v166
	v_add_f32_e32 v1, v1, v151
	v_fma_f32 v4, v4, v158, -v148
	v_mul_f32_e32 v147, v122, v166
	v_add_f32_e32 v3, v3, v152
	v_fmac_f32_e32 v8, v5, v158
	v_add_f32_e32 v1, v1, v6
	v_fma_f32 v122, v122, v157, -v155
	s_waitcnt vmcnt(18)
	v_mul_f32_e32 v151, v124, v167
	v_add_f32_e32 v3, v3, v154
	v_fmac_f32_e32 v147, v123, v157
	v_add_f32_e32 v1, v1, v7
	v_mul_f32_e32 v7, v125, v167
	s_waitcnt vmcnt(17) lgkmcnt(3)
	v_mul_f32_e32 v5, v118, v168
	s_waitcnt vmcnt(16)
	v_mul_f32_e32 v148, v120, v169
	s_waitcnt vmcnt(15) lgkmcnt(2)
	v_mul_f32_e32 v6, v126, v170
	v_add_f32_e32 v1, v1, v2
	v_add_f32_e32 v2, v3, v150
	;; [unrolled: 1-line block ×4, first 2 shown]
	v_mul_f32_e32 v4, v119, v168
	v_mul_f32_e32 v8, v121, v169
	v_add_f32_e32 v1, v1, v122
	v_add_f32_e32 v2, v2, v147
	s_waitcnt vmcnt(14)
	v_mul_f32_e32 v152, v128, v171
	s_waitcnt vmcnt(13) lgkmcnt(1)
	v_mul_f32_e32 v156, v130, v174
	s_waitcnt vmcnt(9)
	v_fmac_f32_e32 v6, v127, v139
	s_waitcnt vmcnt(8)
	v_fma_f32 v8, v120, v141, -v8
	s_waitcnt vmcnt(7)
	v_fma_f32 v4, v118, v145, -v4
	;; [unrolled: 2-line block ×3, first 2 shown]
	v_fmac_f32_e32 v151, v125, v183
	v_fmac_f32_e32 v5, v119, v145
	;; [unrolled: 1-line block ×3, first 2 shown]
	s_waitcnt vmcnt(2)
	v_fmac_f32_e32 v152, v129, v144
	v_add_f32_e32 v1, v1, v7
	v_add_f32_e32 v2, v2, v151
	v_mul_f32_e32 v7, v127, v170
	v_mul_f32_e32 v154, v132, v181
	v_fmac_f32_e32 v156, v131, v143
	v_add_f32_e32 v1, v1, v4
	v_add_f32_e32 v2, v2, v5
	v_mul_f32_e32 v4, v129, v171
	v_fma_f32 v5, v126, v139, -v7
	v_mul_f32_e32 v7, v131, v174
	v_add_f32_e32 v1, v1, v8
	v_add_f32_e32 v2, v2, v148
	v_fma_f32 v4, v128, v144, -v4
	s_waitcnt lgkmcnt(0)
	v_mul_f32_e32 v158, v134, v182
	v_fmac_f32_e32 v154, v133, v142
	v_add_f32_e32 v1, v1, v5
	v_add_f32_e32 v2, v2, v6
	v_mul_f32_e32 v5, v133, v181
	v_fma_f32 v6, v130, v143, -v7
	v_mul_f32_e32 v3, v136, v138
	v_add_f32_e32 v1, v1, v4
	v_add_f32_e32 v2, v2, v152
	v_mul_f32_e32 v4, v135, v182
	v_fma_f32 v5, v132, v142, -v5
	v_fmac_f32_e32 v158, v135, v140
	v_add_f32_e32 v1, v1, v6
	v_add_f32_e32 v2, v2, v156
	v_mul_f32_e32 v6, v137, v138
	v_fma_f32 v4, v134, v140, -v4
	s_waitcnt vmcnt(1)
	v_fmac_f32_e32 v3, v137, v146
	v_add_f32_e32 v1, v1, v5
	v_add_f32_e32 v2, v2, v154
	v_fma_f32 v5, v136, v146, -v6
	v_add_f32_e32 v1, v1, v4
	v_add_f32_e32 v2, v2, v158
	;; [unrolled: 1-line block ×4, first 2 shown]
	s_waitcnt vmcnt(0)
	v_sub_f32_e32 v1, v153, v1
	v_sub_f32_e32 v2, v149, v2
	buffer_store_dword v1, off, s[0:3], 0 offset:40
	buffer_store_dword v2, off, s[0:3], 0 offset:44
	v_cmpx_lt_u32_e32 4, v0
	s_cbranch_execz .LBB53_329
; %bb.328:
	s_clause 0x1
	buffer_load_dword v1, off, s[0:3], 0 offset:32
	buffer_load_dword v2, off, s[0:3], 0 offset:36
	v_mov_b32_e32 v3, 0
	buffer_store_dword v3, off, s[0:3], 0 offset:32
	buffer_store_dword v3, off, s[0:3], 0 offset:36
	s_waitcnt vmcnt(0)
	ds_write_b64 v117, v[1:2]
.LBB53_329:
	s_or_b32 exec_lo, exec_lo, s4
	s_waitcnt lgkmcnt(0)
	s_waitcnt_vscnt null, 0x0
	s_barrier
	buffer_gl0_inv
	s_clause 0x2c
	buffer_load_dword v148, off, s[0:3], 0 offset:44
	buffer_load_dword v149, off, s[0:3], 0 offset:52
	;; [unrolled: 1-line block ×45, first 2 shown]
	v_mov_b32_e32 v1, 0
	ds_read2_b64 v[157:160], v1 offset0:59 offset1:60
	ds_read2_b64 v[161:164], v1 offset0:61 offset1:62
	s_mov_b32 s4, exec_lo
	s_waitcnt vmcnt(44) lgkmcnt(1)
	v_mul_f32_e32 v150, v157, v148
	v_mul_f32_e32 v165, v158, v148
	s_waitcnt vmcnt(43)
	v_mul_f32_e32 v148, v159, v149
	v_mul_f32_e32 v166, v160, v149
	buffer_load_dword v149, off, s[0:3], 0 offset:36
	s_waitcnt vmcnt(41)
	v_fmac_f32_e32 v150, v158, v119
	v_fma_f32 v165, v157, v119, -v165
	v_fmac_f32_e32 v148, v160, v7
	v_fma_f32 v166, v159, v7, -v166
	ds_read2_b64 v[157:160], v1 offset0:63 offset1:64
	s_waitcnt vmcnt(40) lgkmcnt(1)
	v_mul_f32_e32 v167, v161, v4
	s_waitcnt vmcnt(39)
	v_mul_f32_e32 v168, v163, v5
	v_mul_f32_e32 v4, v162, v4
	;; [unrolled: 1-line block ×3, first 2 shown]
	v_fmac_f32_e32 v167, v162, v2
	s_waitcnt vmcnt(35)
	v_fmac_f32_e32 v168, v164, v122
	v_fma_f32 v169, v161, v2, -v4
	v_fma_f32 v122, v163, v122, -v5
	ds_read2_b64 v[161:164], v1 offset0:65 offset1:66
	s_waitcnt vmcnt(34) lgkmcnt(1)
	v_mul_f32_e32 v170, v157, v121
	s_waitcnt vmcnt(33)
	v_mul_f32_e32 v171, v159, v120
	v_mul_f32_e32 v4, v160, v120
	;; [unrolled: 1-line block ×3, first 2 shown]
	v_fmac_f32_e32 v170, v158, v118
	v_fmac_f32_e32 v171, v160, v6
	v_fma_f32 v158, v159, v6, -v4
	ds_read2_b64 v[4:7], v1 offset0:67 offset1:68
	v_fma_f32 v157, v157, v118, -v2
	s_waitcnt vmcnt(32) lgkmcnt(1)
	v_mul_f32_e32 v159, v161, v8
	v_mul_f32_e32 v2, v162, v8
	s_waitcnt vmcnt(31)
	v_mul_f32_e32 v8, v163, v123
	v_mul_f32_e32 v118, v164, v123
	v_fmac_f32_e32 v159, v162, v3
	v_fma_f32 v123, v161, v3, -v2
	s_waitcnt vmcnt(27)
	v_fmac_f32_e32 v8, v164, v131
	v_fma_f32 v131, v163, v131, -v118
	ds_read2_b64 v[118:121], v1 offset0:69 offset1:70
	buffer_load_dword v161, off, s[0:3], 0 offset:228
	s_waitcnt vmcnt(27) lgkmcnt(1)
	v_mul_f32_e32 v160, v4, v129
	v_mul_f32_e32 v2, v5, v129
	s_waitcnt vmcnt(26)
	v_mul_f32_e32 v3, v7, v128
	v_mul_f32_e32 v129, v6, v128
	v_fmac_f32_e32 v160, v5, v127
	v_fma_f32 v127, v4, v127, -v2
	v_fma_f32 v6, v6, v125, -v3
	ds_read2_b64 v[2:5], v1 offset0:71 offset1:72
	v_fmac_f32_e32 v129, v7, v125
	s_waitcnt vmcnt(25) lgkmcnt(1)
	v_mul_f32_e32 v7, v118, v126
	v_mul_f32_e32 v125, v119, v126
	s_waitcnt vmcnt(24)
	v_mul_f32_e32 v126, v120, v130
	v_mul_f32_e32 v128, v121, v130
	v_fmac_f32_e32 v7, v119, v124
	v_fma_f32 v124, v118, v124, -v125
	s_waitcnt vmcnt(20)
	v_fmac_f32_e32 v126, v121, v139
	v_fma_f32 v125, v120, v139, -v128
	ds_read2_b64 v[118:121], v1 offset0:73 offset1:74
	s_waitcnt vmcnt(19) lgkmcnt(1)
	v_mul_f32_e32 v128, v2, v137
	v_mul_f32_e32 v130, v3, v137
	s_waitcnt vmcnt(18)
	v_mul_f32_e32 v137, v4, v136
	v_mul_f32_e32 v136, v5, v136
	v_fmac_f32_e32 v128, v3, v135
	v_fma_f32 v130, v2, v135, -v130
	v_fmac_f32_e32 v137, v5, v133
	v_fma_f32 v133, v4, v133, -v136
	ds_read2_b64 v[2:5], v1 offset0:75 offset1:76
	s_waitcnt vmcnt(17) lgkmcnt(1)
	v_mul_f32_e32 v135, v118, v134
	v_mul_f32_e32 v134, v119, v134
	s_waitcnt vmcnt(16)
	v_mul_f32_e32 v136, v120, v138
	v_mul_f32_e32 v138, v121, v138
	v_fmac_f32_e32 v135, v119, v132
	v_fma_f32 v132, v118, v132, -v134
	s_waitcnt vmcnt(12)
	v_fmac_f32_e32 v136, v121, v146
	v_fma_f32 v134, v120, v146, -v138
	ds_read2_b64 v[118:121], v1 offset0:77 offset1:78
	s_waitcnt vmcnt(11) lgkmcnt(1)
	v_mul_f32_e32 v138, v2, v145
	v_mul_f32_e32 v139, v3, v145
	s_waitcnt vmcnt(10)
	v_mul_f32_e32 v145, v4, v144
	v_mul_f32_e32 v144, v5, v144
	v_fmac_f32_e32 v138, v3, v143
	v_fma_f32 v139, v2, v143, -v139
	v_fmac_f32_e32 v145, v5, v141
	v_fma_f32 v141, v4, v141, -v144
	ds_read2_b64 v[2:5], v1 offset0:79 offset1:80
	s_waitcnt vmcnt(8) lgkmcnt(1)
	v_mul_f32_e32 v144, v120, v147
	v_mul_f32_e32 v146, v121, v147
	buffer_load_dword v147, off, s[0:3], 0 offset:220
	v_mul_f32_e32 v143, v118, v142
	v_mul_f32_e32 v142, v119, v142
	s_waitcnt vmcnt(5)
	v_fmac_f32_e32 v144, v121, v156
	v_fmac_f32_e32 v143, v119, v140
	v_fma_f32 v140, v118, v140, -v142
	v_fma_f32 v142, v120, v156, -v146
	ds_read2_b64 v[118:121], v1 offset0:81 offset1:82
	s_waitcnt vmcnt(4) lgkmcnt(1)
	v_mul_f32_e32 v146, v2, v155
	v_mul_f32_e32 v155, v3, v155
	s_waitcnt vmcnt(3)
	v_mul_f32_e32 v156, v4, v154
	v_mul_f32_e32 v154, v5, v154
	v_fmac_f32_e32 v146, v3, v153
	v_fma_f32 v153, v2, v153, -v155
	v_fmac_f32_e32 v156, v5, v152
	v_fma_f32 v152, v4, v152, -v154
	s_clause 0x4
	buffer_load_dword v154, off, s[0:3], 0 offset:248
	buffer_load_dword v155, off, s[0:3], 0 offset:240
	;; [unrolled: 1-line block ×5, first 2 shown]
	s_waitcnt vmcnt(5) lgkmcnt(0)
	v_mul_f32_e32 v164, v118, v147
	v_mul_f32_e32 v3, v119, v147
	v_fmac_f32_e32 v164, v119, v151
	v_fma_f32 v147, v118, v151, -v3
	v_mul_f32_e32 v151, v120, v161
	v_mul_f32_e32 v3, v121, v161
	s_waitcnt vmcnt(1)
	v_fmac_f32_e32 v151, v121, v2
	v_fma_f32 v161, v120, v2, -v3
	ds_read2_b64 v[2:5], v1 offset0:83 offset1:84
	ds_read2_b64 v[118:121], v1 offset0:85 offset1:86
	s_waitcnt vmcnt(0) lgkmcnt(1)
	v_mul_f32_e32 v172, v2, v163
	v_mul_f32_e32 v163, v3, v163
	v_fmac_f32_e32 v172, v3, v162
	v_fma_f32 v162, v2, v162, -v163
	s_clause 0x1
	buffer_load_dword v2, off, s[0:3], 0 offset:244
	buffer_load_dword v3, off, s[0:3], 0 offset:252
	s_waitcnt vmcnt(1)
	v_mul_f32_e32 v163, v4, v2
	v_mul_f32_e32 v2, v5, v2
	v_fmac_f32_e32 v163, v5, v155
	v_fma_f32 v155, v4, v155, -v2
	v_add_f32_e32 v4, 0, v165
	v_add_f32_e32 v2, 0, v150
	;; [unrolled: 1-line block ×4, first 2 shown]
	buffer_load_dword v148, off, s[0:3], 0 offset:260
	v_add_f32_e32 v4, v4, v169
	v_add_f32_e32 v2, v2, v167
	;; [unrolled: 1-line block ×3, first 2 shown]
	s_clause 0x4
	buffer_load_dword v122, off, s[0:3], 0 offset:280
	buffer_load_dword v150, off, s[0:3], 0 offset:272
	buffer_load_dword v165, off, s[0:3], 0 offset:264
	buffer_load_dword v166, off, s[0:3], 0 offset:256
	buffer_load_dword v167, off, s[0:3], 0 offset:268
	v_add_f32_e32 v2, v2, v168
	buffer_load_dword v168, off, s[0:3], 0 offset:284
	v_add_f32_e32 v4, v4, v157
	buffer_load_dword v157, off, s[0:3], 0 offset:276
	v_add_f32_e32 v2, v2, v170
	v_add_f32_e32 v4, v4, v158
	buffer_load_dword v158, off, s[0:3], 0 offset:292
	v_add_f32_e32 v2, v2, v171
	v_add_f32_e32 v4, v4, v123
	;; [unrolled: 1-line block ×5, first 2 shown]
	s_clause 0x3
	buffer_load_dword v8, off, s[0:3], 0 offset:312
	buffer_load_dword v123, off, s[0:3], 0 offset:304
	;; [unrolled: 1-line block ×4, first 2 shown]
	v_add_f32_e32 v4, v4, v127
	s_waitcnt vmcnt(13) lgkmcnt(0)
	v_mul_f32_e32 v127, v118, v3
	v_mul_f32_e32 v3, v119, v3
	v_add_f32_e32 v2, v2, v160
	buffer_load_dword v160, off, s[0:3], 0 offset:300
	v_add_f32_e32 v6, v4, v6
	v_fmac_f32_e32 v127, v119, v154
	v_add_f32_e32 v2, v2, v129
	v_fma_f32 v129, v118, v154, -v3
	v_add_f32_e32 v6, v6, v124
	buffer_load_dword v124, off, s[0:3], 0 offset:308
	v_add_f32_e32 v7, v2, v7
	ds_read2_b64 v[2:5], v1 offset0:87 offset1:88
	v_add_f32_e32 v6, v6, v125
	buffer_load_dword v125, off, s[0:3], 0 offset:316
	v_add_f32_e32 v7, v7, v126
	v_add_f32_e32 v6, v6, v130
	;; [unrolled: 1-line block ×3, first 2 shown]
	buffer_load_dword v128, off, s[0:3], 0 offset:324
	v_add_f32_e32 v6, v6, v133
	v_add_f32_e32 v7, v7, v137
	;; [unrolled: 1-line block ×3, first 2 shown]
	s_waitcnt vmcnt(16)
	v_mul_f32_e32 v126, v120, v148
	v_mul_f32_e32 v118, v121, v148
	s_waitcnt vmcnt(12)
	v_fmac_f32_e32 v126, v121, v166
	v_fma_f32 v148, v120, v166, -v118
	ds_read2_b64 v[118:121], v1 offset0:89 offset1:90
	s_waitcnt vmcnt(11) lgkmcnt(1)
	v_mul_f32_e32 v137, v3, v167
	v_mul_f32_e32 v130, v2, v167
	s_clause 0x3
	buffer_load_dword v135, off, s[0:3], 0 offset:344
	buffer_load_dword v154, off, s[0:3], 0 offset:336
	;; [unrolled: 1-line block ×4, first 2 shown]
	v_fma_f32 v137, v2, v165, -v137
	v_add_f32_e32 v2, v6, v132
	s_clause 0x1
	buffer_load_dword v6, off, s[0:3], 0 offset:332
	buffer_load_dword v132, off, s[0:3], 0 offset:340
	v_fmac_f32_e32 v130, v3, v165
	v_add_f32_e32 v3, v7, v136
	s_waitcnt vmcnt(15)
	v_mul_f32_e32 v7, v4, v157
	v_add_f32_e32 v2, v2, v134
	buffer_load_dword v134, off, s[0:3], 0 offset:348
	v_mul_f32_e32 v136, v5, v157
	v_add_f32_e32 v3, v3, v138
	v_fmac_f32_e32 v7, v5, v150
	v_add_f32_e32 v138, v2, v139
	v_fma_f32 v136, v4, v150, -v136
	v_add_f32_e32 v145, v3, v145
	s_waitcnt lgkmcnt(0)
	v_mul_f32_e32 v167, v119, v168
	v_add_f32_e32 v138, v138, v141
	v_mul_f32_e32 v141, v118, v168
	s_clause 0x3
	buffer_load_dword v139, off, s[0:3], 0 offset:356
	buffer_load_dword v150, off, s[0:3], 0 offset:364
	buffer_load_dword v157, off, s[0:3], 0 offset:372
	buffer_load_dword v165, off, s[0:3], 0 offset:380
	v_add_f32_e32 v143, v145, v143
	ds_read2_b64 v[2:5], v1 offset0:91 offset1:92
	v_add_f32_e32 v138, v138, v140
	s_waitcnt vmcnt(19)
	v_mul_f32_e32 v145, v120, v158
	v_mul_f32_e32 v140, v121, v158
	v_fma_f32 v158, v118, v122, -v167
	v_add_f32_e32 v118, v143, v144
	v_fmac_f32_e32 v141, v119, v122
	v_add_f32_e32 v119, v138, v142
	s_clause 0x3
	buffer_load_dword v138, off, s[0:3], 0 offset:388
	buffer_load_dword v142, off, s[0:3], 0 offset:396
	;; [unrolled: 1-line block ×4, first 2 shown]
	s_waitcnt vmcnt(19)
	v_fmac_f32_e32 v145, v121, v159
	v_add_f32_e32 v118, v118, v146
	v_fma_f32 v140, v120, v159, -v140
	buffer_load_dword v159, off, s[0:3], 0 offset:420
	v_add_f32_e32 v119, v119, v153
	s_clause 0x4
	buffer_load_dword v146, off, s[0:3], 0 offset:376
	buffer_load_dword v153, off, s[0:3], 0 offset:368
	;; [unrolled: 1-line block ×5, first 2 shown]
	v_add_f32_e32 v118, v118, v156
	v_add_f32_e32 v122, v119, v152
	v_add_f32_e32 v152, v118, v164
	s_waitcnt vmcnt(24) lgkmcnt(0)
	v_mul_f32_e32 v156, v3, v160
	ds_read2_b64 v[118:121], v1 offset0:93 offset1:94
	v_add_f32_e32 v122, v122, v147
	v_mul_f32_e32 v147, v2, v160
	v_add_f32_e32 v151, v152, v151
	v_fmac_f32_e32 v147, v3, v131
	v_fma_f32 v131, v2, v131, -v156
	v_add_f32_e32 v3, v151, v172
	s_clause 0x3
	buffer_load_dword v151, off, s[0:3], 0 offset:408
	buffer_load_dword v152, off, s[0:3], 0 offset:400
	buffer_load_dword v156, off, s[0:3], 0 offset:392
	buffer_load_dword v160, off, s[0:3], 0 offset:384
	v_add_f32_e32 v2, v122, v161
	v_add_f32_e32 v3, v3, v163
	s_waitcnt vmcnt(27)
	v_mul_f32_e32 v163, v4, v124
	v_add_f32_e32 v2, v2, v162
	s_clause 0x1
	buffer_load_dword v161, off, s[0:3], 0 offset:424
	buffer_load_dword v162, off, s[0:3], 0 offset:416
	v_add_f32_e32 v122, v3, v127
	v_mul_f32_e32 v3, v5, v124
	v_add_f32_e32 v2, v2, v155
	buffer_load_dword v155, off, s[0:3], 0 offset:32
	v_fmac_f32_e32 v163, v5, v123
	v_add_f32_e32 v122, v122, v126
	v_fma_f32 v164, v4, v123, -v3
	v_add_f32_e32 v124, v2, v129
	ds_read2_b64 v[2:5], v1 offset0:95 offset1:96
	s_waitcnt vmcnt(29) lgkmcnt(1)
	v_mul_f32_e32 v126, v119, v125
	v_add_f32_e32 v127, v122, v130
	s_waitcnt vmcnt(28)
	v_mul_f32_e32 v170, v120, v128
	v_add_f32_e32 v123, v124, v148
	v_mul_f32_e32 v148, v118, v125
	v_mul_f32_e32 v128, v121, v128
	v_add_f32_e32 v7, v127, v7
	v_add_f32_e32 v129, v123, v137
	ds_read2_b64 v[122:125], v1 offset0:97 offset1:98
	v_fmac_f32_e32 v148, v119, v8
	v_add_f32_e32 v7, v7, v141
	v_fma_f32 v8, v118, v8, -v126
	v_add_f32_e32 v130, v129, v136
	v_add_f32_e32 v130, v130, v158
	;; [unrolled: 1-line block ×3, first 2 shown]
	s_waitcnt vmcnt(24)
	v_fma_f32 v136, v120, v166, -v128
	v_fmac_f32_e32 v170, v121, v166
	ds_read2_b64 v[118:121], v1 offset0:99 offset1:100
	ds_read2_b64 v[126:129], v1 offset0:101 offset1:102
	s_waitcnt vmcnt(23) lgkmcnt(3)
	v_mul_f32_e32 v137, v2, v6
	v_mul_f32_e32 v6, v3, v6
	s_waitcnt vmcnt(22)
	v_mul_f32_e32 v141, v4, v132
	v_mul_f32_e32 v140, v5, v132
	v_fmac_f32_e32 v137, v3, v133
	v_fma_f32 v158, v2, v133, -v6
	v_add_f32_e32 v2, v7, v145
	v_add_f32_e32 v6, v130, v131
	v_fmac_f32_e32 v141, v5, v154
	v_fma_f32 v140, v4, v154, -v140
	s_waitcnt vmcnt(21) lgkmcnt(2)
	v_mul_f32_e32 v154, v122, v134
	v_add_f32_e32 v145, v2, v147
	v_add_f32_e32 v147, v6, v164
	v_mul_f32_e32 v134, v123, v134
	ds_read2_b64 v[130:133], v1 offset0:103 offset1:104
	ds_read2_b64 v[2:5], v1 offset0:105 offset1:106
	v_add_f32_e32 v145, v145, v163
	v_add_f32_e32 v8, v147, v8
	v_fma_f32 v122, v122, v135, -v134
	s_waitcnt vmcnt(20)
	v_mul_f32_e32 v163, v124, v139
	v_mul_f32_e32 v139, v125, v139
	v_add_f32_e32 v145, v145, v148
	v_add_f32_e32 v8, v8, v136
	v_fmac_f32_e32 v154, v123, v135
	s_waitcnt vmcnt(19) lgkmcnt(3)
	v_mul_f32_e32 v147, v118, v150
	s_waitcnt vmcnt(18)
	v_mul_f32_e32 v136, v120, v157
	v_add_f32_e32 v145, v145, v170
	v_add_f32_e32 v8, v8, v158
	s_waitcnt vmcnt(17) lgkmcnt(2)
	v_mul_f32_e32 v148, v126, v165
	s_waitcnt vmcnt(16)
	v_mul_f32_e32 v164, v128, v138
	s_waitcnt vmcnt(9)
	v_fmac_f32_e32 v147, v119, v167
	v_add_f32_e32 v134, v145, v137
	v_add_f32_e32 v8, v8, v140
	v_mul_f32_e32 v140, v119, v150
	s_waitcnt vmcnt(8)
	v_fma_f32 v124, v124, v168, -v139
	v_fmac_f32_e32 v163, v125, v168
	v_add_f32_e32 v134, v134, v141
	v_add_f32_e32 v8, v8, v122
	v_mul_f32_e32 v125, v121, v157
	v_fma_f32 v118, v118, v167, -v140
	v_fmac_f32_e32 v136, v121, v153
	v_add_f32_e32 v122, v134, v154
	v_add_f32_e32 v8, v8, v124
	v_fma_f32 v120, v120, v153, -v125
	v_fmac_f32_e32 v148, v127, v146
	ds_read_b64 v[6:7], v1 offset:856
	v_add_f32_e32 v119, v122, v163
	v_mul_f32_e32 v122, v127, v165
	v_add_f32_e32 v8, v8, v118
	s_waitcnt lgkmcnt(2)
	v_mul_f32_e32 v158, v130, v142
	s_waitcnt vmcnt(3)
	v_fmac_f32_e32 v164, v129, v160
	v_add_f32_e32 v118, v119, v147
	v_mul_f32_e32 v119, v129, v138
	v_fma_f32 v121, v126, v146, -v122
	v_add_f32_e32 v8, v8, v120
	v_mul_f32_e32 v120, v131, v142
	v_add_f32_e32 v118, v118, v136
	v_fma_f32 v119, v128, v160, -v119
	v_mul_f32_e32 v123, v132, v143
	v_add_f32_e32 v8, v8, v121
	v_mul_f32_e32 v121, v133, v143
	v_add_f32_e32 v118, v118, v148
	v_fma_f32 v120, v130, v156, -v120
	v_fmac_f32_e32 v158, v131, v156
	v_add_f32_e32 v8, v8, v119
	s_waitcnt lgkmcnt(1)
	v_mul_f32_e32 v135, v2, v144
	v_add_f32_e32 v118, v118, v164
	v_mul_f32_e32 v119, v3, v144
	v_fma_f32 v121, v132, v152, -v121
	v_add_f32_e32 v8, v8, v120
	v_fmac_f32_e32 v123, v133, v152
	v_add_f32_e32 v118, v118, v158
	v_mul_f32_e32 v120, v5, v159
	v_fmac_f32_e32 v135, v3, v151
	v_fma_f32 v2, v2, v151, -v119
	v_add_f32_e32 v3, v8, v121
	v_mul_f32_e32 v137, v4, v159
	v_add_f32_e32 v8, v118, v123
	s_waitcnt lgkmcnt(0)
	v_mul_f32_e32 v118, v7, v169
	s_waitcnt vmcnt(1)
	v_fma_f32 v4, v4, v162, -v120
	v_add_f32_e32 v2, v3, v2
	v_mul_f32_e32 v141, v6, v169
	v_fmac_f32_e32 v137, v5, v162
	v_add_f32_e32 v3, v8, v135
	v_fma_f32 v5, v6, v161, -v118
	v_add_f32_e32 v2, v2, v4
	v_fmac_f32_e32 v141, v7, v161
	v_add_f32_e32 v3, v3, v137
	v_add_f32_e32 v2, v2, v5
	;; [unrolled: 1-line block ×3, first 2 shown]
	s_waitcnt vmcnt(0)
	v_sub_f32_e32 v2, v155, v2
	v_sub_f32_e32 v3, v149, v3
	buffer_store_dword v2, off, s[0:3], 0 offset:32
	buffer_store_dword v3, off, s[0:3], 0 offset:36
	v_cmpx_lt_u32_e32 3, v0
	s_cbranch_execz .LBB53_331
; %bb.330:
	s_clause 0x1
	buffer_load_dword v2, off, s[0:3], 0 offset:24
	buffer_load_dword v3, off, s[0:3], 0 offset:28
	buffer_store_dword v1, off, s[0:3], 0 offset:24
	buffer_store_dword v1, off, s[0:3], 0 offset:28
	s_waitcnt vmcnt(0)
	ds_write_b64 v117, v[2:3]
.LBB53_331:
	s_or_b32 exec_lo, exec_lo, s4
	s_waitcnt lgkmcnt(0)
	s_waitcnt_vscnt null, 0x0
	s_barrier
	buffer_gl0_inv
	s_clause 0x2c
	buffer_load_dword v148, off, s[0:3], 0 offset:36
	buffer_load_dword v149, off, s[0:3], 0 offset:44
	;; [unrolled: 1-line block ×45, first 2 shown]
	ds_read_b128 v[157:160], v1 offset:464
	ds_read_b128 v[161:164], v1 offset:480
	s_mov_b32 s4, exec_lo
	s_waitcnt vmcnt(44) lgkmcnt(1)
	v_mul_f32_e32 v150, v157, v148
	v_mul_f32_e32 v165, v158, v148
	s_waitcnt vmcnt(43)
	v_mul_f32_e32 v148, v159, v149
	v_mul_f32_e32 v166, v160, v149
	buffer_load_dword v149, off, s[0:3], 0 offset:28
	s_waitcnt vmcnt(41)
	v_fmac_f32_e32 v150, v158, v119
	v_fma_f32 v165, v157, v119, -v165
	v_fmac_f32_e32 v148, v160, v7
	v_fma_f32 v166, v159, v7, -v166
	ds_read_b128 v[157:160], v1 offset:496
	s_waitcnt vmcnt(40) lgkmcnt(1)
	v_mul_f32_e32 v167, v161, v4
	s_waitcnt vmcnt(39)
	v_mul_f32_e32 v168, v163, v5
	v_mul_f32_e32 v4, v162, v4
	;; [unrolled: 1-line block ×3, first 2 shown]
	v_fmac_f32_e32 v167, v162, v2
	s_waitcnt vmcnt(35)
	v_fmac_f32_e32 v168, v164, v122
	v_fma_f32 v169, v161, v2, -v4
	v_fma_f32 v122, v163, v122, -v5
	ds_read_b128 v[161:164], v1 offset:512
	s_waitcnt vmcnt(34) lgkmcnt(1)
	v_mul_f32_e32 v170, v157, v121
	s_waitcnt vmcnt(33)
	v_mul_f32_e32 v171, v159, v120
	v_mul_f32_e32 v4, v160, v120
	;; [unrolled: 1-line block ×3, first 2 shown]
	v_fmac_f32_e32 v170, v158, v118
	v_fmac_f32_e32 v171, v160, v6
	v_fma_f32 v158, v159, v6, -v4
	ds_read_b128 v[4:7], v1 offset:528
	v_fma_f32 v157, v157, v118, -v2
	s_waitcnt vmcnt(32) lgkmcnt(1)
	v_mul_f32_e32 v159, v161, v8
	v_mul_f32_e32 v2, v162, v8
	s_waitcnt vmcnt(31)
	v_mul_f32_e32 v8, v163, v123
	v_mul_f32_e32 v118, v164, v123
	v_fmac_f32_e32 v159, v162, v3
	v_fma_f32 v123, v161, v3, -v2
	s_waitcnt vmcnt(27)
	v_fmac_f32_e32 v8, v164, v131
	v_fma_f32 v131, v163, v131, -v118
	ds_read_b128 v[118:121], v1 offset:544
	buffer_load_dword v161, off, s[0:3], 0 offset:220
	s_waitcnt vmcnt(27) lgkmcnt(1)
	v_mul_f32_e32 v160, v4, v129
	v_mul_f32_e32 v2, v5, v129
	s_waitcnt vmcnt(26)
	v_mul_f32_e32 v3, v7, v128
	v_mul_f32_e32 v129, v6, v128
	v_fmac_f32_e32 v160, v5, v127
	v_fma_f32 v127, v4, v127, -v2
	v_fma_f32 v6, v6, v125, -v3
	ds_read_b128 v[2:5], v1 offset:560
	v_fmac_f32_e32 v129, v7, v125
	s_waitcnt vmcnt(25) lgkmcnt(1)
	v_mul_f32_e32 v7, v118, v126
	v_mul_f32_e32 v125, v119, v126
	s_waitcnt vmcnt(24)
	v_mul_f32_e32 v126, v120, v130
	v_mul_f32_e32 v128, v121, v130
	v_fmac_f32_e32 v7, v119, v124
	v_fma_f32 v124, v118, v124, -v125
	s_waitcnt vmcnt(20)
	v_fmac_f32_e32 v126, v121, v139
	v_fma_f32 v125, v120, v139, -v128
	ds_read_b128 v[118:121], v1 offset:576
	s_waitcnt vmcnt(19) lgkmcnt(1)
	v_mul_f32_e32 v128, v2, v137
	v_mul_f32_e32 v130, v3, v137
	s_waitcnt vmcnt(18)
	v_mul_f32_e32 v137, v4, v136
	v_mul_f32_e32 v136, v5, v136
	v_fmac_f32_e32 v128, v3, v135
	v_fma_f32 v130, v2, v135, -v130
	v_fmac_f32_e32 v137, v5, v133
	v_fma_f32 v133, v4, v133, -v136
	ds_read_b128 v[2:5], v1 offset:592
	s_waitcnt vmcnt(17) lgkmcnt(1)
	v_mul_f32_e32 v135, v118, v134
	v_mul_f32_e32 v134, v119, v134
	s_waitcnt vmcnt(16)
	v_mul_f32_e32 v136, v120, v138
	v_mul_f32_e32 v138, v121, v138
	v_fmac_f32_e32 v135, v119, v132
	v_fma_f32 v132, v118, v132, -v134
	s_waitcnt vmcnt(12)
	v_fmac_f32_e32 v136, v121, v147
	v_fma_f32 v134, v120, v147, -v138
	ds_read_b128 v[118:121], v1 offset:608
	buffer_load_dword v147, off, s[0:3], 0 offset:212
	s_waitcnt vmcnt(12) lgkmcnt(1)
	v_mul_f32_e32 v138, v2, v145
	v_mul_f32_e32 v139, v3, v145
	s_waitcnt vmcnt(11)
	v_mul_f32_e32 v145, v4, v144
	v_mul_f32_e32 v144, v5, v144
	v_fmac_f32_e32 v138, v3, v143
	v_fma_f32 v139, v2, v143, -v139
	v_fmac_f32_e32 v145, v5, v141
	v_fma_f32 v141, v4, v141, -v144
	ds_read_b128 v[2:5], v1 offset:624
	s_waitcnt vmcnt(10) lgkmcnt(1)
	v_mul_f32_e32 v143, v118, v142
	v_mul_f32_e32 v142, v119, v142
	s_waitcnt vmcnt(9)
	v_mul_f32_e32 v144, v120, v146
	v_mul_f32_e32 v146, v121, v146
	v_fmac_f32_e32 v143, v119, v140
	v_fma_f32 v140, v118, v140, -v142
	s_waitcnt vmcnt(5)
	v_fmac_f32_e32 v144, v121, v156
	v_fma_f32 v142, v120, v156, -v146
	ds_read_b128 v[118:121], v1 offset:640
	s_waitcnt vmcnt(4) lgkmcnt(1)
	v_mul_f32_e32 v146, v2, v155
	v_mul_f32_e32 v155, v3, v155
	s_waitcnt vmcnt(3)
	v_mul_f32_e32 v156, v4, v154
	v_mul_f32_e32 v154, v5, v154
	v_fmac_f32_e32 v146, v3, v153
	v_fma_f32 v153, v2, v153, -v155
	v_fmac_f32_e32 v156, v5, v152
	v_fma_f32 v152, v4, v152, -v154
	s_clause 0x4
	buffer_load_dword v154, off, s[0:3], 0 offset:240
	buffer_load_dword v155, off, s[0:3], 0 offset:232
	;; [unrolled: 1-line block ×5, first 2 shown]
	s_waitcnt vmcnt(5) lgkmcnt(0)
	v_mul_f32_e32 v164, v118, v147
	v_mul_f32_e32 v3, v119, v147
	v_fmac_f32_e32 v164, v119, v151
	v_fma_f32 v147, v118, v151, -v3
	v_mul_f32_e32 v151, v120, v161
	v_mul_f32_e32 v3, v121, v161
	s_waitcnt vmcnt(1)
	v_fmac_f32_e32 v151, v121, v2
	v_fma_f32 v161, v120, v2, -v3
	ds_read_b128 v[2:5], v1 offset:656
	ds_read_b128 v[118:121], v1 offset:672
	s_waitcnt vmcnt(0) lgkmcnt(1)
	v_mul_f32_e32 v172, v2, v163
	v_mul_f32_e32 v163, v3, v163
	v_fmac_f32_e32 v172, v3, v162
	v_fma_f32 v162, v2, v162, -v163
	buffer_load_dword v2, off, s[0:3], 0 offset:236
	v_add_f32_e32 v3, 0, v165
	v_add_f32_e32 v3, v3, v166
	;; [unrolled: 1-line block ×11, first 2 shown]
	s_waitcnt vmcnt(0)
	v_mul_f32_e32 v163, v4, v2
	v_mul_f32_e32 v2, v5, v2
	v_fmac_f32_e32 v163, v5, v155
	v_fma_f32 v155, v4, v155, -v2
	s_clause 0x1
	buffer_load_dword v4, off, s[0:3], 0 offset:244
	buffer_load_dword v5, off, s[0:3], 0 offset:252
	v_add_f32_e32 v2, 0, v150
	v_add_f32_e32 v2, v2, v148
	s_clause 0x6
	buffer_load_dword v122, off, s[0:3], 0 offset:272
	buffer_load_dword v148, off, s[0:3], 0 offset:264
	;; [unrolled: 1-line block ×7, first 2 shown]
	v_add_f32_e32 v2, v2, v167
	buffer_load_dword v167, off, s[0:3], 0 offset:276
	v_add_f32_e32 v2, v2, v168
	v_add_f32_e32 v2, v2, v170
	;; [unrolled: 1-line block ×5, first 2 shown]
	s_clause 0x3
	buffer_load_dword v8, off, s[0:3], 0 offset:304
	buffer_load_dword v131, off, s[0:3], 0 offset:296
	;; [unrolled: 1-line block ×4, first 2 shown]
	v_add_f32_e32 v2, v2, v160
	buffer_load_dword v160, off, s[0:3], 0 offset:292
	v_add_f32_e32 v2, v2, v129
	s_clause 0x1
	buffer_load_dword v127, off, s[0:3], 0 offset:300
	buffer_load_dword v129, off, s[0:3], 0 offset:308
	v_add_f32_e32 v2, v2, v7
	s_waitcnt vmcnt(16) lgkmcnt(0)
	v_mul_f32_e32 v6, v118, v4
	v_mul_f32_e32 v4, v119, v4
	s_waitcnt vmcnt(15)
	v_mul_f32_e32 v7, v120, v5
	v_mul_f32_e32 v124, v121, v5
	v_fmac_f32_e32 v6, v119, v154
	v_fma_f32 v154, v118, v154, -v4
	v_add_f32_e32 v118, v2, v126
	v_add_f32_e32 v119, v3, v125
	ds_read_b128 v[2:5], v1 offset:688
	s_waitcnt vmcnt(11)
	v_fmac_f32_e32 v7, v121, v165
	v_fma_f32 v124, v120, v165, -v124
	v_add_f32_e32 v118, v118, v128
	v_add_f32_e32 v119, v119, v130
	s_clause 0x4
	buffer_load_dword v126, off, s[0:3], 0 offset:316
	buffer_load_dword v165, off, s[0:3], 0 offset:336
	;; [unrolled: 1-line block ×5, first 2 shown]
	v_add_f32_e32 v118, v118, v137
	v_add_f32_e32 v119, v119, v133
	;; [unrolled: 1-line block ×4, first 2 shown]
	s_clause 0x2
	buffer_load_dword v132, off, s[0:3], 0 offset:324
	buffer_load_dword v133, off, s[0:3], 0 offset:332
	;; [unrolled: 1-line block ×3, first 2 shown]
	v_add_f32_e32 v125, v118, v136
	v_add_f32_e32 v134, v119, v134
	ds_read_b128 v[118:121], v1 offset:704
	s_waitcnt vmcnt(18) lgkmcnt(1)
	v_mul_f32_e32 v136, v2, v166
	v_mul_f32_e32 v137, v3, v166
	v_add_f32_e32 v125, v125, v138
	v_add_f32_e32 v134, v134, v139
	s_waitcnt vmcnt(17)
	v_mul_f32_e32 v138, v4, v157
	v_fmac_f32_e32 v136, v3, v150
	v_mul_f32_e32 v139, v5, v157
	v_add_f32_e32 v3, v125, v145
	v_add_f32_e32 v125, v134, v141
	v_fma_f32 v134, v2, v150, -v137
	v_fmac_f32_e32 v138, v5, v148
	v_fma_f32 v137, v4, v148, -v139
	v_add_f32_e32 v2, v3, v143
	v_add_f32_e32 v3, v125, v140
	s_clause 0x7
	buffer_load_dword v139, off, s[0:3], 0 offset:348
	buffer_load_dword v140, off, s[0:3], 0 offset:356
	;; [unrolled: 1-line block ×8, first 2 shown]
	v_add_f32_e32 v2, v2, v144
	v_add_f32_e32 v3, v3, v142
	s_waitcnt vmcnt(23) lgkmcnt(0)
	v_mul_f32_e32 v166, v118, v167
	v_mul_f32_e32 v4, v119, v167
	s_clause 0x3
	buffer_load_dword v142, off, s[0:3], 0 offset:380
	buffer_load_dword v144, off, s[0:3], 0 offset:388
	;; [unrolled: 1-line block ×4, first 2 shown]
	v_add_f32_e32 v2, v2, v146
	s_clause 0x1
	buffer_load_dword v146, off, s[0:3], 0 offset:412
	buffer_load_dword v171, off, s[0:3], 0 offset:420
	v_fmac_f32_e32 v166, v119, v122
	v_fma_f32 v170, v118, v122, -v4
	v_add_f32_e32 v118, v3, v153
	v_mul_f32_e32 v153, v120, v123
	v_mul_f32_e32 v3, v121, v123
	v_add_f32_e32 v119, v2, v156
	buffer_load_dword v156, off, s[0:3], 0 offset:428
	v_add_f32_e32 v118, v118, v152
	s_waitcnt vmcnt(26)
	v_fmac_f32_e32 v153, v121, v159
	v_fma_f32 v159, v120, v159, -v3
	ds_read_b128 v[2:5], v1 offset:720
	v_add_f32_e32 v119, v119, v164
	v_add_f32_e32 v118, v118, v147
	;; [unrolled: 1-line block ×3, first 2 shown]
	s_clause 0x3
	buffer_load_dword v147, off, s[0:3], 0 offset:400
	buffer_load_dword v151, off, s[0:3], 0 offset:392
	;; [unrolled: 1-line block ×4, first 2 shown]
	v_add_f32_e32 v118, v118, v161
	v_add_f32_e32 v122, v119, v172
	v_add_f32_e32 v123, v118, v162
	ds_read_b128 v[118:121], v1 offset:736
	v_add_f32_e32 v122, v122, v163
	s_waitcnt vmcnt(29) lgkmcnt(1)
	v_mul_f32_e32 v161, v2, v160
	v_mul_f32_e32 v125, v3, v160
	v_fmac_f32_e32 v161, v3, v158
	v_fma_f32 v158, v2, v158, -v125
	v_add_f32_e32 v2, v123, v155
	v_add_f32_e32 v3, v122, v6
	s_clause 0x2
	buffer_load_dword v6, off, s[0:3], 0 offset:424
	buffer_load_dword v155, off, s[0:3], 0 offset:416
	;; [unrolled: 1-line block ×3, first 2 shown]
	s_waitcnt vmcnt(31)
	v_mul_f32_e32 v122, v5, v127
	v_add_f32_e32 v2, v2, v154
	buffer_load_dword v154, off, s[0:3], 0 offset:24
	v_add_f32_e32 v3, v3, v7
	v_mul_f32_e32 v7, v4, v127
	v_fma_f32 v162, v4, v131, -v122
	v_add_f32_e32 v123, v2, v124
	v_add_f32_e32 v127, v3, v136
	v_fmac_f32_e32 v7, v5, v131
	ds_read_b128 v[2:5], v1 offset:752
	v_add_f32_e32 v131, v123, v134
	ds_read_b128 v[122:125], v1 offset:768
	v_add_f32_e32 v127, v127, v138
	s_waitcnt vmcnt(31) lgkmcnt(2)
	v_mul_f32_e32 v134, v118, v129
	v_mul_f32_e32 v129, v119, v129
	v_add_f32_e32 v131, v131, v137
	v_add_f32_e32 v136, v127, v166
	v_fmac_f32_e32 v134, v119, v8
	v_fma_f32 v8, v118, v8, -v129
	v_add_f32_e32 v131, v131, v170
	v_add_f32_e32 v136, v136, v153
	;; [unrolled: 1-line block ×8, first 2 shown]
	s_waitcnt vmcnt(30)
	v_mul_f32_e32 v138, v120, v126
	v_mul_f32_e32 v126, v121, v126
	s_waitcnt vmcnt(26)
	v_fmac_f32_e32 v138, v121, v128
	v_fma_f32 v163, v120, v128, -v126
	ds_read_b128 v[118:121], v1 offset:784
	ds_read_b128 v[126:129], v1 offset:800
	v_add_f32_e32 v7, v7, v138
	s_waitcnt vmcnt(25) lgkmcnt(3)
	v_mul_f32_e32 v153, v2, v132
	s_waitcnt vmcnt(24)
	v_mul_f32_e32 v159, v4, v133
	v_mul_f32_e32 v132, v3, v132
	;; [unrolled: 1-line block ×3, first 2 shown]
	s_waitcnt vmcnt(23) lgkmcnt(2)
	v_mul_f32_e32 v161, v122, v135
	v_mul_f32_e32 v135, v123, v135
	v_fmac_f32_e32 v153, v3, v168
	v_fmac_f32_e32 v159, v5, v130
	v_fma_f32 v166, v2, v168, -v132
	v_fma_f32 v158, v4, v130, -v133
	ds_read_b128 v[2:5], v1 offset:816
	ds_read_b128 v[130:133], v1 offset:832
	v_fma_f32 v122, v122, v165, -v135
	ds_read_b128 v[134:137], v1 offset:848
	v_add_f32_e32 v1, v162, v8
	v_add_f32_e32 v7, v7, v153
	v_fmac_f32_e32 v161, v123, v165
	s_waitcnt vmcnt(22)
	v_mul_f32_e32 v123, v125, v139
	v_mul_f32_e32 v8, v124, v139
	v_add_f32_e32 v1, v1, v163
	v_add_f32_e32 v7, v7, v159
	s_waitcnt vmcnt(21) lgkmcnt(4)
	v_mul_f32_e32 v138, v118, v140
	v_mul_f32_e32 v140, v119, v140
	s_waitcnt vmcnt(15)
	v_fma_f32 v123, v124, v157, -v123
	v_add_f32_e32 v1, v1, v166
	v_fmac_f32_e32 v8, v125, v157
	v_add_f32_e32 v7, v7, v161
	v_mul_f32_e32 v139, v120, v141
	v_mul_f32_e32 v141, v121, v141
	v_add_f32_e32 v1, v1, v158
	v_fma_f32 v118, v118, v150, -v140
	v_fmac_f32_e32 v138, v119, v150
	v_add_f32_e32 v7, v7, v8
	s_waitcnt lgkmcnt(3)
	v_mul_f32_e32 v8, v127, v143
	v_add_f32_e32 v1, v1, v122
	v_fma_f32 v119, v120, v148, -v141
	v_mul_f32_e32 v124, v126, v143
	v_fmac_f32_e32 v139, v121, v148
	v_add_f32_e32 v7, v7, v138
	v_add_f32_e32 v1, v1, v123
	v_fma_f32 v8, v126, v145, -v8
	s_waitcnt vmcnt(14)
	v_mul_f32_e32 v125, v128, v142
	v_fmac_f32_e32 v124, v127, v145
	v_add_f32_e32 v7, v7, v139
	v_add_f32_e32 v1, v1, v118
	v_mul_f32_e32 v118, v129, v142
	s_waitcnt vmcnt(13) lgkmcnt(2)
	v_mul_f32_e32 v153, v2, v144
	s_waitcnt vmcnt(12)
	v_mul_f32_e32 v157, v4, v167
	v_add_f32_e32 v7, v7, v124
	v_add_f32_e32 v1, v1, v119
	v_mul_f32_e32 v119, v3, v144
	s_waitcnt vmcnt(4)
	v_fma_f32 v118, v128, v164, -v118
	v_fmac_f32_e32 v125, v129, v164
	v_fmac_f32_e32 v153, v3, v152
	v_add_f32_e32 v1, v1, v8
	v_mul_f32_e32 v8, v5, v167
	v_fma_f32 v2, v2, v152, -v119
	v_add_f32_e32 v3, v7, v125
	s_waitcnt lgkmcnt(1)
	v_mul_f32_e32 v7, v131, v169
	v_add_f32_e32 v1, v1, v118
	v_fma_f32 v4, v4, v151, -v8
	v_mul_f32_e32 v162, v130, v169
	v_fmac_f32_e32 v157, v5, v151
	v_fma_f32 v5, v130, v147, -v7
	v_add_f32_e32 v1, v1, v2
	v_add_f32_e32 v2, v3, v153
	v_mul_f32_e32 v3, v133, v146
	v_mul_f32_e32 v158, v132, v146
	v_fmac_f32_e32 v162, v131, v147
	v_add_f32_e32 v1, v1, v4
	v_add_f32_e32 v2, v2, v157
	s_waitcnt lgkmcnt(0)
	v_mul_f32_e32 v4, v135, v171
	s_waitcnt vmcnt(1)
	v_fma_f32 v3, v132, v160, -v3
	v_mul_f32_e32 v159, v134, v171
	v_add_f32_e32 v1, v1, v5
	v_fmac_f32_e32 v158, v133, v160
	v_add_f32_e32 v2, v2, v162
	v_mul_f32_e32 v5, v137, v156
	v_fma_f32 v4, v134, v155, -v4
	v_add_f32_e32 v1, v1, v3
	v_mul_f32_e32 v122, v136, v156
	v_fmac_f32_e32 v159, v135, v155
	v_add_f32_e32 v2, v2, v158
	v_fma_f32 v3, v136, v6, -v5
	v_add_f32_e32 v1, v1, v4
	v_fmac_f32_e32 v122, v137, v6
	v_add_f32_e32 v2, v2, v159
	v_add_f32_e32 v1, v1, v3
	;; [unrolled: 1-line block ×3, first 2 shown]
	s_waitcnt vmcnt(0)
	v_sub_f32_e32 v1, v154, v1
	v_sub_f32_e32 v2, v149, v2
	buffer_store_dword v1, off, s[0:3], 0 offset:24
	buffer_store_dword v2, off, s[0:3], 0 offset:28
	v_cmpx_lt_u32_e32 2, v0
	s_cbranch_execz .LBB53_333
; %bb.332:
	s_clause 0x1
	buffer_load_dword v1, off, s[0:3], 0 offset:16
	buffer_load_dword v2, off, s[0:3], 0 offset:20
	v_mov_b32_e32 v3, 0
	buffer_store_dword v3, off, s[0:3], 0 offset:16
	buffer_store_dword v3, off, s[0:3], 0 offset:20
	s_waitcnt vmcnt(0)
	ds_write_b64 v117, v[1:2]
.LBB53_333:
	s_or_b32 exec_lo, exec_lo, s4
	s_waitcnt lgkmcnt(0)
	s_waitcnt_vscnt null, 0x0
	s_barrier
	buffer_gl0_inv
	s_clause 0x2c
	buffer_load_dword v156, off, s[0:3], 0 offset:28
	buffer_load_dword v157, off, s[0:3], 0 offset:36
	;; [unrolled: 1-line block ×45, first 2 shown]
	v_mov_b32_e32 v118, 0
	ds_read2_b64 v[5:8], v118 offset0:57 offset1:58
	ds_read2_b64 v[1:4], v118 offset0:59 offset1:60
	s_mov_b32 s4, exec_lo
	s_clause 0x1
	buffer_load_dword v167, off, s[0:3], 0 offset:204
	buffer_load_dword v168, off, s[0:3], 0 offset:212
	s_waitcnt vmcnt(46) lgkmcnt(1)
	v_mul_f32_e32 v158, v5, v156
	v_mul_f32_e32 v165, v6, v156
	s_waitcnt vmcnt(45)
	v_mul_f32_e32 v156, v7, v157
	v_mul_f32_e32 v166, v8, v157
	buffer_load_dword v157, off, s[0:3], 0 offset:20
	s_waitcnt vmcnt(43)
	v_fmac_f32_e32 v158, v6, v127
	v_fma_f32 v127, v5, v127, -v165
	v_fmac_f32_e32 v156, v8, v124
	v_fma_f32 v124, v7, v124, -v166
	ds_read2_b64 v[5:8], v118 offset0:61 offset1:62
	s_waitcnt vmcnt(42) lgkmcnt(1)
	v_mul_f32_e32 v165, v1, v121
	s_waitcnt vmcnt(41)
	v_mul_f32_e32 v166, v3, v122
	v_mul_f32_e32 v121, v2, v121
	;; [unrolled: 1-line block ×3, first 2 shown]
	v_fmac_f32_e32 v165, v2, v119
	s_waitcnt vmcnt(37)
	v_fmac_f32_e32 v166, v4, v130
	v_fma_f32 v119, v1, v119, -v121
	v_fma_f32 v121, v3, v130, -v122
	ds_read2_b64 v[1:4], v118 offset0:63 offset1:64
	s_waitcnt vmcnt(36) lgkmcnt(1)
	v_mul_f32_e32 v122, v5, v129
	v_mul_f32_e32 v129, v6, v129
	s_waitcnt vmcnt(35)
	v_mul_f32_e32 v130, v7, v128
	v_mul_f32_e32 v128, v8, v128
	v_fmac_f32_e32 v122, v6, v126
	v_fma_f32 v126, v5, v126, -v129
	v_fmac_f32_e32 v130, v8, v123
	v_fma_f32 v123, v7, v123, -v128
	ds_read2_b64 v[5:8], v118 offset0:65 offset1:66
	s_waitcnt vmcnt(34) lgkmcnt(1)
	v_mul_f32_e32 v128, v1, v125
	v_mul_f32_e32 v125, v2, v125
	s_waitcnt vmcnt(33)
	v_mul_f32_e32 v129, v3, v131
	v_mul_f32_e32 v131, v4, v131
	v_fmac_f32_e32 v128, v2, v120
	v_fma_f32 v120, v1, v120, -v125
	s_waitcnt vmcnt(29)
	v_fmac_f32_e32 v129, v4, v139
	v_fma_f32 v125, v3, v139, -v131
	ds_read2_b64 v[1:4], v118 offset0:67 offset1:68
	s_waitcnt vmcnt(28) lgkmcnt(1)
	v_mul_f32_e32 v131, v5, v137
	v_mul_f32_e32 v137, v6, v137
	s_waitcnt vmcnt(27)
	v_mul_f32_e32 v139, v7, v136
	v_mul_f32_e32 v136, v8, v136
	v_fmac_f32_e32 v131, v6, v135
	v_fma_f32 v135, v5, v135, -v137
	v_fmac_f32_e32 v139, v8, v133
	v_fma_f32 v133, v7, v133, -v136
	ds_read2_b64 v[5:8], v118 offset0:69 offset1:70
	s_waitcnt vmcnt(26) lgkmcnt(1)
	v_mul_f32_e32 v136, v1, v134
	v_mul_f32_e32 v134, v2, v134
	s_waitcnt vmcnt(25)
	v_mul_f32_e32 v137, v3, v138
	v_mul_f32_e32 v138, v4, v138
	v_fmac_f32_e32 v136, v2, v132
	v_fma_f32 v132, v1, v132, -v134
	s_waitcnt vmcnt(21)
	v_fmac_f32_e32 v137, v4, v147
	;; [unrolled: 23-line block ×4, first 2 shown]
	v_fma_f32 v150, v3, v164, -v155
	ds_read2_b64 v[1:4], v118 offset0:79 offset1:80
	s_waitcnt vmcnt(4) lgkmcnt(1)
	v_mul_f32_e32 v155, v5, v163
	v_mul_f32_e32 v163, v6, v163
	s_waitcnt vmcnt(3)
	v_mul_f32_e32 v164, v7, v162
	v_mul_f32_e32 v162, v8, v162
	v_fmac_f32_e32 v155, v6, v161
	v_fma_f32 v161, v5, v161, -v163
	v_fmac_f32_e32 v164, v8, v160
	v_fma_f32 v160, v7, v160, -v162
	s_clause 0x4
	buffer_load_dword v162, off, s[0:3], 0 offset:232
	buffer_load_dword v163, off, s[0:3], 0 offset:224
	;; [unrolled: 1-line block ×5, first 2 shown]
	s_waitcnt vmcnt(7) lgkmcnt(0)
	v_mul_f32_e32 v171, v1, v167
	v_mul_f32_e32 v6, v2, v167
	s_waitcnt vmcnt(6)
	v_mul_f32_e32 v167, v3, v168
	v_fmac_f32_e32 v171, v2, v159
	v_fma_f32 v159, v1, v159, -v6
	v_mul_f32_e32 v1, v4, v168
	s_waitcnt vmcnt(1)
	v_fmac_f32_e32 v167, v4, v5
	v_fma_f32 v168, v3, v5, -v1
	ds_read2_b64 v[1:4], v118 offset0:81 offset1:82
	ds_read2_b64 v[5:8], v118 offset0:83 offset1:84
	s_waitcnt vmcnt(0) lgkmcnt(1)
	v_mul_f32_e32 v172, v1, v170
	v_mul_f32_e32 v170, v2, v170
	v_fmac_f32_e32 v172, v2, v169
	v_fma_f32 v169, v1, v169, -v170
	buffer_load_dword v1, off, s[0:3], 0 offset:228
	s_waitcnt vmcnt(0)
	v_mul_f32_e32 v170, v3, v1
	v_mul_f32_e32 v1, v4, v1
	v_fmac_f32_e32 v170, v4, v163
	v_fma_f32 v163, v3, v163, -v1
	buffer_load_dword v1, off, s[0:3], 0 offset:236
	s_waitcnt vmcnt(0) lgkmcnt(0)
	v_mul_f32_e32 v173, v5, v1
	v_mul_f32_e32 v1, v6, v1
	v_fmac_f32_e32 v173, v6, v162
	v_fma_f32 v162, v5, v162, -v1
	s_clause 0x5
	buffer_load_dword v1, off, s[0:3], 0 offset:244
	buffer_load_dword v174, off, s[0:3], 0 offset:264
	;; [unrolled: 1-line block ×6, first 2 shown]
	s_waitcnt vmcnt(5)
	v_mul_f32_e32 v177, v7, v1
	v_mul_f32_e32 v1, v8, v1
	s_waitcnt vmcnt(1)
	v_fmac_f32_e32 v177, v8, v2
	v_fma_f32 v178, v7, v2, -v1
	ds_read2_b64 v[1:4], v118 offset0:85 offset1:86
	ds_read2_b64 v[5:8], v118 offset0:87 offset1:88
	s_waitcnt vmcnt(0) lgkmcnt(1)
	v_mul_f32_e32 v180, v1, v179
	v_mul_f32_e32 v179, v2, v179
	v_fmac_f32_e32 v180, v2, v176
	v_fma_f32 v176, v1, v176, -v179
	buffer_load_dword v1, off, s[0:3], 0 offset:260
	s_waitcnt vmcnt(0)
	v_mul_f32_e32 v179, v3, v1
	v_mul_f32_e32 v1, v4, v1
	v_fmac_f32_e32 v179, v4, v175
	v_fma_f32 v175, v3, v175, -v1
	buffer_load_dword v1, off, s[0:3], 0 offset:268
	s_waitcnt vmcnt(0) lgkmcnt(0)
	v_mul_f32_e32 v181, v5, v1
	v_mul_f32_e32 v1, v6, v1
	v_fmac_f32_e32 v181, v6, v174
	v_fma_f32 v174, v5, v174, -v1
	s_clause 0x5
	buffer_load_dword v1, off, s[0:3], 0 offset:276
	buffer_load_dword v182, off, s[0:3], 0 offset:296
	;; [unrolled: 1-line block ×6, first 2 shown]
	s_waitcnt vmcnt(5)
	v_mul_f32_e32 v185, v7, v1
	v_mul_f32_e32 v1, v8, v1
	s_waitcnt vmcnt(1)
	v_fmac_f32_e32 v185, v8, v2
	v_fma_f32 v186, v7, v2, -v1
	ds_read2_b64 v[1:4], v118 offset0:89 offset1:90
	ds_read2_b64 v[5:8], v118 offset0:91 offset1:92
	s_waitcnt vmcnt(0) lgkmcnt(1)
	v_mul_f32_e32 v188, v1, v187
	v_mul_f32_e32 v187, v2, v187
	v_fmac_f32_e32 v188, v2, v184
	v_fma_f32 v184, v1, v184, -v187
	buffer_load_dword v1, off, s[0:3], 0 offset:292
	s_waitcnt vmcnt(0)
	v_mul_f32_e32 v187, v3, v1
	v_mul_f32_e32 v1, v4, v1
	v_fmac_f32_e32 v187, v4, v183
	v_fma_f32 v183, v3, v183, -v1
	buffer_load_dword v1, off, s[0:3], 0 offset:300
	s_waitcnt vmcnt(0) lgkmcnt(0)
	v_mul_f32_e32 v189, v5, v1
	v_mul_f32_e32 v1, v6, v1
	v_fmac_f32_e32 v189, v6, v182
	v_fma_f32 v182, v5, v182, -v1
	s_clause 0x4
	buffer_load_dword v1, off, s[0:3], 0 offset:308
	buffer_load_dword v190, off, s[0:3], 0 offset:328
	;; [unrolled: 1-line block ×5, first 2 shown]
	s_waitcnt vmcnt(4)
	v_mul_f32_e32 v193, v7, v1
	v_mul_f32_e32 v1, v8, v1
	s_waitcnt vmcnt(0)
	v_fmac_f32_e32 v193, v8, v2
	v_fma_f32 v194, v7, v2, -v1
	v_add_f32_e32 v2, 0, v127
	v_add_f32_e32 v1, 0, v158
	buffer_load_dword v127, off, s[0:3], 0 offset:332
	v_add_f32_e32 v2, v2, v124
	v_add_f32_e32 v1, v1, v156
	;; [unrolled: 1-line block ×4, first 2 shown]
	buffer_load_dword v119, off, s[0:3], 0 offset:316
	v_add_f32_e32 v2, v2, v121
	v_add_f32_e32 v1, v1, v166
	;; [unrolled: 1-line block ×8, first 2 shown]
	s_clause 0x1
	buffer_load_dword v120, off, s[0:3], 0 offset:324
	buffer_load_dword v128, off, s[0:3], 0 offset:340
	v_add_f32_e32 v2, v2, v125
	v_add_f32_e32 v1, v1, v129
	;; [unrolled: 1-line block ×10, first 2 shown]
	s_clause 0x5
	buffer_load_dword v133, off, s[0:3], 0 offset:360
	buffer_load_dword v134, off, s[0:3], 0 offset:352
	;; [unrolled: 1-line block ×6, first 2 shown]
	v_add_f32_e32 v2, v2, v143
	v_add_f32_e32 v1, v1, v138
	buffer_load_dword v138, off, s[0:3], 0 offset:364
	v_add_f32_e32 v2, v2, v141
	v_add_f32_e32 v1, v1, v147
	;; [unrolled: 1-line block ×6, first 2 shown]
	s_clause 0x5
	buffer_load_dword v139, off, s[0:3], 0 offset:372
	buffer_load_dword v140, off, s[0:3], 0 offset:380
	;; [unrolled: 1-line block ×6, first 2 shown]
	v_add_f32_e32 v2, v2, v151
	v_add_f32_e32 v1, v1, v146
	s_clause 0x1
	buffer_load_dword v145, off, s[0:3], 0 offset:420
	buffer_load_dword v146, off, s[0:3], 0 offset:428
	v_add_f32_e32 v2, v2, v149
	v_add_f32_e32 v1, v1, v154
	;; [unrolled: 1-line block ×5, first 2 shown]
	s_clause 0x3
	buffer_load_dword v147, off, s[0:3], 0 offset:392
	buffer_load_dword v148, off, s[0:3], 0 offset:384
	;; [unrolled: 1-line block ×4, first 2 shown]
	v_add_f32_e32 v1, v1, v153
	s_clause 0x3
	buffer_load_dword v151, off, s[0:3], 0 offset:424
	buffer_load_dword v152, off, s[0:3], 0 offset:416
	;; [unrolled: 1-line block ×4, first 2 shown]
	v_add_f32_e32 v2, v2, v161
	v_add_f32_e32 v1, v1, v155
	buffer_load_dword v155, off, s[0:3], 0 offset:16
	v_add_f32_e32 v2, v2, v160
	v_add_f32_e32 v1, v1, v164
	;; [unrolled: 1-line block ×10, first 2 shown]
	ds_read2_b64 v[1:4], v118 offset0:93 offset1:94
	v_add_f32_e32 v6, v6, v162
	v_add_f32_e32 v5, v5, v173
	;; [unrolled: 1-line block ×5, first 2 shown]
	ds_read2_b64 v[5:8], v118 offset0:95 offset1:96
	v_add_f32_e32 v121, v121, v180
	v_add_f32_e32 v122, v122, v175
	;; [unrolled: 1-line block ×6, first 2 shown]
	s_waitcnt vmcnt(27) lgkmcnt(0)
	v_mul_f32_e32 v161, v5, v127
	v_mul_f32_e32 v127, v6, v127
	v_fmac_f32_e32 v161, v6, v190
	v_fma_f32 v163, v5, v190, -v127
	v_add_f32_e32 v5, v130, v187
	s_waitcnt vmcnt(26)
	v_mul_f32_e32 v156, v1, v119
	v_mul_f32_e32 v119, v2, v119
	v_add_f32_e32 v165, v5, v189
	v_fmac_f32_e32 v156, v2, v192
	v_add_f32_e32 v2, v122, v174
	v_fma_f32 v159, v1, v192, -v119
	v_add_f32_e32 v165, v165, v193
	v_add_f32_e32 v129, v2, v186
	;; [unrolled: 1-line block ×4, first 2 shown]
	s_waitcnt vmcnt(25)
	v_mul_f32_e32 v158, v3, v120
	v_mul_f32_e32 v120, v4, v120
	v_add_f32_e32 v129, v129, v183
	s_waitcnt vmcnt(24)
	v_mul_f32_e32 v132, v8, v128
	v_mul_f32_e32 v162, v7, v128
	v_fmac_f32_e32 v158, v4, v191
	v_fma_f32 v160, v3, v191, -v120
	ds_read2_b64 v[1:4], v118 offset0:97 offset1:98
	ds_read2_b64 v[119:122], v118 offset0:99 offset1:100
	v_add_f32_e32 v6, v129, v182
	ds_read2_b64 v[123:126], v118 offset0:101 offset1:102
	ds_read2_b64 v[127:130], v118 offset0:103 offset1:104
	v_add_f32_e32 v156, v156, v158
	v_add_f32_e32 v166, v6, v194
	;; [unrolled: 1-line block ×4, first 2 shown]
	s_waitcnt vmcnt(20)
	v_fma_f32 v164, v7, v131, -v132
	s_waitcnt vmcnt(19) lgkmcnt(3)
	v_mul_f32_e32 v167, v1, v136
	v_mul_f32_e32 v136, v2, v136
	v_add_f32_e32 v159, v159, v163
	v_fmac_f32_e32 v162, v8, v131
	s_waitcnt vmcnt(18)
	v_mul_f32_e32 v168, v3, v137
	v_fmac_f32_e32 v167, v2, v135
	v_fma_f32 v1, v1, v135, -v136
	v_add_f32_e32 v135, v156, v161
	v_mul_f32_e32 v137, v4, v137
	v_add_f32_e32 v156, v159, v164
	s_waitcnt vmcnt(17) lgkmcnt(2)
	v_mul_f32_e32 v165, v119, v138
	v_mul_f32_e32 v138, v120, v138
	v_add_f32_e32 v135, v135, v162
	v_fma_f32 v3, v3, v134, -v137
	v_add_f32_e32 v1, v156, v1
	v_fmac_f32_e32 v168, v4, v134
	s_waitcnt vmcnt(16)
	v_mul_f32_e32 v134, v122, v139
	v_add_f32_e32 v4, v135, v167
	v_fma_f32 v119, v119, v133, -v138
	v_add_f32_e32 v1, v1, v3
	v_mul_f32_e32 v160, v121, v139
	v_fmac_f32_e32 v165, v120, v133
	v_add_f32_e32 v3, v4, v168
	s_waitcnt vmcnt(15) lgkmcnt(1)
	v_mul_f32_e32 v4, v124, v140
	v_add_f32_e32 v1, v1, v119
	ds_read2_b64 v[5:8], v118 offset0:105 offset1:106
	ds_read_b64 v[131:132], v118 offset:856
	v_mul_f32_e32 v166, v123, v140
	v_add_f32_e32 v3, v3, v165
	s_waitcnt vmcnt(14)
	v_mul_f32_e32 v119, v126, v141
	v_mul_f32_e32 v158, v125, v141
	s_waitcnt vmcnt(13) lgkmcnt(2)
	v_mul_f32_e32 v163, v127, v142
	s_waitcnt vmcnt(12)
	v_mul_f32_e32 v2, v129, v143
	s_waitcnt vmcnt(8)
	v_fmac_f32_e32 v163, v128, v147
	s_waitcnt vmcnt(7)
	v_fma_f32 v119, v125, v148, -v119
	s_waitcnt vmcnt(6)
	v_fma_f32 v4, v123, v149, -v4
	;; [unrolled: 2-line block ×3, first 2 shown]
	v_fmac_f32_e32 v160, v122, v150
	v_fmac_f32_e32 v166, v124, v149
	;; [unrolled: 1-line block ×3, first 2 shown]
	s_waitcnt vmcnt(1)
	v_fmac_f32_e32 v2, v130, v154
	v_add_f32_e32 v1, v1, v120
	v_add_f32_e32 v3, v3, v160
	v_mul_f32_e32 v120, v128, v142
	s_waitcnt lgkmcnt(1)
	v_mul_f32_e32 v136, v5, v144
	v_mul_f32_e32 v159, v7, v145
	v_add_f32_e32 v1, v1, v4
	v_add_f32_e32 v3, v3, v166
	v_mul_f32_e32 v4, v130, v143
	v_fma_f32 v120, v127, v147, -v120
	v_fmac_f32_e32 v136, v6, v153
	v_add_f32_e32 v1, v1, v119
	v_add_f32_e32 v3, v3, v158
	v_mul_f32_e32 v119, v6, v144
	v_fma_f32 v4, v129, v154, -v4
	s_waitcnt lgkmcnt(0)
	v_mul_f32_e32 v161, v131, v146
	v_add_f32_e32 v1, v1, v120
	v_add_f32_e32 v3, v3, v163
	v_mul_f32_e32 v120, v8, v145
	v_fma_f32 v5, v5, v153, -v119
	v_fmac_f32_e32 v159, v8, v152
	v_add_f32_e32 v1, v1, v4
	v_add_f32_e32 v2, v3, v2
	v_mul_f32_e32 v3, v132, v146
	v_fma_f32 v4, v7, v152, -v120
	v_fmac_f32_e32 v161, v132, v151
	v_add_f32_e32 v1, v1, v5
	v_add_f32_e32 v2, v2, v136
	v_fma_f32 v3, v131, v151, -v3
	v_add_f32_e32 v1, v1, v4
	v_add_f32_e32 v2, v2, v159
	;; [unrolled: 1-line block ×4, first 2 shown]
	s_waitcnt vmcnt(0)
	v_sub_f32_e32 v1, v155, v1
	v_sub_f32_e32 v2, v157, v2
	buffer_store_dword v1, off, s[0:3], 0 offset:16
	buffer_store_dword v2, off, s[0:3], 0 offset:20
	v_cmpx_lt_u32_e32 1, v0
	s_cbranch_execz .LBB53_335
; %bb.334:
	s_clause 0x1
	buffer_load_dword v1, off, s[0:3], 0 offset:8
	buffer_load_dword v2, off, s[0:3], 0 offset:12
	buffer_store_dword v118, off, s[0:3], 0 offset:8
	buffer_store_dword v118, off, s[0:3], 0 offset:12
	s_waitcnt vmcnt(0)
	ds_write_b64 v117, v[1:2]
.LBB53_335:
	s_or_b32 exec_lo, exec_lo, s4
	s_waitcnt lgkmcnt(0)
	s_waitcnt_vscnt null, 0x0
	s_barrier
	buffer_gl0_inv
	s_clause 0x2c
	buffer_load_dword v156, off, s[0:3], 0 offset:20
	buffer_load_dword v157, off, s[0:3], 0 offset:28
	;; [unrolled: 1-line block ×45, first 2 shown]
	ds_read_b128 v[5:8], v118 offset:448
	ds_read_b128 v[1:4], v118 offset:464
	s_mov_b32 s4, exec_lo
	s_clause 0x1
	buffer_load_dword v167, off, s[0:3], 0 offset:196
	buffer_load_dword v168, off, s[0:3], 0 offset:204
	s_waitcnt vmcnt(46) lgkmcnt(1)
	v_mul_f32_e32 v158, v5, v156
	v_mul_f32_e32 v165, v6, v156
	s_waitcnt vmcnt(45)
	v_mul_f32_e32 v156, v7, v157
	v_mul_f32_e32 v166, v8, v157
	buffer_load_dword v157, off, s[0:3], 0 offset:12
	s_waitcnt vmcnt(43)
	v_fmac_f32_e32 v158, v6, v127
	v_fma_f32 v127, v5, v127, -v165
	v_fmac_f32_e32 v156, v8, v124
	v_fma_f32 v124, v7, v124, -v166
	ds_read_b128 v[5:8], v118 offset:480
	s_waitcnt vmcnt(42) lgkmcnt(1)
	v_mul_f32_e32 v165, v1, v121
	s_waitcnt vmcnt(41)
	v_mul_f32_e32 v166, v3, v122
	v_mul_f32_e32 v121, v2, v121
	v_mul_f32_e32 v122, v4, v122
	v_fmac_f32_e32 v165, v2, v119
	s_waitcnt vmcnt(37)
	v_fmac_f32_e32 v166, v4, v130
	v_fma_f32 v119, v1, v119, -v121
	v_fma_f32 v121, v3, v130, -v122
	ds_read_b128 v[1:4], v118 offset:496
	s_waitcnt vmcnt(36) lgkmcnt(1)
	v_mul_f32_e32 v122, v5, v129
	v_mul_f32_e32 v129, v6, v129
	s_waitcnt vmcnt(35)
	v_mul_f32_e32 v130, v7, v128
	v_mul_f32_e32 v128, v8, v128
	v_fmac_f32_e32 v122, v6, v126
	v_fma_f32 v126, v5, v126, -v129
	v_fmac_f32_e32 v130, v8, v123
	v_fma_f32 v123, v7, v123, -v128
	ds_read_b128 v[5:8], v118 offset:512
	s_waitcnt vmcnt(34) lgkmcnt(1)
	v_mul_f32_e32 v128, v1, v125
	v_mul_f32_e32 v125, v2, v125
	s_waitcnt vmcnt(33)
	v_mul_f32_e32 v129, v3, v131
	v_mul_f32_e32 v131, v4, v131
	v_fmac_f32_e32 v128, v2, v120
	v_fma_f32 v120, v1, v120, -v125
	s_waitcnt vmcnt(29)
	v_fmac_f32_e32 v129, v4, v139
	v_fma_f32 v125, v3, v139, -v131
	ds_read_b128 v[1:4], v118 offset:528
	s_waitcnt vmcnt(28) lgkmcnt(1)
	v_mul_f32_e32 v131, v5, v137
	v_mul_f32_e32 v137, v6, v137
	s_waitcnt vmcnt(27)
	v_mul_f32_e32 v139, v7, v136
	v_mul_f32_e32 v136, v8, v136
	v_fmac_f32_e32 v131, v6, v135
	v_fma_f32 v135, v5, v135, -v137
	v_fmac_f32_e32 v139, v8, v133
	v_fma_f32 v133, v7, v133, -v136
	ds_read_b128 v[5:8], v118 offset:544
	s_waitcnt vmcnt(26) lgkmcnt(1)
	v_mul_f32_e32 v136, v1, v134
	v_mul_f32_e32 v134, v2, v134
	s_waitcnt vmcnt(25)
	v_mul_f32_e32 v137, v3, v138
	v_mul_f32_e32 v138, v4, v138
	v_fmac_f32_e32 v136, v2, v132
	v_fma_f32 v132, v1, v132, -v134
	s_waitcnt vmcnt(21)
	v_fmac_f32_e32 v137, v4, v147
	;; [unrolled: 23-line block ×4, first 2 shown]
	v_fma_f32 v150, v3, v164, -v154
	ds_read_b128 v[1:4], v118 offset:624
	s_waitcnt vmcnt(4) lgkmcnt(1)
	v_mul_f32_e32 v154, v5, v163
	v_mul_f32_e32 v163, v6, v163
	s_waitcnt vmcnt(3)
	v_mul_f32_e32 v164, v7, v162
	v_mul_f32_e32 v162, v8, v162
	v_fmac_f32_e32 v154, v6, v161
	v_fma_f32 v161, v5, v161, -v163
	v_fmac_f32_e32 v164, v8, v160
	v_fma_f32 v160, v7, v160, -v162
	s_clause 0x4
	buffer_load_dword v162, off, s[0:3], 0 offset:224
	buffer_load_dword v163, off, s[0:3], 0 offset:216
	;; [unrolled: 1-line block ×5, first 2 shown]
	s_waitcnt vmcnt(7) lgkmcnt(0)
	v_mul_f32_e32 v171, v1, v167
	v_mul_f32_e32 v6, v2, v167
	s_waitcnt vmcnt(6)
	v_mul_f32_e32 v167, v3, v168
	v_fmac_f32_e32 v171, v2, v159
	v_fma_f32 v159, v1, v159, -v6
	v_mul_f32_e32 v1, v4, v168
	s_waitcnt vmcnt(1)
	v_fmac_f32_e32 v167, v4, v5
	v_fma_f32 v168, v3, v5, -v1
	ds_read_b128 v[1:4], v118 offset:640
	ds_read_b128 v[5:8], v118 offset:656
	s_waitcnt vmcnt(0) lgkmcnt(1)
	v_mul_f32_e32 v172, v1, v170
	v_mul_f32_e32 v170, v2, v170
	v_fmac_f32_e32 v172, v2, v169
	v_fma_f32 v169, v1, v169, -v170
	buffer_load_dword v1, off, s[0:3], 0 offset:220
	s_waitcnt vmcnt(0)
	v_mul_f32_e32 v170, v3, v1
	v_mul_f32_e32 v1, v4, v1
	v_fmac_f32_e32 v170, v4, v163
	v_fma_f32 v163, v3, v163, -v1
	buffer_load_dword v1, off, s[0:3], 0 offset:228
	s_waitcnt vmcnt(0) lgkmcnt(0)
	v_mul_f32_e32 v173, v5, v1
	v_mul_f32_e32 v1, v6, v1
	v_fmac_f32_e32 v173, v6, v162
	v_fma_f32 v162, v5, v162, -v1
	s_clause 0x5
	buffer_load_dword v1, off, s[0:3], 0 offset:236
	buffer_load_dword v174, off, s[0:3], 0 offset:256
	;; [unrolled: 1-line block ×6, first 2 shown]
	s_waitcnt vmcnt(5)
	v_mul_f32_e32 v177, v7, v1
	v_mul_f32_e32 v1, v8, v1
	s_waitcnt vmcnt(1)
	v_fmac_f32_e32 v177, v8, v2
	v_fma_f32 v178, v7, v2, -v1
	ds_read_b128 v[1:4], v118 offset:672
	ds_read_b128 v[5:8], v118 offset:688
	s_waitcnt vmcnt(0) lgkmcnt(1)
	v_mul_f32_e32 v180, v1, v179
	v_mul_f32_e32 v179, v2, v179
	v_fmac_f32_e32 v180, v2, v176
	v_fma_f32 v176, v1, v176, -v179
	buffer_load_dword v1, off, s[0:3], 0 offset:252
	s_waitcnt vmcnt(0)
	v_mul_f32_e32 v179, v3, v1
	v_mul_f32_e32 v1, v4, v1
	v_fmac_f32_e32 v179, v4, v175
	v_fma_f32 v175, v3, v175, -v1
	buffer_load_dword v1, off, s[0:3], 0 offset:260
	s_waitcnt vmcnt(0) lgkmcnt(0)
	v_mul_f32_e32 v181, v5, v1
	v_mul_f32_e32 v1, v6, v1
	v_fmac_f32_e32 v181, v6, v174
	v_fma_f32 v174, v5, v174, -v1
	s_clause 0x5
	buffer_load_dword v1, off, s[0:3], 0 offset:268
	buffer_load_dword v182, off, s[0:3], 0 offset:288
	;; [unrolled: 1-line block ×6, first 2 shown]
	s_waitcnt vmcnt(5)
	v_mul_f32_e32 v185, v7, v1
	v_mul_f32_e32 v1, v8, v1
	s_waitcnt vmcnt(1)
	v_fmac_f32_e32 v185, v8, v2
	v_fma_f32 v186, v7, v2, -v1
	ds_read_b128 v[1:4], v118 offset:704
	ds_read_b128 v[5:8], v118 offset:720
	s_waitcnt vmcnt(0) lgkmcnt(1)
	v_mul_f32_e32 v188, v1, v187
	v_mul_f32_e32 v187, v2, v187
	v_fmac_f32_e32 v188, v2, v184
	v_fma_f32 v184, v1, v184, -v187
	buffer_load_dword v1, off, s[0:3], 0 offset:284
	v_add_f32_e32 v2, 0, v127
	v_add_f32_e32 v2, v2, v124
	;; [unrolled: 1-line block ×26, first 2 shown]
	s_waitcnt vmcnt(0)
	v_mul_f32_e32 v187, v3, v1
	v_mul_f32_e32 v1, v4, v1
	v_fmac_f32_e32 v187, v4, v183
	v_fma_f32 v183, v3, v183, -v1
	s_clause 0x1
	buffer_load_dword v3, off, s[0:3], 0 offset:292
	buffer_load_dword v4, off, s[0:3], 0 offset:300
	v_add_f32_e32 v1, 0, v158
	s_clause 0x6
	buffer_load_dword v123, off, s[0:3], 0 offset:320
	buffer_load_dword v119, off, s[0:3], 0 offset:312
	;; [unrolled: 1-line block ×7, first 2 shown]
	v_add_f32_e32 v1, v1, v156
	v_add_f32_e32 v1, v1, v165
	;; [unrolled: 1-line block ×4, first 2 shown]
	buffer_load_dword v122, off, s[0:3], 0 offset:308
	v_add_f32_e32 v1, v1, v130
	v_add_f32_e32 v1, v1, v128
	;; [unrolled: 1-line block ×6, first 2 shown]
	s_clause 0x5
	buffer_load_dword v135, off, s[0:3], 0 offset:352
	buffer_load_dword v136, off, s[0:3], 0 offset:344
	;; [unrolled: 1-line block ×6, first 2 shown]
	v_add_f32_e32 v1, v1, v137
	buffer_load_dword v137, off, s[0:3], 0 offset:348
	v_add_f32_e32 v1, v1, v138
	s_clause 0x3
	buffer_load_dword v138, off, s[0:3], 0 offset:356
	buffer_load_dword v140, off, s[0:3], 0 offset:372
	;; [unrolled: 1-line block ×4, first 2 shown]
	v_add_f32_e32 v1, v1, v147
	v_add_f32_e32 v1, v1, v144
	;; [unrolled: 1-line block ×4, first 2 shown]
	s_clause 0x8
	buffer_load_dword v143, off, s[0:3], 0 offset:396
	buffer_load_dword v144, off, s[0:3], 0 offset:404
	;; [unrolled: 1-line block ×9, first 2 shown]
	v_add_f32_e32 v1, v1, v155
	v_add_f32_e32 v1, v1, v152
	;; [unrolled: 1-line block ×4, first 2 shown]
	s_clause 0x5
	buffer_load_dword v152, off, s[0:3], 0 offset:416
	buffer_load_dword v153, off, s[0:3], 0 offset:408
	;; [unrolled: 1-line block ×6, first 2 shown]
	v_add_f32_e32 v1, v1, v164
	v_add_f32_e32 v1, v1, v171
	;; [unrolled: 1-line block ×5, first 2 shown]
	s_waitcnt vmcnt(35) lgkmcnt(0)
	v_mul_f32_e32 v126, v5, v3
	v_mul_f32_e32 v3, v6, v3
	s_waitcnt vmcnt(34)
	v_mul_f32_e32 v132, v7, v4
	v_fmac_f32_e32 v126, v6, v182
	v_fma_f32 v128, v5, v182, -v3
	v_mul_f32_e32 v3, v8, v4
	v_add_f32_e32 v5, v1, v173
	v_add_f32_e32 v6, v2, v162
	s_waitcnt vmcnt(30)
	v_fmac_f32_e32 v132, v8, v121
	v_fma_f32 v133, v7, v121, -v3
	ds_read_b128 v[1:4], v118 offset:736
	v_add_f32_e32 v5, v5, v177
	v_add_f32_e32 v6, v6, v178
	;; [unrolled: 1-line block ×4, first 2 shown]
	ds_read_b128 v[5:8], v118 offset:752
	v_add_f32_e32 v121, v121, v179
	v_add_f32_e32 v134, v134, v175
	s_waitcnt vmcnt(26) lgkmcnt(1)
	v_mul_f32_e32 v159, v1, v122
	v_mul_f32_e32 v122, v2, v122
	v_mul_f32_e32 v160, v3, v124
	v_mul_f32_e32 v124, v4, v124
	v_fmac_f32_e32 v159, v2, v120
	v_fma_f32 v161, v1, v120, -v122
	v_add_f32_e32 v120, v121, v181
	v_fma_f32 v162, v3, v119, -v124
	v_add_f32_e32 v124, v134, v174
	v_fmac_f32_e32 v160, v4, v119
	ds_read_b128 v[1:4], v118 offset:768
	v_add_f32_e32 v134, v120, v185
	s_waitcnt lgkmcnt(1)
	v_mul_f32_e32 v163, v5, v125
	v_add_f32_e32 v124, v124, v186
	v_mul_f32_e32 v164, v7, v127
	v_mul_f32_e32 v125, v6, v125
	v_add_f32_e32 v134, v134, v188
	v_mul_f32_e32 v127, v8, v127
	v_add_f32_e32 v124, v124, v184
	v_fmac_f32_e32 v163, v6, v123
	ds_read_b128 v[119:122], v118 offset:784
	v_add_f32_e32 v6, v134, v187
	s_waitcnt vmcnt(22)
	v_fma_f32 v166, v7, v129, -v127
	v_add_f32_e32 v134, v124, v183
	v_fmac_f32_e32 v164, v8, v129
	v_fma_f32 v165, v5, v123, -v125
	v_add_f32_e32 v127, v6, v126
	ds_read_b128 v[5:8], v118 offset:800
	ds_read_b128 v[123:126], v118 offset:816
	v_add_f32_e32 v134, v134, v128
	s_waitcnt vmcnt(21) lgkmcnt(3)
	v_mul_f32_e32 v167, v1, v130
	v_mul_f32_e32 v168, v2, v130
	v_add_f32_e32 v132, v127, v132
	v_add_f32_e32 v169, v134, v133
	ds_read_b128 v[127:130], v118 offset:832
	v_fmac_f32_e32 v167, v2, v131
	v_fma_f32 v1, v1, v131, -v168
	v_add_f32_e32 v2, v132, v159
	ds_read_b128 v[131:134], v118 offset:848
	v_add_f32_e32 v118, v169, v161
	s_waitcnt vmcnt(19)
	v_mul_f32_e32 v159, v3, v137
	v_mul_f32_e32 v137, v4, v137
	v_add_f32_e32 v2, v2, v160
	s_waitcnt vmcnt(18) lgkmcnt(4)
	v_mul_f32_e32 v160, v119, v138
	v_add_f32_e32 v118, v118, v162
	v_mul_f32_e32 v138, v120, v138
	v_fma_f32 v3, v3, v136, -v137
	v_add_f32_e32 v2, v2, v163
	v_fmac_f32_e32 v159, v4, v136
	v_add_f32_e32 v118, v118, v165
	v_mul_f32_e32 v161, v121, v139
	v_mul_f32_e32 v139, v122, v139
	v_add_f32_e32 v2, v2, v164
	v_fma_f32 v119, v119, v135, -v138
	v_add_f32_e32 v118, v118, v166
	v_fmac_f32_e32 v160, v120, v135
	s_waitcnt vmcnt(6)
	v_fma_f32 v120, v121, v151, -v139
	v_add_f32_e32 v2, v2, v167
	s_waitcnt lgkmcnt(3)
	v_mul_f32_e32 v4, v5, v140
	v_add_f32_e32 v1, v118, v1
	v_fmac_f32_e32 v161, v122, v151
	v_mul_f32_e32 v136, v7, v141
	v_add_f32_e32 v2, v2, v159
	v_fmac_f32_e32 v4, v6, v150
	v_add_f32_e32 v1, v1, v3
	v_mul_f32_e32 v3, v6, v140
	s_waitcnt lgkmcnt(2)
	v_mul_f32_e32 v137, v123, v142
	v_add_f32_e32 v2, v2, v160
	v_fmac_f32_e32 v136, v8, v149
	v_add_f32_e32 v1, v1, v119
	v_mul_f32_e32 v119, v8, v141
	v_fma_f32 v3, v5, v150, -v3
	v_add_f32_e32 v2, v2, v161
	v_mul_f32_e32 v5, v124, v142
	v_add_f32_e32 v1, v1, v120
	v_fma_f32 v6, v7, v149, -v119
	v_mul_f32_e32 v162, v125, v143
	v_add_f32_e32 v2, v2, v4
	v_fma_f32 v4, v123, v148, -v5
	v_add_f32_e32 v1, v1, v3
	v_mul_f32_e32 v3, v126, v143
	v_fmac_f32_e32 v137, v124, v148
	v_add_f32_e32 v2, v2, v136
	s_waitcnt lgkmcnt(1)
	v_mul_f32_e32 v5, v128, v144
	v_add_f32_e32 v1, v1, v6
	s_waitcnt vmcnt(2)
	v_fma_f32 v3, v125, v155, -v3
	v_mul_f32_e32 v163, v127, v144
	v_fmac_f32_e32 v162, v126, v155
	v_add_f32_e32 v2, v2, v137
	v_add_f32_e32 v1, v1, v4
	v_mul_f32_e32 v4, v130, v145
	v_fma_f32 v5, v127, v154, -v5
	v_mul_f32_e32 v164, v129, v145
	v_fmac_f32_e32 v163, v128, v154
	v_add_f32_e32 v1, v1, v3
	v_add_f32_e32 v2, v2, v162
	s_waitcnt lgkmcnt(0)
	v_mul_f32_e32 v3, v132, v146
	v_fma_f32 v4, v129, v153, -v4
	v_mul_f32_e32 v165, v131, v146
	v_add_f32_e32 v1, v1, v5
	v_fmac_f32_e32 v164, v130, v153
	v_add_f32_e32 v2, v2, v163
	v_mul_f32_e32 v5, v134, v147
	v_fma_f32 v3, v131, v152, -v3
	v_add_f32_e32 v1, v1, v4
	v_mul_f32_e32 v118, v133, v147
	v_fmac_f32_e32 v165, v132, v152
	v_add_f32_e32 v2, v2, v164
	s_waitcnt vmcnt(1)
	v_fma_f32 v4, v133, v156, -v5
	v_add_f32_e32 v1, v1, v3
	v_fmac_f32_e32 v118, v134, v156
	v_add_f32_e32 v2, v2, v165
	v_add_f32_e32 v1, v1, v4
	;; [unrolled: 1-line block ×3, first 2 shown]
	s_waitcnt vmcnt(0)
	v_sub_f32_e32 v1, v158, v1
	v_sub_f32_e32 v2, v157, v2
	buffer_store_dword v1, off, s[0:3], 0 offset:8
	buffer_store_dword v2, off, s[0:3], 0 offset:12
	v_cmpx_ne_u32_e32 0, v0
	s_cbranch_execz .LBB53_337
; %bb.336:
	s_clause 0x1
	buffer_load_dword v0, off, s[0:3], 0
	buffer_load_dword v1, off, s[0:3], 0 offset:4
	v_mov_b32_e32 v2, 0
	buffer_store_dword v2, off, s[0:3], 0
	buffer_store_dword v2, off, s[0:3], 0 offset:4
	s_waitcnt vmcnt(0)
	ds_write_b64 v117, v[0:1]
.LBB53_337:
	s_or_b32 exec_lo, exec_lo, s4
	s_waitcnt lgkmcnt(0)
	s_waitcnt_vscnt null, 0x0
	s_barrier
	buffer_gl0_inv
	s_clause 0x2c
	buffer_load_dword v155, off, s[0:3], 0 offset:12
	buffer_load_dword v8, off, s[0:3], 0 offset:24
	;; [unrolled: 1-line block ×45, first 2 shown]
	v_mov_b32_e32 v154, 0
	ds_read2_b64 v[4:7], v154 offset0:55 offset1:56
	ds_read2_b64 v[0:3], v154 offset0:57 offset1:58
	;; [unrolled: 1-line block ×3, first 2 shown]
	s_and_b32 vcc_lo, exec_lo, s22
	s_waitcnt vmcnt(44) lgkmcnt(2)
	v_mul_f32_e32 v156, v4, v155
	v_mul_f32_e32 v163, v5, v155
	buffer_load_dword v155, off, s[0:3], 0 offset:4
	s_waitcnt vmcnt(42)
	v_fmac_f32_e32 v156, v5, v124
	v_fma_f32 v124, v4, v124, -v163
	s_waitcnt vmcnt(41)
	v_mul_f32_e32 v163, v6, v123
	v_mul_f32_e32 v4, v7, v123
	s_waitcnt vmcnt(40) lgkmcnt(1)
	v_mul_f32_e32 v168, v0, v121
	s_waitcnt vmcnt(39)
	v_mul_f32_e32 v169, v2, v118
	v_fmac_f32_e32 v163, v7, v119
	v_fma_f32 v123, v6, v119, -v4
	v_mul_f32_e32 v119, v1, v121
	ds_read2_b64 v[4:7], v154 offset0:61 offset1:62
	v_fmac_f32_e32 v168, v1, v8
	s_waitcnt vmcnt(35)
	v_fmac_f32_e32 v169, v3, v128
	s_waitcnt vmcnt(34) lgkmcnt(1)
	v_mul_f32_e32 v170, v164, v127
	v_fma_f32 v8, v0, v8, -v119
	v_mul_f32_e32 v0, v3, v118
	v_mul_f32_e32 v118, v165, v127
	s_waitcnt vmcnt(33)
	v_mul_f32_e32 v127, v166, v126
	v_fmac_f32_e32 v170, v165, v125
	v_fma_f32 v128, v2, v128, -v0
	ds_read2_b64 v[0:3], v154 offset0:63 offset1:64
	v_fma_f32 v125, v164, v125, -v118
	v_mul_f32_e32 v118, v167, v126
	v_fmac_f32_e32 v127, v167, v120
	v_fma_f32 v126, v166, v120, -v118
	ds_read2_b64 v[118:121], v154 offset0:65 offset1:66
	s_waitcnt vmcnt(32) lgkmcnt(2)
	v_mul_f32_e32 v164, v4, v122
	v_mul_f32_e32 v122, v5, v122
	s_waitcnt vmcnt(31)
	v_mul_f32_e32 v165, v6, v129
	v_fmac_f32_e32 v164, v5, v117
	v_fma_f32 v122, v4, v117, -v122
	v_mul_f32_e32 v4, v7, v129
	s_waitcnt vmcnt(27)
	v_fmac_f32_e32 v165, v7, v137
	s_waitcnt vmcnt(26) lgkmcnt(1)
	v_mul_f32_e32 v117, v1, v136
	v_fma_f32 v129, v6, v137, -v4
	v_mul_f32_e32 v137, v0, v136
	ds_read2_b64 v[4:7], v154 offset0:67 offset1:68
	s_waitcnt vmcnt(25)
	v_mul_f32_e32 v136, v2, v134
	v_fmac_f32_e32 v137, v1, v133
	v_fma_f32 v133, v0, v133, -v117
	v_mul_f32_e32 v0, v3, v134
	v_fmac_f32_e32 v136, v3, v131
	s_waitcnt vmcnt(24) lgkmcnt(1)
	v_mul_f32_e32 v134, v118, v132
	v_mul_f32_e32 v117, v119, v132
	s_waitcnt vmcnt(23)
	v_mul_f32_e32 v132, v120, v135
	v_fma_f32 v131, v2, v131, -v0
	ds_read2_b64 v[0:3], v154 offset0:69 offset1:70
	v_fmac_f32_e32 v134, v119, v130
	v_fma_f32 v130, v118, v130, -v117
	v_mul_f32_e32 v117, v121, v135
	s_waitcnt vmcnt(19)
	v_fmac_f32_e32 v132, v121, v145
	v_fma_f32 v121, v120, v145, -v117
	s_waitcnt vmcnt(18) lgkmcnt(1)
	v_mul_f32_e32 v135, v4, v144
	v_mul_f32_e32 v144, v5, v144
	ds_read2_b64 v[117:120], v154 offset0:71 offset1:72
	v_fmac_f32_e32 v135, v5, v141
	v_fma_f32 v141, v4, v141, -v144
	s_waitcnt vmcnt(17)
	v_mul_f32_e32 v144, v6, v142
	v_mul_f32_e32 v4, v7, v142
	s_waitcnt vmcnt(16) lgkmcnt(1)
	v_mul_f32_e32 v142, v0, v140
	v_mul_f32_e32 v140, v1, v140
	v_fmac_f32_e32 v144, v7, v139
	v_fma_f32 v139, v6, v139, -v4
	ds_read2_b64 v[4:7], v154 offset0:73 offset1:74
	v_fmac_f32_e32 v142, v1, v138
	v_fma_f32 v138, v0, v138, -v140
	s_waitcnt vmcnt(15)
	v_mul_f32_e32 v140, v2, v143
	v_mul_f32_e32 v0, v3, v143
	s_waitcnt vmcnt(10) lgkmcnt(1)
	v_mul_f32_e32 v145, v117, v151
	v_fmac_f32_e32 v140, v3, v152
	v_fma_f32 v143, v2, v152, -v0
	ds_read2_b64 v[0:3], v154 offset0:75 offset1:76
	v_mul_f32_e32 v151, v118, v151
	v_fmac_f32_e32 v145, v118, v149
	s_waitcnt vmcnt(9)
	v_mul_f32_e32 v118, v119, v150
	v_fma_f32 v117, v117, v149, -v151
	v_mul_f32_e32 v149, v120, v150
	v_fmac_f32_e32 v118, v120, v147
	buffer_load_dword v150, off, s[0:3], 0 offset:188
	s_waitcnt vmcnt(9) lgkmcnt(1)
	v_mul_f32_e32 v120, v4, v148
	v_fma_f32 v119, v119, v147, -v149
	v_mul_f32_e32 v147, v5, v148
	s_waitcnt vmcnt(8)
	v_mul_f32_e32 v148, v6, v153
	v_mul_f32_e32 v149, v7, v153
	v_fmac_f32_e32 v120, v5, v146
	v_fma_f32 v146, v4, v146, -v147
	s_waitcnt vmcnt(4)
	v_fmac_f32_e32 v148, v7, v162
	v_fma_f32 v147, v6, v162, -v149
	ds_read2_b64 v[4:7], v154 offset0:77 offset1:78
	s_waitcnt vmcnt(2) lgkmcnt(1)
	v_mul_f32_e32 v152, v2, v160
	v_mul_f32_e32 v153, v3, v160
	buffer_load_dword v160, off, s[0:3], 0 offset:196
	v_mul_f32_e32 v149, v0, v161
	v_mul_f32_e32 v151, v1, v161
	v_fmac_f32_e32 v152, v3, v158
	v_fma_f32 v153, v2, v158, -v153
	v_fmac_f32_e32 v149, v1, v159
	v_fma_f32 v151, v0, v159, -v151
	s_clause 0x4
	buffer_load_dword v158, off, s[0:3], 0 offset:216
	buffer_load_dword v159, off, s[0:3], 0 offset:208
	;; [unrolled: 1-line block ×5, first 2 shown]
	s_waitcnt vmcnt(6) lgkmcnt(0)
	v_mul_f32_e32 v166, v4, v150
	v_mul_f32_e32 v1, v5, v150
	v_fmac_f32_e32 v166, v5, v157
	v_fma_f32 v157, v4, v157, -v1
	s_waitcnt vmcnt(5)
	v_mul_f32_e32 v150, v6, v160
	v_mul_f32_e32 v2, v7, v160
	s_waitcnt vmcnt(1)
	v_fmac_f32_e32 v150, v7, v0
	v_fma_f32 v160, v6, v0, -v2
	ds_read2_b64 v[0:3], v154 offset0:79 offset1:80
	ds_read2_b64 v[4:7], v154 offset0:81 offset1:82
	s_waitcnt vmcnt(0) lgkmcnt(1)
	v_mul_f32_e32 v167, v0, v162
	v_mul_f32_e32 v162, v1, v162
	v_fmac_f32_e32 v167, v1, v161
	v_fma_f32 v161, v0, v161, -v162
	buffer_load_dword v0, off, s[0:3], 0 offset:212
	s_waitcnt vmcnt(0)
	v_mul_f32_e32 v162, v2, v0
	v_mul_f32_e32 v0, v3, v0
	v_fmac_f32_e32 v162, v3, v159
	v_fma_f32 v159, v2, v159, -v0
	buffer_load_dword v0, off, s[0:3], 0 offset:220
	s_waitcnt vmcnt(0) lgkmcnt(0)
	v_mul_f32_e32 v171, v4, v0
	v_mul_f32_e32 v0, v5, v0
	v_fmac_f32_e32 v171, v5, v158
	v_fma_f32 v158, v4, v158, -v0
	s_clause 0x5
	buffer_load_dword v0, off, s[0:3], 0 offset:228
	buffer_load_dword v172, off, s[0:3], 0 offset:248
	buffer_load_dword v173, off, s[0:3], 0 offset:240
	buffer_load_dword v174, off, s[0:3], 0 offset:232
	buffer_load_dword v1, off, s[0:3], 0 offset:224
	buffer_load_dword v177, off, s[0:3], 0 offset:236
	s_waitcnt vmcnt(5)
	v_mul_f32_e32 v175, v6, v0
	v_mul_f32_e32 v0, v7, v0
	s_waitcnt vmcnt(1)
	v_fmac_f32_e32 v175, v7, v1
	v_fma_f32 v176, v6, v1, -v0
	ds_read2_b64 v[0:3], v154 offset0:83 offset1:84
	ds_read2_b64 v[4:7], v154 offset0:85 offset1:86
	s_waitcnt vmcnt(0) lgkmcnt(1)
	v_mul_f32_e32 v178, v0, v177
	v_mul_f32_e32 v177, v1, v177
	v_fmac_f32_e32 v178, v1, v174
	v_fma_f32 v174, v0, v174, -v177
	buffer_load_dword v0, off, s[0:3], 0 offset:244
	v_add_f32_e32 v1, 0, v124
	v_add_f32_e32 v1, v1, v123
	buffer_load_dword v123, off, s[0:3], 0 offset:260
	v_add_f32_e32 v1, v1, v8
	buffer_load_dword v8, off, s[0:3], 0 offset:252
	v_add_f32_e32 v1, v1, v128
	v_add_f32_e32 v1, v1, v125
	;; [unrolled: 1-line block ×4, first 2 shown]
	s_clause 0x4
	buffer_load_dword v122, off, s[0:3], 0 offset:280
	buffer_load_dword v124, off, s[0:3], 0 offset:272
	;; [unrolled: 1-line block ×5, first 2 shown]
	v_add_f32_e32 v1, v1, v129
	buffer_load_dword v129, off, s[0:3], 0 offset:284
	v_add_f32_e32 v1, v1, v133
	buffer_load_dword v133, off, s[0:3], 0 offset:292
	v_add_f32_e32 v1, v1, v131
	v_add_f32_e32 v1, v1, v130
	;; [unrolled: 1-line block ×4, first 2 shown]
	s_waitcnt vmcnt(9)
	v_mul_f32_e32 v177, v2, v0
	v_mul_f32_e32 v0, v3, v0
	v_fmac_f32_e32 v177, v3, v173
	v_fma_f32 v173, v2, v173, -v0
	v_add_f32_e32 v0, 0, v156
	v_add_f32_e32 v0, v0, v163
	;; [unrolled: 1-line block ×6, first 2 shown]
	buffer_load_dword v127, off, s[0:3], 0 offset:268
	v_add_f32_e32 v0, v0, v164
	v_add_f32_e32 v0, v0, v165
	;; [unrolled: 1-line block ×6, first 2 shown]
	s_clause 0x5
	buffer_load_dword v130, off, s[0:3], 0 offset:312
	buffer_load_dword v131, off, s[0:3], 0 offset:304
	;; [unrolled: 1-line block ×6, first 2 shown]
	v_add_f32_e32 v0, v0, v135
	v_add_f32_e32 v135, v1, v139
	s_waitcnt vmcnt(15) lgkmcnt(0)
	v_mul_f32_e32 v139, v6, v123
	v_mul_f32_e32 v123, v7, v123
	v_add_f32_e32 v0, v0, v144
	v_add_f32_e32 v135, v135, v138
	s_waitcnt vmcnt(14)
	v_mul_f32_e32 v138, v4, v8
	v_mul_f32_e32 v8, v5, v8
	s_waitcnt vmcnt(10)
	v_fmac_f32_e32 v139, v7, v126
	v_add_f32_e32 v137, v0, v142
	ds_read2_b64 v[0:3], v154 offset0:87 offset1:88
	v_add_f32_e32 v135, v135, v143
	v_fma_f32 v8, v4, v172, -v8
	v_fma_f32 v123, v6, v126, -v123
	v_add_f32_e32 v137, v137, v140
	buffer_load_dword v140, off, s[0:3], 0 offset:316
	v_add_f32_e32 v117, v135, v117
	v_fmac_f32_e32 v138, v5, v172
	v_add_f32_e32 v4, v137, v145
	s_clause 0x4
	buffer_load_dword v126, off, s[0:3], 0 offset:324
	buffer_load_dword v135, off, s[0:3], 0 offset:344
	buffer_load_dword v137, off, s[0:3], 0 offset:336
	buffer_load_dword v141, off, s[0:3], 0 offset:328
	buffer_load_dword v142, off, s[0:3], 0 offset:320
	v_add_f32_e32 v117, v117, v119
	v_add_f32_e32 v118, v4, v118
	ds_read2_b64 v[4:7], v154 offset0:89 offset1:90
	s_waitcnt vmcnt(15) lgkmcnt(1)
	v_mul_f32_e32 v144, v2, v128
	v_fmac_f32_e32 v144, v3, v124
	s_waitcnt vmcnt(12)
	v_mul_f32_e32 v143, v0, v127
	v_mul_f32_e32 v119, v1, v127
	v_fmac_f32_e32 v143, v1, v125
	v_fma_f32 v119, v0, v125, -v119
	s_clause 0x1
	buffer_load_dword v125, off, s[0:3], 0 offset:332
	buffer_load_dword v127, off, s[0:3], 0 offset:340
	v_add_f32_e32 v0, v118, v120
	v_add_f32_e32 v1, v117, v146
	v_mul_f32_e32 v117, v3, v128
	buffer_load_dword v145, off, s[0:3], 0 offset:348
	s_waitcnt lgkmcnt(0)
	v_mul_f32_e32 v120, v5, v129
	v_add_f32_e32 v0, v0, v148
	v_add_f32_e32 v1, v1, v147
	v_fma_f32 v124, v2, v124, -v117
	v_mul_f32_e32 v128, v4, v129
	v_mul_f32_e32 v129, v6, v133
	v_add_f32_e32 v117, v0, v149
	v_add_f32_e32 v118, v1, v151
	v_mul_f32_e32 v133, v7, v133
	v_fma_f32 v151, v4, v122, -v120
	s_clause 0x3
	buffer_load_dword v146, off, s[0:3], 0 offset:356
	buffer_load_dword v147, off, s[0:3], 0 offset:364
	buffer_load_dword v148, off, s[0:3], 0 offset:372
	buffer_load_dword v149, off, s[0:3], 0 offset:380
	v_add_f32_e32 v117, v117, v152
	v_add_f32_e32 v118, v118, v153
	ds_read2_b64 v[0:3], v154 offset0:91 offset1:92
	v_fmac_f32_e32 v128, v5, v122
	v_add_f32_e32 v117, v117, v166
	v_add_f32_e32 v4, v118, v157
	s_waitcnt vmcnt(15)
	v_fmac_f32_e32 v129, v7, v134
	v_fma_f32 v133, v6, v134, -v133
	v_add_f32_e32 v5, v117, v150
	s_clause 0x4
	buffer_load_dword v150, off, s[0:3], 0 offset:388
	buffer_load_dword v152, off, s[0:3], 0 offset:396
	;; [unrolled: 1-line block ×5, first 2 shown]
	v_add_f32_e32 v4, v4, v160
	s_clause 0x4
	buffer_load_dword v157, off, s[0:3], 0 offset:376
	buffer_load_dword v160, off, s[0:3], 0 offset:368
	;; [unrolled: 1-line block ×5, first 2 shown]
	v_add_f32_e32 v5, v5, v167
	v_add_f32_e32 v4, v4, v161
	;; [unrolled: 1-line block ×3, first 2 shown]
	s_waitcnt vmcnt(24) lgkmcnt(0)
	v_mul_f32_e32 v120, v1, v121
	v_add_f32_e32 v118, v4, v159
	ds_read2_b64 v[4:7], v154 offset0:93 offset1:94
	v_add_f32_e32 v117, v117, v171
	v_mul_f32_e32 v159, v0, v121
	s_waitcnt vmcnt(23)
	v_mul_f32_e32 v170, v2, v136
	v_add_f32_e32 v118, v118, v158
	s_clause 0x6
	buffer_load_dword v158, off, s[0:3], 0 offset:408
	buffer_load_dword v161, off, s[0:3], 0 offset:400
	;; [unrolled: 1-line block ×6, first 2 shown]
	buffer_load_dword v169, off, s[0:3], 0
	v_fmac_f32_e32 v159, v1, v132
	v_fma_f32 v132, v0, v132, -v120
	v_add_f32_e32 v0, v117, v175
	v_add_f32_e32 v1, v118, v176
	v_fmac_f32_e32 v170, v3, v131
	v_add_f32_e32 v0, v0, v178
	v_add_f32_e32 v1, v1, v174
	;; [unrolled: 1-line block ×4, first 2 shown]
	v_mul_f32_e32 v1, v3, v136
	s_waitcnt vmcnt(29) lgkmcnt(0)
	v_mul_f32_e32 v136, v4, v140
	v_mul_f32_e32 v121, v5, v140
	v_add_f32_e32 v117, v117, v138
	v_add_f32_e32 v8, v0, v8
	v_fma_f32 v131, v2, v131, -v1
	ds_read2_b64 v[0:3], v154 offset0:95 offset1:96
	s_waitcnt vmcnt(28)
	v_mul_f32_e32 v138, v6, v126
	v_add_f32_e32 v122, v117, v139
	v_add_f32_e32 v8, v8, v123
	v_mul_f32_e32 v123, v7, v126
	v_fmac_f32_e32 v136, v5, v130
	s_waitcnt vmcnt(24)
	v_fmac_f32_e32 v138, v7, v142
	v_add_f32_e32 v126, v122, v143
	v_add_f32_e32 v8, v8, v119
	ds_read2_b64 v[117:120], v154 offset0:97 offset1:98
	v_fma_f32 v140, v6, v142, -v123
	v_fma_f32 v139, v4, v130, -v121
	v_add_f32_e32 v126, v126, v144
	v_add_f32_e32 v8, v8, v124
	ds_read2_b64 v[4:7], v154 offset0:99 offset1:100
	ds_read2_b64 v[121:124], v154 offset0:101 offset1:102
	v_add_f32_e32 v126, v126, v128
	v_add_f32_e32 v8, v8, v151
	s_waitcnt vmcnt(23) lgkmcnt(3)
	v_mul_f32_e32 v142, v0, v125
	v_mul_f32_e32 v125, v1, v125
	s_waitcnt vmcnt(22)
	v_mul_f32_e32 v143, v2, v127
	v_mul_f32_e32 v130, v3, v127
	v_fmac_f32_e32 v142, v1, v141
	v_add_f32_e32 v1, v8, v133
	v_fma_f32 v8, v0, v141, -v125
	v_add_f32_e32 v0, v126, v129
	v_fmac_f32_e32 v143, v3, v137
	v_fma_f32 v133, v2, v137, -v130
	v_add_f32_e32 v132, v1, v132
	s_waitcnt vmcnt(21) lgkmcnt(2)
	v_mul_f32_e32 v144, v118, v145
	v_add_f32_e32 v137, v0, v159
	s_waitcnt vmcnt(20)
	v_mul_f32_e32 v141, v119, v146
	ds_read2_b64 v[125:128], v154 offset0:103 offset1:104
	v_add_f32_e32 v131, v132, v131
	v_mul_f32_e32 v132, v117, v145
	v_add_f32_e32 v137, v137, v170
	v_fma_f32 v117, v117, v135, -v144
	s_waitcnt vmcnt(18) lgkmcnt(2)
	v_mul_f32_e32 v145, v6, v148
	v_add_f32_e32 v131, v131, v139
	v_mul_f32_e32 v139, v120, v146
	v_add_f32_e32 v136, v137, v136
	v_fmac_f32_e32 v132, v118, v135
	v_mul_f32_e32 v137, v4, v147
	v_add_f32_e32 v131, v131, v140
	v_mul_f32_e32 v135, v5, v147
	v_add_f32_e32 v136, v136, v138
	ds_read2_b64 v[0:3], v154 offset0:105 offset1:106
	ds_read_b64 v[129:130], v154 offset:856
	s_waitcnt vmcnt(8)
	v_fma_f32 v119, v119, v164, -v139
	v_add_f32_e32 v8, v131, v8
	v_fmac_f32_e32 v141, v120, v164
	v_add_f32_e32 v136, v136, v142
	v_mul_f32_e32 v120, v7, v148
	v_fmac_f32_e32 v137, v5, v163
	v_add_f32_e32 v8, v8, v133
	v_fma_f32 v4, v4, v163, -v135
	v_add_f32_e32 v133, v136, v143
	v_fma_f32 v6, v6, v160, -v120
	s_waitcnt lgkmcnt(3)
	v_mul_f32_e32 v140, v121, v149
	v_add_f32_e32 v8, v8, v117
	v_fmac_f32_e32 v145, v7, v160
	v_add_f32_e32 v117, v133, v132
	v_mul_f32_e32 v7, v124, v150
	v_mul_f32_e32 v138, v123, v150
	v_add_f32_e32 v5, v8, v119
	v_fmac_f32_e32 v140, v122, v157
	v_add_f32_e32 v8, v117, v141
	v_mul_f32_e32 v117, v122, v149
	s_waitcnt vmcnt(3)
	v_fma_f32 v7, v123, v166, -v7
	v_add_f32_e32 v4, v5, v4
	s_waitcnt lgkmcnt(2)
	v_mul_f32_e32 v146, v125, v152
	v_add_f32_e32 v5, v8, v137
	v_fma_f32 v8, v121, v157, -v117
	v_fmac_f32_e32 v138, v124, v166
	v_add_f32_e32 v4, v4, v6
	v_mul_f32_e32 v6, v126, v152
	v_add_f32_e32 v5, v5, v145
	v_mul_f32_e32 v131, v127, v153
	v_fmac_f32_e32 v146, v126, v162
	v_add_f32_e32 v4, v4, v8
	v_mul_f32_e32 v8, v128, v153
	v_add_f32_e32 v5, v5, v140
	v_fma_f32 v6, v125, v162, -v6
	s_waitcnt lgkmcnt(1)
	v_mul_f32_e32 v142, v0, v156
	v_add_f32_e32 v4, v4, v7
	v_mul_f32_e32 v7, v1, v156
	v_add_f32_e32 v5, v5, v138
	v_fma_f32 v8, v127, v161, -v8
	v_fmac_f32_e32 v131, v128, v161
	v_add_f32_e32 v4, v4, v6
	v_mul_f32_e32 v6, v3, v134
	v_add_f32_e32 v5, v5, v146
	v_fmac_f32_e32 v142, v1, v158
	v_fma_f32 v0, v0, v158, -v7
	v_add_f32_e32 v1, v4, v8
	v_mul_f32_e32 v118, v2, v134
	v_add_f32_e32 v4, v5, v131
	s_waitcnt lgkmcnt(0)
	v_mul_f32_e32 v5, v130, v165
	s_waitcnt vmcnt(1)
	v_fma_f32 v2, v2, v168, -v6
	v_add_f32_e32 v0, v1, v0
	v_mul_f32_e32 v136, v129, v165
	v_fmac_f32_e32 v118, v3, v168
	v_add_f32_e32 v1, v4, v142
	v_fma_f32 v3, v129, v167, -v5
	v_add_f32_e32 v0, v0, v2
	v_fmac_f32_e32 v136, v130, v167
	v_add_f32_e32 v1, v1, v118
	v_add_f32_e32 v0, v0, v3
	;; [unrolled: 1-line block ×3, first 2 shown]
	s_waitcnt vmcnt(0)
	v_sub_f32_e32 v0, v169, v0
	v_sub_f32_e32 v1, v155, v1
	buffer_store_dword v0, off, s[0:3], 0
	buffer_store_dword v1, off, s[0:3], 0 offset:4
	s_cbranch_vccz .LBB53_444
; %bb.338:
	global_load_dword v0, v154, s[20:21] offset:208
	s_waitcnt vmcnt(0)
	v_add_nc_u32_e32 v0, -1, v0
	v_cmp_ne_u32_e32 vcc_lo, 52, v0
	s_cbranch_vccz .LBB53_340
; %bb.339:
	v_lshlrev_b32_e32 v0, 3, v0
	s_clause 0x3
	buffer_load_dword v1, v0, s[0:3], 0 offen
	buffer_load_dword v2, v0, s[0:3], 0 offen offset:4
	buffer_load_dword v3, off, s[0:3], 0 offset:420
	buffer_load_dword v4, off, s[0:3], 0 offset:416
	s_waitcnt vmcnt(3)
	buffer_store_dword v1, off, s[0:3], 0 offset:416
	s_waitcnt vmcnt(2)
	buffer_store_dword v2, off, s[0:3], 0 offset:420
	s_waitcnt vmcnt(1)
	buffer_store_dword v3, v0, s[0:3], 0 offen offset:4
	s_waitcnt vmcnt(0)
	buffer_store_dword v4, v0, s[0:3], 0 offen
.LBB53_340:
	v_mov_b32_e32 v0, 0
	global_load_dword v1, v0, s[20:21] offset:204
	s_waitcnt vmcnt(0)
	v_add_nc_u32_e32 v1, -1, v1
	v_cmp_eq_u32_e32 vcc_lo, 51, v1
	s_cbranch_vccnz .LBB53_342
; %bb.341:
	v_lshlrev_b32_e32 v1, 3, v1
	s_clause 0x3
	buffer_load_dword v2, v1, s[0:3], 0 offen
	buffer_load_dword v3, v1, s[0:3], 0 offen offset:4
	buffer_load_dword v4, off, s[0:3], 0 offset:408
	buffer_load_dword v5, off, s[0:3], 0 offset:412
	s_waitcnt vmcnt(3)
	buffer_store_dword v2, off, s[0:3], 0 offset:408
	s_waitcnt vmcnt(2)
	buffer_store_dword v3, off, s[0:3], 0 offset:412
	s_waitcnt vmcnt(1)
	buffer_store_dword v4, v1, s[0:3], 0 offen
	s_waitcnt vmcnt(0)
	buffer_store_dword v5, v1, s[0:3], 0 offen offset:4
.LBB53_342:
	global_load_dword v0, v0, s[20:21] offset:200
	s_waitcnt vmcnt(0)
	v_add_nc_u32_e32 v0, -1, v0
	v_cmp_eq_u32_e32 vcc_lo, 50, v0
	s_cbranch_vccnz .LBB53_344
; %bb.343:
	v_lshlrev_b32_e32 v0, 3, v0
	s_clause 0x3
	buffer_load_dword v1, v0, s[0:3], 0 offen
	buffer_load_dword v2, v0, s[0:3], 0 offen offset:4
	buffer_load_dword v3, off, s[0:3], 0 offset:404
	buffer_load_dword v4, off, s[0:3], 0 offset:400
	s_waitcnt vmcnt(3)
	buffer_store_dword v1, off, s[0:3], 0 offset:400
	s_waitcnt vmcnt(2)
	buffer_store_dword v2, off, s[0:3], 0 offset:404
	s_waitcnt vmcnt(1)
	buffer_store_dword v3, v0, s[0:3], 0 offen offset:4
	s_waitcnt vmcnt(0)
	buffer_store_dword v4, v0, s[0:3], 0 offen
.LBB53_344:
	v_mov_b32_e32 v0, 0
	global_load_dword v1, v0, s[20:21] offset:196
	s_waitcnt vmcnt(0)
	v_add_nc_u32_e32 v1, -1, v1
	v_cmp_eq_u32_e32 vcc_lo, 49, v1
	s_cbranch_vccnz .LBB53_346
; %bb.345:
	v_lshlrev_b32_e32 v1, 3, v1
	s_clause 0x3
	buffer_load_dword v2, v1, s[0:3], 0 offen
	buffer_load_dword v3, v1, s[0:3], 0 offen offset:4
	buffer_load_dword v4, off, s[0:3], 0 offset:392
	buffer_load_dword v5, off, s[0:3], 0 offset:396
	s_waitcnt vmcnt(3)
	buffer_store_dword v2, off, s[0:3], 0 offset:392
	s_waitcnt vmcnt(2)
	buffer_store_dword v3, off, s[0:3], 0 offset:396
	s_waitcnt vmcnt(1)
	buffer_store_dword v4, v1, s[0:3], 0 offen
	s_waitcnt vmcnt(0)
	buffer_store_dword v5, v1, s[0:3], 0 offen offset:4
.LBB53_346:
	global_load_dword v0, v0, s[20:21] offset:192
	s_waitcnt vmcnt(0)
	v_add_nc_u32_e32 v0, -1, v0
	v_cmp_eq_u32_e32 vcc_lo, 48, v0
	s_cbranch_vccnz .LBB53_348
; %bb.347:
	v_lshlrev_b32_e32 v0, 3, v0
	s_clause 0x3
	buffer_load_dword v1, v0, s[0:3], 0 offen
	buffer_load_dword v2, v0, s[0:3], 0 offen offset:4
	buffer_load_dword v3, off, s[0:3], 0 offset:388
	buffer_load_dword v4, off, s[0:3], 0 offset:384
	s_waitcnt vmcnt(3)
	buffer_store_dword v1, off, s[0:3], 0 offset:384
	s_waitcnt vmcnt(2)
	buffer_store_dword v2, off, s[0:3], 0 offset:388
	s_waitcnt vmcnt(1)
	buffer_store_dword v3, v0, s[0:3], 0 offen offset:4
	s_waitcnt vmcnt(0)
	buffer_store_dword v4, v0, s[0:3], 0 offen
.LBB53_348:
	;; [unrolled: 43-line block ×25, first 2 shown]
	v_mov_b32_e32 v0, 0
	global_load_dword v1, v0, s[20:21] offset:4
	s_waitcnt vmcnt(0)
	v_add_nc_u32_e32 v1, -1, v1
	v_cmp_eq_u32_e32 vcc_lo, 1, v1
	s_cbranch_vccnz .LBB53_442
; %bb.441:
	v_lshlrev_b32_e32 v1, 3, v1
	s_clause 0x3
	buffer_load_dword v2, v1, s[0:3], 0 offen
	buffer_load_dword v3, v1, s[0:3], 0 offen offset:4
	buffer_load_dword v4, off, s[0:3], 0 offset:8
	buffer_load_dword v5, off, s[0:3], 0 offset:12
	s_waitcnt vmcnt(3)
	buffer_store_dword v2, off, s[0:3], 0 offset:8
	s_waitcnt vmcnt(2)
	buffer_store_dword v3, off, s[0:3], 0 offset:12
	s_waitcnt vmcnt(1)
	buffer_store_dword v4, v1, s[0:3], 0 offen
	s_waitcnt vmcnt(0)
	buffer_store_dword v5, v1, s[0:3], 0 offen offset:4
.LBB53_442:
	global_load_dword v0, v0, s[20:21]
	s_waitcnt vmcnt(0)
	v_add_nc_u32_e32 v0, -1, v0
	v_cmp_eq_u32_e32 vcc_lo, 0, v0
	s_cbranch_vccnz .LBB53_444
; %bb.443:
	v_lshlrev_b32_e32 v0, 3, v0
	s_clause 0x3
	buffer_load_dword v1, v0, s[0:3], 0 offen
	buffer_load_dword v2, v0, s[0:3], 0 offen offset:4
	buffer_load_dword v3, off, s[0:3], 0 offset:4
	buffer_load_dword v4, off, s[0:3], 0
	s_waitcnt vmcnt(3)
	buffer_store_dword v1, off, s[0:3], 0
	s_waitcnt vmcnt(2)
	buffer_store_dword v2, off, s[0:3], 0 offset:4
	s_waitcnt vmcnt(1)
	buffer_store_dword v3, v0, s[0:3], 0 offen offset:4
	s_waitcnt vmcnt(0)
	buffer_store_dword v4, v0, s[0:3], 0 offen
.LBB53_444:
	s_clause 0x3e
	buffer_load_dword v0, off, s[0:3], 0
	buffer_load_dword v1, off, s[0:3], 0 offset:4
	buffer_load_dword v2, off, s[0:3], 0 offset:8
	;; [unrolled: 1-line block ×62, first 2 shown]
	s_clause 0x2c
	buffer_load_dword v172, off, s[0:3], 0 offset:252
	buffer_load_dword v173, off, s[0:3], 0 offset:256
	;; [unrolled: 1-line block ×45, first 2 shown]
	s_waitcnt vmcnt(62)
	global_store_dwordx2 v[99:100], v[0:1], off
	global_store_dwordx2 v[101:102], v[2:3], off
	;; [unrolled: 1-line block ×23, first 2 shown]
	s_waitcnt vmcnt(60)
	global_store_dwordx2 v[51:52], v[155:156], off
	s_waitcnt vmcnt(58)
	global_store_dwordx2 v[53:54], v[157:158], off
	;; [unrolled: 2-line block ×31, first 2 shown]
	s_endpgm
	.section	.rodata,"a",@progbits
	.p2align	6, 0x0
	.amdhsa_kernel _ZN9rocsolver6v33100L18getri_kernel_smallILi54E19rocblas_complex_numIfEPS3_EEvT1_iilPiilS6_bb
		.amdhsa_group_segment_fixed_size 868
		.amdhsa_private_segment_fixed_size 448
		.amdhsa_kernarg_size 60
		.amdhsa_user_sgpr_count 6
		.amdhsa_user_sgpr_private_segment_buffer 1
		.amdhsa_user_sgpr_dispatch_ptr 0
		.amdhsa_user_sgpr_queue_ptr 0
		.amdhsa_user_sgpr_kernarg_segment_ptr 1
		.amdhsa_user_sgpr_dispatch_id 0
		.amdhsa_user_sgpr_flat_scratch_init 0
		.amdhsa_user_sgpr_private_segment_size 0
		.amdhsa_wavefront_size32 1
		.amdhsa_uses_dynamic_stack 0
		.amdhsa_system_sgpr_private_segment_wavefront_offset 1
		.amdhsa_system_sgpr_workgroup_id_x 1
		.amdhsa_system_sgpr_workgroup_id_y 0
		.amdhsa_system_sgpr_workgroup_id_z 0
		.amdhsa_system_sgpr_workgroup_info 0
		.amdhsa_system_vgpr_workitem_id 0
		.amdhsa_next_free_vgpr 252
		.amdhsa_next_free_sgpr 23
		.amdhsa_reserve_vcc 1
		.amdhsa_reserve_flat_scratch 0
		.amdhsa_float_round_mode_32 0
		.amdhsa_float_round_mode_16_64 0
		.amdhsa_float_denorm_mode_32 3
		.amdhsa_float_denorm_mode_16_64 3
		.amdhsa_dx10_clamp 1
		.amdhsa_ieee_mode 1
		.amdhsa_fp16_overflow 0
		.amdhsa_workgroup_processor_mode 1
		.amdhsa_memory_ordered 1
		.amdhsa_forward_progress 1
		.amdhsa_shared_vgpr_count 0
		.amdhsa_exception_fp_ieee_invalid_op 0
		.amdhsa_exception_fp_denorm_src 0
		.amdhsa_exception_fp_ieee_div_zero 0
		.amdhsa_exception_fp_ieee_overflow 0
		.amdhsa_exception_fp_ieee_underflow 0
		.amdhsa_exception_fp_ieee_inexact 0
		.amdhsa_exception_int_div_zero 0
	.end_amdhsa_kernel
	.section	.text._ZN9rocsolver6v33100L18getri_kernel_smallILi54E19rocblas_complex_numIfEPS3_EEvT1_iilPiilS6_bb,"axG",@progbits,_ZN9rocsolver6v33100L18getri_kernel_smallILi54E19rocblas_complex_numIfEPS3_EEvT1_iilPiilS6_bb,comdat
.Lfunc_end53:
	.size	_ZN9rocsolver6v33100L18getri_kernel_smallILi54E19rocblas_complex_numIfEPS3_EEvT1_iilPiilS6_bb, .Lfunc_end53-_ZN9rocsolver6v33100L18getri_kernel_smallILi54E19rocblas_complex_numIfEPS3_EEvT1_iilPiilS6_bb
                                        ; -- End function
	.set _ZN9rocsolver6v33100L18getri_kernel_smallILi54E19rocblas_complex_numIfEPS3_EEvT1_iilPiilS6_bb.num_vgpr, 252
	.set _ZN9rocsolver6v33100L18getri_kernel_smallILi54E19rocblas_complex_numIfEPS3_EEvT1_iilPiilS6_bb.num_agpr, 0
	.set _ZN9rocsolver6v33100L18getri_kernel_smallILi54E19rocblas_complex_numIfEPS3_EEvT1_iilPiilS6_bb.numbered_sgpr, 23
	.set _ZN9rocsolver6v33100L18getri_kernel_smallILi54E19rocblas_complex_numIfEPS3_EEvT1_iilPiilS6_bb.num_named_barrier, 0
	.set _ZN9rocsolver6v33100L18getri_kernel_smallILi54E19rocblas_complex_numIfEPS3_EEvT1_iilPiilS6_bb.private_seg_size, 448
	.set _ZN9rocsolver6v33100L18getri_kernel_smallILi54E19rocblas_complex_numIfEPS3_EEvT1_iilPiilS6_bb.uses_vcc, 1
	.set _ZN9rocsolver6v33100L18getri_kernel_smallILi54E19rocblas_complex_numIfEPS3_EEvT1_iilPiilS6_bb.uses_flat_scratch, 0
	.set _ZN9rocsolver6v33100L18getri_kernel_smallILi54E19rocblas_complex_numIfEPS3_EEvT1_iilPiilS6_bb.has_dyn_sized_stack, 0
	.set _ZN9rocsolver6v33100L18getri_kernel_smallILi54E19rocblas_complex_numIfEPS3_EEvT1_iilPiilS6_bb.has_recursion, 0
	.set _ZN9rocsolver6v33100L18getri_kernel_smallILi54E19rocblas_complex_numIfEPS3_EEvT1_iilPiilS6_bb.has_indirect_call, 0
	.section	.AMDGPU.csdata,"",@progbits
; Kernel info:
; codeLenInByte = 110256
; TotalNumSgprs: 25
; NumVgprs: 252
; ScratchSize: 448
; MemoryBound: 0
; FloatMode: 240
; IeeeMode: 1
; LDSByteSize: 868 bytes/workgroup (compile time only)
; SGPRBlocks: 0
; VGPRBlocks: 31
; NumSGPRsForWavesPerEU: 25
; NumVGPRsForWavesPerEU: 252
; Occupancy: 4
; WaveLimiterHint : 1
; COMPUTE_PGM_RSRC2:SCRATCH_EN: 1
; COMPUTE_PGM_RSRC2:USER_SGPR: 6
; COMPUTE_PGM_RSRC2:TRAP_HANDLER: 0
; COMPUTE_PGM_RSRC2:TGID_X_EN: 1
; COMPUTE_PGM_RSRC2:TGID_Y_EN: 0
; COMPUTE_PGM_RSRC2:TGID_Z_EN: 0
; COMPUTE_PGM_RSRC2:TIDIG_COMP_CNT: 0
	.section	.text._ZN9rocsolver6v33100L18getri_kernel_smallILi55E19rocblas_complex_numIfEPS3_EEvT1_iilPiilS6_bb,"axG",@progbits,_ZN9rocsolver6v33100L18getri_kernel_smallILi55E19rocblas_complex_numIfEPS3_EEvT1_iilPiilS6_bb,comdat
	.globl	_ZN9rocsolver6v33100L18getri_kernel_smallILi55E19rocblas_complex_numIfEPS3_EEvT1_iilPiilS6_bb ; -- Begin function _ZN9rocsolver6v33100L18getri_kernel_smallILi55E19rocblas_complex_numIfEPS3_EEvT1_iilPiilS6_bb
	.p2align	8
	.type	_ZN9rocsolver6v33100L18getri_kernel_smallILi55E19rocblas_complex_numIfEPS3_EEvT1_iilPiilS6_bb,@function
_ZN9rocsolver6v33100L18getri_kernel_smallILi55E19rocblas_complex_numIfEPS3_EEvT1_iilPiilS6_bb: ; @_ZN9rocsolver6v33100L18getri_kernel_smallILi55E19rocblas_complex_numIfEPS3_EEvT1_iilPiilS6_bb
; %bb.0:
	s_add_u32 s0, s0, s7
	s_addc_u32 s1, s1, 0
	s_mov_b32 s7, exec_lo
	v_cmpx_gt_u32_e32 55, v0
	s_cbranch_execz .LBB54_234
; %bb.1:
	s_clause 0x2
	s_load_dword s7, s[4:5], 0x38
	s_load_dwordx4 s[16:19], s[4:5], 0x10
	s_load_dwordx4 s[8:11], s[4:5], 0x28
                                        ; implicit-def: $sgpr20_sgpr21
	s_waitcnt lgkmcnt(0)
	s_bitcmp1_b32 s7, 8
	s_cselect_b32 s22, -1, 0
	s_bfe_u32 s12, s7, 0x10008
	s_ashr_i32 s7, s6, 31
	s_cmp_eq_u32 s12, 0
	s_cbranch_scc1 .LBB54_3
; %bb.2:
	s_load_dword s12, s[4:5], 0x20
	s_mul_i32 s13, s8, s7
	s_mul_hi_u32 s14, s8, s6
	s_mul_i32 s9, s9, s6
	s_add_i32 s13, s14, s13
	s_mul_i32 s8, s8, s6
	s_add_i32 s9, s13, s9
	s_lshl_b64 s[8:9], s[8:9], 2
	s_waitcnt lgkmcnt(0)
	s_ashr_i32 s13, s12, 31
	s_add_u32 s14, s18, s8
	s_addc_u32 s15, s19, s9
	s_lshl_b64 s[8:9], s[12:13], 2
	s_add_u32 s20, s14, s8
	s_addc_u32 s21, s15, s9
.LBB54_3:
	s_clause 0x1
	s_load_dwordx4 s[12:15], s[4:5], 0x0
	s_load_dword s8, s[4:5], 0x38
	s_mul_i32 s4, s16, s7
	s_mul_hi_u32 s5, s16, s6
	s_mul_i32 s9, s17, s6
	s_add_i32 s5, s5, s4
	s_mul_i32 s4, s16, s6
	s_add_i32 s5, s5, s9
	s_lshl_b64 s[4:5], s[4:5], 3
	s_waitcnt lgkmcnt(0)
	v_add3_u32 v1, s15, s15, v0
	s_ashr_i32 s17, s14, 31
	s_mov_b32 s16, s14
	s_add_u32 s9, s12, s4
	s_addc_u32 s12, s13, s5
	v_add_nc_u32_e32 v3, s15, v1
	v_ashrrev_i32_e32 v2, 31, v1
	s_lshl_b64 s[4:5], s[16:17], 3
	s_add_u32 s4, s9, s4
	v_add_nc_u32_e32 v5, s15, v3
	v_ashrrev_i32_e32 v4, 31, v3
	v_lshlrev_b64 v[1:2], 3, v[1:2]
	s_addc_u32 s5, s12, s5
	s_ashr_i32 s13, s15, 31
	v_ashrrev_i32_e32 v6, 31, v5
	v_add_nc_u32_e32 v7, s15, v5
	v_lshlrev_b64 v[3:4], 3, v[3:4]
	v_add_co_u32 v12, vcc_lo, s4, v1
	v_add_co_ci_u32_e64 v13, null, s5, v2, vcc_lo
	v_lshlrev_b64 v[1:2], 3, v[5:6]
	v_ashrrev_i32_e32 v8, 31, v7
	v_add_nc_u32_e32 v5, s15, v7
	v_add_co_u32 v14, vcc_lo, s4, v3
	v_add_co_ci_u32_e64 v15, null, s5, v4, vcc_lo
	v_lshlrev_b64 v[3:4], 3, v[7:8]
	v_ashrrev_i32_e32 v6, 31, v5
	v_add_nc_u32_e32 v7, s15, v5
	;; [unrolled: 5-line block ×39, first 2 shown]
	v_add_co_u32 v90, vcc_lo, s4, v3
	v_add_co_ci_u32_e64 v91, null, s5, v4, vcc_lo
	v_lshlrev_b64 v[3:4], 3, v[7:8]
	v_add_nc_u32_e32 v7, s15, v5
	v_ashrrev_i32_e32 v6, 31, v5
	v_add_co_u32 v92, vcc_lo, s4, v1
	v_add_co_ci_u32_e64 v93, null, s5, v2, vcc_lo
	v_ashrrev_i32_e32 v8, 31, v7
	v_lshlrev_b64 v[1:2], 3, v[5:6]
	v_add_co_u32 v94, vcc_lo, s4, v3
	v_add_nc_u32_e32 v5, s15, v7
	v_add_co_ci_u32_e64 v95, null, s5, v4, vcc_lo
	v_lshlrev_b64 v[3:4], 3, v[7:8]
	v_add_co_u32 v96, vcc_lo, s4, v1
	v_ashrrev_i32_e32 v6, 31, v5
	v_add_nc_u32_e32 v1, s15, v5
	v_add_co_ci_u32_e64 v97, null, s5, v2, vcc_lo
	v_add_co_u32 v98, vcc_lo, s4, v3
	v_add_co_ci_u32_e64 v99, null, s5, v4, vcc_lo
	v_lshlrev_b64 v[4:5], 3, v[5:6]
	v_add_nc_u32_e32 v6, s15, v1
	v_lshlrev_b32_e32 v3, 3, v0
	v_ashrrev_i32_e32 v2, 31, v1
	s_mov_b32 s12, s15
	v_add_nc_u32_e32 v110, s15, v6
	v_add_co_u32 v104, s9, s4, v3
	v_ashrrev_i32_e32 v7, 31, v6
	v_add_co_ci_u32_e64 v105, null, s5, 0, s9
	v_add_nc_u32_e32 v112, s15, v110
	v_ashrrev_i32_e32 v111, 31, v110
	s_lshl_b64 s[12:13], s[12:13], 3
	v_lshlrev_b64 v[1:2], 3, v[1:2]
	v_add_co_u32 v106, vcc_lo, v104, s12
	v_add_nc_u32_e32 v114, s15, v112
	v_ashrrev_i32_e32 v113, 31, v112
	v_lshlrev_b64 v[6:7], 3, v[6:7]
	v_add_co_ci_u32_e64 v107, null, s13, v105, vcc_lo
	v_add_nc_u32_e32 v116, s15, v114
	v_ashrrev_i32_e32 v115, 31, v114
	v_add_co_u32 v100, vcc_lo, s4, v4
	v_lshlrev_b64 v[110:111], 3, v[110:111]
	v_add_nc_u32_e32 v118, s15, v116
	v_ashrrev_i32_e32 v117, 31, v116
	v_add_co_ci_u32_e64 v101, null, s5, v5, vcc_lo
	v_add_co_u32 v102, vcc_lo, s4, v1
	v_add_nc_u32_e32 v120, s15, v118
	v_lshlrev_b64 v[112:113], 3, v[112:113]
	v_ashrrev_i32_e32 v119, 31, v118
	v_add_co_ci_u32_e64 v103, null, s5, v2, vcc_lo
	v_add_co_u32 v108, vcc_lo, s4, v6
	v_lshlrev_b64 v[114:115], 3, v[114:115]
	v_ashrrev_i32_e32 v121, 31, v120
	v_add_co_ci_u32_e64 v109, null, s5, v7, vcc_lo
	v_add_co_u32 v110, vcc_lo, s4, v110
	v_lshlrev_b64 v[116:117], 3, v[116:117]
	v_add_co_ci_u32_e64 v111, null, s5, v111, vcc_lo
	v_add_co_u32 v112, vcc_lo, s4, v112
	v_lshlrev_b64 v[118:119], 3, v[118:119]
	;; [unrolled: 3-line block ×3, first 2 shown]
	v_add_co_ci_u32_e64 v115, null, s5, v115, vcc_lo
	v_add_co_u32 v116, vcc_lo, s4, v116
	v_add_co_ci_u32_e64 v117, null, s5, v117, vcc_lo
	v_add_co_u32 v118, vcc_lo, s4, v118
	v_add_co_ci_u32_e64 v119, null, s5, v119, vcc_lo
	v_add_co_u32 v120, vcc_lo, s4, v120
	v_add_co_ci_u32_e64 v121, null, s5, v121, vcc_lo
	s_clause 0x36
	global_load_dwordx2 v[4:5], v3, s[4:5]
	global_load_dwordx2 v[8:9], v[106:107], off
	global_load_dwordx2 v[10:11], v[12:13], off
	;; [unrolled: 1-line block ×54, first 2 shown]
	s_mov_b32 s5, -1
	s_bitcmp0_b32 s8, 0
	s_waitcnt vmcnt(54)
	buffer_store_dword v5, off, s[0:3], 0 offset:4
	buffer_store_dword v4, off, s[0:3], 0
	s_waitcnt vmcnt(53)
	buffer_store_dword v9, off, s[0:3], 0 offset:12
	buffer_store_dword v8, off, s[0:3], 0 offset:8
	s_waitcnt vmcnt(52)
	buffer_store_dword v11, off, s[0:3], 0 offset:20
	buffer_store_dword v10, off, s[0:3], 0 offset:16
	;; [unrolled: 3-line block ×54, first 2 shown]
	s_cbranch_scc1 .LBB54_232
; %bb.4:
	v_cmp_eq_u32_e64 s4, 0, v0
	s_and_saveexec_b32 s5, s4
; %bb.5:
	v_mov_b32_e32 v1, 0
	ds_write_b32 v1, v1 offset:440
; %bb.6:
	s_or_b32 exec_lo, exec_lo, s5
	v_lshl_add_u32 v5, v0, 3, 0
	s_waitcnt lgkmcnt(0)
	s_waitcnt_vscnt null, 0x0
	s_barrier
	buffer_gl0_inv
	s_clause 0x1
	buffer_load_dword v1, v5, s[0:3], 0 offen
	buffer_load_dword v2, v5, s[0:3], 0 offen offset:4
	s_waitcnt vmcnt(1)
	v_cmp_eq_f32_e32 vcc_lo, 0, v1
	s_waitcnt vmcnt(0)
	v_cmp_eq_f32_e64 s5, 0, v2
	s_and_b32 s5, vcc_lo, s5
	s_and_saveexec_b32 s8, s5
	s_cbranch_execz .LBB54_10
; %bb.7:
	v_mov_b32_e32 v1, 0
	s_mov_b32 s9, 0
	ds_read_b32 v2, v1 offset:440
	s_waitcnt lgkmcnt(0)
	v_readfirstlane_b32 s5, v2
	v_add_nc_u32_e32 v2, 1, v0
	s_cmp_eq_u32 s5, 0
	v_cmp_gt_i32_e32 vcc_lo, s5, v2
	s_cselect_b32 s12, -1, 0
	s_or_b32 s12, s12, vcc_lo
	s_and_b32 exec_lo, exec_lo, s12
	s_cbranch_execz .LBB54_10
; %bb.8:
	v_mov_b32_e32 v4, s5
.LBB54_9:                               ; =>This Inner Loop Header: Depth=1
	ds_cmpst_rtn_b32 v4, v1, v4, v2 offset:440
	s_waitcnt lgkmcnt(0)
	v_cmp_ne_u32_e32 vcc_lo, 0, v4
	v_cmp_le_i32_e64 s5, v4, v2
	s_and_b32 s5, vcc_lo, s5
	s_and_b32 s5, exec_lo, s5
	s_or_b32 s9, s5, s9
	s_andn2_b32 exec_lo, exec_lo, s9
	s_cbranch_execnz .LBB54_9
.LBB54_10:
	s_or_b32 exec_lo, exec_lo, s8
	v_mov_b32_e32 v1, 0
	s_barrier
	buffer_gl0_inv
	ds_read_b32 v2, v1 offset:440
	s_and_saveexec_b32 s5, s4
	s_cbranch_execz .LBB54_12
; %bb.11:
	s_lshl_b64 s[8:9], s[6:7], 2
	s_add_u32 s8, s10, s8
	s_addc_u32 s9, s11, s9
	s_waitcnt lgkmcnt(0)
	global_store_dword v1, v2, s[8:9]
.LBB54_12:
	s_or_b32 exec_lo, exec_lo, s5
	s_waitcnt lgkmcnt(0)
	v_cmp_ne_u32_e32 vcc_lo, 0, v2
	s_mov_b32 s5, 0
	s_cbranch_vccnz .LBB54_232
; %bb.13:
	s_clause 0x1
	buffer_load_dword v2, v5, s[0:3], 0 offen
	buffer_load_dword v4, v5, s[0:3], 0 offen offset:4
                                        ; implicit-def: $vgpr7
                                        ; implicit-def: $vgpr6
                                        ; implicit-def: $vgpr1
	s_waitcnt vmcnt(0)
	v_cmp_ngt_f32_e64 s5, |v2|, |v4|
	s_and_saveexec_b32 s8, s5
	s_xor_b32 s5, exec_lo, s8
	s_cbranch_execz .LBB54_15
; %bb.14:
	v_div_scale_f32 v1, null, v4, v4, v2
	v_div_scale_f32 v8, vcc_lo, v2, v4, v2
	v_rcp_f32_e32 v6, v1
	v_fma_f32 v7, -v1, v6, 1.0
	v_fmac_f32_e32 v6, v7, v6
	v_mul_f32_e32 v7, v8, v6
	v_fma_f32 v9, -v1, v7, v8
	v_fmac_f32_e32 v7, v9, v6
	v_fma_f32 v1, -v1, v7, v8
	v_div_fmas_f32 v1, v1, v6, v7
	v_div_fixup_f32 v1, v1, v4, v2
	v_fmac_f32_e32 v4, v2, v1
	v_div_scale_f32 v2, null, v4, v4, 1.0
	v_rcp_f32_e32 v6, v2
	v_fma_f32 v7, -v2, v6, 1.0
	v_fmac_f32_e32 v6, v7, v6
	v_div_scale_f32 v7, vcc_lo, 1.0, v4, 1.0
	v_mul_f32_e32 v8, v7, v6
	v_fma_f32 v9, -v2, v8, v7
	v_fmac_f32_e32 v8, v9, v6
	v_fma_f32 v2, -v2, v8, v7
	v_div_fmas_f32 v2, v2, v6, v8
	v_div_fixup_f32 v2, v2, v4, 1.0
                                        ; implicit-def: $vgpr4
	v_mul_f32_e32 v7, v1, v2
	v_xor_b32_e32 v6, 0x80000000, v2
                                        ; implicit-def: $vgpr2
	v_xor_b32_e32 v1, 0x80000000, v7
.LBB54_15:
	s_andn2_saveexec_b32 s5, s5
	s_cbranch_execz .LBB54_17
; %bb.16:
	v_div_scale_f32 v1, null, v2, v2, v4
	v_div_scale_f32 v8, vcc_lo, v4, v2, v4
	v_rcp_f32_e32 v6, v1
	v_fma_f32 v7, -v1, v6, 1.0
	v_fmac_f32_e32 v6, v7, v6
	v_mul_f32_e32 v7, v8, v6
	v_fma_f32 v9, -v1, v7, v8
	v_fmac_f32_e32 v7, v9, v6
	v_fma_f32 v1, -v1, v7, v8
	v_div_fmas_f32 v1, v1, v6, v7
	v_div_fixup_f32 v6, v1, v2, v4
	v_fmac_f32_e32 v2, v4, v6
	v_div_scale_f32 v1, null, v2, v2, 1.0
	v_div_scale_f32 v8, vcc_lo, 1.0, v2, 1.0
	v_rcp_f32_e32 v4, v1
	v_fma_f32 v7, -v1, v4, 1.0
	v_fmac_f32_e32 v4, v7, v4
	v_mul_f32_e32 v7, v8, v4
	v_fma_f32 v9, -v1, v7, v8
	v_fmac_f32_e32 v7, v9, v4
	v_fma_f32 v1, -v1, v7, v8
	v_div_fmas_f32 v1, v1, v4, v7
	v_div_fixup_f32 v7, v1, v2, 1.0
	v_xor_b32_e32 v1, 0x80000000, v7
	v_mul_f32_e64 v6, v6, -v7
.LBB54_17:
	s_or_b32 exec_lo, exec_lo, s5
	buffer_store_dword v7, v5, s[0:3], 0 offen
	buffer_store_dword v6, v5, s[0:3], 0 offen offset:4
	s_clause 0x1
	buffer_load_dword v8, off, s[0:3], 0 offset:12
	buffer_load_dword v7, off, s[0:3], 0 offset:8
	v_xor_b32_e32 v2, 0x80000000, v6
	v_add_nc_u32_e32 v4, 0x1c0, v3
	s_waitcnt vmcnt(0)
	ds_write2_b64 v3, v[1:2], v[7:8] offset1:56
	s_waitcnt lgkmcnt(0)
	s_waitcnt_vscnt null, 0x0
	s_barrier
	buffer_gl0_inv
	s_and_saveexec_b32 s5, s4
	s_cbranch_execz .LBB54_19
; %bb.18:
	s_clause 0x1
	buffer_load_dword v8, v5, s[0:3], 0 offen offset:4
	buffer_load_dword v9, v5, s[0:3], 0 offen
	ds_read_b64 v[1:2], v4
	v_mov_b32_e32 v6, 0
	ds_read_b64 v[6:7], v6 offset:8
	s_waitcnt vmcnt(1) lgkmcnt(1)
	v_mul_f32_e32 v10, v1, v8
	v_mul_f32_e32 v8, v2, v8
	s_waitcnt vmcnt(0)
	v_fmac_f32_e32 v10, v2, v9
	v_fma_f32 v1, v1, v9, -v8
	v_add_f32_e32 v2, 0, v10
	v_add_f32_e32 v1, 0, v1
	s_waitcnt lgkmcnt(0)
	v_mul_f32_e32 v8, v2, v7
	v_mul_f32_e32 v7, v1, v7
	v_fma_f32 v1, v1, v6, -v8
	v_fmac_f32_e32 v7, v2, v6
	buffer_store_dword v1, off, s[0:3], 0 offset:8
	buffer_store_dword v7, off, s[0:3], 0 offset:12
.LBB54_19:
	s_or_b32 exec_lo, exec_lo, s5
	s_waitcnt_vscnt null, 0x0
	s_barrier
	buffer_gl0_inv
	s_clause 0x1
	buffer_load_dword v1, off, s[0:3], 0 offset:16
	buffer_load_dword v2, off, s[0:3], 0 offset:20
	s_mov_b32 s5, exec_lo
	s_waitcnt vmcnt(0)
	ds_write_b64 v4, v[1:2]
	s_waitcnt lgkmcnt(0)
	s_barrier
	buffer_gl0_inv
	v_cmpx_gt_u32_e32 2, v0
	s_cbranch_execz .LBB54_23
; %bb.20:
	s_clause 0x1
	buffer_load_dword v6, v5, s[0:3], 0 offen offset:4
	buffer_load_dword v5, v5, s[0:3], 0 offen
	ds_read_b64 v[1:2], v4
	s_waitcnt vmcnt(1) lgkmcnt(0)
	v_mul_f32_e32 v7, v2, v6
	v_mul_f32_e32 v6, v1, v6
	s_waitcnt vmcnt(0)
	v_fma_f32 v1, v1, v5, -v7
	v_fmac_f32_e32 v6, v2, v5
	v_add_f32_e32 v2, 0, v1
	v_add_f32_e32 v1, 0, v6
	s_and_saveexec_b32 s8, s4
	s_cbranch_execz .LBB54_22
; %bb.21:
	s_clause 0x1
	buffer_load_dword v7, off, s[0:3], 0 offset:12
	buffer_load_dword v8, off, s[0:3], 0 offset:8
	v_mov_b32_e32 v5, 0
	ds_read_b64 v[5:6], v5 offset:456
	s_waitcnt vmcnt(1) lgkmcnt(0)
	v_mul_f32_e32 v9, v5, v7
	v_mul_f32_e32 v7, v6, v7
	s_waitcnt vmcnt(0)
	v_fmac_f32_e32 v9, v6, v8
	v_fma_f32 v5, v5, v8, -v7
	v_add_f32_e32 v1, v1, v9
	v_add_f32_e32 v2, v2, v5
.LBB54_22:
	s_or_b32 exec_lo, exec_lo, s8
	v_mov_b32_e32 v5, 0
	ds_read_b64 v[5:6], v5 offset:16
	s_waitcnt lgkmcnt(0)
	v_mul_f32_e32 v7, v1, v6
	v_mul_f32_e32 v6, v2, v6
	v_fma_f32 v2, v2, v5, -v7
	v_fmac_f32_e32 v6, v1, v5
	buffer_store_dword v2, off, s[0:3], 0 offset:16
	buffer_store_dword v6, off, s[0:3], 0 offset:20
.LBB54_23:
	s_or_b32 exec_lo, exec_lo, s5
	s_waitcnt_vscnt null, 0x0
	s_barrier
	buffer_gl0_inv
	s_clause 0x1
	buffer_load_dword v5, off, s[0:3], 0 offset:24
	buffer_load_dword v6, off, s[0:3], 0 offset:28
	v_add_nc_u32_e32 v1, -1, v0
	s_mov_b32 s4, exec_lo
	s_waitcnt vmcnt(0)
	ds_write_b64 v4, v[5:6]
	s_waitcnt lgkmcnt(0)
	s_barrier
	buffer_gl0_inv
	v_cmpx_gt_u32_e32 3, v0
	s_cbranch_execz .LBB54_27
; %bb.24:
	v_add_nc_u32_e32 v5, -1, v0
	v_add_nc_u32_e32 v6, 0x1c0, v3
	v_mov_b32_e32 v7, v3
	v_mov_b32_e32 v2, 0
	;; [unrolled: 1-line block ×3, first 2 shown]
	s_mov_b32 s5, 0
	.p2align	6
.LBB54_25:                              ; =>This Inner Loop Header: Depth=1
	s_clause 0x1
	buffer_load_dword v11, v7, s[0:3], 0 offen offset:4
	buffer_load_dword v122, v7, s[0:3], 0 offen
	ds_read_b64 v[9:10], v6
	v_add_nc_u32_e32 v5, 1, v5
	v_add_nc_u32_e32 v6, 8, v6
	;; [unrolled: 1-line block ×3, first 2 shown]
	v_cmp_lt_u32_e32 vcc_lo, 1, v5
	s_or_b32 s5, vcc_lo, s5
	s_waitcnt vmcnt(1) lgkmcnt(0)
	v_mul_f32_e32 v123, v10, v11
	v_mul_f32_e32 v11, v9, v11
	s_waitcnt vmcnt(0)
	v_fma_f32 v9, v9, v122, -v123
	v_fmac_f32_e32 v11, v10, v122
	v_add_f32_e32 v8, v8, v9
	v_add_f32_e32 v2, v2, v11
	s_andn2_b32 exec_lo, exec_lo, s5
	s_cbranch_execnz .LBB54_25
; %bb.26:
	s_or_b32 exec_lo, exec_lo, s5
	v_mov_b32_e32 v5, 0
	ds_read_b64 v[5:6], v5 offset:24
	s_waitcnt lgkmcnt(0)
	v_mul_f32_e32 v7, v2, v6
	v_mul_f32_e32 v6, v8, v6
	v_fma_f32 v7, v8, v5, -v7
	v_fmac_f32_e32 v6, v2, v5
	buffer_store_dword v7, off, s[0:3], 0 offset:24
	buffer_store_dword v6, off, s[0:3], 0 offset:28
.LBB54_27:
	s_or_b32 exec_lo, exec_lo, s4
	s_waitcnt_vscnt null, 0x0
	s_barrier
	buffer_gl0_inv
	s_clause 0x1
	buffer_load_dword v5, off, s[0:3], 0 offset:32
	buffer_load_dword v6, off, s[0:3], 0 offset:36
	s_mov_b32 s4, exec_lo
	s_waitcnt vmcnt(0)
	ds_write_b64 v4, v[5:6]
	s_waitcnt lgkmcnt(0)
	s_barrier
	buffer_gl0_inv
	v_cmpx_gt_u32_e32 4, v0
	s_cbranch_execz .LBB54_31
; %bb.28:
	v_add_nc_u32_e32 v5, -1, v0
	v_add_nc_u32_e32 v6, 0x1c0, v3
	v_mov_b32_e32 v7, v3
	v_mov_b32_e32 v2, 0
	;; [unrolled: 1-line block ×3, first 2 shown]
	s_mov_b32 s5, 0
	.p2align	6
.LBB54_29:                              ; =>This Inner Loop Header: Depth=1
	s_clause 0x1
	buffer_load_dword v11, v7, s[0:3], 0 offen offset:4
	buffer_load_dword v122, v7, s[0:3], 0 offen
	ds_read_b64 v[9:10], v6
	v_add_nc_u32_e32 v5, 1, v5
	v_add_nc_u32_e32 v6, 8, v6
	;; [unrolled: 1-line block ×3, first 2 shown]
	v_cmp_lt_u32_e32 vcc_lo, 2, v5
	s_or_b32 s5, vcc_lo, s5
	s_waitcnt vmcnt(1) lgkmcnt(0)
	v_mul_f32_e32 v123, v10, v11
	v_mul_f32_e32 v11, v9, v11
	s_waitcnt vmcnt(0)
	v_fma_f32 v9, v9, v122, -v123
	v_fmac_f32_e32 v11, v10, v122
	v_add_f32_e32 v8, v8, v9
	v_add_f32_e32 v2, v2, v11
	s_andn2_b32 exec_lo, exec_lo, s5
	s_cbranch_execnz .LBB54_29
; %bb.30:
	s_or_b32 exec_lo, exec_lo, s5
	v_mov_b32_e32 v5, 0
	ds_read_b64 v[5:6], v5 offset:32
	s_waitcnt lgkmcnt(0)
	v_mul_f32_e32 v7, v2, v6
	v_mul_f32_e32 v6, v8, v6
	v_fma_f32 v7, v8, v5, -v7
	v_fmac_f32_e32 v6, v2, v5
	buffer_store_dword v7, off, s[0:3], 0 offset:32
	buffer_store_dword v6, off, s[0:3], 0 offset:36
.LBB54_31:
	s_or_b32 exec_lo, exec_lo, s4
	s_waitcnt_vscnt null, 0x0
	s_barrier
	buffer_gl0_inv
	s_clause 0x1
	buffer_load_dword v5, off, s[0:3], 0 offset:40
	buffer_load_dword v6, off, s[0:3], 0 offset:44
	s_mov_b32 s4, exec_lo
	s_waitcnt vmcnt(0)
	ds_write_b64 v4, v[5:6]
	s_waitcnt lgkmcnt(0)
	s_barrier
	buffer_gl0_inv
	v_cmpx_gt_u32_e32 5, v0
	s_cbranch_execz .LBB54_35
; %bb.32:
	v_add_nc_u32_e32 v5, -1, v0
	v_add_nc_u32_e32 v6, 0x1c0, v3
	v_mov_b32_e32 v7, v3
	v_mov_b32_e32 v2, 0
	;; [unrolled: 1-line block ×3, first 2 shown]
	s_mov_b32 s5, 0
	.p2align	6
.LBB54_33:                              ; =>This Inner Loop Header: Depth=1
	s_clause 0x1
	buffer_load_dword v11, v7, s[0:3], 0 offen offset:4
	buffer_load_dword v122, v7, s[0:3], 0 offen
	ds_read_b64 v[9:10], v6
	v_add_nc_u32_e32 v5, 1, v5
	v_add_nc_u32_e32 v6, 8, v6
	;; [unrolled: 1-line block ×3, first 2 shown]
	v_cmp_lt_u32_e32 vcc_lo, 3, v5
	s_or_b32 s5, vcc_lo, s5
	s_waitcnt vmcnt(1) lgkmcnt(0)
	v_mul_f32_e32 v123, v10, v11
	v_mul_f32_e32 v11, v9, v11
	s_waitcnt vmcnt(0)
	v_fma_f32 v9, v9, v122, -v123
	v_fmac_f32_e32 v11, v10, v122
	v_add_f32_e32 v8, v8, v9
	v_add_f32_e32 v2, v2, v11
	s_andn2_b32 exec_lo, exec_lo, s5
	s_cbranch_execnz .LBB54_33
; %bb.34:
	s_or_b32 exec_lo, exec_lo, s5
	v_mov_b32_e32 v5, 0
	ds_read_b64 v[5:6], v5 offset:40
	s_waitcnt lgkmcnt(0)
	v_mul_f32_e32 v7, v2, v6
	v_mul_f32_e32 v6, v8, v6
	v_fma_f32 v7, v8, v5, -v7
	v_fmac_f32_e32 v6, v2, v5
	buffer_store_dword v7, off, s[0:3], 0 offset:40
	buffer_store_dword v6, off, s[0:3], 0 offset:44
.LBB54_35:
	s_or_b32 exec_lo, exec_lo, s4
	s_waitcnt_vscnt null, 0x0
	s_barrier
	buffer_gl0_inv
	s_clause 0x1
	buffer_load_dword v5, off, s[0:3], 0 offset:48
	buffer_load_dword v6, off, s[0:3], 0 offset:52
	s_mov_b32 s4, exec_lo
	s_waitcnt vmcnt(0)
	ds_write_b64 v4, v[5:6]
	s_waitcnt lgkmcnt(0)
	s_barrier
	buffer_gl0_inv
	v_cmpx_gt_u32_e32 6, v0
	s_cbranch_execz .LBB54_39
; %bb.36:
	v_add_nc_u32_e32 v5, -1, v0
	v_add_nc_u32_e32 v6, 0x1c0, v3
	v_mov_b32_e32 v7, v3
	v_mov_b32_e32 v2, 0
	;; [unrolled: 1-line block ×3, first 2 shown]
	s_mov_b32 s5, 0
	.p2align	6
.LBB54_37:                              ; =>This Inner Loop Header: Depth=1
	s_clause 0x1
	buffer_load_dword v11, v7, s[0:3], 0 offen offset:4
	buffer_load_dword v122, v7, s[0:3], 0 offen
	ds_read_b64 v[9:10], v6
	v_add_nc_u32_e32 v5, 1, v5
	v_add_nc_u32_e32 v6, 8, v6
	v_add_nc_u32_e32 v7, 8, v7
	v_cmp_lt_u32_e32 vcc_lo, 4, v5
	s_or_b32 s5, vcc_lo, s5
	s_waitcnt vmcnt(1) lgkmcnt(0)
	v_mul_f32_e32 v123, v10, v11
	v_mul_f32_e32 v11, v9, v11
	s_waitcnt vmcnt(0)
	v_fma_f32 v9, v9, v122, -v123
	v_fmac_f32_e32 v11, v10, v122
	v_add_f32_e32 v8, v8, v9
	v_add_f32_e32 v2, v2, v11
	s_andn2_b32 exec_lo, exec_lo, s5
	s_cbranch_execnz .LBB54_37
; %bb.38:
	s_or_b32 exec_lo, exec_lo, s5
	v_mov_b32_e32 v5, 0
	ds_read_b64 v[5:6], v5 offset:48
	s_waitcnt lgkmcnt(0)
	v_mul_f32_e32 v7, v2, v6
	v_mul_f32_e32 v6, v8, v6
	v_fma_f32 v7, v8, v5, -v7
	v_fmac_f32_e32 v6, v2, v5
	buffer_store_dword v7, off, s[0:3], 0 offset:48
	buffer_store_dword v6, off, s[0:3], 0 offset:52
.LBB54_39:
	s_or_b32 exec_lo, exec_lo, s4
	s_waitcnt_vscnt null, 0x0
	s_barrier
	buffer_gl0_inv
	s_clause 0x1
	buffer_load_dword v5, off, s[0:3], 0 offset:56
	buffer_load_dword v6, off, s[0:3], 0 offset:60
	s_mov_b32 s4, exec_lo
	s_waitcnt vmcnt(0)
	ds_write_b64 v4, v[5:6]
	s_waitcnt lgkmcnt(0)
	s_barrier
	buffer_gl0_inv
	v_cmpx_gt_u32_e32 7, v0
	s_cbranch_execz .LBB54_43
; %bb.40:
	v_add_nc_u32_e32 v5, -1, v0
	v_add_nc_u32_e32 v6, 0x1c0, v3
	v_mov_b32_e32 v7, v3
	v_mov_b32_e32 v2, 0
	;; [unrolled: 1-line block ×3, first 2 shown]
	s_mov_b32 s5, 0
	.p2align	6
.LBB54_41:                              ; =>This Inner Loop Header: Depth=1
	s_clause 0x1
	buffer_load_dword v11, v7, s[0:3], 0 offen offset:4
	buffer_load_dword v122, v7, s[0:3], 0 offen
	ds_read_b64 v[9:10], v6
	v_add_nc_u32_e32 v5, 1, v5
	v_add_nc_u32_e32 v6, 8, v6
	;; [unrolled: 1-line block ×3, first 2 shown]
	v_cmp_lt_u32_e32 vcc_lo, 5, v5
	s_or_b32 s5, vcc_lo, s5
	s_waitcnt vmcnt(1) lgkmcnt(0)
	v_mul_f32_e32 v123, v10, v11
	v_mul_f32_e32 v11, v9, v11
	s_waitcnt vmcnt(0)
	v_fma_f32 v9, v9, v122, -v123
	v_fmac_f32_e32 v11, v10, v122
	v_add_f32_e32 v8, v8, v9
	v_add_f32_e32 v2, v2, v11
	s_andn2_b32 exec_lo, exec_lo, s5
	s_cbranch_execnz .LBB54_41
; %bb.42:
	s_or_b32 exec_lo, exec_lo, s5
	v_mov_b32_e32 v5, 0
	ds_read_b64 v[5:6], v5 offset:56
	s_waitcnt lgkmcnt(0)
	v_mul_f32_e32 v7, v2, v6
	v_mul_f32_e32 v6, v8, v6
	v_fma_f32 v7, v8, v5, -v7
	v_fmac_f32_e32 v6, v2, v5
	buffer_store_dword v7, off, s[0:3], 0 offset:56
	buffer_store_dword v6, off, s[0:3], 0 offset:60
.LBB54_43:
	s_or_b32 exec_lo, exec_lo, s4
	s_waitcnt_vscnt null, 0x0
	s_barrier
	buffer_gl0_inv
	s_clause 0x1
	buffer_load_dword v5, off, s[0:3], 0 offset:64
	buffer_load_dword v6, off, s[0:3], 0 offset:68
	s_mov_b32 s4, exec_lo
	s_waitcnt vmcnt(0)
	ds_write_b64 v4, v[5:6]
	s_waitcnt lgkmcnt(0)
	s_barrier
	buffer_gl0_inv
	v_cmpx_gt_u32_e32 8, v0
	s_cbranch_execz .LBB54_47
; %bb.44:
	v_add_nc_u32_e32 v5, -1, v0
	v_add_nc_u32_e32 v6, 0x1c0, v3
	v_mov_b32_e32 v7, v3
	v_mov_b32_e32 v2, 0
	;; [unrolled: 1-line block ×3, first 2 shown]
	s_mov_b32 s5, 0
	.p2align	6
.LBB54_45:                              ; =>This Inner Loop Header: Depth=1
	s_clause 0x1
	buffer_load_dword v11, v7, s[0:3], 0 offen offset:4
	buffer_load_dword v122, v7, s[0:3], 0 offen
	ds_read_b64 v[9:10], v6
	v_add_nc_u32_e32 v5, 1, v5
	v_add_nc_u32_e32 v6, 8, v6
	;; [unrolled: 1-line block ×3, first 2 shown]
	v_cmp_lt_u32_e32 vcc_lo, 6, v5
	s_or_b32 s5, vcc_lo, s5
	s_waitcnt vmcnt(1) lgkmcnt(0)
	v_mul_f32_e32 v123, v10, v11
	v_mul_f32_e32 v11, v9, v11
	s_waitcnt vmcnt(0)
	v_fma_f32 v9, v9, v122, -v123
	v_fmac_f32_e32 v11, v10, v122
	v_add_f32_e32 v8, v8, v9
	v_add_f32_e32 v2, v2, v11
	s_andn2_b32 exec_lo, exec_lo, s5
	s_cbranch_execnz .LBB54_45
; %bb.46:
	s_or_b32 exec_lo, exec_lo, s5
	v_mov_b32_e32 v5, 0
	ds_read_b64 v[5:6], v5 offset:64
	s_waitcnt lgkmcnt(0)
	v_mul_f32_e32 v7, v2, v6
	v_mul_f32_e32 v6, v8, v6
	v_fma_f32 v7, v8, v5, -v7
	v_fmac_f32_e32 v6, v2, v5
	buffer_store_dword v7, off, s[0:3], 0 offset:64
	buffer_store_dword v6, off, s[0:3], 0 offset:68
.LBB54_47:
	s_or_b32 exec_lo, exec_lo, s4
	s_waitcnt_vscnt null, 0x0
	s_barrier
	buffer_gl0_inv
	s_clause 0x1
	buffer_load_dword v5, off, s[0:3], 0 offset:72
	buffer_load_dword v6, off, s[0:3], 0 offset:76
	s_mov_b32 s4, exec_lo
	s_waitcnt vmcnt(0)
	ds_write_b64 v4, v[5:6]
	s_waitcnt lgkmcnt(0)
	s_barrier
	buffer_gl0_inv
	v_cmpx_gt_u32_e32 9, v0
	s_cbranch_execz .LBB54_51
; %bb.48:
	v_add_nc_u32_e32 v5, -1, v0
	v_add_nc_u32_e32 v6, 0x1c0, v3
	v_mov_b32_e32 v7, v3
	v_mov_b32_e32 v2, 0
	;; [unrolled: 1-line block ×3, first 2 shown]
	s_mov_b32 s5, 0
	.p2align	6
.LBB54_49:                              ; =>This Inner Loop Header: Depth=1
	s_clause 0x1
	buffer_load_dword v11, v7, s[0:3], 0 offen offset:4
	buffer_load_dword v122, v7, s[0:3], 0 offen
	ds_read_b64 v[9:10], v6
	v_add_nc_u32_e32 v5, 1, v5
	v_add_nc_u32_e32 v6, 8, v6
	v_add_nc_u32_e32 v7, 8, v7
	v_cmp_lt_u32_e32 vcc_lo, 7, v5
	s_or_b32 s5, vcc_lo, s5
	s_waitcnt vmcnt(1) lgkmcnt(0)
	v_mul_f32_e32 v123, v10, v11
	v_mul_f32_e32 v11, v9, v11
	s_waitcnt vmcnt(0)
	v_fma_f32 v9, v9, v122, -v123
	v_fmac_f32_e32 v11, v10, v122
	v_add_f32_e32 v8, v8, v9
	v_add_f32_e32 v2, v2, v11
	s_andn2_b32 exec_lo, exec_lo, s5
	s_cbranch_execnz .LBB54_49
; %bb.50:
	s_or_b32 exec_lo, exec_lo, s5
	v_mov_b32_e32 v5, 0
	ds_read_b64 v[5:6], v5 offset:72
	s_waitcnt lgkmcnt(0)
	v_mul_f32_e32 v7, v2, v6
	v_mul_f32_e32 v6, v8, v6
	v_fma_f32 v7, v8, v5, -v7
	v_fmac_f32_e32 v6, v2, v5
	buffer_store_dword v7, off, s[0:3], 0 offset:72
	buffer_store_dword v6, off, s[0:3], 0 offset:76
.LBB54_51:
	s_or_b32 exec_lo, exec_lo, s4
	s_waitcnt_vscnt null, 0x0
	s_barrier
	buffer_gl0_inv
	s_clause 0x1
	buffer_load_dword v5, off, s[0:3], 0 offset:80
	buffer_load_dword v6, off, s[0:3], 0 offset:84
	s_mov_b32 s4, exec_lo
	s_waitcnt vmcnt(0)
	ds_write_b64 v4, v[5:6]
	s_waitcnt lgkmcnt(0)
	s_barrier
	buffer_gl0_inv
	v_cmpx_gt_u32_e32 10, v0
	s_cbranch_execz .LBB54_55
; %bb.52:
	v_add_nc_u32_e32 v5, -1, v0
	v_add_nc_u32_e32 v6, 0x1c0, v3
	v_mov_b32_e32 v7, v3
	v_mov_b32_e32 v2, 0
	;; [unrolled: 1-line block ×3, first 2 shown]
	s_mov_b32 s5, 0
	.p2align	6
.LBB54_53:                              ; =>This Inner Loop Header: Depth=1
	s_clause 0x1
	buffer_load_dword v11, v7, s[0:3], 0 offen offset:4
	buffer_load_dword v122, v7, s[0:3], 0 offen
	ds_read_b64 v[9:10], v6
	v_add_nc_u32_e32 v5, 1, v5
	v_add_nc_u32_e32 v6, 8, v6
	;; [unrolled: 1-line block ×3, first 2 shown]
	v_cmp_lt_u32_e32 vcc_lo, 8, v5
	s_or_b32 s5, vcc_lo, s5
	s_waitcnt vmcnt(1) lgkmcnt(0)
	v_mul_f32_e32 v123, v10, v11
	v_mul_f32_e32 v11, v9, v11
	s_waitcnt vmcnt(0)
	v_fma_f32 v9, v9, v122, -v123
	v_fmac_f32_e32 v11, v10, v122
	v_add_f32_e32 v8, v8, v9
	v_add_f32_e32 v2, v2, v11
	s_andn2_b32 exec_lo, exec_lo, s5
	s_cbranch_execnz .LBB54_53
; %bb.54:
	s_or_b32 exec_lo, exec_lo, s5
	v_mov_b32_e32 v5, 0
	ds_read_b64 v[5:6], v5 offset:80
	s_waitcnt lgkmcnt(0)
	v_mul_f32_e32 v7, v2, v6
	v_mul_f32_e32 v6, v8, v6
	v_fma_f32 v7, v8, v5, -v7
	v_fmac_f32_e32 v6, v2, v5
	buffer_store_dword v7, off, s[0:3], 0 offset:80
	buffer_store_dword v6, off, s[0:3], 0 offset:84
.LBB54_55:
	s_or_b32 exec_lo, exec_lo, s4
	s_waitcnt_vscnt null, 0x0
	s_barrier
	buffer_gl0_inv
	s_clause 0x1
	buffer_load_dword v5, off, s[0:3], 0 offset:88
	buffer_load_dword v6, off, s[0:3], 0 offset:92
	s_mov_b32 s4, exec_lo
	s_waitcnt vmcnt(0)
	ds_write_b64 v4, v[5:6]
	s_waitcnt lgkmcnt(0)
	s_barrier
	buffer_gl0_inv
	v_cmpx_gt_u32_e32 11, v0
	s_cbranch_execz .LBB54_59
; %bb.56:
	v_add_nc_u32_e32 v5, -1, v0
	v_add_nc_u32_e32 v6, 0x1c0, v3
	v_mov_b32_e32 v7, v3
	v_mov_b32_e32 v2, 0
	;; [unrolled: 1-line block ×3, first 2 shown]
	s_mov_b32 s5, 0
	.p2align	6
.LBB54_57:                              ; =>This Inner Loop Header: Depth=1
	s_clause 0x1
	buffer_load_dword v11, v7, s[0:3], 0 offen offset:4
	buffer_load_dword v122, v7, s[0:3], 0 offen
	ds_read_b64 v[9:10], v6
	v_add_nc_u32_e32 v5, 1, v5
	v_add_nc_u32_e32 v6, 8, v6
	;; [unrolled: 1-line block ×3, first 2 shown]
	v_cmp_lt_u32_e32 vcc_lo, 9, v5
	s_or_b32 s5, vcc_lo, s5
	s_waitcnt vmcnt(1) lgkmcnt(0)
	v_mul_f32_e32 v123, v10, v11
	v_mul_f32_e32 v11, v9, v11
	s_waitcnt vmcnt(0)
	v_fma_f32 v9, v9, v122, -v123
	v_fmac_f32_e32 v11, v10, v122
	v_add_f32_e32 v8, v8, v9
	v_add_f32_e32 v2, v2, v11
	s_andn2_b32 exec_lo, exec_lo, s5
	s_cbranch_execnz .LBB54_57
; %bb.58:
	s_or_b32 exec_lo, exec_lo, s5
	v_mov_b32_e32 v5, 0
	ds_read_b64 v[5:6], v5 offset:88
	s_waitcnt lgkmcnt(0)
	v_mul_f32_e32 v7, v2, v6
	v_mul_f32_e32 v6, v8, v6
	v_fma_f32 v7, v8, v5, -v7
	v_fmac_f32_e32 v6, v2, v5
	buffer_store_dword v7, off, s[0:3], 0 offset:88
	buffer_store_dword v6, off, s[0:3], 0 offset:92
.LBB54_59:
	s_or_b32 exec_lo, exec_lo, s4
	s_waitcnt_vscnt null, 0x0
	s_barrier
	buffer_gl0_inv
	s_clause 0x1
	buffer_load_dword v5, off, s[0:3], 0 offset:96
	buffer_load_dword v6, off, s[0:3], 0 offset:100
	s_mov_b32 s4, exec_lo
	s_waitcnt vmcnt(0)
	ds_write_b64 v4, v[5:6]
	s_waitcnt lgkmcnt(0)
	s_barrier
	buffer_gl0_inv
	v_cmpx_gt_u32_e32 12, v0
	s_cbranch_execz .LBB54_63
; %bb.60:
	v_add_nc_u32_e32 v5, -1, v0
	v_add_nc_u32_e32 v6, 0x1c0, v3
	v_mov_b32_e32 v7, v3
	v_mov_b32_e32 v2, 0
	;; [unrolled: 1-line block ×3, first 2 shown]
	s_mov_b32 s5, 0
	.p2align	6
.LBB54_61:                              ; =>This Inner Loop Header: Depth=1
	s_clause 0x1
	buffer_load_dword v11, v7, s[0:3], 0 offen offset:4
	buffer_load_dword v122, v7, s[0:3], 0 offen
	ds_read_b64 v[9:10], v6
	v_add_nc_u32_e32 v5, 1, v5
	v_add_nc_u32_e32 v6, 8, v6
	;; [unrolled: 1-line block ×3, first 2 shown]
	v_cmp_lt_u32_e32 vcc_lo, 10, v5
	s_or_b32 s5, vcc_lo, s5
	s_waitcnt vmcnt(1) lgkmcnt(0)
	v_mul_f32_e32 v123, v10, v11
	v_mul_f32_e32 v11, v9, v11
	s_waitcnt vmcnt(0)
	v_fma_f32 v9, v9, v122, -v123
	v_fmac_f32_e32 v11, v10, v122
	v_add_f32_e32 v8, v8, v9
	v_add_f32_e32 v2, v2, v11
	s_andn2_b32 exec_lo, exec_lo, s5
	s_cbranch_execnz .LBB54_61
; %bb.62:
	s_or_b32 exec_lo, exec_lo, s5
	v_mov_b32_e32 v5, 0
	ds_read_b64 v[5:6], v5 offset:96
	s_waitcnt lgkmcnt(0)
	v_mul_f32_e32 v7, v2, v6
	v_mul_f32_e32 v6, v8, v6
	v_fma_f32 v7, v8, v5, -v7
	v_fmac_f32_e32 v6, v2, v5
	buffer_store_dword v7, off, s[0:3], 0 offset:96
	buffer_store_dword v6, off, s[0:3], 0 offset:100
.LBB54_63:
	s_or_b32 exec_lo, exec_lo, s4
	s_waitcnt_vscnt null, 0x0
	s_barrier
	buffer_gl0_inv
	s_clause 0x1
	buffer_load_dword v5, off, s[0:3], 0 offset:104
	buffer_load_dword v6, off, s[0:3], 0 offset:108
	s_mov_b32 s4, exec_lo
	s_waitcnt vmcnt(0)
	ds_write_b64 v4, v[5:6]
	s_waitcnt lgkmcnt(0)
	s_barrier
	buffer_gl0_inv
	v_cmpx_gt_u32_e32 13, v0
	s_cbranch_execz .LBB54_67
; %bb.64:
	v_add_nc_u32_e32 v5, -1, v0
	v_add_nc_u32_e32 v6, 0x1c0, v3
	v_mov_b32_e32 v7, v3
	v_mov_b32_e32 v2, 0
	;; [unrolled: 1-line block ×3, first 2 shown]
	s_mov_b32 s5, 0
	.p2align	6
.LBB54_65:                              ; =>This Inner Loop Header: Depth=1
	s_clause 0x1
	buffer_load_dword v11, v7, s[0:3], 0 offen offset:4
	buffer_load_dword v122, v7, s[0:3], 0 offen
	ds_read_b64 v[9:10], v6
	v_add_nc_u32_e32 v5, 1, v5
	v_add_nc_u32_e32 v6, 8, v6
	;; [unrolled: 1-line block ×3, first 2 shown]
	v_cmp_lt_u32_e32 vcc_lo, 11, v5
	s_or_b32 s5, vcc_lo, s5
	s_waitcnt vmcnt(1) lgkmcnt(0)
	v_mul_f32_e32 v123, v10, v11
	v_mul_f32_e32 v11, v9, v11
	s_waitcnt vmcnt(0)
	v_fma_f32 v9, v9, v122, -v123
	v_fmac_f32_e32 v11, v10, v122
	v_add_f32_e32 v8, v8, v9
	v_add_f32_e32 v2, v2, v11
	s_andn2_b32 exec_lo, exec_lo, s5
	s_cbranch_execnz .LBB54_65
; %bb.66:
	s_or_b32 exec_lo, exec_lo, s5
	v_mov_b32_e32 v5, 0
	ds_read_b64 v[5:6], v5 offset:104
	s_waitcnt lgkmcnt(0)
	v_mul_f32_e32 v7, v2, v6
	v_mul_f32_e32 v6, v8, v6
	v_fma_f32 v7, v8, v5, -v7
	v_fmac_f32_e32 v6, v2, v5
	buffer_store_dword v7, off, s[0:3], 0 offset:104
	buffer_store_dword v6, off, s[0:3], 0 offset:108
.LBB54_67:
	s_or_b32 exec_lo, exec_lo, s4
	s_waitcnt_vscnt null, 0x0
	s_barrier
	buffer_gl0_inv
	s_clause 0x1
	buffer_load_dword v5, off, s[0:3], 0 offset:112
	buffer_load_dword v6, off, s[0:3], 0 offset:116
	s_mov_b32 s4, exec_lo
	s_waitcnt vmcnt(0)
	ds_write_b64 v4, v[5:6]
	s_waitcnt lgkmcnt(0)
	s_barrier
	buffer_gl0_inv
	v_cmpx_gt_u32_e32 14, v0
	s_cbranch_execz .LBB54_71
; %bb.68:
	v_add_nc_u32_e32 v5, -1, v0
	v_add_nc_u32_e32 v6, 0x1c0, v3
	v_mov_b32_e32 v7, v3
	v_mov_b32_e32 v2, 0
	;; [unrolled: 1-line block ×3, first 2 shown]
	s_mov_b32 s5, 0
	.p2align	6
.LBB54_69:                              ; =>This Inner Loop Header: Depth=1
	s_clause 0x1
	buffer_load_dword v11, v7, s[0:3], 0 offen offset:4
	buffer_load_dword v122, v7, s[0:3], 0 offen
	ds_read_b64 v[9:10], v6
	v_add_nc_u32_e32 v5, 1, v5
	v_add_nc_u32_e32 v6, 8, v6
	;; [unrolled: 1-line block ×3, first 2 shown]
	v_cmp_lt_u32_e32 vcc_lo, 12, v5
	s_or_b32 s5, vcc_lo, s5
	s_waitcnt vmcnt(1) lgkmcnt(0)
	v_mul_f32_e32 v123, v10, v11
	v_mul_f32_e32 v11, v9, v11
	s_waitcnt vmcnt(0)
	v_fma_f32 v9, v9, v122, -v123
	v_fmac_f32_e32 v11, v10, v122
	v_add_f32_e32 v8, v8, v9
	v_add_f32_e32 v2, v2, v11
	s_andn2_b32 exec_lo, exec_lo, s5
	s_cbranch_execnz .LBB54_69
; %bb.70:
	s_or_b32 exec_lo, exec_lo, s5
	v_mov_b32_e32 v5, 0
	ds_read_b64 v[5:6], v5 offset:112
	s_waitcnt lgkmcnt(0)
	v_mul_f32_e32 v7, v2, v6
	v_mul_f32_e32 v6, v8, v6
	v_fma_f32 v7, v8, v5, -v7
	v_fmac_f32_e32 v6, v2, v5
	buffer_store_dword v7, off, s[0:3], 0 offset:112
	buffer_store_dword v6, off, s[0:3], 0 offset:116
.LBB54_71:
	s_or_b32 exec_lo, exec_lo, s4
	s_waitcnt_vscnt null, 0x0
	s_barrier
	buffer_gl0_inv
	s_clause 0x1
	buffer_load_dword v5, off, s[0:3], 0 offset:120
	buffer_load_dword v6, off, s[0:3], 0 offset:124
	s_mov_b32 s4, exec_lo
	s_waitcnt vmcnt(0)
	ds_write_b64 v4, v[5:6]
	s_waitcnt lgkmcnt(0)
	s_barrier
	buffer_gl0_inv
	v_cmpx_gt_u32_e32 15, v0
	s_cbranch_execz .LBB54_75
; %bb.72:
	v_add_nc_u32_e32 v5, -1, v0
	v_add_nc_u32_e32 v6, 0x1c0, v3
	v_mov_b32_e32 v7, v3
	v_mov_b32_e32 v2, 0
	;; [unrolled: 1-line block ×3, first 2 shown]
	s_mov_b32 s5, 0
	.p2align	6
.LBB54_73:                              ; =>This Inner Loop Header: Depth=1
	s_clause 0x1
	buffer_load_dword v11, v7, s[0:3], 0 offen offset:4
	buffer_load_dword v122, v7, s[0:3], 0 offen
	ds_read_b64 v[9:10], v6
	v_add_nc_u32_e32 v5, 1, v5
	v_add_nc_u32_e32 v6, 8, v6
	;; [unrolled: 1-line block ×3, first 2 shown]
	v_cmp_lt_u32_e32 vcc_lo, 13, v5
	s_or_b32 s5, vcc_lo, s5
	s_waitcnt vmcnt(1) lgkmcnt(0)
	v_mul_f32_e32 v123, v10, v11
	v_mul_f32_e32 v11, v9, v11
	s_waitcnt vmcnt(0)
	v_fma_f32 v9, v9, v122, -v123
	v_fmac_f32_e32 v11, v10, v122
	v_add_f32_e32 v8, v8, v9
	v_add_f32_e32 v2, v2, v11
	s_andn2_b32 exec_lo, exec_lo, s5
	s_cbranch_execnz .LBB54_73
; %bb.74:
	s_or_b32 exec_lo, exec_lo, s5
	v_mov_b32_e32 v5, 0
	ds_read_b64 v[5:6], v5 offset:120
	s_waitcnt lgkmcnt(0)
	v_mul_f32_e32 v7, v2, v6
	v_mul_f32_e32 v6, v8, v6
	v_fma_f32 v7, v8, v5, -v7
	v_fmac_f32_e32 v6, v2, v5
	buffer_store_dword v7, off, s[0:3], 0 offset:120
	buffer_store_dword v6, off, s[0:3], 0 offset:124
.LBB54_75:
	s_or_b32 exec_lo, exec_lo, s4
	s_waitcnt_vscnt null, 0x0
	s_barrier
	buffer_gl0_inv
	s_clause 0x1
	buffer_load_dword v5, off, s[0:3], 0 offset:128
	buffer_load_dword v6, off, s[0:3], 0 offset:132
	s_mov_b32 s4, exec_lo
	s_waitcnt vmcnt(0)
	ds_write_b64 v4, v[5:6]
	s_waitcnt lgkmcnt(0)
	s_barrier
	buffer_gl0_inv
	v_cmpx_gt_u32_e32 16, v0
	s_cbranch_execz .LBB54_79
; %bb.76:
	v_add_nc_u32_e32 v5, -1, v0
	v_add_nc_u32_e32 v6, 0x1c0, v3
	v_mov_b32_e32 v7, v3
	v_mov_b32_e32 v2, 0
	;; [unrolled: 1-line block ×3, first 2 shown]
	s_mov_b32 s5, 0
	.p2align	6
.LBB54_77:                              ; =>This Inner Loop Header: Depth=1
	s_clause 0x1
	buffer_load_dword v11, v7, s[0:3], 0 offen offset:4
	buffer_load_dword v122, v7, s[0:3], 0 offen
	ds_read_b64 v[9:10], v6
	v_add_nc_u32_e32 v5, 1, v5
	v_add_nc_u32_e32 v6, 8, v6
	;; [unrolled: 1-line block ×3, first 2 shown]
	v_cmp_lt_u32_e32 vcc_lo, 14, v5
	s_or_b32 s5, vcc_lo, s5
	s_waitcnt vmcnt(1) lgkmcnt(0)
	v_mul_f32_e32 v123, v10, v11
	v_mul_f32_e32 v11, v9, v11
	s_waitcnt vmcnt(0)
	v_fma_f32 v9, v9, v122, -v123
	v_fmac_f32_e32 v11, v10, v122
	v_add_f32_e32 v8, v8, v9
	v_add_f32_e32 v2, v2, v11
	s_andn2_b32 exec_lo, exec_lo, s5
	s_cbranch_execnz .LBB54_77
; %bb.78:
	s_or_b32 exec_lo, exec_lo, s5
	v_mov_b32_e32 v5, 0
	ds_read_b64 v[5:6], v5 offset:128
	s_waitcnt lgkmcnt(0)
	v_mul_f32_e32 v7, v2, v6
	v_mul_f32_e32 v6, v8, v6
	v_fma_f32 v7, v8, v5, -v7
	v_fmac_f32_e32 v6, v2, v5
	buffer_store_dword v7, off, s[0:3], 0 offset:128
	buffer_store_dword v6, off, s[0:3], 0 offset:132
.LBB54_79:
	s_or_b32 exec_lo, exec_lo, s4
	s_waitcnt_vscnt null, 0x0
	s_barrier
	buffer_gl0_inv
	s_clause 0x1
	buffer_load_dword v5, off, s[0:3], 0 offset:136
	buffer_load_dword v6, off, s[0:3], 0 offset:140
	s_mov_b32 s4, exec_lo
	s_waitcnt vmcnt(0)
	ds_write_b64 v4, v[5:6]
	s_waitcnt lgkmcnt(0)
	s_barrier
	buffer_gl0_inv
	v_cmpx_gt_u32_e32 17, v0
	s_cbranch_execz .LBB54_83
; %bb.80:
	v_add_nc_u32_e32 v5, -1, v0
	v_add_nc_u32_e32 v6, 0x1c0, v3
	v_mov_b32_e32 v7, v3
	v_mov_b32_e32 v2, 0
	;; [unrolled: 1-line block ×3, first 2 shown]
	s_mov_b32 s5, 0
	.p2align	6
.LBB54_81:                              ; =>This Inner Loop Header: Depth=1
	s_clause 0x1
	buffer_load_dword v11, v7, s[0:3], 0 offen offset:4
	buffer_load_dword v122, v7, s[0:3], 0 offen
	ds_read_b64 v[9:10], v6
	v_add_nc_u32_e32 v5, 1, v5
	v_add_nc_u32_e32 v6, 8, v6
	;; [unrolled: 1-line block ×3, first 2 shown]
	v_cmp_lt_u32_e32 vcc_lo, 15, v5
	s_or_b32 s5, vcc_lo, s5
	s_waitcnt vmcnt(1) lgkmcnt(0)
	v_mul_f32_e32 v123, v10, v11
	v_mul_f32_e32 v11, v9, v11
	s_waitcnt vmcnt(0)
	v_fma_f32 v9, v9, v122, -v123
	v_fmac_f32_e32 v11, v10, v122
	v_add_f32_e32 v8, v8, v9
	v_add_f32_e32 v2, v2, v11
	s_andn2_b32 exec_lo, exec_lo, s5
	s_cbranch_execnz .LBB54_81
; %bb.82:
	s_or_b32 exec_lo, exec_lo, s5
	v_mov_b32_e32 v5, 0
	ds_read_b64 v[5:6], v5 offset:136
	s_waitcnt lgkmcnt(0)
	v_mul_f32_e32 v7, v2, v6
	v_mul_f32_e32 v6, v8, v6
	v_fma_f32 v7, v8, v5, -v7
	v_fmac_f32_e32 v6, v2, v5
	buffer_store_dword v7, off, s[0:3], 0 offset:136
	buffer_store_dword v6, off, s[0:3], 0 offset:140
.LBB54_83:
	s_or_b32 exec_lo, exec_lo, s4
	s_waitcnt_vscnt null, 0x0
	s_barrier
	buffer_gl0_inv
	s_clause 0x1
	buffer_load_dword v5, off, s[0:3], 0 offset:144
	buffer_load_dword v6, off, s[0:3], 0 offset:148
	s_mov_b32 s4, exec_lo
	s_waitcnt vmcnt(0)
	ds_write_b64 v4, v[5:6]
	s_waitcnt lgkmcnt(0)
	s_barrier
	buffer_gl0_inv
	v_cmpx_gt_u32_e32 18, v0
	s_cbranch_execz .LBB54_87
; %bb.84:
	v_add_nc_u32_e32 v5, -1, v0
	v_add_nc_u32_e32 v6, 0x1c0, v3
	v_mov_b32_e32 v7, v3
	v_mov_b32_e32 v2, 0
	v_mov_b32_e32 v8, 0
	s_mov_b32 s5, 0
	.p2align	6
.LBB54_85:                              ; =>This Inner Loop Header: Depth=1
	s_clause 0x1
	buffer_load_dword v11, v7, s[0:3], 0 offen offset:4
	buffer_load_dword v122, v7, s[0:3], 0 offen
	ds_read_b64 v[9:10], v6
	v_add_nc_u32_e32 v5, 1, v5
	v_add_nc_u32_e32 v6, 8, v6
	;; [unrolled: 1-line block ×3, first 2 shown]
	v_cmp_lt_u32_e32 vcc_lo, 16, v5
	s_or_b32 s5, vcc_lo, s5
	s_waitcnt vmcnt(1) lgkmcnt(0)
	v_mul_f32_e32 v123, v10, v11
	v_mul_f32_e32 v11, v9, v11
	s_waitcnt vmcnt(0)
	v_fma_f32 v9, v9, v122, -v123
	v_fmac_f32_e32 v11, v10, v122
	v_add_f32_e32 v8, v8, v9
	v_add_f32_e32 v2, v2, v11
	s_andn2_b32 exec_lo, exec_lo, s5
	s_cbranch_execnz .LBB54_85
; %bb.86:
	s_or_b32 exec_lo, exec_lo, s5
	v_mov_b32_e32 v5, 0
	ds_read_b64 v[5:6], v5 offset:144
	s_waitcnt lgkmcnt(0)
	v_mul_f32_e32 v7, v2, v6
	v_mul_f32_e32 v6, v8, v6
	v_fma_f32 v7, v8, v5, -v7
	v_fmac_f32_e32 v6, v2, v5
	buffer_store_dword v7, off, s[0:3], 0 offset:144
	buffer_store_dword v6, off, s[0:3], 0 offset:148
.LBB54_87:
	s_or_b32 exec_lo, exec_lo, s4
	s_waitcnt_vscnt null, 0x0
	s_barrier
	buffer_gl0_inv
	s_clause 0x1
	buffer_load_dword v5, off, s[0:3], 0 offset:152
	buffer_load_dword v6, off, s[0:3], 0 offset:156
	s_mov_b32 s4, exec_lo
	s_waitcnt vmcnt(0)
	ds_write_b64 v4, v[5:6]
	s_waitcnt lgkmcnt(0)
	s_barrier
	buffer_gl0_inv
	v_cmpx_gt_u32_e32 19, v0
	s_cbranch_execz .LBB54_91
; %bb.88:
	v_add_nc_u32_e32 v5, -1, v0
	v_add_nc_u32_e32 v6, 0x1c0, v3
	v_mov_b32_e32 v7, v3
	v_mov_b32_e32 v2, 0
	;; [unrolled: 1-line block ×3, first 2 shown]
	s_mov_b32 s5, 0
	.p2align	6
.LBB54_89:                              ; =>This Inner Loop Header: Depth=1
	s_clause 0x1
	buffer_load_dword v11, v7, s[0:3], 0 offen offset:4
	buffer_load_dword v122, v7, s[0:3], 0 offen
	ds_read_b64 v[9:10], v6
	v_add_nc_u32_e32 v5, 1, v5
	v_add_nc_u32_e32 v6, 8, v6
	;; [unrolled: 1-line block ×3, first 2 shown]
	v_cmp_lt_u32_e32 vcc_lo, 17, v5
	s_or_b32 s5, vcc_lo, s5
	s_waitcnt vmcnt(1) lgkmcnt(0)
	v_mul_f32_e32 v123, v10, v11
	v_mul_f32_e32 v11, v9, v11
	s_waitcnt vmcnt(0)
	v_fma_f32 v9, v9, v122, -v123
	v_fmac_f32_e32 v11, v10, v122
	v_add_f32_e32 v8, v8, v9
	v_add_f32_e32 v2, v2, v11
	s_andn2_b32 exec_lo, exec_lo, s5
	s_cbranch_execnz .LBB54_89
; %bb.90:
	s_or_b32 exec_lo, exec_lo, s5
	v_mov_b32_e32 v5, 0
	ds_read_b64 v[5:6], v5 offset:152
	s_waitcnt lgkmcnt(0)
	v_mul_f32_e32 v7, v2, v6
	v_mul_f32_e32 v6, v8, v6
	v_fma_f32 v7, v8, v5, -v7
	v_fmac_f32_e32 v6, v2, v5
	buffer_store_dword v7, off, s[0:3], 0 offset:152
	buffer_store_dword v6, off, s[0:3], 0 offset:156
.LBB54_91:
	s_or_b32 exec_lo, exec_lo, s4
	s_waitcnt_vscnt null, 0x0
	s_barrier
	buffer_gl0_inv
	s_clause 0x1
	buffer_load_dword v5, off, s[0:3], 0 offset:160
	buffer_load_dword v6, off, s[0:3], 0 offset:164
	s_mov_b32 s4, exec_lo
	s_waitcnt vmcnt(0)
	ds_write_b64 v4, v[5:6]
	s_waitcnt lgkmcnt(0)
	s_barrier
	buffer_gl0_inv
	v_cmpx_gt_u32_e32 20, v0
	s_cbranch_execz .LBB54_95
; %bb.92:
	v_add_nc_u32_e32 v5, -1, v0
	v_add_nc_u32_e32 v6, 0x1c0, v3
	v_mov_b32_e32 v7, v3
	v_mov_b32_e32 v2, 0
	;; [unrolled: 1-line block ×3, first 2 shown]
	s_mov_b32 s5, 0
	.p2align	6
.LBB54_93:                              ; =>This Inner Loop Header: Depth=1
	s_clause 0x1
	buffer_load_dword v11, v7, s[0:3], 0 offen offset:4
	buffer_load_dword v122, v7, s[0:3], 0 offen
	ds_read_b64 v[9:10], v6
	v_add_nc_u32_e32 v5, 1, v5
	v_add_nc_u32_e32 v6, 8, v6
	;; [unrolled: 1-line block ×3, first 2 shown]
	v_cmp_lt_u32_e32 vcc_lo, 18, v5
	s_or_b32 s5, vcc_lo, s5
	s_waitcnt vmcnt(1) lgkmcnt(0)
	v_mul_f32_e32 v123, v10, v11
	v_mul_f32_e32 v11, v9, v11
	s_waitcnt vmcnt(0)
	v_fma_f32 v9, v9, v122, -v123
	v_fmac_f32_e32 v11, v10, v122
	v_add_f32_e32 v8, v8, v9
	v_add_f32_e32 v2, v2, v11
	s_andn2_b32 exec_lo, exec_lo, s5
	s_cbranch_execnz .LBB54_93
; %bb.94:
	s_or_b32 exec_lo, exec_lo, s5
	v_mov_b32_e32 v5, 0
	ds_read_b64 v[5:6], v5 offset:160
	s_waitcnt lgkmcnt(0)
	v_mul_f32_e32 v7, v2, v6
	v_mul_f32_e32 v6, v8, v6
	v_fma_f32 v7, v8, v5, -v7
	v_fmac_f32_e32 v6, v2, v5
	buffer_store_dword v7, off, s[0:3], 0 offset:160
	buffer_store_dword v6, off, s[0:3], 0 offset:164
.LBB54_95:
	s_or_b32 exec_lo, exec_lo, s4
	s_waitcnt_vscnt null, 0x0
	s_barrier
	buffer_gl0_inv
	s_clause 0x1
	buffer_load_dword v5, off, s[0:3], 0 offset:168
	buffer_load_dword v6, off, s[0:3], 0 offset:172
	s_mov_b32 s4, exec_lo
	s_waitcnt vmcnt(0)
	ds_write_b64 v4, v[5:6]
	s_waitcnt lgkmcnt(0)
	s_barrier
	buffer_gl0_inv
	v_cmpx_gt_u32_e32 21, v0
	s_cbranch_execz .LBB54_99
; %bb.96:
	v_add_nc_u32_e32 v5, -1, v0
	v_add_nc_u32_e32 v6, 0x1c0, v3
	v_mov_b32_e32 v7, v3
	v_mov_b32_e32 v2, 0
	;; [unrolled: 1-line block ×3, first 2 shown]
	s_mov_b32 s5, 0
	.p2align	6
.LBB54_97:                              ; =>This Inner Loop Header: Depth=1
	s_clause 0x1
	buffer_load_dword v11, v7, s[0:3], 0 offen offset:4
	buffer_load_dword v122, v7, s[0:3], 0 offen
	ds_read_b64 v[9:10], v6
	v_add_nc_u32_e32 v5, 1, v5
	v_add_nc_u32_e32 v6, 8, v6
	;; [unrolled: 1-line block ×3, first 2 shown]
	v_cmp_lt_u32_e32 vcc_lo, 19, v5
	s_or_b32 s5, vcc_lo, s5
	s_waitcnt vmcnt(1) lgkmcnt(0)
	v_mul_f32_e32 v123, v10, v11
	v_mul_f32_e32 v11, v9, v11
	s_waitcnt vmcnt(0)
	v_fma_f32 v9, v9, v122, -v123
	v_fmac_f32_e32 v11, v10, v122
	v_add_f32_e32 v8, v8, v9
	v_add_f32_e32 v2, v2, v11
	s_andn2_b32 exec_lo, exec_lo, s5
	s_cbranch_execnz .LBB54_97
; %bb.98:
	s_or_b32 exec_lo, exec_lo, s5
	v_mov_b32_e32 v5, 0
	ds_read_b64 v[5:6], v5 offset:168
	s_waitcnt lgkmcnt(0)
	v_mul_f32_e32 v7, v2, v6
	v_mul_f32_e32 v6, v8, v6
	v_fma_f32 v7, v8, v5, -v7
	v_fmac_f32_e32 v6, v2, v5
	buffer_store_dword v7, off, s[0:3], 0 offset:168
	buffer_store_dword v6, off, s[0:3], 0 offset:172
.LBB54_99:
	s_or_b32 exec_lo, exec_lo, s4
	s_waitcnt_vscnt null, 0x0
	s_barrier
	buffer_gl0_inv
	s_clause 0x1
	buffer_load_dword v5, off, s[0:3], 0 offset:176
	buffer_load_dword v6, off, s[0:3], 0 offset:180
	s_mov_b32 s4, exec_lo
	s_waitcnt vmcnt(0)
	ds_write_b64 v4, v[5:6]
	s_waitcnt lgkmcnt(0)
	s_barrier
	buffer_gl0_inv
	v_cmpx_gt_u32_e32 22, v0
	s_cbranch_execz .LBB54_103
; %bb.100:
	v_add_nc_u32_e32 v5, -1, v0
	v_add_nc_u32_e32 v6, 0x1c0, v3
	v_mov_b32_e32 v7, v3
	v_mov_b32_e32 v2, 0
	;; [unrolled: 1-line block ×3, first 2 shown]
	s_mov_b32 s5, 0
	.p2align	6
.LBB54_101:                             ; =>This Inner Loop Header: Depth=1
	s_clause 0x1
	buffer_load_dword v11, v7, s[0:3], 0 offen offset:4
	buffer_load_dword v122, v7, s[0:3], 0 offen
	ds_read_b64 v[9:10], v6
	v_add_nc_u32_e32 v5, 1, v5
	v_add_nc_u32_e32 v6, 8, v6
	;; [unrolled: 1-line block ×3, first 2 shown]
	v_cmp_lt_u32_e32 vcc_lo, 20, v5
	s_or_b32 s5, vcc_lo, s5
	s_waitcnt vmcnt(1) lgkmcnt(0)
	v_mul_f32_e32 v123, v10, v11
	v_mul_f32_e32 v11, v9, v11
	s_waitcnt vmcnt(0)
	v_fma_f32 v9, v9, v122, -v123
	v_fmac_f32_e32 v11, v10, v122
	v_add_f32_e32 v8, v8, v9
	v_add_f32_e32 v2, v2, v11
	s_andn2_b32 exec_lo, exec_lo, s5
	s_cbranch_execnz .LBB54_101
; %bb.102:
	s_or_b32 exec_lo, exec_lo, s5
	v_mov_b32_e32 v5, 0
	ds_read_b64 v[5:6], v5 offset:176
	s_waitcnt lgkmcnt(0)
	v_mul_f32_e32 v7, v2, v6
	v_mul_f32_e32 v6, v8, v6
	v_fma_f32 v7, v8, v5, -v7
	v_fmac_f32_e32 v6, v2, v5
	buffer_store_dword v7, off, s[0:3], 0 offset:176
	buffer_store_dword v6, off, s[0:3], 0 offset:180
.LBB54_103:
	s_or_b32 exec_lo, exec_lo, s4
	s_waitcnt_vscnt null, 0x0
	s_barrier
	buffer_gl0_inv
	s_clause 0x1
	buffer_load_dword v5, off, s[0:3], 0 offset:184
	buffer_load_dword v6, off, s[0:3], 0 offset:188
	s_mov_b32 s4, exec_lo
	s_waitcnt vmcnt(0)
	ds_write_b64 v4, v[5:6]
	s_waitcnt lgkmcnt(0)
	s_barrier
	buffer_gl0_inv
	v_cmpx_gt_u32_e32 23, v0
	s_cbranch_execz .LBB54_107
; %bb.104:
	v_add_nc_u32_e32 v5, -1, v0
	v_add_nc_u32_e32 v6, 0x1c0, v3
	v_mov_b32_e32 v7, v3
	v_mov_b32_e32 v2, 0
	;; [unrolled: 1-line block ×3, first 2 shown]
	s_mov_b32 s5, 0
	.p2align	6
.LBB54_105:                             ; =>This Inner Loop Header: Depth=1
	s_clause 0x1
	buffer_load_dword v11, v7, s[0:3], 0 offen offset:4
	buffer_load_dword v122, v7, s[0:3], 0 offen
	ds_read_b64 v[9:10], v6
	v_add_nc_u32_e32 v5, 1, v5
	v_add_nc_u32_e32 v6, 8, v6
	;; [unrolled: 1-line block ×3, first 2 shown]
	v_cmp_lt_u32_e32 vcc_lo, 21, v5
	s_or_b32 s5, vcc_lo, s5
	s_waitcnt vmcnt(1) lgkmcnt(0)
	v_mul_f32_e32 v123, v10, v11
	v_mul_f32_e32 v11, v9, v11
	s_waitcnt vmcnt(0)
	v_fma_f32 v9, v9, v122, -v123
	v_fmac_f32_e32 v11, v10, v122
	v_add_f32_e32 v8, v8, v9
	v_add_f32_e32 v2, v2, v11
	s_andn2_b32 exec_lo, exec_lo, s5
	s_cbranch_execnz .LBB54_105
; %bb.106:
	s_or_b32 exec_lo, exec_lo, s5
	v_mov_b32_e32 v5, 0
	ds_read_b64 v[5:6], v5 offset:184
	s_waitcnt lgkmcnt(0)
	v_mul_f32_e32 v7, v2, v6
	v_mul_f32_e32 v6, v8, v6
	v_fma_f32 v7, v8, v5, -v7
	v_fmac_f32_e32 v6, v2, v5
	buffer_store_dword v7, off, s[0:3], 0 offset:184
	buffer_store_dword v6, off, s[0:3], 0 offset:188
.LBB54_107:
	s_or_b32 exec_lo, exec_lo, s4
	s_waitcnt_vscnt null, 0x0
	s_barrier
	buffer_gl0_inv
	s_clause 0x1
	buffer_load_dword v5, off, s[0:3], 0 offset:192
	buffer_load_dword v6, off, s[0:3], 0 offset:196
	s_mov_b32 s4, exec_lo
	s_waitcnt vmcnt(0)
	ds_write_b64 v4, v[5:6]
	s_waitcnt lgkmcnt(0)
	s_barrier
	buffer_gl0_inv
	v_cmpx_gt_u32_e32 24, v0
	s_cbranch_execz .LBB54_111
; %bb.108:
	v_add_nc_u32_e32 v5, -1, v0
	v_add_nc_u32_e32 v6, 0x1c0, v3
	v_mov_b32_e32 v7, v3
	v_mov_b32_e32 v2, 0
	;; [unrolled: 1-line block ×3, first 2 shown]
	s_mov_b32 s5, 0
	.p2align	6
.LBB54_109:                             ; =>This Inner Loop Header: Depth=1
	s_clause 0x1
	buffer_load_dword v11, v7, s[0:3], 0 offen offset:4
	buffer_load_dword v122, v7, s[0:3], 0 offen
	ds_read_b64 v[9:10], v6
	v_add_nc_u32_e32 v5, 1, v5
	v_add_nc_u32_e32 v6, 8, v6
	;; [unrolled: 1-line block ×3, first 2 shown]
	v_cmp_lt_u32_e32 vcc_lo, 22, v5
	s_or_b32 s5, vcc_lo, s5
	s_waitcnt vmcnt(1) lgkmcnt(0)
	v_mul_f32_e32 v123, v10, v11
	v_mul_f32_e32 v11, v9, v11
	s_waitcnt vmcnt(0)
	v_fma_f32 v9, v9, v122, -v123
	v_fmac_f32_e32 v11, v10, v122
	v_add_f32_e32 v8, v8, v9
	v_add_f32_e32 v2, v2, v11
	s_andn2_b32 exec_lo, exec_lo, s5
	s_cbranch_execnz .LBB54_109
; %bb.110:
	s_or_b32 exec_lo, exec_lo, s5
	v_mov_b32_e32 v5, 0
	ds_read_b64 v[5:6], v5 offset:192
	s_waitcnt lgkmcnt(0)
	v_mul_f32_e32 v7, v2, v6
	v_mul_f32_e32 v6, v8, v6
	v_fma_f32 v7, v8, v5, -v7
	v_fmac_f32_e32 v6, v2, v5
	buffer_store_dword v7, off, s[0:3], 0 offset:192
	buffer_store_dword v6, off, s[0:3], 0 offset:196
.LBB54_111:
	s_or_b32 exec_lo, exec_lo, s4
	s_waitcnt_vscnt null, 0x0
	s_barrier
	buffer_gl0_inv
	s_clause 0x1
	buffer_load_dword v5, off, s[0:3], 0 offset:200
	buffer_load_dword v6, off, s[0:3], 0 offset:204
	s_mov_b32 s4, exec_lo
	s_waitcnt vmcnt(0)
	ds_write_b64 v4, v[5:6]
	s_waitcnt lgkmcnt(0)
	s_barrier
	buffer_gl0_inv
	v_cmpx_gt_u32_e32 25, v0
	s_cbranch_execz .LBB54_115
; %bb.112:
	v_add_nc_u32_e32 v5, -1, v0
	v_add_nc_u32_e32 v6, 0x1c0, v3
	v_mov_b32_e32 v7, v3
	v_mov_b32_e32 v2, 0
	;; [unrolled: 1-line block ×3, first 2 shown]
	s_mov_b32 s5, 0
	.p2align	6
.LBB54_113:                             ; =>This Inner Loop Header: Depth=1
	s_clause 0x1
	buffer_load_dword v11, v7, s[0:3], 0 offen offset:4
	buffer_load_dword v122, v7, s[0:3], 0 offen
	ds_read_b64 v[9:10], v6
	v_add_nc_u32_e32 v5, 1, v5
	v_add_nc_u32_e32 v6, 8, v6
	;; [unrolled: 1-line block ×3, first 2 shown]
	v_cmp_lt_u32_e32 vcc_lo, 23, v5
	s_or_b32 s5, vcc_lo, s5
	s_waitcnt vmcnt(1) lgkmcnt(0)
	v_mul_f32_e32 v123, v10, v11
	v_mul_f32_e32 v11, v9, v11
	s_waitcnt vmcnt(0)
	v_fma_f32 v9, v9, v122, -v123
	v_fmac_f32_e32 v11, v10, v122
	v_add_f32_e32 v8, v8, v9
	v_add_f32_e32 v2, v2, v11
	s_andn2_b32 exec_lo, exec_lo, s5
	s_cbranch_execnz .LBB54_113
; %bb.114:
	s_or_b32 exec_lo, exec_lo, s5
	v_mov_b32_e32 v5, 0
	ds_read_b64 v[5:6], v5 offset:200
	s_waitcnt lgkmcnt(0)
	v_mul_f32_e32 v7, v2, v6
	v_mul_f32_e32 v6, v8, v6
	v_fma_f32 v7, v8, v5, -v7
	v_fmac_f32_e32 v6, v2, v5
	buffer_store_dword v7, off, s[0:3], 0 offset:200
	buffer_store_dword v6, off, s[0:3], 0 offset:204
.LBB54_115:
	s_or_b32 exec_lo, exec_lo, s4
	s_waitcnt_vscnt null, 0x0
	s_barrier
	buffer_gl0_inv
	s_clause 0x1
	buffer_load_dword v5, off, s[0:3], 0 offset:208
	buffer_load_dword v6, off, s[0:3], 0 offset:212
	s_mov_b32 s4, exec_lo
	s_waitcnt vmcnt(0)
	ds_write_b64 v4, v[5:6]
	s_waitcnt lgkmcnt(0)
	s_barrier
	buffer_gl0_inv
	v_cmpx_gt_u32_e32 26, v0
	s_cbranch_execz .LBB54_119
; %bb.116:
	v_add_nc_u32_e32 v5, -1, v0
	v_add_nc_u32_e32 v6, 0x1c0, v3
	v_mov_b32_e32 v7, v3
	v_mov_b32_e32 v2, 0
	;; [unrolled: 1-line block ×3, first 2 shown]
	s_mov_b32 s5, 0
	.p2align	6
.LBB54_117:                             ; =>This Inner Loop Header: Depth=1
	s_clause 0x1
	buffer_load_dword v11, v7, s[0:3], 0 offen offset:4
	buffer_load_dword v122, v7, s[0:3], 0 offen
	ds_read_b64 v[9:10], v6
	v_add_nc_u32_e32 v5, 1, v5
	v_add_nc_u32_e32 v6, 8, v6
	;; [unrolled: 1-line block ×3, first 2 shown]
	v_cmp_lt_u32_e32 vcc_lo, 24, v5
	s_or_b32 s5, vcc_lo, s5
	s_waitcnt vmcnt(1) lgkmcnt(0)
	v_mul_f32_e32 v123, v10, v11
	v_mul_f32_e32 v11, v9, v11
	s_waitcnt vmcnt(0)
	v_fma_f32 v9, v9, v122, -v123
	v_fmac_f32_e32 v11, v10, v122
	v_add_f32_e32 v8, v8, v9
	v_add_f32_e32 v2, v2, v11
	s_andn2_b32 exec_lo, exec_lo, s5
	s_cbranch_execnz .LBB54_117
; %bb.118:
	s_or_b32 exec_lo, exec_lo, s5
	v_mov_b32_e32 v5, 0
	ds_read_b64 v[5:6], v5 offset:208
	s_waitcnt lgkmcnt(0)
	v_mul_f32_e32 v7, v2, v6
	v_mul_f32_e32 v6, v8, v6
	v_fma_f32 v7, v8, v5, -v7
	v_fmac_f32_e32 v6, v2, v5
	buffer_store_dword v7, off, s[0:3], 0 offset:208
	buffer_store_dword v6, off, s[0:3], 0 offset:212
.LBB54_119:
	s_or_b32 exec_lo, exec_lo, s4
	s_waitcnt_vscnt null, 0x0
	s_barrier
	buffer_gl0_inv
	s_clause 0x1
	buffer_load_dword v5, off, s[0:3], 0 offset:216
	buffer_load_dword v6, off, s[0:3], 0 offset:220
	s_mov_b32 s4, exec_lo
	s_waitcnt vmcnt(0)
	ds_write_b64 v4, v[5:6]
	s_waitcnt lgkmcnt(0)
	s_barrier
	buffer_gl0_inv
	v_cmpx_gt_u32_e32 27, v0
	s_cbranch_execz .LBB54_123
; %bb.120:
	v_add_nc_u32_e32 v5, -1, v0
	v_add_nc_u32_e32 v6, 0x1c0, v3
	v_mov_b32_e32 v7, v3
	v_mov_b32_e32 v2, 0
	;; [unrolled: 1-line block ×3, first 2 shown]
	s_mov_b32 s5, 0
	.p2align	6
.LBB54_121:                             ; =>This Inner Loop Header: Depth=1
	s_clause 0x1
	buffer_load_dword v11, v7, s[0:3], 0 offen offset:4
	buffer_load_dword v122, v7, s[0:3], 0 offen
	ds_read_b64 v[9:10], v6
	v_add_nc_u32_e32 v5, 1, v5
	v_add_nc_u32_e32 v6, 8, v6
	;; [unrolled: 1-line block ×3, first 2 shown]
	v_cmp_lt_u32_e32 vcc_lo, 25, v5
	s_or_b32 s5, vcc_lo, s5
	s_waitcnt vmcnt(1) lgkmcnt(0)
	v_mul_f32_e32 v123, v10, v11
	v_mul_f32_e32 v11, v9, v11
	s_waitcnt vmcnt(0)
	v_fma_f32 v9, v9, v122, -v123
	v_fmac_f32_e32 v11, v10, v122
	v_add_f32_e32 v8, v8, v9
	v_add_f32_e32 v2, v2, v11
	s_andn2_b32 exec_lo, exec_lo, s5
	s_cbranch_execnz .LBB54_121
; %bb.122:
	s_or_b32 exec_lo, exec_lo, s5
	v_mov_b32_e32 v5, 0
	ds_read_b64 v[5:6], v5 offset:216
	s_waitcnt lgkmcnt(0)
	v_mul_f32_e32 v7, v2, v6
	v_mul_f32_e32 v6, v8, v6
	v_fma_f32 v7, v8, v5, -v7
	v_fmac_f32_e32 v6, v2, v5
	buffer_store_dword v7, off, s[0:3], 0 offset:216
	buffer_store_dword v6, off, s[0:3], 0 offset:220
.LBB54_123:
	s_or_b32 exec_lo, exec_lo, s4
	s_waitcnt_vscnt null, 0x0
	s_barrier
	buffer_gl0_inv
	s_clause 0x1
	buffer_load_dword v5, off, s[0:3], 0 offset:224
	buffer_load_dword v6, off, s[0:3], 0 offset:228
	s_mov_b32 s4, exec_lo
	s_waitcnt vmcnt(0)
	ds_write_b64 v4, v[5:6]
	s_waitcnt lgkmcnt(0)
	s_barrier
	buffer_gl0_inv
	v_cmpx_gt_u32_e32 28, v0
	s_cbranch_execz .LBB54_127
; %bb.124:
	v_add_nc_u32_e32 v5, -1, v0
	v_add_nc_u32_e32 v6, 0x1c0, v3
	v_mov_b32_e32 v7, v3
	v_mov_b32_e32 v2, 0
	;; [unrolled: 1-line block ×3, first 2 shown]
	s_mov_b32 s5, 0
	.p2align	6
.LBB54_125:                             ; =>This Inner Loop Header: Depth=1
	s_clause 0x1
	buffer_load_dword v11, v7, s[0:3], 0 offen offset:4
	buffer_load_dword v122, v7, s[0:3], 0 offen
	ds_read_b64 v[9:10], v6
	v_add_nc_u32_e32 v5, 1, v5
	v_add_nc_u32_e32 v6, 8, v6
	;; [unrolled: 1-line block ×3, first 2 shown]
	v_cmp_lt_u32_e32 vcc_lo, 26, v5
	s_or_b32 s5, vcc_lo, s5
	s_waitcnt vmcnt(1) lgkmcnt(0)
	v_mul_f32_e32 v123, v10, v11
	v_mul_f32_e32 v11, v9, v11
	s_waitcnt vmcnt(0)
	v_fma_f32 v9, v9, v122, -v123
	v_fmac_f32_e32 v11, v10, v122
	v_add_f32_e32 v8, v8, v9
	v_add_f32_e32 v2, v2, v11
	s_andn2_b32 exec_lo, exec_lo, s5
	s_cbranch_execnz .LBB54_125
; %bb.126:
	s_or_b32 exec_lo, exec_lo, s5
	v_mov_b32_e32 v5, 0
	ds_read_b64 v[5:6], v5 offset:224
	s_waitcnt lgkmcnt(0)
	v_mul_f32_e32 v7, v2, v6
	v_mul_f32_e32 v6, v8, v6
	v_fma_f32 v7, v8, v5, -v7
	v_fmac_f32_e32 v6, v2, v5
	buffer_store_dword v7, off, s[0:3], 0 offset:224
	buffer_store_dword v6, off, s[0:3], 0 offset:228
.LBB54_127:
	s_or_b32 exec_lo, exec_lo, s4
	s_waitcnt_vscnt null, 0x0
	s_barrier
	buffer_gl0_inv
	s_clause 0x1
	buffer_load_dword v5, off, s[0:3], 0 offset:232
	buffer_load_dword v6, off, s[0:3], 0 offset:236
	s_mov_b32 s4, exec_lo
	s_waitcnt vmcnt(0)
	ds_write_b64 v4, v[5:6]
	s_waitcnt lgkmcnt(0)
	s_barrier
	buffer_gl0_inv
	v_cmpx_gt_u32_e32 29, v0
	s_cbranch_execz .LBB54_131
; %bb.128:
	v_add_nc_u32_e32 v5, -1, v0
	v_add_nc_u32_e32 v6, 0x1c0, v3
	v_mov_b32_e32 v7, v3
	v_mov_b32_e32 v2, 0
	;; [unrolled: 1-line block ×3, first 2 shown]
	s_mov_b32 s5, 0
	.p2align	6
.LBB54_129:                             ; =>This Inner Loop Header: Depth=1
	s_clause 0x1
	buffer_load_dword v11, v7, s[0:3], 0 offen offset:4
	buffer_load_dword v122, v7, s[0:3], 0 offen
	ds_read_b64 v[9:10], v6
	v_add_nc_u32_e32 v5, 1, v5
	v_add_nc_u32_e32 v6, 8, v6
	;; [unrolled: 1-line block ×3, first 2 shown]
	v_cmp_lt_u32_e32 vcc_lo, 27, v5
	s_or_b32 s5, vcc_lo, s5
	s_waitcnt vmcnt(1) lgkmcnt(0)
	v_mul_f32_e32 v123, v10, v11
	v_mul_f32_e32 v11, v9, v11
	s_waitcnt vmcnt(0)
	v_fma_f32 v9, v9, v122, -v123
	v_fmac_f32_e32 v11, v10, v122
	v_add_f32_e32 v8, v8, v9
	v_add_f32_e32 v2, v2, v11
	s_andn2_b32 exec_lo, exec_lo, s5
	s_cbranch_execnz .LBB54_129
; %bb.130:
	s_or_b32 exec_lo, exec_lo, s5
	v_mov_b32_e32 v5, 0
	ds_read_b64 v[5:6], v5 offset:232
	s_waitcnt lgkmcnt(0)
	v_mul_f32_e32 v7, v2, v6
	v_mul_f32_e32 v6, v8, v6
	v_fma_f32 v7, v8, v5, -v7
	v_fmac_f32_e32 v6, v2, v5
	buffer_store_dword v7, off, s[0:3], 0 offset:232
	buffer_store_dword v6, off, s[0:3], 0 offset:236
.LBB54_131:
	s_or_b32 exec_lo, exec_lo, s4
	s_waitcnt_vscnt null, 0x0
	s_barrier
	buffer_gl0_inv
	s_clause 0x1
	buffer_load_dword v5, off, s[0:3], 0 offset:240
	buffer_load_dword v6, off, s[0:3], 0 offset:244
	s_mov_b32 s4, exec_lo
	s_waitcnt vmcnt(0)
	ds_write_b64 v4, v[5:6]
	s_waitcnt lgkmcnt(0)
	s_barrier
	buffer_gl0_inv
	v_cmpx_gt_u32_e32 30, v0
	s_cbranch_execz .LBB54_135
; %bb.132:
	v_add_nc_u32_e32 v5, -1, v0
	v_add_nc_u32_e32 v6, 0x1c0, v3
	v_mov_b32_e32 v7, v3
	v_mov_b32_e32 v2, 0
	;; [unrolled: 1-line block ×3, first 2 shown]
	s_mov_b32 s5, 0
	.p2align	6
.LBB54_133:                             ; =>This Inner Loop Header: Depth=1
	s_clause 0x1
	buffer_load_dword v11, v7, s[0:3], 0 offen offset:4
	buffer_load_dword v122, v7, s[0:3], 0 offen
	ds_read_b64 v[9:10], v6
	v_add_nc_u32_e32 v5, 1, v5
	v_add_nc_u32_e32 v6, 8, v6
	;; [unrolled: 1-line block ×3, first 2 shown]
	v_cmp_lt_u32_e32 vcc_lo, 28, v5
	s_or_b32 s5, vcc_lo, s5
	s_waitcnt vmcnt(1) lgkmcnt(0)
	v_mul_f32_e32 v123, v10, v11
	v_mul_f32_e32 v11, v9, v11
	s_waitcnt vmcnt(0)
	v_fma_f32 v9, v9, v122, -v123
	v_fmac_f32_e32 v11, v10, v122
	v_add_f32_e32 v8, v8, v9
	v_add_f32_e32 v2, v2, v11
	s_andn2_b32 exec_lo, exec_lo, s5
	s_cbranch_execnz .LBB54_133
; %bb.134:
	s_or_b32 exec_lo, exec_lo, s5
	v_mov_b32_e32 v5, 0
	ds_read_b64 v[5:6], v5 offset:240
	s_waitcnt lgkmcnt(0)
	v_mul_f32_e32 v7, v2, v6
	v_mul_f32_e32 v6, v8, v6
	v_fma_f32 v7, v8, v5, -v7
	v_fmac_f32_e32 v6, v2, v5
	buffer_store_dword v7, off, s[0:3], 0 offset:240
	buffer_store_dword v6, off, s[0:3], 0 offset:244
.LBB54_135:
	s_or_b32 exec_lo, exec_lo, s4
	s_waitcnt_vscnt null, 0x0
	s_barrier
	buffer_gl0_inv
	s_clause 0x1
	buffer_load_dword v5, off, s[0:3], 0 offset:248
	buffer_load_dword v6, off, s[0:3], 0 offset:252
	s_mov_b32 s4, exec_lo
	s_waitcnt vmcnt(0)
	ds_write_b64 v4, v[5:6]
	s_waitcnt lgkmcnt(0)
	s_barrier
	buffer_gl0_inv
	v_cmpx_gt_u32_e32 31, v0
	s_cbranch_execz .LBB54_139
; %bb.136:
	v_add_nc_u32_e32 v5, -1, v0
	v_add_nc_u32_e32 v6, 0x1c0, v3
	v_mov_b32_e32 v7, v3
	v_mov_b32_e32 v2, 0
	;; [unrolled: 1-line block ×3, first 2 shown]
	s_mov_b32 s5, 0
	.p2align	6
.LBB54_137:                             ; =>This Inner Loop Header: Depth=1
	s_clause 0x1
	buffer_load_dword v11, v7, s[0:3], 0 offen offset:4
	buffer_load_dword v122, v7, s[0:3], 0 offen
	ds_read_b64 v[9:10], v6
	v_add_nc_u32_e32 v5, 1, v5
	v_add_nc_u32_e32 v6, 8, v6
	;; [unrolled: 1-line block ×3, first 2 shown]
	v_cmp_lt_u32_e32 vcc_lo, 29, v5
	s_or_b32 s5, vcc_lo, s5
	s_waitcnt vmcnt(1) lgkmcnt(0)
	v_mul_f32_e32 v123, v10, v11
	v_mul_f32_e32 v11, v9, v11
	s_waitcnt vmcnt(0)
	v_fma_f32 v9, v9, v122, -v123
	v_fmac_f32_e32 v11, v10, v122
	v_add_f32_e32 v8, v8, v9
	v_add_f32_e32 v2, v2, v11
	s_andn2_b32 exec_lo, exec_lo, s5
	s_cbranch_execnz .LBB54_137
; %bb.138:
	s_or_b32 exec_lo, exec_lo, s5
	v_mov_b32_e32 v5, 0
	ds_read_b64 v[5:6], v5 offset:248
	s_waitcnt lgkmcnt(0)
	v_mul_f32_e32 v7, v2, v6
	v_mul_f32_e32 v6, v8, v6
	v_fma_f32 v7, v8, v5, -v7
	v_fmac_f32_e32 v6, v2, v5
	buffer_store_dword v7, off, s[0:3], 0 offset:248
	buffer_store_dword v6, off, s[0:3], 0 offset:252
.LBB54_139:
	s_or_b32 exec_lo, exec_lo, s4
	s_waitcnt_vscnt null, 0x0
	s_barrier
	buffer_gl0_inv
	s_clause 0x1
	buffer_load_dword v5, off, s[0:3], 0 offset:256
	buffer_load_dword v6, off, s[0:3], 0 offset:260
	s_mov_b32 s4, exec_lo
	s_waitcnt vmcnt(0)
	ds_write_b64 v4, v[5:6]
	s_waitcnt lgkmcnt(0)
	s_barrier
	buffer_gl0_inv
	v_cmpx_gt_u32_e32 32, v0
	s_cbranch_execz .LBB54_143
; %bb.140:
	v_add_nc_u32_e32 v5, -1, v0
	v_add_nc_u32_e32 v6, 0x1c0, v3
	v_mov_b32_e32 v7, v3
	v_mov_b32_e32 v2, 0
	;; [unrolled: 1-line block ×3, first 2 shown]
	s_mov_b32 s5, 0
	.p2align	6
.LBB54_141:                             ; =>This Inner Loop Header: Depth=1
	s_clause 0x1
	buffer_load_dword v11, v7, s[0:3], 0 offen offset:4
	buffer_load_dword v122, v7, s[0:3], 0 offen
	ds_read_b64 v[9:10], v6
	v_add_nc_u32_e32 v5, 1, v5
	v_add_nc_u32_e32 v6, 8, v6
	v_add_nc_u32_e32 v7, 8, v7
	v_cmp_lt_u32_e32 vcc_lo, 30, v5
	s_or_b32 s5, vcc_lo, s5
	s_waitcnt vmcnt(1) lgkmcnt(0)
	v_mul_f32_e32 v123, v10, v11
	v_mul_f32_e32 v11, v9, v11
	s_waitcnt vmcnt(0)
	v_fma_f32 v9, v9, v122, -v123
	v_fmac_f32_e32 v11, v10, v122
	v_add_f32_e32 v8, v8, v9
	v_add_f32_e32 v2, v2, v11
	s_andn2_b32 exec_lo, exec_lo, s5
	s_cbranch_execnz .LBB54_141
; %bb.142:
	s_or_b32 exec_lo, exec_lo, s5
	v_mov_b32_e32 v5, 0
	ds_read_b64 v[5:6], v5 offset:256
	s_waitcnt lgkmcnt(0)
	v_mul_f32_e32 v7, v2, v6
	v_mul_f32_e32 v6, v8, v6
	v_fma_f32 v7, v8, v5, -v7
	v_fmac_f32_e32 v6, v2, v5
	buffer_store_dword v7, off, s[0:3], 0 offset:256
	buffer_store_dword v6, off, s[0:3], 0 offset:260
.LBB54_143:
	s_or_b32 exec_lo, exec_lo, s4
	s_waitcnt_vscnt null, 0x0
	s_barrier
	buffer_gl0_inv
	s_clause 0x1
	buffer_load_dword v5, off, s[0:3], 0 offset:264
	buffer_load_dword v6, off, s[0:3], 0 offset:268
	s_mov_b32 s4, exec_lo
	s_waitcnt vmcnt(0)
	ds_write_b64 v4, v[5:6]
	s_waitcnt lgkmcnt(0)
	s_barrier
	buffer_gl0_inv
	v_cmpx_gt_u32_e32 33, v0
	s_cbranch_execz .LBB54_147
; %bb.144:
	v_add_nc_u32_e32 v5, -1, v0
	v_add_nc_u32_e32 v6, 0x1c0, v3
	v_mov_b32_e32 v7, v3
	v_mov_b32_e32 v2, 0
	;; [unrolled: 1-line block ×3, first 2 shown]
	s_mov_b32 s5, 0
	.p2align	6
.LBB54_145:                             ; =>This Inner Loop Header: Depth=1
	s_clause 0x1
	buffer_load_dword v11, v7, s[0:3], 0 offen offset:4
	buffer_load_dword v122, v7, s[0:3], 0 offen
	ds_read_b64 v[9:10], v6
	v_add_nc_u32_e32 v5, 1, v5
	v_add_nc_u32_e32 v6, 8, v6
	;; [unrolled: 1-line block ×3, first 2 shown]
	v_cmp_lt_u32_e32 vcc_lo, 31, v5
	s_or_b32 s5, vcc_lo, s5
	s_waitcnt vmcnt(1) lgkmcnt(0)
	v_mul_f32_e32 v123, v10, v11
	v_mul_f32_e32 v11, v9, v11
	s_waitcnt vmcnt(0)
	v_fma_f32 v9, v9, v122, -v123
	v_fmac_f32_e32 v11, v10, v122
	v_add_f32_e32 v8, v8, v9
	v_add_f32_e32 v2, v2, v11
	s_andn2_b32 exec_lo, exec_lo, s5
	s_cbranch_execnz .LBB54_145
; %bb.146:
	s_or_b32 exec_lo, exec_lo, s5
	v_mov_b32_e32 v5, 0
	ds_read_b64 v[5:6], v5 offset:264
	s_waitcnt lgkmcnt(0)
	v_mul_f32_e32 v7, v2, v6
	v_mul_f32_e32 v6, v8, v6
	v_fma_f32 v7, v8, v5, -v7
	v_fmac_f32_e32 v6, v2, v5
	buffer_store_dword v7, off, s[0:3], 0 offset:264
	buffer_store_dword v6, off, s[0:3], 0 offset:268
.LBB54_147:
	s_or_b32 exec_lo, exec_lo, s4
	s_waitcnt_vscnt null, 0x0
	s_barrier
	buffer_gl0_inv
	s_clause 0x1
	buffer_load_dword v5, off, s[0:3], 0 offset:272
	buffer_load_dword v6, off, s[0:3], 0 offset:276
	s_mov_b32 s4, exec_lo
	s_waitcnt vmcnt(0)
	ds_write_b64 v4, v[5:6]
	s_waitcnt lgkmcnt(0)
	s_barrier
	buffer_gl0_inv
	v_cmpx_gt_u32_e32 34, v0
	s_cbranch_execz .LBB54_151
; %bb.148:
	v_add_nc_u32_e32 v5, -1, v0
	v_add_nc_u32_e32 v6, 0x1c0, v3
	v_mov_b32_e32 v7, v3
	v_mov_b32_e32 v2, 0
	;; [unrolled: 1-line block ×3, first 2 shown]
	s_mov_b32 s5, 0
	.p2align	6
.LBB54_149:                             ; =>This Inner Loop Header: Depth=1
	s_clause 0x1
	buffer_load_dword v11, v7, s[0:3], 0 offen offset:4
	buffer_load_dword v122, v7, s[0:3], 0 offen
	ds_read_b64 v[9:10], v6
	v_add_nc_u32_e32 v5, 1, v5
	v_add_nc_u32_e32 v6, 8, v6
	;; [unrolled: 1-line block ×3, first 2 shown]
	v_cmp_lt_u32_e32 vcc_lo, 32, v5
	s_or_b32 s5, vcc_lo, s5
	s_waitcnt vmcnt(1) lgkmcnt(0)
	v_mul_f32_e32 v123, v10, v11
	v_mul_f32_e32 v11, v9, v11
	s_waitcnt vmcnt(0)
	v_fma_f32 v9, v9, v122, -v123
	v_fmac_f32_e32 v11, v10, v122
	v_add_f32_e32 v8, v8, v9
	v_add_f32_e32 v2, v2, v11
	s_andn2_b32 exec_lo, exec_lo, s5
	s_cbranch_execnz .LBB54_149
; %bb.150:
	s_or_b32 exec_lo, exec_lo, s5
	v_mov_b32_e32 v5, 0
	ds_read_b64 v[5:6], v5 offset:272
	s_waitcnt lgkmcnt(0)
	v_mul_f32_e32 v7, v2, v6
	v_mul_f32_e32 v6, v8, v6
	v_fma_f32 v7, v8, v5, -v7
	v_fmac_f32_e32 v6, v2, v5
	buffer_store_dword v7, off, s[0:3], 0 offset:272
	buffer_store_dword v6, off, s[0:3], 0 offset:276
.LBB54_151:
	s_or_b32 exec_lo, exec_lo, s4
	s_waitcnt_vscnt null, 0x0
	s_barrier
	buffer_gl0_inv
	s_clause 0x1
	buffer_load_dword v5, off, s[0:3], 0 offset:280
	buffer_load_dword v6, off, s[0:3], 0 offset:284
	s_mov_b32 s4, exec_lo
	s_waitcnt vmcnt(0)
	ds_write_b64 v4, v[5:6]
	s_waitcnt lgkmcnt(0)
	s_barrier
	buffer_gl0_inv
	v_cmpx_gt_u32_e32 35, v0
	s_cbranch_execz .LBB54_155
; %bb.152:
	v_add_nc_u32_e32 v5, -1, v0
	v_add_nc_u32_e32 v6, 0x1c0, v3
	v_mov_b32_e32 v7, v3
	v_mov_b32_e32 v2, 0
	;; [unrolled: 1-line block ×3, first 2 shown]
	s_mov_b32 s5, 0
	.p2align	6
.LBB54_153:                             ; =>This Inner Loop Header: Depth=1
	s_clause 0x1
	buffer_load_dword v11, v7, s[0:3], 0 offen offset:4
	buffer_load_dword v122, v7, s[0:3], 0 offen
	ds_read_b64 v[9:10], v6
	v_add_nc_u32_e32 v5, 1, v5
	v_add_nc_u32_e32 v6, 8, v6
	;; [unrolled: 1-line block ×3, first 2 shown]
	v_cmp_lt_u32_e32 vcc_lo, 33, v5
	s_or_b32 s5, vcc_lo, s5
	s_waitcnt vmcnt(1) lgkmcnt(0)
	v_mul_f32_e32 v123, v10, v11
	v_mul_f32_e32 v11, v9, v11
	s_waitcnt vmcnt(0)
	v_fma_f32 v9, v9, v122, -v123
	v_fmac_f32_e32 v11, v10, v122
	v_add_f32_e32 v8, v8, v9
	v_add_f32_e32 v2, v2, v11
	s_andn2_b32 exec_lo, exec_lo, s5
	s_cbranch_execnz .LBB54_153
; %bb.154:
	s_or_b32 exec_lo, exec_lo, s5
	v_mov_b32_e32 v5, 0
	ds_read_b64 v[5:6], v5 offset:280
	s_waitcnt lgkmcnt(0)
	v_mul_f32_e32 v7, v2, v6
	v_mul_f32_e32 v6, v8, v6
	v_fma_f32 v7, v8, v5, -v7
	v_fmac_f32_e32 v6, v2, v5
	buffer_store_dword v7, off, s[0:3], 0 offset:280
	buffer_store_dword v6, off, s[0:3], 0 offset:284
.LBB54_155:
	s_or_b32 exec_lo, exec_lo, s4
	s_waitcnt_vscnt null, 0x0
	s_barrier
	buffer_gl0_inv
	s_clause 0x1
	buffer_load_dword v5, off, s[0:3], 0 offset:288
	buffer_load_dword v6, off, s[0:3], 0 offset:292
	s_mov_b32 s4, exec_lo
	s_waitcnt vmcnt(0)
	ds_write_b64 v4, v[5:6]
	s_waitcnt lgkmcnt(0)
	s_barrier
	buffer_gl0_inv
	v_cmpx_gt_u32_e32 36, v0
	s_cbranch_execz .LBB54_159
; %bb.156:
	v_add_nc_u32_e32 v5, -1, v0
	v_add_nc_u32_e32 v6, 0x1c0, v3
	v_mov_b32_e32 v7, v3
	v_mov_b32_e32 v2, 0
	;; [unrolled: 1-line block ×3, first 2 shown]
	s_mov_b32 s5, 0
	.p2align	6
.LBB54_157:                             ; =>This Inner Loop Header: Depth=1
	s_clause 0x1
	buffer_load_dword v11, v7, s[0:3], 0 offen offset:4
	buffer_load_dword v122, v7, s[0:3], 0 offen
	ds_read_b64 v[9:10], v6
	v_add_nc_u32_e32 v5, 1, v5
	v_add_nc_u32_e32 v6, 8, v6
	v_add_nc_u32_e32 v7, 8, v7
	v_cmp_lt_u32_e32 vcc_lo, 34, v5
	s_or_b32 s5, vcc_lo, s5
	s_waitcnt vmcnt(1) lgkmcnt(0)
	v_mul_f32_e32 v123, v10, v11
	v_mul_f32_e32 v11, v9, v11
	s_waitcnt vmcnt(0)
	v_fma_f32 v9, v9, v122, -v123
	v_fmac_f32_e32 v11, v10, v122
	v_add_f32_e32 v8, v8, v9
	v_add_f32_e32 v2, v2, v11
	s_andn2_b32 exec_lo, exec_lo, s5
	s_cbranch_execnz .LBB54_157
; %bb.158:
	s_or_b32 exec_lo, exec_lo, s5
	v_mov_b32_e32 v5, 0
	ds_read_b64 v[5:6], v5 offset:288
	s_waitcnt lgkmcnt(0)
	v_mul_f32_e32 v7, v2, v6
	v_mul_f32_e32 v6, v8, v6
	v_fma_f32 v7, v8, v5, -v7
	v_fmac_f32_e32 v6, v2, v5
	buffer_store_dword v7, off, s[0:3], 0 offset:288
	buffer_store_dword v6, off, s[0:3], 0 offset:292
.LBB54_159:
	s_or_b32 exec_lo, exec_lo, s4
	s_waitcnt_vscnt null, 0x0
	s_barrier
	buffer_gl0_inv
	s_clause 0x1
	buffer_load_dword v5, off, s[0:3], 0 offset:296
	buffer_load_dword v6, off, s[0:3], 0 offset:300
	s_mov_b32 s4, exec_lo
	s_waitcnt vmcnt(0)
	ds_write_b64 v4, v[5:6]
	s_waitcnt lgkmcnt(0)
	s_barrier
	buffer_gl0_inv
	v_cmpx_gt_u32_e32 37, v0
	s_cbranch_execz .LBB54_163
; %bb.160:
	v_add_nc_u32_e32 v5, -1, v0
	v_add_nc_u32_e32 v6, 0x1c0, v3
	v_mov_b32_e32 v7, v3
	v_mov_b32_e32 v2, 0
	v_mov_b32_e32 v8, 0
	s_mov_b32 s5, 0
	.p2align	6
.LBB54_161:                             ; =>This Inner Loop Header: Depth=1
	s_clause 0x1
	buffer_load_dword v11, v7, s[0:3], 0 offen offset:4
	buffer_load_dword v122, v7, s[0:3], 0 offen
	ds_read_b64 v[9:10], v6
	v_add_nc_u32_e32 v5, 1, v5
	v_add_nc_u32_e32 v6, 8, v6
	;; [unrolled: 1-line block ×3, first 2 shown]
	v_cmp_lt_u32_e32 vcc_lo, 35, v5
	s_or_b32 s5, vcc_lo, s5
	s_waitcnt vmcnt(1) lgkmcnt(0)
	v_mul_f32_e32 v123, v10, v11
	v_mul_f32_e32 v11, v9, v11
	s_waitcnt vmcnt(0)
	v_fma_f32 v9, v9, v122, -v123
	v_fmac_f32_e32 v11, v10, v122
	v_add_f32_e32 v8, v8, v9
	v_add_f32_e32 v2, v2, v11
	s_andn2_b32 exec_lo, exec_lo, s5
	s_cbranch_execnz .LBB54_161
; %bb.162:
	s_or_b32 exec_lo, exec_lo, s5
	v_mov_b32_e32 v5, 0
	ds_read_b64 v[5:6], v5 offset:296
	s_waitcnt lgkmcnt(0)
	v_mul_f32_e32 v7, v2, v6
	v_mul_f32_e32 v6, v8, v6
	v_fma_f32 v7, v8, v5, -v7
	v_fmac_f32_e32 v6, v2, v5
	buffer_store_dword v7, off, s[0:3], 0 offset:296
	buffer_store_dword v6, off, s[0:3], 0 offset:300
.LBB54_163:
	s_or_b32 exec_lo, exec_lo, s4
	s_waitcnt_vscnt null, 0x0
	s_barrier
	buffer_gl0_inv
	s_clause 0x1
	buffer_load_dword v5, off, s[0:3], 0 offset:304
	buffer_load_dword v6, off, s[0:3], 0 offset:308
	s_mov_b32 s4, exec_lo
	s_waitcnt vmcnt(0)
	ds_write_b64 v4, v[5:6]
	s_waitcnt lgkmcnt(0)
	s_barrier
	buffer_gl0_inv
	v_cmpx_gt_u32_e32 38, v0
	s_cbranch_execz .LBB54_167
; %bb.164:
	v_add_nc_u32_e32 v5, -1, v0
	v_add_nc_u32_e32 v6, 0x1c0, v3
	v_mov_b32_e32 v7, v3
	v_mov_b32_e32 v2, 0
	;; [unrolled: 1-line block ×3, first 2 shown]
	s_mov_b32 s5, 0
	.p2align	6
.LBB54_165:                             ; =>This Inner Loop Header: Depth=1
	s_clause 0x1
	buffer_load_dword v11, v7, s[0:3], 0 offen offset:4
	buffer_load_dword v122, v7, s[0:3], 0 offen
	ds_read_b64 v[9:10], v6
	v_add_nc_u32_e32 v5, 1, v5
	v_add_nc_u32_e32 v6, 8, v6
	v_add_nc_u32_e32 v7, 8, v7
	v_cmp_lt_u32_e32 vcc_lo, 36, v5
	s_or_b32 s5, vcc_lo, s5
	s_waitcnt vmcnt(1) lgkmcnt(0)
	v_mul_f32_e32 v123, v10, v11
	v_mul_f32_e32 v11, v9, v11
	s_waitcnt vmcnt(0)
	v_fma_f32 v9, v9, v122, -v123
	v_fmac_f32_e32 v11, v10, v122
	v_add_f32_e32 v8, v8, v9
	v_add_f32_e32 v2, v2, v11
	s_andn2_b32 exec_lo, exec_lo, s5
	s_cbranch_execnz .LBB54_165
; %bb.166:
	s_or_b32 exec_lo, exec_lo, s5
	v_mov_b32_e32 v5, 0
	ds_read_b64 v[5:6], v5 offset:304
	s_waitcnt lgkmcnt(0)
	v_mul_f32_e32 v7, v2, v6
	v_mul_f32_e32 v6, v8, v6
	v_fma_f32 v7, v8, v5, -v7
	v_fmac_f32_e32 v6, v2, v5
	buffer_store_dword v7, off, s[0:3], 0 offset:304
	buffer_store_dword v6, off, s[0:3], 0 offset:308
.LBB54_167:
	s_or_b32 exec_lo, exec_lo, s4
	s_waitcnt_vscnt null, 0x0
	s_barrier
	buffer_gl0_inv
	s_clause 0x1
	buffer_load_dword v5, off, s[0:3], 0 offset:312
	buffer_load_dword v6, off, s[0:3], 0 offset:316
	s_mov_b32 s4, exec_lo
	s_waitcnt vmcnt(0)
	ds_write_b64 v4, v[5:6]
	s_waitcnt lgkmcnt(0)
	s_barrier
	buffer_gl0_inv
	v_cmpx_gt_u32_e32 39, v0
	s_cbranch_execz .LBB54_171
; %bb.168:
	v_add_nc_u32_e32 v5, -1, v0
	v_add_nc_u32_e32 v6, 0x1c0, v3
	v_mov_b32_e32 v7, v3
	v_mov_b32_e32 v2, 0
	;; [unrolled: 1-line block ×3, first 2 shown]
	s_mov_b32 s5, 0
	.p2align	6
.LBB54_169:                             ; =>This Inner Loop Header: Depth=1
	s_clause 0x1
	buffer_load_dword v11, v7, s[0:3], 0 offen offset:4
	buffer_load_dword v122, v7, s[0:3], 0 offen
	ds_read_b64 v[9:10], v6
	v_add_nc_u32_e32 v5, 1, v5
	v_add_nc_u32_e32 v6, 8, v6
	;; [unrolled: 1-line block ×3, first 2 shown]
	v_cmp_lt_u32_e32 vcc_lo, 37, v5
	s_or_b32 s5, vcc_lo, s5
	s_waitcnt vmcnt(1) lgkmcnt(0)
	v_mul_f32_e32 v123, v10, v11
	v_mul_f32_e32 v11, v9, v11
	s_waitcnt vmcnt(0)
	v_fma_f32 v9, v9, v122, -v123
	v_fmac_f32_e32 v11, v10, v122
	v_add_f32_e32 v8, v8, v9
	v_add_f32_e32 v2, v2, v11
	s_andn2_b32 exec_lo, exec_lo, s5
	s_cbranch_execnz .LBB54_169
; %bb.170:
	s_or_b32 exec_lo, exec_lo, s5
	v_mov_b32_e32 v5, 0
	ds_read_b64 v[5:6], v5 offset:312
	s_waitcnt lgkmcnt(0)
	v_mul_f32_e32 v7, v2, v6
	v_mul_f32_e32 v6, v8, v6
	v_fma_f32 v7, v8, v5, -v7
	v_fmac_f32_e32 v6, v2, v5
	buffer_store_dword v7, off, s[0:3], 0 offset:312
	buffer_store_dword v6, off, s[0:3], 0 offset:316
.LBB54_171:
	s_or_b32 exec_lo, exec_lo, s4
	s_waitcnt_vscnt null, 0x0
	s_barrier
	buffer_gl0_inv
	s_clause 0x1
	buffer_load_dword v5, off, s[0:3], 0 offset:320
	buffer_load_dword v6, off, s[0:3], 0 offset:324
	s_mov_b32 s4, exec_lo
	s_waitcnt vmcnt(0)
	ds_write_b64 v4, v[5:6]
	s_waitcnt lgkmcnt(0)
	s_barrier
	buffer_gl0_inv
	v_cmpx_gt_u32_e32 40, v0
	s_cbranch_execz .LBB54_175
; %bb.172:
	v_add_nc_u32_e32 v5, -1, v0
	v_add_nc_u32_e32 v6, 0x1c0, v3
	v_mov_b32_e32 v7, v3
	v_mov_b32_e32 v2, 0
	;; [unrolled: 1-line block ×3, first 2 shown]
	s_mov_b32 s5, 0
	.p2align	6
.LBB54_173:                             ; =>This Inner Loop Header: Depth=1
	s_clause 0x1
	buffer_load_dword v11, v7, s[0:3], 0 offen offset:4
	buffer_load_dword v122, v7, s[0:3], 0 offen
	ds_read_b64 v[9:10], v6
	v_add_nc_u32_e32 v5, 1, v5
	v_add_nc_u32_e32 v6, 8, v6
	;; [unrolled: 1-line block ×3, first 2 shown]
	v_cmp_lt_u32_e32 vcc_lo, 38, v5
	s_or_b32 s5, vcc_lo, s5
	s_waitcnt vmcnt(1) lgkmcnt(0)
	v_mul_f32_e32 v123, v10, v11
	v_mul_f32_e32 v11, v9, v11
	s_waitcnt vmcnt(0)
	v_fma_f32 v9, v9, v122, -v123
	v_fmac_f32_e32 v11, v10, v122
	v_add_f32_e32 v8, v8, v9
	v_add_f32_e32 v2, v2, v11
	s_andn2_b32 exec_lo, exec_lo, s5
	s_cbranch_execnz .LBB54_173
; %bb.174:
	s_or_b32 exec_lo, exec_lo, s5
	v_mov_b32_e32 v5, 0
	ds_read_b64 v[5:6], v5 offset:320
	s_waitcnt lgkmcnt(0)
	v_mul_f32_e32 v7, v2, v6
	v_mul_f32_e32 v6, v8, v6
	v_fma_f32 v7, v8, v5, -v7
	v_fmac_f32_e32 v6, v2, v5
	buffer_store_dword v7, off, s[0:3], 0 offset:320
	buffer_store_dword v6, off, s[0:3], 0 offset:324
.LBB54_175:
	s_or_b32 exec_lo, exec_lo, s4
	s_waitcnt_vscnt null, 0x0
	s_barrier
	buffer_gl0_inv
	s_clause 0x1
	buffer_load_dword v5, off, s[0:3], 0 offset:328
	buffer_load_dword v6, off, s[0:3], 0 offset:332
	s_mov_b32 s4, exec_lo
	s_waitcnt vmcnt(0)
	ds_write_b64 v4, v[5:6]
	s_waitcnt lgkmcnt(0)
	s_barrier
	buffer_gl0_inv
	v_cmpx_gt_u32_e32 41, v0
	s_cbranch_execz .LBB54_179
; %bb.176:
	v_add_nc_u32_e32 v5, -1, v0
	v_add_nc_u32_e32 v6, 0x1c0, v3
	v_mov_b32_e32 v7, v3
	v_mov_b32_e32 v2, 0
	;; [unrolled: 1-line block ×3, first 2 shown]
	s_mov_b32 s5, 0
	.p2align	6
.LBB54_177:                             ; =>This Inner Loop Header: Depth=1
	s_clause 0x1
	buffer_load_dword v11, v7, s[0:3], 0 offen offset:4
	buffer_load_dword v122, v7, s[0:3], 0 offen
	ds_read_b64 v[9:10], v6
	v_add_nc_u32_e32 v5, 1, v5
	v_add_nc_u32_e32 v6, 8, v6
	;; [unrolled: 1-line block ×3, first 2 shown]
	v_cmp_lt_u32_e32 vcc_lo, 39, v5
	s_or_b32 s5, vcc_lo, s5
	s_waitcnt vmcnt(1) lgkmcnt(0)
	v_mul_f32_e32 v123, v10, v11
	v_mul_f32_e32 v11, v9, v11
	s_waitcnt vmcnt(0)
	v_fma_f32 v9, v9, v122, -v123
	v_fmac_f32_e32 v11, v10, v122
	v_add_f32_e32 v8, v8, v9
	v_add_f32_e32 v2, v2, v11
	s_andn2_b32 exec_lo, exec_lo, s5
	s_cbranch_execnz .LBB54_177
; %bb.178:
	s_or_b32 exec_lo, exec_lo, s5
	v_mov_b32_e32 v5, 0
	ds_read_b64 v[5:6], v5 offset:328
	s_waitcnt lgkmcnt(0)
	v_mul_f32_e32 v7, v2, v6
	v_mul_f32_e32 v6, v8, v6
	v_fma_f32 v7, v8, v5, -v7
	v_fmac_f32_e32 v6, v2, v5
	buffer_store_dword v7, off, s[0:3], 0 offset:328
	buffer_store_dword v6, off, s[0:3], 0 offset:332
.LBB54_179:
	s_or_b32 exec_lo, exec_lo, s4
	s_waitcnt_vscnt null, 0x0
	s_barrier
	buffer_gl0_inv
	s_clause 0x1
	buffer_load_dword v5, off, s[0:3], 0 offset:336
	buffer_load_dword v6, off, s[0:3], 0 offset:340
	s_mov_b32 s4, exec_lo
	s_waitcnt vmcnt(0)
	ds_write_b64 v4, v[5:6]
	s_waitcnt lgkmcnt(0)
	s_barrier
	buffer_gl0_inv
	v_cmpx_gt_u32_e32 42, v0
	s_cbranch_execz .LBB54_183
; %bb.180:
	v_add_nc_u32_e32 v5, -1, v0
	v_add_nc_u32_e32 v6, 0x1c0, v3
	v_mov_b32_e32 v7, v3
	v_mov_b32_e32 v2, 0
	;; [unrolled: 1-line block ×3, first 2 shown]
	s_mov_b32 s5, 0
	.p2align	6
.LBB54_181:                             ; =>This Inner Loop Header: Depth=1
	s_clause 0x1
	buffer_load_dword v11, v7, s[0:3], 0 offen offset:4
	buffer_load_dword v122, v7, s[0:3], 0 offen
	ds_read_b64 v[9:10], v6
	v_add_nc_u32_e32 v5, 1, v5
	v_add_nc_u32_e32 v6, 8, v6
	;; [unrolled: 1-line block ×3, first 2 shown]
	v_cmp_lt_u32_e32 vcc_lo, 40, v5
	s_or_b32 s5, vcc_lo, s5
	s_waitcnt vmcnt(1) lgkmcnt(0)
	v_mul_f32_e32 v123, v10, v11
	v_mul_f32_e32 v11, v9, v11
	s_waitcnt vmcnt(0)
	v_fma_f32 v9, v9, v122, -v123
	v_fmac_f32_e32 v11, v10, v122
	v_add_f32_e32 v8, v8, v9
	v_add_f32_e32 v2, v2, v11
	s_andn2_b32 exec_lo, exec_lo, s5
	s_cbranch_execnz .LBB54_181
; %bb.182:
	s_or_b32 exec_lo, exec_lo, s5
	v_mov_b32_e32 v5, 0
	ds_read_b64 v[5:6], v5 offset:336
	s_waitcnt lgkmcnt(0)
	v_mul_f32_e32 v7, v2, v6
	v_mul_f32_e32 v6, v8, v6
	v_fma_f32 v7, v8, v5, -v7
	v_fmac_f32_e32 v6, v2, v5
	buffer_store_dword v7, off, s[0:3], 0 offset:336
	buffer_store_dword v6, off, s[0:3], 0 offset:340
.LBB54_183:
	s_or_b32 exec_lo, exec_lo, s4
	s_waitcnt_vscnt null, 0x0
	s_barrier
	buffer_gl0_inv
	s_clause 0x1
	buffer_load_dword v5, off, s[0:3], 0 offset:344
	buffer_load_dword v6, off, s[0:3], 0 offset:348
	s_mov_b32 s4, exec_lo
	s_waitcnt vmcnt(0)
	ds_write_b64 v4, v[5:6]
	s_waitcnt lgkmcnt(0)
	s_barrier
	buffer_gl0_inv
	v_cmpx_gt_u32_e32 43, v0
	s_cbranch_execz .LBB54_187
; %bb.184:
	v_add_nc_u32_e32 v5, -1, v0
	v_add_nc_u32_e32 v6, 0x1c0, v3
	v_mov_b32_e32 v7, v3
	v_mov_b32_e32 v2, 0
	;; [unrolled: 1-line block ×3, first 2 shown]
	s_mov_b32 s5, 0
	.p2align	6
.LBB54_185:                             ; =>This Inner Loop Header: Depth=1
	s_clause 0x1
	buffer_load_dword v11, v7, s[0:3], 0 offen offset:4
	buffer_load_dword v122, v7, s[0:3], 0 offen
	ds_read_b64 v[9:10], v6
	v_add_nc_u32_e32 v5, 1, v5
	v_add_nc_u32_e32 v6, 8, v6
	;; [unrolled: 1-line block ×3, first 2 shown]
	v_cmp_lt_u32_e32 vcc_lo, 41, v5
	s_or_b32 s5, vcc_lo, s5
	s_waitcnt vmcnt(1) lgkmcnt(0)
	v_mul_f32_e32 v123, v10, v11
	v_mul_f32_e32 v11, v9, v11
	s_waitcnt vmcnt(0)
	v_fma_f32 v9, v9, v122, -v123
	v_fmac_f32_e32 v11, v10, v122
	v_add_f32_e32 v8, v8, v9
	v_add_f32_e32 v2, v2, v11
	s_andn2_b32 exec_lo, exec_lo, s5
	s_cbranch_execnz .LBB54_185
; %bb.186:
	s_or_b32 exec_lo, exec_lo, s5
	v_mov_b32_e32 v5, 0
	ds_read_b64 v[5:6], v5 offset:344
	s_waitcnt lgkmcnt(0)
	v_mul_f32_e32 v7, v2, v6
	v_mul_f32_e32 v6, v8, v6
	v_fma_f32 v7, v8, v5, -v7
	v_fmac_f32_e32 v6, v2, v5
	buffer_store_dword v7, off, s[0:3], 0 offset:344
	buffer_store_dword v6, off, s[0:3], 0 offset:348
.LBB54_187:
	s_or_b32 exec_lo, exec_lo, s4
	s_waitcnt_vscnt null, 0x0
	s_barrier
	buffer_gl0_inv
	s_clause 0x1
	buffer_load_dword v5, off, s[0:3], 0 offset:352
	buffer_load_dword v6, off, s[0:3], 0 offset:356
	s_mov_b32 s4, exec_lo
	s_waitcnt vmcnt(0)
	ds_write_b64 v4, v[5:6]
	s_waitcnt lgkmcnt(0)
	s_barrier
	buffer_gl0_inv
	v_cmpx_gt_u32_e32 44, v0
	s_cbranch_execz .LBB54_191
; %bb.188:
	v_add_nc_u32_e32 v5, -1, v0
	v_add_nc_u32_e32 v6, 0x1c0, v3
	v_mov_b32_e32 v7, v3
	v_mov_b32_e32 v2, 0
	;; [unrolled: 1-line block ×3, first 2 shown]
	s_mov_b32 s5, 0
	.p2align	6
.LBB54_189:                             ; =>This Inner Loop Header: Depth=1
	s_clause 0x1
	buffer_load_dword v11, v7, s[0:3], 0 offen offset:4
	buffer_load_dword v122, v7, s[0:3], 0 offen
	ds_read_b64 v[9:10], v6
	v_add_nc_u32_e32 v5, 1, v5
	v_add_nc_u32_e32 v6, 8, v6
	;; [unrolled: 1-line block ×3, first 2 shown]
	v_cmp_lt_u32_e32 vcc_lo, 42, v5
	s_or_b32 s5, vcc_lo, s5
	s_waitcnt vmcnt(1) lgkmcnt(0)
	v_mul_f32_e32 v123, v10, v11
	v_mul_f32_e32 v11, v9, v11
	s_waitcnt vmcnt(0)
	v_fma_f32 v9, v9, v122, -v123
	v_fmac_f32_e32 v11, v10, v122
	v_add_f32_e32 v8, v8, v9
	v_add_f32_e32 v2, v2, v11
	s_andn2_b32 exec_lo, exec_lo, s5
	s_cbranch_execnz .LBB54_189
; %bb.190:
	s_or_b32 exec_lo, exec_lo, s5
	v_mov_b32_e32 v5, 0
	ds_read_b64 v[5:6], v5 offset:352
	s_waitcnt lgkmcnt(0)
	v_mul_f32_e32 v7, v2, v6
	v_mul_f32_e32 v6, v8, v6
	v_fma_f32 v7, v8, v5, -v7
	v_fmac_f32_e32 v6, v2, v5
	buffer_store_dword v7, off, s[0:3], 0 offset:352
	buffer_store_dword v6, off, s[0:3], 0 offset:356
.LBB54_191:
	s_or_b32 exec_lo, exec_lo, s4
	s_waitcnt_vscnt null, 0x0
	s_barrier
	buffer_gl0_inv
	s_clause 0x1
	buffer_load_dword v5, off, s[0:3], 0 offset:360
	buffer_load_dword v6, off, s[0:3], 0 offset:364
	s_mov_b32 s4, exec_lo
	s_waitcnt vmcnt(0)
	ds_write_b64 v4, v[5:6]
	s_waitcnt lgkmcnt(0)
	s_barrier
	buffer_gl0_inv
	v_cmpx_gt_u32_e32 45, v0
	s_cbranch_execz .LBB54_195
; %bb.192:
	v_add_nc_u32_e32 v5, -1, v0
	v_add_nc_u32_e32 v6, 0x1c0, v3
	v_mov_b32_e32 v7, v3
	v_mov_b32_e32 v2, 0
	;; [unrolled: 1-line block ×3, first 2 shown]
	s_mov_b32 s5, 0
	.p2align	6
.LBB54_193:                             ; =>This Inner Loop Header: Depth=1
	s_clause 0x1
	buffer_load_dword v11, v7, s[0:3], 0 offen offset:4
	buffer_load_dword v122, v7, s[0:3], 0 offen
	ds_read_b64 v[9:10], v6
	v_add_nc_u32_e32 v5, 1, v5
	v_add_nc_u32_e32 v6, 8, v6
	v_add_nc_u32_e32 v7, 8, v7
	v_cmp_lt_u32_e32 vcc_lo, 43, v5
	s_or_b32 s5, vcc_lo, s5
	s_waitcnt vmcnt(1) lgkmcnt(0)
	v_mul_f32_e32 v123, v10, v11
	v_mul_f32_e32 v11, v9, v11
	s_waitcnt vmcnt(0)
	v_fma_f32 v9, v9, v122, -v123
	v_fmac_f32_e32 v11, v10, v122
	v_add_f32_e32 v8, v8, v9
	v_add_f32_e32 v2, v2, v11
	s_andn2_b32 exec_lo, exec_lo, s5
	s_cbranch_execnz .LBB54_193
; %bb.194:
	s_or_b32 exec_lo, exec_lo, s5
	v_mov_b32_e32 v5, 0
	ds_read_b64 v[5:6], v5 offset:360
	s_waitcnt lgkmcnt(0)
	v_mul_f32_e32 v7, v2, v6
	v_mul_f32_e32 v6, v8, v6
	v_fma_f32 v7, v8, v5, -v7
	v_fmac_f32_e32 v6, v2, v5
	buffer_store_dword v7, off, s[0:3], 0 offset:360
	buffer_store_dword v6, off, s[0:3], 0 offset:364
.LBB54_195:
	s_or_b32 exec_lo, exec_lo, s4
	s_waitcnt_vscnt null, 0x0
	s_barrier
	buffer_gl0_inv
	s_clause 0x1
	buffer_load_dword v5, off, s[0:3], 0 offset:368
	buffer_load_dword v6, off, s[0:3], 0 offset:372
	s_mov_b32 s4, exec_lo
	s_waitcnt vmcnt(0)
	ds_write_b64 v4, v[5:6]
	s_waitcnt lgkmcnt(0)
	s_barrier
	buffer_gl0_inv
	v_cmpx_gt_u32_e32 46, v0
	s_cbranch_execz .LBB54_199
; %bb.196:
	v_add_nc_u32_e32 v5, -1, v0
	v_add_nc_u32_e32 v6, 0x1c0, v3
	v_mov_b32_e32 v7, v3
	v_mov_b32_e32 v2, 0
	;; [unrolled: 1-line block ×3, first 2 shown]
	s_mov_b32 s5, 0
	.p2align	6
.LBB54_197:                             ; =>This Inner Loop Header: Depth=1
	s_clause 0x1
	buffer_load_dword v11, v7, s[0:3], 0 offen offset:4
	buffer_load_dword v122, v7, s[0:3], 0 offen
	ds_read_b64 v[9:10], v6
	v_add_nc_u32_e32 v5, 1, v5
	v_add_nc_u32_e32 v6, 8, v6
	;; [unrolled: 1-line block ×3, first 2 shown]
	v_cmp_lt_u32_e32 vcc_lo, 44, v5
	s_or_b32 s5, vcc_lo, s5
	s_waitcnt vmcnt(1) lgkmcnt(0)
	v_mul_f32_e32 v123, v10, v11
	v_mul_f32_e32 v11, v9, v11
	s_waitcnt vmcnt(0)
	v_fma_f32 v9, v9, v122, -v123
	v_fmac_f32_e32 v11, v10, v122
	v_add_f32_e32 v8, v8, v9
	v_add_f32_e32 v2, v2, v11
	s_andn2_b32 exec_lo, exec_lo, s5
	s_cbranch_execnz .LBB54_197
; %bb.198:
	s_or_b32 exec_lo, exec_lo, s5
	v_mov_b32_e32 v5, 0
	ds_read_b64 v[5:6], v5 offset:368
	s_waitcnt lgkmcnt(0)
	v_mul_f32_e32 v7, v2, v6
	v_mul_f32_e32 v6, v8, v6
	v_fma_f32 v7, v8, v5, -v7
	v_fmac_f32_e32 v6, v2, v5
	buffer_store_dword v7, off, s[0:3], 0 offset:368
	buffer_store_dword v6, off, s[0:3], 0 offset:372
.LBB54_199:
	s_or_b32 exec_lo, exec_lo, s4
	s_waitcnt_vscnt null, 0x0
	s_barrier
	buffer_gl0_inv
	s_clause 0x1
	buffer_load_dword v5, off, s[0:3], 0 offset:376
	buffer_load_dword v6, off, s[0:3], 0 offset:380
	s_mov_b32 s4, exec_lo
	s_waitcnt vmcnt(0)
	ds_write_b64 v4, v[5:6]
	s_waitcnt lgkmcnt(0)
	s_barrier
	buffer_gl0_inv
	v_cmpx_gt_u32_e32 47, v0
	s_cbranch_execz .LBB54_203
; %bb.200:
	v_add_nc_u32_e32 v5, -1, v0
	v_add_nc_u32_e32 v6, 0x1c0, v3
	v_mov_b32_e32 v7, v3
	v_mov_b32_e32 v2, 0
	;; [unrolled: 1-line block ×3, first 2 shown]
	s_mov_b32 s5, 0
	.p2align	6
.LBB54_201:                             ; =>This Inner Loop Header: Depth=1
	s_clause 0x1
	buffer_load_dword v11, v7, s[0:3], 0 offen offset:4
	buffer_load_dword v122, v7, s[0:3], 0 offen
	ds_read_b64 v[9:10], v6
	v_add_nc_u32_e32 v5, 1, v5
	v_add_nc_u32_e32 v6, 8, v6
	v_add_nc_u32_e32 v7, 8, v7
	v_cmp_lt_u32_e32 vcc_lo, 45, v5
	s_or_b32 s5, vcc_lo, s5
	s_waitcnt vmcnt(1) lgkmcnt(0)
	v_mul_f32_e32 v123, v10, v11
	v_mul_f32_e32 v11, v9, v11
	s_waitcnt vmcnt(0)
	v_fma_f32 v9, v9, v122, -v123
	v_fmac_f32_e32 v11, v10, v122
	v_add_f32_e32 v8, v8, v9
	v_add_f32_e32 v2, v2, v11
	s_andn2_b32 exec_lo, exec_lo, s5
	s_cbranch_execnz .LBB54_201
; %bb.202:
	s_or_b32 exec_lo, exec_lo, s5
	v_mov_b32_e32 v5, 0
	ds_read_b64 v[5:6], v5 offset:376
	s_waitcnt lgkmcnt(0)
	v_mul_f32_e32 v7, v2, v6
	v_mul_f32_e32 v6, v8, v6
	v_fma_f32 v7, v8, v5, -v7
	v_fmac_f32_e32 v6, v2, v5
	buffer_store_dword v7, off, s[0:3], 0 offset:376
	buffer_store_dword v6, off, s[0:3], 0 offset:380
.LBB54_203:
	s_or_b32 exec_lo, exec_lo, s4
	s_waitcnt_vscnt null, 0x0
	s_barrier
	buffer_gl0_inv
	s_clause 0x1
	buffer_load_dword v5, off, s[0:3], 0 offset:384
	buffer_load_dword v6, off, s[0:3], 0 offset:388
	s_mov_b32 s4, exec_lo
	s_waitcnt vmcnt(0)
	ds_write_b64 v4, v[5:6]
	s_waitcnt lgkmcnt(0)
	s_barrier
	buffer_gl0_inv
	v_cmpx_gt_u32_e32 48, v0
	s_cbranch_execz .LBB54_207
; %bb.204:
	v_add_nc_u32_e32 v5, -1, v0
	v_add_nc_u32_e32 v6, 0x1c0, v3
	v_mov_b32_e32 v7, v3
	v_mov_b32_e32 v2, 0
	;; [unrolled: 1-line block ×3, first 2 shown]
	s_mov_b32 s5, 0
	.p2align	6
.LBB54_205:                             ; =>This Inner Loop Header: Depth=1
	s_clause 0x1
	buffer_load_dword v11, v7, s[0:3], 0 offen offset:4
	buffer_load_dword v122, v7, s[0:3], 0 offen
	ds_read_b64 v[9:10], v6
	v_add_nc_u32_e32 v5, 1, v5
	v_add_nc_u32_e32 v6, 8, v6
	;; [unrolled: 1-line block ×3, first 2 shown]
	v_cmp_lt_u32_e32 vcc_lo, 46, v5
	s_or_b32 s5, vcc_lo, s5
	s_waitcnt vmcnt(1) lgkmcnt(0)
	v_mul_f32_e32 v123, v10, v11
	v_mul_f32_e32 v11, v9, v11
	s_waitcnt vmcnt(0)
	v_fma_f32 v9, v9, v122, -v123
	v_fmac_f32_e32 v11, v10, v122
	v_add_f32_e32 v8, v8, v9
	v_add_f32_e32 v2, v2, v11
	s_andn2_b32 exec_lo, exec_lo, s5
	s_cbranch_execnz .LBB54_205
; %bb.206:
	s_or_b32 exec_lo, exec_lo, s5
	v_mov_b32_e32 v5, 0
	ds_read_b64 v[5:6], v5 offset:384
	s_waitcnt lgkmcnt(0)
	v_mul_f32_e32 v7, v2, v6
	v_mul_f32_e32 v6, v8, v6
	v_fma_f32 v7, v8, v5, -v7
	v_fmac_f32_e32 v6, v2, v5
	buffer_store_dword v7, off, s[0:3], 0 offset:384
	buffer_store_dword v6, off, s[0:3], 0 offset:388
.LBB54_207:
	s_or_b32 exec_lo, exec_lo, s4
	s_waitcnt_vscnt null, 0x0
	s_barrier
	buffer_gl0_inv
	s_clause 0x1
	buffer_load_dword v5, off, s[0:3], 0 offset:392
	buffer_load_dword v6, off, s[0:3], 0 offset:396
	s_mov_b32 s4, exec_lo
	s_waitcnt vmcnt(0)
	ds_write_b64 v4, v[5:6]
	s_waitcnt lgkmcnt(0)
	s_barrier
	buffer_gl0_inv
	v_cmpx_gt_u32_e32 49, v0
	s_cbranch_execz .LBB54_211
; %bb.208:
	v_add_nc_u32_e32 v5, -1, v0
	v_add_nc_u32_e32 v6, 0x1c0, v3
	v_mov_b32_e32 v7, v3
	v_mov_b32_e32 v2, 0
	v_mov_b32_e32 v8, 0
	s_mov_b32 s5, 0
	.p2align	6
.LBB54_209:                             ; =>This Inner Loop Header: Depth=1
	s_clause 0x1
	buffer_load_dword v11, v7, s[0:3], 0 offen offset:4
	buffer_load_dword v122, v7, s[0:3], 0 offen
	ds_read_b64 v[9:10], v6
	v_add_nc_u32_e32 v5, 1, v5
	v_add_nc_u32_e32 v6, 8, v6
	;; [unrolled: 1-line block ×3, first 2 shown]
	v_cmp_lt_u32_e32 vcc_lo, 47, v5
	s_or_b32 s5, vcc_lo, s5
	s_waitcnt vmcnt(1) lgkmcnt(0)
	v_mul_f32_e32 v123, v10, v11
	v_mul_f32_e32 v11, v9, v11
	s_waitcnt vmcnt(0)
	v_fma_f32 v9, v9, v122, -v123
	v_fmac_f32_e32 v11, v10, v122
	v_add_f32_e32 v8, v8, v9
	v_add_f32_e32 v2, v2, v11
	s_andn2_b32 exec_lo, exec_lo, s5
	s_cbranch_execnz .LBB54_209
; %bb.210:
	s_or_b32 exec_lo, exec_lo, s5
	v_mov_b32_e32 v5, 0
	ds_read_b64 v[5:6], v5 offset:392
	s_waitcnt lgkmcnt(0)
	v_mul_f32_e32 v7, v2, v6
	v_mul_f32_e32 v6, v8, v6
	v_fma_f32 v7, v8, v5, -v7
	v_fmac_f32_e32 v6, v2, v5
	buffer_store_dword v7, off, s[0:3], 0 offset:392
	buffer_store_dword v6, off, s[0:3], 0 offset:396
.LBB54_211:
	s_or_b32 exec_lo, exec_lo, s4
	s_waitcnt_vscnt null, 0x0
	s_barrier
	buffer_gl0_inv
	s_clause 0x1
	buffer_load_dword v5, off, s[0:3], 0 offset:400
	buffer_load_dword v6, off, s[0:3], 0 offset:404
	s_mov_b32 s4, exec_lo
	s_waitcnt vmcnt(0)
	ds_write_b64 v4, v[5:6]
	s_waitcnt lgkmcnt(0)
	s_barrier
	buffer_gl0_inv
	v_cmpx_gt_u32_e32 50, v0
	s_cbranch_execz .LBB54_215
; %bb.212:
	v_add_nc_u32_e32 v5, -1, v0
	v_add_nc_u32_e32 v6, 0x1c0, v3
	v_mov_b32_e32 v7, v3
	v_mov_b32_e32 v2, 0
	;; [unrolled: 1-line block ×3, first 2 shown]
	s_mov_b32 s5, 0
	.p2align	6
.LBB54_213:                             ; =>This Inner Loop Header: Depth=1
	s_clause 0x1
	buffer_load_dword v11, v7, s[0:3], 0 offen offset:4
	buffer_load_dword v122, v7, s[0:3], 0 offen
	ds_read_b64 v[9:10], v6
	v_add_nc_u32_e32 v5, 1, v5
	v_add_nc_u32_e32 v6, 8, v6
	;; [unrolled: 1-line block ×3, first 2 shown]
	v_cmp_lt_u32_e32 vcc_lo, 48, v5
	s_or_b32 s5, vcc_lo, s5
	s_waitcnt vmcnt(1) lgkmcnt(0)
	v_mul_f32_e32 v123, v10, v11
	v_mul_f32_e32 v11, v9, v11
	s_waitcnt vmcnt(0)
	v_fma_f32 v9, v9, v122, -v123
	v_fmac_f32_e32 v11, v10, v122
	v_add_f32_e32 v8, v8, v9
	v_add_f32_e32 v2, v2, v11
	s_andn2_b32 exec_lo, exec_lo, s5
	s_cbranch_execnz .LBB54_213
; %bb.214:
	s_or_b32 exec_lo, exec_lo, s5
	v_mov_b32_e32 v5, 0
	ds_read_b64 v[5:6], v5 offset:400
	s_waitcnt lgkmcnt(0)
	v_mul_f32_e32 v7, v2, v6
	v_mul_f32_e32 v6, v8, v6
	v_fma_f32 v7, v8, v5, -v7
	v_fmac_f32_e32 v6, v2, v5
	buffer_store_dword v7, off, s[0:3], 0 offset:400
	buffer_store_dword v6, off, s[0:3], 0 offset:404
.LBB54_215:
	s_or_b32 exec_lo, exec_lo, s4
	s_waitcnt_vscnt null, 0x0
	s_barrier
	buffer_gl0_inv
	s_clause 0x1
	buffer_load_dword v5, off, s[0:3], 0 offset:408
	buffer_load_dword v6, off, s[0:3], 0 offset:412
	s_mov_b32 s4, exec_lo
	s_waitcnt vmcnt(0)
	ds_write_b64 v4, v[5:6]
	s_waitcnt lgkmcnt(0)
	s_barrier
	buffer_gl0_inv
	v_cmpx_gt_u32_e32 51, v0
	s_cbranch_execz .LBB54_219
; %bb.216:
	v_add_nc_u32_e32 v5, -1, v0
	v_add_nc_u32_e32 v6, 0x1c0, v3
	v_mov_b32_e32 v7, v3
	v_mov_b32_e32 v2, 0
	;; [unrolled: 1-line block ×3, first 2 shown]
	s_mov_b32 s5, 0
	.p2align	6
.LBB54_217:                             ; =>This Inner Loop Header: Depth=1
	s_clause 0x1
	buffer_load_dword v11, v7, s[0:3], 0 offen offset:4
	buffer_load_dword v122, v7, s[0:3], 0 offen
	ds_read_b64 v[9:10], v6
	v_add_nc_u32_e32 v5, 1, v5
	v_add_nc_u32_e32 v6, 8, v6
	;; [unrolled: 1-line block ×3, first 2 shown]
	v_cmp_lt_u32_e32 vcc_lo, 49, v5
	s_or_b32 s5, vcc_lo, s5
	s_waitcnt vmcnt(1) lgkmcnt(0)
	v_mul_f32_e32 v123, v10, v11
	v_mul_f32_e32 v11, v9, v11
	s_waitcnt vmcnt(0)
	v_fma_f32 v9, v9, v122, -v123
	v_fmac_f32_e32 v11, v10, v122
	v_add_f32_e32 v8, v8, v9
	v_add_f32_e32 v2, v2, v11
	s_andn2_b32 exec_lo, exec_lo, s5
	s_cbranch_execnz .LBB54_217
; %bb.218:
	s_or_b32 exec_lo, exec_lo, s5
	v_mov_b32_e32 v5, 0
	ds_read_b64 v[5:6], v5 offset:408
	s_waitcnt lgkmcnt(0)
	v_mul_f32_e32 v7, v2, v6
	v_mul_f32_e32 v6, v8, v6
	v_fma_f32 v7, v8, v5, -v7
	v_fmac_f32_e32 v6, v2, v5
	buffer_store_dword v7, off, s[0:3], 0 offset:408
	buffer_store_dword v6, off, s[0:3], 0 offset:412
.LBB54_219:
	s_or_b32 exec_lo, exec_lo, s4
	s_waitcnt_vscnt null, 0x0
	s_barrier
	buffer_gl0_inv
	s_clause 0x1
	buffer_load_dword v5, off, s[0:3], 0 offset:416
	buffer_load_dword v6, off, s[0:3], 0 offset:420
	s_mov_b32 s4, exec_lo
	s_waitcnt vmcnt(0)
	ds_write_b64 v4, v[5:6]
	s_waitcnt lgkmcnt(0)
	s_barrier
	buffer_gl0_inv
	v_cmpx_gt_u32_e32 52, v0
	s_cbranch_execz .LBB54_223
; %bb.220:
	v_add_nc_u32_e32 v5, -1, v0
	v_add_nc_u32_e32 v6, 0x1c0, v3
	v_mov_b32_e32 v7, v3
	v_mov_b32_e32 v2, 0
	;; [unrolled: 1-line block ×3, first 2 shown]
	s_mov_b32 s5, 0
	.p2align	6
.LBB54_221:                             ; =>This Inner Loop Header: Depth=1
	s_clause 0x1
	buffer_load_dword v11, v7, s[0:3], 0 offen offset:4
	buffer_load_dword v122, v7, s[0:3], 0 offen
	ds_read_b64 v[9:10], v6
	v_add_nc_u32_e32 v5, 1, v5
	v_add_nc_u32_e32 v6, 8, v6
	;; [unrolled: 1-line block ×3, first 2 shown]
	v_cmp_lt_u32_e32 vcc_lo, 50, v5
	s_or_b32 s5, vcc_lo, s5
	s_waitcnt vmcnt(1) lgkmcnt(0)
	v_mul_f32_e32 v123, v10, v11
	v_mul_f32_e32 v11, v9, v11
	s_waitcnt vmcnt(0)
	v_fma_f32 v9, v9, v122, -v123
	v_fmac_f32_e32 v11, v10, v122
	v_add_f32_e32 v8, v8, v9
	v_add_f32_e32 v2, v2, v11
	s_andn2_b32 exec_lo, exec_lo, s5
	s_cbranch_execnz .LBB54_221
; %bb.222:
	s_or_b32 exec_lo, exec_lo, s5
	v_mov_b32_e32 v5, 0
	ds_read_b64 v[5:6], v5 offset:416
	s_waitcnt lgkmcnt(0)
	v_mul_f32_e32 v7, v2, v6
	v_mul_f32_e32 v6, v8, v6
	v_fma_f32 v7, v8, v5, -v7
	v_fmac_f32_e32 v6, v2, v5
	buffer_store_dword v7, off, s[0:3], 0 offset:416
	buffer_store_dword v6, off, s[0:3], 0 offset:420
.LBB54_223:
	s_or_b32 exec_lo, exec_lo, s4
	s_waitcnt_vscnt null, 0x0
	s_barrier
	buffer_gl0_inv
	s_clause 0x1
	buffer_load_dword v5, off, s[0:3], 0 offset:424
	buffer_load_dword v6, off, s[0:3], 0 offset:428
	s_mov_b32 s4, exec_lo
	s_waitcnt vmcnt(0)
	ds_write_b64 v4, v[5:6]
	s_waitcnt lgkmcnt(0)
	s_barrier
	buffer_gl0_inv
	v_cmpx_gt_u32_e32 53, v0
	s_cbranch_execz .LBB54_227
; %bb.224:
	v_add_nc_u32_e32 v5, -1, v0
	v_add_nc_u32_e32 v6, 0x1c0, v3
	v_mov_b32_e32 v7, v3
	v_mov_b32_e32 v2, 0
	;; [unrolled: 1-line block ×3, first 2 shown]
	s_mov_b32 s5, 0
	.p2align	6
.LBB54_225:                             ; =>This Inner Loop Header: Depth=1
	s_clause 0x1
	buffer_load_dword v11, v7, s[0:3], 0 offen offset:4
	buffer_load_dword v122, v7, s[0:3], 0 offen
	ds_read_b64 v[9:10], v6
	v_add_nc_u32_e32 v5, 1, v5
	v_add_nc_u32_e32 v6, 8, v6
	;; [unrolled: 1-line block ×3, first 2 shown]
	v_cmp_lt_u32_e32 vcc_lo, 51, v5
	s_or_b32 s5, vcc_lo, s5
	s_waitcnt vmcnt(1) lgkmcnt(0)
	v_mul_f32_e32 v123, v10, v11
	v_mul_f32_e32 v11, v9, v11
	s_waitcnt vmcnt(0)
	v_fma_f32 v9, v9, v122, -v123
	v_fmac_f32_e32 v11, v10, v122
	v_add_f32_e32 v8, v8, v9
	v_add_f32_e32 v2, v2, v11
	s_andn2_b32 exec_lo, exec_lo, s5
	s_cbranch_execnz .LBB54_225
; %bb.226:
	s_or_b32 exec_lo, exec_lo, s5
	v_mov_b32_e32 v5, 0
	ds_read_b64 v[5:6], v5 offset:424
	s_waitcnt lgkmcnt(0)
	v_mul_f32_e32 v7, v2, v6
	v_mul_f32_e32 v6, v8, v6
	v_fma_f32 v7, v8, v5, -v7
	v_fmac_f32_e32 v6, v2, v5
	buffer_store_dword v7, off, s[0:3], 0 offset:424
	buffer_store_dword v6, off, s[0:3], 0 offset:428
.LBB54_227:
	s_or_b32 exec_lo, exec_lo, s4
	s_waitcnt_vscnt null, 0x0
	s_barrier
	buffer_gl0_inv
	s_clause 0x1
	buffer_load_dword v5, off, s[0:3], 0 offset:432
	buffer_load_dword v6, off, s[0:3], 0 offset:436
	s_mov_b32 s4, exec_lo
	s_waitcnt vmcnt(0)
	ds_write_b64 v4, v[5:6]
	s_waitcnt lgkmcnt(0)
	s_barrier
	buffer_gl0_inv
	v_cmpx_ne_u32_e32 54, v0
	s_cbranch_execz .LBB54_231
; %bb.228:
	v_mov_b32_e32 v2, 0
	v_mov_b32_e32 v5, 0
	s_mov_b32 s5, 0
	.p2align	6
.LBB54_229:                             ; =>This Inner Loop Header: Depth=1
	s_clause 0x1
	buffer_load_dword v8, v3, s[0:3], 0 offen offset:4
	buffer_load_dword v9, v3, s[0:3], 0 offen
	ds_read_b64 v[6:7], v4
	v_add_nc_u32_e32 v1, 1, v1
	v_add_nc_u32_e32 v4, 8, v4
	;; [unrolled: 1-line block ×3, first 2 shown]
	v_cmp_lt_u32_e32 vcc_lo, 52, v1
	s_or_b32 s5, vcc_lo, s5
	s_waitcnt vmcnt(1) lgkmcnt(0)
	v_mul_f32_e32 v10, v7, v8
	v_mul_f32_e32 v8, v6, v8
	s_waitcnt vmcnt(0)
	v_fma_f32 v6, v6, v9, -v10
	v_fmac_f32_e32 v8, v7, v9
	v_add_f32_e32 v5, v5, v6
	v_add_f32_e32 v2, v2, v8
	s_andn2_b32 exec_lo, exec_lo, s5
	s_cbranch_execnz .LBB54_229
; %bb.230:
	s_or_b32 exec_lo, exec_lo, s5
	v_mov_b32_e32 v1, 0
	ds_read_b64 v[3:4], v1 offset:432
	s_waitcnt lgkmcnt(0)
	v_mul_f32_e32 v1, v2, v4
	v_mul_f32_e32 v4, v5, v4
	v_fma_f32 v1, v5, v3, -v1
	v_fmac_f32_e32 v4, v2, v3
	buffer_store_dword v1, off, s[0:3], 0 offset:432
	buffer_store_dword v4, off, s[0:3], 0 offset:436
.LBB54_231:
	s_or_b32 exec_lo, exec_lo, s4
	s_mov_b32 s5, -1
	s_waitcnt_vscnt null, 0x0
	s_barrier
	buffer_gl0_inv
.LBB54_232:
	s_and_b32 vcc_lo, exec_lo, s5
	s_cbranch_vccz .LBB54_234
; %bb.233:
	s_lshl_b64 s[4:5], s[6:7], 2
	v_mov_b32_e32 v1, 0
	s_add_u32 s4, s10, s4
	s_addc_u32 s5, s11, s5
	global_load_dword v1, v1, s[4:5]
	s_waitcnt vmcnt(0)
	v_cmp_ne_u32_e32 vcc_lo, 0, v1
	s_cbranch_vccz .LBB54_235
.LBB54_234:
	s_endpgm
.LBB54_235:
	v_lshl_add_u32 v9, v0, 3, 0x1c0
	s_mov_b32 s4, exec_lo
	v_cmpx_eq_u32_e32 54, v0
	s_cbranch_execz .LBB54_237
; %bb.236:
	s_clause 0x1
	buffer_load_dword v1, off, s[0:3], 0 offset:424
	buffer_load_dword v2, off, s[0:3], 0 offset:428
	v_mov_b32_e32 v3, 0
	buffer_store_dword v3, off, s[0:3], 0 offset:424
	buffer_store_dword v3, off, s[0:3], 0 offset:428
	s_waitcnt vmcnt(0)
	ds_write_b64 v9, v[1:2]
.LBB54_237:
	s_or_b32 exec_lo, exec_lo, s4
	s_waitcnt lgkmcnt(0)
	s_waitcnt_vscnt null, 0x0
	s_barrier
	buffer_gl0_inv
	s_clause 0x3
	buffer_load_dword v4, off, s[0:3], 0 offset:436
	buffer_load_dword v5, off, s[0:3], 0 offset:432
	;; [unrolled: 1-line block ×4, first 2 shown]
	v_mov_b32_e32 v1, 0
	s_mov_b32 s4, exec_lo
	ds_read_b64 v[2:3], v1 offset:880
	s_waitcnt vmcnt(3) lgkmcnt(0)
	v_mul_f32_e32 v8, v3, v4
	v_mul_f32_e32 v4, v2, v4
	s_waitcnt vmcnt(2)
	v_fma_f32 v2, v2, v5, -v8
	v_fmac_f32_e32 v4, v3, v5
	v_add_f32_e32 v2, 0, v2
	v_add_f32_e32 v3, 0, v4
	s_waitcnt vmcnt(1)
	v_sub_f32_e32 v2, v6, v2
	s_waitcnt vmcnt(0)
	v_sub_f32_e32 v3, v7, v3
	buffer_store_dword v2, off, s[0:3], 0 offset:424
	buffer_store_dword v3, off, s[0:3], 0 offset:428
	v_cmpx_lt_u32_e32 52, v0
	s_cbranch_execz .LBB54_239
; %bb.238:
	s_clause 0x1
	buffer_load_dword v2, off, s[0:3], 0 offset:416
	buffer_load_dword v3, off, s[0:3], 0 offset:420
	buffer_store_dword v1, off, s[0:3], 0 offset:416
	buffer_store_dword v1, off, s[0:3], 0 offset:420
	s_waitcnt vmcnt(0)
	ds_write_b64 v9, v[2:3]
.LBB54_239:
	s_or_b32 exec_lo, exec_lo, s4
	s_waitcnt lgkmcnt(0)
	s_waitcnt_vscnt null, 0x0
	s_barrier
	buffer_gl0_inv
	s_clause 0x5
	buffer_load_dword v5, off, s[0:3], 0 offset:428
	buffer_load_dword v6, off, s[0:3], 0 offset:436
	;; [unrolled: 1-line block ×6, first 2 shown]
	ds_read2_b64 v[1:4], v1 offset0:109 offset1:110
	s_mov_b32 s4, exec_lo
	s_waitcnt vmcnt(5) lgkmcnt(0)
	v_mul_f32_e32 v122, v2, v5
	v_mul_f32_e32 v5, v1, v5
	s_waitcnt vmcnt(4)
	v_mul_f32_e32 v123, v3, v6
	v_mul_f32_e32 v6, v4, v6
	s_waitcnt vmcnt(3)
	v_fma_f32 v1, v1, v7, -v122
	v_fmac_f32_e32 v5, v2, v7
	s_waitcnt vmcnt(2)
	v_fmac_f32_e32 v123, v4, v8
	v_fma_f32 v2, v3, v8, -v6
	v_add_f32_e32 v1, 0, v1
	v_add_f32_e32 v3, 0, v5
	;; [unrolled: 1-line block ×4, first 2 shown]
	s_waitcnt vmcnt(1)
	v_sub_f32_e32 v1, v10, v1
	s_waitcnt vmcnt(0)
	v_sub_f32_e32 v2, v11, v2
	buffer_store_dword v1, off, s[0:3], 0 offset:416
	buffer_store_dword v2, off, s[0:3], 0 offset:420
	v_cmpx_lt_u32_e32 51, v0
	s_cbranch_execz .LBB54_241
; %bb.240:
	s_clause 0x1
	buffer_load_dword v1, off, s[0:3], 0 offset:408
	buffer_load_dword v2, off, s[0:3], 0 offset:412
	v_mov_b32_e32 v3, 0
	buffer_store_dword v3, off, s[0:3], 0 offset:408
	buffer_store_dword v3, off, s[0:3], 0 offset:412
	s_waitcnt vmcnt(0)
	ds_write_b64 v9, v[1:2]
.LBB54_241:
	s_or_b32 exec_lo, exec_lo, s4
	s_waitcnt lgkmcnt(0)
	s_waitcnt_vscnt null, 0x0
	s_barrier
	buffer_gl0_inv
	s_clause 0x7
	buffer_load_dword v8, off, s[0:3], 0 offset:420
	buffer_load_dword v10, off, s[0:3], 0 offset:428
	;; [unrolled: 1-line block ×8, first 2 shown]
	v_mov_b32_e32 v1, 0
	ds_read_b128 v[2:5], v1 offset:864
	ds_read_b64 v[6:7], v1 offset:880
	s_mov_b32 s4, exec_lo
	s_waitcnt vmcnt(7) lgkmcnt(1)
	v_mul_f32_e32 v127, v3, v8
	v_mul_f32_e32 v8, v2, v8
	s_waitcnt vmcnt(6)
	v_mul_f32_e32 v128, v4, v10
	v_mul_f32_e32 v10, v5, v10
	s_waitcnt vmcnt(5) lgkmcnt(0)
	v_mul_f32_e32 v129, v6, v11
	s_waitcnt vmcnt(4)
	v_fma_f32 v2, v2, v122, -v127
	v_fmac_f32_e32 v8, v3, v122
	v_mul_f32_e32 v3, v7, v11
	s_waitcnt vmcnt(3)
	v_fma_f32 v4, v4, v123, -v10
	v_fmac_f32_e32 v128, v5, v123
	v_add_f32_e32 v2, 0, v2
	v_add_f32_e32 v5, 0, v8
	s_waitcnt vmcnt(2)
	v_fma_f32 v3, v6, v124, -v3
	v_fmac_f32_e32 v129, v7, v124
	v_add_f32_e32 v2, v2, v4
	v_add_f32_e32 v4, v5, v128
	v_add_f32_e32 v2, v2, v3
	v_add_f32_e32 v3, v4, v129
	s_waitcnt vmcnt(1)
	v_sub_f32_e32 v2, v125, v2
	s_waitcnt vmcnt(0)
	v_sub_f32_e32 v3, v126, v3
	buffer_store_dword v2, off, s[0:3], 0 offset:408
	buffer_store_dword v3, off, s[0:3], 0 offset:412
	v_cmpx_lt_u32_e32 50, v0
	s_cbranch_execz .LBB54_243
; %bb.242:
	s_clause 0x1
	buffer_load_dword v2, off, s[0:3], 0 offset:400
	buffer_load_dword v3, off, s[0:3], 0 offset:404
	buffer_store_dword v1, off, s[0:3], 0 offset:400
	buffer_store_dword v1, off, s[0:3], 0 offset:404
	s_waitcnt vmcnt(0)
	ds_write_b64 v9, v[2:3]
.LBB54_243:
	s_or_b32 exec_lo, exec_lo, s4
	s_waitcnt lgkmcnt(0)
	s_waitcnt_vscnt null, 0x0
	s_barrier
	buffer_gl0_inv
	s_clause 0x9
	buffer_load_dword v6, off, s[0:3], 0 offset:412
	buffer_load_dword v7, off, s[0:3], 0 offset:420
	buffer_load_dword v8, off, s[0:3], 0 offset:428
	buffer_load_dword v10, off, s[0:3], 0 offset:436
	buffer_load_dword v11, off, s[0:3], 0 offset:408
	buffer_load_dword v126, off, s[0:3], 0 offset:416
	buffer_load_dword v127, off, s[0:3], 0 offset:424
	buffer_load_dword v128, off, s[0:3], 0 offset:432
	buffer_load_dword v129, off, s[0:3], 0 offset:400
	buffer_load_dword v130, off, s[0:3], 0 offset:404
	ds_read2_b64 v[2:5], v1 offset0:107 offset1:108
	ds_read2_b64 v[122:125], v1 offset0:109 offset1:110
	s_mov_b32 s4, exec_lo
	s_waitcnt vmcnt(9) lgkmcnt(1)
	v_mul_f32_e32 v1, v2, v6
	v_mul_f32_e32 v6, v3, v6
	s_waitcnt vmcnt(8)
	v_mul_f32_e32 v131, v4, v7
	v_mul_f32_e32 v7, v5, v7
	s_waitcnt vmcnt(7) lgkmcnt(0)
	v_mul_f32_e32 v132, v122, v8
	s_waitcnt vmcnt(5)
	v_fmac_f32_e32 v1, v3, v11
	v_fma_f32 v2, v2, v11, -v6
	v_mul_f32_e32 v3, v123, v8
	s_waitcnt vmcnt(4)
	v_fma_f32 v4, v4, v126, -v7
	v_fmac_f32_e32 v131, v5, v126
	v_add_f32_e32 v1, 0, v1
	v_add_f32_e32 v2, 0, v2
	v_mul_f32_e32 v5, v125, v10
	s_waitcnt vmcnt(3)
	v_fma_f32 v3, v122, v127, -v3
	v_mul_f32_e32 v133, v124, v10
	v_fmac_f32_e32 v132, v123, v127
	v_add_f32_e32 v2, v2, v4
	v_add_f32_e32 v1, v1, v131
	s_waitcnt vmcnt(2)
	v_fma_f32 v4, v124, v128, -v5
	v_fmac_f32_e32 v133, v125, v128
	v_add_f32_e32 v2, v2, v3
	v_add_f32_e32 v1, v1, v132
	;; [unrolled: 1-line block ×4, first 2 shown]
	s_waitcnt vmcnt(1)
	v_sub_f32_e32 v2, v129, v2
	s_waitcnt vmcnt(0)
	v_sub_f32_e32 v1, v130, v1
	buffer_store_dword v2, off, s[0:3], 0 offset:400
	buffer_store_dword v1, off, s[0:3], 0 offset:404
	v_cmpx_lt_u32_e32 49, v0
	s_cbranch_execz .LBB54_245
; %bb.244:
	s_clause 0x1
	buffer_load_dword v1, off, s[0:3], 0 offset:392
	buffer_load_dword v2, off, s[0:3], 0 offset:396
	v_mov_b32_e32 v3, 0
	buffer_store_dword v3, off, s[0:3], 0 offset:392
	buffer_store_dword v3, off, s[0:3], 0 offset:396
	s_waitcnt vmcnt(0)
	ds_write_b64 v9, v[1:2]
.LBB54_245:
	s_or_b32 exec_lo, exec_lo, s4
	s_waitcnt lgkmcnt(0)
	s_waitcnt_vscnt null, 0x0
	s_barrier
	buffer_gl0_inv
	s_clause 0xb
	buffer_load_dword v8, off, s[0:3], 0 offset:404
	buffer_load_dword v10, off, s[0:3], 0 offset:412
	;; [unrolled: 1-line block ×12, first 2 shown]
	v_mov_b32_e32 v1, 0
	ds_read_b128 v[2:5], v1 offset:848
	ds_read_b128 v[122:125], v1 offset:864
	ds_read_b64 v[6:7], v1 offset:880
	s_mov_b32 s4, exec_lo
	s_waitcnt vmcnt(11) lgkmcnt(2)
	v_mul_f32_e32 v135, v2, v8
	v_mul_f32_e32 v8, v3, v8
	s_waitcnt vmcnt(10)
	v_mul_f32_e32 v136, v4, v10
	v_mul_f32_e32 v10, v5, v10
	s_waitcnt vmcnt(9) lgkmcnt(1)
	v_mul_f32_e32 v137, v122, v11
	s_waitcnt vmcnt(6)
	v_fmac_f32_e32 v135, v3, v128
	v_fma_f32 v2, v2, v128, -v8
	v_mul_f32_e32 v3, v123, v11
	s_waitcnt vmcnt(5)
	v_fma_f32 v4, v4, v129, -v10
	v_fmac_f32_e32 v136, v5, v129
	v_add_f32_e32 v5, 0, v135
	v_add_f32_e32 v2, 0, v2
	v_mul_f32_e32 v8, v125, v126
	s_waitcnt vmcnt(4)
	v_fma_f32 v3, v122, v130, -v3
	v_mul_f32_e32 v138, v124, v126
	v_fmac_f32_e32 v137, v123, v130
	v_add_f32_e32 v2, v2, v4
	v_add_f32_e32 v4, v5, v136
	s_waitcnt lgkmcnt(0)
	v_mul_f32_e32 v5, v7, v127
	s_waitcnt vmcnt(3)
	v_fma_f32 v8, v124, v131, -v8
	v_mul_f32_e32 v139, v6, v127
	v_add_f32_e32 v2, v2, v3
	v_fmac_f32_e32 v138, v125, v131
	v_add_f32_e32 v3, v4, v137
	s_waitcnt vmcnt(2)
	v_fma_f32 v4, v6, v132, -v5
	v_fmac_f32_e32 v139, v7, v132
	v_add_f32_e32 v2, v2, v8
	v_add_f32_e32 v3, v3, v138
	;; [unrolled: 1-line block ×4, first 2 shown]
	s_waitcnt vmcnt(1)
	v_sub_f32_e32 v2, v133, v2
	s_waitcnt vmcnt(0)
	v_sub_f32_e32 v3, v134, v3
	buffer_store_dword v2, off, s[0:3], 0 offset:392
	buffer_store_dword v3, off, s[0:3], 0 offset:396
	v_cmpx_lt_u32_e32 48, v0
	s_cbranch_execz .LBB54_247
; %bb.246:
	s_clause 0x1
	buffer_load_dword v2, off, s[0:3], 0 offset:384
	buffer_load_dword v3, off, s[0:3], 0 offset:388
	buffer_store_dword v1, off, s[0:3], 0 offset:384
	buffer_store_dword v1, off, s[0:3], 0 offset:388
	s_waitcnt vmcnt(0)
	ds_write_b64 v9, v[2:3]
.LBB54_247:
	s_or_b32 exec_lo, exec_lo, s4
	s_waitcnt lgkmcnt(0)
	s_waitcnt_vscnt null, 0x0
	s_barrier
	buffer_gl0_inv
	s_clause 0xd
	buffer_load_dword v6, off, s[0:3], 0 offset:396
	buffer_load_dword v7, off, s[0:3], 0 offset:404
	;; [unrolled: 1-line block ×14, first 2 shown]
	ds_read2_b64 v[2:5], v1 offset0:105 offset1:106
	ds_read2_b64 v[122:125], v1 offset0:107 offset1:108
	;; [unrolled: 1-line block ×3, first 2 shown]
	s_mov_b32 s4, exec_lo
	s_waitcnt vmcnt(13) lgkmcnt(2)
	v_mul_f32_e32 v1, v2, v6
	v_mul_f32_e32 v6, v3, v6
	s_waitcnt vmcnt(12)
	v_mul_f32_e32 v139, v4, v7
	v_mul_f32_e32 v7, v5, v7
	s_waitcnt vmcnt(11) lgkmcnt(1)
	v_mul_f32_e32 v140, v122, v8
	s_waitcnt vmcnt(10)
	v_mul_f32_e32 v141, v124, v10
	s_waitcnt vmcnt(7)
	v_fma_f32 v2, v2, v131, -v6
	v_fmac_f32_e32 v1, v3, v131
	v_mul_f32_e32 v3, v123, v8
	s_waitcnt vmcnt(6)
	v_fma_f32 v4, v4, v132, -v7
	v_fmac_f32_e32 v139, v5, v132
	v_add_f32_e32 v2, 0, v2
	v_add_f32_e32 v1, 0, v1
	v_mul_f32_e32 v5, v125, v10
	s_waitcnt vmcnt(5)
	v_fma_f32 v3, v122, v133, -v3
	v_fmac_f32_e32 v140, v123, v133
	v_add_f32_e32 v2, v2, v4
	v_add_f32_e32 v1, v1, v139
	s_waitcnt lgkmcnt(0)
	v_mul_f32_e32 v4, v127, v11
	s_waitcnt vmcnt(4)
	v_fma_f32 v5, v124, v134, -v5
	v_mul_f32_e32 v142, v126, v11
	v_add_f32_e32 v2, v2, v3
	v_fmac_f32_e32 v141, v125, v134
	v_add_f32_e32 v1, v1, v140
	v_mul_f32_e32 v3, v129, v130
	s_waitcnt vmcnt(3)
	v_fma_f32 v4, v126, v135, -v4
	v_add_f32_e32 v2, v2, v5
	v_mul_f32_e32 v143, v128, v130
	v_fmac_f32_e32 v142, v127, v135
	v_add_f32_e32 v1, v1, v141
	s_waitcnt vmcnt(2)
	v_fma_f32 v3, v128, v136, -v3
	v_add_f32_e32 v2, v2, v4
	v_fmac_f32_e32 v143, v129, v136
	v_add_f32_e32 v1, v1, v142
	v_add_f32_e32 v2, v2, v3
	;; [unrolled: 1-line block ×3, first 2 shown]
	s_waitcnt vmcnt(1)
	v_sub_f32_e32 v2, v137, v2
	s_waitcnt vmcnt(0)
	v_sub_f32_e32 v1, v138, v1
	buffer_store_dword v2, off, s[0:3], 0 offset:384
	buffer_store_dword v1, off, s[0:3], 0 offset:388
	v_cmpx_lt_u32_e32 47, v0
	s_cbranch_execz .LBB54_249
; %bb.248:
	s_clause 0x1
	buffer_load_dword v1, off, s[0:3], 0 offset:376
	buffer_load_dword v2, off, s[0:3], 0 offset:380
	v_mov_b32_e32 v3, 0
	buffer_store_dword v3, off, s[0:3], 0 offset:376
	buffer_store_dword v3, off, s[0:3], 0 offset:380
	s_waitcnt vmcnt(0)
	ds_write_b64 v9, v[1:2]
.LBB54_249:
	s_or_b32 exec_lo, exec_lo, s4
	s_waitcnt lgkmcnt(0)
	s_waitcnt_vscnt null, 0x0
	s_barrier
	buffer_gl0_inv
	s_clause 0xf
	buffer_load_dword v8, off, s[0:3], 0 offset:388
	buffer_load_dword v10, off, s[0:3], 0 offset:396
	;; [unrolled: 1-line block ×16, first 2 shown]
	v_mov_b32_e32 v1, 0
	ds_read_b128 v[2:5], v1 offset:832
	ds_read_b128 v[122:125], v1 offset:848
	;; [unrolled: 1-line block ×3, first 2 shown]
	ds_read_b64 v[6:7], v1 offset:880
	s_mov_b32 s4, exec_lo
	s_waitcnt vmcnt(15) lgkmcnt(3)
	v_mul_f32_e32 v143, v2, v8
	v_mul_f32_e32 v8, v3, v8
	s_waitcnt vmcnt(14)
	v_mul_f32_e32 v144, v4, v10
	v_mul_f32_e32 v10, v5, v10
	s_waitcnt vmcnt(13) lgkmcnt(2)
	v_mul_f32_e32 v145, v122, v11
	s_waitcnt vmcnt(12)
	v_mul_f32_e32 v146, v124, v130
	s_waitcnt vmcnt(11) lgkmcnt(1)
	v_mul_f32_e32 v147, v126, v131
	s_waitcnt vmcnt(8)
	v_fma_f32 v2, v2, v134, -v8
	v_fmac_f32_e32 v143, v3, v134
	v_mul_f32_e32 v3, v123, v11
	s_waitcnt vmcnt(7)
	v_fma_f32 v4, v4, v135, -v10
	v_fmac_f32_e32 v144, v5, v135
	v_add_f32_e32 v2, 0, v2
	v_add_f32_e32 v5, 0, v143
	v_mul_f32_e32 v8, v125, v130
	s_waitcnt vmcnt(6)
	v_fma_f32 v3, v122, v136, -v3
	v_fmac_f32_e32 v145, v123, v136
	v_add_f32_e32 v2, v2, v4
	v_add_f32_e32 v4, v5, v144
	v_mul_f32_e32 v5, v127, v131
	s_waitcnt vmcnt(5)
	v_fma_f32 v8, v124, v137, -v8
	v_fmac_f32_e32 v146, v125, v137
	v_add_f32_e32 v2, v2, v3
	v_add_f32_e32 v3, v4, v145
	v_mul_f32_e32 v4, v129, v132
	s_waitcnt vmcnt(4)
	v_fma_f32 v5, v126, v138, -v5
	v_mul_f32_e32 v148, v128, v132
	v_add_f32_e32 v2, v2, v8
	v_fmac_f32_e32 v147, v127, v138
	v_add_f32_e32 v3, v3, v146
	s_waitcnt lgkmcnt(0)
	v_mul_f32_e32 v8, v7, v133
	s_waitcnt vmcnt(3)
	v_fma_f32 v4, v128, v139, -v4
	v_add_f32_e32 v2, v2, v5
	v_mul_f32_e32 v149, v6, v133
	v_fmac_f32_e32 v148, v129, v139
	v_add_f32_e32 v3, v3, v147
	s_waitcnt vmcnt(2)
	v_fma_f32 v5, v6, v140, -v8
	v_add_f32_e32 v2, v2, v4
	v_fmac_f32_e32 v149, v7, v140
	v_add_f32_e32 v3, v3, v148
	v_add_f32_e32 v2, v2, v5
	;; [unrolled: 1-line block ×3, first 2 shown]
	s_waitcnt vmcnt(1)
	v_sub_f32_e32 v2, v141, v2
	s_waitcnt vmcnt(0)
	v_sub_f32_e32 v3, v142, v3
	buffer_store_dword v2, off, s[0:3], 0 offset:376
	buffer_store_dword v3, off, s[0:3], 0 offset:380
	v_cmpx_lt_u32_e32 46, v0
	s_cbranch_execz .LBB54_251
; %bb.250:
	s_clause 0x1
	buffer_load_dword v2, off, s[0:3], 0 offset:368
	buffer_load_dword v3, off, s[0:3], 0 offset:372
	buffer_store_dword v1, off, s[0:3], 0 offset:368
	buffer_store_dword v1, off, s[0:3], 0 offset:372
	s_waitcnt vmcnt(0)
	ds_write_b64 v9, v[2:3]
.LBB54_251:
	s_or_b32 exec_lo, exec_lo, s4
	s_waitcnt lgkmcnt(0)
	s_waitcnt_vscnt null, 0x0
	s_barrier
	buffer_gl0_inv
	s_clause 0x11
	buffer_load_dword v6, off, s[0:3], 0 offset:380
	buffer_load_dword v7, off, s[0:3], 0 offset:388
	;; [unrolled: 1-line block ×18, first 2 shown]
	ds_read2_b64 v[2:5], v1 offset0:103 offset1:104
	ds_read2_b64 v[122:125], v1 offset0:105 offset1:106
	;; [unrolled: 1-line block ×4, first 2 shown]
	s_mov_b32 s4, exec_lo
	s_waitcnt vmcnt(17) lgkmcnt(3)
	v_mul_f32_e32 v1, v2, v6
	v_mul_f32_e32 v6, v3, v6
	s_waitcnt vmcnt(16)
	v_mul_f32_e32 v147, v4, v7
	v_mul_f32_e32 v7, v5, v7
	s_waitcnt vmcnt(15) lgkmcnt(2)
	v_mul_f32_e32 v148, v122, v8
	s_waitcnt vmcnt(14)
	v_mul_f32_e32 v149, v124, v10
	s_waitcnt vmcnt(13) lgkmcnt(1)
	v_mul_f32_e32 v150, v126, v11
	s_waitcnt vmcnt(12)
	v_mul_f32_e32 v151, v128, v134
	s_waitcnt vmcnt(9)
	v_fma_f32 v2, v2, v137, -v6
	v_fmac_f32_e32 v1, v3, v137
	v_mul_f32_e32 v3, v123, v8
	s_waitcnt vmcnt(8)
	v_fma_f32 v4, v4, v138, -v7
	v_fmac_f32_e32 v147, v5, v138
	v_add_f32_e32 v2, 0, v2
	v_add_f32_e32 v1, 0, v1
	v_mul_f32_e32 v5, v125, v10
	s_waitcnt vmcnt(7)
	v_fma_f32 v3, v122, v139, -v3
	v_fmac_f32_e32 v148, v123, v139
	v_add_f32_e32 v2, v2, v4
	v_add_f32_e32 v1, v1, v147
	;; [unrolled: 6-line block ×4, first 2 shown]
	s_waitcnt lgkmcnt(0)
	v_mul_f32_e32 v5, v131, v135
	s_waitcnt vmcnt(4)
	v_fma_f32 v3, v128, v142, -v3
	v_mul_f32_e32 v152, v130, v135
	v_add_f32_e32 v2, v2, v4
	v_fmac_f32_e32 v151, v129, v142
	v_add_f32_e32 v1, v1, v150
	v_mul_f32_e32 v4, v133, v136
	s_waitcnt vmcnt(3)
	v_fma_f32 v5, v130, v143, -v5
	v_add_f32_e32 v2, v2, v3
	v_mul_f32_e32 v153, v132, v136
	v_fmac_f32_e32 v152, v131, v143
	v_add_f32_e32 v1, v1, v151
	s_waitcnt vmcnt(2)
	v_fma_f32 v3, v132, v144, -v4
	v_add_f32_e32 v2, v2, v5
	v_fmac_f32_e32 v153, v133, v144
	v_add_f32_e32 v1, v1, v152
	v_add_f32_e32 v2, v2, v3
	;; [unrolled: 1-line block ×3, first 2 shown]
	s_waitcnt vmcnt(1)
	v_sub_f32_e32 v2, v145, v2
	s_waitcnt vmcnt(0)
	v_sub_f32_e32 v1, v146, v1
	buffer_store_dword v2, off, s[0:3], 0 offset:368
	buffer_store_dword v1, off, s[0:3], 0 offset:372
	v_cmpx_lt_u32_e32 45, v0
	s_cbranch_execz .LBB54_253
; %bb.252:
	s_clause 0x1
	buffer_load_dword v1, off, s[0:3], 0 offset:360
	buffer_load_dword v2, off, s[0:3], 0 offset:364
	v_mov_b32_e32 v3, 0
	buffer_store_dword v3, off, s[0:3], 0 offset:360
	buffer_store_dword v3, off, s[0:3], 0 offset:364
	s_waitcnt vmcnt(0)
	ds_write_b64 v9, v[1:2]
.LBB54_253:
	s_or_b32 exec_lo, exec_lo, s4
	s_waitcnt lgkmcnt(0)
	s_waitcnt_vscnt null, 0x0
	s_barrier
	buffer_gl0_inv
	s_clause 0x13
	buffer_load_dword v8, off, s[0:3], 0 offset:372
	buffer_load_dword v10, off, s[0:3], 0 offset:380
	;; [unrolled: 1-line block ×20, first 2 shown]
	v_mov_b32_e32 v1, 0
	ds_read_b128 v[2:5], v1 offset:816
	ds_read_b128 v[122:125], v1 offset:832
	;; [unrolled: 1-line block ×4, first 2 shown]
	ds_read_b64 v[6:7], v1 offset:880
	s_mov_b32 s4, exec_lo
	s_waitcnt vmcnt(19) lgkmcnt(4)
	v_mul_f32_e32 v151, v2, v8
	v_mul_f32_e32 v8, v3, v8
	s_waitcnt vmcnt(18)
	v_mul_f32_e32 v152, v4, v10
	v_mul_f32_e32 v10, v5, v10
	s_waitcnt vmcnt(17) lgkmcnt(3)
	v_mul_f32_e32 v153, v122, v11
	s_waitcnt vmcnt(16)
	v_mul_f32_e32 v154, v124, v134
	s_waitcnt vmcnt(15) lgkmcnt(2)
	v_mul_f32_e32 v155, v126, v135
	s_waitcnt vmcnt(14)
	v_mul_f32_e32 v156, v128, v136
	s_waitcnt vmcnt(13) lgkmcnt(1)
	v_mul_f32_e32 v157, v130, v137
	s_waitcnt vmcnt(10)
	v_fma_f32 v2, v2, v140, -v8
	v_fmac_f32_e32 v151, v3, v140
	v_mul_f32_e32 v3, v123, v11
	s_waitcnt vmcnt(9)
	v_fma_f32 v4, v4, v141, -v10
	v_fmac_f32_e32 v152, v5, v141
	v_add_f32_e32 v2, 0, v2
	v_add_f32_e32 v5, 0, v151
	v_mul_f32_e32 v8, v125, v134
	s_waitcnt vmcnt(8)
	v_fma_f32 v3, v122, v142, -v3
	v_fmac_f32_e32 v153, v123, v142
	v_add_f32_e32 v2, v2, v4
	v_add_f32_e32 v4, v5, v152
	;; [unrolled: 6-line block ×5, first 2 shown]
	v_mul_f32_e32 v5, v133, v138
	s_waitcnt vmcnt(4)
	v_fma_f32 v8, v130, v146, -v8
	v_mul_f32_e32 v158, v132, v138
	v_add_f32_e32 v2, v2, v4
	v_fmac_f32_e32 v157, v131, v146
	v_add_f32_e32 v3, v3, v156
	s_waitcnt lgkmcnt(0)
	v_mul_f32_e32 v4, v7, v139
	s_waitcnt vmcnt(3)
	v_fma_f32 v5, v132, v147, -v5
	v_add_f32_e32 v2, v2, v8
	v_mul_f32_e32 v159, v6, v139
	v_fmac_f32_e32 v158, v133, v147
	v_add_f32_e32 v3, v3, v157
	s_waitcnt vmcnt(2)
	v_fma_f32 v4, v6, v148, -v4
	v_add_f32_e32 v2, v2, v5
	v_fmac_f32_e32 v159, v7, v148
	v_add_f32_e32 v3, v3, v158
	v_add_f32_e32 v2, v2, v4
	;; [unrolled: 1-line block ×3, first 2 shown]
	s_waitcnt vmcnt(1)
	v_sub_f32_e32 v2, v149, v2
	s_waitcnt vmcnt(0)
	v_sub_f32_e32 v3, v150, v3
	buffer_store_dword v2, off, s[0:3], 0 offset:360
	buffer_store_dword v3, off, s[0:3], 0 offset:364
	v_cmpx_lt_u32_e32 44, v0
	s_cbranch_execz .LBB54_255
; %bb.254:
	s_clause 0x1
	buffer_load_dword v2, off, s[0:3], 0 offset:352
	buffer_load_dword v3, off, s[0:3], 0 offset:356
	buffer_store_dword v1, off, s[0:3], 0 offset:352
	buffer_store_dword v1, off, s[0:3], 0 offset:356
	s_waitcnt vmcnt(0)
	ds_write_b64 v9, v[2:3]
.LBB54_255:
	s_or_b32 exec_lo, exec_lo, s4
	s_waitcnt lgkmcnt(0)
	s_waitcnt_vscnt null, 0x0
	s_barrier
	buffer_gl0_inv
	s_clause 0x15
	buffer_load_dword v6, off, s[0:3], 0 offset:364
	buffer_load_dword v7, off, s[0:3], 0 offset:372
	;; [unrolled: 1-line block ×22, first 2 shown]
	ds_read2_b64 v[2:5], v1 offset0:101 offset1:102
	ds_read2_b64 v[122:125], v1 offset0:103 offset1:104
	;; [unrolled: 1-line block ×5, first 2 shown]
	s_mov_b32 s4, exec_lo
	s_waitcnt vmcnt(21) lgkmcnt(4)
	v_mul_f32_e32 v1, v2, v6
	v_mul_f32_e32 v6, v3, v6
	s_waitcnt vmcnt(20)
	v_mul_f32_e32 v155, v4, v7
	v_mul_f32_e32 v7, v5, v7
	s_waitcnt vmcnt(19) lgkmcnt(3)
	v_mul_f32_e32 v156, v122, v8
	s_waitcnt vmcnt(18)
	v_mul_f32_e32 v157, v124, v10
	s_waitcnt vmcnt(17) lgkmcnt(2)
	v_mul_f32_e32 v158, v126, v11
	s_waitcnt vmcnt(16)
	;; [unrolled: 4-line block ×3, first 2 shown]
	v_mul_f32_e32 v161, v132, v140
	s_waitcnt vmcnt(11)
	v_fma_f32 v2, v2, v143, -v6
	v_fmac_f32_e32 v1, v3, v143
	v_mul_f32_e32 v3, v123, v8
	s_waitcnt vmcnt(10)
	v_fma_f32 v4, v4, v144, -v7
	v_fmac_f32_e32 v155, v5, v144
	v_add_f32_e32 v2, 0, v2
	v_add_f32_e32 v1, 0, v1
	v_mul_f32_e32 v5, v125, v10
	s_waitcnt vmcnt(9)
	v_fma_f32 v3, v122, v145, -v3
	v_fmac_f32_e32 v156, v123, v145
	v_add_f32_e32 v2, v2, v4
	v_add_f32_e32 v1, v1, v155
	;; [unrolled: 6-line block ×6, first 2 shown]
	s_waitcnt lgkmcnt(0)
	v_mul_f32_e32 v3, v135, v141
	s_waitcnt vmcnt(4)
	v_fma_f32 v4, v132, v150, -v4
	v_mul_f32_e32 v162, v134, v141
	v_add_f32_e32 v2, v2, v5
	v_fmac_f32_e32 v161, v133, v150
	v_add_f32_e32 v1, v1, v160
	v_mul_f32_e32 v5, v137, v142
	s_waitcnt vmcnt(3)
	v_fma_f32 v3, v134, v151, -v3
	v_add_f32_e32 v2, v2, v4
	v_mul_f32_e32 v163, v136, v142
	v_fmac_f32_e32 v162, v135, v151
	v_add_f32_e32 v1, v1, v161
	s_waitcnt vmcnt(2)
	v_fma_f32 v4, v136, v152, -v5
	v_add_f32_e32 v2, v2, v3
	v_fmac_f32_e32 v163, v137, v152
	v_add_f32_e32 v1, v1, v162
	v_add_f32_e32 v2, v2, v4
	;; [unrolled: 1-line block ×3, first 2 shown]
	s_waitcnt vmcnt(1)
	v_sub_f32_e32 v2, v153, v2
	s_waitcnt vmcnt(0)
	v_sub_f32_e32 v1, v154, v1
	buffer_store_dword v2, off, s[0:3], 0 offset:352
	buffer_store_dword v1, off, s[0:3], 0 offset:356
	v_cmpx_lt_u32_e32 43, v0
	s_cbranch_execz .LBB54_257
; %bb.256:
	s_clause 0x1
	buffer_load_dword v1, off, s[0:3], 0 offset:344
	buffer_load_dword v2, off, s[0:3], 0 offset:348
	v_mov_b32_e32 v3, 0
	buffer_store_dword v3, off, s[0:3], 0 offset:344
	buffer_store_dword v3, off, s[0:3], 0 offset:348
	s_waitcnt vmcnt(0)
	ds_write_b64 v9, v[1:2]
.LBB54_257:
	s_or_b32 exec_lo, exec_lo, s4
	s_waitcnt lgkmcnt(0)
	s_waitcnt_vscnt null, 0x0
	s_barrier
	buffer_gl0_inv
	s_clause 0x17
	buffer_load_dword v8, off, s[0:3], 0 offset:356
	buffer_load_dword v10, off, s[0:3], 0 offset:364
	;; [unrolled: 1-line block ×24, first 2 shown]
	v_mov_b32_e32 v1, 0
	ds_read_b128 v[2:5], v1 offset:800
	ds_read_b128 v[122:125], v1 offset:816
	;; [unrolled: 1-line block ×5, first 2 shown]
	ds_read_b64 v[6:7], v1 offset:880
	s_mov_b32 s4, exec_lo
	s_waitcnt vmcnt(23) lgkmcnt(5)
	v_mul_f32_e32 v159, v2, v8
	v_mul_f32_e32 v8, v3, v8
	s_waitcnt vmcnt(22)
	v_mul_f32_e32 v160, v4, v10
	v_mul_f32_e32 v10, v5, v10
	s_waitcnt vmcnt(21) lgkmcnt(4)
	v_mul_f32_e32 v161, v122, v11
	s_waitcnt vmcnt(20)
	v_mul_f32_e32 v162, v124, v138
	s_waitcnt vmcnt(19) lgkmcnt(3)
	v_mul_f32_e32 v163, v126, v139
	s_waitcnt vmcnt(18)
	;; [unrolled: 4-line block ×4, first 2 shown]
	v_fma_f32 v2, v2, v146, -v8
	v_fmac_f32_e32 v159, v3, v146
	v_mul_f32_e32 v3, v123, v11
	s_waitcnt vmcnt(11)
	v_fma_f32 v4, v4, v147, -v10
	v_fmac_f32_e32 v160, v5, v147
	v_add_f32_e32 v2, 0, v2
	v_add_f32_e32 v5, 0, v159
	v_mul_f32_e32 v8, v125, v138
	s_waitcnt vmcnt(10)
	v_fma_f32 v3, v122, v148, -v3
	v_fmac_f32_e32 v161, v123, v148
	v_add_f32_e32 v2, v2, v4
	v_add_f32_e32 v4, v5, v160
	;; [unrolled: 6-line block ×7, first 2 shown]
	v_mul_f32_e32 v8, v137, v144
	s_waitcnt vmcnt(4)
	v_fma_f32 v4, v134, v154, -v4
	v_mul_f32_e32 v168, v136, v144
	v_add_f32_e32 v2, v2, v5
	v_fmac_f32_e32 v167, v135, v154
	v_add_f32_e32 v3, v3, v166
	s_waitcnt lgkmcnt(0)
	v_mul_f32_e32 v5, v7, v145
	s_waitcnt vmcnt(3)
	v_fma_f32 v8, v136, v155, -v8
	v_add_f32_e32 v2, v2, v4
	v_mul_f32_e32 v169, v6, v145
	v_fmac_f32_e32 v168, v137, v155
	v_add_f32_e32 v3, v3, v167
	s_waitcnt vmcnt(2)
	v_fma_f32 v4, v6, v156, -v5
	v_add_f32_e32 v2, v2, v8
	v_fmac_f32_e32 v169, v7, v156
	v_add_f32_e32 v3, v3, v168
	v_add_f32_e32 v2, v2, v4
	;; [unrolled: 1-line block ×3, first 2 shown]
	s_waitcnt vmcnt(1)
	v_sub_f32_e32 v2, v157, v2
	s_waitcnt vmcnt(0)
	v_sub_f32_e32 v3, v158, v3
	buffer_store_dword v2, off, s[0:3], 0 offset:344
	buffer_store_dword v3, off, s[0:3], 0 offset:348
	v_cmpx_lt_u32_e32 42, v0
	s_cbranch_execz .LBB54_259
; %bb.258:
	s_clause 0x1
	buffer_load_dword v2, off, s[0:3], 0 offset:336
	buffer_load_dword v3, off, s[0:3], 0 offset:340
	buffer_store_dword v1, off, s[0:3], 0 offset:336
	buffer_store_dword v1, off, s[0:3], 0 offset:340
	s_waitcnt vmcnt(0)
	ds_write_b64 v9, v[2:3]
.LBB54_259:
	s_or_b32 exec_lo, exec_lo, s4
	s_waitcnt lgkmcnt(0)
	s_waitcnt_vscnt null, 0x0
	s_barrier
	buffer_gl0_inv
	s_clause 0x19
	buffer_load_dword v6, off, s[0:3], 0 offset:348
	buffer_load_dword v7, off, s[0:3], 0 offset:356
	;; [unrolled: 1-line block ×26, first 2 shown]
	ds_read2_b64 v[2:5], v1 offset0:99 offset1:100
	ds_read2_b64 v[122:125], v1 offset0:101 offset1:102
	;; [unrolled: 1-line block ×6, first 2 shown]
	s_mov_b32 s4, exec_lo
	s_waitcnt vmcnt(25) lgkmcnt(5)
	v_mul_f32_e32 v1, v2, v6
	v_mul_f32_e32 v6, v3, v6
	s_waitcnt vmcnt(24)
	v_mul_f32_e32 v163, v4, v7
	v_mul_f32_e32 v7, v5, v7
	s_waitcnt vmcnt(23) lgkmcnt(4)
	v_mul_f32_e32 v164, v122, v8
	s_waitcnt vmcnt(22)
	v_mul_f32_e32 v165, v124, v10
	s_waitcnt vmcnt(21) lgkmcnt(3)
	v_mul_f32_e32 v166, v126, v11
	s_waitcnt vmcnt(20)
	;; [unrolled: 4-line block ×4, first 2 shown]
	v_mul_f32_e32 v171, v136, v146
	s_waitcnt vmcnt(13)
	v_fma_f32 v2, v2, v149, -v6
	v_fmac_f32_e32 v1, v3, v149
	v_mul_f32_e32 v3, v123, v8
	s_waitcnt vmcnt(12)
	v_fma_f32 v4, v4, v150, -v7
	v_fmac_f32_e32 v163, v5, v150
	v_add_f32_e32 v2, 0, v2
	v_add_f32_e32 v1, 0, v1
	v_mul_f32_e32 v5, v125, v10
	s_waitcnt vmcnt(11)
	v_fma_f32 v3, v122, v151, -v3
	v_fmac_f32_e32 v164, v123, v151
	v_add_f32_e32 v2, v2, v4
	v_add_f32_e32 v1, v1, v163
	;; [unrolled: 6-line block ×8, first 2 shown]
	s_waitcnt lgkmcnt(0)
	v_mul_f32_e32 v4, v139, v147
	s_waitcnt vmcnt(4)
	v_fma_f32 v5, v136, v158, -v5
	v_mul_f32_e32 v172, v138, v147
	v_add_f32_e32 v2, v2, v3
	v_fmac_f32_e32 v171, v137, v158
	v_add_f32_e32 v1, v1, v170
	v_mul_f32_e32 v3, v141, v148
	s_waitcnt vmcnt(3)
	v_fma_f32 v4, v138, v159, -v4
	v_add_f32_e32 v2, v2, v5
	v_mul_f32_e32 v173, v140, v148
	v_fmac_f32_e32 v172, v139, v159
	v_add_f32_e32 v1, v1, v171
	s_waitcnt vmcnt(2)
	v_fma_f32 v3, v140, v160, -v3
	v_add_f32_e32 v2, v2, v4
	v_fmac_f32_e32 v173, v141, v160
	v_add_f32_e32 v1, v1, v172
	v_add_f32_e32 v2, v2, v3
	;; [unrolled: 1-line block ×3, first 2 shown]
	s_waitcnt vmcnt(1)
	v_sub_f32_e32 v2, v161, v2
	s_waitcnt vmcnt(0)
	v_sub_f32_e32 v1, v162, v1
	buffer_store_dword v2, off, s[0:3], 0 offset:336
	buffer_store_dword v1, off, s[0:3], 0 offset:340
	v_cmpx_lt_u32_e32 41, v0
	s_cbranch_execz .LBB54_261
; %bb.260:
	s_clause 0x1
	buffer_load_dword v1, off, s[0:3], 0 offset:328
	buffer_load_dword v2, off, s[0:3], 0 offset:332
	v_mov_b32_e32 v3, 0
	buffer_store_dword v3, off, s[0:3], 0 offset:328
	buffer_store_dword v3, off, s[0:3], 0 offset:332
	s_waitcnt vmcnt(0)
	ds_write_b64 v9, v[1:2]
.LBB54_261:
	s_or_b32 exec_lo, exec_lo, s4
	s_waitcnt lgkmcnt(0)
	s_waitcnt_vscnt null, 0x0
	s_barrier
	buffer_gl0_inv
	s_clause 0x1b
	buffer_load_dword v8, off, s[0:3], 0 offset:340
	buffer_load_dword v10, off, s[0:3], 0 offset:348
	;; [unrolled: 1-line block ×28, first 2 shown]
	v_mov_b32_e32 v1, 0
	ds_read_b128 v[2:5], v1 offset:784
	ds_read_b128 v[122:125], v1 offset:800
	;; [unrolled: 1-line block ×6, first 2 shown]
	ds_read_b64 v[6:7], v1 offset:880
	s_mov_b32 s4, exec_lo
	s_waitcnt vmcnt(27) lgkmcnt(6)
	v_mul_f32_e32 v167, v2, v8
	v_mul_f32_e32 v8, v3, v8
	s_waitcnt vmcnt(26)
	v_mul_f32_e32 v168, v4, v10
	v_mul_f32_e32 v10, v5, v10
	s_waitcnt vmcnt(25) lgkmcnt(5)
	v_mul_f32_e32 v169, v122, v11
	s_waitcnt vmcnt(24)
	v_mul_f32_e32 v170, v124, v142
	s_waitcnt vmcnt(23) lgkmcnt(4)
	v_mul_f32_e32 v171, v126, v143
	s_waitcnt vmcnt(22)
	;; [unrolled: 4-line block ×5, first 2 shown]
	v_fma_f32 v2, v2, v152, -v8
	v_fmac_f32_e32 v167, v3, v152
	v_mul_f32_e32 v3, v123, v11
	s_waitcnt vmcnt(13)
	v_fma_f32 v4, v4, v153, -v10
	v_fmac_f32_e32 v168, v5, v153
	v_add_f32_e32 v2, 0, v2
	v_add_f32_e32 v5, 0, v167
	v_mul_f32_e32 v8, v125, v142
	s_waitcnt vmcnt(12)
	v_fma_f32 v3, v122, v154, -v3
	v_fmac_f32_e32 v169, v123, v154
	v_add_f32_e32 v2, v2, v4
	v_add_f32_e32 v4, v5, v168
	;; [unrolled: 6-line block ×9, first 2 shown]
	v_mul_f32_e32 v4, v141, v150
	s_waitcnt vmcnt(4)
	v_fma_f32 v5, v138, v162, -v5
	v_mul_f32_e32 v178, v140, v150
	v_add_f32_e32 v2, v2, v8
	v_fmac_f32_e32 v177, v139, v162
	v_add_f32_e32 v3, v3, v176
	s_waitcnt lgkmcnt(0)
	v_mul_f32_e32 v8, v7, v151
	s_waitcnt vmcnt(3)
	v_fma_f32 v4, v140, v163, -v4
	v_add_f32_e32 v2, v2, v5
	v_mul_f32_e32 v179, v6, v151
	v_fmac_f32_e32 v178, v141, v163
	v_add_f32_e32 v3, v3, v177
	s_waitcnt vmcnt(2)
	v_fma_f32 v5, v6, v164, -v8
	v_add_f32_e32 v2, v2, v4
	v_fmac_f32_e32 v179, v7, v164
	v_add_f32_e32 v3, v3, v178
	v_add_f32_e32 v2, v2, v5
	;; [unrolled: 1-line block ×3, first 2 shown]
	s_waitcnt vmcnt(1)
	v_sub_f32_e32 v2, v165, v2
	s_waitcnt vmcnt(0)
	v_sub_f32_e32 v3, v166, v3
	buffer_store_dword v2, off, s[0:3], 0 offset:328
	buffer_store_dword v3, off, s[0:3], 0 offset:332
	v_cmpx_lt_u32_e32 40, v0
	s_cbranch_execz .LBB54_263
; %bb.262:
	s_clause 0x1
	buffer_load_dword v2, off, s[0:3], 0 offset:320
	buffer_load_dword v3, off, s[0:3], 0 offset:324
	buffer_store_dword v1, off, s[0:3], 0 offset:320
	buffer_store_dword v1, off, s[0:3], 0 offset:324
	s_waitcnt vmcnt(0)
	ds_write_b64 v9, v[2:3]
.LBB54_263:
	s_or_b32 exec_lo, exec_lo, s4
	s_waitcnt lgkmcnt(0)
	s_waitcnt_vscnt null, 0x0
	s_barrier
	buffer_gl0_inv
	s_clause 0x1d
	buffer_load_dword v6, off, s[0:3], 0 offset:332
	buffer_load_dword v7, off, s[0:3], 0 offset:340
	;; [unrolled: 1-line block ×30, first 2 shown]
	ds_read2_b64 v[2:5], v1 offset0:97 offset1:98
	ds_read2_b64 v[122:125], v1 offset0:99 offset1:100
	;; [unrolled: 1-line block ×7, first 2 shown]
	s_mov_b32 s4, exec_lo
	s_waitcnt vmcnt(29) lgkmcnt(6)
	v_mul_f32_e32 v1, v2, v6
	v_mul_f32_e32 v6, v3, v6
	s_waitcnt vmcnt(28)
	v_mul_f32_e32 v171, v4, v7
	v_mul_f32_e32 v7, v5, v7
	s_waitcnt vmcnt(27) lgkmcnt(5)
	v_mul_f32_e32 v172, v122, v8
	s_waitcnt vmcnt(26)
	v_mul_f32_e32 v173, v124, v10
	s_waitcnt vmcnt(25) lgkmcnt(4)
	v_mul_f32_e32 v174, v126, v11
	s_waitcnt vmcnt(24)
	;; [unrolled: 4-line block ×5, first 2 shown]
	v_mul_f32_e32 v181, v140, v152
	s_waitcnt vmcnt(15)
	v_fma_f32 v2, v2, v155, -v6
	v_fmac_f32_e32 v1, v3, v155
	v_mul_f32_e32 v3, v123, v8
	s_waitcnt vmcnt(14)
	v_fma_f32 v4, v4, v156, -v7
	v_fmac_f32_e32 v171, v5, v156
	v_add_f32_e32 v2, 0, v2
	v_add_f32_e32 v1, 0, v1
	v_mul_f32_e32 v5, v125, v10
	s_waitcnt vmcnt(13)
	v_fma_f32 v3, v122, v157, -v3
	v_fmac_f32_e32 v172, v123, v157
	v_add_f32_e32 v2, v2, v4
	v_add_f32_e32 v1, v1, v171
	;; [unrolled: 6-line block ×10, first 2 shown]
	s_waitcnt lgkmcnt(0)
	v_mul_f32_e32 v5, v143, v153
	s_waitcnt vmcnt(4)
	v_fma_f32 v3, v140, v166, -v3
	v_mul_f32_e32 v182, v142, v153
	v_add_f32_e32 v2, v2, v4
	v_fmac_f32_e32 v181, v141, v166
	v_add_f32_e32 v1, v1, v180
	v_mul_f32_e32 v4, v145, v154
	s_waitcnt vmcnt(3)
	v_fma_f32 v5, v142, v167, -v5
	v_add_f32_e32 v2, v2, v3
	v_mul_f32_e32 v183, v144, v154
	v_fmac_f32_e32 v182, v143, v167
	v_add_f32_e32 v1, v1, v181
	s_waitcnt vmcnt(2)
	v_fma_f32 v3, v144, v168, -v4
	v_add_f32_e32 v2, v2, v5
	v_fmac_f32_e32 v183, v145, v168
	v_add_f32_e32 v1, v1, v182
	v_add_f32_e32 v2, v2, v3
	;; [unrolled: 1-line block ×3, first 2 shown]
	s_waitcnt vmcnt(1)
	v_sub_f32_e32 v2, v169, v2
	s_waitcnt vmcnt(0)
	v_sub_f32_e32 v1, v170, v1
	buffer_store_dword v2, off, s[0:3], 0 offset:320
	buffer_store_dword v1, off, s[0:3], 0 offset:324
	v_cmpx_lt_u32_e32 39, v0
	s_cbranch_execz .LBB54_265
; %bb.264:
	s_clause 0x1
	buffer_load_dword v1, off, s[0:3], 0 offset:312
	buffer_load_dword v2, off, s[0:3], 0 offset:316
	v_mov_b32_e32 v3, 0
	buffer_store_dword v3, off, s[0:3], 0 offset:312
	buffer_store_dword v3, off, s[0:3], 0 offset:316
	s_waitcnt vmcnt(0)
	ds_write_b64 v9, v[1:2]
.LBB54_265:
	s_or_b32 exec_lo, exec_lo, s4
	s_waitcnt lgkmcnt(0)
	s_waitcnt_vscnt null, 0x0
	s_barrier
	buffer_gl0_inv
	s_clause 0x1f
	buffer_load_dword v8, off, s[0:3], 0 offset:324
	buffer_load_dword v10, off, s[0:3], 0 offset:332
	;; [unrolled: 1-line block ×32, first 2 shown]
	v_mov_b32_e32 v1, 0
	ds_read_b128 v[2:5], v1 offset:768
	ds_read_b128 v[122:125], v1 offset:784
	;; [unrolled: 1-line block ×7, first 2 shown]
	ds_read_b64 v[6:7], v1 offset:880
	s_mov_b32 s4, exec_lo
	s_waitcnt vmcnt(31) lgkmcnt(7)
	v_mul_f32_e32 v175, v2, v8
	v_mul_f32_e32 v8, v3, v8
	s_waitcnt vmcnt(30)
	v_mul_f32_e32 v176, v4, v10
	v_mul_f32_e32 v10, v5, v10
	s_waitcnt vmcnt(29) lgkmcnt(6)
	v_mul_f32_e32 v177, v122, v11
	s_waitcnt vmcnt(28)
	v_mul_f32_e32 v178, v124, v146
	s_waitcnt vmcnt(27) lgkmcnt(5)
	v_mul_f32_e32 v179, v126, v147
	s_waitcnt vmcnt(26)
	;; [unrolled: 4-line block ×6, first 2 shown]
	v_fma_f32 v2, v2, v158, -v8
	v_fmac_f32_e32 v175, v3, v158
	v_mul_f32_e32 v3, v123, v11
	s_waitcnt vmcnt(15)
	v_fma_f32 v4, v4, v159, -v10
	v_fmac_f32_e32 v176, v5, v159
	v_add_f32_e32 v2, 0, v2
	v_add_f32_e32 v5, 0, v175
	v_mul_f32_e32 v8, v125, v146
	s_waitcnt vmcnt(14)
	v_fma_f32 v3, v122, v160, -v3
	v_fmac_f32_e32 v177, v123, v160
	v_add_f32_e32 v2, v2, v4
	v_add_f32_e32 v4, v5, v176
	;; [unrolled: 6-line block ×11, first 2 shown]
	v_mul_f32_e32 v5, v145, v156
	s_waitcnt vmcnt(4)
	v_fma_f32 v8, v142, v170, -v8
	v_mul_f32_e32 v188, v144, v156
	v_add_f32_e32 v2, v2, v4
	v_fmac_f32_e32 v187, v143, v170
	v_add_f32_e32 v3, v3, v186
	s_waitcnt lgkmcnt(0)
	v_mul_f32_e32 v4, v7, v157
	s_waitcnt vmcnt(3)
	v_fma_f32 v5, v144, v171, -v5
	v_add_f32_e32 v2, v2, v8
	v_mul_f32_e32 v189, v6, v157
	v_fmac_f32_e32 v188, v145, v171
	v_add_f32_e32 v3, v3, v187
	s_waitcnt vmcnt(2)
	v_fma_f32 v4, v6, v172, -v4
	v_add_f32_e32 v2, v2, v5
	v_fmac_f32_e32 v189, v7, v172
	v_add_f32_e32 v3, v3, v188
	v_add_f32_e32 v2, v2, v4
	;; [unrolled: 1-line block ×3, first 2 shown]
	s_waitcnt vmcnt(1)
	v_sub_f32_e32 v2, v173, v2
	s_waitcnt vmcnt(0)
	v_sub_f32_e32 v3, v174, v3
	buffer_store_dword v2, off, s[0:3], 0 offset:312
	buffer_store_dword v3, off, s[0:3], 0 offset:316
	v_cmpx_lt_u32_e32 38, v0
	s_cbranch_execz .LBB54_267
; %bb.266:
	s_clause 0x1
	buffer_load_dword v2, off, s[0:3], 0 offset:304
	buffer_load_dword v3, off, s[0:3], 0 offset:308
	buffer_store_dword v1, off, s[0:3], 0 offset:304
	buffer_store_dword v1, off, s[0:3], 0 offset:308
	s_waitcnt vmcnt(0)
	ds_write_b64 v9, v[2:3]
.LBB54_267:
	s_or_b32 exec_lo, exec_lo, s4
	s_waitcnt lgkmcnt(0)
	s_waitcnt_vscnt null, 0x0
	s_barrier
	buffer_gl0_inv
	s_clause 0x21
	buffer_load_dword v6, off, s[0:3], 0 offset:316
	buffer_load_dword v7, off, s[0:3], 0 offset:324
	buffer_load_dword v8, off, s[0:3], 0 offset:332
	buffer_load_dword v10, off, s[0:3], 0 offset:340
	buffer_load_dword v11, off, s[0:3], 0 offset:348
	buffer_load_dword v150, off, s[0:3], 0 offset:356
	buffer_load_dword v151, off, s[0:3], 0 offset:364
	buffer_load_dword v152, off, s[0:3], 0 offset:372
	buffer_load_dword v153, off, s[0:3], 0 offset:380
	buffer_load_dword v154, off, s[0:3], 0 offset:388
	buffer_load_dword v155, off, s[0:3], 0 offset:396
	buffer_load_dword v156, off, s[0:3], 0 offset:404
	buffer_load_dword v157, off, s[0:3], 0 offset:412
	buffer_load_dword v158, off, s[0:3], 0 offset:420
	buffer_load_dword v159, off, s[0:3], 0 offset:428
	buffer_load_dword v160, off, s[0:3], 0 offset:436
	buffer_load_dword v161, off, s[0:3], 0 offset:312
	buffer_load_dword v162, off, s[0:3], 0 offset:320
	buffer_load_dword v163, off, s[0:3], 0 offset:328
	buffer_load_dword v164, off, s[0:3], 0 offset:336
	buffer_load_dword v165, off, s[0:3], 0 offset:344
	buffer_load_dword v166, off, s[0:3], 0 offset:352
	buffer_load_dword v167, off, s[0:3], 0 offset:360
	buffer_load_dword v168, off, s[0:3], 0 offset:368
	buffer_load_dword v169, off, s[0:3], 0 offset:376
	buffer_load_dword v170, off, s[0:3], 0 offset:384
	buffer_load_dword v171, off, s[0:3], 0 offset:392
	buffer_load_dword v172, off, s[0:3], 0 offset:400
	buffer_load_dword v173, off, s[0:3], 0 offset:408
	buffer_load_dword v174, off, s[0:3], 0 offset:416
	buffer_load_dword v175, off, s[0:3], 0 offset:424
	buffer_load_dword v176, off, s[0:3], 0 offset:432
	buffer_load_dword v177, off, s[0:3], 0 offset:304
	buffer_load_dword v178, off, s[0:3], 0 offset:308
	ds_read2_b64 v[2:5], v1 offset0:95 offset1:96
	ds_read2_b64 v[122:125], v1 offset0:97 offset1:98
	;; [unrolled: 1-line block ×8, first 2 shown]
	s_mov_b32 s4, exec_lo
	s_waitcnt vmcnt(33) lgkmcnt(7)
	v_mul_f32_e32 v1, v2, v6
	v_mul_f32_e32 v6, v3, v6
	s_waitcnt vmcnt(32)
	v_mul_f32_e32 v179, v4, v7
	v_mul_f32_e32 v7, v5, v7
	s_waitcnt vmcnt(31) lgkmcnt(6)
	v_mul_f32_e32 v180, v122, v8
	s_waitcnt vmcnt(30)
	v_mul_f32_e32 v181, v124, v10
	s_waitcnt vmcnt(29) lgkmcnt(5)
	v_mul_f32_e32 v182, v126, v11
	s_waitcnt vmcnt(28)
	;; [unrolled: 4-line block ×6, first 2 shown]
	v_mul_f32_e32 v191, v144, v158
	s_waitcnt vmcnt(17)
	v_fma_f32 v2, v2, v161, -v6
	v_fmac_f32_e32 v1, v3, v161
	v_mul_f32_e32 v3, v123, v8
	s_waitcnt vmcnt(16)
	v_fma_f32 v4, v4, v162, -v7
	v_fmac_f32_e32 v179, v5, v162
	v_add_f32_e32 v2, 0, v2
	v_add_f32_e32 v1, 0, v1
	v_mul_f32_e32 v5, v125, v10
	s_waitcnt vmcnt(15)
	v_fma_f32 v3, v122, v163, -v3
	v_fmac_f32_e32 v180, v123, v163
	v_add_f32_e32 v2, v2, v4
	v_add_f32_e32 v1, v1, v179
	;; [unrolled: 6-line block ×12, first 2 shown]
	s_waitcnt lgkmcnt(0)
	v_mul_f32_e32 v3, v147, v159
	s_waitcnt vmcnt(4)
	v_fma_f32 v4, v144, v174, -v4
	v_mul_f32_e32 v192, v146, v159
	v_add_f32_e32 v2, v2, v5
	v_fmac_f32_e32 v191, v145, v174
	v_add_f32_e32 v1, v1, v190
	v_mul_f32_e32 v5, v149, v160
	s_waitcnt vmcnt(3)
	v_fma_f32 v3, v146, v175, -v3
	v_add_f32_e32 v2, v2, v4
	v_mul_f32_e32 v193, v148, v160
	v_fmac_f32_e32 v192, v147, v175
	v_add_f32_e32 v1, v1, v191
	s_waitcnt vmcnt(2)
	v_fma_f32 v4, v148, v176, -v5
	v_add_f32_e32 v2, v2, v3
	v_fmac_f32_e32 v193, v149, v176
	v_add_f32_e32 v1, v1, v192
	v_add_f32_e32 v2, v2, v4
	;; [unrolled: 1-line block ×3, first 2 shown]
	s_waitcnt vmcnt(1)
	v_sub_f32_e32 v2, v177, v2
	s_waitcnt vmcnt(0)
	v_sub_f32_e32 v1, v178, v1
	buffer_store_dword v2, off, s[0:3], 0 offset:304
	buffer_store_dword v1, off, s[0:3], 0 offset:308
	v_cmpx_lt_u32_e32 37, v0
	s_cbranch_execz .LBB54_269
; %bb.268:
	s_clause 0x1
	buffer_load_dword v1, off, s[0:3], 0 offset:296
	buffer_load_dword v2, off, s[0:3], 0 offset:300
	v_mov_b32_e32 v3, 0
	buffer_store_dword v3, off, s[0:3], 0 offset:296
	buffer_store_dword v3, off, s[0:3], 0 offset:300
	s_waitcnt vmcnt(0)
	ds_write_b64 v9, v[1:2]
.LBB54_269:
	s_or_b32 exec_lo, exec_lo, s4
	s_waitcnt lgkmcnt(0)
	s_waitcnt_vscnt null, 0x0
	s_barrier
	buffer_gl0_inv
	s_clause 0x23
	buffer_load_dword v8, off, s[0:3], 0 offset:308
	buffer_load_dword v10, off, s[0:3], 0 offset:316
	;; [unrolled: 1-line block ×36, first 2 shown]
	v_mov_b32_e32 v1, 0
	ds_read_b128 v[2:5], v1 offset:752
	ds_read_b128 v[122:125], v1 offset:768
	;; [unrolled: 1-line block ×8, first 2 shown]
	ds_read_b64 v[6:7], v1 offset:880
	s_mov_b32 s4, exec_lo
	s_waitcnt vmcnt(35) lgkmcnt(8)
	v_mul_f32_e32 v183, v2, v8
	v_mul_f32_e32 v8, v3, v8
	s_waitcnt vmcnt(34)
	v_mul_f32_e32 v184, v4, v10
	v_mul_f32_e32 v10, v5, v10
	s_waitcnt vmcnt(33) lgkmcnt(7)
	v_mul_f32_e32 v185, v122, v11
	s_waitcnt vmcnt(32)
	v_mul_f32_e32 v186, v124, v150
	s_waitcnt vmcnt(31) lgkmcnt(6)
	v_mul_f32_e32 v187, v126, v151
	s_waitcnt vmcnt(30)
	;; [unrolled: 4-line block ×7, first 2 shown]
	v_fma_f32 v2, v2, v164, -v8
	v_fmac_f32_e32 v183, v3, v164
	v_mul_f32_e32 v3, v123, v11
	s_waitcnt vmcnt(17)
	v_fma_f32 v4, v4, v165, -v10
	v_fmac_f32_e32 v184, v5, v165
	v_add_f32_e32 v2, 0, v2
	v_add_f32_e32 v5, 0, v183
	v_mul_f32_e32 v8, v125, v150
	s_waitcnt vmcnt(16)
	v_fma_f32 v3, v122, v166, -v3
	v_fmac_f32_e32 v185, v123, v166
	v_add_f32_e32 v2, v2, v4
	v_add_f32_e32 v4, v5, v184
	;; [unrolled: 6-line block ×13, first 2 shown]
	v_mul_f32_e32 v8, v149, v162
	s_waitcnt vmcnt(4)
	v_fma_f32 v4, v146, v178, -v4
	v_mul_f32_e32 v198, v148, v162
	v_add_f32_e32 v2, v2, v5
	v_fmac_f32_e32 v197, v147, v178
	v_add_f32_e32 v3, v3, v196
	s_waitcnt lgkmcnt(0)
	v_mul_f32_e32 v5, v7, v163
	s_waitcnt vmcnt(3)
	v_fma_f32 v8, v148, v179, -v8
	v_add_f32_e32 v2, v2, v4
	v_mul_f32_e32 v199, v6, v163
	v_fmac_f32_e32 v198, v149, v179
	v_add_f32_e32 v3, v3, v197
	s_waitcnt vmcnt(2)
	v_fma_f32 v4, v6, v180, -v5
	v_add_f32_e32 v2, v2, v8
	v_fmac_f32_e32 v199, v7, v180
	v_add_f32_e32 v3, v3, v198
	v_add_f32_e32 v2, v2, v4
	;; [unrolled: 1-line block ×3, first 2 shown]
	s_waitcnt vmcnt(1)
	v_sub_f32_e32 v2, v181, v2
	s_waitcnt vmcnt(0)
	v_sub_f32_e32 v3, v182, v3
	buffer_store_dword v2, off, s[0:3], 0 offset:296
	buffer_store_dword v3, off, s[0:3], 0 offset:300
	v_cmpx_lt_u32_e32 36, v0
	s_cbranch_execz .LBB54_271
; %bb.270:
	s_clause 0x1
	buffer_load_dword v2, off, s[0:3], 0 offset:288
	buffer_load_dword v3, off, s[0:3], 0 offset:292
	buffer_store_dword v1, off, s[0:3], 0 offset:288
	buffer_store_dword v1, off, s[0:3], 0 offset:292
	s_waitcnt vmcnt(0)
	ds_write_b64 v9, v[2:3]
.LBB54_271:
	s_or_b32 exec_lo, exec_lo, s4
	s_waitcnt lgkmcnt(0)
	s_waitcnt_vscnt null, 0x0
	s_barrier
	buffer_gl0_inv
	s_clause 0x25
	buffer_load_dword v6, off, s[0:3], 0 offset:300
	buffer_load_dword v7, off, s[0:3], 0 offset:308
	;; [unrolled: 1-line block ×38, first 2 shown]
	ds_read2_b64 v[2:5], v1 offset0:93 offset1:94
	ds_read2_b64 v[122:125], v1 offset0:95 offset1:96
	ds_read2_b64 v[126:129], v1 offset0:97 offset1:98
	ds_read2_b64 v[130:133], v1 offset0:99 offset1:100
	ds_read2_b64 v[134:137], v1 offset0:101 offset1:102
	ds_read2_b64 v[138:141], v1 offset0:103 offset1:104
	ds_read2_b64 v[142:145], v1 offset0:105 offset1:106
	ds_read2_b64 v[146:149], v1 offset0:107 offset1:108
	ds_read2_b64 v[150:153], v1 offset0:109 offset1:110
	s_mov_b32 s4, exec_lo
	s_waitcnt vmcnt(37) lgkmcnt(8)
	v_mul_f32_e32 v1, v2, v6
	v_mul_f32_e32 v6, v3, v6
	s_waitcnt vmcnt(36)
	v_mul_f32_e32 v187, v4, v7
	v_mul_f32_e32 v7, v5, v7
	s_waitcnt vmcnt(35) lgkmcnt(7)
	v_mul_f32_e32 v188, v122, v8
	s_waitcnt vmcnt(34)
	v_mul_f32_e32 v189, v124, v10
	s_waitcnt vmcnt(33) lgkmcnt(6)
	v_mul_f32_e32 v190, v126, v11
	s_waitcnt vmcnt(32)
	;; [unrolled: 4-line block ×7, first 2 shown]
	v_mul_f32_e32 v201, v148, v164
	s_waitcnt vmcnt(19)
	v_fma_f32 v2, v2, v167, -v6
	v_fmac_f32_e32 v1, v3, v167
	v_mul_f32_e32 v3, v123, v8
	s_waitcnt vmcnt(18)
	v_fma_f32 v4, v4, v168, -v7
	v_fmac_f32_e32 v187, v5, v168
	v_add_f32_e32 v2, 0, v2
	v_add_f32_e32 v1, 0, v1
	v_mul_f32_e32 v5, v125, v10
	s_waitcnt vmcnt(17)
	v_fma_f32 v3, v122, v169, -v3
	v_fmac_f32_e32 v188, v123, v169
	v_add_f32_e32 v2, v2, v4
	v_add_f32_e32 v1, v1, v187
	;; [unrolled: 6-line block ×14, first 2 shown]
	s_waitcnt lgkmcnt(0)
	v_mul_f32_e32 v4, v151, v165
	s_waitcnt vmcnt(4)
	v_fma_f32 v5, v148, v182, -v5
	v_mul_f32_e32 v202, v150, v165
	v_add_f32_e32 v2, v2, v3
	v_fmac_f32_e32 v201, v149, v182
	v_add_f32_e32 v1, v1, v200
	v_mul_f32_e32 v3, v153, v166
	s_waitcnt vmcnt(3)
	v_fma_f32 v4, v150, v183, -v4
	v_add_f32_e32 v2, v2, v5
	v_mul_f32_e32 v203, v152, v166
	v_fmac_f32_e32 v202, v151, v183
	v_add_f32_e32 v1, v1, v201
	s_waitcnt vmcnt(2)
	v_fma_f32 v3, v152, v184, -v3
	v_add_f32_e32 v2, v2, v4
	v_fmac_f32_e32 v203, v153, v184
	v_add_f32_e32 v1, v1, v202
	v_add_f32_e32 v2, v2, v3
	;; [unrolled: 1-line block ×3, first 2 shown]
	s_waitcnt vmcnt(1)
	v_sub_f32_e32 v2, v185, v2
	s_waitcnt vmcnt(0)
	v_sub_f32_e32 v1, v186, v1
	buffer_store_dword v2, off, s[0:3], 0 offset:288
	buffer_store_dword v1, off, s[0:3], 0 offset:292
	v_cmpx_lt_u32_e32 35, v0
	s_cbranch_execz .LBB54_273
; %bb.272:
	s_clause 0x1
	buffer_load_dword v1, off, s[0:3], 0 offset:280
	buffer_load_dword v2, off, s[0:3], 0 offset:284
	v_mov_b32_e32 v3, 0
	buffer_store_dword v3, off, s[0:3], 0 offset:280
	buffer_store_dword v3, off, s[0:3], 0 offset:284
	s_waitcnt vmcnt(0)
	ds_write_b64 v9, v[1:2]
.LBB54_273:
	s_or_b32 exec_lo, exec_lo, s4
	s_waitcnt lgkmcnt(0)
	s_waitcnt_vscnt null, 0x0
	s_barrier
	buffer_gl0_inv
	s_clause 0x27
	buffer_load_dword v8, off, s[0:3], 0 offset:292
	buffer_load_dword v10, off, s[0:3], 0 offset:300
	;; [unrolled: 1-line block ×40, first 2 shown]
	v_mov_b32_e32 v1, 0
	ds_read_b128 v[2:5], v1 offset:736
	ds_read_b128 v[122:125], v1 offset:752
	;; [unrolled: 1-line block ×9, first 2 shown]
	ds_read_b64 v[6:7], v1 offset:880
	s_mov_b32 s4, exec_lo
	s_waitcnt vmcnt(39) lgkmcnt(9)
	v_mul_f32_e32 v191, v2, v8
	v_mul_f32_e32 v8, v3, v8
	s_waitcnt vmcnt(38)
	v_mul_f32_e32 v192, v4, v10
	v_mul_f32_e32 v10, v5, v10
	s_waitcnt vmcnt(37) lgkmcnt(8)
	v_mul_f32_e32 v193, v122, v11
	s_waitcnt vmcnt(36)
	v_mul_f32_e32 v194, v124, v154
	s_waitcnt vmcnt(35) lgkmcnt(7)
	v_mul_f32_e32 v195, v126, v155
	s_waitcnt vmcnt(34)
	;; [unrolled: 4-line block ×8, first 2 shown]
	v_fma_f32 v2, v2, v170, -v8
	v_fmac_f32_e32 v191, v3, v170
	v_mul_f32_e32 v3, v123, v11
	s_waitcnt vmcnt(19)
	v_fma_f32 v4, v4, v171, -v10
	v_fmac_f32_e32 v192, v5, v171
	v_add_f32_e32 v2, 0, v2
	v_add_f32_e32 v5, 0, v191
	v_mul_f32_e32 v8, v125, v154
	s_waitcnt vmcnt(18)
	v_fma_f32 v3, v122, v172, -v3
	v_fmac_f32_e32 v193, v123, v172
	v_add_f32_e32 v2, v2, v4
	v_add_f32_e32 v4, v5, v192
	;; [unrolled: 6-line block ×15, first 2 shown]
	v_mul_f32_e32 v4, v153, v168
	s_waitcnt vmcnt(4)
	v_fma_f32 v5, v150, v186, -v5
	v_mul_f32_e32 v208, v152, v168
	v_add_f32_e32 v2, v2, v8
	v_fmac_f32_e32 v207, v151, v186
	v_add_f32_e32 v3, v3, v206
	s_waitcnt lgkmcnt(0)
	v_mul_f32_e32 v8, v7, v169
	s_waitcnt vmcnt(3)
	v_fma_f32 v4, v152, v187, -v4
	v_add_f32_e32 v2, v2, v5
	v_mul_f32_e32 v209, v6, v169
	v_fmac_f32_e32 v208, v153, v187
	v_add_f32_e32 v3, v3, v207
	s_waitcnt vmcnt(2)
	v_fma_f32 v5, v6, v188, -v8
	v_add_f32_e32 v2, v2, v4
	v_fmac_f32_e32 v209, v7, v188
	v_add_f32_e32 v3, v3, v208
	v_add_f32_e32 v2, v2, v5
	;; [unrolled: 1-line block ×3, first 2 shown]
	s_waitcnt vmcnt(1)
	v_sub_f32_e32 v2, v189, v2
	s_waitcnt vmcnt(0)
	v_sub_f32_e32 v3, v190, v3
	buffer_store_dword v2, off, s[0:3], 0 offset:280
	buffer_store_dword v3, off, s[0:3], 0 offset:284
	v_cmpx_lt_u32_e32 34, v0
	s_cbranch_execz .LBB54_275
; %bb.274:
	s_clause 0x1
	buffer_load_dword v2, off, s[0:3], 0 offset:272
	buffer_load_dword v3, off, s[0:3], 0 offset:276
	buffer_store_dword v1, off, s[0:3], 0 offset:272
	buffer_store_dword v1, off, s[0:3], 0 offset:276
	s_waitcnt vmcnt(0)
	ds_write_b64 v9, v[2:3]
.LBB54_275:
	s_or_b32 exec_lo, exec_lo, s4
	s_waitcnt lgkmcnt(0)
	s_waitcnt_vscnt null, 0x0
	s_barrier
	buffer_gl0_inv
	s_clause 0x29
	buffer_load_dword v6, off, s[0:3], 0 offset:284
	buffer_load_dword v7, off, s[0:3], 0 offset:292
	;; [unrolled: 1-line block ×42, first 2 shown]
	ds_read2_b64 v[2:5], v1 offset0:91 offset1:92
	ds_read2_b64 v[122:125], v1 offset0:93 offset1:94
	;; [unrolled: 1-line block ×10, first 2 shown]
	s_mov_b32 s4, exec_lo
	s_waitcnt vmcnt(41) lgkmcnt(9)
	v_mul_f32_e32 v1, v2, v6
	v_mul_f32_e32 v6, v3, v6
	s_waitcnt vmcnt(40)
	v_mul_f32_e32 v195, v4, v7
	v_mul_f32_e32 v7, v5, v7
	s_waitcnt vmcnt(39) lgkmcnt(8)
	v_mul_f32_e32 v196, v122, v8
	s_waitcnt vmcnt(38)
	v_mul_f32_e32 v197, v124, v10
	s_waitcnt vmcnt(37) lgkmcnt(7)
	v_mul_f32_e32 v198, v126, v11
	s_waitcnt vmcnt(36)
	;; [unrolled: 4-line block ×8, first 2 shown]
	v_mul_f32_e32 v211, v152, v170
	s_waitcnt vmcnt(21)
	v_fma_f32 v2, v2, v173, -v6
	v_fmac_f32_e32 v1, v3, v173
	v_mul_f32_e32 v3, v123, v8
	s_waitcnt vmcnt(20)
	v_fma_f32 v4, v4, v174, -v7
	v_fmac_f32_e32 v195, v5, v174
	v_add_f32_e32 v2, 0, v2
	v_add_f32_e32 v1, 0, v1
	v_mul_f32_e32 v5, v125, v10
	s_waitcnt vmcnt(19)
	v_fma_f32 v3, v122, v175, -v3
	v_fmac_f32_e32 v196, v123, v175
	v_add_f32_e32 v2, v2, v4
	v_add_f32_e32 v1, v1, v195
	;; [unrolled: 6-line block ×16, first 2 shown]
	s_waitcnt lgkmcnt(0)
	v_mul_f32_e32 v5, v155, v171
	s_waitcnt vmcnt(4)
	v_fma_f32 v3, v152, v190, -v3
	v_mul_f32_e32 v212, v154, v171
	v_add_f32_e32 v2, v2, v4
	v_fmac_f32_e32 v211, v153, v190
	v_add_f32_e32 v1, v1, v210
	v_mul_f32_e32 v4, v157, v172
	s_waitcnt vmcnt(3)
	v_fma_f32 v5, v154, v191, -v5
	v_add_f32_e32 v2, v2, v3
	v_mul_f32_e32 v213, v156, v172
	v_fmac_f32_e32 v212, v155, v191
	v_add_f32_e32 v1, v1, v211
	s_waitcnt vmcnt(2)
	v_fma_f32 v3, v156, v192, -v4
	v_add_f32_e32 v2, v2, v5
	v_fmac_f32_e32 v213, v157, v192
	v_add_f32_e32 v1, v1, v212
	v_add_f32_e32 v2, v2, v3
	;; [unrolled: 1-line block ×3, first 2 shown]
	s_waitcnt vmcnt(1)
	v_sub_f32_e32 v2, v193, v2
	s_waitcnt vmcnt(0)
	v_sub_f32_e32 v1, v194, v1
	buffer_store_dword v2, off, s[0:3], 0 offset:272
	buffer_store_dword v1, off, s[0:3], 0 offset:276
	v_cmpx_lt_u32_e32 33, v0
	s_cbranch_execz .LBB54_277
; %bb.276:
	s_clause 0x1
	buffer_load_dword v1, off, s[0:3], 0 offset:264
	buffer_load_dword v2, off, s[0:3], 0 offset:268
	v_mov_b32_e32 v3, 0
	buffer_store_dword v3, off, s[0:3], 0 offset:264
	buffer_store_dword v3, off, s[0:3], 0 offset:268
	s_waitcnt vmcnt(0)
	ds_write_b64 v9, v[1:2]
.LBB54_277:
	s_or_b32 exec_lo, exec_lo, s4
	s_waitcnt lgkmcnt(0)
	s_waitcnt_vscnt null, 0x0
	s_barrier
	buffer_gl0_inv
	s_clause 0x2b
	buffer_load_dword v8, off, s[0:3], 0 offset:276
	buffer_load_dword v10, off, s[0:3], 0 offset:284
	;; [unrolled: 1-line block ×44, first 2 shown]
	v_mov_b32_e32 v1, 0
	ds_read_b128 v[2:5], v1 offset:720
	ds_read_b128 v[122:125], v1 offset:736
	;; [unrolled: 1-line block ×10, first 2 shown]
	ds_read_b64 v[6:7], v1 offset:880
	s_mov_b32 s4, exec_lo
	s_waitcnt vmcnt(43) lgkmcnt(10)
	v_mul_f32_e32 v199, v2, v8
	v_mul_f32_e32 v8, v3, v8
	s_waitcnt vmcnt(42)
	v_mul_f32_e32 v200, v4, v10
	v_mul_f32_e32 v10, v5, v10
	s_waitcnt vmcnt(41) lgkmcnt(9)
	v_mul_f32_e32 v201, v122, v11
	s_waitcnt vmcnt(40)
	v_mul_f32_e32 v202, v124, v158
	s_waitcnt vmcnt(39) lgkmcnt(8)
	v_mul_f32_e32 v203, v126, v159
	s_waitcnt vmcnt(38)
	;; [unrolled: 4-line block ×9, first 2 shown]
	v_fma_f32 v2, v2, v176, -v8
	v_fmac_f32_e32 v199, v3, v176
	v_mul_f32_e32 v3, v123, v11
	s_waitcnt vmcnt(21)
	v_fma_f32 v4, v4, v177, -v10
	v_fmac_f32_e32 v200, v5, v177
	v_add_f32_e32 v2, 0, v2
	v_add_f32_e32 v5, 0, v199
	v_mul_f32_e32 v8, v125, v158
	s_waitcnt vmcnt(20)
	v_fma_f32 v3, v122, v178, -v3
	v_fmac_f32_e32 v201, v123, v178
	v_add_f32_e32 v2, v2, v4
	v_add_f32_e32 v4, v5, v200
	;; [unrolled: 6-line block ×17, first 2 shown]
	v_mul_f32_e32 v5, v157, v174
	s_waitcnt vmcnt(4)
	v_fma_f32 v8, v154, v194, -v8
	v_mul_f32_e32 v218, v156, v174
	v_add_f32_e32 v2, v2, v4
	v_fmac_f32_e32 v217, v155, v194
	v_add_f32_e32 v3, v3, v216
	s_waitcnt lgkmcnt(0)
	v_mul_f32_e32 v4, v7, v175
	s_waitcnt vmcnt(3)
	v_fma_f32 v5, v156, v195, -v5
	v_add_f32_e32 v2, v2, v8
	v_mul_f32_e32 v219, v6, v175
	v_fmac_f32_e32 v218, v157, v195
	v_add_f32_e32 v3, v3, v217
	s_waitcnt vmcnt(2)
	v_fma_f32 v4, v6, v196, -v4
	v_add_f32_e32 v2, v2, v5
	v_fmac_f32_e32 v219, v7, v196
	v_add_f32_e32 v3, v3, v218
	v_add_f32_e32 v2, v2, v4
	;; [unrolled: 1-line block ×3, first 2 shown]
	s_waitcnt vmcnt(1)
	v_sub_f32_e32 v2, v197, v2
	s_waitcnt vmcnt(0)
	v_sub_f32_e32 v3, v198, v3
	buffer_store_dword v2, off, s[0:3], 0 offset:264
	buffer_store_dword v3, off, s[0:3], 0 offset:268
	v_cmpx_lt_u32_e32 32, v0
	s_cbranch_execz .LBB54_279
; %bb.278:
	s_clause 0x1
	buffer_load_dword v2, off, s[0:3], 0 offset:256
	buffer_load_dword v3, off, s[0:3], 0 offset:260
	buffer_store_dword v1, off, s[0:3], 0 offset:256
	buffer_store_dword v1, off, s[0:3], 0 offset:260
	s_waitcnt vmcnt(0)
	ds_write_b64 v9, v[2:3]
.LBB54_279:
	s_or_b32 exec_lo, exec_lo, s4
	s_waitcnt lgkmcnt(0)
	s_waitcnt_vscnt null, 0x0
	s_barrier
	buffer_gl0_inv
	s_clause 0x2d
	buffer_load_dword v6, off, s[0:3], 0 offset:268
	buffer_load_dword v7, off, s[0:3], 0 offset:276
	;; [unrolled: 1-line block ×46, first 2 shown]
	ds_read2_b64 v[2:5], v1 offset0:89 offset1:90
	ds_read2_b64 v[122:125], v1 offset0:91 offset1:92
	;; [unrolled: 1-line block ×11, first 2 shown]
	s_mov_b32 s4, exec_lo
	s_waitcnt vmcnt(45) lgkmcnt(10)
	v_mul_f32_e32 v1, v2, v6
	v_mul_f32_e32 v6, v3, v6
	s_waitcnt vmcnt(44)
	v_mul_f32_e32 v203, v4, v7
	v_mul_f32_e32 v7, v5, v7
	s_waitcnt vmcnt(43) lgkmcnt(9)
	v_mul_f32_e32 v204, v122, v8
	s_waitcnt vmcnt(42)
	v_mul_f32_e32 v205, v124, v10
	s_waitcnt vmcnt(41) lgkmcnt(8)
	v_mul_f32_e32 v206, v126, v11
	s_waitcnt vmcnt(40)
	;; [unrolled: 4-line block ×9, first 2 shown]
	v_mul_f32_e32 v221, v156, v176
	s_waitcnt vmcnt(23)
	v_fma_f32 v2, v2, v179, -v6
	v_fmac_f32_e32 v1, v3, v179
	v_mul_f32_e32 v3, v123, v8
	s_waitcnt vmcnt(22)
	v_fma_f32 v4, v4, v180, -v7
	v_fmac_f32_e32 v203, v5, v180
	v_add_f32_e32 v2, 0, v2
	v_add_f32_e32 v1, 0, v1
	v_mul_f32_e32 v5, v125, v10
	s_waitcnt vmcnt(21)
	v_fma_f32 v3, v122, v181, -v3
	v_fmac_f32_e32 v204, v123, v181
	v_add_f32_e32 v2, v2, v4
	v_add_f32_e32 v1, v1, v203
	;; [unrolled: 6-line block ×18, first 2 shown]
	s_waitcnt lgkmcnt(0)
	v_mul_f32_e32 v3, v159, v177
	s_waitcnt vmcnt(4)
	v_fma_f32 v4, v156, v198, -v4
	v_mul_f32_e32 v222, v158, v177
	v_add_f32_e32 v2, v2, v5
	v_fmac_f32_e32 v221, v157, v198
	v_add_f32_e32 v1, v1, v220
	v_mul_f32_e32 v5, v161, v178
	s_waitcnt vmcnt(3)
	v_fma_f32 v3, v158, v199, -v3
	v_add_f32_e32 v2, v2, v4
	v_mul_f32_e32 v223, v160, v178
	v_fmac_f32_e32 v222, v159, v199
	v_add_f32_e32 v1, v1, v221
	s_waitcnt vmcnt(2)
	v_fma_f32 v4, v160, v200, -v5
	v_add_f32_e32 v2, v2, v3
	v_fmac_f32_e32 v223, v161, v200
	v_add_f32_e32 v1, v1, v222
	v_add_f32_e32 v2, v2, v4
	;; [unrolled: 1-line block ×3, first 2 shown]
	s_waitcnt vmcnt(1)
	v_sub_f32_e32 v2, v201, v2
	s_waitcnt vmcnt(0)
	v_sub_f32_e32 v1, v202, v1
	buffer_store_dword v2, off, s[0:3], 0 offset:256
	buffer_store_dword v1, off, s[0:3], 0 offset:260
	v_cmpx_lt_u32_e32 31, v0
	s_cbranch_execz .LBB54_281
; %bb.280:
	s_clause 0x1
	buffer_load_dword v1, off, s[0:3], 0 offset:248
	buffer_load_dword v2, off, s[0:3], 0 offset:252
	v_mov_b32_e32 v3, 0
	buffer_store_dword v3, off, s[0:3], 0 offset:248
	buffer_store_dword v3, off, s[0:3], 0 offset:252
	s_waitcnt vmcnt(0)
	ds_write_b64 v9, v[1:2]
.LBB54_281:
	s_or_b32 exec_lo, exec_lo, s4
	s_waitcnt lgkmcnt(0)
	s_waitcnt_vscnt null, 0x0
	s_barrier
	buffer_gl0_inv
	s_clause 0x2f
	buffer_load_dword v8, off, s[0:3], 0 offset:260
	buffer_load_dword v10, off, s[0:3], 0 offset:268
	;; [unrolled: 1-line block ×48, first 2 shown]
	v_mov_b32_e32 v1, 0
	ds_read_b128 v[2:5], v1 offset:704
	ds_read_b128 v[122:125], v1 offset:720
	;; [unrolled: 1-line block ×11, first 2 shown]
	ds_read_b64 v[6:7], v1 offset:880
	s_mov_b32 s4, exec_lo
	s_waitcnt vmcnt(47) lgkmcnt(11)
	v_mul_f32_e32 v207, v2, v8
	v_mul_f32_e32 v8, v3, v8
	s_waitcnt vmcnt(46)
	v_mul_f32_e32 v208, v4, v10
	v_mul_f32_e32 v10, v5, v10
	s_waitcnt vmcnt(45) lgkmcnt(10)
	v_mul_f32_e32 v209, v122, v11
	s_waitcnt vmcnt(44)
	v_mul_f32_e32 v210, v124, v162
	s_waitcnt vmcnt(43) lgkmcnt(9)
	v_mul_f32_e32 v211, v126, v163
	s_waitcnt vmcnt(42)
	;; [unrolled: 4-line block ×10, first 2 shown]
	v_fma_f32 v2, v2, v182, -v8
	v_fmac_f32_e32 v207, v3, v182
	v_mul_f32_e32 v3, v123, v11
	s_waitcnt vmcnt(23)
	v_fma_f32 v4, v4, v183, -v10
	v_fmac_f32_e32 v208, v5, v183
	v_add_f32_e32 v2, 0, v2
	v_add_f32_e32 v5, 0, v207
	v_mul_f32_e32 v8, v125, v162
	s_waitcnt vmcnt(22)
	v_fma_f32 v3, v122, v184, -v3
	v_fmac_f32_e32 v209, v123, v184
	v_add_f32_e32 v2, v2, v4
	v_add_f32_e32 v4, v5, v208
	;; [unrolled: 6-line block ×19, first 2 shown]
	v_mul_f32_e32 v8, v161, v180
	s_waitcnt vmcnt(4)
	v_fma_f32 v4, v158, v202, -v4
	v_mul_f32_e32 v228, v160, v180
	v_add_f32_e32 v2, v2, v5
	v_fmac_f32_e32 v227, v159, v202
	v_add_f32_e32 v3, v3, v226
	s_waitcnt lgkmcnt(0)
	v_mul_f32_e32 v5, v7, v181
	s_waitcnt vmcnt(3)
	v_fma_f32 v8, v160, v203, -v8
	v_add_f32_e32 v2, v2, v4
	v_mul_f32_e32 v229, v6, v181
	v_fmac_f32_e32 v228, v161, v203
	v_add_f32_e32 v3, v3, v227
	s_waitcnt vmcnt(2)
	v_fma_f32 v4, v6, v204, -v5
	v_add_f32_e32 v2, v2, v8
	v_fmac_f32_e32 v229, v7, v204
	v_add_f32_e32 v3, v3, v228
	v_add_f32_e32 v2, v2, v4
	;; [unrolled: 1-line block ×3, first 2 shown]
	s_waitcnt vmcnt(1)
	v_sub_f32_e32 v2, v205, v2
	s_waitcnt vmcnt(0)
	v_sub_f32_e32 v3, v206, v3
	buffer_store_dword v2, off, s[0:3], 0 offset:248
	buffer_store_dword v3, off, s[0:3], 0 offset:252
	v_cmpx_lt_u32_e32 30, v0
	s_cbranch_execz .LBB54_283
; %bb.282:
	s_clause 0x1
	buffer_load_dword v2, off, s[0:3], 0 offset:240
	buffer_load_dword v3, off, s[0:3], 0 offset:244
	buffer_store_dword v1, off, s[0:3], 0 offset:240
	buffer_store_dword v1, off, s[0:3], 0 offset:244
	s_waitcnt vmcnt(0)
	ds_write_b64 v9, v[2:3]
.LBB54_283:
	s_or_b32 exec_lo, exec_lo, s4
	s_waitcnt lgkmcnt(0)
	s_waitcnt_vscnt null, 0x0
	s_barrier
	buffer_gl0_inv
	s_clause 0x31
	buffer_load_dword v6, off, s[0:3], 0 offset:252
	buffer_load_dword v7, off, s[0:3], 0 offset:260
	;; [unrolled: 1-line block ×50, first 2 shown]
	ds_read2_b64 v[2:5], v1 offset0:87 offset1:88
	ds_read2_b64 v[122:125], v1 offset0:89 offset1:90
	;; [unrolled: 1-line block ×12, first 2 shown]
	s_mov_b32 s4, exec_lo
	s_waitcnt vmcnt(49) lgkmcnt(11)
	v_mul_f32_e32 v1, v2, v6
	v_mul_f32_e32 v6, v3, v6
	s_waitcnt vmcnt(48)
	v_mul_f32_e32 v211, v4, v7
	v_mul_f32_e32 v7, v5, v7
	s_waitcnt vmcnt(47) lgkmcnt(10)
	v_mul_f32_e32 v212, v122, v8
	s_waitcnt vmcnt(46)
	v_mul_f32_e32 v213, v124, v10
	s_waitcnt vmcnt(45) lgkmcnt(9)
	v_mul_f32_e32 v214, v126, v11
	s_waitcnt vmcnt(44)
	;; [unrolled: 4-line block ×10, first 2 shown]
	v_mul_f32_e32 v231, v160, v182
	s_waitcnt vmcnt(25)
	v_fma_f32 v2, v2, v185, -v6
	v_fmac_f32_e32 v1, v3, v185
	v_mul_f32_e32 v3, v123, v8
	s_waitcnt vmcnt(24)
	v_fma_f32 v4, v4, v186, -v7
	v_fmac_f32_e32 v211, v5, v186
	v_add_f32_e32 v2, 0, v2
	v_add_f32_e32 v1, 0, v1
	v_mul_f32_e32 v5, v125, v10
	s_waitcnt vmcnt(23)
	v_fma_f32 v3, v122, v187, -v3
	v_fmac_f32_e32 v212, v123, v187
	v_add_f32_e32 v2, v2, v4
	v_add_f32_e32 v1, v1, v211
	;; [unrolled: 6-line block ×20, first 2 shown]
	s_waitcnt lgkmcnt(0)
	v_mul_f32_e32 v4, v163, v183
	s_waitcnt vmcnt(4)
	v_fma_f32 v5, v160, v206, -v5
	v_mul_f32_e32 v232, v162, v183
	v_add_f32_e32 v2, v2, v3
	v_fmac_f32_e32 v231, v161, v206
	v_add_f32_e32 v1, v1, v230
	v_mul_f32_e32 v3, v165, v184
	s_waitcnt vmcnt(3)
	v_fma_f32 v4, v162, v207, -v4
	v_add_f32_e32 v2, v2, v5
	v_mul_f32_e32 v233, v164, v184
	v_fmac_f32_e32 v232, v163, v207
	v_add_f32_e32 v1, v1, v231
	s_waitcnt vmcnt(2)
	v_fma_f32 v3, v164, v208, -v3
	v_add_f32_e32 v2, v2, v4
	v_fmac_f32_e32 v233, v165, v208
	v_add_f32_e32 v1, v1, v232
	v_add_f32_e32 v2, v2, v3
	;; [unrolled: 1-line block ×3, first 2 shown]
	s_waitcnt vmcnt(1)
	v_sub_f32_e32 v2, v209, v2
	s_waitcnt vmcnt(0)
	v_sub_f32_e32 v1, v210, v1
	buffer_store_dword v2, off, s[0:3], 0 offset:240
	buffer_store_dword v1, off, s[0:3], 0 offset:244
	v_cmpx_lt_u32_e32 29, v0
	s_cbranch_execz .LBB54_285
; %bb.284:
	s_clause 0x1
	buffer_load_dword v1, off, s[0:3], 0 offset:232
	buffer_load_dword v2, off, s[0:3], 0 offset:236
	v_mov_b32_e32 v3, 0
	buffer_store_dword v3, off, s[0:3], 0 offset:232
	buffer_store_dword v3, off, s[0:3], 0 offset:236
	s_waitcnt vmcnt(0)
	ds_write_b64 v9, v[1:2]
.LBB54_285:
	s_or_b32 exec_lo, exec_lo, s4
	s_waitcnt lgkmcnt(0)
	s_waitcnt_vscnt null, 0x0
	s_barrier
	buffer_gl0_inv
	s_clause 0x33
	buffer_load_dword v8, off, s[0:3], 0 offset:244
	buffer_load_dword v10, off, s[0:3], 0 offset:252
	;; [unrolled: 1-line block ×52, first 2 shown]
	v_mov_b32_e32 v1, 0
	ds_read_b128 v[2:5], v1 offset:688
	ds_read_b128 v[122:125], v1 offset:704
	;; [unrolled: 1-line block ×12, first 2 shown]
	ds_read_b64 v[6:7], v1 offset:880
	s_mov_b32 s4, exec_lo
	s_waitcnt vmcnt(51) lgkmcnt(12)
	v_mul_f32_e32 v215, v2, v8
	v_mul_f32_e32 v8, v3, v8
	s_waitcnt vmcnt(50)
	v_mul_f32_e32 v216, v4, v10
	v_mul_f32_e32 v10, v5, v10
	s_waitcnt vmcnt(49) lgkmcnt(11)
	v_mul_f32_e32 v217, v122, v11
	s_waitcnt vmcnt(48)
	v_mul_f32_e32 v218, v124, v166
	s_waitcnt vmcnt(47) lgkmcnt(10)
	v_mul_f32_e32 v219, v126, v167
	s_waitcnt vmcnt(46)
	;; [unrolled: 4-line block ×11, first 2 shown]
	v_fma_f32 v2, v2, v188, -v8
	v_fmac_f32_e32 v215, v3, v188
	v_mul_f32_e32 v3, v123, v11
	s_waitcnt vmcnt(25)
	v_fma_f32 v4, v4, v189, -v10
	v_fmac_f32_e32 v216, v5, v189
	v_add_f32_e32 v2, 0, v2
	v_add_f32_e32 v5, 0, v215
	v_mul_f32_e32 v8, v125, v166
	s_waitcnt vmcnt(24)
	v_fma_f32 v3, v122, v190, -v3
	v_fmac_f32_e32 v217, v123, v190
	v_add_f32_e32 v2, v2, v4
	v_add_f32_e32 v4, v5, v216
	;; [unrolled: 6-line block ×21, first 2 shown]
	v_mul_f32_e32 v4, v165, v186
	s_waitcnt vmcnt(4)
	v_fma_f32 v5, v162, v210, -v5
	v_mul_f32_e32 v238, v164, v186
	v_add_f32_e32 v2, v2, v8
	v_fmac_f32_e32 v237, v163, v210
	v_add_f32_e32 v3, v3, v236
	s_waitcnt lgkmcnt(0)
	v_mul_f32_e32 v8, v7, v187
	s_waitcnt vmcnt(3)
	v_fma_f32 v4, v164, v211, -v4
	v_add_f32_e32 v2, v2, v5
	v_mul_f32_e32 v239, v6, v187
	v_fmac_f32_e32 v238, v165, v211
	v_add_f32_e32 v3, v3, v237
	s_waitcnt vmcnt(2)
	v_fma_f32 v5, v6, v212, -v8
	v_add_f32_e32 v2, v2, v4
	v_fmac_f32_e32 v239, v7, v212
	v_add_f32_e32 v3, v3, v238
	v_add_f32_e32 v2, v2, v5
	;; [unrolled: 1-line block ×3, first 2 shown]
	s_waitcnt vmcnt(1)
	v_sub_f32_e32 v2, v213, v2
	s_waitcnt vmcnt(0)
	v_sub_f32_e32 v3, v214, v3
	buffer_store_dword v2, off, s[0:3], 0 offset:232
	buffer_store_dword v3, off, s[0:3], 0 offset:236
	v_cmpx_lt_u32_e32 28, v0
	s_cbranch_execz .LBB54_287
; %bb.286:
	s_clause 0x1
	buffer_load_dword v2, off, s[0:3], 0 offset:224
	buffer_load_dword v3, off, s[0:3], 0 offset:228
	buffer_store_dword v1, off, s[0:3], 0 offset:224
	buffer_store_dword v1, off, s[0:3], 0 offset:228
	s_waitcnt vmcnt(0)
	ds_write_b64 v9, v[2:3]
.LBB54_287:
	s_or_b32 exec_lo, exec_lo, s4
	s_waitcnt lgkmcnt(0)
	s_waitcnt_vscnt null, 0x0
	s_barrier
	buffer_gl0_inv
	s_clause 0x35
	buffer_load_dword v6, off, s[0:3], 0 offset:236
	buffer_load_dword v7, off, s[0:3], 0 offset:244
	;; [unrolled: 1-line block ×54, first 2 shown]
	ds_read2_b64 v[2:5], v1 offset0:85 offset1:86
	ds_read2_b64 v[122:125], v1 offset0:87 offset1:88
	;; [unrolled: 1-line block ×13, first 2 shown]
	s_mov_b32 s4, exec_lo
	s_waitcnt vmcnt(53) lgkmcnt(12)
	v_mul_f32_e32 v1, v2, v6
	v_mul_f32_e32 v6, v3, v6
	s_waitcnt vmcnt(52)
	v_mul_f32_e32 v219, v4, v7
	v_mul_f32_e32 v7, v5, v7
	s_waitcnt vmcnt(51) lgkmcnt(11)
	v_mul_f32_e32 v220, v122, v8
	s_waitcnt vmcnt(50)
	v_mul_f32_e32 v221, v124, v10
	s_waitcnt vmcnt(49) lgkmcnt(10)
	v_mul_f32_e32 v222, v126, v11
	s_waitcnt vmcnt(48)
	;; [unrolled: 4-line block ×11, first 2 shown]
	v_mul_f32_e32 v241, v164, v188
	s_waitcnt vmcnt(27)
	v_fma_f32 v2, v2, v191, -v6
	v_fmac_f32_e32 v1, v3, v191
	v_mul_f32_e32 v3, v123, v8
	s_waitcnt vmcnt(26)
	v_fma_f32 v4, v4, v192, -v7
	v_fmac_f32_e32 v219, v5, v192
	v_add_f32_e32 v2, 0, v2
	v_add_f32_e32 v1, 0, v1
	v_mul_f32_e32 v5, v125, v10
	s_waitcnt vmcnt(25)
	v_fma_f32 v3, v122, v193, -v3
	v_fmac_f32_e32 v220, v123, v193
	v_add_f32_e32 v2, v2, v4
	v_add_f32_e32 v1, v1, v219
	;; [unrolled: 6-line block ×22, first 2 shown]
	s_waitcnt lgkmcnt(0)
	v_mul_f32_e32 v5, v167, v189
	s_waitcnt vmcnt(4)
	v_fma_f32 v3, v164, v214, -v3
	v_mul_f32_e32 v242, v166, v189
	v_add_f32_e32 v2, v2, v4
	v_fmac_f32_e32 v241, v165, v214
	v_add_f32_e32 v1, v1, v240
	v_mul_f32_e32 v4, v169, v190
	s_waitcnt vmcnt(3)
	v_fma_f32 v5, v166, v215, -v5
	v_add_f32_e32 v2, v2, v3
	v_mul_f32_e32 v243, v168, v190
	v_fmac_f32_e32 v242, v167, v215
	v_add_f32_e32 v1, v1, v241
	s_waitcnt vmcnt(2)
	v_fma_f32 v3, v168, v216, -v4
	v_add_f32_e32 v2, v2, v5
	v_fmac_f32_e32 v243, v169, v216
	v_add_f32_e32 v1, v1, v242
	v_add_f32_e32 v2, v2, v3
	;; [unrolled: 1-line block ×3, first 2 shown]
	s_waitcnt vmcnt(1)
	v_sub_f32_e32 v2, v217, v2
	s_waitcnt vmcnt(0)
	v_sub_f32_e32 v1, v218, v1
	buffer_store_dword v2, off, s[0:3], 0 offset:224
	buffer_store_dword v1, off, s[0:3], 0 offset:228
	v_cmpx_lt_u32_e32 27, v0
	s_cbranch_execz .LBB54_289
; %bb.288:
	s_clause 0x1
	buffer_load_dword v1, off, s[0:3], 0 offset:216
	buffer_load_dword v2, off, s[0:3], 0 offset:220
	v_mov_b32_e32 v3, 0
	buffer_store_dword v3, off, s[0:3], 0 offset:216
	buffer_store_dword v3, off, s[0:3], 0 offset:220
	s_waitcnt vmcnt(0)
	ds_write_b64 v9, v[1:2]
.LBB54_289:
	s_or_b32 exec_lo, exec_lo, s4
	s_waitcnt lgkmcnt(0)
	s_waitcnt_vscnt null, 0x0
	s_barrier
	buffer_gl0_inv
	s_clause 0x37
	buffer_load_dword v8, off, s[0:3], 0 offset:228
	buffer_load_dword v10, off, s[0:3], 0 offset:236
	;; [unrolled: 1-line block ×56, first 2 shown]
	v_mov_b32_e32 v1, 0
	ds_read_b128 v[2:5], v1 offset:672
	ds_read_b128 v[122:125], v1 offset:688
	;; [unrolled: 1-line block ×13, first 2 shown]
	ds_read_b64 v[6:7], v1 offset:880
	s_mov_b32 s4, exec_lo
	s_waitcnt vmcnt(55) lgkmcnt(13)
	v_mul_f32_e32 v223, v2, v8
	v_mul_f32_e32 v8, v3, v8
	s_waitcnt vmcnt(54)
	v_mul_f32_e32 v224, v4, v10
	v_mul_f32_e32 v10, v5, v10
	s_waitcnt vmcnt(53) lgkmcnt(12)
	v_mul_f32_e32 v225, v122, v11
	s_waitcnt vmcnt(52)
	v_mul_f32_e32 v226, v124, v170
	s_waitcnt vmcnt(51) lgkmcnt(11)
	v_mul_f32_e32 v227, v126, v171
	s_waitcnt vmcnt(50)
	;; [unrolled: 4-line block ×12, first 2 shown]
	v_fma_f32 v2, v2, v194, -v8
	v_fmac_f32_e32 v223, v3, v194
	v_mul_f32_e32 v3, v123, v11
	s_waitcnt vmcnt(27)
	v_fma_f32 v4, v4, v195, -v10
	v_fmac_f32_e32 v224, v5, v195
	v_add_f32_e32 v2, 0, v2
	v_add_f32_e32 v5, 0, v223
	v_mul_f32_e32 v8, v125, v170
	s_waitcnt vmcnt(26)
	v_fma_f32 v3, v122, v196, -v3
	v_fmac_f32_e32 v225, v123, v196
	v_add_f32_e32 v2, v2, v4
	v_add_f32_e32 v4, v5, v224
	;; [unrolled: 6-line block ×23, first 2 shown]
	v_mul_f32_e32 v5, v169, v192
	s_waitcnt vmcnt(4)
	v_fma_f32 v8, v166, v218, -v8
	v_mul_f32_e32 v248, v168, v192
	v_add_f32_e32 v2, v2, v4
	v_fmac_f32_e32 v247, v167, v218
	v_add_f32_e32 v3, v3, v246
	s_waitcnt lgkmcnt(0)
	v_mul_f32_e32 v4, v7, v193
	s_waitcnt vmcnt(3)
	v_fma_f32 v5, v168, v219, -v5
	v_add_f32_e32 v2, v2, v8
	v_mul_f32_e32 v249, v6, v193
	v_fmac_f32_e32 v248, v169, v219
	v_add_f32_e32 v3, v3, v247
	s_waitcnt vmcnt(2)
	v_fma_f32 v4, v6, v220, -v4
	v_add_f32_e32 v2, v2, v5
	v_fmac_f32_e32 v249, v7, v220
	v_add_f32_e32 v3, v3, v248
	v_add_f32_e32 v2, v2, v4
	;; [unrolled: 1-line block ×3, first 2 shown]
	s_waitcnt vmcnt(1)
	v_sub_f32_e32 v2, v221, v2
	s_waitcnt vmcnt(0)
	v_sub_f32_e32 v3, v222, v3
	buffer_store_dword v2, off, s[0:3], 0 offset:216
	buffer_store_dword v3, off, s[0:3], 0 offset:220
	v_cmpx_lt_u32_e32 26, v0
	s_cbranch_execz .LBB54_291
; %bb.290:
	s_clause 0x1
	buffer_load_dword v2, off, s[0:3], 0 offset:208
	buffer_load_dword v3, off, s[0:3], 0 offset:212
	buffer_store_dword v1, off, s[0:3], 0 offset:208
	buffer_store_dword v1, off, s[0:3], 0 offset:212
	s_waitcnt vmcnt(0)
	ds_write_b64 v9, v[2:3]
.LBB54_291:
	s_or_b32 exec_lo, exec_lo, s4
	s_waitcnt lgkmcnt(0)
	s_waitcnt_vscnt null, 0x0
	s_barrier
	buffer_gl0_inv
	s_clause 0x39
	buffer_load_dword v6, off, s[0:3], 0 offset:220
	buffer_load_dword v7, off, s[0:3], 0 offset:228
	;; [unrolled: 1-line block ×58, first 2 shown]
	ds_read2_b64 v[2:5], v1 offset0:83 offset1:84
	ds_read2_b64 v[122:125], v1 offset0:85 offset1:86
	;; [unrolled: 1-line block ×14, first 2 shown]
	s_mov_b32 s4, exec_lo
	s_waitcnt vmcnt(57) lgkmcnt(13)
	v_mul_f32_e32 v1, v2, v6
	v_mul_f32_e32 v6, v3, v6
	s_waitcnt vmcnt(56)
	v_mul_f32_e32 v227, v4, v7
	v_mul_f32_e32 v7, v5, v7
	s_waitcnt vmcnt(55) lgkmcnt(12)
	v_mul_f32_e32 v228, v122, v8
	s_waitcnt vmcnt(54)
	v_mul_f32_e32 v229, v124, v10
	s_waitcnt vmcnt(53) lgkmcnt(11)
	v_mul_f32_e32 v230, v126, v11
	s_waitcnt vmcnt(52)
	;; [unrolled: 4-line block ×12, first 2 shown]
	v_mul_f32_e32 v251, v168, v194
	s_waitcnt vmcnt(29)
	v_fma_f32 v2, v2, v197, -v6
	v_fmac_f32_e32 v1, v3, v197
	v_mul_f32_e32 v3, v123, v8
	s_waitcnt vmcnt(28)
	v_fma_f32 v4, v4, v198, -v7
	v_fmac_f32_e32 v227, v5, v198
	v_add_f32_e32 v2, 0, v2
	v_add_f32_e32 v1, 0, v1
	v_mul_f32_e32 v5, v125, v10
	s_waitcnt vmcnt(27)
	v_fma_f32 v3, v122, v199, -v3
	v_fmac_f32_e32 v228, v123, v199
	v_add_f32_e32 v2, v2, v4
	v_add_f32_e32 v1, v1, v227
	;; [unrolled: 6-line block ×24, first 2 shown]
	s_waitcnt lgkmcnt(0)
	v_mul_f32_e32 v3, v171, v195
	s_waitcnt vmcnt(4)
	v_fma_f32 v4, v168, v222, -v4
	v_mul_f32_e32 v252, v170, v195
	v_add_f32_e32 v2, v2, v5
	v_fmac_f32_e32 v251, v169, v222
	v_add_f32_e32 v1, v1, v250
	v_mul_f32_e32 v5, v173, v196
	s_waitcnt vmcnt(3)
	v_fma_f32 v3, v170, v223, -v3
	v_add_f32_e32 v2, v2, v4
	v_mul_f32_e32 v253, v172, v196
	v_fmac_f32_e32 v252, v171, v223
	v_add_f32_e32 v1, v1, v251
	s_waitcnt vmcnt(2)
	v_fma_f32 v4, v172, v224, -v5
	v_add_f32_e32 v2, v2, v3
	v_fmac_f32_e32 v253, v173, v224
	v_add_f32_e32 v1, v1, v252
	v_add_f32_e32 v2, v2, v4
	;; [unrolled: 1-line block ×3, first 2 shown]
	s_waitcnt vmcnt(1)
	v_sub_f32_e32 v2, v225, v2
	s_waitcnt vmcnt(0)
	v_sub_f32_e32 v1, v226, v1
	buffer_store_dword v2, off, s[0:3], 0 offset:208
	buffer_store_dword v1, off, s[0:3], 0 offset:212
	v_cmpx_lt_u32_e32 25, v0
	s_cbranch_execz .LBB54_293
; %bb.292:
	s_clause 0x1
	buffer_load_dword v1, off, s[0:3], 0 offset:200
	buffer_load_dword v2, off, s[0:3], 0 offset:204
	v_mov_b32_e32 v3, 0
	buffer_store_dword v3, off, s[0:3], 0 offset:200
	buffer_store_dword v3, off, s[0:3], 0 offset:204
	s_waitcnt vmcnt(0)
	ds_write_b64 v9, v[1:2]
.LBB54_293:
	s_or_b32 exec_lo, exec_lo, s4
	s_waitcnt lgkmcnt(0)
	s_waitcnt_vscnt null, 0x0
	s_barrier
	buffer_gl0_inv
	s_clause 0x1b
	buffer_load_dword v2, off, s[0:3], 0 offset:212
	buffer_load_dword v4, off, s[0:3], 0 offset:220
	;; [unrolled: 1-line block ×28, first 2 shown]
	v_mov_b32_e32 v1, 0
	ds_read_b128 v[145:148], v1 offset:656
	ds_read_b128 v[149:152], v1 offset:672
	s_clause 0xa
	buffer_load_dword v141, off, s[0:3], 0 offset:316
	buffer_load_dword v139, off, s[0:3], 0 offset:324
	;; [unrolled: 1-line block ×11, first 2 shown]
	ds_read_b128 v[153:156], v1 offset:688
	ds_read_b128 v[157:160], v1 offset:704
	s_mov_b32 s4, exec_lo
	s_waitcnt vmcnt(38) lgkmcnt(3)
	v_mul_f32_e32 v168, v145, v2
	v_mul_f32_e32 v2, v146, v2
	s_waitcnt vmcnt(37)
	v_mul_f32_e32 v169, v147, v4
	v_mul_f32_e32 v4, v148, v4
	s_waitcnt vmcnt(36) lgkmcnt(2)
	v_mul_f32_e32 v170, v149, v6
	v_mul_f32_e32 v6, v150, v6
	s_waitcnt vmcnt(33)
	v_fmac_f32_e32 v168, v146, v8
	v_fma_f32 v8, v145, v8, -v2
	s_waitcnt vmcnt(32)
	v_mul_f32_e32 v171, v151, v7
	v_mul_f32_e32 v2, v152, v7
	v_fmac_f32_e32 v169, v148, v5
	v_fma_f32 v7, v147, v5, -v4
	v_fmac_f32_e32 v170, v150, v3
	v_fma_f32 v6, v149, v3, -v6
	s_waitcnt vmcnt(28)
	v_fmac_f32_e32 v171, v152, v128
	v_fma_f32 v128, v151, v128, -v2
	ds_read_b128 v[2:5], v1 offset:720
	ds_read_b128 v[145:148], v1 offset:736
	s_waitcnt vmcnt(27) lgkmcnt(3)
	v_mul_f32_e32 v149, v153, v127
	v_mul_f32_e32 v127, v154, v127
	s_waitcnt vmcnt(26)
	v_mul_f32_e32 v150, v155, v126
	v_mul_f32_e32 v126, v156, v126
	s_waitcnt vmcnt(24) lgkmcnt(2)
	v_mul_f32_e32 v152, v159, v124
	v_fmac_f32_e32 v149, v154, v123
	v_fma_f32 v127, v153, v123, -v127
	v_mul_f32_e32 v123, v160, v124
	v_mul_f32_e32 v151, v157, v125
	;; [unrolled: 1-line block ×3, first 2 shown]
	v_fmac_f32_e32 v150, v156, v122
	v_fma_f32 v126, v155, v122, -v126
	s_waitcnt vmcnt(20)
	v_fmac_f32_e32 v152, v160, v140
	v_fma_f32 v140, v159, v140, -v123
	s_clause 0x3
	buffer_load_dword v153, off, s[0:3], 0 offset:364
	buffer_load_dword v154, off, s[0:3], 0 offset:372
	;; [unrolled: 1-line block ×4, first 2 shown]
	v_fmac_f32_e32 v151, v158, v10
	v_fma_f32 v10, v157, v10, -v125
	s_clause 0x3
	buffer_load_dword v157, off, s[0:3], 0 offset:396
	buffer_load_dword v158, off, s[0:3], 0 offset:404
	;; [unrolled: 1-line block ×4, first 2 shown]
	s_waitcnt vmcnt(27) lgkmcnt(1)
	v_mul_f32_e32 v172, v2, v137
	v_mul_f32_e32 v122, v3, v137
	s_waitcnt vmcnt(26)
	v_mul_f32_e32 v137, v4, v135
	v_mul_f32_e32 v123, v5, v135
	s_waitcnt vmcnt(25) lgkmcnt(0)
	v_mul_f32_e32 v135, v145, v134
	v_fmac_f32_e32 v172, v3, v133
	v_fma_f32 v133, v2, v133, -v122
	v_mul_f32_e32 v122, v146, v134
	v_fmac_f32_e32 v137, v5, v131
	v_fma_f32 v131, v4, v131, -v123
	ds_read_b128 v[2:5], v1 offset:752
	s_waitcnt vmcnt(24)
	v_mul_f32_e32 v134, v147, v132
	v_mul_f32_e32 v123, v148, v132
	v_fma_f32 v145, v145, v129, -v122
	v_add_f32_e32 v122, 0, v168
	buffer_load_dword v173, off, s[0:3], 0 offset:428
	v_fmac_f32_e32 v135, v146, v129
	s_waitcnt vmcnt(21)
	v_fmac_f32_e32 v134, v148, v144
	v_fma_f32 v144, v147, v144, -v123
	s_clause 0x4
	buffer_load_dword v146, off, s[0:3], 0 offset:384
	buffer_load_dword v147, off, s[0:3], 0 offset:376
	;; [unrolled: 1-line block ×5, first 2 shown]
	v_add_f32_e32 v8, 0, v8
	v_add_f32_e32 v122, v122, v169
	;; [unrolled: 1-line block ×4, first 2 shown]
	ds_read_b128 v[122:125], v1 offset:768
	v_add_f32_e32 v6, v7, v6
	s_waitcnt vmcnt(25) lgkmcnt(1)
	v_mul_f32_e32 v7, v2, v143
	v_add_f32_e32 v8, v8, v171
	v_mul_f32_e32 v129, v3, v143
	v_fmac_f32_e32 v7, v3, v142
	v_add_f32_e32 v3, v8, v149
	s_clause 0x3
	buffer_load_dword v8, off, s[0:3], 0 offset:416
	buffer_load_dword v143, off, s[0:3], 0 offset:408
	buffer_load_dword v149, off, s[0:3], 0 offset:400
	buffer_load_dword v169, off, s[0:3], 0 offset:392
	v_fma_f32 v142, v2, v142, -v129
	v_add_f32_e32 v2, v6, v128
	v_add_f32_e32 v3, v3, v150
	s_clause 0x2
	buffer_load_dword v150, off, s[0:3], 0 offset:432
	buffer_load_dword v170, off, s[0:3], 0 offset:424
	buffer_load_dword v171, off, s[0:3], 0 offset:200
	v_add_f32_e32 v2, v2, v127
	v_add_f32_e32 v6, v3, v151
	s_waitcnt vmcnt(31)
	v_mul_f32_e32 v151, v4, v141
	v_mul_f32_e32 v3, v5, v141
	v_add_f32_e32 v2, v2, v126
	s_waitcnt vmcnt(30) lgkmcnt(0)
	v_mul_f32_e32 v132, v123, v139
	v_add_f32_e32 v6, v6, v152
	v_fmac_f32_e32 v151, v5, v138
	v_fma_f32 v138, v4, v138, -v3
	v_add_f32_e32 v10, v2, v10
	ds_read_b128 v[2:5], v1 offset:784
	ds_read_b128 v[126:129], v1 offset:800
	v_add_f32_e32 v6, v6, v172
	v_fma_f32 v141, v122, v130, -v132
	v_add_f32_e32 v10, v10, v140
	v_mul_f32_e32 v140, v122, v139
	s_waitcnt vmcnt(29)
	v_mul_f32_e32 v139, v124, v136
	v_add_f32_e32 v6, v6, v137
	v_add_f32_e32 v10, v10, v133
	v_mul_f32_e32 v133, v125, v136
	v_fmac_f32_e32 v140, v123, v130
	v_add_f32_e32 v6, v6, v135
	s_waitcnt vmcnt(22)
	v_fmac_f32_e32 v139, v125, v166
	v_add_f32_e32 v10, v10, v131
	v_fma_f32 v152, v124, v166, -v133
	ds_read_b128 v[122:125], v1 offset:816
	ds_read_b128 v[130:133], v1 offset:832
	v_add_f32_e32 v10, v10, v145
	s_waitcnt lgkmcnt(3)
	v_mul_f32_e32 v145, v2, v161
	v_mul_f32_e32 v136, v3, v161
	;; [unrolled: 1-line block ×3, first 2 shown]
	v_add_f32_e32 v10, v10, v144
	v_fmac_f32_e32 v145, v3, v11
	v_fma_f32 v11, v2, v11, -v136
	v_add_f32_e32 v2, v6, v134
	v_mul_f32_e32 v144, v5, v163
	v_add_f32_e32 v6, v10, v142
	v_fmac_f32_e32 v161, v5, v162
	ds_read_b128 v[134:137], v1 offset:848
	v_add_f32_e32 v142, v2, v7
	v_fma_f32 v10, v4, v162, -v144
	v_add_f32_e32 v138, v6, v138
	s_waitcnt lgkmcnt(3)
	v_mul_f32_e32 v144, v126, v164
	ds_read_b128 v[2:5], v1 offset:864
	v_add_f32_e32 v142, v142, v151
	ds_read_b64 v[6:7], v1 offset:880
	v_add_f32_e32 v138, v138, v141
	v_mul_f32_e32 v141, v127, v164
	v_fmac_f32_e32 v144, v127, v165
	v_add_f32_e32 v140, v142, v140
	v_add_f32_e32 v138, v138, v152
	v_fma_f32 v126, v126, v165, -v141
	v_add_f32_e32 v139, v140, v139
	v_add_f32_e32 v11, v138, v11
	;; [unrolled: 1-line block ×7, first 2 shown]
	s_waitcnt vmcnt(20)
	v_mul_f32_e32 v151, v128, v153
	v_mul_f32_e32 v153, v129, v153
	s_waitcnt vmcnt(19) lgkmcnt(4)
	v_mul_f32_e32 v145, v123, v154
	v_mul_f32_e32 v142, v122, v154
	s_waitcnt vmcnt(18)
	v_mul_f32_e32 v152, v124, v155
	s_waitcnt vmcnt(17) lgkmcnt(3)
	v_mul_f32_e32 v162, v130, v156
	s_waitcnt vmcnt(16)
	v_mul_f32_e32 v140, v132, v157
	s_waitcnt vmcnt(15) lgkmcnt(2)
	;; [unrolled: 4-line block ×3, first 2 shown]
	v_mul_f32_e32 v141, v2, v160
	s_waitcnt vmcnt(11)
	v_fmac_f32_e32 v162, v131, v146
	s_waitcnt vmcnt(10)
	v_fmac_f32_e32 v152, v125, v147
	s_waitcnt vmcnt(9)
	v_fma_f32 v122, v122, v148, -v145
	s_waitcnt vmcnt(8)
	v_fma_f32 v128, v128, v168, -v153
	v_fmac_f32_e32 v151, v129, v168
	v_mul_f32_e32 v129, v125, v155
	v_fmac_f32_e32 v142, v123, v148
	v_mul_f32_e32 v11, v4, v173
	v_add_f32_e32 v10, v10, v128
	v_add_f32_e32 v123, v126, v151
	v_mul_f32_e32 v126, v131, v156
	v_fma_f32 v124, v124, v147, -v129
	s_waitcnt vmcnt(7) lgkmcnt(0)
	v_mul_f32_e32 v154, v6, v174
	v_add_f32_e32 v10, v10, v122
	v_add_f32_e32 v122, v123, v142
	v_mul_f32_e32 v123, v133, v157
	v_fma_f32 v125, v130, v146, -v126
	v_add_f32_e32 v10, v10, v124
	v_add_f32_e32 v122, v122, v152
	v_mul_f32_e32 v124, v135, v158
	s_waitcnt vmcnt(5)
	v_fmac_f32_e32 v127, v137, v143
	s_waitcnt vmcnt(4)
	v_fmac_f32_e32 v138, v135, v149
	s_waitcnt vmcnt(3)
	v_fma_f32 v123, v132, v169, -v123
	v_add_f32_e32 v10, v10, v125
	v_fmac_f32_e32 v140, v133, v169
	v_add_f32_e32 v122, v122, v162
	v_mul_f32_e32 v125, v137, v159
	v_fma_f32 v124, v134, v149, -v124
	v_add_f32_e32 v10, v10, v123
	v_mul_f32_e32 v123, v3, v160
	v_add_f32_e32 v122, v122, v140
	v_fma_f32 v125, v136, v143, -v125
	v_fmac_f32_e32 v141, v3, v8
	v_add_f32_e32 v10, v10, v124
	v_mul_f32_e32 v124, v5, v173
	v_add_f32_e32 v122, v122, v138
	v_fma_f32 v2, v2, v8, -v123
	s_waitcnt vmcnt(1)
	v_fmac_f32_e32 v11, v5, v170
	v_add_f32_e32 v3, v10, v125
	v_mul_f32_e32 v10, v7, v174
	v_add_f32_e32 v8, v122, v127
	v_fma_f32 v4, v4, v170, -v124
	v_fmac_f32_e32 v154, v7, v150
	v_add_f32_e32 v2, v3, v2
	v_fma_f32 v5, v6, v150, -v10
	v_add_f32_e32 v3, v8, v141
	v_add_f32_e32 v2, v2, v4
	;; [unrolled: 1-line block ×5, first 2 shown]
	s_waitcnt vmcnt(0)
	v_sub_f32_e32 v2, v171, v2
	v_sub_f32_e32 v3, v167, v3
	buffer_store_dword v2, off, s[0:3], 0 offset:200
	buffer_store_dword v3, off, s[0:3], 0 offset:204
	v_cmpx_lt_u32_e32 24, v0
	s_cbranch_execz .LBB54_295
; %bb.294:
	s_clause 0x1
	buffer_load_dword v2, off, s[0:3], 0 offset:192
	buffer_load_dword v3, off, s[0:3], 0 offset:196
	buffer_store_dword v1, off, s[0:3], 0 offset:192
	buffer_store_dword v1, off, s[0:3], 0 offset:196
	s_waitcnt vmcnt(0)
	ds_write_b64 v9, v[2:3]
.LBB54_295:
	s_or_b32 exec_lo, exec_lo, s4
	s_waitcnt lgkmcnt(0)
	s_waitcnt_vscnt null, 0x0
	s_barrier
	buffer_gl0_inv
	s_clause 0x1b
	buffer_load_dword v3, off, s[0:3], 0 offset:204
	buffer_load_dword v4, off, s[0:3], 0 offset:212
	;; [unrolled: 1-line block ×28, first 2 shown]
	ds_read2_b64 v[143:146], v1 offset0:81 offset1:82
	ds_read2_b64 v[147:150], v1 offset0:83 offset1:84
	s_clause 0x1
	buffer_load_dword v139, off, s[0:3], 0 offset:308
	buffer_load_dword v136, off, s[0:3], 0 offset:316
	ds_read2_b64 v[151:154], v1 offset0:85 offset1:86
	ds_read2_b64 v[155:158], v1 offset0:87 offset1:88
	;; [unrolled: 1-line block ×3, first 2 shown]
	buffer_load_dword v163, off, s[0:3], 0 offset:196
	s_mov_b32 s4, exec_lo
	s_waitcnt vmcnt(30) lgkmcnt(4)
	v_mul_f32_e32 v164, v143, v3
	s_waitcnt vmcnt(29)
	v_mul_f32_e32 v165, v145, v4
	v_mul_f32_e32 v3, v144, v3
	;; [unrolled: 1-line block ×3, first 2 shown]
	s_waitcnt vmcnt(28) lgkmcnt(3)
	v_mul_f32_e32 v166, v147, v5
	v_mul_f32_e32 v5, v148, v5
	s_waitcnt vmcnt(24)
	v_fmac_f32_e32 v164, v144, v8
	v_fmac_f32_e32 v165, v146, v7
	v_fma_f32 v8, v143, v8, -v3
	v_fma_f32 v7, v145, v7, -v4
	s_clause 0x7
	buffer_load_dword v143, off, s[0:3], 0 offset:324
	buffer_load_dword v144, off, s[0:3], 0 offset:328
	;; [unrolled: 1-line block ×8, first 2 shown]
	v_fmac_f32_e32 v166, v148, v2
	v_fma_f32 v147, v147, v2, -v5
	ds_read2_b64 v[2:5], v1 offset0:91 offset1:92
	v_mul_f32_e32 v167, v149, v6
	v_mul_f32_e32 v6, v150, v6
	s_waitcnt vmcnt(26) lgkmcnt(3)
	v_mul_f32_e32 v148, v153, v126
	v_mul_f32_e32 v126, v154, v126
	v_add_f32_e32 v8, 0, v8
	v_fmac_f32_e32 v167, v150, v127
	v_fma_f32 v6, v149, v127, -v6
	v_mul_f32_e32 v127, v151, v125
	v_mul_f32_e32 v125, v152, v125
	s_waitcnt vmcnt(25) lgkmcnt(2)
	v_mul_f32_e32 v149, v155, v124
	v_mul_f32_e32 v124, v156, v124
	s_waitcnt vmcnt(24)
	v_mul_f32_e32 v150, v157, v123
	v_mul_f32_e32 v123, v158, v123
	v_fmac_f32_e32 v127, v152, v122
	v_fma_f32 v122, v151, v122, -v125
	v_fmac_f32_e32 v148, v154, v11
	v_fma_f32 v11, v153, v11, -v126
	s_waitcnt vmcnt(23) lgkmcnt(1)
	v_mul_f32_e32 v126, v159, v128
	s_waitcnt vmcnt(22)
	v_mul_f32_e32 v151, v161, v131
	v_mul_f32_e32 v125, v160, v128
	;; [unrolled: 1-line block ×3, first 2 shown]
	v_fmac_f32_e32 v149, v156, v10
	v_fma_f32 v10, v155, v10, -v124
	s_waitcnt vmcnt(18)
	v_fmac_f32_e32 v150, v158, v138
	v_fma_f32 v131, v157, v138, -v123
	s_clause 0x7
	buffer_load_dword v152, off, s[0:3], 0 offset:356
	buffer_load_dword v153, off, s[0:3], 0 offset:360
	;; [unrolled: 1-line block ×8, first 2 shown]
	s_waitcnt vmcnt(25) lgkmcnt(0)
	v_mul_f32_e32 v123, v3, v133
	v_add_f32_e32 v124, 0, v164
	v_mul_f32_e32 v138, v2, v133
	s_waitcnt vmcnt(24)
	v_mul_f32_e32 v164, v4, v132
	v_fmac_f32_e32 v126, v160, v135
	v_fma_f32 v133, v2, v129, -v123
	v_mul_f32_e32 v2, v5, v132
	v_add_f32_e32 v123, v124, v165
	v_fmac_f32_e32 v151, v162, v134
	v_fma_f32 v135, v159, v135, -v125
	v_fma_f32 v134, v161, v134, -v128
	s_clause 0x5
	buffer_load_dword v159, off, s[0:3], 0 offset:388
	buffer_load_dword v160, off, s[0:3], 0 offset:396
	;; [unrolled: 1-line block ×6, first 2 shown]
	v_fmac_f32_e32 v138, v3, v129
	s_waitcnt vmcnt(26)
	v_fmac_f32_e32 v164, v5, v142
	v_fma_f32 v142, v4, v142, -v2
	ds_read2_b64 v[2:5], v1 offset0:93 offset1:94
	v_add_f32_e32 v7, v8, v7
	v_add_f32_e32 v8, v123, v166
	buffer_load_dword v165, off, s[0:3], 0 offset:436
	v_add_f32_e32 v7, v7, v147
	v_add_f32_e32 v8, v8, v167
	s_clause 0x3
	buffer_load_dword v147, off, s[0:3], 0 offset:408
	buffer_load_dword v166, off, s[0:3], 0 offset:400
	buffer_load_dword v167, off, s[0:3], 0 offset:392
	buffer_load_dword v175, off, s[0:3], 0 offset:384
	v_add_f32_e32 v6, v7, v6
	v_add_f32_e32 v7, v8, v127
	;; [unrolled: 1-line block ×4, first 2 shown]
	ds_read2_b64 v[122:125], v1 offset0:95 offset1:96
	s_waitcnt vmcnt(30) lgkmcnt(1)
	v_mul_f32_e32 v8, v2, v141
	v_mul_f32_e32 v127, v3, v141
	s_waitcnt vmcnt(29)
	v_mul_f32_e32 v141, v4, v139
	v_fmac_f32_e32 v8, v3, v140
	v_fma_f32 v140, v2, v140, -v127
	v_add_f32_e32 v2, v6, v11
	v_add_f32_e32 v3, v7, v149
	s_clause 0x2
	buffer_load_dword v6, off, s[0:3], 0 offset:432
	buffer_load_dword v7, off, s[0:3], 0 offset:424
	;; [unrolled: 1-line block ×3, first 2 shown]
	v_mul_f32_e32 v127, v5, v139
	v_fmac_f32_e32 v141, v5, v137
	v_add_f32_e32 v2, v2, v10
	buffer_load_dword v10, off, s[0:3], 0 offset:192
	v_add_f32_e32 v3, v3, v150
	v_fma_f32 v139, v4, v137, -v127
	v_add_f32_e32 v128, v2, v131
	s_waitcnt vmcnt(32) lgkmcnt(0)
	v_mul_f32_e32 v148, v122, v136
	v_add_f32_e32 v131, v3, v126
	ds_read2_b64 v[2:5], v1 offset0:97 offset1:98
	v_add_f32_e32 v132, v128, v135
	ds_read2_b64 v[126:129], v1 offset0:99 offset1:100
	v_add_f32_e32 v131, v131, v151
	v_mul_f32_e32 v135, v123, v136
	v_fmac_f32_e32 v148, v123, v130
	v_add_f32_e32 v132, v132, v134
	s_waitcnt vmcnt(30)
	v_mul_f32_e32 v134, v125, v143
	v_mul_f32_e32 v149, v124, v143
	v_fma_f32 v143, v122, v130, -v135
	v_add_f32_e32 v135, v131, v138
	s_waitcnt vmcnt(28) lgkmcnt(1)
	v_mul_f32_e32 v151, v2, v145
	v_mul_f32_e32 v136, v3, v145
	s_waitcnt vmcnt(27)
	v_mul_f32_e32 v137, v5, v146
	s_waitcnt vmcnt(23)
	v_fma_f32 v150, v124, v171, -v134
	v_add_f32_e32 v134, v132, v133
	v_add_f32_e32 v135, v135, v164
	s_waitcnt lgkmcnt(0)
	v_mul_f32_e32 v138, v127, v168
	v_fmac_f32_e32 v149, v125, v171
	ds_read2_b64 v[122:125], v1 offset0:101 offset1:102
	ds_read2_b64 v[130:133], v1 offset0:103 offset1:104
	v_add_f32_e32 v134, v134, v142
	v_add_f32_e32 v8, v135, v8
	v_mul_f32_e32 v142, v4, v146
	v_mul_f32_e32 v145, v126, v168
	v_fmac_f32_e32 v151, v3, v144
	v_add_f32_e32 v140, v134, v140
	v_add_f32_e32 v8, v8, v141
	v_fmac_f32_e32 v142, v5, v170
	v_fma_f32 v144, v2, v144, -v136
	v_fma_f32 v146, v4, v170, -v137
	v_add_f32_e32 v164, v140, v139
	ds_read2_b64 v[2:5], v1 offset0:105 offset1:106
	ds_read2_b64 v[134:137], v1 offset0:107 offset1:108
	v_fma_f32 v126, v126, v169, -v138
	ds_read2_b64 v[138:141], v1 offset0:109 offset1:110
	v_add_f32_e32 v8, v8, v148
	v_add_f32_e32 v1, v164, v143
	s_waitcnt vmcnt(22)
	v_mul_f32_e32 v143, v129, v152
	v_fmac_f32_e32 v145, v127, v169
	v_mul_f32_e32 v127, v128, v152
	v_add_f32_e32 v8, v8, v149
	v_add_f32_e32 v1, v1, v150
	s_waitcnt vmcnt(20) lgkmcnt(4)
	v_mul_f32_e32 v150, v123, v154
	v_mul_f32_e32 v148, v122, v154
	s_waitcnt vmcnt(15)
	v_fma_f32 v128, v128, v172, -v143
	v_add_f32_e32 v8, v8, v151
	v_add_f32_e32 v1, v1, v144
	v_fmac_f32_e32 v127, v129, v172
	v_fma_f32 v122, v122, v153, -v150
	v_mul_f32_e32 v149, v124, v155
	v_add_f32_e32 v8, v8, v142
	v_add_f32_e32 v1, v1, v146
	v_mul_f32_e32 v142, v125, v155
	v_fmac_f32_e32 v148, v123, v153
	s_waitcnt lgkmcnt(3)
	v_mul_f32_e32 v123, v131, v156
	v_add_f32_e32 v8, v8, v145
	v_add_f32_e32 v1, v1, v126
	v_fma_f32 v124, v124, v158, -v142
	v_mul_f32_e32 v129, v130, v156
	v_fmac_f32_e32 v149, v125, v158
	v_add_f32_e32 v8, v8, v127
	v_add_f32_e32 v1, v1, v128
	v_fma_f32 v123, v130, v157, -v123
	s_waitcnt vmcnt(14)
	v_mul_f32_e32 v143, v132, v159
	v_fmac_f32_e32 v129, v131, v157
	v_add_f32_e32 v8, v8, v148
	v_add_f32_e32 v1, v1, v122
	v_mul_f32_e32 v122, v133, v159
	s_waitcnt vmcnt(13) lgkmcnt(2)
	v_mul_f32_e32 v144, v2, v160
	s_waitcnt vmcnt(4)
	v_fmac_f32_e32 v143, v133, v175
	v_add_f32_e32 v8, v8, v149
	v_add_f32_e32 v1, v1, v124
	v_mul_f32_e32 v124, v3, v160
	v_fma_f32 v122, v132, v175, -v122
	v_mul_f32_e32 v151, v4, v161
	v_add_f32_e32 v8, v8, v129
	v_add_f32_e32 v1, v1, v123
	v_mul_f32_e32 v123, v5, v161
	v_fma_f32 v2, v2, v167, -v124
	v_fmac_f32_e32 v144, v3, v167
	v_add_f32_e32 v3, v8, v143
	v_add_f32_e32 v1, v1, v122
	s_waitcnt lgkmcnt(1)
	v_mul_f32_e32 v8, v135, v162
	v_fma_f32 v4, v4, v166, -v123
	v_mul_f32_e32 v152, v134, v162
	v_fmac_f32_e32 v151, v5, v166
	v_add_f32_e32 v1, v1, v2
	v_add_f32_e32 v2, v3, v144
	v_mul_f32_e32 v3, v137, v173
	v_fma_f32 v5, v134, v147, -v8
	v_mul_f32_e32 v146, v136, v173
	v_add_f32_e32 v1, v1, v4
	v_fmac_f32_e32 v152, v135, v147
	v_add_f32_e32 v2, v2, v151
	s_waitcnt lgkmcnt(0)
	v_mul_f32_e32 v4, v139, v174
	s_waitcnt vmcnt(1)
	v_fma_f32 v3, v136, v11, -v3
	v_add_f32_e32 v1, v1, v5
	v_mul_f32_e32 v154, v138, v174
	v_fmac_f32_e32 v146, v137, v11
	v_add_f32_e32 v2, v2, v152
	v_mul_f32_e32 v5, v141, v165
	v_fma_f32 v4, v138, v7, -v4
	v_add_f32_e32 v1, v1, v3
	v_mul_f32_e32 v126, v140, v165
	v_fmac_f32_e32 v154, v139, v7
	v_add_f32_e32 v2, v2, v146
	v_fma_f32 v3, v140, v6, -v5
	v_add_f32_e32 v1, v1, v4
	v_fmac_f32_e32 v126, v141, v6
	v_add_f32_e32 v2, v2, v154
	v_add_f32_e32 v1, v1, v3
	;; [unrolled: 1-line block ×3, first 2 shown]
	s_waitcnt vmcnt(0)
	v_sub_f32_e32 v1, v10, v1
	v_sub_f32_e32 v2, v163, v2
	buffer_store_dword v1, off, s[0:3], 0 offset:192
	buffer_store_dword v2, off, s[0:3], 0 offset:196
	v_cmpx_lt_u32_e32 23, v0
	s_cbranch_execz .LBB54_297
; %bb.296:
	s_clause 0x1
	buffer_load_dword v1, off, s[0:3], 0 offset:184
	buffer_load_dword v2, off, s[0:3], 0 offset:188
	v_mov_b32_e32 v3, 0
	buffer_store_dword v3, off, s[0:3], 0 offset:184
	buffer_store_dword v3, off, s[0:3], 0 offset:188
	s_waitcnt vmcnt(0)
	ds_write_b64 v9, v[1:2]
.LBB54_297:
	s_or_b32 exec_lo, exec_lo, s4
	s_waitcnt lgkmcnt(0)
	s_waitcnt_vscnt null, 0x0
	s_barrier
	buffer_gl0_inv
	s_clause 0x23
	buffer_load_dword v3, off, s[0:3], 0 offset:196
	buffer_load_dword v4, off, s[0:3], 0 offset:204
	;; [unrolled: 1-line block ×36, first 2 shown]
	v_mov_b32_e32 v1, 0
	ds_read_b128 v[144:147], v1 offset:640
	ds_read_b128 v[148:151], v1 offset:656
	;; [unrolled: 1-line block ×3, first 2 shown]
	s_clause 0x3
	buffer_load_dword v165, off, s[0:3], 0 offset:324
	buffer_load_dword v166, off, s[0:3], 0 offset:332
	;; [unrolled: 1-line block ×4, first 2 shown]
	ds_read_b128 v[156:159], v1 offset:688
	s_mov_b32 s4, exec_lo
	s_waitcnt vmcnt(39) lgkmcnt(3)
	v_mul_f32_e32 v169, v144, v3
	v_mul_f32_e32 v3, v145, v3
	s_waitcnt vmcnt(38)
	v_mul_f32_e32 v170, v146, v4
	v_mul_f32_e32 v4, v147, v4
	s_waitcnt vmcnt(35)
	v_fmac_f32_e32 v169, v145, v10
	v_fma_f32 v10, v144, v10, -v3
	s_waitcnt vmcnt(34) lgkmcnt(2)
	v_mul_f32_e32 v171, v148, v8
	v_mul_f32_e32 v3, v149, v8
	v_fmac_f32_e32 v170, v147, v5
	v_fma_f32 v8, v146, v5, -v4
	ds_read_b128 v[144:147], v1 offset:704
	s_waitcnt vmcnt(33)
	v_mul_f32_e32 v172, v150, v6
	v_mul_f32_e32 v4, v151, v6
	v_fmac_f32_e32 v171, v149, v2
	v_fma_f32 v6, v148, v2, -v3
	s_waitcnt vmcnt(32) lgkmcnt(2)
	v_mul_f32_e32 v173, v152, v7
	s_waitcnt vmcnt(28)
	v_fmac_f32_e32 v172, v151, v127
	v_fma_f32 v127, v150, v127, -v4
	ds_read_b128 v[2:5], v1 offset:720
	v_mul_f32_e32 v7, v153, v7
	s_waitcnt vmcnt(27)
	v_mul_f32_e32 v174, v154, v126
	v_mul_f32_e32 v126, v155, v126
	v_fmac_f32_e32 v173, v153, v125
	s_waitcnt vmcnt(25) lgkmcnt(2)
	v_mul_f32_e32 v153, v158, v124
	v_fma_f32 v7, v152, v125, -v7
	v_mul_f32_e32 v152, v156, v123
	v_fmac_f32_e32 v174, v155, v122
	v_fma_f32 v126, v154, v122, -v126
	v_mul_f32_e32 v122, v157, v123
	v_mul_f32_e32 v123, v159, v124
	s_waitcnt vmcnt(19) lgkmcnt(1)
	v_mul_f32_e32 v155, v146, v134
	v_mul_f32_e32 v134, v147, v134
	v_mul_f32_e32 v154, v144, v128
	v_mul_f32_e32 v128, v145, v128
	v_fmac_f32_e32 v152, v157, v11
	v_fmac_f32_e32 v153, v159, v135
	v_fma_f32 v11, v156, v11, -v122
	v_fma_f32 v135, v158, v135, -v123
	ds_read_b128 v[122:125], v1 offset:736
	ds_read_b128 v[148:151], v1 offset:752
	v_fmac_f32_e32 v155, v147, v130
	v_fma_f32 v130, v146, v130, -v134
	s_waitcnt vmcnt(17) lgkmcnt(2)
	v_mul_f32_e32 v134, v4, v131
	v_mul_f32_e32 v131, v5, v131
	v_fmac_f32_e32 v154, v145, v132
	v_fma_f32 v128, v144, v132, -v128
	v_mul_f32_e32 v132, v2, v133
	s_waitcnt vmcnt(13)
	v_fmac_f32_e32 v134, v5, v143
	v_fma_f32 v131, v4, v143, -v131
	s_clause 0x6
	buffer_load_dword v143, off, s[0:3], 0 offset:344
	buffer_load_dword v144, off, s[0:3], 0 offset:356
	buffer_load_dword v145, off, s[0:3], 0 offset:364
	buffer_load_dword v146, off, s[0:3], 0 offset:372
	buffer_load_dword v147, off, s[0:3], 0 offset:368
	buffer_load_dword v156, off, s[0:3], 0 offset:360
	buffer_load_dword v157, off, s[0:3], 0 offset:352
	v_mul_f32_e32 v133, v3, v133
	v_fmac_f32_e32 v132, v3, v129
	v_fma_f32 v129, v2, v129, -v133
	s_waitcnt vmcnt(19) lgkmcnt(1)
	v_mul_f32_e32 v158, v122, v142
	v_mul_f32_e32 v2, v123, v142
	s_waitcnt vmcnt(18)
	v_mul_f32_e32 v142, v124, v141
	v_mul_f32_e32 v3, v125, v141
	s_waitcnt vmcnt(17) lgkmcnt(0)
	v_mul_f32_e32 v141, v148, v139
	v_fmac_f32_e32 v158, v123, v138
	v_fma_f32 v138, v122, v138, -v2
	s_waitcnt vmcnt(16)
	v_mul_f32_e32 v2, v151, v140
	v_mul_f32_e32 v4, v149, v139
	;; [unrolled: 1-line block ×3, first 2 shown]
	v_fmac_f32_e32 v141, v149, v136
	s_clause 0x3
	buffer_load_dword v139, off, s[0:3], 0 offset:380
	buffer_load_dword v159, off, s[0:3], 0 offset:388
	;; [unrolled: 1-line block ×4, first 2 shown]
	s_waitcnt vmcnt(15)
	v_fma_f32 v149, v150, v164, -v2
	v_add_f32_e32 v2, 0, v169
	v_fma_f32 v136, v148, v136, -v4
	s_clause 0x1
	buffer_load_dword v140, off, s[0:3], 0 offset:412
	buffer_load_dword v148, off, s[0:3], 0 offset:420
	v_fmac_f32_e32 v177, v151, v164
	s_clause 0x1
	buffer_load_dword v150, off, s[0:3], 0 offset:428
	buffer_load_dword v151, off, s[0:3], 0 offset:436
	v_add_f32_e32 v2, v2, v170
	s_clause 0x3
	buffer_load_dword v164, off, s[0:3], 0 offset:400
	buffer_load_dword v169, off, s[0:3], 0 offset:392
	;; [unrolled: 1-line block ×4, first 2 shown]
	v_fmac_f32_e32 v142, v125, v137
	v_fma_f32 v137, v124, v137, -v3
	v_add_f32_e32 v3, 0, v10
	v_add_f32_e32 v2, v2, v171
	;; [unrolled: 1-line block ×4, first 2 shown]
	s_clause 0x4
	buffer_load_dword v8, off, s[0:3], 0 offset:432
	buffer_load_dword v10, off, s[0:3], 0 offset:424
	;; [unrolled: 1-line block ×5, first 2 shown]
	ds_read_b128 v[122:125], v1 offset:784
	v_add_f32_e32 v3, v3, v6
	v_add_f32_e32 v2, v2, v173
	;; [unrolled: 1-line block ×7, first 2 shown]
	ds_read_b128 v[2:5], v1 offset:768
	v_add_f32_e32 v6, v6, v153
	v_add_f32_e32 v7, v7, v11
	;; [unrolled: 1-line block ×5, first 2 shown]
	s_waitcnt vmcnt(25) lgkmcnt(1)
	v_mul_f32_e32 v155, v124, v167
	v_add_f32_e32 v7, v7, v128
	v_add_f32_e32 v6, v6, v132
	;; [unrolled: 1-line block ×3, first 2 shown]
	s_waitcnt lgkmcnt(0)
	v_mul_f32_e32 v11, v2, v165
	v_mul_f32_e32 v126, v3, v165
	v_add_f32_e32 v6, v6, v134
	v_mul_f32_e32 v152, v4, v166
	v_mul_f32_e32 v127, v5, v166
	v_fmac_f32_e32 v11, v3, v163
	v_add_f32_e32 v3, v7, v129
	v_add_f32_e32 v6, v6, v158
	v_mul_f32_e32 v158, v125, v167
	v_fma_f32 v153, v2, v163, -v126
	v_fmac_f32_e32 v152, v5, v162
	v_add_f32_e32 v7, v3, v131
	v_add_f32_e32 v6, v6, v142
	v_fma_f32 v154, v4, v162, -v127
	ds_read_b128 v[2:5], v1 offset:800
	ds_read_b128 v[126:129], v1 offset:816
	v_mul_f32_e32 v134, v123, v161
	v_add_f32_e32 v7, v7, v138
	v_add_f32_e32 v141, v6, v141
	v_mul_f32_e32 v138, v122, v161
	ds_read_b128 v[130:133], v1 offset:832
	v_add_f32_e32 v7, v7, v137
	v_add_f32_e32 v141, v141, v177
	v_fmac_f32_e32 v138, v123, v160
	v_fma_f32 v160, v122, v160, -v134
	v_add_f32_e32 v7, v7, v136
	v_add_f32_e32 v11, v141, v11
	ds_read_b128 v[134:137], v1 offset:848
	v_add_f32_e32 v11, v11, v152
	v_add_f32_e32 v11, v11, v138
	s_waitcnt vmcnt(23)
	v_fmac_f32_e32 v155, v125, v143
	v_fma_f32 v142, v124, v143, -v158
	v_add_f32_e32 v143, v7, v149
	s_waitcnt vmcnt(22) lgkmcnt(3)
	v_mul_f32_e32 v149, v2, v144
	v_mul_f32_e32 v144, v3, v144
	s_waitcnt vmcnt(21)
	v_mul_f32_e32 v158, v4, v145
	v_mul_f32_e32 v145, v5, v145
	v_add_f32_e32 v143, v143, v153
	s_waitcnt vmcnt(17)
	v_fmac_f32_e32 v149, v3, v157
	v_fma_f32 v2, v2, v157, -v144
	v_add_f32_e32 v11, v11, v155
	s_waitcnt lgkmcnt(2)
	v_mul_f32_e32 v144, v127, v146
	v_add_f32_e32 v143, v143, v154
	v_fma_f32 v4, v4, v156, -v145
	v_mul_f32_e32 v141, v126, v146
	v_fmac_f32_e32 v158, v5, v156
	v_add_f32_e32 v5, v11, v149
	v_add_f32_e32 v143, v143, v160
	v_fma_f32 v126, v126, v147, -v144
	v_fmac_f32_e32 v141, v127, v147
	ds_read_b128 v[122:125], v1 offset:864
	ds_read_b64 v[6:7], v1 offset:880
	v_add_f32_e32 v142, v143, v142
	s_waitcnt vmcnt(16)
	v_mul_f32_e32 v11, v129, v139
	v_mul_f32_e32 v153, v128, v139
	s_waitcnt vmcnt(15) lgkmcnt(3)
	v_mul_f32_e32 v154, v130, v159
	s_waitcnt vmcnt(14)
	v_mul_f32_e32 v152, v132, v175
	v_add_f32_e32 v2, v142, v2
	s_waitcnt vmcnt(13) lgkmcnt(2)
	v_mul_f32_e32 v160, v134, v176
	s_waitcnt vmcnt(12)
	v_mul_f32_e32 v3, v136, v140
	v_add_f32_e32 v2, v2, v4
	v_add_f32_e32 v4, v5, v158
	v_mul_f32_e32 v5, v131, v159
	s_waitcnt vmcnt(5)
	v_fma_f32 v11, v128, v178, -v11
	v_fmac_f32_e32 v153, v129, v178
	v_add_f32_e32 v2, v2, v126
	v_add_f32_e32 v4, v4, v141
	v_mul_f32_e32 v126, v133, v175
	v_fma_f32 v5, v130, v170, -v5
	v_fmac_f32_e32 v154, v131, v170
	v_add_f32_e32 v2, v2, v11
	v_add_f32_e32 v4, v4, v153
	v_mul_f32_e32 v11, v135, v176
	v_fma_f32 v126, v132, v169, -v126
	v_fmac_f32_e32 v152, v133, v169
	v_add_f32_e32 v2, v2, v5
	v_add_f32_e32 v4, v4, v154
	v_mul_f32_e32 v5, v137, v140
	v_fma_f32 v11, v134, v164, -v11
	v_fmac_f32_e32 v160, v135, v164
	v_add_f32_e32 v2, v2, v126
	v_add_f32_e32 v4, v4, v152
	s_waitcnt lgkmcnt(1)
	v_mul_f32_e32 v126, v123, v148
	s_waitcnt vmcnt(1)
	v_fma_f32 v5, v136, v172, -v5
	v_mul_f32_e32 v138, v122, v148
	v_add_f32_e32 v2, v2, v11
	v_fmac_f32_e32 v3, v137, v172
	v_add_f32_e32 v4, v4, v160
	v_mul_f32_e32 v11, v125, v150
	v_fma_f32 v122, v122, v171, -v126
	v_add_f32_e32 v2, v2, v5
	v_mul_f32_e32 v143, v124, v150
	v_fmac_f32_e32 v138, v123, v171
	v_add_f32_e32 v3, v4, v3
	s_waitcnt lgkmcnt(0)
	v_mul_f32_e32 v4, v7, v151
	v_fma_f32 v5, v124, v10, -v11
	v_add_f32_e32 v2, v2, v122
	v_mul_f32_e32 v146, v6, v151
	v_fmac_f32_e32 v143, v125, v10
	v_add_f32_e32 v3, v3, v138
	v_fma_f32 v4, v6, v8, -v4
	v_add_f32_e32 v2, v2, v5
	v_fmac_f32_e32 v146, v7, v8
	v_add_f32_e32 v3, v3, v143
	v_add_f32_e32 v2, v2, v4
	;; [unrolled: 1-line block ×3, first 2 shown]
	s_waitcnt vmcnt(0)
	v_sub_f32_e32 v2, v179, v2
	v_sub_f32_e32 v3, v168, v3
	buffer_store_dword v2, off, s[0:3], 0 offset:184
	buffer_store_dword v3, off, s[0:3], 0 offset:188
	v_cmpx_lt_u32_e32 22, v0
	s_cbranch_execz .LBB54_299
; %bb.298:
	s_clause 0x1
	buffer_load_dword v2, off, s[0:3], 0 offset:176
	buffer_load_dword v3, off, s[0:3], 0 offset:180
	buffer_store_dword v1, off, s[0:3], 0 offset:176
	buffer_store_dword v1, off, s[0:3], 0 offset:180
	s_waitcnt vmcnt(0)
	ds_write_b64 v9, v[2:3]
.LBB54_299:
	s_or_b32 exec_lo, exec_lo, s4
	s_waitcnt lgkmcnt(0)
	s_waitcnt_vscnt null, 0x0
	s_barrier
	buffer_gl0_inv
	s_clause 0x23
	buffer_load_dword v3, off, s[0:3], 0 offset:188
	buffer_load_dword v4, off, s[0:3], 0 offset:196
	;; [unrolled: 1-line block ×36, first 2 shown]
	ds_read2_b64 v[144:147], v1 offset0:79 offset1:80
	ds_read2_b64 v[148:151], v1 offset0:81 offset1:82
	s_clause 0x1
	buffer_load_dword v165, off, s[0:3], 0 offset:316
	buffer_load_dword v166, off, s[0:3], 0 offset:324
	ds_read2_b64 v[152:155], v1 offset0:83 offset1:84
	ds_read2_b64 v[156:159], v1 offset0:85 offset1:86
	buffer_load_dword v167, off, s[0:3], 0 offset:180
	s_mov_b32 s4, exec_lo
	s_waitcnt vmcnt(38) lgkmcnt(3)
	v_mul_f32_e32 v168, v144, v3
	v_mul_f32_e32 v3, v145, v3
	s_waitcnt vmcnt(37)
	v_mul_f32_e32 v169, v146, v4
	v_mul_f32_e32 v4, v147, v4
	s_waitcnt vmcnt(36) lgkmcnt(2)
	v_mul_f32_e32 v170, v148, v5
	s_waitcnt vmcnt(33)
	v_fmac_f32_e32 v168, v145, v8
	v_fma_f32 v8, v144, v8, -v3
	s_waitcnt vmcnt(32)
	v_mul_f32_e32 v171, v150, v7
	v_mul_f32_e32 v3, v149, v5
	;; [unrolled: 1-line block ×3, first 2 shown]
	v_fmac_f32_e32 v169, v147, v6
	v_fma_f32 v6, v146, v6, -v4
	v_fmac_f32_e32 v170, v149, v2
	s_waitcnt vmcnt(28)
	v_fmac_f32_e32 v171, v151, v127
	v_fma_f32 v7, v148, v2, -v3
	v_fma_f32 v127, v150, v127, -v5
	ds_read2_b64 v[2:5], v1 offset0:87 offset1:88
	ds_read2_b64 v[144:147], v1 offset0:89 offset1:90
	s_waitcnt vmcnt(27) lgkmcnt(3)
	v_mul_f32_e32 v172, v152, v126
	s_waitcnt vmcnt(26)
	v_mul_f32_e32 v173, v154, v125
	v_mul_f32_e32 v125, v155, v125
	;; [unrolled: 1-line block ×3, first 2 shown]
	s_waitcnt vmcnt(25) lgkmcnt(2)
	v_mul_f32_e32 v174, v156, v123
	v_fmac_f32_e32 v172, v153, v122
	v_fmac_f32_e32 v173, v155, v11
	v_fma_f32 v11, v154, v11, -v125
	v_fma_f32 v126, v152, v122, -v126
	s_waitcnt vmcnt(24)
	v_mul_f32_e32 v152, v158, v124
	v_mul_f32_e32 v122, v157, v123
	v_mul_f32_e32 v123, v159, v124
	v_fmac_f32_e32 v174, v157, v10
	s_waitcnt vmcnt(20)
	v_fmac_f32_e32 v152, v159, v135
	v_fma_f32 v10, v156, v10, -v122
	v_fma_f32 v135, v158, v135, -v123
	ds_read2_b64 v[122:125], v1 offset0:91 offset1:92
	ds_read2_b64 v[148:151], v1 offset0:93 offset1:94
	s_waitcnt vmcnt(19) lgkmcnt(3)
	v_mul_f32_e32 v153, v2, v133
	s_waitcnt vmcnt(18)
	v_mul_f32_e32 v154, v4, v134
	v_mul_f32_e32 v133, v3, v133
	;; [unrolled: 1-line block ×3, first 2 shown]
	buffer_load_dword v155, off, s[0:3], 0 offset:340
	v_fmac_f32_e32 v153, v3, v132
	v_fmac_f32_e32 v154, v5, v131
	v_fma_f32 v132, v2, v132, -v133
	v_fma_f32 v131, v4, v131, -v134
	s_waitcnt vmcnt(18) lgkmcnt(2)
	v_mul_f32_e32 v134, v144, v130
	v_mul_f32_e32 v2, v145, v130
	s_clause 0x3
	buffer_load_dword v156, off, s[0:3], 0 offset:360
	buffer_load_dword v157, off, s[0:3], 0 offset:352
	;; [unrolled: 1-line block ×4, first 2 shown]
	s_waitcnt vmcnt(21)
	v_mul_f32_e32 v130, v146, v129
	v_mul_f32_e32 v3, v147, v129
	v_fmac_f32_e32 v134, v145, v128
	v_fma_f32 v128, v144, v128, -v2
	buffer_load_dword v144, off, s[0:3], 0 offset:348
	s_waitcnt vmcnt(18)
	v_fmac_f32_e32 v130, v147, v143
	s_waitcnt vmcnt(17) lgkmcnt(1)
	v_mul_f32_e32 v147, v122, v141
	v_mul_f32_e32 v2, v123, v141
	v_fma_f32 v143, v146, v143, -v3
	s_clause 0x1
	buffer_load_dword v145, off, s[0:3], 0 offset:356
	buffer_load_dword v146, off, s[0:3], 0 offset:364
	s_waitcnt vmcnt(18)
	v_mul_f32_e32 v159, v124, v142
	v_mul_f32_e32 v3, v125, v142
	v_fmac_f32_e32 v147, v123, v139
	v_fma_f32 v139, v122, v139, -v2
	s_waitcnt vmcnt(16) lgkmcnt(0)
	v_mul_f32_e32 v2, v151, v138
	v_mul_f32_e32 v141, v148, v140
	;; [unrolled: 1-line block ×3, first 2 shown]
	v_fmac_f32_e32 v159, v125, v137
	v_fma_f32 v137, v124, v137, -v3
	v_mul_f32_e32 v140, v150, v138
	s_waitcnt vmcnt(11)
	v_fma_f32 v138, v150, v164, -v2
	v_add_f32_e32 v2, 0, v168
	v_add_f32_e32 v3, 0, v8
	s_clause 0x3
	buffer_load_dword v142, off, s[0:3], 0 offset:372
	buffer_load_dword v175, off, s[0:3], 0 offset:380
	;; [unrolled: 1-line block ×4, first 2 shown]
	v_fmac_f32_e32 v141, v149, v136
	v_fma_f32 v136, v148, v136, -v4
	s_clause 0x1
	buffer_load_dword v148, off, s[0:3], 0 offset:404
	buffer_load_dword v149, off, s[0:3], 0 offset:412
	v_fmac_f32_e32 v140, v151, v164
	s_clause 0x2
	buffer_load_dword v150, off, s[0:3], 0 offset:420
	buffer_load_dword v151, off, s[0:3], 0 offset:428
	;; [unrolled: 1-line block ×3, first 2 shown]
	v_add_f32_e32 v2, v2, v169
	v_add_f32_e32 v3, v3, v6
	s_clause 0x3
	buffer_load_dword v6, off, s[0:3], 0 offset:392
	buffer_load_dword v164, off, s[0:3], 0 offset:384
	;; [unrolled: 1-line block ×4, first 2 shown]
	v_add_f32_e32 v2, v2, v170
	v_add_f32_e32 v3, v3, v7
	;; [unrolled: 1-line block ×3, first 2 shown]
	s_clause 0x4
	buffer_load_dword v7, off, s[0:3], 0 offset:424
	buffer_load_dword v170, off, s[0:3], 0 offset:416
	;; [unrolled: 1-line block ×5, first 2 shown]
	v_add_f32_e32 v3, v3, v127
	ds_read2_b64 v[122:125], v1 offset0:97 offset1:98
	v_add_f32_e32 v2, v2, v172
	buffer_load_dword v172, off, s[0:3], 0 offset:432
	v_add_f32_e32 v3, v3, v126
	v_add_f32_e32 v2, v2, v173
	;; [unrolled: 1-line block ×5, first 2 shown]
	ds_read2_b64 v[2:5], v1 offset0:95 offset1:96
	v_add_f32_e32 v11, v11, v152
	v_add_f32_e32 v10, v10, v135
	;; [unrolled: 1-line block ×8, first 2 shown]
	s_waitcnt vmcnt(29) lgkmcnt(0)
	v_mul_f32_e32 v152, v2, v165
	v_mul_f32_e32 v126, v3, v165
	s_waitcnt vmcnt(28)
	v_mul_f32_e32 v153, v4, v166
	v_mul_f32_e32 v127, v5, v166
	v_add_f32_e32 v10, v10, v143
	v_fmac_f32_e32 v152, v3, v163
	v_fma_f32 v154, v2, v163, -v126
	v_fmac_f32_e32 v153, v5, v162
	v_fma_f32 v162, v4, v162, -v127
	ds_read2_b64 v[2:5], v1 offset0:99 offset1:100
	ds_read2_b64 v[126:129], v1 offset0:101 offset1:102
	v_add_f32_e32 v11, v11, v130
	v_add_f32_e32 v10, v10, v139
	v_mul_f32_e32 v163, v122, v161
	v_mul_f32_e32 v130, v123, v161
	v_add_f32_e32 v11, v11, v147
	v_add_f32_e32 v10, v10, v137
	v_fmac_f32_e32 v163, v123, v160
	v_fma_f32 v147, v122, v160, -v130
	v_add_f32_e32 v11, v11, v159
	v_add_f32_e32 v10, v10, v136
	;; [unrolled: 1-line block ×5, first 2 shown]
	s_waitcnt vmcnt(26)
	v_mul_f32_e32 v143, v124, v155
	v_mul_f32_e32 v131, v125, v155
	s_waitcnt vmcnt(22)
	v_fmac_f32_e32 v143, v125, v133
	v_fma_f32 v155, v124, v133, -v131
	ds_read2_b64 v[122:125], v1 offset0:103 offset1:104
	ds_read2_b64 v[130:133], v1 offset0:105 offset1:106
	;; [unrolled: 1-line block ×3, first 2 shown]
	s_waitcnt vmcnt(21) lgkmcnt(4)
	v_mul_f32_e32 v139, v3, v144
	v_mul_f32_e32 v159, v2, v144
	v_fma_f32 v2, v2, v158, -v139
	ds_read2_b64 v[138:141], v1 offset0:109 offset1:110
	v_add_f32_e32 v1, v10, v154
	v_fmac_f32_e32 v159, v3, v158
	v_add_f32_e32 v3, v11, v152
	s_waitcnt vmcnt(20)
	v_mul_f32_e32 v11, v5, v145
	v_mul_f32_e32 v10, v4, v145
	v_add_f32_e32 v1, v1, v162
	s_waitcnt vmcnt(19) lgkmcnt(4)
	v_mul_f32_e32 v144, v126, v146
	v_add_f32_e32 v3, v3, v153
	v_mul_f32_e32 v146, v127, v146
	v_fma_f32 v4, v4, v157, -v11
	v_add_f32_e32 v1, v1, v147
	v_fmac_f32_e32 v10, v5, v157
	v_add_f32_e32 v3, v3, v163
	s_waitcnt vmcnt(18)
	v_mul_f32_e32 v145, v128, v142
	v_mul_f32_e32 v142, v129, v142
	v_add_f32_e32 v1, v1, v155
	v_fma_f32 v126, v126, v156, -v146
	v_add_f32_e32 v3, v3, v143
	v_fmac_f32_e32 v144, v127, v156
	s_waitcnt vmcnt(17) lgkmcnt(3)
	v_mul_f32_e32 v5, v122, v175
	v_add_f32_e32 v1, v1, v2
	s_waitcnt vmcnt(6)
	v_fmac_f32_e32 v145, v129, v169
	v_add_f32_e32 v2, v3, v159
	v_mul_f32_e32 v11, v124, v176
	v_fmac_f32_e32 v5, v123, v168
	v_add_f32_e32 v1, v1, v4
	v_mul_f32_e32 v4, v123, v175
	v_add_f32_e32 v2, v2, v10
	v_fma_f32 v10, v128, v169, -v142
	s_waitcnt lgkmcnt(2)
	v_mul_f32_e32 v147, v130, v177
	v_add_f32_e32 v1, v1, v126
	v_mul_f32_e32 v126, v125, v176
	v_add_f32_e32 v2, v2, v144
	v_fma_f32 v4, v122, v168, -v4
	v_fmac_f32_e32 v11, v125, v164
	v_add_f32_e32 v1, v1, v10
	v_mul_f32_e32 v10, v131, v177
	v_add_f32_e32 v2, v2, v145
	v_fma_f32 v122, v124, v164, -v126
	v_mul_f32_e32 v152, v132, v148
	v_add_f32_e32 v1, v1, v4
	v_mul_f32_e32 v4, v133, v148
	v_add_f32_e32 v2, v2, v5
	v_fma_f32 v5, v130, v6, -v10
	v_fmac_f32_e32 v147, v131, v6
	v_add_f32_e32 v1, v1, v122
	s_waitcnt lgkmcnt(1)
	v_mul_f32_e32 v6, v135, v149
	v_add_f32_e32 v2, v2, v11
	s_waitcnt vmcnt(2)
	v_fma_f32 v4, v132, v178, -v4
	v_mul_f32_e32 v153, v134, v149
	v_add_f32_e32 v1, v1, v5
	v_fmac_f32_e32 v152, v133, v178
	v_add_f32_e32 v2, v2, v147
	v_mul_f32_e32 v5, v137, v150
	v_fma_f32 v6, v134, v171, -v6
	v_add_f32_e32 v1, v1, v4
	v_mul_f32_e32 v143, v136, v150
	v_fmac_f32_e32 v153, v135, v171
	v_add_f32_e32 v2, v2, v152
	s_waitcnt lgkmcnt(0)
	v_mul_f32_e32 v4, v139, v151
	v_fma_f32 v5, v136, v170, -v5
	v_add_f32_e32 v1, v1, v6
	v_mul_f32_e32 v154, v138, v151
	v_fmac_f32_e32 v143, v137, v170
	v_add_f32_e32 v2, v2, v153
	v_mul_f32_e32 v6, v141, v8
	v_fma_f32 v4, v138, v7, -v4
	v_add_f32_e32 v1, v1, v5
	v_mul_f32_e32 v3, v140, v8
	v_fmac_f32_e32 v154, v139, v7
	v_add_f32_e32 v2, v2, v143
	s_waitcnt vmcnt(0)
	v_fma_f32 v5, v140, v172, -v6
	v_add_f32_e32 v1, v1, v4
	v_fmac_f32_e32 v3, v141, v172
	v_add_f32_e32 v2, v2, v154
	v_add_f32_e32 v1, v1, v5
	v_add_f32_e32 v2, v2, v3
	v_sub_f32_e32 v1, v179, v1
	v_sub_f32_e32 v2, v167, v2
	buffer_store_dword v1, off, s[0:3], 0 offset:176
	buffer_store_dword v2, off, s[0:3], 0 offset:180
	v_cmpx_lt_u32_e32 21, v0
	s_cbranch_execz .LBB54_301
; %bb.300:
	s_clause 0x1
	buffer_load_dword v1, off, s[0:3], 0 offset:168
	buffer_load_dword v2, off, s[0:3], 0 offset:172
	v_mov_b32_e32 v3, 0
	buffer_store_dword v3, off, s[0:3], 0 offset:168
	buffer_store_dword v3, off, s[0:3], 0 offset:172
	s_waitcnt vmcnt(0)
	ds_write_b64 v9, v[1:2]
.LBB54_301:
	s_or_b32 exec_lo, exec_lo, s4
	s_waitcnt lgkmcnt(0)
	s_waitcnt_vscnt null, 0x0
	s_barrier
	buffer_gl0_inv
	s_clause 0x23
	buffer_load_dword v11, off, s[0:3], 0 offset:180
	buffer_load_dword v123, off, s[0:3], 0 offset:188
	buffer_load_dword v124, off, s[0:3], 0 offset:196
	buffer_load_dword v122, off, s[0:3], 0 offset:192
	buffer_load_dword v126, off, s[0:3], 0 offset:184
	buffer_load_dword v127, off, s[0:3], 0 offset:176
	buffer_load_dword v125, off, s[0:3], 0 offset:204
	buffer_load_dword v128, off, s[0:3], 0 offset:224
	buffer_load_dword v129, off, s[0:3], 0 offset:216
	buffer_load_dword v131, off, s[0:3], 0 offset:208
	buffer_load_dword v136, off, s[0:3], 0 offset:200
	buffer_load_dword v134, off, s[0:3], 0 offset:212
	buffer_load_dword v135, off, s[0:3], 0 offset:220
	buffer_load_dword v132, off, s[0:3], 0 offset:228
	buffer_load_dword v130, off, s[0:3], 0 offset:236
	buffer_load_dword v133, off, s[0:3], 0 offset:244
	buffer_load_dword v137, off, s[0:3], 0 offset:252
	buffer_load_dword v138, off, s[0:3], 0 offset:256
	buffer_load_dword v141, off, s[0:3], 0 offset:248
	buffer_load_dword v142, off, s[0:3], 0 offset:240
	buffer_load_dword v144, off, s[0:3], 0 offset:232
	buffer_load_dword v143, off, s[0:3], 0 offset:260
	buffer_load_dword v139, off, s[0:3], 0 offset:268
	buffer_load_dword v145, off, s[0:3], 0 offset:288
	buffer_load_dword v149, off, s[0:3], 0 offset:280
	buffer_load_dword v150, off, s[0:3], 0 offset:272
	buffer_load_dword v155, off, s[0:3], 0 offset:264
	buffer_load_dword v153, off, s[0:3], 0 offset:276
	buffer_load_dword v154, off, s[0:3], 0 offset:284
	buffer_load_dword v148, off, s[0:3], 0 offset:292
	buffer_load_dword v147, off, s[0:3], 0 offset:300
	buffer_load_dword v140, off, s[0:3], 0 offset:320
	buffer_load_dword v146, off, s[0:3], 0 offset:312
	buffer_load_dword v151, off, s[0:3], 0 offset:304
	buffer_load_dword v156, off, s[0:3], 0 offset:296
	buffer_load_dword v152, off, s[0:3], 0 offset:308
	v_mov_b32_e32 v10, 0
	ds_read_b128 v[5:8], v10 offset:624
	ds_read_b128 v[1:4], v10 offset:640
	buffer_load_dword v165, off, s[0:3], 0 offset:172
	ds_read_b128 v[157:160], v10 offset:656
	ds_read_b128 v[161:164], v10 offset:672
	s_mov_b32 s4, exec_lo
	s_waitcnt vmcnt(36) lgkmcnt(3)
	v_mul_f32_e32 v166, v5, v11
	v_mul_f32_e32 v11, v6, v11
	s_waitcnt vmcnt(35)
	v_mul_f32_e32 v167, v7, v123
	v_mul_f32_e32 v123, v8, v123
	s_waitcnt vmcnt(34) lgkmcnt(2)
	v_mul_f32_e32 v168, v1, v124
	v_mul_f32_e32 v124, v2, v124
	s_waitcnt vmcnt(31)
	v_fmac_f32_e32 v166, v6, v127
	v_fma_f32 v11, v5, v127, -v11
	s_waitcnt vmcnt(30)
	v_mul_f32_e32 v127, v3, v125
	v_mul_f32_e32 v169, v4, v125
	v_fmac_f32_e32 v167, v8, v126
	v_fma_f32 v126, v7, v126, -v123
	ds_read_b128 v[5:8], v10 offset:688
	v_fmac_f32_e32 v168, v2, v122
	v_fma_f32 v170, v1, v122, -v124
	ds_read_b128 v[122:125], v10 offset:704
	s_waitcnt vmcnt(26)
	v_fmac_f32_e32 v127, v4, v136
	v_fma_f32 v136, v3, v136, -v169
	s_waitcnt vmcnt(25) lgkmcnt(3)
	v_mul_f32_e32 v169, v157, v134
	s_waitcnt vmcnt(24)
	v_mul_f32_e32 v171, v159, v135
	v_mul_f32_e32 v1, v158, v134
	;; [unrolled: 1-line block ×3, first 2 shown]
	s_clause 0x1
	buffer_load_dword v134, off, s[0:3], 0 offset:316
	buffer_load_dword v135, off, s[0:3], 0 offset:324
	v_fmac_f32_e32 v169, v158, v131
	v_fmac_f32_e32 v171, v160, v129
	v_fma_f32 v131, v157, v131, -v1
	v_fma_f32 v129, v159, v129, -v2
	ds_read_b128 v[1:4], v10 offset:720
	s_waitcnt vmcnt(25) lgkmcnt(3)
	v_mul_f32_e32 v157, v161, v132
	v_mul_f32_e32 v132, v162, v132
	s_waitcnt vmcnt(24)
	v_mul_f32_e32 v158, v163, v130
	v_mul_f32_e32 v130, v164, v130
	s_waitcnt vmcnt(23) lgkmcnt(2)
	v_mul_f32_e32 v159, v5, v133
	v_fmac_f32_e32 v157, v162, v128
	v_fma_f32 v128, v161, v128, -v132
	s_waitcnt vmcnt(22)
	v_mul_f32_e32 v132, v7, v137
	v_mul_f32_e32 v133, v6, v133
	v_mul_f32_e32 v137, v8, v137
	s_waitcnt vmcnt(18)
	v_fma_f32 v130, v163, v144, -v130
	v_fmac_f32_e32 v159, v6, v142
	v_fmac_f32_e32 v132, v8, v141
	v_fma_f32 v133, v5, v142, -v133
	v_fma_f32 v137, v7, v141, -v137
	s_clause 0x5
	buffer_load_dword v141, off, s[0:3], 0 offset:332
	buffer_load_dword v142, off, s[0:3], 0 offset:340
	;; [unrolled: 1-line block ×6, first 2 shown]
	v_fmac_f32_e32 v158, v164, v144
	s_waitcnt vmcnt(23) lgkmcnt(1)
	v_mul_f32_e32 v144, v122, v143
	v_mul_f32_e32 v143, v123, v143
	s_waitcnt vmcnt(22)
	v_mul_f32_e32 v164, v124, v139
	v_mul_f32_e32 v139, v125, v139
	ds_read_b128 v[5:8], v10 offset:736
	v_fmac_f32_e32 v144, v123, v138
	v_fma_f32 v122, v122, v138, -v143
	s_waitcnt vmcnt(18)
	v_fmac_f32_e32 v164, v125, v155
	v_fma_f32 v123, v124, v155, -v139
	s_waitcnt vmcnt(17) lgkmcnt(1)
	v_mul_f32_e32 v124, v1, v153
	v_mul_f32_e32 v125, v2, v153
	s_clause 0x1
	buffer_load_dword v143, off, s[0:3], 0 offset:348
	buffer_load_dword v153, off, s[0:3], 0 offset:356
	v_add_f32_e32 v11, 0, v11
	s_waitcnt vmcnt(18)
	v_mul_f32_e32 v138, v3, v154
	v_mul_f32_e32 v139, v4, v154
	v_fma_f32 v125, v1, v150, -v125
	v_add_f32_e32 v1, 0, v166
	v_add_f32_e32 v11, v11, v126
	v_fmac_f32_e32 v124, v2, v150
	v_fmac_f32_e32 v138, v4, v149
	v_fma_f32 v139, v3, v149, -v139
	v_add_f32_e32 v166, v1, v167
	s_clause 0x3
	buffer_load_dword v149, off, s[0:3], 0 offset:364
	buffer_load_dword v150, off, s[0:3], 0 offset:372
	;; [unrolled: 1-line block ×4, first 2 shown]
	ds_read_b128 v[1:4], v10 offset:752
	s_waitcnt vmcnt(21) lgkmcnt(1)
	v_mul_f32_e32 v167, v5, v148
	v_mul_f32_e32 v126, v6, v148
	v_add_f32_e32 v148, v166, v168
	v_add_f32_e32 v11, v11, v170
	s_waitcnt vmcnt(20)
	v_mul_f32_e32 v166, v7, v147
	v_fmac_f32_e32 v167, v6, v145
	v_fma_f32 v145, v5, v145, -v126
	v_add_f32_e32 v5, v148, v127
	v_mul_f32_e32 v147, v8, v147
	v_add_f32_e32 v6, v11, v136
	s_clause 0x3
	buffer_load_dword v11, off, s[0:3], 0 offset:396
	buffer_load_dword v136, off, s[0:3], 0 offset:404
	;; [unrolled: 1-line block ×4, first 2 shown]
	s_waitcnt vmcnt(20)
	v_fmac_f32_e32 v166, v8, v156
	v_add_f32_e32 v5, v5, v169
	v_fma_f32 v147, v7, v156, -v147
	s_clause 0x5
	buffer_load_dword v156, off, s[0:3], 0 offset:428
	buffer_load_dword v169, off, s[0:3], 0 offset:384
	;; [unrolled: 1-line block ×6, first 2 shown]
	v_add_f32_e32 v6, v6, v131
	v_add_f32_e32 v5, v5, v171
	;; [unrolled: 1-line block ×4, first 2 shown]
	s_waitcnt vmcnt(25) lgkmcnt(0)
	v_mul_f32_e32 v157, v1, v152
	ds_read_b128 v[5:8], v10 offset:768
	v_add_f32_e32 v126, v126, v128
	v_mul_f32_e32 v128, v2, v152
	v_add_f32_e32 v127, v127, v158
	v_fmac_f32_e32 v157, v2, v151
	v_fma_f32 v131, v1, v151, -v128
	v_add_f32_e32 v2, v127, v159
	s_clause 0x5
	buffer_load_dword v151, off, s[0:3], 0 offset:416
	buffer_load_dword v152, off, s[0:3], 0 offset:408
	;; [unrolled: 1-line block ×6, first 2 shown]
	v_add_f32_e32 v1, v126, v130
	v_add_f32_e32 v2, v2, v132
	;; [unrolled: 1-line block ×5, first 2 shown]
	buffer_load_dword v137, off, s[0:3], 0 offset:168
	v_add_f32_e32 v126, v126, v164
	v_add_f32_e32 v122, v1, v122
	;; [unrolled: 1-line block ×6, first 2 shown]
	ds_read_b128 v[122:125], v10 offset:800
	v_add_f32_e32 v132, v132, v167
	v_add_f32_e32 v130, v128, v139
	;; [unrolled: 1-line block ×4, first 2 shown]
	s_waitcnt vmcnt(30)
	v_mul_f32_e32 v144, v3, v134
	v_mul_f32_e32 v2, v4, v134
	s_waitcnt vmcnt(29) lgkmcnt(1)
	v_mul_f32_e32 v127, v6, v135
	v_fmac_f32_e32 v144, v4, v146
	v_fma_f32 v134, v3, v146, -v2
	ds_read_b128 v[1:4], v10 offset:784
	v_mul_f32_e32 v146, v5, v135
	v_fmac_f32_e32 v146, v6, v140
	v_fma_f32 v140, v5, v140, -v127
	s_waitcnt vmcnt(28)
	v_mul_f32_e32 v164, v7, v141
	v_mul_f32_e32 v129, v8, v141
	s_waitcnt vmcnt(23)
	v_fmac_f32_e32 v164, v8, v163
	v_fma_f32 v139, v7, v163, -v129
	ds_read_b128 v[5:8], v10 offset:816
	ds_read_b128 v[126:129], v10 offset:832
	s_waitcnt lgkmcnt(2)
	v_mul_f32_e32 v133, v2, v142
	v_mul_f32_e32 v138, v1, v142
	v_fma_f32 v142, v1, v162, -v133
	v_add_f32_e32 v1, v132, v166
	s_waitcnt vmcnt(22)
	v_mul_f32_e32 v141, v3, v143
	v_mul_f32_e32 v135, v4, v143
	v_add_f32_e32 v143, v130, v131
	v_fmac_f32_e32 v138, v2, v162
	v_add_f32_e32 v147, v1, v157
	v_fmac_f32_e32 v141, v4, v161
	v_fma_f32 v145, v3, v161, -v135
	v_add_f32_e32 v143, v143, v134
	s_waitcnt vmcnt(21)
	v_mul_f32_e32 v157, v122, v153
	v_add_f32_e32 v144, v147, v144
	s_waitcnt vmcnt(20)
	v_mul_f32_e32 v147, v124, v149
	v_mul_f32_e32 v149, v125, v149
	v_add_f32_e32 v140, v143, v140
	v_mul_f32_e32 v143, v123, v153
	v_add_f32_e32 v144, v144, v146
	v_fmac_f32_e32 v157, v123, v160
	ds_read_b128 v[130:133], v10 offset:848
	ds_read_b128 v[1:4], v10 offset:864
	v_add_f32_e32 v139, v140, v139
	v_add_f32_e32 v144, v144, v164
	v_fma_f32 v122, v122, v160, -v143
	s_waitcnt vmcnt(19) lgkmcnt(3)
	v_mul_f32_e32 v146, v5, v150
	s_waitcnt vmcnt(18)
	v_mul_f32_e32 v140, v7, v154
	v_add_f32_e32 v139, v139, v142
	v_add_f32_e32 v138, v144, v138
	s_waitcnt vmcnt(17) lgkmcnt(2)
	v_mul_f32_e32 v153, v126, v155
	s_waitcnt vmcnt(16)
	v_mul_f32_e32 v161, v128, v11
	s_waitcnt vmcnt(9)
	v_fmac_f32_e32 v146, v6, v172
	v_add_f32_e32 v139, v139, v145
	v_add_f32_e32 v138, v138, v141
	v_mul_f32_e32 v145, v6, v150
	s_waitcnt vmcnt(8)
	v_fma_f32 v124, v124, v173, -v149
	v_fmac_f32_e32 v147, v125, v173
	v_add_f32_e32 v122, v139, v122
	v_add_f32_e32 v125, v138, v157
	v_mul_f32_e32 v138, v8, v154
	v_fma_f32 v5, v5, v172, -v145
	v_fmac_f32_e32 v140, v8, v170
	v_add_f32_e32 v6, v122, v124
	v_add_f32_e32 v122, v125, v147
	v_mul_f32_e32 v124, v127, v155
	v_fma_f32 v7, v7, v170, -v138
	v_mul_f32_e32 v8, v129, v11
	v_add_f32_e32 v5, v6, v5
	v_add_f32_e32 v6, v122, v146
	v_fma_f32 v11, v126, v169, -v124
	v_fmac_f32_e32 v153, v127, v169
	ds_read_b64 v[134:135], v10 offset:880
	v_add_f32_e32 v5, v5, v7
	v_add_f32_e32 v6, v6, v140
	s_waitcnt lgkmcnt(2)
	v_mul_f32_e32 v7, v131, v136
	s_waitcnt vmcnt(3)
	v_fma_f32 v8, v128, v159, -v8
	v_mul_f32_e32 v142, v130, v136
	v_add_f32_e32 v5, v5, v11
	v_fmac_f32_e32 v161, v129, v159
	v_add_f32_e32 v6, v6, v153
	v_mul_f32_e32 v11, v133, v148
	v_fma_f32 v7, v130, v158, -v7
	v_add_f32_e32 v5, v5, v8
	v_mul_f32_e32 v123, v132, v148
	v_fmac_f32_e32 v142, v131, v158
	v_add_f32_e32 v6, v6, v161
	s_waitcnt lgkmcnt(1)
	v_mul_f32_e32 v143, v1, v168
	v_mul_f32_e32 v8, v2, v168
	v_fma_f32 v11, v132, v152, -v11
	v_add_f32_e32 v5, v5, v7
	v_fmac_f32_e32 v123, v133, v152
	v_add_f32_e32 v6, v6, v142
	v_mul_f32_e32 v7, v4, v156
	v_fmac_f32_e32 v143, v2, v151
	v_fma_f32 v1, v1, v151, -v8
	v_add_f32_e32 v2, v5, v11
	v_mul_f32_e32 v144, v3, v156
	v_add_f32_e32 v5, v6, v123
	s_waitcnt lgkmcnt(0)
	v_mul_f32_e32 v6, v135, v174
	s_waitcnt vmcnt(1)
	v_fma_f32 v3, v3, v175, -v7
	v_add_f32_e32 v1, v2, v1
	v_mul_f32_e32 v141, v134, v174
	v_fmac_f32_e32 v144, v4, v175
	v_add_f32_e32 v2, v5, v143
	v_fma_f32 v4, v134, v171, -v6
	v_add_f32_e32 v1, v1, v3
	v_fmac_f32_e32 v141, v135, v171
	v_add_f32_e32 v2, v2, v144
	v_add_f32_e32 v1, v1, v4
	;; [unrolled: 1-line block ×3, first 2 shown]
	s_waitcnt vmcnt(0)
	v_sub_f32_e32 v1, v137, v1
	v_sub_f32_e32 v2, v165, v2
	buffer_store_dword v1, off, s[0:3], 0 offset:168
	buffer_store_dword v2, off, s[0:3], 0 offset:172
	v_cmpx_lt_u32_e32 20, v0
	s_cbranch_execz .LBB54_303
; %bb.302:
	s_clause 0x1
	buffer_load_dword v1, off, s[0:3], 0 offset:160
	buffer_load_dword v2, off, s[0:3], 0 offset:164
	buffer_store_dword v10, off, s[0:3], 0 offset:160
	buffer_store_dword v10, off, s[0:3], 0 offset:164
	s_waitcnt vmcnt(0)
	ds_write_b64 v9, v[1:2]
.LBB54_303:
	s_or_b32 exec_lo, exec_lo, s4
	s_waitcnt lgkmcnt(0)
	s_waitcnt_vscnt null, 0x0
	s_barrier
	buffer_gl0_inv
	s_clause 0x23
	buffer_load_dword v155, off, s[0:3], 0 offset:172
	buffer_load_dword v156, off, s[0:3], 0 offset:180
	;; [unrolled: 1-line block ×36, first 2 shown]
	ds_read2_b64 v[5:8], v10 offset0:77 offset1:78
	ds_read2_b64 v[1:4], v10 offset0:79 offset1:80
	;; [unrolled: 1-line block ×3, first 2 shown]
	s_clause 0x1
	buffer_load_dword v165, off, s[0:3], 0 offset:308
	buffer_load_dword v166, off, s[0:3], 0 offset:316
	ds_read2_b64 v[161:164], v10 offset0:83 offset1:84
	buffer_load_dword v169, off, s[0:3], 0 offset:164
	s_mov_b32 s4, exec_lo
	s_waitcnt vmcnt(38) lgkmcnt(3)
	v_mul_f32_e32 v167, v5, v155
	s_waitcnt vmcnt(37)
	v_mul_f32_e32 v168, v7, v156
	v_mul_f32_e32 v155, v6, v155
	v_mul_f32_e32 v156, v8, v156
	s_waitcnt vmcnt(34)
	v_fmac_f32_e32 v167, v6, v127
	v_fmac_f32_e32 v168, v8, v126
	v_fma_f32 v127, v5, v127, -v155
	v_fma_f32 v126, v7, v126, -v156
	ds_read2_b64 v[5:8], v10 offset0:85 offset1:86
	s_waitcnt vmcnt(33) lgkmcnt(3)
	v_mul_f32_e32 v155, v1, v124
	v_mul_f32_e32 v124, v2, v124
	s_waitcnt vmcnt(32)
	v_mul_f32_e32 v156, v3, v123
	v_mul_f32_e32 v123, v4, v123
	s_waitcnt vmcnt(31) lgkmcnt(2)
	v_mul_f32_e32 v170, v157, v122
	v_mul_f32_e32 v122, v158, v122
	v_fmac_f32_e32 v155, v2, v11
	v_fma_f32 v11, v1, v11, -v124
	s_waitcnt vmcnt(26)
	v_fmac_f32_e32 v156, v4, v133
	v_fma_f32 v133, v3, v133, -v123
	ds_read2_b64 v[1:4], v10 offset0:87 offset1:88
	v_mul_f32_e32 v171, v159, v125
	v_mul_f32_e32 v124, v160, v125
	v_fmac_f32_e32 v170, v158, v132
	v_fma_f32 v132, v157, v132, -v122
	s_waitcnt vmcnt(25) lgkmcnt(2)
	v_mul_f32_e32 v157, v161, v129
	s_waitcnt vmcnt(24)
	v_mul_f32_e32 v158, v163, v130
	v_mul_f32_e32 v129, v162, v129
	;; [unrolled: 1-line block ×3, first 2 shown]
	v_fmac_f32_e32 v171, v160, v131
	v_fma_f32 v131, v159, v131, -v124
	ds_read2_b64 v[122:125], v10 offset0:89 offset1:90
	v_fmac_f32_e32 v157, v162, v128
	s_waitcnt vmcnt(19)
	v_fmac_f32_e32 v158, v164, v144
	v_fma_f32 v128, v161, v128, -v129
	v_fma_f32 v129, v163, v144, -v130
	s_clause 0x4
	buffer_load_dword v130, off, s[0:3], 0 offset:324
	buffer_load_dword v144, off, s[0:3], 0 offset:344
	;; [unrolled: 1-line block ×5, first 2 shown]
	s_waitcnt lgkmcnt(2)
	v_mul_f32_e32 v159, v5, v134
	v_mul_f32_e32 v134, v6, v134
	s_waitcnt vmcnt(23)
	v_mul_f32_e32 v163, v7, v140
	v_mul_f32_e32 v140, v8, v140
	v_fmac_f32_e32 v159, v6, v139
	v_fma_f32 v5, v5, v139, -v134
	s_waitcnt vmcnt(22) lgkmcnt(1)
	v_mul_f32_e32 v134, v1, v137
	v_fmac_f32_e32 v163, v8, v136
	v_fma_f32 v136, v7, v136, -v140
	s_waitcnt vmcnt(21)
	v_mul_f32_e32 v139, v3, v138
	v_mul_f32_e32 v6, v2, v137
	;; [unrolled: 1-line block ×3, first 2 shown]
	s_clause 0x2
	buffer_load_dword v137, off, s[0:3], 0 offset:332
	buffer_load_dword v138, off, s[0:3], 0 offset:340
	;; [unrolled: 1-line block ×3, first 2 shown]
	v_fmac_f32_e32 v134, v2, v135
	s_waitcnt vmcnt(20)
	v_fmac_f32_e32 v139, v4, v153
	v_fma_f32 v135, v1, v135, -v6
	v_fma_f32 v153, v3, v153, -v7
	ds_read2_b64 v[1:4], v10 offset0:91 offset1:92
	v_add_f32_e32 v6, 0, v167
	v_add_f32_e32 v7, 0, v127
	s_waitcnt vmcnt(19) lgkmcnt(1)
	v_mul_f32_e32 v164, v122, v150
	s_waitcnt vmcnt(18)
	v_mul_f32_e32 v172, v124, v151
	v_mul_f32_e32 v8, v123, v150
	v_add_f32_e32 v6, v6, v168
	v_mul_f32_e32 v127, v125, v151
	v_add_f32_e32 v7, v7, v126
	v_fmac_f32_e32 v164, v123, v148
	v_fmac_f32_e32 v172, v125, v147
	v_add_f32_e32 v6, v6, v155
	v_fma_f32 v122, v122, v148, -v8
	v_fma_f32 v126, v124, v147, -v127
	v_add_f32_e32 v7, v7, v11
	s_clause 0x7
	buffer_load_dword v11, off, s[0:3], 0 offset:356
	buffer_load_dword v147, off, s[0:3], 0 offset:364
	;; [unrolled: 1-line block ×8, first 2 shown]
	v_add_f32_e32 v6, v6, v156
	v_add_f32_e32 v7, v7, v133
	s_waitcnt vmcnt(25) lgkmcnt(0)
	v_mul_f32_e32 v8, v2, v145
	v_mul_f32_e32 v127, v1, v145
	s_clause 0x3
	buffer_load_dword v145, off, s[0:3], 0 offset:388
	buffer_load_dword v156, off, s[0:3], 0 offset:396
	;; [unrolled: 1-line block ×4, first 2 shown]
	v_fma_f32 v133, v1, v142, -v8
	v_add_f32_e32 v1, v6, v170
	v_add_f32_e32 v6, v7, v132
	v_fmac_f32_e32 v127, v2, v142
	s_waitcnt vmcnt(28)
	v_mul_f32_e32 v132, v3, v143
	v_mul_f32_e32 v2, v4, v143
	v_add_f32_e32 v7, v1, v171
	s_clause 0x2
	buffer_load_dword v142, off, s[0:3], 0 offset:420
	buffer_load_dword v170, off, s[0:3], 0 offset:428
	buffer_load_dword v143, off, s[0:3], 0 offset:436
	s_waitcnt vmcnt(27)
	v_fmac_f32_e32 v132, v4, v154
	v_fma_f32 v154, v3, v154, -v2
	v_add_f32_e32 v7, v7, v157
	ds_read2_b64 v[1:4], v10 offset0:93 offset1:94
	v_add_f32_e32 v6, v6, v131
	v_add_f32_e32 v7, v7, v158
	s_clause 0x3
	buffer_load_dword v157, off, s[0:3], 0 offset:408
	buffer_load_dword v158, off, s[0:3], 0 offset:400
	;; [unrolled: 1-line block ×4, first 2 shown]
	v_add_f32_e32 v6, v6, v128
	v_add_f32_e32 v123, v7, v159
	;; [unrolled: 1-line block ×5, first 2 shown]
	ds_read2_b64 v[5:8], v10 offset0:95 offset1:96
	s_waitcnt vmcnt(30) lgkmcnt(1)
	v_mul_f32_e32 v131, v1, v152
	v_mul_f32_e32 v125, v2, v152
	s_clause 0x3
	buffer_load_dword v152, off, s[0:3], 0 offset:432
	buffer_load_dword v159, off, s[0:3], 0 offset:424
	buffer_load_dword v163, off, s[0:3], 0 offset:416
	buffer_load_dword v176, off, s[0:3], 0 offset:160
	v_fmac_f32_e32 v131, v2, v149
	v_fma_f32 v149, v1, v149, -v125
	v_add_f32_e32 v1, v124, v136
	v_add_f32_e32 v2, v123, v134
	s_waitcnt vmcnt(33)
	v_mul_f32_e32 v134, v3, v165
	v_mul_f32_e32 v123, v4, v165
	v_add_f32_e32 v1, v1, v135
	v_add_f32_e32 v2, v2, v139
	v_fmac_f32_e32 v134, v4, v146
	v_fma_f32 v135, v3, v146, -v123
	v_add_f32_e32 v124, v1, v153
	v_add_f32_e32 v128, v2, v164
	ds_read2_b64 v[1:4], v10 offset0:97 offset1:98
	s_waitcnt vmcnt(32) lgkmcnt(1)
	v_mul_f32_e32 v136, v5, v166
	v_mul_f32_e32 v139, v6, v166
	v_add_f32_e32 v129, v124, v122
	ds_read2_b64 v[122:125], v10 offset0:99 offset1:100
	v_add_f32_e32 v128, v128, v172
	v_fmac_f32_e32 v136, v6, v141
	v_fma_f32 v139, v5, v141, -v139
	v_add_f32_e32 v126, v129, v126
	v_add_f32_e32 v133, v126, v133
	s_waitcnt vmcnt(30)
	v_mul_f32_e32 v146, v7, v130
	v_mul_f32_e32 v129, v8, v130
	v_add_f32_e32 v130, v128, v127
	s_waitcnt vmcnt(26)
	v_fmac_f32_e32 v146, v8, v162
	v_fma_f32 v141, v7, v162, -v129
	v_add_f32_e32 v130, v130, v132
	v_add_f32_e32 v132, v133, v154
	ds_read2_b64 v[5:8], v10 offset0:101 offset1:102
	ds_read2_b64 v[126:129], v10 offset0:103 offset1:104
	v_add_f32_e32 v130, v130, v131
	v_add_f32_e32 v149, v132, v149
	s_waitcnt vmcnt(25) lgkmcnt(3)
	v_mul_f32_e32 v153, v1, v137
	s_waitcnt vmcnt(24)
	v_mul_f32_e32 v154, v3, v138
	v_mul_f32_e32 v133, v2, v137
	;; [unrolled: 1-line block ×3, first 2 shown]
	s_waitcnt vmcnt(23) lgkmcnt(2)
	v_mul_f32_e32 v138, v122, v140
	v_add_f32_e32 v134, v130, v134
	v_add_f32_e32 v149, v149, v135
	v_mul_f32_e32 v140, v123, v140
	v_fmac_f32_e32 v153, v2, v161
	v_fmac_f32_e32 v154, v4, v160
	v_fma_f32 v161, v1, v161, -v133
	v_fma_f32 v160, v3, v160, -v137
	ds_read2_b64 v[1:4], v10 offset0:105 offset1:106
	ds_read2_b64 v[130:133], v10 offset0:107 offset1:108
	v_fmac_f32_e32 v138, v123, v144
	v_add_f32_e32 v123, v134, v136
	ds_read2_b64 v[134:137], v10 offset0:109 offset1:110
	v_add_f32_e32 v10, v149, v139
	v_fma_f32 v122, v122, v144, -v140
	s_waitcnt vmcnt(22)
	v_mul_f32_e32 v139, v124, v11
	v_add_f32_e32 v123, v123, v146
	v_mul_f32_e32 v11, v125, v11
	v_add_f32_e32 v10, v10, v141
	s_waitcnt vmcnt(21) lgkmcnt(4)
	v_mul_f32_e32 v140, v5, v147
	v_mul_f32_e32 v144, v6, v147
	v_add_f32_e32 v123, v123, v153
	s_waitcnt vmcnt(15)
	v_fma_f32 v11, v124, v168, -v11
	v_add_f32_e32 v10, v10, v161
	v_fmac_f32_e32 v139, v125, v168
	v_mul_f32_e32 v141, v7, v148
	v_add_f32_e32 v123, v123, v154
	v_mul_f32_e32 v148, v8, v148
	v_add_f32_e32 v10, v10, v160
	v_fmac_f32_e32 v140, v6, v167
	v_fma_f32 v5, v5, v167, -v144
	s_waitcnt lgkmcnt(3)
	v_mul_f32_e32 v124, v126, v150
	v_fma_f32 v7, v7, v155, -v148
	v_add_f32_e32 v10, v10, v122
	v_add_f32_e32 v122, v123, v138
	v_fmac_f32_e32 v141, v8, v155
	s_waitcnt vmcnt(14)
	v_mul_f32_e32 v8, v129, v145
	v_mul_f32_e32 v125, v128, v145
	v_add_f32_e32 v6, v10, v11
	v_add_f32_e32 v10, v122, v139
	v_mul_f32_e32 v11, v127, v150
	v_fmac_f32_e32 v124, v127, v151
	s_waitcnt vmcnt(13) lgkmcnt(2)
	v_mul_f32_e32 v146, v1, v156
	v_add_f32_e32 v5, v6, v5
	v_add_f32_e32 v6, v10, v140
	v_fma_f32 v10, v126, v151, -v11
	s_waitcnt vmcnt(4)
	v_fma_f32 v8, v128, v175, -v8
	v_fmac_f32_e32 v125, v129, v175
	v_add_f32_e32 v5, v5, v7
	v_add_f32_e32 v6, v6, v141
	v_mul_f32_e32 v7, v2, v156
	v_fmac_f32_e32 v146, v2, v171
	v_mul_f32_e32 v147, v3, v173
	v_add_f32_e32 v5, v5, v10
	v_add_f32_e32 v6, v6, v124
	v_mul_f32_e32 v10, v4, v173
	v_fma_f32 v1, v1, v171, -v7
	s_waitcnt lgkmcnt(1)
	v_mul_f32_e32 v149, v130, v174
	v_add_f32_e32 v2, v5, v8
	v_add_f32_e32 v5, v6, v125
	v_mul_f32_e32 v6, v131, v174
	v_fma_f32 v3, v3, v158, -v10
	v_fmac_f32_e32 v147, v4, v158
	v_add_f32_e32 v1, v2, v1
	v_add_f32_e32 v2, v5, v146
	v_mul_f32_e32 v4, v133, v142
	v_fma_f32 v5, v130, v157, -v6
	v_mul_f32_e32 v153, v132, v142
	v_add_f32_e32 v1, v1, v3
	v_fmac_f32_e32 v149, v131, v157
	v_add_f32_e32 v2, v2, v147
	s_waitcnt lgkmcnt(0)
	v_mul_f32_e32 v3, v135, v170
	s_waitcnt vmcnt(1)
	v_fma_f32 v4, v132, v163, -v4
	v_add_f32_e32 v1, v1, v5
	v_mul_f32_e32 v154, v134, v170
	v_fmac_f32_e32 v153, v133, v163
	v_add_f32_e32 v2, v2, v149
	v_mul_f32_e32 v5, v137, v143
	v_fma_f32 v3, v134, v159, -v3
	v_add_f32_e32 v1, v1, v4
	v_mul_f32_e32 v123, v136, v143
	v_fmac_f32_e32 v154, v135, v159
	v_add_f32_e32 v2, v2, v153
	v_fma_f32 v4, v136, v152, -v5
	v_add_f32_e32 v1, v1, v3
	v_fmac_f32_e32 v123, v137, v152
	v_add_f32_e32 v2, v2, v154
	v_add_f32_e32 v1, v1, v4
	;; [unrolled: 1-line block ×3, first 2 shown]
	s_waitcnt vmcnt(0)
	v_sub_f32_e32 v1, v176, v1
	v_sub_f32_e32 v2, v169, v2
	buffer_store_dword v1, off, s[0:3], 0 offset:160
	buffer_store_dword v2, off, s[0:3], 0 offset:164
	v_cmpx_lt_u32_e32 19, v0
	s_cbranch_execz .LBB54_305
; %bb.304:
	s_clause 0x1
	buffer_load_dword v1, off, s[0:3], 0 offset:152
	buffer_load_dword v2, off, s[0:3], 0 offset:156
	v_mov_b32_e32 v3, 0
	buffer_store_dword v3, off, s[0:3], 0 offset:152
	buffer_store_dword v3, off, s[0:3], 0 offset:156
	s_waitcnt vmcnt(0)
	ds_write_b64 v9, v[1:2]
.LBB54_305:
	s_or_b32 exec_lo, exec_lo, s4
	s_waitcnt lgkmcnt(0)
	s_waitcnt_vscnt null, 0x0
	s_barrier
	buffer_gl0_inv
	s_clause 0x2a
	buffer_load_dword v2, off, s[0:3], 0 offset:164
	buffer_load_dword v3, off, s[0:3], 0 offset:172
	;; [unrolled: 1-line block ×43, first 2 shown]
	v_mov_b32_e32 v1, 0
	ds_read_b128 v[4:7], v1 offset:608
	ds_read_b128 v[122:125], v1 offset:624
	;; [unrolled: 1-line block ×3, first 2 shown]
	buffer_load_dword v171, off, s[0:3], 0 offset:156
	s_mov_b32 s4, exec_lo
	s_waitcnt vmcnt(43) lgkmcnt(2)
	v_mul_f32_e32 v168, v5, v2
	v_mul_f32_e32 v169, v4, v2
	s_waitcnt vmcnt(42)
	v_mul_f32_e32 v170, v6, v3
	v_mul_f32_e32 v2, v7, v3
	s_waitcnt vmcnt(39)
	v_fma_f32 v168, v4, v11, -v168
	v_fmac_f32_e32 v169, v5, v11
	v_fmac_f32_e32 v170, v7, v10
	v_fma_f32 v6, v6, v10, -v2
	ds_read_b128 v[2:5], v1 offset:656
	s_waitcnt vmcnt(38) lgkmcnt(2)
	v_mul_f32_e32 v7, v122, v130
	v_mul_f32_e32 v10, v123, v130
	s_waitcnt vmcnt(37)
	v_mul_f32_e32 v11, v124, v131
	v_mul_f32_e32 v130, v125, v131
	s_waitcnt vmcnt(32) lgkmcnt(1)
	v_mul_f32_e32 v131, v127, v136
	v_fmac_f32_e32 v7, v123, v8
	v_fma_f32 v8, v122, v8, -v10
	v_fmac_f32_e32 v11, v125, v135
	v_fma_f32 v10, v124, v135, -v130
	ds_read_b128 v[122:125], v1 offset:672
	v_mul_f32_e32 v130, v126, v136
	s_waitcnt vmcnt(31)
	v_mul_f32_e32 v135, v128, v137
	v_mul_f32_e32 v136, v129, v137
	v_fma_f32 v131, v126, v134, -v131
	v_fmac_f32_e32 v130, v127, v134
	v_fmac_f32_e32 v135, v129, v133
	v_fma_f32 v133, v128, v133, -v136
	ds_read_b128 v[126:129], v1 offset:688
	s_waitcnt vmcnt(30) lgkmcnt(2)
	v_mul_f32_e32 v134, v2, v138
	v_mul_f32_e32 v137, v3, v138
	s_waitcnt vmcnt(29)
	v_mul_f32_e32 v136, v4, v139
	v_mul_f32_e32 v138, v5, v139
	v_fmac_f32_e32 v134, v3, v132
	v_fma_f32 v132, v2, v132, -v137
	s_waitcnt vmcnt(24)
	v_fmac_f32_e32 v136, v5, v144
	v_fma_f32 v138, v4, v144, -v138
	ds_read_b128 v[2:5], v1 offset:704
	s_waitcnt lgkmcnt(2)
	v_mul_f32_e32 v137, v122, v140
	v_mul_f32_e32 v139, v123, v140
	s_waitcnt vmcnt(23)
	v_mul_f32_e32 v140, v124, v145
	v_mul_f32_e32 v144, v125, v145
	v_fmac_f32_e32 v137, v123, v143
	v_fma_f32 v139, v122, v143, -v139
	v_fmac_f32_e32 v140, v125, v142
	v_fma_f32 v142, v124, v142, -v144
	s_waitcnt vmcnt(22) lgkmcnt(1)
	v_mul_f32_e32 v143, v126, v146
	v_mul_f32_e32 v144, v127, v146
	ds_read_b128 v[122:125], v1 offset:720
	s_waitcnt vmcnt(21)
	v_mul_f32_e32 v145, v128, v147
	v_mul_f32_e32 v146, v129, v147
	v_fmac_f32_e32 v143, v127, v141
	v_fma_f32 v141, v126, v141, -v144
	buffer_load_dword v144, off, s[0:3], 0 offset:324
	s_waitcnt vmcnt(18)
	v_fmac_f32_e32 v145, v129, v151
	v_fma_f32 v146, v128, v151, -v146
	s_waitcnt vmcnt(17) lgkmcnt(1)
	v_mul_f32_e32 v147, v2, v152
	v_mul_f32_e32 v126, v3, v152
	s_waitcnt vmcnt(16)
	v_mul_f32_e32 v151, v4, v153
	v_mul_f32_e32 v127, v5, v153
	v_fmac_f32_e32 v147, v3, v150
	v_fma_f32 v150, v2, v150, -v126
	v_fmac_f32_e32 v151, v5, v149
	v_fma_f32 v149, v4, v149, -v127
	ds_read_b128 v[2:5], v1 offset:736
	s_waitcnt vmcnt(15) lgkmcnt(1)
	v_mul_f32_e32 v152, v122, v154
	v_mul_f32_e32 v128, v123, v154
	s_waitcnt vmcnt(14)
	v_mul_f32_e32 v153, v124, v155
	v_mul_f32_e32 v154, v125, v155
	v_fmac_f32_e32 v152, v123, v148
	v_fma_f32 v148, v122, v148, -v128
	ds_read_b128 v[126:129], v1 offset:752
	s_waitcnt vmcnt(10)
	v_fmac_f32_e32 v153, v125, v159
	v_fma_f32 v154, v124, v159, -v154
	s_clause 0x1
	buffer_load_dword v155, off, s[0:3], 0 offset:332
	buffer_load_dword v159, off, s[0:3], 0 offset:340
	s_waitcnt vmcnt(11) lgkmcnt(1)
	v_mul_f32_e32 v172, v2, v160
	v_mul_f32_e32 v122, v3, v160
	buffer_load_dword v160, off, s[0:3], 0 offset:348
	s_waitcnt vmcnt(11)
	v_mul_f32_e32 v173, v4, v161
	v_mul_f32_e32 v123, v5, v161
	v_fmac_f32_e32 v172, v3, v158
	v_fma_f32 v158, v2, v158, -v122
	v_fmac_f32_e32 v173, v5, v157
	v_fma_f32 v157, v4, v157, -v123
	s_waitcnt vmcnt(10) lgkmcnt(0)
	v_mul_f32_e32 v161, v126, v162
	v_mul_f32_e32 v2, v127, v162
	s_clause 0x3
	buffer_load_dword v162, off, s[0:3], 0 offset:368
	buffer_load_dword v174, off, s[0:3], 0 offset:360
	;; [unrolled: 1-line block ×4, first 2 shown]
	s_waitcnt vmcnt(13)
	v_mul_f32_e32 v177, v128, v163
	v_mul_f32_e32 v3, v129, v163
	s_clause 0x1
	buffer_load_dword v163, off, s[0:3], 0 offset:356
	buffer_load_dword v178, off, s[0:3], 0 offset:364
	v_fmac_f32_e32 v161, v127, v156
	v_fma_f32 v156, v126, v156, -v2
	s_waitcnt vmcnt(11)
	v_fmac_f32_e32 v177, v129, v167
	v_fma_f32 v167, v128, v167, -v3
	v_add_f32_e32 v2, 0, v168
	v_add_f32_e32 v3, 0, v169
	s_clause 0x4
	buffer_load_dword v168, off, s[0:3], 0 offset:372
	buffer_load_dword v169, off, s[0:3], 0 offset:380
	;; [unrolled: 1-line block ×5, first 2 shown]
	v_add_f32_e32 v2, v2, v6
	v_add_f32_e32 v3, v3, v170
	;; [unrolled: 1-line block ×4, first 2 shown]
	s_clause 0x1
	buffer_load_dword v8, off, s[0:3], 0 offset:412
	buffer_load_dword v170, off, s[0:3], 0 offset:420
	v_add_f32_e32 v2, v2, v10
	s_clause 0x1
	buffer_load_dword v10, off, s[0:3], 0 offset:428
	buffer_load_dword v182, off, s[0:3], 0 offset:436
	v_add_f32_e32 v3, v3, v11
	s_clause 0x3
	buffer_load_dword v11, off, s[0:3], 0 offset:400
	buffer_load_dword v183, off, s[0:3], 0 offset:392
	;; [unrolled: 1-line block ×4, first 2 shown]
	v_add_f32_e32 v2, v2, v131
	v_add_f32_e32 v3, v3, v130
	v_add_f32_e32 v2, v2, v133
	v_add_f32_e32 v3, v3, v135
	v_add_f32_e32 v2, v2, v132
	v_add_f32_e32 v3, v3, v134
	v_add_f32_e32 v2, v2, v138
	s_clause 0x4
	buffer_load_dword v138, off, s[0:3], 0 offset:432
	buffer_load_dword v186, off, s[0:3], 0 offset:424
	;; [unrolled: 1-line block ×5, first 2 shown]
	v_add_f32_e32 v3, v3, v136
	ds_read_b128 v[122:125], v1 offset:784
	v_add_f32_e32 v2, v2, v139
	v_add_f32_e32 v3, v3, v137
	;; [unrolled: 1-line block ×4, first 2 shown]
	ds_read_b128 v[2:5], v1 offset:768
	v_add_f32_e32 v6, v6, v141
	v_add_f32_e32 v7, v7, v143
	;; [unrolled: 1-line block ×8, first 2 shown]
	s_waitcnt vmcnt(27) lgkmcnt(0)
	v_mul_f32_e32 v139, v2, v144
	v_mul_f32_e32 v126, v3, v144
	v_fmac_f32_e32 v139, v3, v166
	v_add_f32_e32 v3, v6, v148
	v_add_f32_e32 v6, v7, v152
	v_fma_f32 v141, v2, v166, -v126
	v_add_f32_e32 v7, v3, v154
	v_add_f32_e32 v6, v6, v153
	;; [unrolled: 1-line block ×6, first 2 shown]
	s_waitcnt vmcnt(26)
	v_mul_f32_e32 v140, v4, v155
	v_mul_f32_e32 v127, v5, v155
	v_add_f32_e32 v7, v7, v156
	v_add_f32_e32 v147, v6, v161
	s_waitcnt vmcnt(25)
	v_mul_f32_e32 v134, v123, v159
	v_fmac_f32_e32 v140, v5, v165
	v_fma_f32 v142, v4, v165, -v127
	ds_read_b128 v[2:5], v1 offset:800
	ds_read_b128 v[126:129], v1 offset:816
	v_add_f32_e32 v148, v7, v167
	v_add_f32_e32 v147, v147, v177
	v_mul_f32_e32 v143, v122, v159
	s_waitcnt vmcnt(24)
	v_mul_f32_e32 v145, v125, v160
	v_fma_f32 v146, v122, v164, -v134
	v_add_f32_e32 v141, v148, v141
	v_add_f32_e32 v139, v147, v139
	v_mul_f32_e32 v144, v124, v160
	v_fmac_f32_e32 v143, v123, v164
	ds_read_b128 v[130:133], v1 offset:832
	ds_read_b128 v[134:137], v1 offset:848
	v_add_f32_e32 v141, v141, v142
	v_add_f32_e32 v139, v139, v140
	s_waitcnt vmcnt(20)
	v_fma_f32 v145, v124, v176, -v145
	v_fmac_f32_e32 v144, v125, v176
	ds_read_b128 v[122:125], v1 offset:864
	ds_read_b64 v[6:7], v1 offset:880
	v_add_f32_e32 v141, v141, v146
	v_add_f32_e32 v139, v139, v143
	s_waitcnt vmcnt(19) lgkmcnt(5)
	v_mul_f32_e32 v148, v3, v163
	v_mul_f32_e32 v149, v2, v163
	s_waitcnt vmcnt(18)
	v_mul_f32_e32 v151, v5, v178
	v_add_f32_e32 v141, v141, v145
	v_mul_f32_e32 v150, v4, v178
	v_fma_f32 v2, v2, v175, -v148
	v_fmac_f32_e32 v149, v3, v175
	v_add_f32_e32 v139, v139, v144
	s_waitcnt vmcnt(17) lgkmcnt(4)
	v_mul_f32_e32 v148, v127, v168
	v_fma_f32 v4, v4, v174, -v151
	v_add_f32_e32 v2, v141, v2
	v_mul_f32_e32 v147, v126, v168
	v_fmac_f32_e32 v150, v5, v174
	v_add_f32_e32 v5, v139, v149
	s_waitcnt vmcnt(16)
	v_mul_f32_e32 v139, v129, v169
	v_fma_f32 v126, v126, v162, -v148
	v_add_f32_e32 v2, v2, v4
	v_mul_f32_e32 v142, v128, v169
	v_fmac_f32_e32 v147, v127, v162
	v_add_f32_e32 v4, v5, v150
	s_waitcnt vmcnt(15) lgkmcnt(3)
	v_mul_f32_e32 v5, v131, v179
	s_waitcnt vmcnt(5)
	v_fma_f32 v127, v128, v185, -v139
	v_add_f32_e32 v2, v2, v126
	v_mul_f32_e32 v152, v130, v179
	v_fmac_f32_e32 v142, v129, v185
	v_add_f32_e32 v4, v4, v147
	v_mul_f32_e32 v126, v133, v180
	v_fma_f32 v5, v130, v184, -v5
	v_add_f32_e32 v2, v2, v127
	v_mul_f32_e32 v140, v132, v180
	v_fmac_f32_e32 v152, v131, v184
	v_add_f32_e32 v4, v4, v142
	s_waitcnt lgkmcnt(2)
	v_mul_f32_e32 v127, v135, v181
	v_fma_f32 v126, v132, v183, -v126
	v_add_f32_e32 v2, v2, v5
	v_mul_f32_e32 v146, v134, v181
	v_fmac_f32_e32 v140, v133, v183
	v_add_f32_e32 v4, v4, v152
	v_mul_f32_e32 v3, v136, v8
	v_mul_f32_e32 v5, v137, v8
	v_fma_f32 v8, v134, v11, -v127
	v_add_f32_e32 v2, v2, v126
	v_fmac_f32_e32 v146, v135, v11
	v_add_f32_e32 v4, v4, v140
	s_waitcnt lgkmcnt(1)
	v_mul_f32_e32 v11, v123, v170
	s_waitcnt vmcnt(1)
	v_fma_f32 v5, v136, v188, -v5
	v_add_f32_e32 v2, v2, v8
	v_mul_f32_e32 v143, v122, v170
	v_fmac_f32_e32 v3, v137, v188
	v_add_f32_e32 v4, v4, v146
	v_mul_f32_e32 v145, v124, v10
	v_mul_f32_e32 v8, v125, v10
	v_fma_f32 v10, v122, v187, -v11
	v_add_f32_e32 v2, v2, v5
	v_fmac_f32_e32 v143, v123, v187
	v_add_f32_e32 v3, v4, v3
	s_waitcnt lgkmcnt(0)
	v_mul_f32_e32 v4, v7, v182
	v_fma_f32 v5, v124, v186, -v8
	v_add_f32_e32 v2, v2, v10
	v_mul_f32_e32 v144, v6, v182
	v_fmac_f32_e32 v145, v125, v186
	v_add_f32_e32 v3, v3, v143
	v_fma_f32 v4, v6, v138, -v4
	v_add_f32_e32 v2, v2, v5
	v_fmac_f32_e32 v144, v7, v138
	v_add_f32_e32 v3, v3, v145
	v_add_f32_e32 v2, v2, v4
	;; [unrolled: 1-line block ×3, first 2 shown]
	s_waitcnt vmcnt(0)
	v_sub_f32_e32 v2, v189, v2
	v_sub_f32_e32 v3, v171, v3
	buffer_store_dword v2, off, s[0:3], 0 offset:152
	buffer_store_dword v3, off, s[0:3], 0 offset:156
	v_cmpx_lt_u32_e32 18, v0
	s_cbranch_execz .LBB54_307
; %bb.306:
	s_clause 0x1
	buffer_load_dword v2, off, s[0:3], 0 offset:144
	buffer_load_dword v3, off, s[0:3], 0 offset:148
	buffer_store_dword v1, off, s[0:3], 0 offset:144
	buffer_store_dword v1, off, s[0:3], 0 offset:148
	s_waitcnt vmcnt(0)
	ds_write_b64 v9, v[2:3]
.LBB54_307:
	s_or_b32 exec_lo, exec_lo, s4
	s_waitcnt lgkmcnt(0)
	s_waitcnt_vscnt null, 0x0
	s_barrier
	buffer_gl0_inv
	s_clause 0x2a
	buffer_load_dword v2, off, s[0:3], 0 offset:156
	buffer_load_dword v3, off, s[0:3], 0 offset:164
	;; [unrolled: 1-line block ×43, first 2 shown]
	ds_read2_b64 v[4:7], v1 offset0:75 offset1:76
	ds_read2_b64 v[122:125], v1 offset0:77 offset1:78
	;; [unrolled: 1-line block ×3, first 2 shown]
	buffer_load_dword v171, off, s[0:3], 0 offset:148
	s_mov_b32 s4, exec_lo
	s_waitcnt vmcnt(43) lgkmcnt(2)
	v_mul_f32_e32 v168, v5, v2
	v_mul_f32_e32 v169, v4, v2
	s_waitcnt vmcnt(42)
	v_mul_f32_e32 v2, v7, v3
	v_mul_f32_e32 v170, v6, v3
	s_waitcnt vmcnt(39)
	v_fma_f32 v168, v4, v11, -v168
	v_fmac_f32_e32 v169, v5, v11
	v_fma_f32 v6, v6, v10, -v2
	ds_read2_b64 v[2:5], v1 offset0:81 offset1:82
	v_fmac_f32_e32 v170, v7, v10
	s_waitcnt vmcnt(38) lgkmcnt(2)
	v_mul_f32_e32 v7, v122, v130
	v_mul_f32_e32 v10, v123, v130
	s_waitcnt vmcnt(37)
	v_mul_f32_e32 v11, v124, v131
	v_mul_f32_e32 v130, v125, v131
	s_waitcnt vmcnt(32) lgkmcnt(1)
	v_mul_f32_e32 v131, v127, v136
	v_fmac_f32_e32 v7, v123, v8
	v_fma_f32 v8, v122, v8, -v10
	v_fmac_f32_e32 v11, v125, v135
	v_fma_f32 v10, v124, v135, -v130
	ds_read2_b64 v[122:125], v1 offset0:83 offset1:84
	v_mul_f32_e32 v130, v126, v136
	s_waitcnt vmcnt(31)
	v_mul_f32_e32 v135, v128, v137
	v_mul_f32_e32 v136, v129, v137
	v_fma_f32 v131, v126, v134, -v131
	v_fmac_f32_e32 v130, v127, v134
	v_fmac_f32_e32 v135, v129, v133
	v_fma_f32 v133, v128, v133, -v136
	ds_read2_b64 v[126:129], v1 offset0:85 offset1:86
	s_waitcnt vmcnt(30) lgkmcnt(2)
	v_mul_f32_e32 v134, v2, v138
	v_mul_f32_e32 v136, v3, v138
	s_waitcnt vmcnt(29)
	v_mul_f32_e32 v137, v4, v139
	v_mul_f32_e32 v138, v5, v139
	v_fmac_f32_e32 v134, v3, v132
	v_fma_f32 v132, v2, v132, -v136
	s_waitcnt vmcnt(25)
	v_fmac_f32_e32 v137, v5, v143
	v_fma_f32 v136, v4, v143, -v138
	ds_read2_b64 v[2:5], v1 offset0:87 offset1:88
	s_waitcnt vmcnt(24) lgkmcnt(2)
	v_mul_f32_e32 v138, v122, v144
	v_mul_f32_e32 v139, v123, v144
	s_waitcnt vmcnt(23)
	v_mul_f32_e32 v143, v124, v145
	v_mul_f32_e32 v144, v125, v145
	v_fmac_f32_e32 v138, v123, v142
	v_fma_f32 v139, v122, v142, -v139
	v_fmac_f32_e32 v143, v125, v141
	v_fma_f32 v141, v124, v141, -v144
	ds_read2_b64 v[122:125], v1 offset0:89 offset1:90
	s_waitcnt vmcnt(22) lgkmcnt(2)
	v_mul_f32_e32 v142, v126, v146
	v_mul_f32_e32 v144, v127, v146
	s_waitcnt vmcnt(21)
	v_mul_f32_e32 v145, v128, v147
	v_mul_f32_e32 v146, v129, v147
	v_fmac_f32_e32 v142, v127, v140
	v_fma_f32 v140, v126, v140, -v144
	s_waitcnt vmcnt(17)
	v_fmac_f32_e32 v145, v129, v151
	v_fma_f32 v144, v128, v151, -v146
	s_waitcnt vmcnt(16) lgkmcnt(1)
	v_mul_f32_e32 v146, v2, v152
	v_mul_f32_e32 v147, v3, v152
	s_waitcnt vmcnt(15)
	v_mul_f32_e32 v151, v4, v153
	v_mul_f32_e32 v152, v5, v153
	ds_read2_b64 v[126:129], v1 offset0:91 offset1:92
	v_fmac_f32_e32 v146, v3, v150
	v_fma_f32 v147, v2, v150, -v147
	v_fmac_f32_e32 v151, v5, v149
	v_fma_f32 v149, v4, v149, -v152
	s_clause 0x1
	buffer_load_dword v150, off, s[0:3], 0 offset:316
	buffer_load_dword v152, off, s[0:3], 0 offset:324
	s_waitcnt vmcnt(16) lgkmcnt(1)
	v_mul_f32_e32 v153, v122, v154
	v_mul_f32_e32 v2, v123, v154
	s_waitcnt vmcnt(15)
	v_mul_f32_e32 v154, v124, v155
	v_mul_f32_e32 v3, v125, v155
	v_fmac_f32_e32 v153, v123, v148
	v_fma_f32 v148, v122, v148, -v2
	s_waitcnt vmcnt(11)
	v_fmac_f32_e32 v154, v125, v159
	v_fma_f32 v155, v124, v159, -v3
	buffer_load_dword v159, off, s[0:3], 0 offset:332
	ds_read2_b64 v[2:5], v1 offset0:93 offset1:94
	s_waitcnt vmcnt(11) lgkmcnt(1)
	v_mul_f32_e32 v172, v126, v160
	v_mul_f32_e32 v122, v127, v160
	s_waitcnt vmcnt(10)
	v_mul_f32_e32 v160, v128, v161
	v_mul_f32_e32 v123, v129, v161
	s_clause 0x5
	buffer_load_dword v161, off, s[0:3], 0 offset:340
	buffer_load_dword v173, off, s[0:3], 0 offset:360
	;; [unrolled: 1-line block ×6, first 2 shown]
	v_fmac_f32_e32 v172, v127, v158
	v_fma_f32 v158, v126, v158, -v122
	v_fmac_f32_e32 v160, v129, v157
	v_fma_f32 v157, v128, v157, -v123
	s_waitcnt vmcnt(15) lgkmcnt(0)
	v_mul_f32_e32 v177, v2, v162
	v_mul_f32_e32 v122, v3, v162
	s_waitcnt vmcnt(14)
	v_mul_f32_e32 v162, v4, v163
	v_fmac_f32_e32 v177, v3, v156
	v_add_f32_e32 v3, 0, v168
	v_fma_f32 v156, v2, v156, -v122
	v_add_f32_e32 v2, 0, v169
	v_mul_f32_e32 v122, v5, v163
	s_clause 0x1
	buffer_load_dword v163, off, s[0:3], 0 offset:364
	buffer_load_dword v168, off, s[0:3], 0 offset:372
	v_add_f32_e32 v3, v3, v6
	buffer_load_dword v6, off, s[0:3], 0 offset:356
	v_add_f32_e32 v2, v2, v170
	s_waitcnt vmcnt(13)
	v_fmac_f32_e32 v162, v5, v167
	v_fma_f32 v167, v4, v167, -v122
	v_add_f32_e32 v3, v3, v8
	v_add_f32_e32 v2, v2, v7
	s_clause 0x2
	buffer_load_dword v7, off, s[0:3], 0 offset:380
	buffer_load_dword v8, off, s[0:3], 0 offset:388
	;; [unrolled: 1-line block ×3, first 2 shown]
	v_add_f32_e32 v3, v3, v10
	v_add_f32_e32 v2, v2, v11
	s_clause 0xe
	buffer_load_dword v10, off, s[0:3], 0 offset:404
	buffer_load_dword v11, off, s[0:3], 0 offset:412
	;; [unrolled: 1-line block ×15, first 2 shown]
	v_add_f32_e32 v3, v3, v131
	v_add_f32_e32 v2, v2, v130
	;; [unrolled: 1-line block ×14, first 2 shown]
	ds_read2_b64 v[2:5], v1 offset0:95 offset1:96
	v_add_f32_e32 v122, v122, v144
	v_add_f32_e32 v123, v123, v145
	;; [unrolled: 1-line block ×4, first 2 shown]
	ds_read2_b64 v[122:125], v1 offset0:97 offset1:98
	v_add_f32_e32 v126, v126, v149
	v_add_f32_e32 v127, v127, v151
	;; [unrolled: 1-line block ×10, first 2 shown]
	s_waitcnt vmcnt(29) lgkmcnt(1)
	v_mul_f32_e32 v142, v2, v150
	v_mul_f32_e32 v128, v3, v150
	s_waitcnt vmcnt(28)
	v_mul_f32_e32 v143, v4, v152
	v_mul_f32_e32 v129, v5, v152
	v_add_f32_e32 v150, v139, v162
	v_fmac_f32_e32 v142, v3, v166
	v_fma_f32 v138, v2, v166, -v128
	v_fmac_f32_e32 v143, v5, v165
	v_fma_f32 v144, v4, v165, -v129
	ds_read2_b64 v[2:5], v1 offset0:99 offset1:100
	ds_read2_b64 v[126:129], v1 offset0:101 offset1:102
	s_waitcnt vmcnt(27) lgkmcnt(2)
	v_mul_f32_e32 v145, v122, v159
	v_mul_f32_e32 v132, v123, v159
	v_fmac_f32_e32 v145, v123, v164
	v_add_f32_e32 v123, v131, v157
	v_fma_f32 v147, v122, v164, -v132
	s_waitcnt vmcnt(26)
	v_mul_f32_e32 v146, v124, v161
	v_mul_f32_e32 v133, v125, v161
	v_add_f32_e32 v135, v123, v156
	s_waitcnt vmcnt(22)
	v_fmac_f32_e32 v146, v125, v176
	v_fma_f32 v148, v124, v176, -v133
	v_add_f32_e32 v141, v135, v167
	ds_read2_b64 v[122:125], v1 offset0:103 offset1:104
	ds_read2_b64 v[130:133], v1 offset0:105 offset1:106
	s_waitcnt vmcnt(21) lgkmcnt(3)
	v_mul_f32_e32 v149, v2, v178
	v_mul_f32_e32 v140, v3, v178
	ds_read2_b64 v[134:137], v1 offset0:107 offset1:108
	v_fmac_f32_e32 v149, v3, v175
	v_add_f32_e32 v3, v141, v138
	v_fma_f32 v2, v2, v175, -v140
	ds_read2_b64 v[138:141], v1 offset0:109 offset1:110
	v_add_f32_e32 v1, v150, v142
	v_add_f32_e32 v3, v3, v144
	s_waitcnt vmcnt(20) lgkmcnt(4)
	v_mul_f32_e32 v150, v127, v163
	v_add_f32_e32 v1, v1, v143
	v_mul_f32_e32 v144, v126, v163
	v_add_f32_e32 v3, v3, v147
	s_waitcnt vmcnt(18)
	v_mul_f32_e32 v142, v4, v6
	v_mul_f32_e32 v6, v5, v6
	v_add_f32_e32 v1, v1, v145
	v_fma_f32 v126, v126, v173, -v150
	v_add_f32_e32 v3, v3, v148
	v_fmac_f32_e32 v142, v5, v174
	v_fma_f32 v4, v4, v174, -v6
	v_add_f32_e32 v1, v1, v146
	v_mul_f32_e32 v146, v129, v168
	v_add_f32_e32 v2, v3, v2
	v_mul_f32_e32 v143, v128, v168
	v_fmac_f32_e32 v144, v127, v173
	v_add_f32_e32 v1, v1, v149
	s_waitcnt vmcnt(17) lgkmcnt(3)
	v_mul_f32_e32 v5, v122, v7
	v_add_f32_e32 v2, v2, v4
	v_mul_f32_e32 v4, v123, v7
	s_waitcnt vmcnt(6)
	v_fma_f32 v7, v128, v184, -v146
	v_add_f32_e32 v1, v1, v142
	v_fmac_f32_e32 v143, v129, v184
	v_add_f32_e32 v2, v2, v126
	v_mul_f32_e32 v6, v124, v8
	v_mul_f32_e32 v8, v125, v8
	v_add_f32_e32 v1, v1, v144
	v_fma_f32 v4, v122, v183, -v4
	v_add_f32_e32 v2, v2, v7
	v_fmac_f32_e32 v5, v123, v183
	s_waitcnt lgkmcnt(2)
	v_mul_f32_e32 v7, v131, v169
	v_add_f32_e32 v1, v1, v143
	v_fma_f32 v8, v124, v182, -v8
	v_add_f32_e32 v2, v2, v4
	v_mul_f32_e32 v145, v130, v169
	v_fmac_f32_e32 v6, v125, v182
	v_add_f32_e32 v1, v1, v5
	v_mul_f32_e32 v4, v133, v10
	v_fma_f32 v5, v130, v181, -v7
	v_add_f32_e32 v2, v2, v8
	v_mul_f32_e32 v147, v132, v10
	v_fmac_f32_e32 v145, v131, v181
	v_add_f32_e32 v1, v1, v6
	s_waitcnt lgkmcnt(1)
	v_mul_f32_e32 v6, v135, v11
	s_waitcnt vmcnt(2)
	v_fma_f32 v4, v132, v188, -v4
	v_add_f32_e32 v2, v2, v5
	v_mul_f32_e32 v151, v134, v11
	v_fmac_f32_e32 v147, v133, v188
	v_add_f32_e32 v1, v1, v145
	v_mul_f32_e32 v5, v137, v170
	v_fma_f32 v6, v134, v187, -v6
	v_add_f32_e32 v2, v2, v4
	v_mul_f32_e32 v148, v136, v170
	v_fmac_f32_e32 v151, v135, v187
	v_add_f32_e32 v1, v1, v147
	s_waitcnt lgkmcnt(0)
	v_mul_f32_e32 v4, v139, v179
	v_fma_f32 v5, v136, v186, -v5
	v_add_f32_e32 v2, v2, v6
	v_mul_f32_e32 v152, v138, v179
	v_fmac_f32_e32 v148, v137, v186
	v_add_f32_e32 v1, v1, v151
	v_mul_f32_e32 v6, v141, v180
	v_fma_f32 v4, v138, v185, -v4
	v_add_f32_e32 v2, v2, v5
	v_mul_f32_e32 v3, v140, v180
	v_fmac_f32_e32 v152, v139, v185
	v_add_f32_e32 v1, v1, v148
	s_waitcnt vmcnt(1)
	v_fma_f32 v5, v140, v189, -v6
	v_add_f32_e32 v2, v2, v4
	v_fmac_f32_e32 v3, v141, v189
	v_add_f32_e32 v1, v1, v152
	v_add_f32_e32 v2, v2, v5
	;; [unrolled: 1-line block ×3, first 2 shown]
	s_waitcnt vmcnt(0)
	v_sub_f32_e32 v2, v190, v2
	v_sub_f32_e32 v1, v171, v1
	buffer_store_dword v2, off, s[0:3], 0 offset:144
	buffer_store_dword v1, off, s[0:3], 0 offset:148
	v_cmpx_lt_u32_e32 17, v0
	s_cbranch_execz .LBB54_309
; %bb.308:
	s_clause 0x1
	buffer_load_dword v1, off, s[0:3], 0 offset:136
	buffer_load_dword v2, off, s[0:3], 0 offset:140
	v_mov_b32_e32 v3, 0
	buffer_store_dword v3, off, s[0:3], 0 offset:136
	buffer_store_dword v3, off, s[0:3], 0 offset:140
	s_waitcnt vmcnt(0)
	ds_write_b64 v9, v[1:2]
.LBB54_309:
	s_or_b32 exec_lo, exec_lo, s4
	s_waitcnt lgkmcnt(0)
	s_waitcnt_vscnt null, 0x0
	s_barrier
	buffer_gl0_inv
	s_clause 0x2b
	buffer_load_dword v6, off, s[0:3], 0 offset:148
	buffer_load_dword v7, off, s[0:3], 0 offset:160
	;; [unrolled: 1-line block ×44, first 2 shown]
	v_mov_b32_e32 v1, 0
	ds_read_b128 v[2:5], v1 offset:592
	ds_read_b128 v[122:125], v1 offset:608
	;; [unrolled: 1-line block ×3, first 2 shown]
	buffer_load_dword v170, off, s[0:3], 0 offset:140
	s_mov_b32 s4, exec_lo
	s_waitcnt vmcnt(44) lgkmcnt(2)
	v_mul_f32_e32 v169, v3, v6
	v_mul_f32_e32 v6, v2, v6
	s_waitcnt vmcnt(41)
	v_fma_f32 v169, v2, v10, -v169
	v_fmac_f32_e32 v6, v3, v10
	s_waitcnt vmcnt(40)
	v_mul_f32_e32 v10, v4, v11
	v_mul_f32_e32 v2, v5, v11
	s_waitcnt vmcnt(39) lgkmcnt(1)
	v_mul_f32_e32 v11, v122, v130
	v_mul_f32_e32 v130, v123, v130
	v_add_f32_e32 v6, 0, v6
	v_fmac_f32_e32 v10, v5, v8
	v_fma_f32 v8, v4, v8, -v2
	ds_read_b128 v[2:5], v1 offset:640
	v_fmac_f32_e32 v11, v123, v7
	v_fma_f32 v7, v122, v7, -v130
	s_waitcnt vmcnt(38)
	v_mul_f32_e32 v130, v124, v131
	v_mul_f32_e32 v122, v125, v131
	v_add_f32_e32 v6, v6, v10
	s_waitcnt vmcnt(34)
	v_fmac_f32_e32 v130, v125, v135
	v_fma_f32 v131, v124, v135, -v122
	s_waitcnt vmcnt(33) lgkmcnt(1)
	v_mul_f32_e32 v135, v126, v136
	v_mul_f32_e32 v136, v127, v136
	ds_read_b128 v[122:125], v1 offset:656
	v_add_f32_e32 v6, v6, v11
	v_fmac_f32_e32 v135, v127, v134
	v_fma_f32 v134, v126, v134, -v136
	s_waitcnt vmcnt(32)
	v_mul_f32_e32 v136, v128, v137
	v_mul_f32_e32 v126, v129, v137
	v_add_f32_e32 v6, v6, v130
	s_waitcnt vmcnt(31) lgkmcnt(1)
	v_mul_f32_e32 v137, v2, v138
	v_mul_f32_e32 v138, v3, v138
	v_fmac_f32_e32 v136, v129, v133
	v_fma_f32 v133, v128, v133, -v126
	ds_read_b128 v[126:129], v1 offset:672
	v_fmac_f32_e32 v137, v3, v132
	v_fma_f32 v132, v2, v132, -v138
	s_waitcnt vmcnt(30)
	v_mul_f32_e32 v138, v4, v139
	v_mul_f32_e32 v2, v5, v139
	v_add_f32_e32 v6, v6, v135
	s_waitcnt vmcnt(26)
	v_fmac_f32_e32 v138, v5, v143
	v_fma_f32 v139, v4, v143, -v2
	ds_read_b128 v[2:5], v1 offset:688
	s_waitcnt vmcnt(25) lgkmcnt(2)
	v_mul_f32_e32 v143, v122, v144
	v_mul_f32_e32 v144, v123, v144
	v_add_f32_e32 v6, v6, v136
	v_fmac_f32_e32 v143, v123, v142
	v_fma_f32 v142, v122, v142, -v144
	s_waitcnt vmcnt(24)
	v_mul_f32_e32 v144, v124, v145
	v_mul_f32_e32 v122, v125, v145
	s_waitcnt vmcnt(23) lgkmcnt(1)
	v_mul_f32_e32 v145, v126, v146
	v_mul_f32_e32 v146, v127, v146
	v_add_f32_e32 v6, v6, v137
	v_fmac_f32_e32 v144, v125, v141
	v_fma_f32 v141, v124, v141, -v122
	ds_read_b128 v[122:125], v1 offset:704
	v_fmac_f32_e32 v145, v127, v140
	v_fma_f32 v140, v126, v140, -v146
	s_waitcnt vmcnt(22)
	v_mul_f32_e32 v146, v128, v147
	v_mul_f32_e32 v126, v129, v147
	s_waitcnt vmcnt(18)
	v_fmac_f32_e32 v146, v129, v151
	v_fma_f32 v147, v128, v151, -v126
	s_waitcnt vmcnt(17) lgkmcnt(1)
	v_mul_f32_e32 v151, v2, v152
	v_mul_f32_e32 v126, v3, v152
	s_waitcnt vmcnt(16)
	v_mul_f32_e32 v152, v4, v153
	v_mul_f32_e32 v153, v5, v153
	v_fmac_f32_e32 v151, v3, v150
	v_fma_f32 v150, v2, v150, -v126
	ds_read_b128 v[126:129], v1 offset:720
	v_fmac_f32_e32 v152, v5, v149
	v_fma_f32 v149, v4, v149, -v153
	s_clause 0x1
	buffer_load_dword v153, off, s[0:3], 0 offset:316
	buffer_load_dword v171, off, s[0:3], 0 offset:324
	v_add_f32_e32 v4, 0, v169
	s_waitcnt vmcnt(17) lgkmcnt(1)
	v_mul_f32_e32 v172, v122, v154
	v_mul_f32_e32 v2, v123, v154
	s_waitcnt vmcnt(16)
	v_mul_f32_e32 v3, v125, v155
	v_mul_f32_e32 v154, v124, v155
	v_add_f32_e32 v8, v4, v8
	v_fmac_f32_e32 v172, v123, v148
	v_fma_f32 v148, v122, v148, -v2
	s_waitcnt vmcnt(12)
	v_fma_f32 v155, v124, v159, -v3
	ds_read_b128 v[2:5], v1 offset:736
	v_add_f32_e32 v7, v8, v7
	buffer_load_dword v173, off, s[0:3], 0 offset:332
	v_fmac_f32_e32 v154, v125, v159
	v_add_f32_e32 v7, v7, v131
	s_waitcnt vmcnt(12) lgkmcnt(1)
	v_mul_f32_e32 v159, v126, v160
	v_mul_f32_e32 v122, v127, v160
	s_clause 0x3
	buffer_load_dword v8, off, s[0:3], 0 offset:352
	buffer_load_dword v10, off, s[0:3], 0 offset:344
	;; [unrolled: 1-line block ×4, first 2 shown]
	s_waitcnt vmcnt(15)
	v_mul_f32_e32 v131, v128, v161
	v_add_f32_e32 v7, v7, v134
	v_fmac_f32_e32 v159, v127, v158
	v_fma_f32 v126, v126, v158, -v122
	s_clause 0x1
	buffer_load_dword v11, off, s[0:3], 0 offset:340
	buffer_load_dword v158, off, s[0:3], 0 offset:348
	v_mul_f32_e32 v122, v129, v161
	buffer_load_dword v161, off, s[0:3], 0 offset:356
	v_add_f32_e32 v7, v7, v133
	v_fmac_f32_e32 v131, v129, v157
	s_waitcnt vmcnt(17) lgkmcnt(0)
	v_mul_f32_e32 v134, v2, v162
	v_mul_f32_e32 v127, v3, v162
	v_add_f32_e32 v7, v7, v132
	v_fma_f32 v130, v128, v157, -v122
	s_waitcnt vmcnt(16)
	v_mul_f32_e32 v135, v4, v163
	v_mul_f32_e32 v128, v5, v163
	v_fmac_f32_e32 v134, v3, v156
	v_fma_f32 v136, v2, v156, -v127
	v_add_f32_e32 v2, v7, v139
	v_add_f32_e32 v3, v6, v138
	s_clause 0x3
	buffer_load_dword v157, off, s[0:3], 0 offset:364
	buffer_load_dword v174, off, s[0:3], 0 offset:372
	;; [unrolled: 1-line block ×4, first 2 shown]
	ds_read_b128 v[122:125], v1 offset:752
	s_clause 0x3
	buffer_load_dword v138, off, s[0:3], 0 offset:396
	buffer_load_dword v139, off, s[0:3], 0 offset:404
	;; [unrolled: 1-line block ×4, first 2 shown]
	s_waitcnt vmcnt(20)
	v_fmac_f32_e32 v135, v5, v167
	v_fma_f32 v6, v4, v167, -v128
	buffer_load_dword v163, off, s[0:3], 0 offset:428
	v_add_f32_e32 v2, v2, v142
	v_add_f32_e32 v3, v3, v143
	s_clause 0x4
	buffer_load_dword v142, off, s[0:3], 0 offset:384
	buffer_load_dword v143, off, s[0:3], 0 offset:376
	;; [unrolled: 1-line block ×5, first 2 shown]
	v_add_f32_e32 v2, v2, v141
	v_add_f32_e32 v7, v3, v144
	;; [unrolled: 1-line block ×4, first 2 shown]
	ds_read_b128 v[2:5], v1 offset:768
	s_waitcnt vmcnt(25) lgkmcnt(1)
	v_mul_f32_e32 v128, v123, v168
	v_add_f32_e32 v7, v7, v146
	s_clause 0x3
	buffer_load_dword v141, off, s[0:3], 0 offset:416
	buffer_load_dword v144, off, s[0:3], 0 offset:408
	;; [unrolled: 1-line block ×4, first 2 shown]
	v_add_f32_e32 v127, v127, v147
	v_mul_f32_e32 v140, v122, v168
	v_fma_f32 v137, v122, v166, -v128
	v_add_f32_e32 v7, v7, v151
	v_add_f32_e32 v122, v127, v150
	v_fmac_f32_e32 v140, v123, v166
	v_add_f32_e32 v7, v7, v152
	v_add_f32_e32 v122, v122, v149
	s_clause 0x2
	buffer_load_dword v147, off, s[0:3], 0 offset:432
	buffer_load_dword v149, off, s[0:3], 0 offset:424
	;; [unrolled: 1-line block ×3, first 2 shown]
	v_add_f32_e32 v7, v7, v172
	v_add_f32_e32 v127, v122, v148
	;; [unrolled: 1-line block ×6, first 2 shown]
	ds_read_b128 v[126:129], v1 offset:800
	v_add_f32_e32 v7, v7, v131
	v_add_f32_e32 v159, v133, v130
	v_add_f32_e32 v7, v7, v134
	v_add_f32_e32 v136, v159, v136
	v_add_f32_e32 v7, v7, v135
	v_add_f32_e32 v6, v136, v6
	v_add_f32_e32 v140, v7, v140
	v_add_f32_e32 v6, v6, v137
	s_waitcnt vmcnt(30)
	v_mul_f32_e32 v148, v124, v153
	v_mul_f32_e32 v122, v125, v153
	s_waitcnt vmcnt(29) lgkmcnt(1)
	v_mul_f32_e32 v132, v3, v171
	v_mul_f32_e32 v152, v2, v171
	v_fmac_f32_e32 v148, v125, v165
	v_fma_f32 v151, v124, v165, -v122
	ds_read_b128 v[122:125], v1 offset:784
	v_fma_f32 v155, v2, v164, -v132
	v_fmac_f32_e32 v152, v3, v164
	v_add_f32_e32 v140, v140, v148
	v_add_f32_e32 v151, v6, v151
	s_waitcnt vmcnt(28)
	v_mul_f32_e32 v154, v5, v173
	v_mul_f32_e32 v153, v4, v173
	v_add_f32_e32 v140, v140, v152
	v_add_f32_e32 v151, v151, v155
	s_waitcnt vmcnt(24)
	v_fma_f32 v154, v4, v169, -v154
	v_fmac_f32_e32 v153, v5, v169
	ds_read_b128 v[2:5], v1 offset:816
	ds_read_b128 v[130:133], v1 offset:832
	ds_read_b128 v[134:137], v1 offset:848
	ds_read_b64 v[6:7], v1 offset:880
	v_add_f32_e32 v151, v151, v154
	v_add_f32_e32 v140, v140, v153
	s_waitcnt vmcnt(23) lgkmcnt(4)
	v_mul_f32_e32 v159, v122, v11
	v_mul_f32_e32 v11, v123, v11
	s_waitcnt vmcnt(22)
	v_mul_f32_e32 v164, v124, v158
	v_mul_f32_e32 v158, v125, v158
	s_waitcnt vmcnt(21)
	v_mul_f32_e32 v155, v127, v161
	v_fmac_f32_e32 v159, v123, v160
	v_fma_f32 v11, v122, v160, -v11
	v_fmac_f32_e32 v164, v125, v10
	v_fma_f32 v10, v124, v10, -v158
	v_mul_f32_e32 v158, v126, v161
	ds_read_b128 v[122:125], v1 offset:864
	v_add_f32_e32 v11, v151, v11
	s_waitcnt vmcnt(20)
	v_mul_f32_e32 v148, v128, v157
	v_mul_f32_e32 v157, v129, v157
	v_fmac_f32_e32 v158, v127, v8
	v_add_f32_e32 v127, v140, v159
	v_fma_f32 v8, v126, v8, -v155
	v_add_f32_e32 v10, v11, v10
	s_waitcnt vmcnt(19) lgkmcnt(4)
	v_mul_f32_e32 v152, v2, v174
	v_mul_f32_e32 v155, v3, v174
	v_add_f32_e32 v127, v127, v164
	s_waitcnt vmcnt(8)
	v_fma_f32 v128, v128, v177, -v157
	v_add_f32_e32 v8, v10, v8
	v_fmac_f32_e32 v148, v129, v177
	v_fmac_f32_e32 v152, v3, v167
	v_add_f32_e32 v10, v127, v158
	v_mul_f32_e32 v127, v5, v175
	v_fma_f32 v2, v2, v167, -v155
	v_add_f32_e32 v3, v8, v128
	v_mul_f32_e32 v154, v4, v175
	v_add_f32_e32 v8, v10, v148
	s_waitcnt lgkmcnt(3)
	v_mul_f32_e32 v10, v131, v176
	v_fma_f32 v4, v4, v143, -v127
	v_add_f32_e32 v2, v3, v2
	v_mul_f32_e32 v160, v130, v176
	v_fmac_f32_e32 v154, v5, v143
	v_add_f32_e32 v3, v8, v152
	v_mul_f32_e32 v5, v133, v138
	v_fma_f32 v8, v130, v142, -v10
	v_add_f32_e32 v2, v2, v4
	v_mul_f32_e32 v153, v132, v138
	v_fmac_f32_e32 v160, v131, v142
	v_add_f32_e32 v3, v3, v154
	s_waitcnt lgkmcnt(2)
	v_mul_f32_e32 v4, v135, v139
	s_waitcnt vmcnt(3)
	v_fma_f32 v5, v132, v146, -v5
	v_add_f32_e32 v2, v2, v8
	v_mul_f32_e32 v151, v134, v139
	v_fmac_f32_e32 v153, v133, v146
	v_add_f32_e32 v3, v3, v160
	v_mul_f32_e32 v8, v137, v156
	v_fma_f32 v4, v134, v145, -v4
	v_add_f32_e32 v2, v2, v5
	v_mul_f32_e32 v126, v136, v156
	v_fmac_f32_e32 v151, v135, v145
	v_add_f32_e32 v3, v3, v153
	s_waitcnt lgkmcnt(0)
	v_mul_f32_e32 v5, v123, v162
	v_fma_f32 v8, v136, v144, -v8
	v_add_f32_e32 v2, v2, v4
	v_mul_f32_e32 v140, v122, v162
	v_fmac_f32_e32 v126, v137, v144
	v_add_f32_e32 v3, v3, v151
	v_mul_f32_e32 v4, v125, v163
	v_fma_f32 v5, v122, v141, -v5
	v_add_f32_e32 v2, v2, v8
	v_mul_f32_e32 v11, v124, v163
	v_fmac_f32_e32 v140, v123, v141
	v_add_f32_e32 v3, v3, v126
	v_mul_f32_e32 v8, v7, v178
	s_waitcnt vmcnt(1)
	v_fma_f32 v4, v124, v149, -v4
	v_add_f32_e32 v2, v2, v5
	v_mul_f32_e32 v159, v6, v178
	v_fmac_f32_e32 v11, v125, v149
	v_add_f32_e32 v3, v3, v140
	v_fma_f32 v5, v6, v147, -v8
	v_add_f32_e32 v2, v2, v4
	v_fmac_f32_e32 v159, v7, v147
	v_add_f32_e32 v3, v3, v11
	v_add_f32_e32 v2, v2, v5
	;; [unrolled: 1-line block ×3, first 2 shown]
	s_waitcnt vmcnt(0)
	v_sub_f32_e32 v2, v150, v2
	v_sub_f32_e32 v3, v170, v3
	buffer_store_dword v2, off, s[0:3], 0 offset:136
	buffer_store_dword v3, off, s[0:3], 0 offset:140
	v_cmpx_lt_u32_e32 16, v0
	s_cbranch_execz .LBB54_311
; %bb.310:
	s_clause 0x1
	buffer_load_dword v2, off, s[0:3], 0 offset:128
	buffer_load_dword v3, off, s[0:3], 0 offset:132
	buffer_store_dword v1, off, s[0:3], 0 offset:128
	buffer_store_dword v1, off, s[0:3], 0 offset:132
	s_waitcnt vmcnt(0)
	ds_write_b64 v9, v[2:3]
.LBB54_311:
	s_or_b32 exec_lo, exec_lo, s4
	s_waitcnt lgkmcnt(0)
	s_waitcnt_vscnt null, 0x0
	s_barrier
	buffer_gl0_inv
	s_clause 0x2b
	buffer_load_dword v6, off, s[0:3], 0 offset:140
	buffer_load_dword v7, off, s[0:3], 0 offset:152
	;; [unrolled: 1-line block ×44, first 2 shown]
	ds_read2_b64 v[2:5], v1 offset0:73 offset1:74
	ds_read2_b64 v[122:125], v1 offset0:75 offset1:76
	ds_read2_b64 v[126:129], v1 offset0:77 offset1:78
	buffer_load_dword v170, off, s[0:3], 0 offset:132
	s_mov_b32 s4, exec_lo
	s_waitcnt vmcnt(44) lgkmcnt(2)
	v_mul_f32_e32 v169, v3, v6
	v_mul_f32_e32 v6, v2, v6
	s_waitcnt vmcnt(41)
	v_fma_f32 v169, v2, v10, -v169
	v_fmac_f32_e32 v6, v3, v10
	s_waitcnt vmcnt(40)
	v_mul_f32_e32 v10, v4, v11
	v_mul_f32_e32 v2, v5, v11
	s_waitcnt vmcnt(39) lgkmcnt(1)
	v_mul_f32_e32 v11, v122, v130
	v_mul_f32_e32 v130, v123, v130
	v_add_f32_e32 v6, 0, v6
	v_fmac_f32_e32 v10, v5, v8
	v_fma_f32 v8, v4, v8, -v2
	ds_read2_b64 v[2:5], v1 offset0:79 offset1:80
	v_fmac_f32_e32 v11, v123, v7
	v_fma_f32 v7, v122, v7, -v130
	s_waitcnt vmcnt(38)
	v_mul_f32_e32 v130, v124, v131
	v_mul_f32_e32 v122, v125, v131
	v_add_f32_e32 v6, v6, v10
	s_waitcnt vmcnt(34)
	v_fmac_f32_e32 v130, v125, v135
	v_fma_f32 v131, v124, v135, -v122
	ds_read2_b64 v[122:125], v1 offset0:81 offset1:82
	s_waitcnt vmcnt(33) lgkmcnt(2)
	v_mul_f32_e32 v135, v126, v136
	v_mul_f32_e32 v136, v127, v136
	v_add_f32_e32 v6, v6, v11
	v_fmac_f32_e32 v135, v127, v134
	v_fma_f32 v134, v126, v134, -v136
	s_waitcnt vmcnt(32)
	v_mul_f32_e32 v136, v128, v137
	v_mul_f32_e32 v126, v129, v137
	s_waitcnt vmcnt(31) lgkmcnt(1)
	v_mul_f32_e32 v137, v2, v138
	v_mul_f32_e32 v138, v3, v138
	v_add_f32_e32 v6, v6, v130
	v_fmac_f32_e32 v136, v129, v133
	v_fma_f32 v133, v128, v133, -v126
	ds_read2_b64 v[126:129], v1 offset0:83 offset1:84
	v_fmac_f32_e32 v137, v3, v132
	v_fma_f32 v132, v2, v132, -v138
	s_waitcnt vmcnt(30)
	v_mul_f32_e32 v138, v4, v139
	v_mul_f32_e32 v2, v5, v139
	v_add_f32_e32 v6, v6, v135
	s_waitcnt vmcnt(26)
	v_fmac_f32_e32 v138, v5, v143
	v_fma_f32 v139, v4, v143, -v2
	s_waitcnt vmcnt(25) lgkmcnt(1)
	v_mul_f32_e32 v143, v122, v144
	v_mul_f32_e32 v2, v123, v144
	s_waitcnt vmcnt(24)
	v_mul_f32_e32 v144, v124, v145
	v_mul_f32_e32 v145, v125, v145
	v_add_f32_e32 v6, v6, v136
	v_fmac_f32_e32 v143, v123, v142
	v_fma_f32 v142, v122, v142, -v2
	ds_read2_b64 v[2:5], v1 offset0:85 offset1:86
	v_fmac_f32_e32 v144, v125, v141
	v_fma_f32 v141, v124, v141, -v145
	ds_read2_b64 v[122:125], v1 offset0:87 offset1:88
	s_waitcnt vmcnt(23) lgkmcnt(2)
	v_mul_f32_e32 v145, v126, v146
	v_mul_f32_e32 v146, v127, v146
	v_fmac_f32_e32 v145, v127, v140
	v_fma_f32 v126, v126, v140, -v146
	s_waitcnt vmcnt(22)
	v_mul_f32_e32 v127, v128, v147
	v_mul_f32_e32 v140, v129, v147
	s_waitcnt vmcnt(18)
	v_fmac_f32_e32 v127, v129, v151
	v_fma_f32 v128, v128, v151, -v140
	s_clause 0x1
	buffer_load_dword v129, off, s[0:3], 0 offset:308
	buffer_load_dword v140, off, s[0:3], 0 offset:316
	s_waitcnt vmcnt(19) lgkmcnt(1)
	v_mul_f32_e32 v146, v2, v152
	v_mul_f32_e32 v147, v3, v152
	s_waitcnt vmcnt(18)
	v_mul_f32_e32 v151, v4, v153
	v_mul_f32_e32 v152, v5, v153
	s_waitcnt vmcnt(17) lgkmcnt(0)
	v_mul_f32_e32 v153, v122, v154
	v_mul_f32_e32 v154, v123, v154
	v_fmac_f32_e32 v146, v3, v150
	v_fma_f32 v147, v2, v150, -v147
	s_waitcnt vmcnt(16)
	v_mul_f32_e32 v150, v124, v155
	v_mul_f32_e32 v155, v125, v155
	v_fmac_f32_e32 v151, v5, v149
	v_fma_f32 v149, v4, v149, -v152
	ds_read2_b64 v[2:5], v1 offset0:89 offset1:90
	v_fmac_f32_e32 v153, v123, v148
	v_fma_f32 v148, v122, v148, -v154
	s_waitcnt vmcnt(12)
	v_fmac_f32_e32 v150, v125, v159
	v_fma_f32 v152, v124, v159, -v155
	v_add_f32_e32 v122, 0, v169
	s_clause 0x4
	buffer_load_dword v154, off, s[0:3], 0 offset:324
	buffer_load_dword v155, off, s[0:3], 0 offset:344
	;; [unrolled: 1-line block ×5, first 2 shown]
	v_add_f32_e32 v8, v122, v8
	v_add_f32_e32 v7, v8, v7
	s_clause 0x2
	buffer_load_dword v8, off, s[0:3], 0 offset:332
	buffer_load_dword v10, off, s[0:3], 0 offset:340
	buffer_load_dword v11, off, s[0:3], 0 offset:348
	ds_read2_b64 v[122:125], v1 offset0:91 offset1:92
	v_add_f32_e32 v7, v7, v131
	s_waitcnt vmcnt(19) lgkmcnt(1)
	v_mul_f32_e32 v130, v2, v160
	v_mul_f32_e32 v131, v3, v160
	s_waitcnt vmcnt(18)
	v_mul_f32_e32 v135, v5, v161
	v_add_f32_e32 v7, v7, v134
	v_mul_f32_e32 v134, v4, v161
	v_fmac_f32_e32 v130, v3, v158
	v_add_f32_e32 v3, v7, v133
	v_fma_f32 v7, v2, v158, -v131
	v_fmac_f32_e32 v134, v5, v157
	v_fma_f32 v131, v4, v157, -v135
	v_add_f32_e32 v2, v3, v132
	v_add_f32_e32 v3, v6, v137
	s_clause 0x7
	buffer_load_dword v6, off, s[0:3], 0 offset:356
	buffer_load_dword v157, off, s[0:3], 0 offset:364
	buffer_load_dword v158, off, s[0:3], 0 offset:372
	buffer_load_dword v160, off, s[0:3], 0 offset:380
	buffer_load_dword v161, off, s[0:3], 0 offset:376
	buffer_load_dword v172, off, s[0:3], 0 offset:368
	buffer_load_dword v173, off, s[0:3], 0 offset:360
	buffer_load_dword v174, off, s[0:3], 0 offset:352
	s_waitcnt vmcnt(25) lgkmcnt(0)
	v_mul_f32_e32 v4, v123, v162
	v_mul_f32_e32 v132, v122, v162
	v_add_f32_e32 v2, v2, v139
	v_add_f32_e32 v3, v3, v138
	s_clause 0x3
	buffer_load_dword v162, off, s[0:3], 0 offset:388
	buffer_load_dword v175, off, s[0:3], 0 offset:396
	;; [unrolled: 1-line block ×4, first 2 shown]
	v_fma_f32 v133, v122, v156, -v4
	v_fmac_f32_e32 v132, v123, v156
	v_add_f32_e32 v2, v2, v142
	v_add_f32_e32 v122, v3, v143
	s_waitcnt vmcnt(28)
	v_mul_f32_e32 v3, v125, v163
	s_clause 0x1
	buffer_load_dword v142, off, s[0:3], 0 offset:420
	buffer_load_dword v156, off, s[0:3], 0 offset:428
	v_mul_f32_e32 v135, v124, v163
	v_add_f32_e32 v123, v2, v141
	v_add_f32_e32 v122, v122, v144
	s_waitcnt vmcnt(26)
	v_fma_f32 v136, v124, v167, -v3
	ds_read2_b64 v[2:5], v1 offset0:93 offset1:94
	buffer_load_dword v143, off, s[0:3], 0 offset:436
	v_fmac_f32_e32 v135, v125, v167
	v_add_f32_e32 v123, v123, v126
	v_add_f32_e32 v122, v122, v145
	s_clause 0x3
	buffer_load_dword v144, off, s[0:3], 0 offset:408
	buffer_load_dword v145, off, s[0:3], 0 offset:400
	;; [unrolled: 1-line block ×4, first 2 shown]
	v_add_f32_e32 v123, v123, v128
	v_add_f32_e32 v122, v122, v127
	;; [unrolled: 1-line block ×4, first 2 shown]
	ds_read2_b64 v[122:125], v1 offset0:95 offset1:96
	v_add_f32_e32 v126, v126, v149
	s_waitcnt vmcnt(30) lgkmcnt(1)
	v_mul_f32_e32 v137, v2, v168
	v_mul_f32_e32 v128, v3, v168
	v_fmac_f32_e32 v137, v3, v166
	v_add_f32_e32 v3, v126, v148
	s_clause 0x3
	buffer_load_dword v146, off, s[0:3], 0 offset:432
	buffer_load_dword v147, off, s[0:3], 0 offset:424
	;; [unrolled: 1-line block ×4, first 2 shown]
	v_fma_f32 v138, v2, v166, -v128
	v_add_f32_e32 v2, v127, v151
	v_add_f32_e32 v3, v3, v152
	;; [unrolled: 1-line block ×11, first 2 shown]
	s_waitcnt vmcnt(32)
	v_mul_f32_e32 v139, v4, v129
	v_mul_f32_e32 v126, v5, v129
	s_waitcnt vmcnt(31) lgkmcnt(0)
	v_mul_f32_e32 v131, v123, v140
	v_mul_f32_e32 v150, v122, v140
	v_fmac_f32_e32 v139, v5, v165
	v_fma_f32 v141, v4, v165, -v126
	ds_read2_b64 v[2:5], v1 offset0:97 offset1:98
	ds_read2_b64 v[126:129], v1 offset0:99 offset1:100
	v_fma_f32 v140, v122, v164, -v131
	v_fmac_f32_e32 v150, v123, v164
	v_add_f32_e32 v7, v7, v141
	v_add_f32_e32 v7, v7, v140
	s_waitcnt vmcnt(30)
	v_mul_f32_e32 v134, v125, v154
	v_mul_f32_e32 v151, v124, v154
	s_waitcnt vmcnt(26)
	v_fma_f32 v152, v124, v171, -v134
	v_add_f32_e32 v134, v130, v132
	v_fmac_f32_e32 v151, v125, v171
	ds_read2_b64 v[122:125], v1 offset0:101 offset1:102
	ds_read2_b64 v[130:133], v1 offset0:103 offset1:104
	v_add_f32_e32 v7, v7, v152
	v_add_f32_e32 v134, v134, v135
	s_waitcnt vmcnt(25) lgkmcnt(3)
	v_mul_f32_e32 v153, v2, v8
	s_waitcnt vmcnt(24)
	v_mul_f32_e32 v154, v4, v10
	v_mul_f32_e32 v10, v5, v10
	;; [unrolled: 1-line block ×3, first 2 shown]
	v_add_f32_e32 v138, v134, v137
	v_fmac_f32_e32 v153, v3, v169
	v_fmac_f32_e32 v154, v5, v159
	v_fma_f32 v10, v4, v159, -v10
	v_fma_f32 v8, v2, v169, -v8
	v_add_f32_e32 v159, v138, v139
	ds_read2_b64 v[2:5], v1 offset0:105 offset1:106
	ds_read2_b64 v[134:137], v1 offset0:107 offset1:108
	;; [unrolled: 1-line block ×3, first 2 shown]
	s_waitcnt vmcnt(23) lgkmcnt(5)
	v_mul_f32_e32 v164, v126, v11
	v_mul_f32_e32 v11, v127, v11
	v_add_f32_e32 v1, v159, v150
	v_add_f32_e32 v7, v7, v8
	v_fmac_f32_e32 v164, v127, v155
	v_fma_f32 v11, v126, v155, -v11
	v_add_f32_e32 v1, v1, v151
	s_waitcnt vmcnt(22)
	v_mul_f32_e32 v126, v128, v6
	v_mul_f32_e32 v6, v129, v6
	v_add_f32_e32 v7, v7, v10
	s_waitcnt vmcnt(21) lgkmcnt(4)
	v_mul_f32_e32 v151, v123, v157
	v_add_f32_e32 v1, v1, v153
	v_mul_f32_e32 v127, v122, v157
	s_waitcnt vmcnt(15)
	v_fma_f32 v6, v128, v174, -v6
	v_add_f32_e32 v7, v7, v11
	v_fmac_f32_e32 v126, v129, v174
	v_add_f32_e32 v1, v1, v154
	v_mul_f32_e32 v10, v125, v158
	v_fma_f32 v122, v122, v173, -v151
	v_add_f32_e32 v6, v7, v6
	v_mul_f32_e32 v150, v124, v158
	v_add_f32_e32 v1, v1, v164
	v_fmac_f32_e32 v127, v123, v173
	s_waitcnt lgkmcnt(3)
	v_mul_f32_e32 v7, v131, v160
	v_fma_f32 v10, v124, v172, -v10
	v_add_f32_e32 v6, v6, v122
	v_add_f32_e32 v1, v1, v126
	v_mul_f32_e32 v128, v130, v160
	v_fmac_f32_e32 v150, v125, v172
	s_waitcnt vmcnt(14)
	v_mul_f32_e32 v122, v133, v162
	v_fma_f32 v7, v130, v161, -v7
	v_add_f32_e32 v1, v1, v127
	v_add_f32_e32 v6, v6, v10
	v_mul_f32_e32 v129, v132, v162
	v_fmac_f32_e32 v128, v131, v161
	s_waitcnt vmcnt(13) lgkmcnt(2)
	v_mul_f32_e32 v8, v2, v175
	v_add_f32_e32 v1, v1, v150
	v_mul_f32_e32 v10, v3, v175
	s_waitcnt vmcnt(4)
	v_fma_f32 v122, v132, v167, -v122
	v_add_f32_e32 v6, v6, v7
	v_fmac_f32_e32 v129, v133, v167
	v_add_f32_e32 v1, v1, v128
	v_mul_f32_e32 v7, v5, v176
	v_fmac_f32_e32 v8, v3, v163
	v_fma_f32 v2, v2, v163, -v10
	v_add_f32_e32 v3, v6, v122
	v_mul_f32_e32 v152, v4, v176
	v_add_f32_e32 v1, v1, v129
	s_waitcnt lgkmcnt(1)
	v_mul_f32_e32 v6, v135, v177
	v_fma_f32 v4, v4, v145, -v7
	v_add_f32_e32 v2, v3, v2
	v_mul_f32_e32 v153, v134, v177
	v_fmac_f32_e32 v152, v5, v145
	v_add_f32_e32 v1, v1, v8
	v_mul_f32_e32 v3, v137, v142
	v_fma_f32 v5, v134, v144, -v6
	v_add_f32_e32 v2, v2, v4
	v_mul_f32_e32 v154, v136, v142
	v_fmac_f32_e32 v153, v135, v144
	v_add_f32_e32 v1, v1, v152
	s_waitcnt lgkmcnt(0)
	v_mul_f32_e32 v4, v139, v156
	s_waitcnt vmcnt(1)
	v_fma_f32 v3, v136, v148, -v3
	v_add_f32_e32 v2, v2, v5
	v_mul_f32_e32 v155, v138, v156
	v_fmac_f32_e32 v154, v137, v148
	v_add_f32_e32 v1, v1, v153
	v_mul_f32_e32 v5, v141, v143
	v_fma_f32 v4, v138, v147, -v4
	v_add_f32_e32 v2, v2, v3
	v_mul_f32_e32 v11, v140, v143
	v_fmac_f32_e32 v155, v139, v147
	v_add_f32_e32 v1, v1, v154
	v_fma_f32 v3, v140, v146, -v5
	v_add_f32_e32 v2, v2, v4
	v_fmac_f32_e32 v11, v141, v146
	v_add_f32_e32 v1, v1, v155
	v_add_f32_e32 v2, v2, v3
	;; [unrolled: 1-line block ×3, first 2 shown]
	s_waitcnt vmcnt(0)
	v_sub_f32_e32 v2, v149, v2
	v_sub_f32_e32 v1, v170, v1
	buffer_store_dword v2, off, s[0:3], 0 offset:128
	buffer_store_dword v1, off, s[0:3], 0 offset:132
	v_cmpx_lt_u32_e32 15, v0
	s_cbranch_execz .LBB54_313
; %bb.312:
	s_clause 0x1
	buffer_load_dword v1, off, s[0:3], 0 offset:120
	buffer_load_dword v2, off, s[0:3], 0 offset:124
	v_mov_b32_e32 v3, 0
	buffer_store_dword v3, off, s[0:3], 0 offset:120
	buffer_store_dword v3, off, s[0:3], 0 offset:124
	s_waitcnt vmcnt(0)
	ds_write_b64 v9, v[1:2]
.LBB54_313:
	s_or_b32 exec_lo, exec_lo, s4
	s_waitcnt lgkmcnt(0)
	s_waitcnt_vscnt null, 0x0
	s_barrier
	buffer_gl0_inv
	s_clause 0x2c
	buffer_load_dword v6, off, s[0:3], 0 offset:132
	buffer_load_dword v7, off, s[0:3], 0 offset:140
	;; [unrolled: 1-line block ×45, first 2 shown]
	v_mov_b32_e32 v1, 0
	ds_read_b128 v[2:5], v1 offset:576
	ds_read_b128 v[122:125], v1 offset:592
	s_clause 0x2
	buffer_load_dword v168, off, s[0:3], 0 offset:124
	buffer_load_dword v169, off, s[0:3], 0 offset:308
	;; [unrolled: 1-line block ×3, first 2 shown]
	s_mov_b32 s4, exec_lo
	s_waitcnt vmcnt(47) lgkmcnt(1)
	v_mul_f32_e32 v166, v3, v6
	v_mul_f32_e32 v6, v2, v6
	s_waitcnt vmcnt(46)
	v_mul_f32_e32 v167, v4, v7
	v_mul_f32_e32 v7, v5, v7
	s_waitcnt vmcnt(43)
	v_fma_f32 v166, v2, v11, -v166
	v_fmac_f32_e32 v6, v3, v11
	v_fmac_f32_e32 v167, v5, v10
	v_fma_f32 v7, v4, v10, -v7
	ds_read_b128 v[2:5], v1 offset:608
	s_waitcnt vmcnt(42) lgkmcnt(1)
	v_mul_f32_e32 v10, v122, v126
	v_mul_f32_e32 v11, v123, v126
	s_waitcnt vmcnt(41)
	v_mul_f32_e32 v126, v124, v127
	v_mul_f32_e32 v127, v125, v127
	v_fmac_f32_e32 v10, v123, v8
	v_fma_f32 v8, v122, v8, -v11
	s_waitcnt vmcnt(37)
	v_fmac_f32_e32 v126, v125, v131
	v_fma_f32 v11, v124, v131, -v127
	ds_read_b128 v[122:125], v1 offset:624
	s_waitcnt vmcnt(36) lgkmcnt(1)
	v_mul_f32_e32 v127, v2, v132
	v_mul_f32_e32 v131, v3, v132
	s_waitcnt vmcnt(35)
	v_mul_f32_e32 v132, v4, v133
	v_mul_f32_e32 v133, v5, v133
	v_fmac_f32_e32 v127, v3, v130
	v_fma_f32 v130, v2, v130, -v131
	v_fmac_f32_e32 v132, v5, v129
	v_fma_f32 v129, v4, v129, -v133
	ds_read_b128 v[2:5], v1 offset:640
	s_waitcnt vmcnt(34) lgkmcnt(1)
	v_mul_f32_e32 v131, v122, v134
	v_mul_f32_e32 v133, v123, v134
	s_waitcnt vmcnt(33)
	v_mul_f32_e32 v134, v124, v135
	v_mul_f32_e32 v135, v125, v135
	v_fmac_f32_e32 v131, v123, v128
	v_fma_f32 v128, v122, v128, -v133
	s_waitcnt vmcnt(29)
	v_fmac_f32_e32 v134, v125, v139
	v_fma_f32 v133, v124, v139, -v135
	ds_read_b128 v[122:125], v1 offset:656
	s_waitcnt vmcnt(28) lgkmcnt(1)
	v_mul_f32_e32 v135, v2, v140
	v_mul_f32_e32 v139, v3, v140
	s_waitcnt vmcnt(27)
	v_mul_f32_e32 v140, v4, v141
	v_mul_f32_e32 v141, v5, v141
	v_fmac_f32_e32 v135, v3, v138
	v_fma_f32 v138, v2, v138, -v139
	v_fmac_f32_e32 v140, v5, v137
	v_fma_f32 v137, v4, v137, -v141
	ds_read_b128 v[2:5], v1 offset:672
	s_waitcnt vmcnt(26) lgkmcnt(1)
	v_mul_f32_e32 v139, v122, v142
	v_mul_f32_e32 v141, v123, v142
	s_waitcnt vmcnt(25)
	v_mul_f32_e32 v142, v124, v143
	v_mul_f32_e32 v143, v125, v143
	v_fmac_f32_e32 v139, v123, v136
	v_fma_f32 v136, v122, v136, -v141
	s_waitcnt vmcnt(21)
	v_fmac_f32_e32 v142, v125, v147
	v_fma_f32 v141, v124, v147, -v143
	ds_read_b128 v[122:125], v1 offset:688
	s_waitcnt vmcnt(20) lgkmcnt(1)
	v_mul_f32_e32 v143, v2, v148
	v_mul_f32_e32 v147, v3, v148
	s_waitcnt vmcnt(19)
	v_mul_f32_e32 v148, v4, v149
	v_mul_f32_e32 v149, v5, v149
	v_fmac_f32_e32 v143, v3, v146
	v_fma_f32 v146, v2, v146, -v147
	v_fmac_f32_e32 v148, v5, v145
	v_fma_f32 v145, v4, v145, -v149
	ds_read_b128 v[2:5], v1 offset:704
	s_waitcnt vmcnt(18) lgkmcnt(1)
	v_mul_f32_e32 v147, v122, v150
	v_mul_f32_e32 v149, v123, v150
	s_waitcnt vmcnt(17)
	v_mul_f32_e32 v150, v124, v151
	v_mul_f32_e32 v151, v125, v151
	v_fmac_f32_e32 v147, v123, v144
	v_fma_f32 v144, v122, v144, -v149
	s_waitcnt vmcnt(13)
	v_fmac_f32_e32 v150, v125, v155
	v_fma_f32 v149, v124, v155, -v151
	ds_read_b128 v[122:125], v1 offset:720
	s_waitcnt vmcnt(12) lgkmcnt(1)
	v_mul_f32_e32 v151, v2, v156
	v_mul_f32_e32 v155, v3, v156
	s_waitcnt vmcnt(11)
	v_mul_f32_e32 v156, v4, v157
	v_mul_f32_e32 v157, v5, v157
	v_fmac_f32_e32 v151, v3, v154
	v_fma_f32 v154, v2, v154, -v155
	v_fmac_f32_e32 v156, v5, v153
	v_fma_f32 v153, v4, v153, -v157
	ds_read_b128 v[2:5], v1 offset:736
	s_waitcnt vmcnt(10) lgkmcnt(1)
	v_mul_f32_e32 v155, v122, v158
	v_mul_f32_e32 v157, v123, v158
	s_waitcnt vmcnt(9)
	v_mul_f32_e32 v158, v124, v159
	v_mul_f32_e32 v159, v125, v159
	v_fmac_f32_e32 v155, v123, v152
	v_fma_f32 v152, v122, v152, -v157
	s_waitcnt vmcnt(5)
	v_fmac_f32_e32 v158, v125, v163
	v_fma_f32 v157, v124, v163, -v159
	ds_read_b128 v[122:125], v1 offset:752
	s_waitcnt vmcnt(4) lgkmcnt(1)
	v_mul_f32_e32 v159, v2, v164
	v_mul_f32_e32 v163, v3, v164
	s_waitcnt vmcnt(3)
	v_mul_f32_e32 v164, v4, v165
	v_mul_f32_e32 v165, v5, v165
	v_fmac_f32_e32 v159, v3, v162
	v_fma_f32 v162, v2, v162, -v163
	v_fmac_f32_e32 v164, v5, v161
	v_fma_f32 v161, v4, v161, -v165
	s_clause 0x3
	buffer_load_dword v163, off, s[0:3], 0 offset:336
	buffer_load_dword v165, off, s[0:3], 0 offset:328
	;; [unrolled: 1-line block ×4, first 2 shown]
	s_waitcnt vmcnt(5) lgkmcnt(0)
	v_mul_f32_e32 v172, v122, v169
	v_mul_f32_e32 v3, v123, v169
	s_waitcnt vmcnt(4)
	v_mul_f32_e32 v169, v124, v170
	v_mul_f32_e32 v4, v125, v170
	s_clause 0x1
	buffer_load_dword v170, off, s[0:3], 0 offset:324
	buffer_load_dword v174, off, s[0:3], 0 offset:332
	v_fmac_f32_e32 v172, v123, v160
	v_fma_f32 v160, v122, v160, -v3
	v_add_f32_e32 v3, 0, v6
	buffer_load_dword v6, off, s[0:3], 0 offset:348
	v_add_f32_e32 v3, v3, v167
	v_add_f32_e32 v3, v3, v10
	;; [unrolled: 1-line block ×17, first 2 shown]
	s_waitcnt vmcnt(3)
	v_fmac_f32_e32 v169, v125, v2
	v_fma_f32 v173, v124, v2, -v4
	v_add_f32_e32 v2, 0, v166
	buffer_load_dword v166, off, s[0:3], 0 offset:340
	v_add_f32_e32 v2, v2, v7
	v_add_f32_e32 v2, v2, v8
	s_clause 0x3
	buffer_load_dword v8, off, s[0:3], 0 offset:368
	buffer_load_dword v167, off, s[0:3], 0 offset:360
	;; [unrolled: 1-line block ×4, first 2 shown]
	v_add_f32_e32 v2, v2, v11
	s_clause 0x8
	buffer_load_dword v10, off, s[0:3], 0 offset:356
	buffer_load_dword v11, off, s[0:3], 0 offset:364
	;; [unrolled: 1-line block ×9, first 2 shown]
	v_add_f32_e32 v2, v2, v130
	s_clause 0x1
	buffer_load_dword v183, off, s[0:3], 0 offset:428
	buffer_load_dword v184, off, s[0:3], 0 offset:436
	v_add_f32_e32 v130, v126, v155
	v_add_f32_e32 v2, v2, v129
	;; [unrolled: 1-line block ×7, first 2 shown]
	s_clause 0x3
	buffer_load_dword v138, off, s[0:3], 0 offset:400
	buffer_load_dword v185, off, s[0:3], 0 offset:392
	;; [unrolled: 1-line block ×4, first 2 shown]
	v_add_f32_e32 v2, v2, v137
	v_add_f32_e32 v2, v2, v136
	;; [unrolled: 1-line block ×3, first 2 shown]
	s_clause 0x4
	buffer_load_dword v139, off, s[0:3], 0 offset:432
	buffer_load_dword v140, off, s[0:3], 0 offset:424
	;; [unrolled: 1-line block ×5, first 2 shown]
	v_add_f32_e32 v2, v2, v146
	v_add_f32_e32 v122, v2, v145
	ds_read_b128 v[2:5], v1 offset:768
	v_add_f32_e32 v122, v122, v144
	v_add_f32_e32 v122, v122, v149
	;; [unrolled: 1-line block ×3, first 2 shown]
	ds_read_b128 v[122:125], v1 offset:784
	v_add_f32_e32 v127, v127, v153
	s_waitcnt vmcnt(27) lgkmcnt(1)
	v_mul_f32_e32 v143, v2, v170
	v_mul_f32_e32 v128, v3, v170
	s_waitcnt vmcnt(26)
	v_mul_f32_e32 v144, v4, v174
	v_mul_f32_e32 v129, v5, v174
	v_fmac_f32_e32 v143, v3, v171
	v_add_f32_e32 v3, v127, v152
	v_fma_f32 v145, v2, v171, -v128
	v_fmac_f32_e32 v144, v5, v165
	v_fma_f32 v146, v4, v165, -v129
	v_add_f32_e32 v134, v3, v157
	ds_read_b128 v[2:5], v1 offset:800
	ds_read_b128 v[126:129], v1 offset:816
	;; [unrolled: 1-line block ×3, first 2 shown]
	s_waitcnt vmcnt(25) lgkmcnt(3)
	v_mul_f32_e32 v148, v124, v6
	v_add_f32_e32 v134, v134, v162
	v_mul_f32_e32 v6, v125, v6
	v_add_f32_e32 v134, v134, v161
	s_waitcnt vmcnt(24)
	v_mul_f32_e32 v136, v123, v166
	v_mul_f32_e32 v147, v122, v166
	v_fma_f32 v149, v122, v163, -v136
	v_add_f32_e32 v122, v135, v164
	v_fmac_f32_e32 v147, v123, v163
	v_add_f32_e32 v123, v134, v160
	ds_read_b128 v[134:137], v1 offset:848
	s_waitcnt vmcnt(20)
	v_fma_f32 v150, v124, v7, -v6
	v_add_f32_e32 v151, v122, v172
	v_fmac_f32_e32 v148, v125, v7
	v_add_f32_e32 v152, v123, v173
	s_waitcnt vmcnt(19) lgkmcnt(3)
	v_mul_f32_e32 v153, v2, v10
	v_mul_f32_e32 v10, v3, v10
	v_add_f32_e32 v151, v151, v169
	s_waitcnt vmcnt(18)
	v_mul_f32_e32 v154, v4, v11
	v_add_f32_e32 v145, v152, v145
	v_mul_f32_e32 v11, v5, v11
	v_fma_f32 v2, v2, v175, -v10
	v_add_f32_e32 v143, v151, v143
	v_fmac_f32_e32 v153, v3, v175
	v_add_f32_e32 v145, v145, v146
	s_waitcnt vmcnt(17) lgkmcnt(2)
	v_mul_f32_e32 v151, v126, v176
	v_fma_f32 v4, v4, v167, -v11
	v_add_f32_e32 v143, v143, v144
	v_fmac_f32_e32 v154, v5, v167
	v_add_f32_e32 v145, v145, v149
	v_fmac_f32_e32 v151, v127, v8
	s_waitcnt vmcnt(16)
	v_mul_f32_e32 v146, v128, v177
	v_add_f32_e32 v10, v143, v147
	ds_read_b128 v[122:125], v1 offset:864
	ds_read_b64 v[6:7], v1 offset:880
	v_add_f32_e32 v145, v145, v150
	v_mul_f32_e32 v150, v127, v176
	s_waitcnt vmcnt(15) lgkmcnt(3)
	v_mul_f32_e32 v152, v130, v178
	v_add_f32_e32 v10, v10, v148
	s_waitcnt vmcnt(14)
	v_mul_f32_e32 v144, v132, v179
	v_add_f32_e32 v2, v145, v2
	v_fma_f32 v8, v126, v8, -v150
	s_waitcnt vmcnt(5)
	v_fmac_f32_e32 v146, v129, v187
	v_add_f32_e32 v5, v10, v153
	v_mul_f32_e32 v10, v129, v177
	v_add_f32_e32 v2, v2, v4
	v_fmac_f32_e32 v152, v131, v186
	s_waitcnt lgkmcnt(2)
	v_mul_f32_e32 v149, v134, v180
	v_add_f32_e32 v4, v5, v154
	v_mul_f32_e32 v5, v131, v178
	v_fma_f32 v10, v128, v187, -v10
	v_add_f32_e32 v2, v2, v8
	v_mul_f32_e32 v8, v133, v179
	v_add_f32_e32 v4, v4, v151
	v_fma_f32 v5, v130, v186, -v5
	v_fmac_f32_e32 v144, v133, v185
	v_add_f32_e32 v2, v2, v10
	v_mul_f32_e32 v10, v135, v180
	v_add_f32_e32 v4, v4, v146
	v_fma_f32 v8, v132, v185, -v8
	v_mul_f32_e32 v3, v136, v181
	v_add_f32_e32 v2, v2, v5
	v_mul_f32_e32 v5, v137, v181
	v_add_f32_e32 v4, v4, v152
	v_fma_f32 v10, v134, v138, -v10
	v_fmac_f32_e32 v149, v135, v138
	v_add_f32_e32 v2, v2, v8
	s_waitcnt lgkmcnt(1)
	v_mul_f32_e32 v8, v123, v182
	v_add_f32_e32 v4, v4, v144
	s_waitcnt vmcnt(1)
	v_fma_f32 v5, v136, v188, -v5
	v_mul_f32_e32 v143, v122, v182
	v_add_f32_e32 v2, v2, v10
	v_fmac_f32_e32 v3, v137, v188
	v_add_f32_e32 v4, v4, v149
	v_mul_f32_e32 v10, v125, v183
	v_fma_f32 v8, v122, v141, -v8
	v_add_f32_e32 v2, v2, v5
	v_mul_f32_e32 v147, v124, v183
	v_fmac_f32_e32 v143, v123, v141
	v_add_f32_e32 v3, v4, v3
	s_waitcnt lgkmcnt(0)
	v_mul_f32_e32 v4, v7, v184
	v_fma_f32 v5, v124, v140, -v10
	v_add_f32_e32 v2, v2, v8
	v_mul_f32_e32 v148, v6, v184
	v_fmac_f32_e32 v147, v125, v140
	v_add_f32_e32 v3, v3, v143
	v_fma_f32 v4, v6, v139, -v4
	v_add_f32_e32 v2, v2, v5
	v_fmac_f32_e32 v148, v7, v139
	v_add_f32_e32 v3, v3, v147
	v_add_f32_e32 v2, v2, v4
	;; [unrolled: 1-line block ×3, first 2 shown]
	s_waitcnt vmcnt(0)
	v_sub_f32_e32 v2, v142, v2
	v_sub_f32_e32 v3, v168, v3
	buffer_store_dword v2, off, s[0:3], 0 offset:120
	buffer_store_dword v3, off, s[0:3], 0 offset:124
	v_cmpx_lt_u32_e32 14, v0
	s_cbranch_execz .LBB54_315
; %bb.314:
	s_clause 0x1
	buffer_load_dword v2, off, s[0:3], 0 offset:112
	buffer_load_dword v3, off, s[0:3], 0 offset:116
	buffer_store_dword v1, off, s[0:3], 0 offset:112
	buffer_store_dword v1, off, s[0:3], 0 offset:116
	s_waitcnt vmcnt(0)
	ds_write_b64 v9, v[2:3]
.LBB54_315:
	s_or_b32 exec_lo, exec_lo, s4
	s_waitcnt lgkmcnt(0)
	s_waitcnt_vscnt null, 0x0
	s_barrier
	buffer_gl0_inv
	s_clause 0x2c
	buffer_load_dword v6, off, s[0:3], 0 offset:124
	buffer_load_dword v7, off, s[0:3], 0 offset:132
	;; [unrolled: 1-line block ×45, first 2 shown]
	ds_read2_b64 v[2:5], v1 offset0:71 offset1:72
	ds_read2_b64 v[122:125], v1 offset0:73 offset1:74
	s_clause 0x2
	buffer_load_dword v168, off, s[0:3], 0 offset:116
	buffer_load_dword v169, off, s[0:3], 0 offset:300
	;; [unrolled: 1-line block ×3, first 2 shown]
	s_mov_b32 s4, exec_lo
	s_waitcnt vmcnt(47) lgkmcnt(1)
	v_mul_f32_e32 v166, v3, v6
	v_mul_f32_e32 v6, v2, v6
	s_waitcnt vmcnt(46)
	v_mul_f32_e32 v167, v4, v7
	v_mul_f32_e32 v7, v5, v7
	s_waitcnt vmcnt(43)
	v_fma_f32 v166, v2, v11, -v166
	v_fmac_f32_e32 v6, v3, v11
	v_fmac_f32_e32 v167, v5, v10
	v_fma_f32 v7, v4, v10, -v7
	ds_read2_b64 v[2:5], v1 offset0:75 offset1:76
	s_waitcnt vmcnt(42) lgkmcnt(1)
	v_mul_f32_e32 v10, v122, v126
	v_mul_f32_e32 v11, v123, v126
	s_waitcnt vmcnt(41)
	v_mul_f32_e32 v126, v124, v127
	v_mul_f32_e32 v127, v125, v127
	v_fmac_f32_e32 v10, v123, v8
	v_fma_f32 v8, v122, v8, -v11
	s_waitcnt vmcnt(37)
	v_fmac_f32_e32 v126, v125, v131
	v_fma_f32 v11, v124, v131, -v127
	ds_read2_b64 v[122:125], v1 offset0:77 offset1:78
	s_waitcnt vmcnt(36) lgkmcnt(1)
	v_mul_f32_e32 v127, v2, v132
	v_mul_f32_e32 v131, v3, v132
	s_waitcnt vmcnt(35)
	v_mul_f32_e32 v132, v4, v133
	v_mul_f32_e32 v133, v5, v133
	v_fmac_f32_e32 v127, v3, v130
	v_fma_f32 v130, v2, v130, -v131
	v_fmac_f32_e32 v132, v5, v129
	v_fma_f32 v129, v4, v129, -v133
	ds_read2_b64 v[2:5], v1 offset0:79 offset1:80
	s_waitcnt vmcnt(34) lgkmcnt(1)
	v_mul_f32_e32 v131, v122, v134
	v_mul_f32_e32 v133, v123, v134
	s_waitcnt vmcnt(33)
	v_mul_f32_e32 v134, v124, v135
	v_mul_f32_e32 v135, v125, v135
	v_fmac_f32_e32 v131, v123, v128
	v_fma_f32 v128, v122, v128, -v133
	s_waitcnt vmcnt(29)
	v_fmac_f32_e32 v134, v125, v139
	v_fma_f32 v133, v124, v139, -v135
	ds_read2_b64 v[122:125], v1 offset0:81 offset1:82
	s_waitcnt vmcnt(28) lgkmcnt(1)
	v_mul_f32_e32 v135, v2, v140
	v_mul_f32_e32 v139, v3, v140
	s_waitcnt vmcnt(27)
	v_mul_f32_e32 v140, v4, v141
	v_mul_f32_e32 v141, v5, v141
	v_fmac_f32_e32 v135, v3, v138
	v_fma_f32 v138, v2, v138, -v139
	;; [unrolled: 23-line block ×5, first 2 shown]
	v_fmac_f32_e32 v164, v5, v161
	v_fma_f32 v161, v4, v161, -v165
	s_clause 0x5
	buffer_load_dword v163, off, s[0:3], 0 offset:328
	buffer_load_dword v165, off, s[0:3], 0 offset:320
	;; [unrolled: 1-line block ×6, first 2 shown]
	v_add_f32_e32 v3, 0, v166
	v_add_f32_e32 v4, 0, v6
	buffer_load_dword v6, off, s[0:3], 0 offset:332
	s_waitcnt vmcnt(8) lgkmcnt(0)
	v_mul_f32_e32 v5, v123, v169
	s_waitcnt vmcnt(7)
	v_mul_f32_e32 v174, v124, v170
	v_add_f32_e32 v3, v3, v7
	v_add_f32_e32 v4, v4, v167
	v_mul_f32_e32 v7, v122, v169
	v_add_f32_e32 v3, v3, v8
	v_add_f32_e32 v4, v4, v10
	buffer_load_dword v8, off, s[0:3], 0 offset:340
	v_fmac_f32_e32 v7, v123, v160
	v_fma_f32 v10, v122, v160, -v5
	v_add_f32_e32 v3, v3, v11
	s_clause 0x6
	buffer_load_dword v11, off, s[0:3], 0 offset:360
	buffer_load_dword v160, off, s[0:3], 0 offset:352
	;; [unrolled: 1-line block ×7, first 2 shown]
	v_add_f32_e32 v4, v4, v126
	v_add_f32_e32 v3, v3, v130
	v_mul_f32_e32 v5, v125, v170
	s_clause 0x3
	buffer_load_dword v170, off, s[0:3], 0 offset:356
	buffer_load_dword v178, off, s[0:3], 0 offset:380
	;; [unrolled: 1-line block ×4, first 2 shown]
	v_add_f32_e32 v4, v4, v127
	v_add_f32_e32 v3, v3, v129
	s_clause 0x8
	buffer_load_dword v181, off, s[0:3], 0 offset:404
	buffer_load_dword v182, off, s[0:3], 0 offset:412
	;; [unrolled: 1-line block ×9, first 2 shown]
	v_add_f32_e32 v4, v4, v132
	s_waitcnt vmcnt(24)
	v_fmac_f32_e32 v174, v125, v2
	v_fma_f32 v176, v124, v2, -v5
	v_add_f32_e32 v2, v3, v128
	v_add_f32_e32 v3, v4, v131
	;; [unrolled: 1-line block ×12, first 2 shown]
	s_clause 0x3
	buffer_load_dword v142, off, s[0:3], 0 offset:424
	buffer_load_dword v190, off, s[0:3], 0 offset:416
	buffer_load_dword v191, off, s[0:3], 0 offset:408
	buffer_load_dword v192, off, s[0:3], 0 offset:400
	v_add_f32_e32 v2, v2, v146
	buffer_load_dword v146, off, s[0:3], 0 offset:432
	v_add_f32_e32 v3, v3, v143
	buffer_load_dword v143, off, s[0:3], 0 offset:112
	v_add_f32_e32 v2, v2, v145
	v_add_f32_e32 v3, v3, v148
	;; [unrolled: 1-line block ×4, first 2 shown]
	ds_read2_b64 v[2:5], v1 offset0:95 offset1:96
	v_add_f32_e32 v122, v122, v149
	v_add_f32_e32 v123, v123, v150
	;; [unrolled: 1-line block ×4, first 2 shown]
	ds_read2_b64 v[122:125], v1 offset0:97 offset1:98
	v_add_f32_e32 v126, v126, v153
	v_add_f32_e32 v127, v127, v156
	;; [unrolled: 1-line block ×4, first 2 shown]
	s_waitcnt vmcnt(29) lgkmcnt(1)
	v_mul_f32_e32 v144, v2, v172
	v_mul_f32_e32 v128, v3, v172
	s_waitcnt vmcnt(28)
	v_mul_f32_e32 v145, v4, v173
	v_mul_f32_e32 v129, v5, v173
	v_add_f32_e32 v131, v126, v157
	v_fmac_f32_e32 v144, v3, v171
	v_fma_f32 v138, v2, v171, -v128
	v_fmac_f32_e32 v145, v5, v165
	v_fma_f32 v147, v4, v165, -v129
	ds_read2_b64 v[2:5], v1 offset0:99 offset1:100
	ds_read2_b64 v[126:129], v1 offset0:101 offset1:102
	v_add_f32_e32 v130, v130, v158
	s_waitcnt vmcnt(27) lgkmcnt(2)
	v_mul_f32_e32 v148, v122, v6
	v_add_f32_e32 v131, v131, v162
	v_mul_f32_e32 v6, v123, v6
	s_waitcnt vmcnt(26)
	v_mul_f32_e32 v149, v124, v8
	v_add_f32_e32 v130, v130, v159
	v_fmac_f32_e32 v148, v123, v163
	v_add_f32_e32 v123, v131, v161
	v_mul_f32_e32 v8, v125, v8
	v_fma_f32 v6, v122, v163, -v6
	v_add_f32_e32 v134, v130, v164
	s_waitcnt vmcnt(22)
	v_fmac_f32_e32 v149, v125, v167
	v_add_f32_e32 v10, v123, v10
	v_fma_f32 v8, v124, v167, -v8
	ds_read2_b64 v[122:125], v1 offset0:103 offset1:104
	ds_read2_b64 v[130:133], v1 offset0:105 offset1:106
	v_add_f32_e32 v7, v134, v7
	ds_read2_b64 v[134:137], v1 offset0:107 offset1:108
	v_add_f32_e32 v10, v10, v176
	s_waitcnt vmcnt(21) lgkmcnt(4)
	v_mul_f32_e32 v150, v2, v169
	v_mul_f32_e32 v139, v3, v169
	v_add_f32_e32 v7, v7, v174
	v_fmac_f32_e32 v150, v3, v166
	v_add_f32_e32 v3, v10, v138
	v_fma_f32 v2, v2, v166, -v139
	ds_read2_b64 v[138:141], v1 offset0:109 offset1:110
	v_add_f32_e32 v1, v7, v144
	s_waitcnt vmcnt(18)
	v_mul_f32_e32 v10, v5, v170
	v_add_f32_e32 v3, v3, v147
	v_mul_f32_e32 v7, v4, v170
	s_waitcnt lgkmcnt(4)
	v_mul_f32_e32 v144, v126, v175
	v_add_f32_e32 v1, v1, v145
	v_mul_f32_e32 v147, v127, v175
	v_add_f32_e32 v3, v3, v6
	v_fma_f32 v4, v4, v160, -v10
	v_fmac_f32_e32 v7, v5, v160
	v_add_f32_e32 v1, v1, v148
	v_fmac_f32_e32 v144, v127, v11
	v_add_f32_e32 v3, v3, v8
	v_mul_f32_e32 v8, v129, v177
	v_fma_f32 v11, v126, v11, -v147
	v_add_f32_e32 v1, v1, v149
	v_mul_f32_e32 v145, v128, v177
	v_add_f32_e32 v2, v3, v2
	s_waitcnt vmcnt(17) lgkmcnt(3)
	v_mul_f32_e32 v5, v122, v178
	s_waitcnt vmcnt(16)
	v_mul_f32_e32 v10, v124, v179
	v_add_f32_e32 v1, v1, v150
	s_waitcnt vmcnt(6)
	v_fmac_f32_e32 v145, v129, v189
	v_add_f32_e32 v2, v2, v4
	v_mul_f32_e32 v4, v123, v178
	v_fmac_f32_e32 v5, v123, v188
	v_add_f32_e32 v1, v1, v7
	v_fma_f32 v7, v128, v189, -v8
	v_add_f32_e32 v2, v2, v11
	v_mul_f32_e32 v8, v125, v179
	v_fma_f32 v4, v122, v188, -v4
	v_add_f32_e32 v1, v1, v144
	s_waitcnt lgkmcnt(2)
	v_mul_f32_e32 v6, v130, v180
	v_add_f32_e32 v2, v2, v7
	v_mul_f32_e32 v7, v131, v180
	v_fma_f32 v8, v124, v187, -v8
	v_add_f32_e32 v1, v1, v145
	v_fmac_f32_e32 v10, v125, v187
	v_add_f32_e32 v2, v2, v4
	v_mul_f32_e32 v4, v133, v181
	v_mul_f32_e32 v148, v132, v181
	v_add_f32_e32 v1, v1, v5
	v_fma_f32 v5, v130, v186, -v7
	v_add_f32_e32 v2, v2, v8
	v_fmac_f32_e32 v6, v131, v186
	s_waitcnt lgkmcnt(1)
	v_mul_f32_e32 v7, v135, v182
	v_add_f32_e32 v1, v1, v10
	v_mul_f32_e32 v151, v134, v182
	v_add_f32_e32 v2, v2, v5
	v_mul_f32_e32 v5, v137, v183
	v_mul_f32_e32 v149, v136, v183
	v_add_f32_e32 v1, v1, v6
	s_waitcnt lgkmcnt(0)
	v_mul_f32_e32 v152, v138, v184
	v_mul_f32_e32 v3, v140, v185
	s_waitcnt vmcnt(5)
	v_fmac_f32_e32 v152, v139, v142
	s_waitcnt vmcnt(4)
	v_fma_f32 v5, v136, v190, -v5
	s_waitcnt vmcnt(3)
	v_fma_f32 v6, v134, v191, -v7
	;; [unrolled: 2-line block ×3, first 2 shown]
	v_fmac_f32_e32 v148, v133, v192
	v_fmac_f32_e32 v151, v135, v191
	;; [unrolled: 1-line block ×3, first 2 shown]
	s_waitcnt vmcnt(1)
	v_fmac_f32_e32 v3, v141, v146
	v_add_f32_e32 v2, v2, v4
	v_add_f32_e32 v1, v1, v148
	v_mul_f32_e32 v4, v139, v184
	v_add_f32_e32 v2, v2, v6
	v_add_f32_e32 v1, v1, v151
	v_mul_f32_e32 v6, v141, v185
	v_fma_f32 v4, v138, v142, -v4
	v_add_f32_e32 v2, v2, v5
	v_add_f32_e32 v1, v1, v149
	v_fma_f32 v5, v140, v146, -v6
	v_add_f32_e32 v2, v2, v4
	v_add_f32_e32 v1, v1, v152
	;; [unrolled: 1-line block ×4, first 2 shown]
	s_waitcnt vmcnt(0)
	v_sub_f32_e32 v2, v143, v2
	v_sub_f32_e32 v1, v168, v1
	buffer_store_dword v2, off, s[0:3], 0 offset:112
	buffer_store_dword v1, off, s[0:3], 0 offset:116
	v_cmpx_lt_u32_e32 13, v0
	s_cbranch_execz .LBB54_317
; %bb.316:
	s_clause 0x1
	buffer_load_dword v1, off, s[0:3], 0 offset:104
	buffer_load_dword v2, off, s[0:3], 0 offset:108
	v_mov_b32_e32 v3, 0
	buffer_store_dword v3, off, s[0:3], 0 offset:104
	buffer_store_dword v3, off, s[0:3], 0 offset:108
	s_waitcnt vmcnt(0)
	ds_write_b64 v9, v[1:2]
.LBB54_317:
	s_or_b32 exec_lo, exec_lo, s4
	s_waitcnt lgkmcnt(0)
	s_waitcnt_vscnt null, 0x0
	s_barrier
	buffer_gl0_inv
	s_clause 0x24
	buffer_load_dword v2, off, s[0:3], 0 offset:116
	buffer_load_dword v3, off, s[0:3], 0 offset:124
	;; [unrolled: 1-line block ×37, first 2 shown]
	v_mov_b32_e32 v1, 0
	ds_read_b128 v[128:131], v1 offset:560
	ds_read_b128 v[132:135], v1 offset:576
	;; [unrolled: 1-line block ×3, first 2 shown]
	s_clause 0x1
	buffer_load_dword v166, off, s[0:3], 0 offset:260
	buffer_load_dword v167, off, s[0:3], 0 offset:108
	ds_read_b128 v[140:143], v1 offset:608
	s_mov_b32 s4, exec_lo
	s_waitcnt vmcnt(38) lgkmcnt(3)
	v_mul_f32_e32 v168, v129, v2
	v_mul_f32_e32 v2, v128, v2
	s_waitcnt vmcnt(37)
	v_mul_f32_e32 v169, v130, v3
	v_mul_f32_e32 v3, v131, v3
	s_waitcnt vmcnt(34)
	v_fma_f32 v168, v128, v146, -v168
	v_fmac_f32_e32 v2, v129, v146
	v_fmac_f32_e32 v169, v131, v145
	v_fma_f32 v3, v130, v145, -v3
	ds_read_b128 v[128:131], v1 offset:624
	s_waitcnt vmcnt(33) lgkmcnt(3)
	v_mul_f32_e32 v145, v132, v147
	v_mul_f32_e32 v146, v133, v147
	s_waitcnt vmcnt(32)
	v_mul_f32_e32 v147, v134, v148
	v_mul_f32_e32 v148, v135, v148
	s_waitcnt vmcnt(31) lgkmcnt(2)
	v_mul_f32_e32 v170, v136, v149
	v_fmac_f32_e32 v145, v133, v144
	v_fma_f32 v144, v132, v144, -v146
	s_waitcnt vmcnt(26)
	v_fmac_f32_e32 v147, v135, v154
	v_fma_f32 v148, v134, v154, -v148
	ds_read_b128 v[132:135], v1 offset:640
	v_mul_f32_e32 v149, v137, v149
	v_mul_f32_e32 v146, v138, v150
	;; [unrolled: 1-line block ×3, first 2 shown]
	v_fmac_f32_e32 v170, v137, v153
	s_waitcnt vmcnt(24) lgkmcnt(2)
	v_mul_f32_e32 v154, v142, v156
	v_fma_f32 v149, v136, v153, -v149
	v_fmac_f32_e32 v146, v139, v152
	v_fma_f32 v150, v138, v152, -v150
	v_mul_f32_e32 v152, v140, v155
	v_mul_f32_e32 v153, v141, v155
	;; [unrolled: 1-line block ×3, first 2 shown]
	ds_read_b128 v[136:139], v1 offset:656
	s_waitcnt vmcnt(19)
	v_fmac_f32_e32 v154, v143, v159
	v_fmac_f32_e32 v152, v141, v151
	v_fma_f32 v140, v140, v151, -v153
	v_fma_f32 v141, v142, v159, -v155
	s_clause 0x4
	buffer_load_dword v142, off, s[0:3], 0 offset:268
	buffer_load_dword v143, off, s[0:3], 0 offset:288
	;; [unrolled: 1-line block ×5, first 2 shown]
	s_waitcnt lgkmcnt(2)
	v_mul_f32_e32 v156, v128, v157
	v_mul_f32_e32 v157, v129, v157
	s_waitcnt vmcnt(23)
	v_mul_f32_e32 v159, v130, v160
	v_mul_f32_e32 v160, v131, v160
	s_waitcnt vmcnt(21) lgkmcnt(1)
	v_mul_f32_e32 v171, v134, v162
	v_fmac_f32_e32 v156, v129, v158
	v_fma_f32 v157, v128, v158, -v157
	v_mul_f32_e32 v158, v132, v161
	v_mul_f32_e32 v128, v133, v161
	buffer_load_dword v161, off, s[0:3], 0 offset:276
	v_fmac_f32_e32 v159, v131, v125
	v_fma_f32 v160, v130, v125, -v160
	v_mul_f32_e32 v125, v135, v162
	v_fmac_f32_e32 v158, v133, v8
	v_fma_f32 v8, v132, v8, -v128
	ds_read_b128 v[128:131], v1 offset:672
	s_waitcnt vmcnt(18)
	v_fmac_f32_e32 v171, v135, v163
	v_fma_f32 v162, v134, v163, -v125
	s_waitcnt vmcnt(17) lgkmcnt(1)
	v_mul_f32_e32 v163, v136, v164
	v_mul_f32_e32 v125, v137, v164
	s_waitcnt vmcnt(16)
	v_mul_f32_e32 v164, v138, v165
	v_mul_f32_e32 v165, v139, v165
	ds_read_b128 v[132:135], v1 offset:688
	v_fmac_f32_e32 v163, v137, v126
	v_fma_f32 v136, v136, v126, -v125
	v_fmac_f32_e32 v164, v139, v10
	v_fma_f32 v10, v138, v10, -v165
	s_clause 0x2
	buffer_load_dword v137, off, s[0:3], 0 offset:284
	buffer_load_dword v138, off, s[0:3], 0 offset:292
	;; [unrolled: 1-line block ×3, first 2 shown]
	v_add_f32_e32 v2, 0, v2
	s_waitcnt vmcnt(18) lgkmcnt(1)
	v_mul_f32_e32 v139, v128, v122
	v_mul_f32_e32 v122, v129, v122
	s_waitcnt vmcnt(17)
	v_mul_f32_e32 v165, v130, v11
	v_mul_f32_e32 v11, v131, v11
	v_fmac_f32_e32 v139, v129, v5
	v_fma_f32 v129, v128, v5, -v122
	s_waitcnt vmcnt(13)
	v_fmac_f32_e32 v165, v131, v127
	v_fma_f32 v11, v130, v127, -v11
	s_waitcnt vmcnt(12) lgkmcnt(0)
	v_mul_f32_e32 v130, v132, v124
	v_mul_f32_e32 v5, v133, v124
	s_waitcnt vmcnt(11)
	v_mul_f32_e32 v131, v134, v123
	v_mul_f32_e32 v122, v135, v123
	ds_read_b128 v[125:128], v1 offset:704
	v_fmac_f32_e32 v130, v133, v7
	v_fma_f32 v7, v132, v7, -v5
	v_fmac_f32_e32 v131, v135, v6
	v_fma_f32 v6, v134, v6, -v122
	s_clause 0x4
	buffer_load_dword v132, off, s[0:3], 0 offset:320
	buffer_load_dword v133, off, s[0:3], 0 offset:312
	;; [unrolled: 1-line block ×5, first 2 shown]
	v_add_f32_e32 v5, 0, v168
	v_add_f32_e32 v3, v5, v3
	;; [unrolled: 1-line block ×3, first 2 shown]
	buffer_load_dword v144, off, s[0:3], 0 offset:316
	s_waitcnt vmcnt(16) lgkmcnt(0)
	v_mul_f32_e32 v168, v125, v166
	v_mul_f32_e32 v122, v126, v166
	v_add_f32_e32 v123, v123, v148
	v_fmac_f32_e32 v168, v126, v4
	v_fma_f32 v126, v125, v4, -v122
	v_add_f32_e32 v122, v2, v169
	ds_read_b128 v[2:5], v1 offset:720
	v_add_f32_e32 v123, v123, v149
	v_add_f32_e32 v122, v122, v145
	;; [unrolled: 1-line block ×4, first 2 shown]
	buffer_load_dword v147, off, s[0:3], 0 offset:332
	v_add_f32_e32 v140, v148, v140
	s_waitcnt vmcnt(15)
	v_mul_f32_e32 v145, v127, v142
	v_mul_f32_e32 v124, v128, v142
	buffer_load_dword v142, off, s[0:3], 0 offset:324
	s_waitcnt vmcnt(12)
	v_fmac_f32_e32 v145, v128, v155
	v_add_f32_e32 v128, v122, v170
	v_fma_f32 v127, v127, v155, -v124
	ds_read_b128 v[122:125], v1 offset:736
	v_add_f32_e32 v128, v128, v146
	s_waitcnt vmcnt(11) lgkmcnt(1)
	v_mul_f32_e32 v149, v2, v161
	v_mul_f32_e32 v150, v3, v161
	s_clause 0x3
	buffer_load_dword v146, off, s[0:3], 0 offset:352
	buffer_load_dword v148, off, s[0:3], 0 offset:344
	;; [unrolled: 1-line block ×4, first 2 shown]
	v_fmac_f32_e32 v149, v3, v153
	v_fma_f32 v150, v2, v153, -v150
	v_add_f32_e32 v2, v128, v152
	s_clause 0x1
	buffer_load_dword v152, off, s[0:3], 0 offset:340
	buffer_load_dword v153, off, s[0:3], 0 offset:348
	v_add_f32_e32 v3, v140, v141
	buffer_load_dword v141, off, s[0:3], 0 offset:356
	v_add_f32_e32 v2, v2, v154
	v_add_f32_e32 v3, v3, v157
	s_waitcnt vmcnt(17)
	v_mul_f32_e32 v128, v5, v137
	v_mul_f32_e32 v140, v4, v137
	v_add_f32_e32 v160, v3, v160
	v_fma_f32 v137, v4, v151, -v128
	v_add_f32_e32 v128, v2, v156
	v_add_f32_e32 v8, v160, v8
	v_fmac_f32_e32 v140, v5, v151
	s_clause 0x3
	buffer_load_dword v151, off, s[0:3], 0 offset:364
	buffer_load_dword v154, off, s[0:3], 0 offset:372
	;; [unrolled: 1-line block ×4, first 2 shown]
	ds_read_b128 v[2:5], v1 offset:752
	v_add_f32_e32 v128, v128, v159
	s_waitcnt vmcnt(20) lgkmcnt(1)
	v_mul_f32_e32 v159, v122, v138
	v_mul_f32_e32 v138, v123, v138
	v_add_f32_e32 v8, v8, v162
	s_waitcnt vmcnt(19)
	v_mul_f32_e32 v160, v124, v172
	v_add_f32_e32 v128, v128, v158
	v_mul_f32_e32 v158, v125, v172
	v_fma_f32 v138, v122, v143, -v138
	v_add_f32_e32 v8, v8, v136
	v_fmac_f32_e32 v159, v123, v143
	v_add_f32_e32 v122, v128, v171
	s_clause 0x3
	buffer_load_dword v143, off, s[0:3], 0 offset:396
	buffer_load_dword v162, off, s[0:3], 0 offset:404
	;; [unrolled: 1-line block ×4, first 2 shown]
	v_add_f32_e32 v8, v8, v10
	s_waitcnt vmcnt(19)
	v_fmac_f32_e32 v160, v125, v135
	v_fma_f32 v135, v124, v135, -v158
	buffer_load_dword v158, off, s[0:3], 0 offset:428
	v_add_f32_e32 v122, v122, v163
	s_clause 0x4
	buffer_load_dword v163, off, s[0:3], 0 offset:384
	buffer_load_dword v170, off, s[0:3], 0 offset:376
	;; [unrolled: 1-line block ×5, first 2 shown]
	v_add_f32_e32 v8, v8, v129
	s_waitcnt vmcnt(24) lgkmcnt(0)
	v_mul_f32_e32 v128, v3, v173
	v_add_f32_e32 v10, v122, v164
	ds_read_b128 v[122:125], v1 offset:768
	v_add_f32_e32 v8, v8, v11
	v_fma_f32 v11, v2, v134, -v128
	v_add_f32_e32 v10, v10, v139
	v_mul_f32_e32 v139, v2, v173
	s_waitcnt vmcnt(23)
	v_mul_f32_e32 v177, v4, v144
	v_add_f32_e32 v2, v10, v165
	v_fmac_f32_e32 v139, v3, v134
	v_add_f32_e32 v3, v8, v7
	s_clause 0x6
	buffer_load_dword v8, off, s[0:3], 0 offset:416
	buffer_load_dword v10, off, s[0:3], 0 offset:408
	;; [unrolled: 1-line block ×7, first 2 shown]
	v_add_f32_e32 v2, v2, v130
	v_add_f32_e32 v3, v3, v6
	v_fmac_f32_e32 v177, v5, v133
	v_add_f32_e32 v2, v2, v131
	v_add_f32_e32 v6, v3, v126
	v_mul_f32_e32 v3, v5, v144
	v_add_f32_e32 v7, v2, v168
	v_add_f32_e32 v6, v6, v127
	v_fma_f32 v144, v4, v133, -v3
	ds_read_b128 v[2:5], v1 offset:784
	ds_read_b128 v[126:129], v1 offset:800
	v_add_f32_e32 v7, v7, v145
	v_add_f32_e32 v6, v6, v150
	s_waitcnt vmcnt(29) lgkmcnt(2)
	v_mul_f32_e32 v131, v125, v147
	v_add_f32_e32 v7, v7, v149
	v_add_f32_e32 v6, v6, v137
	;; [unrolled: 1-line block ×8, first 2 shown]
	s_waitcnt vmcnt(28)
	v_mul_f32_e32 v130, v123, v142
	v_mul_f32_e32 v145, v122, v142
	;; [unrolled: 1-line block ×3, first 2 shown]
	v_fma_f32 v147, v122, v132, -v130
	v_fmac_f32_e32 v145, v123, v132
	v_add_f32_e32 v144, v144, v147
	s_waitcnt vmcnt(24)
	v_fma_f32 v149, v124, v161, -v131
	v_fmac_f32_e32 v142, v125, v161
	ds_read_b128 v[122:125], v1 offset:816
	ds_read_b128 v[130:133], v1 offset:832
	s_waitcnt vmcnt(23) lgkmcnt(3)
	v_mul_f32_e32 v134, v3, v152
	v_mul_f32_e32 v138, v2, v152
	s_waitcnt vmcnt(22)
	v_mul_f32_e32 v140, v4, v153
	v_mul_f32_e32 v150, v5, v153
	v_add_f32_e32 v144, v144, v149
	v_fma_f32 v152, v2, v155, -v134
	v_add_f32_e32 v2, v7, v160
	v_fmac_f32_e32 v138, v3, v155
	v_fmac_f32_e32 v140, v5, v148
	v_fma_f32 v11, v4, v148, -v150
	s_waitcnt vmcnt(21) lgkmcnt(2)
	v_mul_f32_e32 v148, v126, v141
	v_add_f32_e32 v139, v2, v139
	v_mul_f32_e32 v141, v127, v141
	v_add_f32_e32 v144, v144, v152
	ds_read_b128 v[134:137], v1 offset:848
	ds_read_b128 v[2:5], v1 offset:864
	v_add_f32_e32 v139, v139, v177
	s_waitcnt vmcnt(20)
	v_mul_f32_e32 v147, v129, v151
	v_fma_f32 v126, v126, v146, -v141
	v_add_f32_e32 v11, v144, v11
	v_mul_f32_e32 v150, v128, v151
	v_add_f32_e32 v139, v139, v145
	v_fmac_f32_e32 v148, v127, v146
	s_waitcnt vmcnt(19) lgkmcnt(3)
	v_mul_f32_e32 v144, v123, v154
	v_add_f32_e32 v11, v11, v126
	v_mul_f32_e32 v145, v122, v154
	v_add_f32_e32 v139, v139, v142
	s_waitcnt vmcnt(18)
	v_mul_f32_e32 v149, v124, v156
	s_waitcnt vmcnt(17) lgkmcnt(2)
	v_mul_f32_e32 v151, v130, v157
	s_waitcnt vmcnt(16)
	v_mul_f32_e32 v142, v132, v143
	ds_read_b64 v[6:7], v1 offset:880
	v_add_f32_e32 v138, v139, v138
	s_waitcnt vmcnt(15) lgkmcnt(2)
	v_mul_f32_e32 v152, v134, v162
	s_waitcnt vmcnt(14)
	v_mul_f32_e32 v127, v136, v166
	v_add_f32_e32 v138, v138, v140
	s_waitcnt vmcnt(10)
	v_fmac_f32_e32 v149, v125, v170
	s_waitcnt vmcnt(9)
	v_fma_f32 v122, v122, v171, -v144
	s_waitcnt vmcnt(8)
	v_fma_f32 v128, v128, v172, -v147
	v_fmac_f32_e32 v150, v129, v172
	v_add_f32_e32 v126, v138, v148
	v_mul_f32_e32 v129, v125, v156
	v_fmac_f32_e32 v145, v123, v171
	v_add_f32_e32 v11, v11, v128
	v_fmac_f32_e32 v151, v131, v163
	v_add_f32_e32 v123, v126, v150
	v_mul_f32_e32 v126, v131, v157
	v_fma_f32 v124, v124, v170, -v129
	v_add_f32_e32 v11, v11, v122
	s_waitcnt lgkmcnt(1)
	v_mul_f32_e32 v139, v2, v169
	v_add_f32_e32 v122, v123, v145
	v_mul_f32_e32 v123, v133, v143
	v_fma_f32 v125, v130, v163, -v126
	v_add_f32_e32 v11, v11, v124
	v_mul_f32_e32 v124, v135, v162
	v_add_f32_e32 v122, v122, v149
	s_waitcnt vmcnt(3)
	v_fma_f32 v123, v132, v165, -v123
	v_fmac_f32_e32 v142, v133, v165
	v_add_f32_e32 v11, v11, v125
	v_mul_f32_e32 v125, v137, v166
	v_add_f32_e32 v122, v122, v151
	v_fma_f32 v124, v134, v164, -v124
	v_fmac_f32_e32 v152, v135, v164
	v_add_f32_e32 v11, v11, v123
	v_mul_f32_e32 v123, v3, v169
	v_add_f32_e32 v122, v122, v142
	v_fmac_f32_e32 v127, v137, v10
	v_fma_f32 v10, v136, v10, -v125
	v_add_f32_e32 v11, v11, v124
	v_mul_f32_e32 v124, v5, v158
	v_add_f32_e32 v122, v122, v152
	v_fmac_f32_e32 v139, v3, v8
	v_fma_f32 v2, v2, v8, -v123
	v_add_f32_e32 v3, v11, v10
	v_mul_f32_e32 v141, v4, v158
	v_add_f32_e32 v8, v122, v127
	s_waitcnt lgkmcnt(0)
	v_mul_f32_e32 v10, v7, v174
	s_waitcnt vmcnt(1)
	v_fma_f32 v4, v4, v175, -v124
	v_add_f32_e32 v2, v3, v2
	v_mul_f32_e32 v140, v6, v174
	v_fmac_f32_e32 v141, v5, v175
	v_add_f32_e32 v3, v8, v139
	v_fma_f32 v5, v6, v173, -v10
	v_add_f32_e32 v2, v2, v4
	v_fmac_f32_e32 v140, v7, v173
	v_add_f32_e32 v3, v3, v141
	v_add_f32_e32 v2, v2, v5
	;; [unrolled: 1-line block ×3, first 2 shown]
	s_waitcnt vmcnt(0)
	v_sub_f32_e32 v2, v176, v2
	v_sub_f32_e32 v3, v167, v3
	buffer_store_dword v2, off, s[0:3], 0 offset:104
	buffer_store_dword v3, off, s[0:3], 0 offset:108
	v_cmpx_lt_u32_e32 12, v0
	s_cbranch_execz .LBB54_319
; %bb.318:
	s_clause 0x1
	buffer_load_dword v2, off, s[0:3], 0 offset:96
	buffer_load_dword v3, off, s[0:3], 0 offset:100
	buffer_store_dword v1, off, s[0:3], 0 offset:96
	buffer_store_dword v1, off, s[0:3], 0 offset:100
	s_waitcnt vmcnt(0)
	ds_write_b64 v9, v[2:3]
.LBB54_319:
	s_or_b32 exec_lo, exec_lo, s4
	s_waitcnt lgkmcnt(0)
	s_waitcnt_vscnt null, 0x0
	s_barrier
	buffer_gl0_inv
	s_clause 0x24
	buffer_load_dword v148, off, s[0:3], 0 offset:108
	buffer_load_dword v2, off, s[0:3], 0 offset:116
	buffer_load_dword v149, off, s[0:3], 0 offset:120
	buffer_load_dword v150, off, s[0:3], 0 offset:112
	buffer_load_dword v151, off, s[0:3], 0 offset:104
	buffer_load_dword v152, off, s[0:3], 0 offset:124
	buffer_load_dword v153, off, s[0:3], 0 offset:132
	buffer_load_dword v154, off, s[0:3], 0 offset:140
	buffer_load_dword v122, off, s[0:3], 0 offset:152
	buffer_load_dword v155, off, s[0:3], 0 offset:144
	buffer_load_dword v156, off, s[0:3], 0 offset:136
	buffer_load_dword v157, off, s[0:3], 0 offset:128
	buffer_load_dword v158, off, s[0:3], 0 offset:148
	buffer_load_dword v159, off, s[0:3], 0 offset:156
	buffer_load_dword v160, off, s[0:3], 0 offset:164
	buffer_load_dword v6, off, s[0:3], 0 offset:184
	buffer_load_dword v123, off, s[0:3], 0 offset:176
	buffer_load_dword v129, off, s[0:3], 0 offset:168
	buffer_load_dword v161, off, s[0:3], 0 offset:160
	buffer_load_dword v162, off, s[0:3], 0 offset:172
	buffer_load_dword v163, off, s[0:3], 0 offset:180
	buffer_load_dword v164, off, s[0:3], 0 offset:188
	buffer_load_dword v128, off, s[0:3], 0 offset:196
	buffer_load_dword v4, off, s[0:3], 0 offset:216
	buffer_load_dword v8, off, s[0:3], 0 offset:208
	buffer_load_dword v124, off, s[0:3], 0 offset:200
	buffer_load_dword v165, off, s[0:3], 0 offset:192
	buffer_load_dword v131, off, s[0:3], 0 offset:204
	buffer_load_dword v130, off, s[0:3], 0 offset:212
	buffer_load_dword v11, off, s[0:3], 0 offset:220
	buffer_load_dword v10, off, s[0:3], 0 offset:228
	buffer_load_dword v3, off, s[0:3], 0 offset:248
	buffer_load_dword v5, off, s[0:3], 0 offset:240
	buffer_load_dword v7, off, s[0:3], 0 offset:232
	buffer_load_dword v127, off, s[0:3], 0 offset:224
	buffer_load_dword v126, off, s[0:3], 0 offset:236
	buffer_load_dword v125, off, s[0:3], 0 offset:244
	ds_read2_b64 v[132:135], v1 offset0:69 offset1:70
	ds_read2_b64 v[136:139], v1 offset0:71 offset1:72
	;; [unrolled: 1-line block ×3, first 2 shown]
	s_clause 0x1
	buffer_load_dword v166, off, s[0:3], 0 offset:252
	buffer_load_dword v167, off, s[0:3], 0 offset:260
	ds_read2_b64 v[144:147], v1 offset0:75 offset1:76
	buffer_load_dword v169, off, s[0:3], 0 offset:100
	s_mov_b32 s4, exec_lo
	s_waitcnt vmcnt(39) lgkmcnt(3)
	v_mul_f32_e32 v168, v133, v148
	v_mul_f32_e32 v148, v132, v148
	s_waitcnt vmcnt(38)
	v_mul_f32_e32 v170, v134, v2
	v_mul_f32_e32 v2, v135, v2
	s_waitcnt vmcnt(35)
	v_fma_f32 v168, v132, v151, -v168
	v_fmac_f32_e32 v148, v133, v151
	v_fmac_f32_e32 v170, v135, v150
	v_fma_f32 v2, v134, v150, -v2
	s_waitcnt vmcnt(33) lgkmcnt(2)
	v_mul_f32_e32 v150, v138, v153
	v_mul_f32_e32 v133, v139, v153
	;; [unrolled: 1-line block ×4, first 2 shown]
	s_waitcnt vmcnt(32) lgkmcnt(1)
	v_mul_f32_e32 v152, v140, v154
	v_mul_f32_e32 v153, v141, v154
	s_waitcnt vmcnt(28)
	v_fmac_f32_e32 v150, v139, v157
	v_fma_f32 v154, v138, v157, -v133
	s_waitcnt vmcnt(27)
	v_mul_f32_e32 v157, v142, v158
	v_mul_f32_e32 v158, v143, v158
	v_fmac_f32_e32 v151, v137, v149
	v_fma_f32 v149, v136, v149, -v132
	ds_read2_b64 v[132:135], v1 offset0:77 offset1:78
	ds_read2_b64 v[136:139], v1 offset0:79 offset1:80
	v_fmac_f32_e32 v152, v141, v156
	v_fma_f32 v153, v140, v156, -v153
	s_waitcnt vmcnt(26) lgkmcnt(2)
	v_mul_f32_e32 v156, v144, v159
	v_mul_f32_e32 v140, v145, v159
	v_fmac_f32_e32 v157, v143, v155
	v_fma_f32 v155, v142, v155, -v158
	s_waitcnt vmcnt(25)
	v_mul_f32_e32 v158, v146, v160
	v_mul_f32_e32 v141, v147, v160
	s_clause 0x3
	buffer_load_dword v159, off, s[0:3], 0 offset:280
	buffer_load_dword v160, off, s[0:3], 0 offset:272
	;; [unrolled: 1-line block ×4, first 2 shown]
	v_fmac_f32_e32 v156, v145, v122
	v_fma_f32 v122, v144, v122, -v140
	s_waitcnt vmcnt(25)
	v_fmac_f32_e32 v158, v147, v161
	v_fma_f32 v144, v146, v161, -v141
	ds_read2_b64 v[140:143], v1 offset0:81 offset1:82
	s_waitcnt vmcnt(24) lgkmcnt(2)
	v_mul_f32_e32 v145, v132, v162
	v_mul_f32_e32 v146, v133, v162
	s_waitcnt vmcnt(23)
	v_mul_f32_e32 v147, v134, v163
	v_mul_f32_e32 v161, v135, v163
	s_waitcnt vmcnt(22) lgkmcnt(1)
	v_mul_f32_e32 v162, v136, v164
	v_fmac_f32_e32 v145, v133, v129
	v_fma_f32 v146, v132, v129, -v146
	v_mul_f32_e32 v129, v137, v164
	v_fmac_f32_e32 v147, v135, v123
	v_fma_f32 v161, v134, v123, -v161
	s_waitcnt vmcnt(21)
	v_mul_f32_e32 v123, v139, v128
	v_mul_f32_e32 v163, v138, v128
	s_clause 0x1
	buffer_load_dword v164, off, s[0:3], 0 offset:268
	buffer_load_dword v173, off, s[0:3], 0 offset:276
	v_fmac_f32_e32 v162, v137, v6
	v_fma_f32 v6, v136, v6, -v129
	s_waitcnt vmcnt(19)
	v_fma_f32 v136, v138, v165, -v123
	ds_read2_b64 v[132:135], v1 offset0:83 offset1:84
	s_waitcnt vmcnt(17) lgkmcnt(1)
	v_mul_f32_e32 v138, v142, v130
	v_mul_f32_e32 v128, v143, v130
	;; [unrolled: 1-line block ×4, first 2 shown]
	v_fmac_f32_e32 v163, v139, v165
	v_fmac_f32_e32 v138, v143, v8
	v_fma_f32 v8, v142, v8, -v128
	ds_read2_b64 v[128:131], v1 offset0:85 offset1:86
	v_fma_f32 v139, v140, v124, -v123
	s_clause 0x1
	buffer_load_dword v140, off, s[0:3], 0 offset:284
	buffer_load_dword v143, off, s[0:3], 0 offset:292
	v_fmac_f32_e32 v137, v141, v124
	s_waitcnt vmcnt(18) lgkmcnt(1)
	v_mul_f32_e32 v141, v132, v11
	v_mul_f32_e32 v11, v133, v11
	s_waitcnt vmcnt(17)
	v_mul_f32_e32 v142, v134, v10
	v_mul_f32_e32 v10, v135, v10
	v_fmac_f32_e32 v141, v133, v4
	v_fma_f32 v11, v132, v4, -v11
	s_waitcnt vmcnt(13)
	v_fmac_f32_e32 v142, v135, v127
	v_fma_f32 v10, v134, v127, -v10
	s_waitcnt vmcnt(12) lgkmcnt(0)
	v_mul_f32_e32 v127, v128, v126
	v_mul_f32_e32 v4, v129, v126
	s_waitcnt vmcnt(11)
	v_mul_f32_e32 v126, v130, v125
	v_mul_f32_e32 v123, v131, v125
	ds_read2_b64 v[132:135], v1 offset0:87 offset1:88
	v_fmac_f32_e32 v127, v129, v7
	v_fma_f32 v7, v128, v7, -v4
	v_fmac_f32_e32 v126, v131, v5
	v_fma_f32 v128, v130, v5, -v123
	s_clause 0x4
	buffer_load_dword v130, off, s[0:3], 0 offset:312
	buffer_load_dword v129, off, s[0:3], 0 offset:304
	;; [unrolled: 1-line block ×5, first 2 shown]
	v_add_f32_e32 v4, 0, v168
	v_add_f32_e32 v5, 0, v148
	s_clause 0x1
	buffer_load_dword v148, off, s[0:3], 0 offset:308
	buffer_load_dword v168, off, s[0:3], 0 offset:316
	v_add_f32_e32 v2, v4, v2
	v_add_f32_e32 v4, v5, v170
	;; [unrolled: 1-line block ×4, first 2 shown]
	s_waitcnt vmcnt(17) lgkmcnt(0)
	v_mul_f32_e32 v170, v132, v166
	v_mul_f32_e32 v5, v133, v166
	s_waitcnt vmcnt(16)
	v_mul_f32_e32 v149, v134, v167
	v_mul_f32_e32 v123, v135, v167
	v_add_f32_e32 v124, v2, v154
	v_add_f32_e32 v125, v4, v150
	v_fmac_f32_e32 v170, v133, v3
	v_fma_f32 v132, v132, v3, -v5
	ds_read2_b64 v[2:5], v1 offset0:89 offset1:90
	s_waitcnt vmcnt(11)
	v_fmac_f32_e32 v149, v135, v172
	v_fma_f32 v133, v134, v172, -v123
	v_add_f32_e32 v123, v124, v153
	v_add_f32_e32 v124, v125, v152
	s_clause 0x4
	buffer_load_dword v134, off, s[0:3], 0 offset:324
	buffer_load_dword v150, off, s[0:3], 0 offset:344
	;; [unrolled: 1-line block ×5, first 2 shown]
	v_add_f32_e32 v123, v123, v155
	s_clause 0x2
	buffer_load_dword v153, off, s[0:3], 0 offset:332
	buffer_load_dword v154, off, s[0:3], 0 offset:340
	;; [unrolled: 1-line block ×3, first 2 shown]
	v_add_f32_e32 v124, v124, v157
	v_add_f32_e32 v122, v123, v122
	;; [unrolled: 1-line block ×5, first 2 shown]
	ds_read2_b64 v[122:125], v1 offset0:91 offset1:92
	s_waitcnt vmcnt(18) lgkmcnt(1)
	v_mul_f32_e32 v157, v2, v164
	v_add_f32_e32 v144, v144, v146
	v_mul_f32_e32 v158, v3, v164
	v_add_f32_e32 v145, v156, v145
	s_waitcnt vmcnt(17)
	v_mul_f32_e32 v146, v4, v173
	v_fmac_f32_e32 v157, v3, v171
	v_add_f32_e32 v3, v144, v161
	v_mul_f32_e32 v156, v5, v173
	v_add_f32_e32 v144, v145, v147
	v_fma_f32 v145, v2, v171, -v158
	v_fmac_f32_e32 v146, v5, v160
	v_add_f32_e32 v2, v3, v6
	v_fma_f32 v147, v4, v160, -v156
	v_add_f32_e32 v3, v144, v162
	s_clause 0x7
	buffer_load_dword v6, off, s[0:3], 0 offset:356
	buffer_load_dword v144, off, s[0:3], 0 offset:364
	;; [unrolled: 1-line block ×8, first 2 shown]
	v_add_f32_e32 v2, v2, v136
	v_add_f32_e32 v3, v3, v163
	s_waitcnt vmcnt(24) lgkmcnt(0)
	v_mul_f32_e32 v4, v123, v140
	v_mul_f32_e32 v166, v122, v140
	v_add_f32_e32 v2, v2, v139
	s_clause 0x3
	buffer_load_dword v163, off, s[0:3], 0 offset:388
	buffer_load_dword v167, off, s[0:3], 0 offset:396
	;; [unrolled: 1-line block ×4, first 2 shown]
	v_fma_f32 v136, v122, v159, -v4
	v_add_f32_e32 v122, v3, v137
	s_waitcnt vmcnt(27)
	v_mul_f32_e32 v3, v125, v143
	v_add_f32_e32 v8, v2, v8
	v_fmac_f32_e32 v166, v123, v159
	s_clause 0x1
	buffer_load_dword v159, off, s[0:3], 0 offset:420
	buffer_load_dword v173, off, s[0:3], 0 offset:428
	v_mul_f32_e32 v137, v124, v143
	buffer_load_dword v143, off, s[0:3], 0 offset:436
	v_add_f32_e32 v8, v8, v11
	v_add_f32_e32 v122, v122, v138
	;; [unrolled: 1-line block ×4, first 2 shown]
	s_waitcnt vmcnt(26)
	v_fma_f32 v139, v124, v165, -v3
	ds_read2_b64 v[2:5], v1 offset0:93 offset1:94
	v_fmac_f32_e32 v137, v125, v165
	s_clause 0x3
	buffer_load_dword v10, off, s[0:3], 0 offset:408
	buffer_load_dword v165, off, s[0:3], 0 offset:400
	;; [unrolled: 1-line block ×4, first 2 shown]
	v_add_f32_e32 v11, v11, v142
	v_add_f32_e32 v7, v8, v7
	ds_read2_b64 v[122:125], v1 offset0:95 offset1:96
	v_add_f32_e32 v8, v11, v127
	v_add_f32_e32 v7, v7, v128
	s_waitcnt vmcnt(29) lgkmcnt(1)
	v_mul_f32_e32 v11, v2, v174
	v_mul_f32_e32 v127, v3, v174
	s_waitcnt vmcnt(28)
	v_mul_f32_e32 v140, v4, v148
	v_fmac_f32_e32 v11, v3, v131
	v_fma_f32 v138, v2, v131, -v127
	v_add_f32_e32 v2, v8, v126
	v_add_f32_e32 v3, v7, v132
	s_clause 0x2
	buffer_load_dword v7, off, s[0:3], 0 offset:432
	buffer_load_dword v8, off, s[0:3], 0 offset:424
	buffer_load_dword v142, off, s[0:3], 0 offset:416
	v_mul_f32_e32 v126, v5, v148
	v_fmac_f32_e32 v140, v5, v129
	v_add_f32_e32 v2, v2, v170
	buffer_load_dword v170, off, s[0:3], 0 offset:96
	v_add_f32_e32 v3, v3, v133
	v_fma_f32 v141, v4, v129, -v126
	s_waitcnt vmcnt(31) lgkmcnt(0)
	v_mul_f32_e32 v133, v123, v168
	v_add_f32_e32 v127, v2, v149
	v_add_f32_e32 v131, v3, v145
	ds_read2_b64 v[2:5], v1 offset0:97 offset1:98
	v_mul_f32_e32 v145, v122, v168
	v_add_f32_e32 v132, v127, v157
	ds_read2_b64 v[126:129], v1 offset0:99 offset1:100
	v_add_f32_e32 v131, v131, v147
	v_fma_f32 v147, v122, v130, -v133
	v_fmac_f32_e32 v145, v123, v130
	v_add_f32_e32 v132, v132, v146
	v_add_f32_e32 v136, v131, v136
	;; [unrolled: 1-line block ×4, first 2 shown]
	s_waitcnt vmcnt(30)
	v_mul_f32_e32 v146, v124, v134
	v_mul_f32_e32 v134, v125, v134
	s_waitcnt vmcnt(26)
	v_fmac_f32_e32 v146, v125, v152
	v_fma_f32 v148, v124, v152, -v134
	v_add_f32_e32 v134, v132, v166
	s_waitcnt vmcnt(25) lgkmcnt(1)
	v_mul_f32_e32 v149, v2, v153
	v_mul_f32_e32 v139, v3, v153
	s_waitcnt vmcnt(23) lgkmcnt(0)
	v_mul_f32_e32 v153, v126, v155
	v_mul_f32_e32 v152, v4, v154
	v_add_f32_e32 v134, v134, v137
	v_fmac_f32_e32 v149, v3, v151
	v_fma_f32 v151, v2, v151, -v139
	v_add_f32_e32 v139, v136, v141
	v_mul_f32_e32 v137, v5, v154
	v_add_f32_e32 v11, v134, v11
	v_mul_f32_e32 v138, v127, v155
	v_fmac_f32_e32 v153, v127, v150
	v_add_f32_e32 v127, v139, v147
	ds_read2_b64 v[122:125], v1 offset0:101 offset1:102
	ds_read2_b64 v[130:133], v1 offset0:103 offset1:104
	v_add_f32_e32 v11, v11, v140
	v_fmac_f32_e32 v152, v5, v135
	v_fma_f32 v154, v4, v135, -v137
	ds_read2_b64 v[2:5], v1 offset0:105 offset1:106
	ds_read2_b64 v[134:137], v1 offset0:107 offset1:108
	v_fma_f32 v126, v126, v150, -v138
	ds_read2_b64 v[138:141], v1 offset0:109 offset1:110
	v_add_f32_e32 v1, v11, v145
	v_add_f32_e32 v127, v127, v148
	s_waitcnt vmcnt(22)
	v_mul_f32_e32 v11, v128, v6
	v_mul_f32_e32 v6, v129, v6
	v_add_f32_e32 v1, v1, v146
	v_add_f32_e32 v127, v127, v151
	s_waitcnt vmcnt(15)
	v_fmac_f32_e32 v11, v129, v164
	v_fma_f32 v6, v128, v164, -v6
	v_add_f32_e32 v1, v1, v149
	v_add_f32_e32 v127, v127, v154
	s_waitcnt lgkmcnt(4)
	v_mul_f32_e32 v145, v122, v144
	v_mul_f32_e32 v144, v123, v144
	;; [unrolled: 1-line block ×3, first 2 shown]
	v_add_f32_e32 v1, v1, v152
	v_add_f32_e32 v126, v127, v126
	v_mul_f32_e32 v146, v124, v156
	v_fma_f32 v122, v122, v162, -v144
	v_fmac_f32_e32 v145, v123, v162
	v_add_f32_e32 v1, v1, v153
	v_add_f32_e32 v6, v126, v6
	v_fma_f32 v123, v124, v161, -v150
	s_waitcnt lgkmcnt(3)
	v_mul_f32_e32 v128, v130, v158
	v_fmac_f32_e32 v146, v125, v161
	v_add_f32_e32 v1, v1, v11
	v_mul_f32_e32 v11, v131, v158
	v_add_f32_e32 v6, v6, v122
	s_waitcnt vmcnt(14)
	v_mul_f32_e32 v122, v133, v163
	v_mul_f32_e32 v129, v132, v163
	v_add_f32_e32 v1, v1, v145
	v_fma_f32 v11, v130, v160, -v11
	v_add_f32_e32 v6, v6, v123
	v_fmac_f32_e32 v128, v131, v160
	s_waitcnt vmcnt(13) lgkmcnt(2)
	v_mul_f32_e32 v147, v2, v167
	v_add_f32_e32 v1, v1, v146
	v_mul_f32_e32 v123, v3, v167
	v_add_f32_e32 v6, v6, v11
	s_waitcnt vmcnt(4)
	v_fma_f32 v122, v132, v176, -v122
	v_fmac_f32_e32 v129, v133, v176
	v_add_f32_e32 v1, v1, v128
	v_mul_f32_e32 v11, v5, v171
	v_fmac_f32_e32 v147, v3, v175
	v_fma_f32 v2, v2, v175, -v123
	v_add_f32_e32 v3, v6, v122
	v_mul_f32_e32 v148, v4, v171
	v_add_f32_e32 v1, v1, v129
	s_waitcnt lgkmcnt(1)
	v_mul_f32_e32 v6, v135, v172
	v_fma_f32 v4, v4, v165, -v11
	v_add_f32_e32 v2, v3, v2
	v_mul_f32_e32 v149, v134, v172
	v_fmac_f32_e32 v148, v5, v165
	v_add_f32_e32 v1, v1, v147
	v_mul_f32_e32 v3, v137, v159
	v_fma_f32 v5, v134, v10, -v6
	v_add_f32_e32 v2, v2, v4
	v_mul_f32_e32 v151, v136, v159
	v_fmac_f32_e32 v149, v135, v10
	v_add_f32_e32 v1, v1, v148
	s_waitcnt lgkmcnt(0)
	v_mul_f32_e32 v4, v139, v173
	v_add_f32_e32 v2, v2, v5
	v_mul_f32_e32 v152, v138, v173
	v_mul_f32_e32 v5, v141, v143
	v_add_f32_e32 v1, v1, v149
	s_waitcnt vmcnt(2)
	v_fma_f32 v4, v138, v8, -v4
	s_waitcnt vmcnt(1)
	v_fma_f32 v3, v136, v142, -v3
	v_fmac_f32_e32 v151, v137, v142
	v_mul_f32_e32 v127, v140, v143
	v_fmac_f32_e32 v152, v139, v8
	v_add_f32_e32 v2, v2, v3
	v_add_f32_e32 v1, v1, v151
	v_fma_f32 v3, v140, v7, -v5
	v_fmac_f32_e32 v127, v141, v7
	v_add_f32_e32 v2, v2, v4
	v_add_f32_e32 v1, v1, v152
	;; [unrolled: 1-line block ×4, first 2 shown]
	s_waitcnt vmcnt(0)
	v_sub_f32_e32 v2, v170, v2
	v_sub_f32_e32 v1, v169, v1
	buffer_store_dword v2, off, s[0:3], 0 offset:96
	buffer_store_dword v1, off, s[0:3], 0 offset:100
	v_cmpx_lt_u32_e32 11, v0
	s_cbranch_execz .LBB54_321
; %bb.320:
	s_clause 0x1
	buffer_load_dword v1, off, s[0:3], 0 offset:88
	buffer_load_dword v2, off, s[0:3], 0 offset:92
	v_mov_b32_e32 v3, 0
	buffer_store_dword v3, off, s[0:3], 0 offset:88
	buffer_store_dword v3, off, s[0:3], 0 offset:92
	s_waitcnt vmcnt(0)
	ds_write_b64 v9, v[1:2]
.LBB54_321:
	s_or_b32 exec_lo, exec_lo, s4
	s_waitcnt lgkmcnt(0)
	s_waitcnt_vscnt null, 0x0
	s_barrier
	buffer_gl0_inv
	s_clause 0x2c
	buffer_load_dword v158, off, s[0:3], 0 offset:100
	buffer_load_dword v159, off, s[0:3], 0 offset:108
	;; [unrolled: 1-line block ×45, first 2 shown]
	v_mov_b32_e32 v1, 0
	ds_read_b128 v[150:153], v1 offset:544
	ds_read_b128 v[154:157], v1 offset:560
	buffer_load_dword v168, off, s[0:3], 0 offset:92
	s_mov_b32 s4, exec_lo
	s_waitcnt vmcnt(45) lgkmcnt(1)
	v_mul_f32_e32 v166, v151, v158
	v_mul_f32_e32 v158, v150, v158
	s_waitcnt vmcnt(44)
	v_mul_f32_e32 v167, v152, v159
	v_mul_f32_e32 v159, v153, v159
	s_waitcnt vmcnt(41)
	v_fma_f32 v166, v150, v147, -v166
	v_fmac_f32_e32 v158, v151, v147
	v_fmac_f32_e32 v167, v153, v143
	v_fma_f32 v159, v152, v143, -v159
	ds_read_b128 v[150:153], v1 offset:576
	s_waitcnt vmcnt(40) lgkmcnt(1)
	v_mul_f32_e32 v169, v154, v142
	v_mul_f32_e32 v142, v155, v142
	s_waitcnt vmcnt(39)
	v_mul_f32_e32 v170, v156, v140
	v_mul_f32_e32 v140, v157, v140
	v_fmac_f32_e32 v169, v155, v129
	v_fma_f32 v171, v154, v129, -v142
	s_waitcnt vmcnt(35)
	v_fmac_f32_e32 v170, v157, v148
	v_fma_f32 v172, v156, v148, -v140
	ds_read_b128 v[154:157], v1 offset:592
	s_waitcnt vmcnt(34) lgkmcnt(1)
	v_mul_f32_e32 v173, v150, v146
	v_mul_f32_e32 v129, v151, v146
	s_waitcnt vmcnt(33)
	v_mul_f32_e32 v174, v152, v145
	v_mul_f32_e32 v140, v153, v145
	ds_read_b128 v[145:148], v1 offset:608
	v_fmac_f32_e32 v173, v151, v137
	v_fma_f32 v137, v150, v137, -v129
	v_fmac_f32_e32 v174, v153, v132
	v_fma_f32 v175, v152, v132, -v140
	ds_read_b128 v[150:153], v1 offset:624
	s_waitcnt vmcnt(32) lgkmcnt(2)
	v_mul_f32_e32 v176, v154, v136
	v_mul_f32_e32 v129, v155, v136
	s_waitcnt vmcnt(31)
	v_mul_f32_e32 v132, v157, v134
	v_mul_f32_e32 v136, v156, v134
	v_fmac_f32_e32 v176, v155, v8
	v_fma_f32 v8, v154, v8, -v129
	s_waitcnt vmcnt(27)
	v_fma_f32 v154, v156, v144, -v132
	v_fmac_f32_e32 v136, v157, v144
	s_waitcnt vmcnt(26) lgkmcnt(1)
	v_mul_f32_e32 v155, v145, v141
	v_mul_f32_e32 v129, v146, v141
	s_waitcnt vmcnt(25)
	v_mul_f32_e32 v156, v147, v139
	v_mul_f32_e32 v132, v148, v139
	ds_read_b128 v[139:142], v1 offset:640
	v_fmac_f32_e32 v155, v146, v130
	v_fma_f32 v157, v145, v130, -v129
	ds_read_b128 v[143:146], v1 offset:656
	v_fmac_f32_e32 v156, v148, v124
	v_fma_f32 v147, v147, v124, -v132
	s_waitcnt vmcnt(24) lgkmcnt(2)
	v_mul_f32_e32 v148, v150, v128
	v_mul_f32_e32 v124, v151, v128
	s_waitcnt vmcnt(23)
	v_mul_f32_e32 v177, v152, v126
	v_mul_f32_e32 v126, v153, v126
	v_fmac_f32_e32 v148, v151, v4
	v_fma_f32 v150, v150, v4, -v124
	s_waitcnt vmcnt(19)
	v_fmac_f32_e32 v177, v153, v138
	v_fma_f32 v126, v152, v138, -v126
	s_waitcnt vmcnt(18) lgkmcnt(1)
	v_mul_f32_e32 v138, v139, v135
	v_mul_f32_e32 v4, v140, v135
	s_waitcnt vmcnt(17)
	v_mul_f32_e32 v151, v141, v133
	v_mul_f32_e32 v124, v142, v133
	ds_read_b128 v[132:135], v1 offset:672
	v_fmac_f32_e32 v138, v140, v123
	v_fma_f32 v139, v139, v123, -v4
	v_fmac_f32_e32 v151, v142, v10
	v_fma_f32 v10, v141, v10, -v124
	s_waitcnt vmcnt(15) lgkmcnt(1)
	v_mul_f32_e32 v141, v145, v11
	v_mul_f32_e32 v11, v146, v11
	;; [unrolled: 1-line block ×4, first 2 shown]
	s_waitcnt vmcnt(11)
	v_fmac_f32_e32 v141, v146, v131
	v_fma_f32 v11, v145, v131, -v11
	ds_read_b128 v[128:131], v1 offset:688
	v_fmac_f32_e32 v140, v144, v3
	v_fma_f32 v142, v143, v3, -v4
	buffer_load_dword v145, off, s[0:3], 0 offset:284
	s_waitcnt vmcnt(11) lgkmcnt(1)
	v_mul_f32_e32 v143, v132, v127
	v_mul_f32_e32 v3, v133, v127
	s_waitcnt vmcnt(10)
	v_mul_f32_e32 v127, v134, v125
	v_mul_f32_e32 v4, v135, v125
	ds_read_b128 v[122:125], v1 offset:704
	v_fmac_f32_e32 v143, v133, v7
	v_fma_f32 v7, v132, v7, -v3
	v_fmac_f32_e32 v127, v135, v5
	v_fma_f32 v132, v134, v5, -v4
	buffer_load_dword v134, off, s[0:3], 0 offset:276
	s_waitcnt vmcnt(10) lgkmcnt(1)
	v_mul_f32_e32 v133, v128, v6
	v_mul_f32_e32 v3, v129, v6
	s_waitcnt vmcnt(9)
	v_mul_f32_e32 v6, v130, v149
	v_mul_f32_e32 v4, v131, v149
	v_fmac_f32_e32 v133, v129, v2
	v_fma_f32 v128, v128, v2, -v3
	s_waitcnt vmcnt(5)
	v_fmac_f32_e32 v6, v131, v163
	v_fma_f32 v129, v130, v163, -v4
	ds_read_b128 v[2:5], v1 offset:720
	s_waitcnt vmcnt(4) lgkmcnt(1)
	v_mul_f32_e32 v131, v123, v164
	v_mul_f32_e32 v130, v122, v164
	s_waitcnt vmcnt(3)
	v_mul_f32_e32 v135, v124, v165
	v_mul_f32_e32 v144, v125, v165
	v_fma_f32 v131, v122, v162, -v131
	s_clause 0x4
	buffer_load_dword v146, off, s[0:3], 0 offset:304
	buffer_load_dword v149, off, s[0:3], 0 offset:296
	;; [unrolled: 1-line block ×5, first 2 shown]
	v_fmac_f32_e32 v130, v123, v162
	v_fmac_f32_e32 v135, v125, v161
	v_fma_f32 v144, v124, v161, -v144
	s_waitcnt vmcnt(5) lgkmcnt(0)
	v_mul_f32_e32 v161, v2, v134
	v_mul_f32_e32 v123, v3, v134
	v_fmac_f32_e32 v161, v3, v160
	v_fma_f32 v134, v2, v160, -v123
	v_mul_f32_e32 v160, v4, v145
	v_mul_f32_e32 v2, v5, v145
	s_waitcnt vmcnt(1)
	v_fmac_f32_e32 v160, v5, v122
	v_fma_f32 v145, v4, v122, -v2
	ds_read_b128 v[2:5], v1 offset:736
	ds_read_b128 v[122:125], v1 offset:752
	s_waitcnt vmcnt(0) lgkmcnt(1)
	v_mul_f32_e32 v162, v2, v153
	v_mul_f32_e32 v153, v3, v153
	v_fmac_f32_e32 v162, v3, v152
	v_fma_f32 v152, v2, v152, -v153
	buffer_load_dword v2, off, s[0:3], 0 offset:300
	s_waitcnt vmcnt(0)
	v_mul_f32_e32 v153, v4, v2
	v_mul_f32_e32 v2, v5, v2
	v_fmac_f32_e32 v153, v5, v149
	v_fma_f32 v149, v4, v149, -v2
	buffer_load_dword v2, off, s[0:3], 0 offset:308
	s_waitcnt vmcnt(0) lgkmcnt(0)
	v_mul_f32_e32 v163, v122, v2
	v_mul_f32_e32 v2, v123, v2
	v_fmac_f32_e32 v163, v123, v146
	v_fma_f32 v146, v122, v146, -v2
	s_clause 0x4
	buffer_load_dword v2, off, s[0:3], 0 offset:316
	buffer_load_dword v164, off, s[0:3], 0 offset:336
	;; [unrolled: 1-line block ×5, first 2 shown]
	s_waitcnt vmcnt(4)
	v_mul_f32_e32 v179, v124, v2
	v_mul_f32_e32 v2, v125, v2
	s_waitcnt vmcnt(0)
	v_fmac_f32_e32 v179, v125, v3
	v_fma_f32 v180, v124, v3, -v2
	v_add_f32_e32 v2, 0, v166
	v_add_f32_e32 v3, 0, v158
	s_clause 0x1
	buffer_load_dword v158, off, s[0:3], 0 offset:324
	buffer_load_dword v166, off, s[0:3], 0 offset:348
	v_add_f32_e32 v2, v2, v159
	v_add_f32_e32 v3, v3, v167
	buffer_load_dword v159, off, s[0:3], 0 offset:332
	v_add_f32_e32 v2, v2, v171
	v_add_f32_e32 v3, v3, v169
	;; [unrolled: 1-line block ×5, first 2 shown]
	buffer_load_dword v137, off, s[0:3], 0 offset:340
	v_add_f32_e32 v3, v3, v173
	v_add_f32_e32 v2, v2, v175
	;; [unrolled: 1-line block ×4, first 2 shown]
	s_clause 0x3
	buffer_load_dword v8, off, s[0:3], 0 offset:368
	buffer_load_dword v167, off, s[0:3], 0 offset:360
	;; [unrolled: 1-line block ×4, first 2 shown]
	v_add_f32_e32 v3, v3, v176
	v_add_f32_e32 v2, v2, v154
	s_clause 0x1
	buffer_load_dword v154, off, s[0:3], 0 offset:356
	buffer_load_dword v171, off, s[0:3], 0 offset:364
	v_add_f32_e32 v3, v3, v136
	v_add_f32_e32 v2, v2, v157
	buffer_load_dword v157, off, s[0:3], 0 offset:372
	v_add_f32_e32 v3, v3, v155
	v_add_f32_e32 v2, v2, v147
	s_clause 0x3
	buffer_load_dword v147, off, s[0:3], 0 offset:380
	buffer_load_dword v155, off, s[0:3], 0 offset:388
	;; [unrolled: 1-line block ×4, first 2 shown]
	v_add_f32_e32 v3, v3, v156
	v_add_f32_e32 v2, v2, v150
	s_clause 0x1
	buffer_load_dword v150, off, s[0:3], 0 offset:412
	buffer_load_dword v156, off, s[0:3], 0 offset:420
	v_add_f32_e32 v3, v3, v148
	s_clause 0x1
	buffer_load_dword v148, off, s[0:3], 0 offset:428
	buffer_load_dword v174, off, s[0:3], 0 offset:436
	v_add_f32_e32 v2, v2, v126
	v_add_f32_e32 v3, v3, v177
	;; [unrolled: 1-line block ×5, first 2 shown]
	s_clause 0x3
	buffer_load_dword v10, off, s[0:3], 0 offset:400
	buffer_load_dword v138, off, s[0:3], 0 offset:392
	;; [unrolled: 1-line block ×4, first 2 shown]
	v_add_f32_e32 v3, v3, v151
	v_add_f32_e32 v2, v2, v142
	;; [unrolled: 1-line block ×4, first 2 shown]
	s_clause 0x3
	buffer_load_dword v11, off, s[0:3], 0 offset:432
	buffer_load_dword v140, off, s[0:3], 0 offset:424
	;; [unrolled: 1-line block ×4, first 2 shown]
	v_add_f32_e32 v3, v3, v141
	buffer_load_dword v141, off, s[0:3], 0 offset:88
	v_add_f32_e32 v2, v2, v7
	v_add_f32_e32 v3, v3, v143
	;; [unrolled: 1-line block ×4, first 2 shown]
	ds_read_b128 v[2:5], v1 offset:768
	v_add_f32_e32 v7, v7, v128
	v_add_f32_e32 v122, v122, v133
	;; [unrolled: 1-line block ×4, first 2 shown]
	ds_read_b128 v[122:125], v1 offset:784
	v_add_f32_e32 v7, v7, v131
	v_add_f32_e32 v6, v6, v130
	;; [unrolled: 1-line block ×8, first 2 shown]
	s_waitcnt vmcnt(27) lgkmcnt(1)
	v_mul_f32_e32 v143, v2, v158
	v_mul_f32_e32 v126, v3, v158
	v_fmac_f32_e32 v143, v3, v178
	v_add_f32_e32 v3, v7, v134
	s_waitcnt vmcnt(25)
	v_mul_f32_e32 v144, v4, v159
	v_mul_f32_e32 v127, v5, v159
	v_fma_f32 v158, v2, v178, -v126
	v_add_f32_e32 v7, v3, v145
	v_fmac_f32_e32 v144, v5, v165
	v_fma_f32 v159, v4, v165, -v127
	ds_read_b128 v[2:5], v1 offset:800
	ds_read_b128 v[126:129], v1 offset:816
	ds_read_b128 v[130:133], v1 offset:832
	v_add_f32_e32 v7, v7, v152
	s_waitcnt lgkmcnt(3)
	v_mul_f32_e32 v152, v124, v166
	s_waitcnt vmcnt(24)
	v_mul_f32_e32 v134, v123, v137
	v_mul_f32_e32 v145, v122, v137
	v_add_f32_e32 v7, v7, v149
	v_mul_f32_e32 v149, v125, v166
	v_fma_f32 v160, v122, v164, -v134
	v_fmac_f32_e32 v145, v123, v164
	v_add_f32_e32 v7, v7, v146
	ds_read_b128 v[134:137], v1 offset:848
	s_waitcnt vmcnt(20)
	v_fma_f32 v146, v124, v170, -v149
	v_add_f32_e32 v149, v6, v163
	v_add_f32_e32 v153, v7, v180
	v_fmac_f32_e32 v152, v125, v170
	s_waitcnt vmcnt(19) lgkmcnt(3)
	v_mul_f32_e32 v161, v2, v154
	v_mul_f32_e32 v154, v3, v154
	v_add_f32_e32 v149, v149, v179
	v_add_f32_e32 v153, v153, v158
	s_waitcnt vmcnt(18)
	v_mul_f32_e32 v158, v5, v171
	v_mul_f32_e32 v162, v4, v171
	v_fma_f32 v2, v2, v169, -v154
	v_add_f32_e32 v143, v149, v143
	v_add_f32_e32 v153, v153, v159
	v_fmac_f32_e32 v161, v3, v169
	s_waitcnt vmcnt(17) lgkmcnt(2)
	v_mul_f32_e32 v149, v126, v157
	v_mul_f32_e32 v154, v127, v157
	v_add_f32_e32 v143, v143, v144
	v_add_f32_e32 v153, v153, v160
	v_fma_f32 v4, v4, v167, -v158
	v_fmac_f32_e32 v162, v5, v167
	v_fmac_f32_e32 v149, v127, v8
	v_add_f32_e32 v143, v143, v145
	v_add_f32_e32 v146, v153, v146
	v_fma_f32 v8, v126, v8, -v154
	s_waitcnt vmcnt(16)
	v_mul_f32_e32 v159, v128, v147
	ds_read_b128 v[122:125], v1 offset:864
	ds_read_b64 v[6:7], v1 offset:880
	v_add_f32_e32 v143, v143, v152
	v_add_f32_e32 v2, v146, v2
	s_waitcnt vmcnt(15) lgkmcnt(3)
	v_mul_f32_e32 v163, v130, v155
	s_waitcnt vmcnt(14)
	v_mul_f32_e32 v144, v132, v172
	s_waitcnt vmcnt(13) lgkmcnt(2)
	v_mul_f32_e32 v160, v134, v173
	v_add_f32_e32 v5, v143, v161
	v_mul_f32_e32 v143, v129, v147
	v_add_f32_e32 v2, v2, v4
	s_waitcnt vmcnt(6)
	v_fmac_f32_e32 v163, v131, v139
	s_waitcnt vmcnt(5)
	v_fmac_f32_e32 v159, v129, v175
	v_add_f32_e32 v4, v5, v162
	v_mul_f32_e32 v5, v131, v155
	v_fma_f32 v126, v128, v175, -v143
	v_add_f32_e32 v2, v2, v8
	v_mul_f32_e32 v8, v133, v172
	v_add_f32_e32 v4, v4, v149
	v_fma_f32 v5, v130, v139, -v5
	v_fmac_f32_e32 v144, v133, v138
	v_add_f32_e32 v2, v2, v126
	v_mul_f32_e32 v126, v135, v173
	v_add_f32_e32 v4, v4, v159
	v_fma_f32 v8, v132, v138, -v8
	v_fmac_f32_e32 v160, v135, v10
	v_add_f32_e32 v2, v2, v5
	v_mul_f32_e32 v5, v137, v150
	v_add_f32_e32 v4, v4, v163
	v_fma_f32 v10, v134, v10, -v126
	v_mul_f32_e32 v3, v136, v150
	v_add_f32_e32 v2, v2, v8
	s_waitcnt lgkmcnt(1)
	v_mul_f32_e32 v8, v123, v156
	v_add_f32_e32 v4, v4, v144
	s_waitcnt vmcnt(1)
	v_fma_f32 v5, v136, v151, -v5
	v_mul_f32_e32 v145, v122, v156
	v_add_f32_e32 v2, v2, v10
	v_fmac_f32_e32 v3, v137, v151
	v_add_f32_e32 v4, v4, v160
	v_mul_f32_e32 v10, v125, v148
	v_fma_f32 v8, v122, v142, -v8
	v_add_f32_e32 v2, v2, v5
	v_mul_f32_e32 v153, v124, v148
	v_fmac_f32_e32 v145, v123, v142
	v_add_f32_e32 v3, v4, v3
	s_waitcnt lgkmcnt(0)
	v_mul_f32_e32 v4, v7, v174
	v_fma_f32 v5, v124, v140, -v10
	v_add_f32_e32 v2, v2, v8
	v_mul_f32_e32 v152, v6, v174
	v_fmac_f32_e32 v153, v125, v140
	v_add_f32_e32 v3, v3, v145
	v_fma_f32 v4, v6, v11, -v4
	v_add_f32_e32 v2, v2, v5
	v_fmac_f32_e32 v152, v7, v11
	v_add_f32_e32 v3, v3, v153
	v_add_f32_e32 v2, v2, v4
	;; [unrolled: 1-line block ×3, first 2 shown]
	s_waitcnt vmcnt(0)
	v_sub_f32_e32 v2, v141, v2
	v_sub_f32_e32 v3, v168, v3
	buffer_store_dword v2, off, s[0:3], 0 offset:88
	buffer_store_dword v3, off, s[0:3], 0 offset:92
	v_cmpx_lt_u32_e32 10, v0
	s_cbranch_execz .LBB54_323
; %bb.322:
	s_clause 0x1
	buffer_load_dword v2, off, s[0:3], 0 offset:80
	buffer_load_dword v3, off, s[0:3], 0 offset:84
	buffer_store_dword v1, off, s[0:3], 0 offset:80
	buffer_store_dword v1, off, s[0:3], 0 offset:84
	s_waitcnt vmcnt(0)
	ds_write_b64 v9, v[2:3]
.LBB54_323:
	s_or_b32 exec_lo, exec_lo, s4
	s_waitcnt lgkmcnt(0)
	s_waitcnt_vscnt null, 0x0
	s_barrier
	buffer_gl0_inv
	s_clause 0x2c
	buffer_load_dword v158, off, s[0:3], 0 offset:92
	buffer_load_dword v159, off, s[0:3], 0 offset:100
	;; [unrolled: 1-line block ×45, first 2 shown]
	ds_read2_b64 v[150:153], v1 offset0:67 offset1:68
	ds_read2_b64 v[154:157], v1 offset0:69 offset1:70
	buffer_load_dword v168, off, s[0:3], 0 offset:84
	s_mov_b32 s4, exec_lo
	s_waitcnt vmcnt(45) lgkmcnt(1)
	v_mul_f32_e32 v166, v151, v158
	v_mul_f32_e32 v158, v150, v158
	s_waitcnt vmcnt(44)
	v_mul_f32_e32 v167, v152, v159
	v_mul_f32_e32 v159, v153, v159
	s_waitcnt vmcnt(41)
	v_fma_f32 v166, v150, v148, -v166
	v_fmac_f32_e32 v158, v151, v148
	v_fmac_f32_e32 v167, v153, v144
	v_fma_f32 v159, v152, v144, -v159
	ds_read2_b64 v[150:153], v1 offset0:71 offset1:72
	s_waitcnt vmcnt(40) lgkmcnt(1)
	v_mul_f32_e32 v169, v154, v143
	v_mul_f32_e32 v143, v155, v143
	s_waitcnt vmcnt(39)
	v_mul_f32_e32 v170, v156, v141
	v_mul_f32_e32 v141, v157, v141
	v_fmac_f32_e32 v169, v155, v130
	v_fma_f32 v130, v154, v130, -v143
	s_waitcnt vmcnt(35)
	v_fmac_f32_e32 v170, v157, v149
	v_fma_f32 v171, v156, v149, -v141
	ds_read2_b64 v[154:157], v1 offset0:73 offset1:74
	s_waitcnt vmcnt(34) lgkmcnt(1)
	v_mul_f32_e32 v172, v150, v147
	v_mul_f32_e32 v141, v151, v147
	s_waitcnt vmcnt(33)
	v_mul_f32_e32 v173, v152, v146
	v_mul_f32_e32 v143, v153, v146
	ds_read2_b64 v[146:149], v1 offset0:75 offset1:76
	v_fmac_f32_e32 v172, v151, v138
	v_fma_f32 v138, v150, v138, -v141
	v_fmac_f32_e32 v173, v153, v133
	v_fma_f32 v174, v152, v133, -v143
	ds_read2_b64 v[150:153], v1 offset0:77 offset1:78
	s_waitcnt vmcnt(32) lgkmcnt(2)
	v_mul_f32_e32 v175, v154, v137
	v_mul_f32_e32 v133, v155, v137
	s_waitcnt vmcnt(31)
	v_mul_f32_e32 v137, v156, v135
	v_mul_f32_e32 v135, v157, v135
	v_fmac_f32_e32 v175, v155, v10
	v_fma_f32 v10, v154, v10, -v133
	s_waitcnt vmcnt(27)
	v_fmac_f32_e32 v137, v157, v145
	v_fma_f32 v154, v156, v145, -v135
	s_waitcnt vmcnt(26) lgkmcnt(1)
	v_mul_f32_e32 v155, v146, v142
	v_mul_f32_e32 v133, v147, v142
	s_waitcnt vmcnt(25)
	v_mul_f32_e32 v156, v148, v140
	v_mul_f32_e32 v135, v149, v140
	ds_read2_b64 v[140:143], v1 offset0:79 offset1:80
	v_fmac_f32_e32 v155, v147, v131
	v_fma_f32 v131, v146, v131, -v133
	ds_read2_b64 v[144:147], v1 offset0:81 offset1:82
	v_fmac_f32_e32 v156, v149, v125
	v_fma_f32 v148, v148, v125, -v135
	s_waitcnt vmcnt(24) lgkmcnt(2)
	v_mul_f32_e32 v149, v150, v129
	v_mul_f32_e32 v125, v151, v129
	s_waitcnt vmcnt(23)
	v_mul_f32_e32 v157, v152, v127
	v_mul_f32_e32 v127, v153, v127
	v_fmac_f32_e32 v149, v151, v4
	v_fma_f32 v150, v150, v4, -v125
	s_waitcnt vmcnt(19)
	v_fmac_f32_e32 v157, v153, v139
	v_fma_f32 v139, v152, v139, -v127
	s_waitcnt vmcnt(18) lgkmcnt(1)
	v_mul_f32_e32 v151, v140, v136
	v_mul_f32_e32 v4, v141, v136
	s_waitcnt vmcnt(17)
	v_mul_f32_e32 v152, v142, v134
	v_mul_f32_e32 v125, v143, v134
	ds_read2_b64 v[133:136], v1 offset0:83 offset1:84
	v_fmac_f32_e32 v151, v141, v124
	v_fma_f32 v140, v140, v124, -v4
	v_fmac_f32_e32 v152, v143, v11
	v_fma_f32 v11, v142, v11, -v125
	s_waitcnt vmcnt(15) lgkmcnt(1)
	v_mul_f32_e32 v142, v146, v122
	v_mul_f32_e32 v122, v147, v122
	;; [unrolled: 1-line block ×4, first 2 shown]
	s_waitcnt vmcnt(11)
	v_fmac_f32_e32 v142, v147, v132
	v_fma_f32 v132, v146, v132, -v122
	ds_read2_b64 v[122:125], v1 offset0:85 offset1:86
	v_fmac_f32_e32 v141, v145, v3
	v_fma_f32 v143, v144, v3, -v4
	s_waitcnt vmcnt(10) lgkmcnt(1)
	v_mul_f32_e32 v144, v133, v128
	v_mul_f32_e32 v3, v134, v128
	s_waitcnt vmcnt(9)
	v_mul_f32_e32 v145, v135, v126
	v_mul_f32_e32 v4, v136, v126
	ds_read2_b64 v[126:129], v1 offset0:87 offset1:88
	v_fmac_f32_e32 v144, v134, v8
	v_fma_f32 v8, v133, v8, -v3
	v_fmac_f32_e32 v145, v136, v5
	v_fma_f32 v133, v135, v5, -v4
	s_waitcnt vmcnt(8) lgkmcnt(1)
	v_mul_f32_e32 v134, v122, v7
	v_mul_f32_e32 v3, v123, v7
	s_waitcnt vmcnt(7)
	v_mul_f32_e32 v7, v124, v6
	v_mul_f32_e32 v4, v125, v6
	buffer_load_dword v6, off, s[0:3], 0 offset:268
	v_fmac_f32_e32 v134, v123, v2
	v_fma_f32 v135, v122, v2, -v3
	s_waitcnt vmcnt(4)
	v_fmac_f32_e32 v7, v125, v163
	v_fma_f32 v136, v124, v163, -v4
	buffer_load_dword v124, off, s[0:3], 0 offset:276
	ds_read2_b64 v[2:5], v1 offset0:89 offset1:90
	s_waitcnt vmcnt(4) lgkmcnt(1)
	v_mul_f32_e32 v146, v126, v164
	v_mul_f32_e32 v122, v127, v164
	s_waitcnt vmcnt(3)
	v_mul_f32_e32 v147, v128, v165
	v_mul_f32_e32 v123, v129, v165
	v_fmac_f32_e32 v146, v127, v162
	v_fma_f32 v126, v126, v162, -v122
	v_fmac_f32_e32 v147, v129, v161
	v_fma_f32 v127, v128, v161, -v123
	s_clause 0x4
	buffer_load_dword v128, off, s[0:3], 0 offset:296
	buffer_load_dword v129, off, s[0:3], 0 offset:288
	;; [unrolled: 1-line block ×5, first 2 shown]
	s_waitcnt vmcnt(6) lgkmcnt(0)
	v_mul_f32_e32 v162, v2, v6
	v_mul_f32_e32 v6, v3, v6
	v_fmac_f32_e32 v162, v3, v160
	v_fma_f32 v6, v2, v160, -v6
	s_waitcnt vmcnt(5)
	v_mul_f32_e32 v160, v4, v124
	v_mul_f32_e32 v2, v5, v124
	s_waitcnt vmcnt(1)
	v_fmac_f32_e32 v160, v5, v122
	v_fma_f32 v163, v4, v122, -v2
	ds_read2_b64 v[2:5], v1 offset0:91 offset1:92
	ds_read2_b64 v[122:125], v1 offset0:93 offset1:94
	s_waitcnt vmcnt(0) lgkmcnt(1)
	v_mul_f32_e32 v164, v2, v161
	v_mul_f32_e32 v161, v3, v161
	v_fmac_f32_e32 v164, v3, v153
	v_fma_f32 v153, v2, v153, -v161
	s_clause 0x1
	buffer_load_dword v2, off, s[0:3], 0 offset:292
	buffer_load_dword v3, off, s[0:3], 0 offset:300
	s_waitcnt vmcnt(1)
	v_mul_f32_e32 v161, v4, v2
	v_mul_f32_e32 v2, v5, v2
	v_fmac_f32_e32 v161, v5, v129
	v_fma_f32 v165, v4, v129, -v2
	v_add_f32_e32 v2, 0, v166
	buffer_load_dword v5, off, s[0:3], 0 offset:308
	v_add_f32_e32 v4, 0, v158
	v_add_f32_e32 v2, v2, v159
	;; [unrolled: 1-line block ×4, first 2 shown]
	s_clause 0x3
	buffer_load_dword v130, off, s[0:3], 0 offset:328
	buffer_load_dword v129, off, s[0:3], 0 offset:320
	;; [unrolled: 1-line block ×4, first 2 shown]
	v_add_f32_e32 v4, v4, v169
	s_clause 0x1
	buffer_load_dword v166, off, s[0:3], 0 offset:324
	buffer_load_dword v167, off, s[0:3], 0 offset:332
	v_add_f32_e32 v2, v2, v171
	s_waitcnt vmcnt(7) lgkmcnt(0)
	v_mul_f32_e32 v169, v122, v3
	v_add_f32_e32 v4, v4, v170
	v_mul_f32_e32 v3, v123, v3
	v_add_f32_e32 v2, v2, v138
	buffer_load_dword v138, off, s[0:3], 0 offset:316
	v_add_f32_e32 v4, v4, v172
	v_fma_f32 v170, v122, v128, -v3
	v_fmac_f32_e32 v169, v123, v128
	v_add_f32_e32 v2, v2, v174
	v_add_f32_e32 v4, v4, v173
	;; [unrolled: 1-line block ×3, first 2 shown]
	buffer_load_dword v10, off, s[0:3], 0 offset:340
	v_add_f32_e32 v4, v4, v175
	v_add_f32_e32 v2, v2, v154
	;; [unrolled: 1-line block ×3, first 2 shown]
	s_clause 0x5
	buffer_load_dword v154, off, s[0:3], 0 offset:360
	buffer_load_dword v171, off, s[0:3], 0 offset:352
	;; [unrolled: 1-line block ×6, first 2 shown]
	v_add_f32_e32 v2, v2, v131
	v_add_f32_e32 v3, v3, v155
	;; [unrolled: 1-line block ×4, first 2 shown]
	s_clause 0x1
	buffer_load_dword v148, off, s[0:3], 0 offset:356
	buffer_load_dword v156, off, s[0:3], 0 offset:364
	v_add_f32_e32 v2, v2, v150
	v_add_f32_e32 v3, v3, v149
	s_clause 0x2
	buffer_load_dword v149, off, s[0:3], 0 offset:380
	buffer_load_dword v150, off, s[0:3], 0 offset:388
	buffer_load_dword v175, off, s[0:3], 0 offset:396
	v_add_f32_e32 v2, v2, v139
	v_add_f32_e32 v3, v3, v157
	s_clause 0x3
	buffer_load_dword v157, off, s[0:3], 0 offset:404
	buffer_load_dword v176, off, s[0:3], 0 offset:412
	buffer_load_dword v177, off, s[0:3], 0 offset:420
	buffer_load_dword v178, off, s[0:3], 0 offset:428
	v_add_f32_e32 v2, v2, v140
	v_add_f32_e32 v3, v3, v151
	buffer_load_dword v151, off, s[0:3], 0 offset:436
	v_add_f32_e32 v2, v2, v11
	v_add_f32_e32 v3, v3, v152
	s_clause 0x3
	buffer_load_dword v11, off, s[0:3], 0 offset:392
	buffer_load_dword v152, off, s[0:3], 0 offset:384
	;; [unrolled: 1-line block ×4, first 2 shown]
	v_add_f32_e32 v2, v2, v143
	v_add_f32_e32 v3, v3, v141
	v_add_f32_e32 v2, v2, v132
	v_add_f32_e32 v3, v3, v142
	s_clause 0x3
	buffer_load_dword v142, off, s[0:3], 0 offset:424
	buffer_load_dword v143, off, s[0:3], 0 offset:416
	;; [unrolled: 1-line block ×4, first 2 shown]
	v_add_f32_e32 v2, v2, v8
	buffer_load_dword v8, off, s[0:3], 0 offset:432
	v_add_f32_e32 v3, v3, v144
	buffer_load_dword v144, off, s[0:3], 0 offset:80
	v_add_f32_e32 v2, v2, v133
	v_add_f32_e32 v3, v3, v145
	;; [unrolled: 1-line block ×20, first 2 shown]
	s_waitcnt vmcnt(34)
	v_mul_f32_e32 v155, v124, v5
	v_mul_f32_e32 v4, v125, v5
	s_waitcnt vmcnt(30)
	v_fmac_f32_e32 v155, v125, v159
	v_fma_f32 v159, v124, v159, -v4
	ds_read2_b64 v[2:5], v1 offset0:95 offset1:96
	ds_read2_b64 v[122:125], v1 offset0:97 offset1:98
	v_add_f32_e32 v7, v7, v155
	v_add_f32_e32 v6, v6, v159
	s_waitcnt vmcnt(27) lgkmcnt(1)
	v_mul_f32_e32 v145, v2, v138
	v_mul_f32_e32 v127, v3, v138
	;; [unrolled: 1-line block ×4, first 2 shown]
	s_waitcnt lgkmcnt(0)
	v_mul_f32_e32 v131, v123, v167
	v_fmac_f32_e32 v145, v3, v158
	v_fma_f32 v138, v2, v158, -v127
	v_fmac_f32_e32 v146, v5, v129
	v_fma_f32 v147, v4, v129, -v128
	ds_read2_b64 v[2:5], v1 offset0:99 offset1:100
	ds_read2_b64 v[126:129], v1 offset0:101 offset1:102
	v_mul_f32_e32 v158, v122, v167
	s_waitcnt vmcnt(26)
	v_mul_f32_e32 v153, v124, v10
	v_mul_f32_e32 v10, v125, v10
	v_fma_f32 v160, v122, v130, -v131
	v_fmac_f32_e32 v158, v123, v130
	s_waitcnt vmcnt(22)
	v_fmac_f32_e32 v153, v125, v137
	v_fma_f32 v10, v124, v137, -v10
	ds_read2_b64 v[122:125], v1 offset0:103 offset1:104
	ds_read2_b64 v[130:133], v1 offset0:105 offset1:106
	ds_read2_b64 v[134:137], v1 offset0:107 offset1:108
	s_waitcnt vmcnt(21) lgkmcnt(4)
	v_mul_f32_e32 v161, v2, v173
	v_mul_f32_e32 v139, v3, v173
	v_fmac_f32_e32 v161, v3, v172
	v_add_f32_e32 v3, v6, v138
	v_fma_f32 v2, v2, v172, -v139
	ds_read2_b64 v[138:141], v1 offset0:109 offset1:110
	v_add_f32_e32 v1, v7, v145
	s_waitcnt vmcnt(19)
	v_mul_f32_e32 v7, v5, v148
	v_add_f32_e32 v3, v3, v147
	v_mul_f32_e32 v6, v4, v148
	s_waitcnt vmcnt(18) lgkmcnt(4)
	v_mul_f32_e32 v147, v127, v156
	v_add_f32_e32 v1, v1, v146
	v_fma_f32 v4, v4, v171, -v7
	v_add_f32_e32 v3, v3, v160
	v_mul_f32_e32 v145, v126, v156
	v_fmac_f32_e32 v6, v5, v171
	v_add_f32_e32 v1, v1, v158
	v_fma_f32 v126, v126, v154, -v147
	v_add_f32_e32 v3, v3, v10
	v_mul_f32_e32 v10, v129, v174
	v_mul_f32_e32 v146, v128, v174
	v_add_f32_e32 v1, v1, v153
	v_fmac_f32_e32 v145, v127, v154
	v_add_f32_e32 v2, v3, v2
	s_waitcnt vmcnt(17) lgkmcnt(3)
	v_mul_f32_e32 v5, v122, v149
	s_waitcnt vmcnt(6)
	v_fmac_f32_e32 v146, v129, v180
	v_add_f32_e32 v1, v1, v161
	v_mul_f32_e32 v7, v124, v150
	v_add_f32_e32 v2, v2, v4
	v_mul_f32_e32 v4, v123, v149
	v_fmac_f32_e32 v5, v123, v179
	v_add_f32_e32 v1, v1, v6
	v_fma_f32 v6, v128, v180, -v10
	v_add_f32_e32 v2, v2, v126
	v_mul_f32_e32 v10, v125, v150
	v_fma_f32 v4, v122, v179, -v4
	v_add_f32_e32 v1, v1, v145
	s_waitcnt lgkmcnt(2)
	v_mul_f32_e32 v148, v130, v175
	v_add_f32_e32 v2, v2, v6
	v_mul_f32_e32 v6, v131, v175
	v_fma_f32 v10, v124, v152, -v10
	v_add_f32_e32 v1, v1, v146
	v_fmac_f32_e32 v7, v125, v152
	v_add_f32_e32 v2, v2, v4
	v_mul_f32_e32 v4, v133, v157
	v_mul_f32_e32 v155, v132, v157
	v_add_f32_e32 v1, v1, v5
	v_fma_f32 v5, v130, v11, -v6
	v_add_f32_e32 v2, v2, v10
	v_fmac_f32_e32 v148, v131, v11
	s_waitcnt lgkmcnt(1)
	v_mul_f32_e32 v6, v135, v176
	v_add_f32_e32 v1, v1, v7
	s_waitcnt vmcnt(2)
	v_fma_f32 v4, v132, v182, -v4
	v_add_f32_e32 v2, v2, v5
	v_mul_f32_e32 v156, v134, v176
	v_fmac_f32_e32 v155, v133, v182
	v_add_f32_e32 v1, v1, v148
	v_mul_f32_e32 v5, v137, v177
	v_fma_f32 v6, v134, v181, -v6
	v_add_f32_e32 v2, v2, v4
	v_mul_f32_e32 v153, v136, v177
	v_fmac_f32_e32 v156, v135, v181
	v_add_f32_e32 v1, v1, v155
	s_waitcnt lgkmcnt(0)
	v_mul_f32_e32 v4, v139, v178
	v_fma_f32 v5, v136, v143, -v5
	v_add_f32_e32 v2, v2, v6
	v_mul_f32_e32 v158, v138, v178
	v_fmac_f32_e32 v153, v137, v143
	v_add_f32_e32 v1, v1, v156
	v_mul_f32_e32 v6, v141, v151
	v_fma_f32 v4, v138, v142, -v4
	v_add_f32_e32 v2, v2, v5
	v_mul_f32_e32 v3, v140, v151
	v_fmac_f32_e32 v158, v139, v142
	v_add_f32_e32 v1, v1, v153
	s_waitcnt vmcnt(1)
	v_fma_f32 v5, v140, v8, -v6
	v_add_f32_e32 v2, v2, v4
	v_fmac_f32_e32 v3, v141, v8
	v_add_f32_e32 v1, v1, v158
	v_add_f32_e32 v2, v2, v5
	;; [unrolled: 1-line block ×3, first 2 shown]
	s_waitcnt vmcnt(0)
	v_sub_f32_e32 v2, v144, v2
	v_sub_f32_e32 v1, v168, v1
	buffer_store_dword v2, off, s[0:3], 0 offset:80
	buffer_store_dword v1, off, s[0:3], 0 offset:84
	v_cmpx_lt_u32_e32 9, v0
	s_cbranch_execz .LBB54_325
; %bb.324:
	s_clause 0x1
	buffer_load_dword v1, off, s[0:3], 0 offset:72
	buffer_load_dword v2, off, s[0:3], 0 offset:76
	v_mov_b32_e32 v3, 0
	buffer_store_dword v3, off, s[0:3], 0 offset:72
	buffer_store_dword v3, off, s[0:3], 0 offset:76
	s_waitcnt vmcnt(0)
	ds_write_b64 v9, v[1:2]
.LBB54_325:
	s_or_b32 exec_lo, exec_lo, s4
	s_waitcnt lgkmcnt(0)
	s_waitcnt_vscnt null, 0x0
	s_barrier
	buffer_gl0_inv
	s_clause 0x2c
	buffer_load_dword v150, off, s[0:3], 0 offset:84
	buffer_load_dword v151, off, s[0:3], 0 offset:92
	;; [unrolled: 1-line block ×45, first 2 shown]
	v_mov_b32_e32 v1, 0
	ds_read_b128 v[156:159], v1 offset:528
	ds_read_b128 v[160:163], v1 offset:544
	buffer_load_dword v168, off, s[0:3], 0 offset:76
	s_mov_b32 s4, exec_lo
	s_waitcnt vmcnt(45) lgkmcnt(1)
	v_mul_f32_e32 v154, v156, v150
	v_mul_f32_e32 v167, v157, v150
	s_waitcnt vmcnt(44)
	v_mul_f32_e32 v150, v158, v151
	v_mul_f32_e32 v151, v159, v151
	s_waitcnt vmcnt(41)
	v_fmac_f32_e32 v154, v157, v11
	v_fma_f32 v11, v156, v11, -v167
	v_fmac_f32_e32 v150, v159, v7
	v_fma_f32 v151, v158, v7, -v151
	ds_read_b128 v[156:159], v1 offset:560
	s_waitcnt vmcnt(40) lgkmcnt(1)
	v_mul_f32_e32 v167, v160, v4
	s_waitcnt vmcnt(39)
	v_mul_f32_e32 v169, v162, v5
	v_mul_f32_e32 v4, v161, v4
	;; [unrolled: 1-line block ×3, first 2 shown]
	v_fmac_f32_e32 v167, v161, v2
	s_waitcnt vmcnt(35)
	v_fmac_f32_e32 v169, v163, v124
	v_fma_f32 v170, v160, v2, -v4
	v_fma_f32 v171, v162, v124, -v5
	ds_read_b128 v[160:163], v1 offset:576
	s_waitcnt vmcnt(34) lgkmcnt(1)
	v_mul_f32_e32 v172, v156, v123
	v_mul_f32_e32 v2, v157, v123
	s_waitcnt vmcnt(33)
	v_mul_f32_e32 v173, v158, v122
	v_mul_f32_e32 v4, v159, v122
	v_fmac_f32_e32 v172, v157, v10
	v_fma_f32 v10, v156, v10, -v2
	v_fmac_f32_e32 v173, v159, v6
	v_fma_f32 v156, v158, v6, -v4
	ds_read_b128 v[4:7], v1 offset:592
	s_waitcnt vmcnt(32) lgkmcnt(1)
	v_mul_f32_e32 v157, v160, v8
	v_mul_f32_e32 v2, v161, v8
	s_waitcnt vmcnt(31)
	v_mul_f32_e32 v8, v162, v125
	v_mul_f32_e32 v122, v163, v125
	v_fmac_f32_e32 v157, v161, v3
	v_fma_f32 v158, v160, v3, -v2
	s_waitcnt vmcnt(27)
	v_fmac_f32_e32 v8, v163, v133
	v_fma_f32 v133, v162, v133, -v122
	ds_read_b128 v[122:125], v1 offset:608
	buffer_load_dword v163, off, s[0:3], 0 offset:268
	s_waitcnt vmcnt(27) lgkmcnt(1)
	v_mul_f32_e32 v159, v4, v131
	v_mul_f32_e32 v2, v5, v131
	s_waitcnt vmcnt(26)
	v_mul_f32_e32 v3, v7, v130
	v_mul_f32_e32 v131, v6, v130
	v_fmac_f32_e32 v159, v5, v129
	v_fma_f32 v129, v4, v129, -v2
	v_fma_f32 v6, v6, v127, -v3
	ds_read_b128 v[2:5], v1 offset:624
	v_fmac_f32_e32 v131, v7, v127
	s_waitcnt vmcnt(25) lgkmcnt(1)
	v_mul_f32_e32 v7, v122, v128
	v_mul_f32_e32 v127, v123, v128
	s_waitcnt vmcnt(24)
	v_mul_f32_e32 v128, v124, v132
	v_mul_f32_e32 v130, v125, v132
	v_fmac_f32_e32 v7, v123, v126
	v_fma_f32 v126, v122, v126, -v127
	s_waitcnt vmcnt(20)
	v_fmac_f32_e32 v128, v125, v141
	v_fma_f32 v127, v124, v141, -v130
	ds_read_b128 v[122:125], v1 offset:640
	s_waitcnt vmcnt(19) lgkmcnt(1)
	v_mul_f32_e32 v130, v2, v139
	v_mul_f32_e32 v132, v3, v139
	s_waitcnt vmcnt(18)
	v_mul_f32_e32 v139, v4, v138
	v_mul_f32_e32 v138, v5, v138
	v_fmac_f32_e32 v130, v3, v137
	v_fma_f32 v132, v2, v137, -v132
	v_fmac_f32_e32 v139, v5, v135
	v_fma_f32 v135, v4, v135, -v138
	ds_read_b128 v[2:5], v1 offset:656
	s_waitcnt vmcnt(17) lgkmcnt(1)
	v_mul_f32_e32 v137, v122, v136
	v_mul_f32_e32 v136, v123, v136
	s_waitcnt vmcnt(16)
	v_mul_f32_e32 v138, v124, v140
	v_mul_f32_e32 v140, v125, v140
	v_fmac_f32_e32 v137, v123, v134
	v_fma_f32 v134, v122, v134, -v136
	s_waitcnt vmcnt(12)
	v_fmac_f32_e32 v138, v125, v149
	v_fma_f32 v136, v124, v149, -v140
	ds_read_b128 v[122:125], v1 offset:672
	s_waitcnt vmcnt(11) lgkmcnt(1)
	v_mul_f32_e32 v140, v2, v147
	v_mul_f32_e32 v141, v3, v147
	s_waitcnt vmcnt(10)
	v_mul_f32_e32 v147, v4, v146
	v_mul_f32_e32 v146, v5, v146
	v_fmac_f32_e32 v140, v3, v145
	v_fma_f32 v141, v2, v145, -v141
	buffer_load_dword v145, off, s[0:3], 0 offset:260
	v_fmac_f32_e32 v147, v5, v143
	v_fma_f32 v143, v4, v143, -v146
	ds_read_b128 v[2:5], v1 offset:688
	s_waitcnt vmcnt(10) lgkmcnt(1)
	v_mul_f32_e32 v146, v122, v144
	v_mul_f32_e32 v144, v123, v144
	s_waitcnt vmcnt(9)
	v_mul_f32_e32 v149, v124, v148
	v_mul_f32_e32 v148, v125, v148
	v_fmac_f32_e32 v146, v123, v142
	v_fma_f32 v142, v122, v142, -v144
	s_waitcnt vmcnt(5)
	v_fmac_f32_e32 v149, v125, v164
	v_fma_f32 v144, v124, v164, -v148
	ds_read_b128 v[122:125], v1 offset:704
	s_waitcnt vmcnt(4) lgkmcnt(1)
	v_mul_f32_e32 v148, v2, v165
	v_mul_f32_e32 v160, v3, v165
	s_waitcnt vmcnt(3)
	v_mul_f32_e32 v161, v4, v166
	v_mul_f32_e32 v162, v5, v166
	v_fmac_f32_e32 v148, v3, v155
	v_fma_f32 v155, v2, v155, -v160
	v_fmac_f32_e32 v161, v5, v153
	v_fma_f32 v153, v4, v153, -v162
	s_clause 0x5
	buffer_load_dword v160, off, s[0:3], 0 offset:288
	buffer_load_dword v162, off, s[0:3], 0 offset:280
	;; [unrolled: 1-line block ×6, first 2 shown]
	v_add_f32_e32 v2, 0, v154
	v_add_f32_e32 v3, 0, v11
	buffer_load_dword v11, off, s[0:3], 0 offset:292
	v_add_f32_e32 v2, v2, v150
	buffer_load_dword v150, off, s[0:3], 0 offset:300
	v_add_f32_e32 v3, v3, v151
	v_add_f32_e32 v2, v2, v167
	;; [unrolled: 1-line block ×4, first 2 shown]
	s_clause 0x4
	buffer_load_dword v151, off, s[0:3], 0 offset:320
	buffer_load_dword v154, off, s[0:3], 0 offset:312
	;; [unrolled: 1-line block ×5, first 2 shown]
	v_add_f32_e32 v3, v3, v171
	v_add_f32_e32 v2, v2, v172
	v_add_f32_e32 v3, v3, v10
	v_add_f32_e32 v2, v2, v173
	s_waitcnt vmcnt(13) lgkmcnt(0)
	v_mul_f32_e32 v10, v122, v145
	v_mul_f32_e32 v4, v123, v145
	v_fmac_f32_e32 v10, v123, v152
	v_fma_f32 v145, v122, v152, -v4
	buffer_load_dword v152, off, s[0:3], 0 offset:316
	v_add_f32_e32 v122, v3, v156
	v_add_f32_e32 v123, v2, v157
	ds_read_b128 v[2:5], v1 offset:720
	v_mul_f32_e32 v156, v124, v163
	buffer_load_dword v157, off, s[0:3], 0 offset:332
	v_add_f32_e32 v122, v122, v158
	v_add_f32_e32 v8, v123, v8
	v_mul_f32_e32 v123, v125, v163
	v_add_f32_e32 v122, v122, v133
	v_add_f32_e32 v8, v8, v159
	buffer_load_dword v133, off, s[0:3], 0 offset:324
	v_add_f32_e32 v129, v122, v129
	v_add_f32_e32 v8, v8, v131
	v_add_f32_e32 v6, v129, v6
	v_add_f32_e32 v7, v8, v7
	s_waitcnt vmcnt(12)
	v_fmac_f32_e32 v156, v125, v165
	v_fma_f32 v158, v124, v165, -v123
	ds_read_b128 v[122:125], v1 offset:736
	s_waitcnt vmcnt(11) lgkmcnt(1)
	v_mul_f32_e32 v159, v3, v166
	v_mul_f32_e32 v131, v2, v166
	s_clause 0x3
	buffer_load_dword v8, off, s[0:3], 0 offset:352
	buffer_load_dword v163, off, s[0:3], 0 offset:344
	buffer_load_dword v165, off, s[0:3], 0 offset:336
	buffer_load_dword v166, off, s[0:3], 0 offset:328
	v_fma_f32 v129, v2, v164, -v159
	v_add_f32_e32 v2, v6, v126
	s_clause 0x1
	buffer_load_dword v6, off, s[0:3], 0 offset:340
	buffer_load_dword v159, off, s[0:3], 0 offset:348
	v_fmac_f32_e32 v131, v3, v164
	v_add_f32_e32 v3, v7, v128
	s_waitcnt vmcnt(16)
	v_mul_f32_e32 v7, v4, v174
	v_mul_f32_e32 v126, v5, v174
	v_add_f32_e32 v2, v2, v127
	buffer_load_dword v164, off, s[0:3], 0 offset:356
	v_add_f32_e32 v3, v3, v130
	v_fmac_f32_e32 v7, v5, v162
	v_fma_f32 v162, v4, v162, -v126
	v_add_f32_e32 v126, v2, v132
	s_clause 0x3
	buffer_load_dword v171, off, s[0:3], 0 offset:364
	buffer_load_dword v172, off, s[0:3], 0 offset:372
	;; [unrolled: 1-line block ×4, first 2 shown]
	v_add_f32_e32 v127, v3, v139
	ds_read_b128 v[2:5], v1 offset:752
	s_waitcnt vmcnt(19) lgkmcnt(1)
	v_mul_f32_e32 v128, v125, v150
	v_add_f32_e32 v126, v126, v135
	v_mul_f32_e32 v135, v122, v11
	v_mul_f32_e32 v11, v123, v11
	v_add_f32_e32 v127, v127, v137
	v_mul_f32_e32 v137, v124, v150
	v_add_f32_e32 v126, v126, v134
	v_fmac_f32_e32 v135, v123, v160
	v_fma_f32 v11, v122, v160, -v11
	v_add_f32_e32 v122, v127, v138
	s_clause 0x3
	buffer_load_dword v138, off, s[0:3], 0 offset:396
	buffer_load_dword v139, off, s[0:3], 0 offset:404
	buffer_load_dword v150, off, s[0:3], 0 offset:412
	buffer_load_dword v160, off, s[0:3], 0 offset:420
	v_add_f32_e32 v123, v126, v136
	s_waitcnt vmcnt(19)
	v_fmac_f32_e32 v137, v125, v169
	v_fma_f32 v134, v124, v169, -v128
	buffer_load_dword v169, off, s[0:3], 0 offset:428
	v_add_f32_e32 v122, v122, v140
	v_add_f32_e32 v123, v123, v141
	s_clause 0x4
	buffer_load_dword v140, off, s[0:3], 0 offset:384
	buffer_load_dword v141, off, s[0:3], 0 offset:376
	;; [unrolled: 1-line block ×5, first 2 shown]
	s_waitcnt vmcnt(24) lgkmcnt(0)
	v_mul_f32_e32 v128, v3, v170
	v_add_f32_e32 v122, v122, v147
	v_add_f32_e32 v126, v123, v143
	v_fma_f32 v136, v2, v167, -v128
	v_add_f32_e32 v127, v122, v146
	v_add_f32_e32 v126, v126, v142
	ds_read_b128 v[122:125], v1 offset:768
	v_mul_f32_e32 v142, v2, v170
	v_add_f32_e32 v127, v127, v149
	v_add_f32_e32 v2, v126, v144
	s_clause 0x3
	buffer_load_dword v143, off, s[0:3], 0 offset:416
	buffer_load_dword v144, off, s[0:3], 0 offset:408
	;; [unrolled: 1-line block ×4, first 2 shown]
	v_fmac_f32_e32 v142, v3, v167
	v_add_f32_e32 v3, v127, v148
	s_clause 0x1
	buffer_load_dword v148, off, s[0:3], 0 offset:432
	buffer_load_dword v149, off, s[0:3], 0 offset:424
	v_add_f32_e32 v2, v2, v155
	v_add_f32_e32 v3, v3, v161
	;; [unrolled: 1-line block ×3, first 2 shown]
	buffer_load_dword v153, off, s[0:3], 0 offset:72
	v_add_f32_e32 v10, v3, v10
	v_add_f32_e32 v126, v2, v145
	v_add_f32_e32 v10, v10, v156
	v_add_f32_e32 v126, v126, v158
	v_add_f32_e32 v10, v10, v131
	v_add_f32_e32 v131, v126, v129
	ds_read_b128 v[126:129], v1 offset:800
	v_add_f32_e32 v7, v10, v7
	v_add_f32_e32 v156, v131, v162
	;; [unrolled: 1-line block ×5, first 2 shown]
	s_waitcnt vmcnt(30)
	v_mul_f32_e32 v155, v4, v152
	v_mul_f32_e32 v3, v5, v152
	v_fmac_f32_e32 v155, v5, v154
	v_fma_f32 v145, v4, v154, -v3
	ds_read_b128 v[2:5], v1 offset:784
	s_waitcnt vmcnt(29) lgkmcnt(2)
	v_mul_f32_e32 v132, v125, v157
	v_mul_f32_e32 v154, v124, v157
	s_waitcnt vmcnt(28)
	v_mul_f32_e32 v152, v122, v133
	v_mul_f32_e32 v130, v123, v133
	v_fmac_f32_e32 v152, v123, v151
	v_fma_f32 v151, v122, v151, -v130
	s_waitcnt vmcnt(24)
	v_fma_f32 v157, v124, v166, -v132
	v_fmac_f32_e32 v154, v125, v166
	ds_read_b128 v[122:125], v1 offset:816
	ds_read_b128 v[130:133], v1 offset:832
	s_waitcnt vmcnt(23) lgkmcnt(2)
	v_mul_f32_e32 v11, v2, v6
	v_mul_f32_e32 v6, v3, v6
	s_waitcnt vmcnt(22)
	v_mul_f32_e32 v156, v4, v159
	v_mul_f32_e32 v158, v5, v159
	v_fmac_f32_e32 v11, v3, v165
	v_fma_f32 v159, v2, v165, -v6
	v_add_f32_e32 v2, v7, v137
	v_add_f32_e32 v6, v10, v136
	v_fma_f32 v10, v4, v163, -v158
	s_waitcnt vmcnt(21)
	v_mul_f32_e32 v158, v126, v164
	v_fmac_f32_e32 v156, v5, v163
	v_add_f32_e32 v142, v2, v142
	v_add_f32_e32 v145, v6, v145
	s_waitcnt vmcnt(20)
	v_mul_f32_e32 v161, v129, v171
	v_fmac_f32_e32 v158, v127, v8
	ds_read_b128 v[134:137], v1 offset:848
	ds_read_b128 v[2:5], v1 offset:864
	v_add_f32_e32 v142, v142, v155
	v_add_f32_e32 v145, v145, v151
	v_mul_f32_e32 v151, v127, v164
	v_mul_f32_e32 v155, v128, v171
	s_waitcnt vmcnt(17) lgkmcnt(2)
	v_mul_f32_e32 v162, v130, v174
	v_add_f32_e32 v142, v142, v152
	v_add_f32_e32 v145, v145, v157
	v_fma_f32 v8, v126, v8, -v151
	v_mul_f32_e32 v152, v122, v172
	v_mul_f32_e32 v157, v124, v173
	v_add_f32_e32 v142, v142, v154
	v_add_f32_e32 v145, v145, v159
	s_waitcnt vmcnt(16)
	v_mul_f32_e32 v154, v132, v138
	s_waitcnt vmcnt(8)
	v_fma_f32 v128, v128, v176, -v161
	v_fmac_f32_e32 v155, v129, v176
	v_add_f32_e32 v11, v142, v11
	v_add_f32_e32 v10, v145, v10
	v_mul_f32_e32 v145, v123, v172
	v_fmac_f32_e32 v152, v123, v175
	v_mul_f32_e32 v123, v131, v174
	v_add_f32_e32 v11, v11, v156
	v_add_f32_e32 v8, v10, v8
	v_fma_f32 v122, v122, v175, -v145
	v_fmac_f32_e32 v157, v125, v141
	v_fma_f32 v123, v130, v140, -v123
	v_add_f32_e32 v10, v11, v158
	v_mul_f32_e32 v11, v125, v173
	v_add_f32_e32 v8, v8, v128
	v_fmac_f32_e32 v162, v131, v140
	ds_read_b64 v[6:7], v1 offset:880
	v_add_f32_e32 v10, v10, v155
	v_fma_f32 v11, v124, v141, -v11
	v_add_f32_e32 v8, v8, v122
	v_mul_f32_e32 v122, v133, v138
	s_waitcnt lgkmcnt(2)
	v_mul_f32_e32 v159, v134, v139
	v_add_f32_e32 v10, v10, v152
	s_waitcnt vmcnt(3)
	v_fmac_f32_e32 v154, v133, v147
	v_add_f32_e32 v8, v8, v11
	v_mul_f32_e32 v11, v135, v139
	v_fma_f32 v122, v132, v147, -v122
	v_add_f32_e32 v10, v10, v157
	v_mul_f32_e32 v126, v136, v150
	v_add_f32_e32 v8, v8, v123
	v_mul_f32_e32 v123, v137, v150
	v_fma_f32 v11, v134, v146, -v11
	v_add_f32_e32 v10, v10, v162
	v_fmac_f32_e32 v159, v135, v146
	v_add_f32_e32 v8, v8, v122
	s_waitcnt lgkmcnt(1)
	v_mul_f32_e32 v127, v2, v160
	v_mul_f32_e32 v122, v3, v160
	v_add_f32_e32 v10, v10, v154
	v_fma_f32 v123, v136, v144, -v123
	v_add_f32_e32 v8, v8, v11
	v_fmac_f32_e32 v126, v137, v144
	v_mul_f32_e32 v11, v5, v169
	v_add_f32_e32 v10, v10, v159
	v_fmac_f32_e32 v127, v3, v143
	v_fma_f32 v2, v2, v143, -v122
	v_add_f32_e32 v3, v8, v123
	v_mul_f32_e32 v142, v4, v169
	v_add_f32_e32 v8, v10, v126
	s_waitcnt lgkmcnt(0)
	v_mul_f32_e32 v10, v7, v177
	s_waitcnt vmcnt(1)
	v_fma_f32 v4, v4, v149, -v11
	v_add_f32_e32 v2, v3, v2
	v_mul_f32_e32 v151, v6, v177
	v_fmac_f32_e32 v142, v5, v149
	v_add_f32_e32 v3, v8, v127
	v_fma_f32 v5, v6, v148, -v10
	v_add_f32_e32 v2, v2, v4
	v_fmac_f32_e32 v151, v7, v148
	v_add_f32_e32 v3, v3, v142
	v_add_f32_e32 v2, v2, v5
	;; [unrolled: 1-line block ×3, first 2 shown]
	s_waitcnt vmcnt(0)
	v_sub_f32_e32 v2, v153, v2
	v_sub_f32_e32 v3, v168, v3
	buffer_store_dword v2, off, s[0:3], 0 offset:72
	buffer_store_dword v3, off, s[0:3], 0 offset:76
	v_cmpx_lt_u32_e32 8, v0
	s_cbranch_execz .LBB54_327
; %bb.326:
	s_clause 0x1
	buffer_load_dword v2, off, s[0:3], 0 offset:64
	buffer_load_dword v3, off, s[0:3], 0 offset:68
	buffer_store_dword v1, off, s[0:3], 0 offset:64
	buffer_store_dword v1, off, s[0:3], 0 offset:68
	s_waitcnt vmcnt(0)
	ds_write_b64 v9, v[2:3]
.LBB54_327:
	s_or_b32 exec_lo, exec_lo, s4
	s_waitcnt lgkmcnt(0)
	s_waitcnt_vscnt null, 0x0
	s_barrier
	buffer_gl0_inv
	s_clause 0x2c
	buffer_load_dword v150, off, s[0:3], 0 offset:76
	buffer_load_dword v151, off, s[0:3], 0 offset:84
	;; [unrolled: 1-line block ×45, first 2 shown]
	ds_read2_b64 v[156:159], v1 offset0:65 offset1:66
	ds_read2_b64 v[160:163], v1 offset0:67 offset1:68
	buffer_load_dword v168, off, s[0:3], 0 offset:68
	s_mov_b32 s4, exec_lo
	s_waitcnt vmcnt(45) lgkmcnt(1)
	v_mul_f32_e32 v153, v156, v150
	v_mul_f32_e32 v167, v157, v150
	s_waitcnt vmcnt(44)
	v_mul_f32_e32 v150, v158, v151
	v_mul_f32_e32 v151, v159, v151
	s_waitcnt vmcnt(41)
	v_fmac_f32_e32 v153, v157, v11
	v_fma_f32 v11, v156, v11, -v167
	v_fmac_f32_e32 v150, v159, v7
	v_fma_f32 v151, v158, v7, -v151
	ds_read2_b64 v[156:159], v1 offset0:69 offset1:70
	s_waitcnt vmcnt(40) lgkmcnt(1)
	v_mul_f32_e32 v167, v160, v4
	s_waitcnt vmcnt(39)
	v_mul_f32_e32 v169, v162, v5
	v_mul_f32_e32 v4, v161, v4
	;; [unrolled: 1-line block ×3, first 2 shown]
	v_fmac_f32_e32 v167, v161, v2
	s_waitcnt vmcnt(35)
	v_fmac_f32_e32 v169, v163, v124
	v_fma_f32 v170, v160, v2, -v4
	v_fma_f32 v171, v162, v124, -v5
	ds_read2_b64 v[160:163], v1 offset0:71 offset1:72
	s_waitcnt vmcnt(34) lgkmcnt(1)
	v_mul_f32_e32 v172, v156, v123
	v_mul_f32_e32 v2, v157, v123
	s_waitcnt vmcnt(33)
	v_mul_f32_e32 v173, v158, v122
	v_mul_f32_e32 v4, v159, v122
	v_fmac_f32_e32 v172, v157, v10
	v_fma_f32 v10, v156, v10, -v2
	v_fmac_f32_e32 v173, v159, v6
	v_fma_f32 v156, v158, v6, -v4
	ds_read2_b64 v[4:7], v1 offset0:73 offset1:74
	s_waitcnt vmcnt(32) lgkmcnt(1)
	v_mul_f32_e32 v157, v160, v8
	v_mul_f32_e32 v2, v161, v8
	s_waitcnt vmcnt(31)
	v_mul_f32_e32 v8, v162, v125
	v_mul_f32_e32 v122, v163, v125
	v_fmac_f32_e32 v157, v161, v3
	v_fma_f32 v158, v160, v3, -v2
	s_waitcnt vmcnt(27)
	v_fmac_f32_e32 v8, v163, v133
	v_fma_f32 v133, v162, v133, -v122
	ds_read2_b64 v[122:125], v1 offset0:75 offset1:76
	buffer_load_dword v163, off, s[0:3], 0 offset:260
	s_waitcnt vmcnt(27) lgkmcnt(1)
	v_mul_f32_e32 v159, v4, v131
	v_mul_f32_e32 v2, v5, v131
	s_waitcnt vmcnt(26)
	v_mul_f32_e32 v3, v7, v130
	v_mul_f32_e32 v131, v6, v130
	v_fmac_f32_e32 v159, v5, v129
	v_fma_f32 v129, v4, v129, -v2
	v_fma_f32 v6, v6, v127, -v3
	ds_read2_b64 v[2:5], v1 offset0:77 offset1:78
	v_fmac_f32_e32 v131, v7, v127
	s_waitcnt vmcnt(25) lgkmcnt(1)
	v_mul_f32_e32 v7, v122, v128
	v_mul_f32_e32 v127, v123, v128
	s_waitcnt vmcnt(24)
	v_mul_f32_e32 v128, v124, v132
	v_mul_f32_e32 v130, v125, v132
	v_fmac_f32_e32 v7, v123, v126
	v_fma_f32 v126, v122, v126, -v127
	s_waitcnt vmcnt(20)
	v_fmac_f32_e32 v128, v125, v141
	v_fma_f32 v127, v124, v141, -v130
	ds_read2_b64 v[122:125], v1 offset0:79 offset1:80
	s_waitcnt vmcnt(19) lgkmcnt(1)
	v_mul_f32_e32 v130, v2, v139
	v_mul_f32_e32 v132, v3, v139
	s_waitcnt vmcnt(18)
	v_mul_f32_e32 v139, v4, v138
	v_mul_f32_e32 v138, v5, v138
	v_fmac_f32_e32 v130, v3, v137
	v_fma_f32 v132, v2, v137, -v132
	v_fmac_f32_e32 v139, v5, v135
	v_fma_f32 v135, v4, v135, -v138
	ds_read2_b64 v[2:5], v1 offset0:81 offset1:82
	s_waitcnt vmcnt(17) lgkmcnt(1)
	v_mul_f32_e32 v137, v122, v136
	v_mul_f32_e32 v136, v123, v136
	s_waitcnt vmcnt(16)
	v_mul_f32_e32 v138, v124, v140
	v_mul_f32_e32 v140, v125, v140
	v_fmac_f32_e32 v137, v123, v134
	v_fma_f32 v134, v122, v134, -v136
	s_waitcnt vmcnt(12)
	v_fmac_f32_e32 v138, v125, v149
	v_fma_f32 v136, v124, v149, -v140
	ds_read2_b64 v[122:125], v1 offset0:83 offset1:84
	buffer_load_dword v149, off, s[0:3], 0 offset:252
	s_waitcnt vmcnt(12) lgkmcnt(1)
	v_mul_f32_e32 v140, v2, v147
	v_mul_f32_e32 v141, v3, v147
	s_waitcnt vmcnt(11)
	v_mul_f32_e32 v147, v4, v146
	v_mul_f32_e32 v146, v5, v146
	v_fmac_f32_e32 v140, v3, v145
	v_fma_f32 v141, v2, v145, -v141
	v_fmac_f32_e32 v147, v5, v143
	v_fma_f32 v143, v4, v143, -v146
	ds_read2_b64 v[2:5], v1 offset0:85 offset1:86
	s_waitcnt vmcnt(10) lgkmcnt(1)
	v_mul_f32_e32 v145, v122, v144
	v_mul_f32_e32 v144, v123, v144
	s_waitcnt vmcnt(9)
	v_mul_f32_e32 v146, v124, v148
	v_mul_f32_e32 v148, v125, v148
	v_fmac_f32_e32 v145, v123, v142
	v_fma_f32 v142, v122, v142, -v144
	s_waitcnt vmcnt(5)
	v_fmac_f32_e32 v146, v125, v164
	v_fma_f32 v144, v124, v164, -v148
	ds_read2_b64 v[122:125], v1 offset0:87 offset1:88
	s_waitcnt vmcnt(4) lgkmcnt(1)
	v_mul_f32_e32 v148, v2, v165
	v_mul_f32_e32 v160, v3, v165
	s_waitcnt vmcnt(3)
	v_mul_f32_e32 v161, v4, v166
	v_mul_f32_e32 v162, v5, v166
	v_fmac_f32_e32 v148, v3, v155
	v_fma_f32 v155, v2, v155, -v160
	v_fmac_f32_e32 v161, v5, v154
	v_fma_f32 v154, v4, v154, -v162
	s_clause 0x5
	buffer_load_dword v160, off, s[0:3], 0 offset:280
	buffer_load_dword v162, off, s[0:3], 0 offset:272
	;; [unrolled: 1-line block ×6, first 2 shown]
	v_add_f32_e32 v2, 0, v153
	v_add_f32_e32 v3, 0, v11
	buffer_load_dword v11, off, s[0:3], 0 offset:292
	v_add_f32_e32 v2, v2, v150
	buffer_load_dword v150, off, s[0:3], 0 offset:284
	v_add_f32_e32 v3, v3, v151
	v_add_f32_e32 v2, v2, v167
	;; [unrolled: 1-line block ×4, first 2 shown]
	s_clause 0x4
	buffer_load_dword v151, off, s[0:3], 0 offset:312
	buffer_load_dword v153, off, s[0:3], 0 offset:304
	;; [unrolled: 1-line block ×5, first 2 shown]
	v_add_f32_e32 v3, v3, v171
	v_add_f32_e32 v2, v2, v172
	;; [unrolled: 1-line block ×3, first 2 shown]
	s_clause 0x1
	buffer_load_dword v10, off, s[0:3], 0 offset:308
	buffer_load_dword v171, off, s[0:3], 0 offset:316
	v_add_f32_e32 v2, v2, v173
	v_add_f32_e32 v3, v3, v156
	;; [unrolled: 1-line block ×10, first 2 shown]
	s_waitcnt vmcnt(16) lgkmcnt(0)
	v_mul_f32_e32 v157, v125, v163
	s_waitcnt vmcnt(15)
	v_mul_f32_e32 v156, v122, v149
	v_mul_f32_e32 v4, v123, v149
	;; [unrolled: 1-line block ×3, first 2 shown]
	v_fmac_f32_e32 v156, v123, v152
	v_fma_f32 v152, v122, v152, -v4
	v_add_f32_e32 v122, v3, v133
	ds_read2_b64 v[2:5], v1 offset0:89 offset1:90
	v_add_f32_e32 v122, v122, v129
	v_add_f32_e32 v6, v122, v6
	;; [unrolled: 1-line block ×6, first 2 shown]
	s_waitcnt vmcnt(11)
	v_fmac_f32_e32 v149, v125, v165
	v_fma_f32 v133, v124, v165, -v157
	s_clause 0x7
	buffer_load_dword v157, off, s[0:3], 0 offset:324
	buffer_load_dword v158, off, s[0:3], 0 offset:344
	;; [unrolled: 1-line block ×8, first 2 shown]
	ds_read2_b64 v[122:125], v1 offset0:91 offset1:92
	s_waitcnt vmcnt(18) lgkmcnt(1)
	v_mul_f32_e32 v126, v2, v166
	v_mul_f32_e32 v127, v3, v166
	s_waitcnt vmcnt(17)
	v_mul_f32_e32 v130, v4, v174
	v_mul_f32_e32 v128, v5, v174
	v_fmac_f32_e32 v126, v3, v164
	v_add_f32_e32 v3, v7, v139
	v_fma_f32 v7, v2, v164, -v127
	v_fmac_f32_e32 v130, v5, v162
	v_fma_f32 v131, v4, v162, -v128
	v_add_f32_e32 v2, v3, v137
	v_add_f32_e32 v3, v6, v134
	s_clause 0x7
	buffer_load_dword v6, off, s[0:3], 0 offset:356
	buffer_load_dword v162, off, s[0:3], 0 offset:364
	;; [unrolled: 1-line block ×8, first 2 shown]
	v_add_f32_e32 v2, v2, v138
	v_add_f32_e32 v3, v3, v136
	s_waitcnt vmcnt(23) lgkmcnt(0)
	v_mul_f32_e32 v4, v123, v150
	v_mul_f32_e32 v132, v122, v150
	v_add_f32_e32 v2, v2, v140
	v_mul_f32_e32 v135, v124, v11
	s_clause 0x3
	buffer_load_dword v150, off, s[0:3], 0 offset:388
	buffer_load_dword v178, off, s[0:3], 0 offset:396
	;; [unrolled: 1-line block ×4, first 2 shown]
	v_fma_f32 v134, v122, v160, -v4
	v_add_f32_e32 v122, v3, v141
	v_mul_f32_e32 v3, v125, v11
	v_add_f32_e32 v11, v2, v147
	v_fmac_f32_e32 v132, v123, v160
	s_clause 0x1
	buffer_load_dword v160, off, s[0:3], 0 offset:420
	buffer_load_dword v181, off, s[0:3], 0 offset:428
	v_add_f32_e32 v122, v122, v143
	s_waitcnt vmcnt(25)
	v_fma_f32 v136, v124, v169, -v3
	ds_read2_b64 v[2:5], v1 offset0:93 offset1:94
	v_add_f32_e32 v11, v11, v145
	buffer_load_dword v147, off, s[0:3], 0 offset:436
	v_add_f32_e32 v122, v122, v142
	v_fmac_f32_e32 v135, v125, v169
	v_add_f32_e32 v11, v11, v146
	s_clause 0x3
	buffer_load_dword v142, off, s[0:3], 0 offset:408
	buffer_load_dword v143, off, s[0:3], 0 offset:400
	;; [unrolled: 1-line block ×4, first 2 shown]
	v_add_f32_e32 v122, v122, v144
	v_add_f32_e32 v11, v11, v148
	;; [unrolled: 1-line block ×3, first 2 shown]
	ds_read2_b64 v[122:125], v1 offset0:95 offset1:96
	v_add_f32_e32 v11, v11, v161
	s_waitcnt vmcnt(29) lgkmcnt(1)
	v_mul_f32_e32 v137, v2, v170
	v_mul_f32_e32 v128, v3, v170
	s_waitcnt vmcnt(28)
	v_mul_f32_e32 v139, v4, v10
	v_mul_f32_e32 v10, v5, v10
	v_fmac_f32_e32 v137, v3, v167
	v_add_f32_e32 v3, v11, v156
	s_clause 0x2
	buffer_load_dword v11, off, s[0:3], 0 offset:432
	buffer_load_dword v144, off, s[0:3], 0 offset:424
	;; [unrolled: 1-line block ×3, first 2 shown]
	v_fma_f32 v138, v2, v167, -v128
	v_add_f32_e32 v2, v127, v154
	v_fmac_f32_e32 v139, v5, v153
	v_add_f32_e32 v3, v3, v149
	v_fma_f32 v10, v4, v153, -v10
	v_add_f32_e32 v2, v2, v152
	buffer_load_dword v152, off, s[0:3], 0 offset:64
	s_waitcnt vmcnt(31) lgkmcnt(0)
	v_mul_f32_e32 v140, v122, v171
	v_add_f32_e32 v127, v2, v133
	v_add_f32_e32 v133, v3, v126
	ds_read2_b64 v[2:5], v1 offset0:97 offset1:98
	v_fmac_f32_e32 v140, v123, v151
	v_add_f32_e32 v7, v127, v7
	ds_read2_b64 v[126:129], v1 offset0:99 offset1:100
	v_add_f32_e32 v130, v133, v130
	v_mul_f32_e32 v133, v123, v171
	v_add_f32_e32 v7, v7, v131
	v_add_f32_e32 v141, v130, v132
	v_fma_f32 v151, v122, v151, -v133
	v_add_f32_e32 v7, v7, v134
	v_add_f32_e32 v134, v141, v135
	;; [unrolled: 1-line block ×7, first 2 shown]
	s_waitcnt vmcnt(30)
	v_mul_f32_e32 v149, v124, v157
	v_mul_f32_e32 v131, v125, v157
	s_waitcnt vmcnt(25) lgkmcnt(1)
	v_mul_f32_e32 v154, v2, v8
	s_waitcnt vmcnt(24)
	v_mul_f32_e32 v155, v4, v172
	v_mul_f32_e32 v8, v3, v8
	v_mul_f32_e32 v135, v5, v172
	s_waitcnt vmcnt(23) lgkmcnt(0)
	v_mul_f32_e32 v141, v127, v173
	v_fmac_f32_e32 v149, v125, v165
	v_fma_f32 v153, v124, v165, -v131
	ds_read2_b64 v[122:125], v1 offset0:101 offset1:102
	ds_read2_b64 v[130:133], v1 offset0:103 offset1:104
	v_mul_f32_e32 v156, v126, v173
	v_fmac_f32_e32 v154, v3, v163
	v_fmac_f32_e32 v155, v5, v159
	v_fma_f32 v8, v2, v163, -v8
	v_fma_f32 v157, v4, v159, -v135
	ds_read2_b64 v[2:5], v1 offset0:105 offset1:106
	ds_read2_b64 v[134:137], v1 offset0:107 offset1:108
	v_fma_f32 v10, v126, v158, -v141
	v_add_f32_e32 v126, v138, v140
	ds_read2_b64 v[138:141], v1 offset0:109 offset1:110
	v_add_f32_e32 v1, v7, v151
	s_waitcnt vmcnt(22)
	v_mul_f32_e32 v7, v128, v6
	v_mul_f32_e32 v6, v129, v6
	v_add_f32_e32 v126, v126, v149
	v_fmac_f32_e32 v156, v127, v158
	v_add_f32_e32 v1, v1, v153
	s_waitcnt vmcnt(15)
	v_fmac_f32_e32 v7, v129, v177
	v_fma_f32 v6, v128, v177, -v6
	s_waitcnt lgkmcnt(4)
	v_mul_f32_e32 v151, v123, v162
	v_add_f32_e32 v1, v1, v8
	v_add_f32_e32 v8, v126, v154
	v_mul_f32_e32 v127, v122, v162
	v_mul_f32_e32 v149, v124, v164
	v_fma_f32 v122, v122, v176, -v151
	v_add_f32_e32 v1, v1, v157
	v_add_f32_e32 v8, v8, v155
	v_mul_f32_e32 v155, v125, v164
	v_fmac_f32_e32 v127, v123, v176
	s_waitcnt lgkmcnt(3)
	v_mul_f32_e32 v128, v130, v166
	v_add_f32_e32 v1, v1, v10
	v_add_f32_e32 v8, v8, v156
	v_fmac_f32_e32 v149, v125, v175
	s_waitcnt vmcnt(14)
	v_mul_f32_e32 v129, v132, v150
	v_fmac_f32_e32 v128, v131, v174
	v_add_f32_e32 v1, v1, v6
	v_add_f32_e32 v6, v8, v7
	v_mul_f32_e32 v7, v131, v166
	v_fma_f32 v8, v124, v175, -v155
	s_waitcnt vmcnt(13) lgkmcnt(2)
	v_mul_f32_e32 v126, v2, v178
	v_add_f32_e32 v1, v1, v122
	v_add_f32_e32 v6, v6, v127
	v_mul_f32_e32 v122, v133, v150
	v_fma_f32 v7, v130, v174, -v7
	s_waitcnt vmcnt(4)
	v_fmac_f32_e32 v129, v133, v146
	v_add_f32_e32 v1, v1, v8
	v_add_f32_e32 v6, v6, v149
	v_mul_f32_e32 v8, v3, v178
	v_fma_f32 v122, v132, v146, -v122
	v_mul_f32_e32 v153, v4, v179
	v_add_f32_e32 v1, v1, v7
	v_add_f32_e32 v6, v6, v128
	v_mul_f32_e32 v7, v5, v179
	v_fma_f32 v2, v2, v145, -v8
	v_fmac_f32_e32 v126, v3, v145
	v_add_f32_e32 v1, v1, v122
	v_add_f32_e32 v3, v6, v129
	s_waitcnt lgkmcnt(1)
	v_mul_f32_e32 v6, v135, v180
	v_fma_f32 v4, v4, v143, -v7
	v_mul_f32_e32 v154, v134, v180
	v_add_f32_e32 v1, v1, v2
	v_fmac_f32_e32 v153, v5, v143
	v_add_f32_e32 v2, v3, v126
	v_mul_f32_e32 v3, v137, v160
	v_fma_f32 v5, v134, v142, -v6
	v_add_f32_e32 v1, v1, v4
	v_mul_f32_e32 v157, v136, v160
	v_fmac_f32_e32 v154, v135, v142
	v_add_f32_e32 v2, v2, v153
	s_waitcnt lgkmcnt(0)
	v_mul_f32_e32 v4, v139, v181
	s_waitcnt vmcnt(1)
	v_fma_f32 v3, v136, v148, -v3
	v_add_f32_e32 v1, v1, v5
	v_mul_f32_e32 v158, v138, v181
	v_fmac_f32_e32 v157, v137, v148
	v_add_f32_e32 v2, v2, v154
	v_mul_f32_e32 v5, v141, v147
	v_fma_f32 v4, v138, v144, -v4
	v_add_f32_e32 v1, v1, v3
	v_mul_f32_e32 v10, v140, v147
	v_fmac_f32_e32 v158, v139, v144
	v_add_f32_e32 v2, v2, v157
	v_fma_f32 v3, v140, v11, -v5
	v_add_f32_e32 v1, v1, v4
	v_fmac_f32_e32 v10, v141, v11
	v_add_f32_e32 v2, v2, v158
	v_add_f32_e32 v1, v1, v3
	;; [unrolled: 1-line block ×3, first 2 shown]
	s_waitcnt vmcnt(0)
	v_sub_f32_e32 v1, v152, v1
	v_sub_f32_e32 v2, v168, v2
	buffer_store_dword v1, off, s[0:3], 0 offset:64
	buffer_store_dword v2, off, s[0:3], 0 offset:68
	v_cmpx_lt_u32_e32 7, v0
	s_cbranch_execz .LBB54_329
; %bb.328:
	s_clause 0x1
	buffer_load_dword v1, off, s[0:3], 0 offset:56
	buffer_load_dword v2, off, s[0:3], 0 offset:60
	v_mov_b32_e32 v3, 0
	buffer_store_dword v3, off, s[0:3], 0 offset:56
	buffer_store_dword v3, off, s[0:3], 0 offset:60
	s_waitcnt vmcnt(0)
	ds_write_b64 v9, v[1:2]
.LBB54_329:
	s_or_b32 exec_lo, exec_lo, s4
	s_waitcnt lgkmcnt(0)
	s_waitcnt_vscnt null, 0x0
	s_barrier
	buffer_gl0_inv
	s_clause 0x2c
	buffer_load_dword v150, off, s[0:3], 0 offset:68
	buffer_load_dword v151, off, s[0:3], 0 offset:76
	;; [unrolled: 1-line block ×45, first 2 shown]
	v_mov_b32_e32 v1, 0
	ds_read_b128 v[159:162], v1 offset:512
	ds_read_b128 v[163:166], v1 offset:528
	buffer_load_dword v168, off, s[0:3], 0 offset:60
	s_mov_b32 s4, exec_lo
	s_waitcnt vmcnt(45) lgkmcnt(1)
	v_mul_f32_e32 v152, v159, v150
	v_mul_f32_e32 v167, v160, v150
	s_waitcnt vmcnt(44)
	v_mul_f32_e32 v150, v161, v151
	v_mul_f32_e32 v151, v162, v151
	s_waitcnt vmcnt(41)
	v_fmac_f32_e32 v152, v160, v11
	v_fma_f32 v11, v159, v11, -v167
	v_fmac_f32_e32 v150, v162, v7
	v_fma_f32 v151, v161, v7, -v151
	ds_read_b128 v[159:162], v1 offset:544
	s_waitcnt vmcnt(40) lgkmcnt(1)
	v_mul_f32_e32 v167, v163, v4
	s_waitcnt vmcnt(39)
	v_mul_f32_e32 v169, v165, v5
	v_mul_f32_e32 v4, v164, v4
	;; [unrolled: 1-line block ×3, first 2 shown]
	v_fmac_f32_e32 v167, v164, v2
	s_waitcnt vmcnt(35)
	v_fmac_f32_e32 v169, v166, v124
	v_fma_f32 v170, v163, v2, -v4
	v_fma_f32 v171, v165, v124, -v5
	ds_read_b128 v[163:166], v1 offset:560
	s_waitcnt vmcnt(34) lgkmcnt(1)
	v_mul_f32_e32 v172, v159, v123
	v_mul_f32_e32 v2, v160, v123
	s_waitcnt vmcnt(33)
	v_mul_f32_e32 v173, v161, v122
	v_mul_f32_e32 v4, v162, v122
	v_fmac_f32_e32 v172, v160, v10
	v_fma_f32 v10, v159, v10, -v2
	v_fmac_f32_e32 v173, v162, v6
	v_fma_f32 v159, v161, v6, -v4
	ds_read_b128 v[4:7], v1 offset:576
	s_waitcnt vmcnt(32) lgkmcnt(1)
	v_mul_f32_e32 v160, v163, v8
	v_mul_f32_e32 v2, v164, v8
	s_waitcnt vmcnt(31)
	v_mul_f32_e32 v8, v165, v125
	v_mul_f32_e32 v122, v166, v125
	v_fmac_f32_e32 v160, v164, v3
	v_fma_f32 v161, v163, v3, -v2
	s_waitcnt vmcnt(27)
	v_fmac_f32_e32 v8, v166, v133
	v_fma_f32 v133, v165, v133, -v122
	ds_read_b128 v[122:125], v1 offset:592
	buffer_load_dword v163, off, s[0:3], 0 offset:252
	s_waitcnt vmcnt(27) lgkmcnt(1)
	v_mul_f32_e32 v162, v4, v131
	v_mul_f32_e32 v2, v5, v131
	s_waitcnt vmcnt(26)
	v_mul_f32_e32 v3, v7, v130
	v_mul_f32_e32 v131, v6, v130
	v_fmac_f32_e32 v162, v5, v129
	v_fma_f32 v129, v4, v129, -v2
	v_fma_f32 v6, v6, v127, -v3
	ds_read_b128 v[2:5], v1 offset:608
	v_fmac_f32_e32 v131, v7, v127
	s_waitcnt vmcnt(25) lgkmcnt(1)
	v_mul_f32_e32 v7, v122, v128
	v_mul_f32_e32 v127, v123, v128
	s_waitcnt vmcnt(24)
	v_mul_f32_e32 v128, v124, v132
	v_mul_f32_e32 v130, v125, v132
	v_fmac_f32_e32 v7, v123, v126
	v_fma_f32 v126, v122, v126, -v127
	s_waitcnt vmcnt(20)
	v_fmac_f32_e32 v128, v125, v141
	v_fma_f32 v127, v124, v141, -v130
	ds_read_b128 v[122:125], v1 offset:624
	s_waitcnt vmcnt(19) lgkmcnt(1)
	v_mul_f32_e32 v130, v2, v139
	v_mul_f32_e32 v132, v3, v139
	s_waitcnt vmcnt(18)
	v_mul_f32_e32 v139, v4, v138
	v_mul_f32_e32 v138, v5, v138
	v_fmac_f32_e32 v130, v3, v137
	v_fma_f32 v132, v2, v137, -v132
	v_fmac_f32_e32 v139, v5, v135
	v_fma_f32 v135, v4, v135, -v138
	ds_read_b128 v[2:5], v1 offset:640
	s_waitcnt vmcnt(17) lgkmcnt(1)
	v_mul_f32_e32 v137, v122, v136
	v_mul_f32_e32 v136, v123, v136
	s_waitcnt vmcnt(16)
	v_mul_f32_e32 v138, v124, v140
	v_mul_f32_e32 v140, v125, v140
	v_fmac_f32_e32 v137, v123, v134
	v_fma_f32 v134, v122, v134, -v136
	s_waitcnt vmcnt(12)
	v_fmac_f32_e32 v138, v125, v148
	v_fma_f32 v136, v124, v148, -v140
	ds_read_b128 v[122:125], v1 offset:656
	s_waitcnt vmcnt(11) lgkmcnt(1)
	v_mul_f32_e32 v140, v2, v147
	v_mul_f32_e32 v141, v3, v147
	s_waitcnt vmcnt(10)
	v_mul_f32_e32 v147, v4, v146
	v_mul_f32_e32 v146, v5, v146
	v_fmac_f32_e32 v140, v3, v145
	v_fma_f32 v141, v2, v145, -v141
	v_fmac_f32_e32 v147, v5, v143
	v_fma_f32 v143, v4, v143, -v146
	ds_read_b128 v[2:5], v1 offset:672
	s_waitcnt vmcnt(8) lgkmcnt(1)
	v_mul_f32_e32 v146, v124, v149
	v_mul_f32_e32 v148, v125, v149
	buffer_load_dword v149, off, s[0:3], 0 offset:244
	v_mul_f32_e32 v145, v122, v144
	v_mul_f32_e32 v144, v123, v144
	s_waitcnt vmcnt(5)
	v_fmac_f32_e32 v146, v125, v158
	v_fmac_f32_e32 v145, v123, v142
	v_fma_f32 v142, v122, v142, -v144
	v_fma_f32 v144, v124, v158, -v148
	ds_read_b128 v[122:125], v1 offset:688
	s_waitcnt vmcnt(4) lgkmcnt(1)
	v_mul_f32_e32 v148, v2, v157
	v_mul_f32_e32 v157, v3, v157
	s_waitcnt vmcnt(3)
	v_mul_f32_e32 v158, v4, v156
	v_mul_f32_e32 v156, v5, v156
	v_fmac_f32_e32 v148, v3, v155
	v_fma_f32 v155, v2, v155, -v157
	v_fmac_f32_e32 v158, v5, v154
	v_fma_f32 v154, v4, v154, -v156
	s_clause 0x4
	buffer_load_dword v156, off, s[0:3], 0 offset:272
	buffer_load_dword v157, off, s[0:3], 0 offset:264
	;; [unrolled: 1-line block ×5, first 2 shown]
	s_waitcnt vmcnt(5) lgkmcnt(0)
	v_mul_f32_e32 v166, v122, v149
	v_mul_f32_e32 v3, v123, v149
	v_fmac_f32_e32 v166, v123, v153
	v_fma_f32 v149, v122, v153, -v3
	v_mul_f32_e32 v153, v124, v163
	v_mul_f32_e32 v3, v125, v163
	s_waitcnt vmcnt(1)
	v_fmac_f32_e32 v153, v125, v2
	v_fma_f32 v163, v124, v2, -v3
	ds_read_b128 v[2:5], v1 offset:704
	ds_read_b128 v[122:125], v1 offset:720
	s_waitcnt vmcnt(0) lgkmcnt(1)
	v_mul_f32_e32 v174, v2, v165
	v_mul_f32_e32 v165, v3, v165
	v_fmac_f32_e32 v174, v3, v164
	v_fma_f32 v164, v2, v164, -v165
	buffer_load_dword v2, off, s[0:3], 0 offset:268
	s_waitcnt vmcnt(0)
	v_mul_f32_e32 v165, v4, v2
	v_mul_f32_e32 v2, v5, v2
	v_fmac_f32_e32 v165, v5, v157
	v_fma_f32 v157, v4, v157, -v2
	buffer_load_dword v2, off, s[0:3], 0 offset:276
	s_waitcnt vmcnt(0) lgkmcnt(0)
	v_mul_f32_e32 v175, v122, v2
	v_mul_f32_e32 v2, v123, v2
	v_fmac_f32_e32 v175, v123, v156
	v_fma_f32 v156, v122, v156, -v2
	s_clause 0x5
	buffer_load_dword v2, off, s[0:3], 0 offset:284
	buffer_load_dword v176, off, s[0:3], 0 offset:304
	;; [unrolled: 1-line block ×6, first 2 shown]
	s_waitcnt vmcnt(5)
	v_mul_f32_e32 v179, v124, v2
	v_mul_f32_e32 v2, v125, v2
	s_waitcnt vmcnt(1)
	v_fmac_f32_e32 v179, v125, v3
	v_fma_f32 v180, v124, v3, -v2
	ds_read_b128 v[2:5], v1 offset:736
	ds_read_b128 v[122:125], v1 offset:752
	s_waitcnt vmcnt(0) lgkmcnt(1)
	v_mul_f32_e32 v182, v2, v181
	v_mul_f32_e32 v181, v3, v181
	v_fmac_f32_e32 v182, v3, v178
	v_fma_f32 v178, v2, v178, -v181
	buffer_load_dword v2, off, s[0:3], 0 offset:300
	s_waitcnt vmcnt(0)
	v_mul_f32_e32 v181, v4, v2
	v_mul_f32_e32 v2, v5, v2
	v_fmac_f32_e32 v181, v5, v177
	v_fma_f32 v177, v4, v177, -v2
	buffer_load_dword v2, off, s[0:3], 0 offset:308
	s_waitcnt vmcnt(0) lgkmcnt(0)
	v_mul_f32_e32 v183, v122, v2
	v_mul_f32_e32 v2, v123, v2
	v_fmac_f32_e32 v183, v123, v176
	v_fma_f32 v176, v122, v176, -v2
	s_clause 0x4
	buffer_load_dword v2, off, s[0:3], 0 offset:316
	buffer_load_dword v184, off, s[0:3], 0 offset:336
	;; [unrolled: 1-line block ×5, first 2 shown]
	s_waitcnt vmcnt(4)
	v_mul_f32_e32 v187, v124, v2
	v_mul_f32_e32 v2, v125, v2
	s_waitcnt vmcnt(0)
	v_fmac_f32_e32 v187, v125, v3
	v_fma_f32 v188, v124, v3, -v2
	v_add_f32_e32 v2, 0, v152
	v_add_f32_e32 v3, 0, v11
	buffer_load_dword v11, off, s[0:3], 0 offset:332
	v_add_f32_e32 v2, v2, v150
	v_add_f32_e32 v3, v3, v151
	buffer_load_dword v150, off, s[0:3], 0 offset:348
	v_add_f32_e32 v2, v2, v167
	v_add_f32_e32 v3, v3, v170
	v_add_f32_e32 v2, v2, v169
	v_add_f32_e32 v3, v3, v171
	v_add_f32_e32 v2, v2, v172
	v_add_f32_e32 v3, v3, v10
	buffer_load_dword v10, off, s[0:3], 0 offset:324
	v_add_f32_e32 v2, v2, v173
	v_add_f32_e32 v3, v3, v159
	v_add_f32_e32 v2, v2, v160
	v_add_f32_e32 v3, v3, v161
	;; [unrolled: 7-line block ×3, first 2 shown]
	s_clause 0x6
	buffer_load_dword v151, off, s[0:3], 0 offset:368
	buffer_load_dword v152, off, s[0:3], 0 offset:360
	;; [unrolled: 1-line block ×7, first 2 shown]
	v_add_f32_e32 v2, v2, v7
	v_add_f32_e32 v3, v3, v126
	;; [unrolled: 1-line block ×8, first 2 shown]
	s_clause 0x5
	buffer_load_dword v139, off, s[0:3], 0 offset:380
	buffer_load_dword v167, off, s[0:3], 0 offset:388
	;; [unrolled: 1-line block ×6, first 2 shown]
	v_add_f32_e32 v2, v2, v137
	v_add_f32_e32 v3, v3, v134
	;; [unrolled: 1-line block ×4, first 2 shown]
	s_clause 0x1
	buffer_load_dword v138, off, s[0:3], 0 offset:428
	buffer_load_dword v173, off, s[0:3], 0 offset:436
	v_add_f32_e32 v2, v2, v140
	v_add_f32_e32 v3, v3, v141
	v_add_f32_e32 v2, v2, v147
	s_clause 0x3
	buffer_load_dword v140, off, s[0:3], 0 offset:400
	buffer_load_dword v141, off, s[0:3], 0 offset:392
	;; [unrolled: 1-line block ×4, first 2 shown]
	v_add_f32_e32 v3, v3, v143
	v_add_f32_e32 v2, v2, v145
	v_add_f32_e32 v3, v3, v142
	v_add_f32_e32 v2, v2, v146
	s_clause 0x3
	buffer_load_dword v142, off, s[0:3], 0 offset:432
	buffer_load_dword v143, off, s[0:3], 0 offset:424
	buffer_load_dword v145, off, s[0:3], 0 offset:416
	buffer_load_dword v146, off, s[0:3], 0 offset:408
	v_add_f32_e32 v3, v3, v144
	buffer_load_dword v144, off, s[0:3], 0 offset:56
	v_add_f32_e32 v2, v2, v148
	v_add_f32_e32 v3, v3, v155
	;; [unrolled: 1-line block ×4, first 2 shown]
	ds_read_b128 v[2:5], v1 offset:768
	v_add_f32_e32 v7, v7, v166
	v_add_f32_e32 v122, v122, v149
	v_add_f32_e32 v7, v7, v153
	v_add_f32_e32 v122, v122, v163
	v_add_f32_e32 v7, v7, v174
	v_add_f32_e32 v126, v122, v164
	ds_read_b128 v[122:125], v1 offset:784
	v_add_f32_e32 v7, v7, v165
	v_add_f32_e32 v126, v126, v157
	;; [unrolled: 1-line block ×8, first 2 shown]
	s_waitcnt vmcnt(27) lgkmcnt(1)
	v_mul_f32_e32 v149, v4, v11
	v_mul_f32_e32 v11, v5, v11
	v_fmac_f32_e32 v149, v5, v185
	v_fma_f32 v11, v4, v185, -v11
	s_waitcnt vmcnt(26) lgkmcnt(0)
	v_mul_f32_e32 v154, v124, v150
	v_mul_f32_e32 v150, v125, v150
	s_waitcnt vmcnt(25)
	v_mul_f32_e32 v148, v2, v10
	v_mul_f32_e32 v10, v3, v10
	v_fmac_f32_e32 v148, v3, v186
	v_add_f32_e32 v3, v126, v156
	v_fma_f32 v10, v2, v186, -v10
	v_add_f32_e32 v148, v155, v148
	v_add_f32_e32 v134, v3, v180
	ds_read_b128 v[2:5], v1 offset:800
	ds_read_b128 v[126:129], v1 offset:816
	;; [unrolled: 1-line block ×3, first 2 shown]
	s_waitcnt vmcnt(24)
	v_mul_f32_e32 v153, v122, v8
	v_add_f32_e32 v134, v134, v178
	v_mul_f32_e32 v8, v123, v8
	v_add_f32_e32 v148, v148, v149
	v_fmac_f32_e32 v153, v123, v184
	v_add_f32_e32 v134, v134, v177
	v_fma_f32 v8, v122, v184, -v8
	s_waitcnt vmcnt(20)
	v_fma_f32 v150, v124, v6, -v150
	v_add_f32_e32 v122, v134, v176
	v_fmac_f32_e32 v154, v125, v6
	v_add_f32_e32 v148, v148, v153
	ds_read_b128 v[134:137], v1 offset:848
	v_add_f32_e32 v156, v122, v188
	s_waitcnt vmcnt(19) lgkmcnt(3)
	v_mul_f32_e32 v157, v2, v160
	s_waitcnt vmcnt(18)
	v_mul_f32_e32 v158, v4, v161
	v_add_f32_e32 v148, v148, v154
	s_waitcnt vmcnt(17) lgkmcnt(2)
	v_mul_f32_e32 v155, v126, v162
	v_add_f32_e32 v10, v156, v10
	v_mul_f32_e32 v156, v3, v160
	v_mul_f32_e32 v160, v5, v161
	v_fmac_f32_e32 v157, v3, v159
	v_fmac_f32_e32 v158, v5, v152
	v_add_f32_e32 v10, v10, v11
	v_fma_f32 v2, v2, v159, -v156
	v_mul_f32_e32 v156, v127, v162
	v_fma_f32 v4, v4, v152, -v160
	v_add_f32_e32 v5, v148, v157
	v_add_f32_e32 v8, v10, v8
	s_waitcnt vmcnt(16)
	v_mul_f32_e32 v11, v128, v139
	v_fma_f32 v126, v126, v151, -v156
	v_fmac_f32_e32 v155, v127, v151
	ds_read_b128 v[122:125], v1 offset:864
	ds_read_b64 v[6:7], v1 offset:880
	v_add_f32_e32 v8, v8, v150
	s_waitcnt vmcnt(15) lgkmcnt(3)
	v_mul_f32_e32 v161, v130, v167
	s_waitcnt vmcnt(14)
	v_mul_f32_e32 v149, v132, v169
	s_waitcnt vmcnt(13) lgkmcnt(2)
	v_mul_f32_e32 v10, v134, v170
	s_waitcnt vmcnt(12)
	v_mul_f32_e32 v3, v136, v171
	v_add_f32_e32 v2, v8, v2
	v_mul_f32_e32 v8, v129, v139
	v_add_f32_e32 v2, v2, v4
	v_add_f32_e32 v4, v5, v158
	v_mul_f32_e32 v5, v131, v167
	s_waitcnt vmcnt(5)
	v_fma_f32 v8, v128, v189, -v8
	v_fmac_f32_e32 v11, v129, v189
	v_add_f32_e32 v2, v2, v126
	v_add_f32_e32 v4, v4, v155
	v_mul_f32_e32 v126, v133, v169
	v_fma_f32 v5, v130, v147, -v5
	v_fmac_f32_e32 v161, v131, v147
	v_add_f32_e32 v2, v2, v8
	v_add_f32_e32 v4, v4, v11
	v_mul_f32_e32 v8, v135, v170
	;; [unrolled: 5-line block ×3, first 2 shown]
	v_fma_f32 v8, v134, v140, -v8
	v_fmac_f32_e32 v10, v135, v140
	v_add_f32_e32 v2, v2, v11
	v_add_f32_e32 v4, v4, v149
	s_waitcnt lgkmcnt(1)
	v_mul_f32_e32 v11, v123, v172
	s_waitcnt vmcnt(1)
	v_fma_f32 v5, v136, v146, -v5
	v_mul_f32_e32 v153, v122, v172
	v_add_f32_e32 v2, v2, v8
	v_fmac_f32_e32 v3, v137, v146
	v_add_f32_e32 v4, v4, v10
	v_mul_f32_e32 v8, v125, v138
	v_fma_f32 v10, v122, v145, -v11
	v_add_f32_e32 v2, v2, v5
	v_mul_f32_e32 v150, v124, v138
	v_fmac_f32_e32 v153, v123, v145
	v_add_f32_e32 v3, v4, v3
	s_waitcnt lgkmcnt(0)
	v_mul_f32_e32 v4, v7, v173
	v_fma_f32 v5, v124, v143, -v8
	v_add_f32_e32 v2, v2, v10
	v_mul_f32_e32 v154, v6, v173
	v_fmac_f32_e32 v150, v125, v143
	v_add_f32_e32 v3, v3, v153
	v_fma_f32 v4, v6, v142, -v4
	v_add_f32_e32 v2, v2, v5
	v_fmac_f32_e32 v154, v7, v142
	v_add_f32_e32 v3, v3, v150
	v_add_f32_e32 v2, v2, v4
	v_add_f32_e32 v3, v3, v154
	s_waitcnt vmcnt(0)
	v_sub_f32_e32 v2, v144, v2
	v_sub_f32_e32 v3, v168, v3
	buffer_store_dword v2, off, s[0:3], 0 offset:56
	buffer_store_dword v3, off, s[0:3], 0 offset:60
	v_cmpx_lt_u32_e32 6, v0
	s_cbranch_execz .LBB54_331
; %bb.330:
	s_clause 0x1
	buffer_load_dword v2, off, s[0:3], 0 offset:48
	buffer_load_dword v3, off, s[0:3], 0 offset:52
	buffer_store_dword v1, off, s[0:3], 0 offset:48
	buffer_store_dword v1, off, s[0:3], 0 offset:52
	s_waitcnt vmcnt(0)
	ds_write_b64 v9, v[2:3]
.LBB54_331:
	s_or_b32 exec_lo, exec_lo, s4
	s_waitcnt lgkmcnt(0)
	s_waitcnt_vscnt null, 0x0
	s_barrier
	buffer_gl0_inv
	s_clause 0x2c
	buffer_load_dword v150, off, s[0:3], 0 offset:60
	buffer_load_dword v151, off, s[0:3], 0 offset:68
	;; [unrolled: 1-line block ×45, first 2 shown]
	ds_read2_b64 v[159:162], v1 offset0:63 offset1:64
	ds_read2_b64 v[163:166], v1 offset0:65 offset1:66
	s_mov_b32 s4, exec_lo
	s_waitcnt vmcnt(44) lgkmcnt(1)
	v_mul_f32_e32 v152, v159, v150
	v_mul_f32_e32 v167, v160, v150
	s_waitcnt vmcnt(43)
	v_mul_f32_e32 v150, v161, v151
	v_mul_f32_e32 v168, v162, v151
	buffer_load_dword v151, off, s[0:3], 0 offset:52
	s_waitcnt vmcnt(41)
	v_fmac_f32_e32 v152, v160, v11
	v_fma_f32 v11, v159, v11, -v167
	v_fmac_f32_e32 v150, v162, v7
	v_fma_f32 v167, v161, v7, -v168
	ds_read2_b64 v[159:162], v1 offset0:67 offset1:68
	s_waitcnt vmcnt(40) lgkmcnt(1)
	v_mul_f32_e32 v168, v163, v4
	s_waitcnt vmcnt(39)
	v_mul_f32_e32 v169, v165, v5
	v_mul_f32_e32 v4, v164, v4
	;; [unrolled: 1-line block ×3, first 2 shown]
	v_fmac_f32_e32 v168, v164, v2
	s_waitcnt vmcnt(35)
	v_fmac_f32_e32 v169, v166, v124
	v_fma_f32 v170, v163, v2, -v4
	v_fma_f32 v171, v165, v124, -v5
	ds_read2_b64 v[163:166], v1 offset0:69 offset1:70
	s_waitcnt vmcnt(34) lgkmcnt(1)
	v_mul_f32_e32 v172, v159, v123
	v_mul_f32_e32 v2, v160, v123
	s_waitcnt vmcnt(33)
	v_mul_f32_e32 v173, v161, v122
	v_mul_f32_e32 v4, v162, v122
	v_fmac_f32_e32 v172, v160, v10
	v_fma_f32 v10, v159, v10, -v2
	v_fmac_f32_e32 v173, v162, v6
	v_fma_f32 v159, v161, v6, -v4
	ds_read2_b64 v[4:7], v1 offset0:71 offset1:72
	s_waitcnt vmcnt(32) lgkmcnt(1)
	v_mul_f32_e32 v160, v163, v8
	v_mul_f32_e32 v2, v164, v8
	s_waitcnt vmcnt(31)
	v_mul_f32_e32 v8, v165, v125
	v_mul_f32_e32 v122, v166, v125
	v_fmac_f32_e32 v160, v164, v3
	v_fma_f32 v161, v163, v3, -v2
	s_waitcnt vmcnt(27)
	v_fmac_f32_e32 v8, v166, v133
	v_fma_f32 v133, v165, v133, -v122
	ds_read2_b64 v[122:125], v1 offset0:73 offset1:74
	buffer_load_dword v163, off, s[0:3], 0 offset:244
	s_waitcnt vmcnt(27) lgkmcnt(1)
	v_mul_f32_e32 v162, v4, v131
	v_mul_f32_e32 v2, v5, v131
	s_waitcnt vmcnt(26)
	v_mul_f32_e32 v3, v7, v130
	v_mul_f32_e32 v131, v6, v130
	v_fmac_f32_e32 v162, v5, v129
	v_fma_f32 v129, v4, v129, -v2
	v_fma_f32 v6, v6, v127, -v3
	ds_read2_b64 v[2:5], v1 offset0:75 offset1:76
	v_fmac_f32_e32 v131, v7, v127
	s_waitcnt vmcnt(25) lgkmcnt(1)
	v_mul_f32_e32 v7, v122, v128
	v_mul_f32_e32 v127, v123, v128
	s_waitcnt vmcnt(24)
	v_mul_f32_e32 v128, v124, v132
	v_mul_f32_e32 v130, v125, v132
	v_fmac_f32_e32 v7, v123, v126
	v_fma_f32 v126, v122, v126, -v127
	s_waitcnt vmcnt(20)
	v_fmac_f32_e32 v128, v125, v141
	v_fma_f32 v127, v124, v141, -v130
	ds_read2_b64 v[122:125], v1 offset0:77 offset1:78
	s_waitcnt vmcnt(19) lgkmcnt(1)
	v_mul_f32_e32 v130, v2, v139
	v_mul_f32_e32 v132, v3, v139
	s_waitcnt vmcnt(18)
	v_mul_f32_e32 v139, v4, v138
	v_mul_f32_e32 v138, v5, v138
	v_fmac_f32_e32 v130, v3, v137
	v_fma_f32 v132, v2, v137, -v132
	v_fmac_f32_e32 v139, v5, v135
	v_fma_f32 v135, v4, v135, -v138
	ds_read2_b64 v[2:5], v1 offset0:79 offset1:80
	s_waitcnt vmcnt(17) lgkmcnt(1)
	v_mul_f32_e32 v137, v122, v136
	v_mul_f32_e32 v136, v123, v136
	s_waitcnt vmcnt(16)
	v_mul_f32_e32 v138, v124, v140
	v_mul_f32_e32 v140, v125, v140
	v_fmac_f32_e32 v137, v123, v134
	v_fma_f32 v134, v122, v134, -v136
	s_waitcnt vmcnt(12)
	v_fmac_f32_e32 v138, v125, v149
	v_fma_f32 v136, v124, v149, -v140
	ds_read2_b64 v[122:125], v1 offset0:81 offset1:82
	buffer_load_dword v149, off, s[0:3], 0 offset:236
	s_waitcnt vmcnt(12) lgkmcnt(1)
	v_mul_f32_e32 v140, v2, v147
	v_mul_f32_e32 v141, v3, v147
	s_waitcnt vmcnt(11)
	v_mul_f32_e32 v147, v4, v146
	v_mul_f32_e32 v146, v5, v146
	v_fmac_f32_e32 v140, v3, v145
	v_fma_f32 v141, v2, v145, -v141
	v_fmac_f32_e32 v147, v5, v143
	v_fma_f32 v143, v4, v143, -v146
	ds_read2_b64 v[2:5], v1 offset0:83 offset1:84
	s_waitcnt vmcnt(10) lgkmcnt(1)
	v_mul_f32_e32 v145, v122, v144
	v_mul_f32_e32 v144, v123, v144
	s_waitcnt vmcnt(9)
	v_mul_f32_e32 v146, v124, v148
	v_mul_f32_e32 v148, v125, v148
	v_fmac_f32_e32 v145, v123, v142
	v_fma_f32 v142, v122, v142, -v144
	s_waitcnt vmcnt(5)
	v_fmac_f32_e32 v146, v125, v158
	v_fma_f32 v144, v124, v158, -v148
	ds_read2_b64 v[122:125], v1 offset0:85 offset1:86
	s_waitcnt vmcnt(4) lgkmcnt(1)
	v_mul_f32_e32 v148, v2, v157
	v_mul_f32_e32 v157, v3, v157
	s_waitcnt vmcnt(3)
	v_mul_f32_e32 v158, v4, v156
	v_mul_f32_e32 v156, v5, v156
	v_fmac_f32_e32 v148, v3, v155
	v_fma_f32 v155, v2, v155, -v157
	v_fmac_f32_e32 v158, v5, v154
	v_fma_f32 v154, v4, v154, -v156
	s_clause 0x4
	buffer_load_dword v156, off, s[0:3], 0 offset:264
	buffer_load_dword v157, off, s[0:3], 0 offset:256
	;; [unrolled: 1-line block ×5, first 2 shown]
	s_waitcnt vmcnt(5) lgkmcnt(0)
	v_mul_f32_e32 v166, v122, v149
	v_mul_f32_e32 v3, v123, v149
	v_fmac_f32_e32 v166, v123, v153
	v_fma_f32 v149, v122, v153, -v3
	v_mul_f32_e32 v153, v124, v163
	v_mul_f32_e32 v3, v125, v163
	s_waitcnt vmcnt(1)
	v_fmac_f32_e32 v153, v125, v2
	v_fma_f32 v163, v124, v2, -v3
	ds_read2_b64 v[2:5], v1 offset0:87 offset1:88
	ds_read2_b64 v[122:125], v1 offset0:89 offset1:90
	s_waitcnt vmcnt(0) lgkmcnt(1)
	v_mul_f32_e32 v174, v2, v165
	v_mul_f32_e32 v165, v3, v165
	v_fmac_f32_e32 v174, v3, v164
	v_fma_f32 v164, v2, v164, -v165
	buffer_load_dword v2, off, s[0:3], 0 offset:260
	s_waitcnt vmcnt(0)
	v_mul_f32_e32 v165, v4, v2
	v_mul_f32_e32 v2, v5, v2
	v_fmac_f32_e32 v165, v5, v157
	v_fma_f32 v157, v4, v157, -v2
	buffer_load_dword v2, off, s[0:3], 0 offset:268
	s_waitcnt vmcnt(0) lgkmcnt(0)
	v_mul_f32_e32 v175, v122, v2
	v_mul_f32_e32 v2, v123, v2
	v_fmac_f32_e32 v175, v123, v156
	v_fma_f32 v156, v122, v156, -v2
	s_clause 0x5
	buffer_load_dword v2, off, s[0:3], 0 offset:276
	buffer_load_dword v176, off, s[0:3], 0 offset:296
	;; [unrolled: 1-line block ×6, first 2 shown]
	s_waitcnt vmcnt(5)
	v_mul_f32_e32 v179, v124, v2
	v_mul_f32_e32 v2, v125, v2
	s_waitcnt vmcnt(1)
	v_fmac_f32_e32 v179, v125, v3
	v_fma_f32 v180, v124, v3, -v2
	ds_read2_b64 v[2:5], v1 offset0:91 offset1:92
	ds_read2_b64 v[122:125], v1 offset0:93 offset1:94
	s_waitcnt vmcnt(0) lgkmcnt(1)
	v_mul_f32_e32 v182, v2, v181
	v_mul_f32_e32 v181, v3, v181
	v_fmac_f32_e32 v182, v3, v178
	v_fma_f32 v178, v2, v178, -v181
	buffer_load_dword v2, off, s[0:3], 0 offset:292
	v_add_f32_e32 v3, 0, v11
	v_add_f32_e32 v3, v3, v167
	;; [unrolled: 1-line block ×22, first 2 shown]
	s_waitcnt vmcnt(0)
	v_mul_f32_e32 v181, v4, v2
	v_mul_f32_e32 v2, v5, v2
	v_fmac_f32_e32 v181, v5, v177
	v_fma_f32 v177, v4, v177, -v2
	s_clause 0x1
	buffer_load_dword v4, off, s[0:3], 0 offset:300
	buffer_load_dword v5, off, s[0:3], 0 offset:308
	v_add_f32_e32 v2, 0, v152
	v_add_f32_e32 v2, v2, v150
	;; [unrolled: 1-line block ×8, first 2 shown]
	s_clause 0x6
	buffer_load_dword v8, off, s[0:3], 0 offset:328
	buffer_load_dword v10, off, s[0:3], 0 offset:320
	;; [unrolled: 1-line block ×7, first 2 shown]
	v_add_f32_e32 v2, v2, v162
	v_add_f32_e32 v2, v2, v131
	;; [unrolled: 1-line block ×3, first 2 shown]
	s_clause 0x8
	buffer_load_dword v7, off, s[0:3], 0 offset:340
	buffer_load_dword v159, off, s[0:3], 0 offset:360
	;; [unrolled: 1-line block ×9, first 2 shown]
	v_add_f32_e32 v2, v2, v128
	v_add_f32_e32 v2, v2, v130
	v_add_f32_e32 v2, v2, v139
	v_add_f32_e32 v2, v2, v137
	v_add_f32_e32 v2, v2, v138
	v_add_f32_e32 v2, v2, v140
	v_add_f32_e32 v2, v2, v147
	v_add_f32_e32 v2, v2, v145
	v_add_f32_e32 v2, v2, v146
	v_add_f32_e32 v2, v2, v148
	v_add_f32_e32 v2, v2, v158
	s_waitcnt vmcnt(17) lgkmcnt(0)
	v_mul_f32_e32 v131, v122, v4
	v_mul_f32_e32 v4, v123, v4
	s_waitcnt vmcnt(16)
	v_mul_f32_e32 v168, v124, v5
	v_fmac_f32_e32 v131, v123, v176
	v_fma_f32 v152, v122, v176, -v4
	s_clause 0x11
	buffer_load_dword v172, off, s[0:3], 0 offset:380
	buffer_load_dword v173, off, s[0:3], 0 offset:388
	buffer_load_dword v176, off, s[0:3], 0 offset:396
	buffer_load_dword v183, off, s[0:3], 0 offset:404
	buffer_load_dword v184, off, s[0:3], 0 offset:412
	buffer_load_dword v185, off, s[0:3], 0 offset:420
	buffer_load_dword v186, off, s[0:3], 0 offset:428
	buffer_load_dword v187, off, s[0:3], 0 offset:436
	buffer_load_dword v143, off, s[0:3], 0 offset:392
	buffer_load_dword v147, off, s[0:3], 0 offset:384
	buffer_load_dword v188, off, s[0:3], 0 offset:376
	buffer_load_dword v189, off, s[0:3], 0 offset:368
	buffer_load_dword v142, off, s[0:3], 0 offset:424
	buffer_load_dword v144, off, s[0:3], 0 offset:416
	buffer_load_dword v145, off, s[0:3], 0 offset:408
	buffer_load_dword v146, off, s[0:3], 0 offset:400
	buffer_load_dword v148, off, s[0:3], 0 offset:432
	buffer_load_dword v155, off, s[0:3], 0 offset:48
	v_mul_f32_e32 v4, v125, v5
	v_add_f32_e32 v122, v2, v166
	v_add_f32_e32 v123, v3, v149
	;; [unrolled: 1-line block ×10, first 2 shown]
	s_waitcnt vmcnt(30)
	v_fma_f32 v139, v124, v133, -v4
	ds_read2_b64 v[2:5], v1 offset0:95 offset1:96
	v_fmac_f32_e32 v168, v125, v133
	ds_read2_b64 v[122:125], v1 offset0:97 offset1:98
	v_add_f32_e32 v132, v126, v179
	v_add_f32_e32 v130, v130, v180
	;; [unrolled: 1-line block ×4, first 2 shown]
	s_waitcnt vmcnt(29) lgkmcnt(1)
	v_mul_f32_e32 v138, v2, v150
	v_mul_f32_e32 v128, v3, v150
	s_waitcnt vmcnt(28)
	v_mul_f32_e32 v149, v4, v129
	v_mul_f32_e32 v129, v5, v129
	s_waitcnt vmcnt(27) lgkmcnt(0)
	v_mul_f32_e32 v150, v122, v6
	v_fmac_f32_e32 v138, v3, v11
	v_fma_f32 v11, v2, v11, -v128
	v_fmac_f32_e32 v149, v5, v10
	v_fma_f32 v10, v4, v10, -v129
	ds_read2_b64 v[2:5], v1 offset0:99 offset1:100
	ds_read2_b64 v[126:129], v1 offset0:101 offset1:102
	v_mul_f32_e32 v6, v123, v6
	v_fmac_f32_e32 v150, v123, v8
	v_add_f32_e32 v123, v132, v181
	s_waitcnt vmcnt(26)
	v_mul_f32_e32 v153, v124, v7
	v_mul_f32_e32 v7, v125, v7
	v_fma_f32 v6, v122, v8, -v6
	v_add_f32_e32 v8, v130, v177
	v_add_f32_e32 v134, v123, v131
	s_waitcnt vmcnt(22)
	v_fmac_f32_e32 v153, v125, v162
	v_fma_f32 v7, v124, v162, -v7
	ds_read2_b64 v[122:125], v1 offset0:103 offset1:104
	ds_read2_b64 v[130:133], v1 offset0:105 offset1:106
	v_add_f32_e32 v8, v8, v152
	v_add_f32_e32 v141, v134, v168
	ds_read2_b64 v[134:137], v1 offset0:107 offset1:108
	v_add_f32_e32 v8, v8, v139
	s_waitcnt vmcnt(21) lgkmcnt(4)
	v_mul_f32_e32 v152, v2, v167
	v_mul_f32_e32 v140, v3, v167
	s_waitcnt vmcnt(19) lgkmcnt(3)
	v_mul_f32_e32 v154, v127, v170
	v_fmac_f32_e32 v152, v3, v161
	v_fma_f32 v2, v2, v161, -v140
	v_add_f32_e32 v3, v141, v138
	ds_read2_b64 v[138:141], v1 offset0:109 offset1:110
	v_add_f32_e32 v1, v8, v11
	v_mul_f32_e32 v11, v5, v169
	v_mul_f32_e32 v8, v4, v169
	v_add_f32_e32 v3, v3, v149
	v_mul_f32_e32 v149, v126, v170
	v_add_f32_e32 v1, v1, v10
	v_fma_f32 v4, v4, v160, -v11
	v_fmac_f32_e32 v8, v5, v160
	v_add_f32_e32 v3, v3, v150
	v_fma_f32 v126, v126, v159, -v154
	v_add_f32_e32 v1, v1, v6
	s_waitcnt vmcnt(18)
	v_mul_f32_e32 v10, v128, v171
	v_fmac_f32_e32 v149, v127, v159
	v_add_f32_e32 v3, v3, v153
	v_add_f32_e32 v1, v1, v7
	v_mul_f32_e32 v7, v129, v171
	v_add_f32_e32 v1, v1, v2
	v_add_f32_e32 v2, v3, v152
	;; [unrolled: 1-line block ×6, first 2 shown]
	s_waitcnt vmcnt(14) lgkmcnt(2)
	v_mul_f32_e32 v150, v132, v183
	v_mul_f32_e32 v4, v123, v172
	;; [unrolled: 1-line block ×5, first 2 shown]
	s_waitcnt vmcnt(6)
	v_fma_f32 v7, v128, v189, -v7
	v_fmac_f32_e32 v10, v129, v189
	v_fma_f32 v4, v122, v188, -v4
	v_fmac_f32_e32 v5, v123, v188
	v_fma_f32 v8, v124, v147, -v8
	v_add_f32_e32 v1, v1, v7
	v_add_f32_e32 v2, v2, v10
	v_mul_f32_e32 v7, v131, v176
	v_mul_f32_e32 v6, v130, v176
	v_fmac_f32_e32 v11, v125, v147
	v_add_f32_e32 v1, v1, v4
	v_add_f32_e32 v2, v2, v5
	v_mul_f32_e32 v4, v133, v183
	v_fma_f32 v5, v130, v143, -v7
	v_fmac_f32_e32 v6, v131, v143
	v_add_f32_e32 v1, v1, v8
	v_add_f32_e32 v2, v2, v11
	s_waitcnt lgkmcnt(1)
	v_mul_f32_e32 v7, v135, v184
	s_waitcnt vmcnt(2)
	v_fma_f32 v4, v132, v146, -v4
	v_mul_f32_e32 v156, v134, v184
	v_add_f32_e32 v1, v1, v5
	v_fmac_f32_e32 v150, v133, v146
	v_add_f32_e32 v2, v2, v6
	v_mul_f32_e32 v5, v137, v185
	v_fma_f32 v6, v134, v145, -v7
	v_add_f32_e32 v1, v1, v4
	v_mul_f32_e32 v153, v136, v185
	v_fmac_f32_e32 v156, v135, v145
	v_add_f32_e32 v2, v2, v150
	s_waitcnt lgkmcnt(0)
	v_mul_f32_e32 v4, v139, v186
	v_fma_f32 v5, v136, v144, -v5
	v_add_f32_e32 v1, v1, v6
	v_mul_f32_e32 v157, v138, v186
	v_fmac_f32_e32 v153, v137, v144
	v_add_f32_e32 v2, v2, v156
	v_mul_f32_e32 v6, v141, v187
	v_fma_f32 v4, v138, v142, -v4
	v_add_f32_e32 v1, v1, v5
	v_mul_f32_e32 v3, v140, v187
	v_fmac_f32_e32 v157, v139, v142
	v_add_f32_e32 v2, v2, v153
	s_waitcnt vmcnt(1)
	v_fma_f32 v5, v140, v148, -v6
	v_add_f32_e32 v1, v1, v4
	v_fmac_f32_e32 v3, v141, v148
	v_add_f32_e32 v2, v2, v157
	v_add_f32_e32 v1, v1, v5
	;; [unrolled: 1-line block ×3, first 2 shown]
	s_waitcnt vmcnt(0)
	v_sub_f32_e32 v1, v155, v1
	v_sub_f32_e32 v2, v151, v2
	buffer_store_dword v1, off, s[0:3], 0 offset:48
	buffer_store_dword v2, off, s[0:3], 0 offset:52
	v_cmpx_lt_u32_e32 5, v0
	s_cbranch_execz .LBB54_333
; %bb.332:
	s_clause 0x1
	buffer_load_dword v1, off, s[0:3], 0 offset:40
	buffer_load_dword v2, off, s[0:3], 0 offset:44
	v_mov_b32_e32 v3, 0
	buffer_store_dword v3, off, s[0:3], 0 offset:40
	buffer_store_dword v3, off, s[0:3], 0 offset:44
	s_waitcnt vmcnt(0)
	ds_write_b64 v9, v[1:2]
.LBB54_333:
	s_or_b32 exec_lo, exec_lo, s4
	s_waitcnt lgkmcnt(0)
	s_waitcnt_vscnt null, 0x0
	s_barrier
	buffer_gl0_inv
	s_clause 0x2c
	buffer_load_dword v150, off, s[0:3], 0 offset:52
	buffer_load_dword v151, off, s[0:3], 0 offset:60
	;; [unrolled: 1-line block ×45, first 2 shown]
	v_mov_b32_e32 v1, 0
	ds_read_b128 v[159:162], v1 offset:496
	ds_read_b128 v[163:166], v1 offset:512
	s_mov_b32 s4, exec_lo
	s_waitcnt vmcnt(44) lgkmcnt(1)
	v_mul_f32_e32 v152, v159, v150
	v_mul_f32_e32 v167, v160, v150
	s_waitcnt vmcnt(43)
	v_mul_f32_e32 v150, v161, v151
	v_mul_f32_e32 v168, v162, v151
	buffer_load_dword v151, off, s[0:3], 0 offset:44
	s_waitcnt vmcnt(41)
	v_fmac_f32_e32 v152, v160, v11
	v_fma_f32 v11, v159, v11, -v167
	v_fmac_f32_e32 v150, v162, v7
	v_fma_f32 v167, v161, v7, -v168
	ds_read_b128 v[159:162], v1 offset:528
	s_waitcnt vmcnt(40) lgkmcnt(1)
	v_mul_f32_e32 v168, v163, v4
	s_waitcnt vmcnt(39)
	v_mul_f32_e32 v169, v165, v5
	v_mul_f32_e32 v4, v164, v4
	;; [unrolled: 1-line block ×3, first 2 shown]
	v_fmac_f32_e32 v168, v164, v2
	s_waitcnt vmcnt(35)
	v_fmac_f32_e32 v169, v166, v124
	v_fma_f32 v170, v163, v2, -v4
	v_fma_f32 v171, v165, v124, -v5
	ds_read_b128 v[163:166], v1 offset:544
	s_waitcnt vmcnt(34) lgkmcnt(1)
	v_mul_f32_e32 v172, v159, v123
	v_mul_f32_e32 v2, v160, v123
	s_waitcnt vmcnt(33)
	v_mul_f32_e32 v173, v161, v122
	v_mul_f32_e32 v4, v162, v122
	v_fmac_f32_e32 v172, v160, v10
	v_fma_f32 v10, v159, v10, -v2
	v_fmac_f32_e32 v173, v162, v6
	v_fma_f32 v159, v161, v6, -v4
	ds_read_b128 v[4:7], v1 offset:560
	s_waitcnt vmcnt(32) lgkmcnt(1)
	v_mul_f32_e32 v160, v163, v8
	v_mul_f32_e32 v2, v164, v8
	s_waitcnt vmcnt(31)
	v_mul_f32_e32 v8, v165, v125
	v_mul_f32_e32 v122, v166, v125
	v_fmac_f32_e32 v160, v164, v3
	v_fma_f32 v161, v163, v3, -v2
	s_waitcnt vmcnt(27)
	v_fmac_f32_e32 v8, v166, v133
	v_fma_f32 v133, v165, v133, -v122
	ds_read_b128 v[122:125], v1 offset:576
	buffer_load_dword v163, off, s[0:3], 0 offset:236
	s_waitcnt vmcnt(27) lgkmcnt(1)
	v_mul_f32_e32 v162, v4, v131
	v_mul_f32_e32 v2, v5, v131
	s_waitcnt vmcnt(26)
	v_mul_f32_e32 v3, v7, v130
	v_mul_f32_e32 v131, v6, v130
	v_fmac_f32_e32 v162, v5, v129
	v_fma_f32 v129, v4, v129, -v2
	v_fma_f32 v6, v6, v127, -v3
	ds_read_b128 v[2:5], v1 offset:592
	v_fmac_f32_e32 v131, v7, v127
	s_waitcnt vmcnt(25) lgkmcnt(1)
	v_mul_f32_e32 v7, v122, v128
	v_mul_f32_e32 v127, v123, v128
	s_waitcnt vmcnt(24)
	v_mul_f32_e32 v128, v124, v132
	v_mul_f32_e32 v130, v125, v132
	v_fmac_f32_e32 v7, v123, v126
	v_fma_f32 v126, v122, v126, -v127
	s_waitcnt vmcnt(20)
	v_fmac_f32_e32 v128, v125, v141
	v_fma_f32 v127, v124, v141, -v130
	ds_read_b128 v[122:125], v1 offset:608
	s_waitcnt vmcnt(19) lgkmcnt(1)
	v_mul_f32_e32 v130, v2, v139
	v_mul_f32_e32 v132, v3, v139
	s_waitcnt vmcnt(18)
	v_mul_f32_e32 v139, v4, v138
	v_mul_f32_e32 v138, v5, v138
	v_fmac_f32_e32 v130, v3, v137
	v_fma_f32 v132, v2, v137, -v132
	v_fmac_f32_e32 v139, v5, v135
	v_fma_f32 v135, v4, v135, -v138
	ds_read_b128 v[2:5], v1 offset:624
	s_waitcnt vmcnt(17) lgkmcnt(1)
	v_mul_f32_e32 v137, v122, v136
	v_mul_f32_e32 v136, v123, v136
	s_waitcnt vmcnt(16)
	v_mul_f32_e32 v138, v124, v140
	v_mul_f32_e32 v140, v125, v140
	v_fmac_f32_e32 v137, v123, v134
	v_fma_f32 v134, v122, v134, -v136
	s_waitcnt vmcnt(12)
	v_fmac_f32_e32 v138, v125, v148
	v_fma_f32 v136, v124, v148, -v140
	ds_read_b128 v[122:125], v1 offset:640
	s_waitcnt vmcnt(11) lgkmcnt(1)
	v_mul_f32_e32 v140, v2, v147
	v_mul_f32_e32 v141, v3, v147
	s_waitcnt vmcnt(10)
	v_mul_f32_e32 v147, v4, v146
	v_mul_f32_e32 v146, v5, v146
	v_fmac_f32_e32 v140, v3, v145
	v_fma_f32 v141, v2, v145, -v141
	v_fmac_f32_e32 v147, v5, v143
	v_fma_f32 v143, v4, v143, -v146
	ds_read_b128 v[2:5], v1 offset:656
	s_waitcnt vmcnt(8) lgkmcnt(1)
	v_mul_f32_e32 v146, v124, v149
	v_mul_f32_e32 v148, v125, v149
	buffer_load_dword v149, off, s[0:3], 0 offset:228
	v_mul_f32_e32 v145, v122, v144
	v_mul_f32_e32 v144, v123, v144
	s_waitcnt vmcnt(5)
	v_fmac_f32_e32 v146, v125, v158
	v_fmac_f32_e32 v145, v123, v142
	v_fma_f32 v142, v122, v142, -v144
	v_fma_f32 v144, v124, v158, -v148
	ds_read_b128 v[122:125], v1 offset:672
	s_waitcnt vmcnt(4) lgkmcnt(1)
	v_mul_f32_e32 v148, v2, v157
	v_mul_f32_e32 v157, v3, v157
	s_waitcnt vmcnt(3)
	v_mul_f32_e32 v158, v4, v156
	v_mul_f32_e32 v156, v5, v156
	v_fmac_f32_e32 v148, v3, v155
	v_fma_f32 v155, v2, v155, -v157
	v_fmac_f32_e32 v158, v5, v154
	v_fma_f32 v154, v4, v154, -v156
	s_clause 0x4
	buffer_load_dword v156, off, s[0:3], 0 offset:256
	buffer_load_dword v157, off, s[0:3], 0 offset:248
	;; [unrolled: 1-line block ×5, first 2 shown]
	s_waitcnt vmcnt(5) lgkmcnt(0)
	v_mul_f32_e32 v166, v122, v149
	v_mul_f32_e32 v3, v123, v149
	v_fmac_f32_e32 v166, v123, v153
	v_fma_f32 v149, v122, v153, -v3
	v_mul_f32_e32 v153, v124, v163
	v_mul_f32_e32 v3, v125, v163
	s_waitcnt vmcnt(1)
	v_fmac_f32_e32 v153, v125, v2
	v_fma_f32 v163, v124, v2, -v3
	ds_read_b128 v[2:5], v1 offset:688
	ds_read_b128 v[122:125], v1 offset:704
	s_waitcnt vmcnt(0) lgkmcnt(1)
	v_mul_f32_e32 v174, v2, v165
	v_mul_f32_e32 v165, v3, v165
	v_fmac_f32_e32 v174, v3, v164
	v_fma_f32 v164, v2, v164, -v165
	s_clause 0x1
	buffer_load_dword v2, off, s[0:3], 0 offset:252
	buffer_load_dword v3, off, s[0:3], 0 offset:260
	s_waitcnt vmcnt(1)
	v_mul_f32_e32 v165, v4, v2
	v_mul_f32_e32 v2, v5, v2
	v_fmac_f32_e32 v165, v5, v157
	v_fma_f32 v157, v4, v157, -v2
	v_add_f32_e32 v2, 0, v152
	v_add_f32_e32 v4, 0, v11
	buffer_load_dword v11, off, s[0:3], 0 offset:268
	v_add_f32_e32 v2, v2, v150
	v_add_f32_e32 v4, v4, v167
	v_add_f32_e32 v2, v2, v168
	s_clause 0x3
	buffer_load_dword v150, off, s[0:3], 0 offset:288
	buffer_load_dword v152, off, s[0:3], 0 offset:280
	;; [unrolled: 1-line block ×4, first 2 shown]
	v_add_f32_e32 v4, v4, v170
	buffer_load_dword v170, off, s[0:3], 0 offset:292
	v_add_f32_e32 v2, v2, v169
	buffer_load_dword v169, off, s[0:3], 0 offset:276
	v_add_f32_e32 v4, v4, v171
	v_add_f32_e32 v2, v2, v172
	;; [unrolled: 1-line block ×3, first 2 shown]
	buffer_load_dword v10, off, s[0:3], 0 offset:284
	v_add_f32_e32 v2, v2, v173
	v_add_f32_e32 v4, v4, v159
	buffer_load_dword v159, off, s[0:3], 0 offset:300
	v_add_f32_e32 v2, v2, v160
	v_add_f32_e32 v4, v4, v161
	;; [unrolled: 1-line block ×4, first 2 shown]
	s_clause 0x3
	buffer_load_dword v8, off, s[0:3], 0 offset:320
	buffer_load_dword v133, off, s[0:3], 0 offset:312
	;; [unrolled: 1-line block ×4, first 2 shown]
	v_add_f32_e32 v2, v2, v162
	buffer_load_dword v162, off, s[0:3], 0 offset:308
	v_add_f32_e32 v4, v4, v129
	s_waitcnt vmcnt(14) lgkmcnt(0)
	v_mul_f32_e32 v129, v122, v3
	v_mul_f32_e32 v3, v123, v3
	v_add_f32_e32 v2, v2, v131
	v_add_f32_e32 v6, v4, v6
	v_fmac_f32_e32 v129, v123, v156
	v_fma_f32 v131, v122, v156, -v3
	v_add_f32_e32 v7, v2, v7
	ds_read_b128 v[2:5], v1 offset:720
	v_add_f32_e32 v6, v6, v126
	buffer_load_dword v126, off, s[0:3], 0 offset:316
	v_add_f32_e32 v7, v7, v128
	v_add_f32_e32 v6, v6, v127
	buffer_load_dword v127, off, s[0:3], 0 offset:324
	v_add_f32_e32 v7, v7, v130
	buffer_load_dword v130, off, s[0:3], 0 offset:332
	v_add_f32_e32 v6, v6, v132
	v_add_f32_e32 v7, v7, v139
	;; [unrolled: 1-line block ×4, first 2 shown]
	s_waitcnt vmcnt(16)
	v_mul_f32_e32 v128, v124, v11
	v_mul_f32_e32 v11, v125, v11
	s_waitcnt vmcnt(12)
	v_fmac_f32_e32 v128, v125, v168
	v_fma_f32 v11, v124, v168, -v11
	ds_read_b128 v[122:125], v1 offset:736
	s_clause 0x3
	buffer_load_dword v156, off, s[0:3], 0 offset:352
	buffer_load_dword v168, off, s[0:3], 0 offset:344
	;; [unrolled: 1-line block ×4, first 2 shown]
	s_waitcnt vmcnt(14) lgkmcnt(1)
	v_mul_f32_e32 v139, v3, v169
	v_mul_f32_e32 v132, v2, v169
	v_fma_f32 v139, v2, v167, -v139
	v_add_f32_e32 v2, v6, v134
	s_clause 0x1
	buffer_load_dword v6, off, s[0:3], 0 offset:340
	buffer_load_dword v134, off, s[0:3], 0 offset:348
	v_fmac_f32_e32 v132, v3, v167
	v_add_f32_e32 v3, v7, v138
	buffer_load_dword v138, off, s[0:3], 0 offset:356
	v_add_f32_e32 v2, v2, v136
	s_waitcnt vmcnt(16)
	v_mul_f32_e32 v7, v4, v10
	v_mul_f32_e32 v10, v5, v10
	v_add_f32_e32 v3, v3, v140
	v_add_f32_e32 v136, v2, v141
	s_waitcnt lgkmcnt(0)
	v_mul_f32_e32 v169, v123, v170
	v_fmac_f32_e32 v7, v5, v152
	v_add_f32_e32 v147, v3, v147
	v_fma_f32 v10, v4, v152, -v10
	v_add_f32_e32 v136, v136, v143
	v_mul_f32_e32 v143, v122, v170
	s_clause 0x3
	buffer_load_dword v140, off, s[0:3], 0 offset:364
	buffer_load_dword v141, off, s[0:3], 0 offset:372
	;; [unrolled: 1-line block ×4, first 2 shown]
	v_add_f32_e32 v145, v147, v145
	ds_read_b128 v[2:5], v1 offset:752
	v_add_f32_e32 v136, v136, v142
	v_fmac_f32_e32 v143, v123, v150
	v_fma_f32 v150, v122, v150, -v169
	v_add_f32_e32 v122, v145, v146
	s_waitcnt vmcnt(19)
	v_mul_f32_e32 v147, v124, v159
	v_mul_f32_e32 v142, v125, v159
	v_add_f32_e32 v123, v136, v144
	s_clause 0x3
	buffer_load_dword v144, off, s[0:3], 0 offset:396
	buffer_load_dword v145, off, s[0:3], 0 offset:404
	buffer_load_dword v146, off, s[0:3], 0 offset:412
	buffer_load_dword v159, off, s[0:3], 0 offset:420
	v_add_f32_e32 v122, v122, v148
	s_waitcnt vmcnt(19)
	v_fmac_f32_e32 v147, v125, v161
	v_fma_f32 v136, v124, v161, -v142
	buffer_load_dword v142, off, s[0:3], 0 offset:428
	v_add_f32_e32 v123, v123, v155
	s_clause 0x4
	buffer_load_dword v148, off, s[0:3], 0 offset:384
	buffer_load_dword v155, off, s[0:3], 0 offset:376
	;; [unrolled: 1-line block ×5, first 2 shown]
	v_add_f32_e32 v122, v122, v158
	v_add_f32_e32 v154, v123, v154
	;; [unrolled: 1-line block ×3, first 2 shown]
	ds_read_b128 v[122:125], v1 offset:768
	v_add_f32_e32 v149, v154, v149
	s_waitcnt vmcnt(24) lgkmcnt(1)
	v_mul_f32_e32 v154, v2, v162
	v_mul_f32_e32 v162, v3, v162
	v_add_f32_e32 v153, v158, v153
	v_fmac_f32_e32 v154, v3, v160
	v_fma_f32 v158, v2, v160, -v162
	v_add_f32_e32 v2, v149, v163
	v_add_f32_e32 v3, v153, v174
	s_clause 0x3
	buffer_load_dword v149, off, s[0:3], 0 offset:416
	buffer_load_dword v153, off, s[0:3], 0 offset:408
	;; [unrolled: 1-line block ×4, first 2 shown]
	v_add_f32_e32 v2, v2, v164
	s_clause 0x1
	buffer_load_dword v163, off, s[0:3], 0 offset:432
	buffer_load_dword v164, off, s[0:3], 0 offset:424
	v_add_f32_e32 v3, v3, v165
	s_waitcnt vmcnt(29)
	v_mul_f32_e32 v165, v4, v126
	v_add_f32_e32 v2, v2, v157
	buffer_load_dword v157, off, s[0:3], 0 offset:40
	v_add_f32_e32 v129, v3, v129
	v_mul_f32_e32 v3, v5, v126
	v_fmac_f32_e32 v165, v5, v133
	v_add_f32_e32 v126, v2, v131
	s_waitcnt vmcnt(29) lgkmcnt(0)
	v_mul_f32_e32 v171, v122, v127
	v_add_f32_e32 v128, v129, v128
	v_fma_f32 v166, v4, v133, -v3
	ds_read_b128 v[2:5], v1 offset:784
	v_add_f32_e32 v11, v126, v11
	v_mul_f32_e32 v131, v123, v127
	v_add_f32_e32 v132, v128, v132
	ds_read_b128 v[126:129], v1 offset:800
	s_waitcnt vmcnt(28)
	v_mul_f32_e32 v172, v124, v130
	v_add_f32_e32 v11, v11, v139
	v_mul_f32_e32 v130, v125, v130
	v_add_f32_e32 v7, v132, v7
	v_fmac_f32_e32 v171, v123, v8
	v_fma_f32 v8, v122, v8, -v131
	v_add_f32_e32 v10, v11, v10
	v_add_f32_e32 v7, v7, v143
	;; [unrolled: 1-line block ×4, first 2 shown]
	s_waitcnt vmcnt(24)
	v_fma_f32 v11, v124, v137, -v130
	v_fmac_f32_e32 v172, v125, v137
	ds_read_b128 v[122:125], v1 offset:816
	ds_read_b128 v[130:133], v1 offset:832
	s_waitcnt vmcnt(23) lgkmcnt(3)
	v_mul_f32_e32 v139, v2, v6
	v_mul_f32_e32 v6, v3, v6
	s_waitcnt vmcnt(22)
	v_mul_f32_e32 v150, v5, v134
	v_mul_f32_e32 v143, v4, v134
	v_fmac_f32_e32 v139, v3, v135
	v_fma_f32 v173, v2, v135, -v6
	v_add_f32_e32 v2, v7, v147
	v_add_f32_e32 v6, v10, v158
	v_fma_f32 v10, v4, v168, -v150
	v_fmac_f32_e32 v143, v5, v168
	ds_read_b128 v[134:137], v1 offset:848
	v_add_f32_e32 v147, v2, v154
	v_add_f32_e32 v150, v6, v166
	s_waitcnt vmcnt(21) lgkmcnt(3)
	v_mul_f32_e32 v154, v126, v138
	v_mul_f32_e32 v138, v127, v138
	s_waitcnt vmcnt(20)
	v_mul_f32_e32 v158, v128, v140
	v_add_f32_e32 v147, v147, v165
	v_add_f32_e32 v8, v150, v8
	v_mul_f32_e32 v140, v129, v140
	v_fma_f32 v126, v126, v156, -v138
	v_fmac_f32_e32 v154, v127, v156
	v_add_f32_e32 v147, v147, v171
	v_add_f32_e32 v8, v8, v11
	s_waitcnt vmcnt(19) lgkmcnt(2)
	v_mul_f32_e32 v150, v122, v141
	v_mul_f32_e32 v141, v123, v141
	s_waitcnt vmcnt(18)
	v_mul_f32_e32 v11, v124, v152
	v_add_f32_e32 v147, v147, v172
	v_add_f32_e32 v8, v8, v173
	ds_read_b128 v[2:5], v1 offset:864
	s_waitcnt vmcnt(17) lgkmcnt(2)
	v_mul_f32_e32 v165, v130, v167
	s_waitcnt vmcnt(9)
	v_fma_f32 v122, v122, v161, -v141
	v_add_f32_e32 v138, v147, v139
	v_add_f32_e32 v8, v8, v10
	s_waitcnt vmcnt(8)
	v_fma_f32 v128, v128, v169, -v140
	v_fmac_f32_e32 v158, v129, v169
	v_mul_f32_e32 v129, v125, v152
	v_add_f32_e32 v138, v138, v143
	v_add_f32_e32 v8, v8, v126
	v_fmac_f32_e32 v150, v123, v161
	v_fmac_f32_e32 v11, v125, v155
	v_fma_f32 v124, v124, v155, -v129
	v_add_f32_e32 v126, v138, v154
	v_add_f32_e32 v8, v8, v128
	v_mul_f32_e32 v166, v132, v144
	v_fmac_f32_e32 v165, v131, v148
	ds_read_b64 v[6:7], v1 offset:880
	v_add_f32_e32 v123, v126, v158
	v_mul_f32_e32 v126, v131, v167
	v_add_f32_e32 v8, v8, v122
	s_waitcnt lgkmcnt(2)
	v_mul_f32_e32 v168, v134, v145
	v_mul_f32_e32 v127, v136, v146
	v_add_f32_e32 v122, v123, v150
	v_mul_f32_e32 v123, v133, v144
	v_fma_f32 v125, v130, v148, -v126
	v_add_f32_e32 v8, v8, v124
	s_waitcnt vmcnt(3)
	v_fmac_f32_e32 v166, v133, v162
	v_add_f32_e32 v11, v122, v11
	v_mul_f32_e32 v122, v135, v145
	v_fma_f32 v123, v132, v162, -v123
	v_add_f32_e32 v8, v8, v125
	v_mul_f32_e32 v124, v137, v146
	v_add_f32_e32 v11, v11, v165
	v_fma_f32 v122, v134, v160, -v122
	v_fmac_f32_e32 v168, v135, v160
	v_add_f32_e32 v8, v8, v123
	s_waitcnt lgkmcnt(1)
	v_mul_f32_e32 v139, v2, v159
	v_add_f32_e32 v11, v11, v166
	v_mul_f32_e32 v123, v3, v159
	v_fma_f32 v124, v136, v153, -v124
	v_add_f32_e32 v8, v8, v122
	v_fmac_f32_e32 v127, v137, v153
	v_add_f32_e32 v11, v11, v168
	v_mul_f32_e32 v122, v5, v142
	v_fmac_f32_e32 v139, v3, v149
	v_fma_f32 v2, v2, v149, -v123
	v_add_f32_e32 v3, v8, v124
	v_mul_f32_e32 v10, v4, v142
	v_add_f32_e32 v8, v11, v127
	s_waitcnt lgkmcnt(0)
	v_mul_f32_e32 v11, v7, v170
	s_waitcnt vmcnt(1)
	v_fma_f32 v4, v4, v164, -v122
	v_add_f32_e32 v2, v3, v2
	v_mul_f32_e32 v143, v6, v170
	v_fmac_f32_e32 v10, v5, v164
	v_add_f32_e32 v3, v8, v139
	v_fma_f32 v5, v6, v163, -v11
	v_add_f32_e32 v2, v2, v4
	v_fmac_f32_e32 v143, v7, v163
	v_add_f32_e32 v3, v3, v10
	v_add_f32_e32 v2, v2, v5
	v_add_f32_e32 v3, v3, v143
	s_waitcnt vmcnt(0)
	v_sub_f32_e32 v2, v157, v2
	v_sub_f32_e32 v3, v151, v3
	buffer_store_dword v2, off, s[0:3], 0 offset:40
	buffer_store_dword v3, off, s[0:3], 0 offset:44
	v_cmpx_lt_u32_e32 4, v0
	s_cbranch_execz .LBB54_335
; %bb.334:
	s_clause 0x1
	buffer_load_dword v2, off, s[0:3], 0 offset:32
	buffer_load_dword v3, off, s[0:3], 0 offset:36
	buffer_store_dword v1, off, s[0:3], 0 offset:32
	buffer_store_dword v1, off, s[0:3], 0 offset:36
	s_waitcnt vmcnt(0)
	ds_write_b64 v9, v[2:3]
.LBB54_335:
	s_or_b32 exec_lo, exec_lo, s4
	s_waitcnt lgkmcnt(0)
	s_waitcnt_vscnt null, 0x0
	s_barrier
	buffer_gl0_inv
	s_clause 0x2c
	buffer_load_dword v150, off, s[0:3], 0 offset:44
	buffer_load_dword v151, off, s[0:3], 0 offset:52
	;; [unrolled: 1-line block ×45, first 2 shown]
	ds_read2_b64 v[159:162], v1 offset0:61 offset1:62
	ds_read2_b64 v[163:166], v1 offset0:63 offset1:64
	s_mov_b32 s4, exec_lo
	s_waitcnt vmcnt(44) lgkmcnt(1)
	v_mul_f32_e32 v152, v159, v150
	v_mul_f32_e32 v167, v160, v150
	s_waitcnt vmcnt(43)
	v_mul_f32_e32 v150, v161, v151
	v_mul_f32_e32 v168, v162, v151
	buffer_load_dword v151, off, s[0:3], 0 offset:36
	s_waitcnt vmcnt(41)
	v_fmac_f32_e32 v152, v160, v11
	v_fma_f32 v11, v159, v11, -v167
	v_fmac_f32_e32 v150, v162, v7
	v_fma_f32 v167, v161, v7, -v168
	ds_read2_b64 v[159:162], v1 offset0:65 offset1:66
	s_waitcnt vmcnt(40) lgkmcnt(1)
	v_mul_f32_e32 v168, v163, v4
	s_waitcnt vmcnt(39)
	v_mul_f32_e32 v169, v165, v5
	v_mul_f32_e32 v4, v164, v4
	v_mul_f32_e32 v5, v166, v5
	v_fmac_f32_e32 v168, v164, v2
	s_waitcnt vmcnt(35)
	v_fmac_f32_e32 v169, v166, v124
	v_fma_f32 v170, v163, v2, -v4
	v_fma_f32 v171, v165, v124, -v5
	ds_read2_b64 v[163:166], v1 offset0:67 offset1:68
	s_waitcnt vmcnt(34) lgkmcnt(1)
	v_mul_f32_e32 v172, v159, v123
	v_mul_f32_e32 v2, v160, v123
	s_waitcnt vmcnt(33)
	v_mul_f32_e32 v173, v161, v122
	v_mul_f32_e32 v4, v162, v122
	v_fmac_f32_e32 v172, v160, v10
	v_fma_f32 v10, v159, v10, -v2
	v_fmac_f32_e32 v173, v162, v6
	v_fma_f32 v159, v161, v6, -v4
	ds_read2_b64 v[4:7], v1 offset0:69 offset1:70
	s_waitcnt vmcnt(32) lgkmcnt(1)
	v_mul_f32_e32 v160, v163, v8
	v_mul_f32_e32 v2, v164, v8
	s_waitcnt vmcnt(31)
	v_mul_f32_e32 v8, v165, v125
	v_mul_f32_e32 v122, v166, v125
	v_fmac_f32_e32 v160, v164, v3
	v_fma_f32 v161, v163, v3, -v2
	s_waitcnt vmcnt(27)
	v_fmac_f32_e32 v8, v166, v133
	v_fma_f32 v133, v165, v133, -v122
	ds_read2_b64 v[122:125], v1 offset0:71 offset1:72
	buffer_load_dword v163, off, s[0:3], 0 offset:228
	s_waitcnt vmcnt(27) lgkmcnt(1)
	v_mul_f32_e32 v162, v4, v131
	v_mul_f32_e32 v2, v5, v131
	s_waitcnt vmcnt(26)
	v_mul_f32_e32 v3, v7, v130
	v_mul_f32_e32 v131, v6, v130
	v_fmac_f32_e32 v162, v5, v129
	v_fma_f32 v129, v4, v129, -v2
	v_fma_f32 v6, v6, v127, -v3
	ds_read2_b64 v[2:5], v1 offset0:73 offset1:74
	v_fmac_f32_e32 v131, v7, v127
	s_waitcnt vmcnt(25) lgkmcnt(1)
	v_mul_f32_e32 v7, v122, v128
	v_mul_f32_e32 v127, v123, v128
	s_waitcnt vmcnt(24)
	v_mul_f32_e32 v128, v124, v132
	v_mul_f32_e32 v130, v125, v132
	v_fmac_f32_e32 v7, v123, v126
	v_fma_f32 v126, v122, v126, -v127
	s_waitcnt vmcnt(20)
	v_fmac_f32_e32 v128, v125, v141
	v_fma_f32 v127, v124, v141, -v130
	ds_read2_b64 v[122:125], v1 offset0:75 offset1:76
	s_waitcnt vmcnt(19) lgkmcnt(1)
	v_mul_f32_e32 v130, v2, v139
	v_mul_f32_e32 v132, v3, v139
	s_waitcnt vmcnt(18)
	v_mul_f32_e32 v139, v4, v138
	v_mul_f32_e32 v138, v5, v138
	v_fmac_f32_e32 v130, v3, v137
	v_fma_f32 v132, v2, v137, -v132
	v_fmac_f32_e32 v139, v5, v135
	v_fma_f32 v135, v4, v135, -v138
	ds_read2_b64 v[2:5], v1 offset0:77 offset1:78
	s_waitcnt vmcnt(17) lgkmcnt(1)
	v_mul_f32_e32 v137, v122, v136
	v_mul_f32_e32 v136, v123, v136
	s_waitcnt vmcnt(16)
	v_mul_f32_e32 v138, v124, v140
	v_mul_f32_e32 v140, v125, v140
	v_fmac_f32_e32 v137, v123, v134
	v_fma_f32 v134, v122, v134, -v136
	s_waitcnt vmcnt(12)
	v_fmac_f32_e32 v138, v125, v149
	v_fma_f32 v136, v124, v149, -v140
	ds_read2_b64 v[122:125], v1 offset0:79 offset1:80
	buffer_load_dword v149, off, s[0:3], 0 offset:220
	s_waitcnt vmcnt(12) lgkmcnt(1)
	v_mul_f32_e32 v140, v2, v147
	v_mul_f32_e32 v141, v3, v147
	s_waitcnt vmcnt(11)
	v_mul_f32_e32 v147, v4, v146
	v_mul_f32_e32 v146, v5, v146
	v_fmac_f32_e32 v140, v3, v145
	v_fma_f32 v141, v2, v145, -v141
	v_fmac_f32_e32 v147, v5, v143
	v_fma_f32 v143, v4, v143, -v146
	ds_read2_b64 v[2:5], v1 offset0:81 offset1:82
	s_waitcnt vmcnt(10) lgkmcnt(1)
	v_mul_f32_e32 v145, v122, v144
	v_mul_f32_e32 v144, v123, v144
	s_waitcnt vmcnt(9)
	v_mul_f32_e32 v146, v124, v148
	v_mul_f32_e32 v148, v125, v148
	v_fmac_f32_e32 v145, v123, v142
	v_fma_f32 v142, v122, v142, -v144
	s_waitcnt vmcnt(5)
	v_fmac_f32_e32 v146, v125, v158
	v_fma_f32 v144, v124, v158, -v148
	ds_read2_b64 v[122:125], v1 offset0:83 offset1:84
	s_waitcnt vmcnt(4) lgkmcnt(1)
	v_mul_f32_e32 v148, v2, v157
	v_mul_f32_e32 v157, v3, v157
	s_waitcnt vmcnt(3)
	v_mul_f32_e32 v158, v4, v156
	v_mul_f32_e32 v156, v5, v156
	v_fmac_f32_e32 v148, v3, v155
	v_fma_f32 v155, v2, v155, -v157
	v_fmac_f32_e32 v158, v5, v154
	v_fma_f32 v154, v4, v154, -v156
	s_clause 0x4
	buffer_load_dword v156, off, s[0:3], 0 offset:248
	buffer_load_dword v157, off, s[0:3], 0 offset:240
	buffer_load_dword v164, off, s[0:3], 0 offset:232
	buffer_load_dword v2, off, s[0:3], 0 offset:224
	buffer_load_dword v165, off, s[0:3], 0 offset:236
	s_waitcnt vmcnt(5) lgkmcnt(0)
	v_mul_f32_e32 v166, v122, v149
	v_mul_f32_e32 v3, v123, v149
	v_fmac_f32_e32 v166, v123, v153
	v_fma_f32 v149, v122, v153, -v3
	v_mul_f32_e32 v153, v124, v163
	v_mul_f32_e32 v3, v125, v163
	s_waitcnt vmcnt(1)
	v_fmac_f32_e32 v153, v125, v2
	v_fma_f32 v163, v124, v2, -v3
	ds_read2_b64 v[2:5], v1 offset0:85 offset1:86
	ds_read2_b64 v[122:125], v1 offset0:87 offset1:88
	s_waitcnt vmcnt(0) lgkmcnt(1)
	v_mul_f32_e32 v174, v2, v165
	v_mul_f32_e32 v165, v3, v165
	v_fmac_f32_e32 v174, v3, v164
	v_fma_f32 v164, v2, v164, -v165
	buffer_load_dword v2, off, s[0:3], 0 offset:244
	v_add_f32_e32 v3, 0, v11
	v_add_f32_e32 v3, v3, v167
	;; [unrolled: 1-line block ×11, first 2 shown]
	s_waitcnt vmcnt(0)
	v_mul_f32_e32 v165, v4, v2
	v_mul_f32_e32 v2, v5, v2
	v_fmac_f32_e32 v165, v5, v157
	v_fma_f32 v157, v4, v157, -v2
	s_clause 0x1
	buffer_load_dword v4, off, s[0:3], 0 offset:252
	buffer_load_dword v5, off, s[0:3], 0 offset:260
	v_add_f32_e32 v2, 0, v152
	v_add_f32_e32 v2, v2, v150
	s_clause 0x5
	buffer_load_dword v11, off, s[0:3], 0 offset:280
	buffer_load_dword v150, off, s[0:3], 0 offset:272
	;; [unrolled: 1-line block ×6, first 2 shown]
	v_add_f32_e32 v2, v2, v168
	buffer_load_dword v168, off, s[0:3], 0 offset:268
	v_add_f32_e32 v2, v2, v169
	buffer_load_dword v169, off, s[0:3], 0 offset:284
	v_add_f32_e32 v2, v2, v172
	v_add_f32_e32 v2, v2, v173
	;; [unrolled: 1-line block ×4, first 2 shown]
	s_clause 0x3
	buffer_load_dword v8, off, s[0:3], 0 offset:312
	buffer_load_dword v133, off, s[0:3], 0 offset:304
	;; [unrolled: 1-line block ×4, first 2 shown]
	v_add_f32_e32 v2, v2, v162
	buffer_load_dword v162, off, s[0:3], 0 offset:300
	v_add_f32_e32 v2, v2, v131
	s_clause 0x1
	buffer_load_dword v129, off, s[0:3], 0 offset:308
	buffer_load_dword v131, off, s[0:3], 0 offset:316
	v_add_f32_e32 v2, v2, v7
	s_waitcnt vmcnt(16) lgkmcnt(0)
	v_mul_f32_e32 v6, v122, v4
	v_mul_f32_e32 v4, v123, v4
	s_waitcnt vmcnt(15)
	v_mul_f32_e32 v7, v124, v5
	v_mul_f32_e32 v126, v125, v5
	v_fmac_f32_e32 v6, v123, v156
	v_fma_f32 v156, v122, v156, -v4
	v_add_f32_e32 v122, v2, v128
	v_add_f32_e32 v123, v3, v127
	ds_read2_b64 v[2:5], v1 offset0:89 offset1:90
	s_waitcnt vmcnt(11)
	v_fmac_f32_e32 v7, v125, v167
	v_fma_f32 v126, v124, v167, -v126
	v_add_f32_e32 v122, v122, v130
	v_add_f32_e32 v123, v123, v132
	s_clause 0x4
	buffer_load_dword v130, off, s[0:3], 0 offset:324
	buffer_load_dword v167, off, s[0:3], 0 offset:344
	;; [unrolled: 1-line block ×5, first 2 shown]
	v_add_f32_e32 v122, v122, v139
	v_add_f32_e32 v123, v123, v135
	;; [unrolled: 1-line block ×4, first 2 shown]
	s_clause 0x2
	buffer_load_dword v134, off, s[0:3], 0 offset:332
	buffer_load_dword v135, off, s[0:3], 0 offset:340
	buffer_load_dword v137, off, s[0:3], 0 offset:348
	v_add_f32_e32 v127, v122, v138
	v_add_f32_e32 v128, v123, v136
	ds_read2_b64 v[122:125], v1 offset0:91 offset1:92
	s_waitcnt vmcnt(16) lgkmcnt(1)
	v_mul_f32_e32 v136, v2, v168
	v_mul_f32_e32 v138, v3, v168
	v_add_f32_e32 v127, v127, v140
	v_add_f32_e32 v128, v128, v141
	v_mul_f32_e32 v139, v4, v10
	v_fmac_f32_e32 v136, v3, v152
	v_mul_f32_e32 v10, v5, v10
	v_add_f32_e32 v3, v127, v147
	v_add_f32_e32 v127, v128, v143
	v_fma_f32 v128, v2, v152, -v138
	v_fmac_f32_e32 v139, v5, v150
	v_fma_f32 v10, v4, v150, -v10
	v_add_f32_e32 v2, v3, v145
	v_add_f32_e32 v3, v127, v142
	s_clause 0x7
	buffer_load_dword v142, off, s[0:3], 0 offset:356
	buffer_load_dword v143, off, s[0:3], 0 offset:364
	;; [unrolled: 1-line block ×8, first 2 shown]
	v_add_f32_e32 v2, v2, v146
	v_add_f32_e32 v3, v3, v144
	s_waitcnt vmcnt(23) lgkmcnt(0)
	v_mul_f32_e32 v138, v122, v169
	v_mul_f32_e32 v4, v123, v169
	s_clause 0x3
	buffer_load_dword v144, off, s[0:3], 0 offset:388
	buffer_load_dword v146, off, s[0:3], 0 offset:396
	;; [unrolled: 1-line block ×4, first 2 shown]
	v_add_f32_e32 v2, v2, v148
	s_clause 0x1
	buffer_load_dword v148, off, s[0:3], 0 offset:420
	buffer_load_dword v175, off, s[0:3], 0 offset:428
	v_fmac_f32_e32 v138, v123, v11
	v_fma_f32 v11, v122, v11, -v4
	v_add_f32_e32 v122, v3, v155
	v_mul_f32_e32 v3, v125, v159
	v_add_f32_e32 v123, v2, v158
	buffer_load_dword v155, off, s[0:3], 0 offset:436
	v_mul_f32_e32 v140, v124, v159
	v_add_f32_e32 v122, v122, v154
	s_waitcnt vmcnt(26)
	v_fma_f32 v141, v124, v161, -v3
	ds_read2_b64 v[2:5], v1 offset0:93 offset1:94
	v_add_f32_e32 v123, v123, v166
	v_fmac_f32_e32 v140, v125, v161
	v_add_f32_e32 v122, v122, v149
	v_add_f32_e32 v123, v123, v153
	s_clause 0x3
	buffer_load_dword v149, off, s[0:3], 0 offset:408
	buffer_load_dword v153, off, s[0:3], 0 offset:400
	;; [unrolled: 1-line block ×4, first 2 shown]
	v_add_f32_e32 v122, v122, v163
	v_add_f32_e32 v127, v123, v174
	;; [unrolled: 1-line block ×3, first 2 shown]
	ds_read2_b64 v[122:125], v1 offset0:95 offset1:96
	v_add_f32_e32 v127, v127, v165
	s_waitcnt vmcnt(29) lgkmcnt(1)
	v_mul_f32_e32 v161, v2, v162
	v_mul_f32_e32 v162, v3, v162
	v_fmac_f32_e32 v161, v3, v160
	v_fma_f32 v160, v2, v160, -v162
	v_add_f32_e32 v2, v159, v157
	v_add_f32_e32 v3, v127, v6
	s_clause 0x2
	buffer_load_dword v6, off, s[0:3], 0 offset:432
	buffer_load_dword v157, off, s[0:3], 0 offset:424
	;; [unrolled: 1-line block ×3, first 2 shown]
	s_waitcnt vmcnt(31)
	v_mul_f32_e32 v127, v5, v129
	v_add_f32_e32 v2, v2, v156
	buffer_load_dword v156, off, s[0:3], 0 offset:32
	v_add_f32_e32 v3, v3, v7
	v_mul_f32_e32 v7, v4, v129
	v_fma_f32 v162, v4, v133, -v127
	v_add_f32_e32 v126, v2, v126
	v_fmac_f32_e32 v7, v5, v133
	v_add_f32_e32 v133, v3, v136
	v_add_f32_e32 v136, v126, v128
	ds_read2_b64 v[2:5], v1 offset0:97 offset1:98
	ds_read2_b64 v[126:129], v1 offset0:99 offset1:100
	v_add_f32_e32 v133, v133, v139
	v_add_f32_e32 v10, v136, v10
	s_waitcnt vmcnt(31) lgkmcnt(2)
	v_mul_f32_e32 v139, v122, v131
	v_mul_f32_e32 v131, v123, v131
	v_add_f32_e32 v136, v133, v138
	v_add_f32_e32 v10, v10, v11
	v_fmac_f32_e32 v139, v123, v8
	v_fma_f32 v8, v122, v8, -v131
	v_add_f32_e32 v11, v136, v140
	v_add_f32_e32 v10, v10, v141
	v_add_f32_e32 v11, v11, v161
	v_add_f32_e32 v10, v10, v160
	v_add_f32_e32 v7, v11, v7
	v_add_f32_e32 v10, v10, v162
	v_add_f32_e32 v7, v7, v139
	s_waitcnt vmcnt(30)
	v_mul_f32_e32 v163, v124, v130
	v_mul_f32_e32 v130, v125, v130
	s_waitcnt vmcnt(26)
	v_fmac_f32_e32 v163, v125, v132
	v_fma_f32 v164, v124, v132, -v130
	ds_read2_b64 v[122:125], v1 offset0:101 offset1:102
	ds_read2_b64 v[130:133], v1 offset0:103 offset1:104
	v_add_f32_e32 v7, v7, v163
	s_waitcnt vmcnt(25) lgkmcnt(3)
	v_mul_f32_e32 v165, v2, v134
	s_waitcnt vmcnt(24)
	v_mul_f32_e32 v166, v4, v135
	v_mul_f32_e32 v134, v3, v134
	;; [unrolled: 1-line block ×3, first 2 shown]
	s_waitcnt vmcnt(23) lgkmcnt(2)
	v_mul_f32_e32 v138, v127, v137
	v_mul_f32_e32 v161, v126, v137
	v_fmac_f32_e32 v165, v3, v171
	v_fmac_f32_e32 v166, v5, v170
	v_fma_f32 v171, v2, v171, -v134
	v_fma_f32 v160, v4, v170, -v135
	ds_read2_b64 v[2:5], v1 offset0:105 offset1:106
	ds_read2_b64 v[134:137], v1 offset0:107 offset1:108
	v_fma_f32 v11, v126, v167, -v138
	ds_read2_b64 v[138:141], v1 offset0:109 offset1:110
	v_add_f32_e32 v1, v10, v8
	v_add_f32_e32 v7, v7, v165
	s_waitcnt vmcnt(22)
	v_mul_f32_e32 v10, v129, v142
	v_fmac_f32_e32 v161, v127, v167
	v_mul_f32_e32 v8, v128, v142
	v_add_f32_e32 v1, v1, v164
	v_add_f32_e32 v7, v7, v166
	s_waitcnt vmcnt(21) lgkmcnt(4)
	v_mul_f32_e32 v142, v123, v143
	v_mul_f32_e32 v126, v122, v143
	s_waitcnt vmcnt(15)
	v_fma_f32 v10, v128, v172, -v10
	v_add_f32_e32 v1, v1, v171
	v_fmac_f32_e32 v8, v129, v172
	v_add_f32_e32 v7, v7, v161
	v_mul_f32_e32 v127, v124, v145
	v_mul_f32_e32 v145, v125, v145
	v_add_f32_e32 v1, v1, v160
	v_fma_f32 v122, v122, v168, -v142
	v_fmac_f32_e32 v126, v123, v168
	v_add_f32_e32 v7, v7, v8
	s_waitcnt lgkmcnt(3)
	v_mul_f32_e32 v8, v131, v147
	v_add_f32_e32 v1, v1, v11
	v_mul_f32_e32 v128, v130, v147
	v_fmac_f32_e32 v127, v125, v152
	v_add_f32_e32 v7, v7, v126
	v_fma_f32 v8, v130, v150, -v8
	v_add_f32_e32 v1, v1, v10
	v_fma_f32 v10, v124, v152, -v145
	s_waitcnt vmcnt(14)
	v_mul_f32_e32 v129, v132, v144
	v_fmac_f32_e32 v128, v131, v150
	v_add_f32_e32 v7, v7, v127
	v_add_f32_e32 v1, v1, v122
	v_mul_f32_e32 v122, v133, v144
	s_waitcnt vmcnt(13) lgkmcnt(2)
	v_mul_f32_e32 v143, v2, v146
	s_waitcnt vmcnt(12)
	v_mul_f32_e32 v162, v4, v169
	v_add_f32_e32 v7, v7, v128
	v_add_f32_e32 v1, v1, v10
	v_mul_f32_e32 v10, v3, v146
	s_waitcnt vmcnt(4)
	v_fma_f32 v122, v132, v158, -v122
	v_fmac_f32_e32 v129, v133, v158
	v_fmac_f32_e32 v143, v3, v154
	v_add_f32_e32 v1, v1, v8
	v_mul_f32_e32 v8, v5, v169
	v_fma_f32 v2, v2, v154, -v10
	v_add_f32_e32 v3, v7, v129
	s_waitcnt lgkmcnt(1)
	v_mul_f32_e32 v7, v135, v173
	v_add_f32_e32 v1, v1, v122
	v_fma_f32 v4, v4, v153, -v8
	v_mul_f32_e32 v163, v134, v173
	v_fmac_f32_e32 v162, v5, v153
	v_fma_f32 v5, v134, v149, -v7
	v_add_f32_e32 v1, v1, v2
	v_add_f32_e32 v2, v3, v143
	v_mul_f32_e32 v3, v137, v148
	v_mul_f32_e32 v160, v136, v148
	v_fmac_f32_e32 v163, v135, v149
	v_add_f32_e32 v1, v1, v4
	v_add_f32_e32 v2, v2, v162
	s_waitcnt lgkmcnt(0)
	v_mul_f32_e32 v4, v139, v175
	s_waitcnt vmcnt(1)
	v_fma_f32 v3, v136, v159, -v3
	v_mul_f32_e32 v164, v138, v175
	v_add_f32_e32 v1, v1, v5
	v_fmac_f32_e32 v160, v137, v159
	v_add_f32_e32 v2, v2, v163
	v_mul_f32_e32 v5, v141, v155
	v_fma_f32 v4, v138, v157, -v4
	v_add_f32_e32 v1, v1, v3
	v_mul_f32_e32 v11, v140, v155
	v_fmac_f32_e32 v164, v139, v157
	v_add_f32_e32 v2, v2, v160
	v_fma_f32 v3, v140, v6, -v5
	v_add_f32_e32 v1, v1, v4
	v_fmac_f32_e32 v11, v141, v6
	v_add_f32_e32 v2, v2, v164
	v_add_f32_e32 v1, v1, v3
	;; [unrolled: 1-line block ×3, first 2 shown]
	s_waitcnt vmcnt(0)
	v_sub_f32_e32 v1, v156, v1
	v_sub_f32_e32 v2, v151, v2
	buffer_store_dword v1, off, s[0:3], 0 offset:32
	buffer_store_dword v2, off, s[0:3], 0 offset:36
	v_cmpx_lt_u32_e32 3, v0
	s_cbranch_execz .LBB54_337
; %bb.336:
	s_clause 0x1
	buffer_load_dword v1, off, s[0:3], 0 offset:24
	buffer_load_dword v2, off, s[0:3], 0 offset:28
	v_mov_b32_e32 v3, 0
	buffer_store_dword v3, off, s[0:3], 0 offset:24
	buffer_store_dword v3, off, s[0:3], 0 offset:28
	s_waitcnt vmcnt(0)
	ds_write_b64 v9, v[1:2]
.LBB54_337:
	s_or_b32 exec_lo, exec_lo, s4
	s_waitcnt lgkmcnt(0)
	s_waitcnt_vscnt null, 0x0
	s_barrier
	buffer_gl0_inv
	s_clause 0x2c
	buffer_load_dword v158, off, s[0:3], 0 offset:36
	buffer_load_dword v159, off, s[0:3], 0 offset:44
	;; [unrolled: 1-line block ×45, first 2 shown]
	v_mov_b32_e32 v10, 0
	ds_read_b128 v[5:8], v10 offset:480
	ds_read_b128 v[1:4], v10 offset:496
	s_mov_b32 s4, exec_lo
	s_clause 0x1
	buffer_load_dword v169, off, s[0:3], 0 offset:212
	buffer_load_dword v170, off, s[0:3], 0 offset:220
	s_waitcnt vmcnt(46) lgkmcnt(1)
	v_mul_f32_e32 v160, v5, v158
	v_mul_f32_e32 v167, v6, v158
	s_waitcnt vmcnt(45)
	v_mul_f32_e32 v158, v7, v159
	v_mul_f32_e32 v168, v8, v159
	buffer_load_dword v159, off, s[0:3], 0 offset:28
	s_waitcnt vmcnt(43)
	v_fmac_f32_e32 v160, v6, v129
	v_fma_f32 v129, v5, v129, -v167
	v_fmac_f32_e32 v158, v8, v126
	v_fma_f32 v126, v7, v126, -v168
	ds_read_b128 v[5:8], v10 offset:512
	s_waitcnt vmcnt(42) lgkmcnt(1)
	v_mul_f32_e32 v167, v1, v123
	s_waitcnt vmcnt(41)
	v_mul_f32_e32 v168, v3, v124
	v_mul_f32_e32 v123, v2, v123
	;; [unrolled: 1-line block ×3, first 2 shown]
	v_fmac_f32_e32 v167, v2, v11
	s_waitcnt vmcnt(37)
	v_fmac_f32_e32 v168, v4, v132
	v_fma_f32 v11, v1, v11, -v123
	v_fma_f32 v123, v3, v132, -v124
	ds_read_b128 v[1:4], v10 offset:528
	s_waitcnt vmcnt(36) lgkmcnt(1)
	v_mul_f32_e32 v124, v5, v131
	v_mul_f32_e32 v131, v6, v131
	s_waitcnt vmcnt(35)
	v_mul_f32_e32 v132, v7, v130
	v_mul_f32_e32 v130, v8, v130
	v_fmac_f32_e32 v124, v6, v128
	v_fma_f32 v128, v5, v128, -v131
	v_fmac_f32_e32 v132, v8, v125
	v_fma_f32 v125, v7, v125, -v130
	ds_read_b128 v[5:8], v10 offset:544
	s_waitcnt vmcnt(34) lgkmcnt(1)
	v_mul_f32_e32 v130, v1, v127
	v_mul_f32_e32 v127, v2, v127
	s_waitcnt vmcnt(33)
	v_mul_f32_e32 v131, v3, v133
	v_mul_f32_e32 v133, v4, v133
	v_fmac_f32_e32 v130, v2, v122
	v_fma_f32 v122, v1, v122, -v127
	s_waitcnt vmcnt(29)
	v_fmac_f32_e32 v131, v4, v141
	v_fma_f32 v127, v3, v141, -v133
	ds_read_b128 v[1:4], v10 offset:560
	s_waitcnt vmcnt(28) lgkmcnt(1)
	v_mul_f32_e32 v133, v5, v139
	v_mul_f32_e32 v139, v6, v139
	s_waitcnt vmcnt(27)
	v_mul_f32_e32 v141, v7, v138
	v_mul_f32_e32 v138, v8, v138
	v_fmac_f32_e32 v133, v6, v137
	v_fma_f32 v137, v5, v137, -v139
	v_fmac_f32_e32 v141, v8, v135
	v_fma_f32 v135, v7, v135, -v138
	ds_read_b128 v[5:8], v10 offset:576
	s_waitcnt vmcnt(26) lgkmcnt(1)
	v_mul_f32_e32 v138, v1, v136
	v_mul_f32_e32 v136, v2, v136
	s_waitcnt vmcnt(25)
	v_mul_f32_e32 v139, v3, v140
	v_mul_f32_e32 v140, v4, v140
	v_fmac_f32_e32 v138, v2, v134
	v_fma_f32 v134, v1, v134, -v136
	s_waitcnt vmcnt(21)
	v_fmac_f32_e32 v139, v4, v149
	;; [unrolled: 23-line block ×4, first 2 shown]
	v_fma_f32 v152, v3, v166, -v157
	ds_read_b128 v[1:4], v10 offset:656
	s_waitcnt vmcnt(4) lgkmcnt(1)
	v_mul_f32_e32 v157, v5, v165
	v_mul_f32_e32 v165, v6, v165
	s_waitcnt vmcnt(3)
	v_mul_f32_e32 v166, v7, v164
	v_mul_f32_e32 v164, v8, v164
	v_fmac_f32_e32 v157, v6, v163
	v_fma_f32 v163, v5, v163, -v165
	v_fmac_f32_e32 v166, v8, v162
	v_fma_f32 v162, v7, v162, -v164
	s_clause 0x4
	buffer_load_dword v164, off, s[0:3], 0 offset:240
	buffer_load_dword v165, off, s[0:3], 0 offset:232
	;; [unrolled: 1-line block ×5, first 2 shown]
	s_waitcnt vmcnt(7) lgkmcnt(0)
	v_mul_f32_e32 v173, v1, v169
	v_mul_f32_e32 v6, v2, v169
	s_waitcnt vmcnt(6)
	v_mul_f32_e32 v169, v3, v170
	v_fmac_f32_e32 v173, v2, v161
	v_fma_f32 v161, v1, v161, -v6
	v_mul_f32_e32 v1, v4, v170
	s_waitcnt vmcnt(1)
	v_fmac_f32_e32 v169, v4, v5
	v_fma_f32 v170, v3, v5, -v1
	ds_read_b128 v[1:4], v10 offset:672
	ds_read_b128 v[5:8], v10 offset:688
	s_waitcnt vmcnt(0) lgkmcnt(1)
	v_mul_f32_e32 v174, v1, v172
	v_mul_f32_e32 v172, v2, v172
	v_fmac_f32_e32 v174, v2, v171
	v_fma_f32 v171, v1, v171, -v172
	buffer_load_dword v1, off, s[0:3], 0 offset:236
	s_waitcnt vmcnt(0)
	v_mul_f32_e32 v172, v3, v1
	v_mul_f32_e32 v1, v4, v1
	v_fmac_f32_e32 v172, v4, v165
	v_fma_f32 v165, v3, v165, -v1
	buffer_load_dword v1, off, s[0:3], 0 offset:244
	s_waitcnt vmcnt(0) lgkmcnt(0)
	v_mul_f32_e32 v175, v5, v1
	v_mul_f32_e32 v1, v6, v1
	v_fmac_f32_e32 v175, v6, v164
	v_fma_f32 v164, v5, v164, -v1
	s_clause 0x5
	buffer_load_dword v1, off, s[0:3], 0 offset:252
	buffer_load_dword v176, off, s[0:3], 0 offset:272
	;; [unrolled: 1-line block ×6, first 2 shown]
	s_waitcnt vmcnt(5)
	v_mul_f32_e32 v179, v7, v1
	v_mul_f32_e32 v1, v8, v1
	s_waitcnt vmcnt(1)
	v_fmac_f32_e32 v179, v8, v2
	v_fma_f32 v180, v7, v2, -v1
	ds_read_b128 v[1:4], v10 offset:704
	ds_read_b128 v[5:8], v10 offset:720
	s_waitcnt vmcnt(0) lgkmcnt(1)
	v_mul_f32_e32 v182, v1, v181
	v_mul_f32_e32 v181, v2, v181
	v_fmac_f32_e32 v182, v2, v178
	v_fma_f32 v178, v1, v178, -v181
	buffer_load_dword v1, off, s[0:3], 0 offset:268
	s_waitcnt vmcnt(0)
	v_mul_f32_e32 v181, v3, v1
	v_mul_f32_e32 v1, v4, v1
	v_fmac_f32_e32 v181, v4, v177
	v_fma_f32 v177, v3, v177, -v1
	buffer_load_dword v1, off, s[0:3], 0 offset:276
	s_waitcnt vmcnt(0) lgkmcnt(0)
	v_mul_f32_e32 v183, v5, v1
	v_mul_f32_e32 v1, v6, v1
	v_fmac_f32_e32 v183, v6, v176
	v_fma_f32 v176, v5, v176, -v1
	s_clause 0x5
	buffer_load_dword v1, off, s[0:3], 0 offset:284
	buffer_load_dword v184, off, s[0:3], 0 offset:304
	;; [unrolled: 1-line block ×6, first 2 shown]
	s_waitcnt vmcnt(5)
	v_mul_f32_e32 v187, v7, v1
	v_mul_f32_e32 v1, v8, v1
	s_waitcnt vmcnt(1)
	v_fmac_f32_e32 v187, v8, v2
	v_fma_f32 v188, v7, v2, -v1
	ds_read_b128 v[1:4], v10 offset:736
	ds_read_b128 v[5:8], v10 offset:752
	s_waitcnt vmcnt(0) lgkmcnt(1)
	v_mul_f32_e32 v190, v1, v189
	v_mul_f32_e32 v189, v2, v189
	v_fmac_f32_e32 v190, v2, v186
	v_fma_f32 v186, v1, v186, -v189
	buffer_load_dword v1, off, s[0:3], 0 offset:300
	s_waitcnt vmcnt(0)
	v_mul_f32_e32 v189, v3, v1
	v_mul_f32_e32 v1, v4, v1
	v_fmac_f32_e32 v189, v4, v185
	v_fma_f32 v185, v3, v185, -v1
	buffer_load_dword v1, off, s[0:3], 0 offset:308
	s_waitcnt vmcnt(0) lgkmcnt(0)
	v_mul_f32_e32 v191, v5, v1
	v_mul_f32_e32 v1, v6, v1
	v_fmac_f32_e32 v191, v6, v184
	v_fma_f32 v184, v5, v184, -v1
	s_clause 0x4
	buffer_load_dword v1, off, s[0:3], 0 offset:316
	buffer_load_dword v192, off, s[0:3], 0 offset:336
	;; [unrolled: 1-line block ×5, first 2 shown]
	s_waitcnt vmcnt(4)
	v_mul_f32_e32 v195, v7, v1
	v_mul_f32_e32 v1, v8, v1
	s_waitcnt vmcnt(0)
	v_fmac_f32_e32 v195, v8, v2
	v_fma_f32 v196, v7, v2, -v1
	v_add_f32_e32 v2, 0, v129
	v_add_f32_e32 v1, 0, v160
	v_add_f32_e32 v2, v2, v126
	v_add_f32_e32 v1, v1, v158
	v_add_f32_e32 v2, v2, v11
	v_add_f32_e32 v1, v1, v167
	buffer_load_dword v11, off, s[0:3], 0 offset:324
	v_add_f32_e32 v2, v2, v123
	v_add_f32_e32 v1, v1, v168
	;; [unrolled: 1-line block ×8, first 2 shown]
	s_clause 0x1
	buffer_load_dword v122, off, s[0:3], 0 offset:332
	buffer_load_dword v130, off, s[0:3], 0 offset:340
	v_add_f32_e32 v2, v2, v127
	v_add_f32_e32 v1, v1, v131
	buffer_load_dword v131, off, s[0:3], 0 offset:348
	v_add_f32_e32 v2, v2, v137
	v_add_f32_e32 v1, v1, v133
	;; [unrolled: 1-line block ×8, first 2 shown]
	s_clause 0x3
	buffer_load_dword v136, off, s[0:3], 0 offset:368
	buffer_load_dword v137, off, s[0:3], 0 offset:360
	;; [unrolled: 1-line block ×4, first 2 shown]
	v_add_f32_e32 v2, v2, v145
	v_add_f32_e32 v1, v1, v140
	s_clause 0x2
	buffer_load_dword v139, off, s[0:3], 0 offset:356
	buffer_load_dword v140, off, s[0:3], 0 offset:364
	;; [unrolled: 1-line block ×3, first 2 shown]
	v_add_f32_e32 v2, v2, v143
	v_add_f32_e32 v1, v1, v149
	;; [unrolled: 1-line block ×6, first 2 shown]
	s_clause 0x5
	buffer_load_dword v142, off, s[0:3], 0 offset:380
	buffer_load_dword v143, off, s[0:3], 0 offset:388
	;; [unrolled: 1-line block ×6, first 2 shown]
	v_add_f32_e32 v2, v2, v153
	v_add_f32_e32 v1, v1, v148
	s_clause 0x1
	buffer_load_dword v148, off, s[0:3], 0 offset:428
	buffer_load_dword v149, off, s[0:3], 0 offset:436
	v_add_f32_e32 v2, v2, v151
	v_add_f32_e32 v1, v1, v156
	;; [unrolled: 1-line block ×5, first 2 shown]
	s_clause 0x3
	buffer_load_dword v150, off, s[0:3], 0 offset:400
	buffer_load_dword v151, off, s[0:3], 0 offset:392
	;; [unrolled: 1-line block ×4, first 2 shown]
	v_add_f32_e32 v1, v1, v155
	v_add_f32_e32 v2, v2, v163
	;; [unrolled: 1-line block ×3, first 2 shown]
	s_clause 0x4
	buffer_load_dword v154, off, s[0:3], 0 offset:432
	buffer_load_dword v155, off, s[0:3], 0 offset:424
	;; [unrolled: 1-line block ×5, first 2 shown]
	v_add_f32_e32 v2, v2, v162
	v_add_f32_e32 v1, v1, v166
	;; [unrolled: 1-line block ×10, first 2 shown]
	ds_read_b128 v[1:4], v10 offset:768
	v_add_f32_e32 v6, v6, v164
	v_add_f32_e32 v5, v5, v175
	;; [unrolled: 1-line block ×5, first 2 shown]
	ds_read_b128 v[5:8], v10 offset:784
	v_add_f32_e32 v123, v123, v182
	v_add_f32_e32 v124, v124, v177
	;; [unrolled: 1-line block ×6, first 2 shown]
	s_waitcnt vmcnt(27) lgkmcnt(1)
	v_mul_f32_e32 v160, v1, v11
	v_mul_f32_e32 v11, v2, v11
	v_fmac_f32_e32 v160, v2, v194
	v_add_f32_e32 v2, v124, v176
	v_fma_f32 v11, v1, v194, -v11
	v_add_f32_e32 v132, v2, v188
	v_add_f32_e32 v132, v132, v186
	s_waitcnt vmcnt(26)
	v_mul_f32_e32 v161, v3, v122
	s_waitcnt vmcnt(25) lgkmcnt(0)
	v_mul_f32_e32 v163, v5, v130
	v_mul_f32_e32 v130, v6, v130
	;; [unrolled: 1-line block ×3, first 2 shown]
	v_add_f32_e32 v132, v132, v185
	v_fmac_f32_e32 v161, v4, v193
	v_fmac_f32_e32 v163, v6, v192
	v_fma_f32 v165, v5, v192, -v130
	v_add_f32_e32 v5, v133, v189
	v_fma_f32 v162, v3, v193, -v122
	ds_read_b128 v[1:4], v10 offset:800
	ds_read_b128 v[122:125], v10 offset:816
	v_add_f32_e32 v6, v132, v184
	s_waitcnt vmcnt(24)
	v_mul_f32_e32 v135, v8, v131
	v_add_f32_e32 v167, v5, v191
	v_mul_f32_e32 v164, v7, v131
	ds_read_b128 v[126:129], v10 offset:832
	ds_read_b128 v[130:133], v10 offset:848
	v_add_f32_e32 v168, v6, v196
	v_add_f32_e32 v167, v167, v195
	;; [unrolled: 1-line block ×4, first 2 shown]
	s_waitcnt vmcnt(20)
	v_fma_f32 v166, v7, v134, -v135
	v_fmac_f32_e32 v164, v8, v134
	v_add_f32_e32 v11, v11, v162
	v_add_f32_e32 v160, v160, v161
	s_waitcnt vmcnt(19) lgkmcnt(3)
	v_mul_f32_e32 v169, v1, v139
	v_mul_f32_e32 v139, v2, v139
	s_waitcnt vmcnt(18)
	v_mul_f32_e32 v170, v3, v140
	v_add_f32_e32 v11, v11, v165
	v_mul_f32_e32 v140, v4, v140
	v_fmac_f32_e32 v169, v2, v138
	v_fma_f32 v1, v1, v138, -v139
	v_add_f32_e32 v138, v160, v163
	v_add_f32_e32 v11, v11, v166
	s_waitcnt vmcnt(17) lgkmcnt(2)
	v_mul_f32_e32 v167, v122, v141
	v_mul_f32_e32 v141, v123, v141
	v_fma_f32 v3, v3, v137, -v140
	v_add_f32_e32 v138, v138, v164
	v_add_f32_e32 v1, v11, v1
	v_fmac_f32_e32 v170, v4, v137
	s_waitcnt vmcnt(16)
	v_mul_f32_e32 v11, v125, v142
	v_fma_f32 v122, v122, v136, -v141
	v_add_f32_e32 v4, v138, v169
	v_add_f32_e32 v1, v1, v3
	v_mul_f32_e32 v162, v124, v142
	v_fmac_f32_e32 v167, v123, v136
	ds_read_b128 v[5:8], v10 offset:864
	ds_read_b64 v[134:135], v10 offset:880
	v_add_f32_e32 v3, v4, v170
	s_waitcnt vmcnt(15) lgkmcnt(3)
	v_mul_f32_e32 v4, v127, v143
	v_add_f32_e32 v1, v1, v122
	v_mul_f32_e32 v168, v126, v143
	s_waitcnt vmcnt(14)
	v_mul_f32_e32 v122, v129, v144
	v_add_f32_e32 v3, v3, v167
	v_mul_f32_e32 v161, v128, v144
	s_waitcnt vmcnt(13) lgkmcnt(2)
	v_mul_f32_e32 v165, v130, v145
	s_waitcnt vmcnt(12)
	v_mul_f32_e32 v2, v132, v146
	s_waitcnt vmcnt(7)
	v_fma_f32 v122, v128, v151, -v122
	s_waitcnt vmcnt(6)
	v_fma_f32 v4, v126, v152, -v4
	;; [unrolled: 2-line block ×3, first 2 shown]
	v_fmac_f32_e32 v162, v125, v153
	v_fmac_f32_e32 v168, v127, v152
	;; [unrolled: 1-line block ×4, first 2 shown]
	v_add_f32_e32 v1, v1, v11
	v_add_f32_e32 v3, v3, v162
	v_mul_f32_e32 v11, v131, v145
	s_waitcnt lgkmcnt(1)
	v_mul_f32_e32 v139, v5, v147
	s_waitcnt vmcnt(1)
	v_fmac_f32_e32 v2, v133, v157
	v_add_f32_e32 v1, v1, v4
	v_add_f32_e32 v3, v3, v168
	v_mul_f32_e32 v4, v133, v146
	v_fma_f32 v11, v130, v150, -v11
	v_mul_f32_e32 v160, v7, v148
	v_add_f32_e32 v1, v1, v122
	v_add_f32_e32 v3, v3, v161
	v_mul_f32_e32 v122, v6, v147
	v_fma_f32 v4, v132, v157, -v4
	v_fmac_f32_e32 v139, v6, v156
	v_add_f32_e32 v1, v1, v11
	v_add_f32_e32 v3, v3, v165
	v_mul_f32_e32 v11, v8, v148
	v_fma_f32 v5, v5, v156, -v122
	s_waitcnt lgkmcnt(0)
	v_mul_f32_e32 v163, v134, v149
	v_add_f32_e32 v1, v1, v4
	v_add_f32_e32 v2, v3, v2
	v_mul_f32_e32 v3, v135, v149
	v_fma_f32 v4, v7, v155, -v11
	v_fmac_f32_e32 v160, v8, v155
	v_add_f32_e32 v1, v1, v5
	v_add_f32_e32 v2, v2, v139
	v_fma_f32 v3, v134, v154, -v3
	v_fmac_f32_e32 v163, v135, v154
	v_add_f32_e32 v1, v1, v4
	v_add_f32_e32 v2, v2, v160
	;; [unrolled: 1-line block ×4, first 2 shown]
	s_waitcnt vmcnt(0)
	v_sub_f32_e32 v1, v158, v1
	v_sub_f32_e32 v2, v159, v2
	buffer_store_dword v1, off, s[0:3], 0 offset:24
	buffer_store_dword v2, off, s[0:3], 0 offset:28
	v_cmpx_lt_u32_e32 2, v0
	s_cbranch_execz .LBB54_339
; %bb.338:
	s_clause 0x1
	buffer_load_dword v1, off, s[0:3], 0 offset:16
	buffer_load_dword v2, off, s[0:3], 0 offset:20
	buffer_store_dword v10, off, s[0:3], 0 offset:16
	buffer_store_dword v10, off, s[0:3], 0 offset:20
	s_waitcnt vmcnt(0)
	ds_write_b64 v9, v[1:2]
.LBB54_339:
	s_or_b32 exec_lo, exec_lo, s4
	s_waitcnt lgkmcnt(0)
	s_waitcnt_vscnt null, 0x0
	s_barrier
	buffer_gl0_inv
	s_clause 0x2c
	buffer_load_dword v158, off, s[0:3], 0 offset:28
	buffer_load_dword v159, off, s[0:3], 0 offset:36
	;; [unrolled: 1-line block ×45, first 2 shown]
	ds_read2_b64 v[5:8], v10 offset0:59 offset1:60
	ds_read2_b64 v[1:4], v10 offset0:61 offset1:62
	s_mov_b32 s4, exec_lo
	s_clause 0x1
	buffer_load_dword v169, off, s[0:3], 0 offset:204
	buffer_load_dword v170, off, s[0:3], 0 offset:212
	s_waitcnt vmcnt(46) lgkmcnt(1)
	v_mul_f32_e32 v160, v5, v158
	v_mul_f32_e32 v167, v6, v158
	s_waitcnt vmcnt(45)
	v_mul_f32_e32 v158, v7, v159
	v_mul_f32_e32 v168, v8, v159
	buffer_load_dword v159, off, s[0:3], 0 offset:20
	s_waitcnt vmcnt(43)
	v_fmac_f32_e32 v160, v6, v129
	v_fma_f32 v129, v5, v129, -v167
	v_fmac_f32_e32 v158, v8, v126
	v_fma_f32 v126, v7, v126, -v168
	ds_read2_b64 v[5:8], v10 offset0:63 offset1:64
	s_waitcnt vmcnt(42) lgkmcnt(1)
	v_mul_f32_e32 v167, v1, v123
	s_waitcnt vmcnt(41)
	v_mul_f32_e32 v168, v3, v124
	v_mul_f32_e32 v123, v2, v123
	;; [unrolled: 1-line block ×3, first 2 shown]
	v_fmac_f32_e32 v167, v2, v11
	s_waitcnt vmcnt(37)
	v_fmac_f32_e32 v168, v4, v132
	v_fma_f32 v11, v1, v11, -v123
	v_fma_f32 v123, v3, v132, -v124
	ds_read2_b64 v[1:4], v10 offset0:65 offset1:66
	s_waitcnt vmcnt(36) lgkmcnt(1)
	v_mul_f32_e32 v124, v5, v131
	v_mul_f32_e32 v131, v6, v131
	s_waitcnt vmcnt(35)
	v_mul_f32_e32 v132, v7, v130
	v_mul_f32_e32 v130, v8, v130
	v_fmac_f32_e32 v124, v6, v128
	v_fma_f32 v128, v5, v128, -v131
	v_fmac_f32_e32 v132, v8, v125
	v_fma_f32 v125, v7, v125, -v130
	ds_read2_b64 v[5:8], v10 offset0:67 offset1:68
	s_waitcnt vmcnt(34) lgkmcnt(1)
	v_mul_f32_e32 v130, v1, v127
	v_mul_f32_e32 v127, v2, v127
	s_waitcnt vmcnt(33)
	v_mul_f32_e32 v131, v3, v133
	v_mul_f32_e32 v133, v4, v133
	v_fmac_f32_e32 v130, v2, v122
	v_fma_f32 v122, v1, v122, -v127
	s_waitcnt vmcnt(29)
	v_fmac_f32_e32 v131, v4, v141
	v_fma_f32 v127, v3, v141, -v133
	ds_read2_b64 v[1:4], v10 offset0:69 offset1:70
	s_waitcnt vmcnt(28) lgkmcnt(1)
	v_mul_f32_e32 v133, v5, v139
	v_mul_f32_e32 v139, v6, v139
	s_waitcnt vmcnt(27)
	v_mul_f32_e32 v141, v7, v138
	v_mul_f32_e32 v138, v8, v138
	v_fmac_f32_e32 v133, v6, v137
	v_fma_f32 v137, v5, v137, -v139
	v_fmac_f32_e32 v141, v8, v135
	v_fma_f32 v135, v7, v135, -v138
	ds_read2_b64 v[5:8], v10 offset0:71 offset1:72
	s_waitcnt vmcnt(26) lgkmcnt(1)
	v_mul_f32_e32 v138, v1, v136
	v_mul_f32_e32 v136, v2, v136
	s_waitcnt vmcnt(25)
	v_mul_f32_e32 v139, v3, v140
	v_mul_f32_e32 v140, v4, v140
	v_fmac_f32_e32 v138, v2, v134
	v_fma_f32 v134, v1, v134, -v136
	s_waitcnt vmcnt(21)
	v_fmac_f32_e32 v139, v4, v149
	;; [unrolled: 23-line block ×4, first 2 shown]
	v_fma_f32 v152, v3, v166, -v156
	ds_read2_b64 v[1:4], v10 offset0:81 offset1:82
	s_waitcnt vmcnt(4) lgkmcnt(1)
	v_mul_f32_e32 v156, v5, v165
	v_mul_f32_e32 v165, v6, v165
	s_waitcnt vmcnt(3)
	v_mul_f32_e32 v166, v7, v164
	v_mul_f32_e32 v164, v8, v164
	v_fmac_f32_e32 v156, v6, v163
	v_fma_f32 v163, v5, v163, -v165
	v_fmac_f32_e32 v166, v8, v162
	v_fma_f32 v162, v7, v162, -v164
	s_clause 0x4
	buffer_load_dword v164, off, s[0:3], 0 offset:232
	buffer_load_dword v165, off, s[0:3], 0 offset:224
	;; [unrolled: 1-line block ×5, first 2 shown]
	s_waitcnt vmcnt(7) lgkmcnt(0)
	v_mul_f32_e32 v173, v1, v169
	v_mul_f32_e32 v6, v2, v169
	s_waitcnt vmcnt(6)
	v_mul_f32_e32 v169, v3, v170
	v_fmac_f32_e32 v173, v2, v161
	v_fma_f32 v161, v1, v161, -v6
	v_mul_f32_e32 v1, v4, v170
	s_waitcnt vmcnt(1)
	v_fmac_f32_e32 v169, v4, v5
	v_fma_f32 v170, v3, v5, -v1
	ds_read2_b64 v[1:4], v10 offset0:83 offset1:84
	ds_read2_b64 v[5:8], v10 offset0:85 offset1:86
	s_waitcnt vmcnt(0) lgkmcnt(1)
	v_mul_f32_e32 v174, v1, v172
	v_mul_f32_e32 v172, v2, v172
	v_fmac_f32_e32 v174, v2, v171
	v_fma_f32 v171, v1, v171, -v172
	buffer_load_dword v1, off, s[0:3], 0 offset:228
	s_waitcnt vmcnt(0)
	v_mul_f32_e32 v172, v3, v1
	v_mul_f32_e32 v1, v4, v1
	v_fmac_f32_e32 v172, v4, v165
	v_fma_f32 v165, v3, v165, -v1
	buffer_load_dword v1, off, s[0:3], 0 offset:236
	s_waitcnt vmcnt(0) lgkmcnt(0)
	v_mul_f32_e32 v175, v5, v1
	v_mul_f32_e32 v1, v6, v1
	v_fmac_f32_e32 v175, v6, v164
	v_fma_f32 v164, v5, v164, -v1
	s_clause 0x5
	buffer_load_dword v1, off, s[0:3], 0 offset:244
	buffer_load_dword v176, off, s[0:3], 0 offset:264
	;; [unrolled: 1-line block ×6, first 2 shown]
	s_waitcnt vmcnt(5)
	v_mul_f32_e32 v179, v7, v1
	v_mul_f32_e32 v1, v8, v1
	s_waitcnt vmcnt(1)
	v_fmac_f32_e32 v179, v8, v2
	v_fma_f32 v180, v7, v2, -v1
	ds_read2_b64 v[1:4], v10 offset0:87 offset1:88
	ds_read2_b64 v[5:8], v10 offset0:89 offset1:90
	s_waitcnt vmcnt(0) lgkmcnt(1)
	v_mul_f32_e32 v182, v1, v181
	v_mul_f32_e32 v181, v2, v181
	v_fmac_f32_e32 v182, v2, v178
	v_fma_f32 v178, v1, v178, -v181
	buffer_load_dword v1, off, s[0:3], 0 offset:260
	s_waitcnt vmcnt(0)
	v_mul_f32_e32 v181, v3, v1
	v_mul_f32_e32 v1, v4, v1
	v_fmac_f32_e32 v181, v4, v177
	v_fma_f32 v177, v3, v177, -v1
	buffer_load_dword v1, off, s[0:3], 0 offset:268
	s_waitcnt vmcnt(0) lgkmcnt(0)
	v_mul_f32_e32 v183, v5, v1
	v_mul_f32_e32 v1, v6, v1
	v_fmac_f32_e32 v183, v6, v176
	v_fma_f32 v176, v5, v176, -v1
	s_clause 0x5
	buffer_load_dword v1, off, s[0:3], 0 offset:276
	buffer_load_dword v184, off, s[0:3], 0 offset:296
	;; [unrolled: 1-line block ×6, first 2 shown]
	s_waitcnt vmcnt(5)
	v_mul_f32_e32 v187, v7, v1
	v_mul_f32_e32 v1, v8, v1
	s_waitcnt vmcnt(1)
	v_fmac_f32_e32 v187, v8, v2
	v_fma_f32 v188, v7, v2, -v1
	ds_read2_b64 v[1:4], v10 offset0:91 offset1:92
	ds_read2_b64 v[5:8], v10 offset0:93 offset1:94
	s_waitcnt vmcnt(0) lgkmcnt(1)
	v_mul_f32_e32 v190, v1, v189
	v_mul_f32_e32 v189, v2, v189
	v_fmac_f32_e32 v190, v2, v186
	v_fma_f32 v186, v1, v186, -v189
	buffer_load_dword v1, off, s[0:3], 0 offset:292
	v_add_f32_e32 v2, 0, v129
	v_add_f32_e32 v2, v2, v126
	v_add_f32_e32 v2, v2, v11
	v_add_f32_e32 v2, v2, v123
	v_add_f32_e32 v2, v2, v128
	v_add_f32_e32 v2, v2, v125
	v_add_f32_e32 v2, v2, v122
	v_add_f32_e32 v2, v2, v127
	v_add_f32_e32 v2, v2, v137
	v_add_f32_e32 v2, v2, v135
	v_add_f32_e32 v2, v2, v134
	v_add_f32_e32 v2, v2, v136
	v_add_f32_e32 v2, v2, v145
	v_add_f32_e32 v2, v2, v143
	v_add_f32_e32 v2, v2, v142
	v_add_f32_e32 v2, v2, v144
	v_add_f32_e32 v2, v2, v153
	v_add_f32_e32 v2, v2, v151
	v_add_f32_e32 v2, v2, v150
	v_add_f32_e32 v2, v2, v152
	v_add_f32_e32 v2, v2, v163
	v_add_f32_e32 v2, v2, v162
	v_add_f32_e32 v2, v2, v161
	v_add_f32_e32 v2, v2, v170
	v_add_f32_e32 v2, v2, v171
	v_add_f32_e32 v2, v2, v165
	s_waitcnt vmcnt(0)
	v_mul_f32_e32 v189, v3, v1
	v_mul_f32_e32 v1, v4, v1
	v_fmac_f32_e32 v189, v4, v185
	v_fma_f32 v185, v3, v185, -v1
	v_add_f32_e32 v1, 0, v160
	s_clause 0x1
	buffer_load_dword v3, off, s[0:3], 0 offset:300
	buffer_load_dword v4, off, s[0:3], 0 offset:308
	v_add_f32_e32 v1, v1, v158
	v_add_f32_e32 v1, v1, v167
	;; [unrolled: 1-line block ×4, first 2 shown]
	s_clause 0x7
	buffer_load_dword v11, off, s[0:3], 0 offset:328
	buffer_load_dword v122, off, s[0:3], 0 offset:320
	;; [unrolled: 1-line block ×8, first 2 shown]
	v_add_f32_e32 v1, v1, v132
	v_add_f32_e32 v1, v1, v130
	;; [unrolled: 1-line block ×7, first 2 shown]
	s_clause 0x6
	buffer_load_dword v138, off, s[0:3], 0 offset:360
	buffer_load_dword v139, off, s[0:3], 0 offset:352
	;; [unrolled: 1-line block ×7, first 2 shown]
	v_add_f32_e32 v1, v1, v140
	s_clause 0x3
	buffer_load_dword v140, off, s[0:3], 0 offset:356
	buffer_load_dword v143, off, s[0:3], 0 offset:380
	;; [unrolled: 1-line block ×4, first 2 shown]
	v_add_f32_e32 v1, v1, v149
	v_add_f32_e32 v1, v1, v146
	;; [unrolled: 1-line block ×4, first 2 shown]
	s_clause 0x4
	buffer_load_dword v146, off, s[0:3], 0 offset:404
	buffer_load_dword v147, off, s[0:3], 0 offset:412
	;; [unrolled: 1-line block ×5, first 2 shown]
	v_add_f32_e32 v1, v1, v157
	v_add_f32_e32 v1, v1, v154
	s_clause 0x3
	buffer_load_dword v151, off, s[0:3], 0 offset:392
	buffer_load_dword v152, off, s[0:3], 0 offset:384
	;; [unrolled: 1-line block ×4, first 2 shown]
	v_add_f32_e32 v1, v1, v155
	v_add_f32_e32 v1, v1, v156
	s_clause 0x5
	buffer_load_dword v155, off, s[0:3], 0 offset:424
	buffer_load_dword v156, off, s[0:3], 0 offset:416
	buffer_load_dword v157, off, s[0:3], 0 offset:408
	buffer_load_dword v158, off, s[0:3], 0 offset:400
	buffer_load_dword v160, off, s[0:3], 0 offset:432
	buffer_load_dword v161, off, s[0:3], 0 offset:16
	v_add_f32_e32 v1, v1, v166
	v_add_f32_e32 v1, v1, v173
	;; [unrolled: 1-line block ×5, first 2 shown]
	s_waitcnt vmcnt(35) lgkmcnt(0)
	v_mul_f32_e32 v128, v5, v3
	v_mul_f32_e32 v3, v6, v3
	s_waitcnt vmcnt(34)
	v_mul_f32_e32 v133, v7, v4
	v_fmac_f32_e32 v128, v6, v184
	v_fma_f32 v130, v5, v184, -v3
	v_mul_f32_e32 v3, v8, v4
	v_add_f32_e32 v5, v1, v175
	v_add_f32_e32 v6, v2, v164
	;; [unrolled: 1-line block ×5, first 2 shown]
	s_waitcnt vmcnt(30)
	v_fma_f32 v135, v7, v124, -v3
	ds_read2_b64 v[1:4], v10 offset0:95 offset1:96
	v_fmac_f32_e32 v133, v8, v124
	v_add_f32_e32 v124, v5, v182
	ds_read2_b64 v[5:8], v10 offset0:97 offset1:98
	v_add_f32_e32 v136, v136, v177
	v_add_f32_e32 v124, v124, v181
	s_waitcnt vmcnt(29) lgkmcnt(1)
	v_mul_f32_e32 v137, v1, v125
	v_mul_f32_e32 v125, v2, v125
	s_waitcnt vmcnt(28)
	v_mul_f32_e32 v162, v3, v126
	v_mul_f32_e32 v126, v4, v126
	s_waitcnt vmcnt(27) lgkmcnt(0)
	v_mul_f32_e32 v165, v5, v127
	v_fmac_f32_e32 v137, v2, v123
	v_fma_f32 v163, v1, v123, -v125
	v_add_f32_e32 v123, v124, v183
	v_fma_f32 v164, v3, v122, -v126
	v_add_f32_e32 v126, v136, v176
	v_fmac_f32_e32 v162, v4, v122
	ds_read2_b64 v[1:4], v10 offset0:99 offset1:100
	v_add_f32_e32 v136, v123, v187
	s_waitcnt vmcnt(26)
	v_mul_f32_e32 v166, v7, v129
	v_add_f32_e32 v126, v126, v188
	v_mul_f32_e32 v127, v6, v127
	v_mul_f32_e32 v129, v8, v129
	v_add_f32_e32 v136, v136, v190
	v_fmac_f32_e32 v165, v6, v11
	v_add_f32_e32 v126, v126, v186
	s_waitcnt vmcnt(22)
	v_fmac_f32_e32 v166, v8, v131
	v_fma_f32 v167, v7, v131, -v129
	v_add_f32_e32 v6, v136, v189
	ds_read2_b64 v[122:125], v10 offset0:101 offset1:102
	v_add_f32_e32 v136, v126, v185
	v_fma_f32 v11, v5, v11, -v127
	v_add_f32_e32 v131, v6, v128
	ds_read2_b64 v[5:8], v10 offset0:103 offset1:104
	ds_read2_b64 v[126:129], v10 offset0:105 offset1:106
	v_add_f32_e32 v136, v136, v130
	s_waitcnt vmcnt(21) lgkmcnt(3)
	v_mul_f32_e32 v168, v1, v132
	v_mul_f32_e32 v169, v2, v132
	v_add_f32_e32 v170, v131, v133
	v_add_f32_e32 v171, v136, v135
	ds_read2_b64 v[130:133], v10 offset0:107 offset1:108
	v_fmac_f32_e32 v168, v2, v134
	v_fma_f32 v1, v1, v134, -v169
	v_add_f32_e32 v2, v170, v137
	ds_read2_b64 v[134:137], v10 offset0:109 offset1:110
	v_add_f32_e32 v10, v171, v163
	s_waitcnt vmcnt(18)
	v_mul_f32_e32 v163, v3, v140
	v_mul_f32_e32 v140, v4, v140
	v_add_f32_e32 v2, v2, v162
	s_waitcnt lgkmcnt(4)
	v_mul_f32_e32 v162, v122, v141
	v_add_f32_e32 v10, v10, v164
	v_mul_f32_e32 v141, v123, v141
	v_fma_f32 v3, v3, v139, -v140
	v_add_f32_e32 v2, v2, v165
	v_fmac_f32_e32 v163, v4, v139
	v_add_f32_e32 v10, v10, v11
	v_mul_f32_e32 v164, v124, v142
	v_mul_f32_e32 v142, v125, v142
	v_add_f32_e32 v2, v2, v166
	v_fma_f32 v122, v122, v138, -v141
	v_add_f32_e32 v10, v10, v167
	v_fmac_f32_e32 v162, v123, v138
	s_waitcnt vmcnt(6)
	v_fma_f32 v123, v124, v154, -v142
	v_add_f32_e32 v2, v2, v168
	s_waitcnt lgkmcnt(3)
	v_mul_f32_e32 v4, v5, v143
	v_add_f32_e32 v1, v10, v1
	v_fmac_f32_e32 v164, v125, v154
	v_mul_f32_e32 v139, v7, v144
	v_add_f32_e32 v2, v2, v163
	v_fmac_f32_e32 v4, v6, v153
	v_add_f32_e32 v1, v1, v3
	v_mul_f32_e32 v3, v6, v143
	s_waitcnt lgkmcnt(2)
	v_mul_f32_e32 v11, v126, v145
	v_add_f32_e32 v2, v2, v162
	v_fmac_f32_e32 v139, v8, v152
	v_add_f32_e32 v1, v1, v122
	v_mul_f32_e32 v122, v8, v144
	v_fma_f32 v3, v5, v153, -v3
	v_add_f32_e32 v2, v2, v164
	v_mul_f32_e32 v5, v127, v145
	v_add_f32_e32 v1, v1, v123
	v_fma_f32 v6, v7, v152, -v122
	v_mul_f32_e32 v140, v128, v146
	v_add_f32_e32 v2, v2, v4
	v_fma_f32 v4, v126, v151, -v5
	v_add_f32_e32 v1, v1, v3
	v_mul_f32_e32 v3, v129, v146
	v_fmac_f32_e32 v11, v127, v151
	v_add_f32_e32 v2, v2, v139
	s_waitcnt lgkmcnt(1)
	v_mul_f32_e32 v5, v131, v147
	v_add_f32_e32 v1, v1, v6
	s_waitcnt vmcnt(2)
	v_fma_f32 v3, v128, v158, -v3
	v_mul_f32_e32 v165, v130, v147
	v_fmac_f32_e32 v140, v129, v158
	v_add_f32_e32 v2, v2, v11
	v_add_f32_e32 v1, v1, v4
	v_mul_f32_e32 v4, v133, v148
	v_fma_f32 v5, v130, v157, -v5
	v_mul_f32_e32 v166, v132, v148
	v_fmac_f32_e32 v165, v131, v157
	v_add_f32_e32 v1, v1, v3
	v_add_f32_e32 v2, v2, v140
	s_waitcnt lgkmcnt(0)
	v_mul_f32_e32 v3, v135, v149
	v_fma_f32 v4, v132, v156, -v4
	v_mul_f32_e32 v167, v134, v149
	v_add_f32_e32 v1, v1, v5
	v_fmac_f32_e32 v166, v133, v156
	v_add_f32_e32 v2, v2, v165
	v_mul_f32_e32 v5, v137, v150
	v_fma_f32 v3, v134, v155, -v3
	v_add_f32_e32 v1, v1, v4
	v_mul_f32_e32 v10, v136, v150
	v_fmac_f32_e32 v167, v135, v155
	v_add_f32_e32 v2, v2, v166
	s_waitcnt vmcnt(1)
	v_fma_f32 v4, v136, v160, -v5
	v_add_f32_e32 v1, v1, v3
	v_fmac_f32_e32 v10, v137, v160
	v_add_f32_e32 v2, v2, v167
	v_add_f32_e32 v1, v1, v4
	;; [unrolled: 1-line block ×3, first 2 shown]
	s_waitcnt vmcnt(0)
	v_sub_f32_e32 v1, v161, v1
	v_sub_f32_e32 v2, v159, v2
	buffer_store_dword v1, off, s[0:3], 0 offset:16
	buffer_store_dword v2, off, s[0:3], 0 offset:20
	v_cmpx_lt_u32_e32 1, v0
	s_cbranch_execz .LBB54_341
; %bb.340:
	s_clause 0x1
	buffer_load_dword v1, off, s[0:3], 0 offset:8
	buffer_load_dword v2, off, s[0:3], 0 offset:12
	v_mov_b32_e32 v3, 0
	buffer_store_dword v3, off, s[0:3], 0 offset:8
	buffer_store_dword v3, off, s[0:3], 0 offset:12
	s_waitcnt vmcnt(0)
	ds_write_b64 v9, v[1:2]
.LBB54_341:
	s_or_b32 exec_lo, exec_lo, s4
	s_waitcnt lgkmcnt(0)
	s_waitcnt_vscnt null, 0x0
	s_barrier
	buffer_gl0_inv
	s_clause 0x2c
	buffer_load_dword v158, off, s[0:3], 0 offset:20
	buffer_load_dword v159, off, s[0:3], 0 offset:28
	;; [unrolled: 1-line block ×45, first 2 shown]
	v_mov_b32_e32 v122, 0
	ds_read_b128 v[5:8], v122 offset:464
	ds_read_b128 v[1:4], v122 offset:480
	s_mov_b32 s4, exec_lo
	s_clause 0x1
	buffer_load_dword v169, off, s[0:3], 0 offset:196
	buffer_load_dword v170, off, s[0:3], 0 offset:204
	s_waitcnt vmcnt(46) lgkmcnt(1)
	v_mul_f32_e32 v160, v5, v158
	v_mul_f32_e32 v167, v6, v158
	s_waitcnt vmcnt(45)
	v_mul_f32_e32 v158, v7, v159
	v_mul_f32_e32 v168, v8, v159
	buffer_load_dword v159, off, s[0:3], 0 offset:12
	s_waitcnt vmcnt(43)
	v_fmac_f32_e32 v160, v6, v129
	v_fma_f32 v129, v5, v129, -v167
	v_fmac_f32_e32 v158, v8, v126
	v_fma_f32 v126, v7, v126, -v168
	ds_read_b128 v[5:8], v122 offset:496
	s_waitcnt vmcnt(42) lgkmcnt(1)
	v_mul_f32_e32 v167, v1, v123
	s_waitcnt vmcnt(41)
	v_mul_f32_e32 v168, v3, v124
	v_mul_f32_e32 v123, v2, v123
	;; [unrolled: 1-line block ×3, first 2 shown]
	v_fmac_f32_e32 v167, v2, v10
	s_waitcnt vmcnt(37)
	v_fmac_f32_e32 v168, v4, v132
	v_fma_f32 v10, v1, v10, -v123
	v_fma_f32 v123, v3, v132, -v124
	ds_read_b128 v[1:4], v122 offset:512
	s_waitcnt vmcnt(36) lgkmcnt(1)
	v_mul_f32_e32 v124, v5, v131
	v_mul_f32_e32 v131, v6, v131
	s_waitcnt vmcnt(35)
	v_mul_f32_e32 v132, v7, v130
	v_mul_f32_e32 v130, v8, v130
	v_fmac_f32_e32 v124, v6, v128
	v_fma_f32 v128, v5, v128, -v131
	v_fmac_f32_e32 v132, v8, v125
	v_fma_f32 v125, v7, v125, -v130
	ds_read_b128 v[5:8], v122 offset:528
	s_waitcnt vmcnt(34) lgkmcnt(1)
	v_mul_f32_e32 v130, v1, v127
	v_mul_f32_e32 v127, v2, v127
	s_waitcnt vmcnt(33)
	v_mul_f32_e32 v131, v3, v133
	v_mul_f32_e32 v133, v4, v133
	v_fmac_f32_e32 v130, v2, v11
	v_fma_f32 v11, v1, v11, -v127
	s_waitcnt vmcnt(29)
	v_fmac_f32_e32 v131, v4, v141
	v_fma_f32 v127, v3, v141, -v133
	ds_read_b128 v[1:4], v122 offset:544
	s_waitcnt vmcnt(28) lgkmcnt(1)
	v_mul_f32_e32 v133, v5, v139
	v_mul_f32_e32 v139, v6, v139
	s_waitcnt vmcnt(27)
	v_mul_f32_e32 v141, v7, v138
	v_mul_f32_e32 v138, v8, v138
	v_fmac_f32_e32 v133, v6, v137
	v_fma_f32 v137, v5, v137, -v139
	v_fmac_f32_e32 v141, v8, v135
	v_fma_f32 v135, v7, v135, -v138
	ds_read_b128 v[5:8], v122 offset:560
	s_waitcnt vmcnt(26) lgkmcnt(1)
	v_mul_f32_e32 v138, v1, v136
	v_mul_f32_e32 v136, v2, v136
	s_waitcnt vmcnt(25)
	v_mul_f32_e32 v139, v3, v140
	v_mul_f32_e32 v140, v4, v140
	v_fmac_f32_e32 v138, v2, v134
	v_fma_f32 v134, v1, v134, -v136
	s_waitcnt vmcnt(21)
	v_fmac_f32_e32 v139, v4, v149
	;; [unrolled: 23-line block ×4, first 2 shown]
	v_fma_f32 v152, v3, v166, -v157
	ds_read_b128 v[1:4], v122 offset:640
	s_waitcnt vmcnt(4) lgkmcnt(1)
	v_mul_f32_e32 v157, v5, v165
	v_mul_f32_e32 v165, v6, v165
	s_waitcnt vmcnt(3)
	v_mul_f32_e32 v166, v7, v164
	v_mul_f32_e32 v164, v8, v164
	v_fmac_f32_e32 v157, v6, v163
	v_fma_f32 v163, v5, v163, -v165
	v_fmac_f32_e32 v166, v8, v162
	v_fma_f32 v162, v7, v162, -v164
	s_clause 0x4
	buffer_load_dword v164, off, s[0:3], 0 offset:224
	buffer_load_dword v165, off, s[0:3], 0 offset:216
	;; [unrolled: 1-line block ×5, first 2 shown]
	s_waitcnt vmcnt(7) lgkmcnt(0)
	v_mul_f32_e32 v173, v1, v169
	v_mul_f32_e32 v6, v2, v169
	s_waitcnt vmcnt(6)
	v_mul_f32_e32 v169, v3, v170
	v_fmac_f32_e32 v173, v2, v161
	v_fma_f32 v161, v1, v161, -v6
	v_mul_f32_e32 v1, v4, v170
	s_waitcnt vmcnt(1)
	v_fmac_f32_e32 v169, v4, v5
	v_fma_f32 v170, v3, v5, -v1
	ds_read_b128 v[1:4], v122 offset:656
	ds_read_b128 v[5:8], v122 offset:672
	s_waitcnt vmcnt(0) lgkmcnt(1)
	v_mul_f32_e32 v174, v1, v172
	v_mul_f32_e32 v172, v2, v172
	v_fmac_f32_e32 v174, v2, v171
	v_fma_f32 v171, v1, v171, -v172
	buffer_load_dword v1, off, s[0:3], 0 offset:220
	s_waitcnt vmcnt(0)
	v_mul_f32_e32 v172, v3, v1
	v_mul_f32_e32 v1, v4, v1
	v_fmac_f32_e32 v172, v4, v165
	v_fma_f32 v165, v3, v165, -v1
	buffer_load_dword v1, off, s[0:3], 0 offset:228
	s_waitcnt vmcnt(0) lgkmcnt(0)
	v_mul_f32_e32 v175, v5, v1
	v_mul_f32_e32 v1, v6, v1
	v_fmac_f32_e32 v175, v6, v164
	v_fma_f32 v164, v5, v164, -v1
	s_clause 0x5
	buffer_load_dword v1, off, s[0:3], 0 offset:236
	buffer_load_dword v176, off, s[0:3], 0 offset:256
	;; [unrolled: 1-line block ×6, first 2 shown]
	s_waitcnt vmcnt(5)
	v_mul_f32_e32 v179, v7, v1
	v_mul_f32_e32 v1, v8, v1
	s_waitcnt vmcnt(1)
	v_fmac_f32_e32 v179, v8, v2
	v_fma_f32 v180, v7, v2, -v1
	ds_read_b128 v[1:4], v122 offset:688
	ds_read_b128 v[5:8], v122 offset:704
	s_waitcnt vmcnt(0) lgkmcnt(1)
	v_mul_f32_e32 v182, v1, v181
	v_mul_f32_e32 v181, v2, v181
	v_fmac_f32_e32 v182, v2, v178
	v_fma_f32 v178, v1, v178, -v181
	buffer_load_dword v1, off, s[0:3], 0 offset:252
	v_add_f32_e32 v2, 0, v129
	v_add_f32_e32 v2, v2, v126
	v_add_f32_e32 v2, v2, v10
	buffer_load_dword v10, off, s[0:3], 0 offset:268
	v_add_f32_e32 v2, v2, v123
	v_add_f32_e32 v2, v2, v128
	;; [unrolled: 1-line block ×10, first 2 shown]
	s_waitcnt vmcnt(1)
	v_mul_f32_e32 v181, v3, v1
	v_mul_f32_e32 v1, v4, v1
	v_fmac_f32_e32 v181, v4, v177
	v_fma_f32 v177, v3, v177, -v1
	v_add_f32_e32 v1, 0, v160
	buffer_load_dword v3, off, s[0:3], 0 offset:260
	v_add_f32_e32 v1, v1, v158
	v_add_f32_e32 v1, v1, v167
	;; [unrolled: 1-line block ×4, first 2 shown]
	s_clause 0x7
	buffer_load_dword v11, off, s[0:3], 0 offset:288
	buffer_load_dword v123, off, s[0:3], 0 offset:280
	;; [unrolled: 1-line block ×8, first 2 shown]
	v_add_f32_e32 v1, v1, v132
	v_add_f32_e32 v1, v1, v130
	;; [unrolled: 1-line block ×4, first 2 shown]
	s_clause 0x5
	buffer_load_dword v130, off, s[0:3], 0 offset:320
	buffer_load_dword v131, off, s[0:3], 0 offset:312
	;; [unrolled: 1-line block ×6, first 2 shown]
	v_add_f32_e32 v1, v1, v141
	v_add_f32_e32 v1, v1, v138
	s_waitcnt vmcnt(15) lgkmcnt(0)
	v_mul_f32_e32 v138, v7, v10
	v_mul_f32_e32 v10, v8, v10
	v_add_f32_e32 v1, v1, v139
	buffer_load_dword v139, off, s[0:3], 0 offset:324
	v_add_f32_e32 v1, v1, v140
	buffer_load_dword v140, off, s[0:3], 0 offset:332
	v_add_f32_e32 v1, v1, v149
	s_waitcnt vmcnt(16)
	v_mul_f32_e32 v135, v5, v3
	v_mul_f32_e32 v3, v6, v3
	v_fmac_f32_e32 v135, v6, v176
	v_fma_f32 v136, v5, v176, -v3
	v_add_f32_e32 v5, v2, v143
	v_add_f32_e32 v6, v1, v146
	ds_read_b128 v[1:4], v122 offset:720
	v_add_f32_e32 v5, v5, v142
	v_add_f32_e32 v6, v6, v147
	v_add_f32_e32 v5, v5, v144
	v_add_f32_e32 v6, v6, v148
	s_waitcnt vmcnt(12)
	v_fmac_f32_e32 v138, v8, v125
	v_fma_f32 v10, v7, v125, -v10
	v_add_f32_e32 v125, v5, v153
	v_add_f32_e32 v141, v6, v156
	ds_read_b128 v[5:8], v122 offset:736
	s_clause 0x5
	buffer_load_dword v143, off, s[0:3], 0 offset:352
	buffer_load_dword v144, off, s[0:3], 0 offset:344
	;; [unrolled: 1-line block ×6, first 2 shown]
	v_add_f32_e32 v125, v125, v151
	v_add_f32_e32 v141, v141, v154
	s_waitcnt vmcnt(17) lgkmcnt(1)
	v_mul_f32_e32 v142, v1, v126
	v_mul_f32_e32 v126, v2, v126
	buffer_load_dword v149, off, s[0:3], 0 offset:356
	v_fmac_f32_e32 v142, v2, v124
	v_fma_f32 v124, v1, v124, -v126
	v_add_f32_e32 v1, v125, v150
	v_add_f32_e32 v2, v141, v155
	s_waitcnt vmcnt(17)
	v_mul_f32_e32 v141, v3, v127
	v_mul_f32_e32 v125, v4, v127
	v_add_f32_e32 v1, v1, v152
	v_add_f32_e32 v2, v2, v157
	v_fmac_f32_e32 v141, v4, v123
	v_fma_f32 v127, v3, v123, -v125
	s_clause 0x3
	buffer_load_dword v150, off, s[0:3], 0 offset:364
	buffer_load_dword v151, off, s[0:3], 0 offset:372
	;; [unrolled: 1-line block ×4, first 2 shown]
	v_add_f32_e32 v123, v1, v163
	v_add_f32_e32 v125, v2, v166
	s_waitcnt vmcnt(20) lgkmcnt(0)
	v_mul_f32_e32 v154, v5, v128
	v_mul_f32_e32 v126, v6, v128
	ds_read_b128 v[1:4], v122 offset:752
	v_add_f32_e32 v123, v123, v162
	v_add_f32_e32 v125, v125, v173
	s_clause 0x3
	buffer_load_dword v156, off, s[0:3], 0 offset:396
	buffer_load_dword v157, off, s[0:3], 0 offset:404
	;; [unrolled: 1-line block ×4, first 2 shown]
	v_fmac_f32_e32 v154, v6, v11
	v_fma_f32 v11, v5, v11, -v126
	v_add_f32_e32 v123, v123, v161
	s_clause 0x5
	buffer_load_dword v161, off, s[0:3], 0 offset:428
	buffer_load_dword v162, off, s[0:3], 0 offset:384
	;; [unrolled: 1-line block ×6, first 2 shown]
	v_add_f32_e32 v5, v125, v169
	s_waitcnt vmcnt(29)
	v_mul_f32_e32 v155, v7, v129
	v_add_f32_e32 v6, v123, v170
	v_mul_f32_e32 v128, v8, v129
	v_add_f32_e32 v5, v5, v174
	s_waitcnt vmcnt(25)
	v_fmac_f32_e32 v155, v8, v133
	v_add_f32_e32 v6, v6, v171
	v_fma_f32 v133, v7, v133, -v128
	v_add_f32_e32 v5, v5, v172
	s_waitcnt vmcnt(24) lgkmcnt(0)
	v_mul_f32_e32 v126, v2, v134
	v_add_f32_e32 v123, v6, v165
	v_add_f32_e32 v125, v5, v175
	ds_read_b128 v[5:8], v122 offset:768
	s_clause 0x6
	buffer_load_dword v165, off, s[0:3], 0 offset:416
	buffer_load_dword v169, off, s[0:3], 0 offset:408
	;; [unrolled: 1-line block ×7, first 2 shown]
	v_add_f32_e32 v123, v123, v164
	v_mul_f32_e32 v164, v1, v134
	v_add_f32_e32 v125, v125, v179
	v_fmac_f32_e32 v164, v2, v132
	v_fma_f32 v132, v1, v132, -v126
	v_add_f32_e32 v1, v123, v180
	v_add_f32_e32 v2, v125, v182
	;; [unrolled: 1-line block ×4, first 2 shown]
	s_waitcnt vmcnt(29) lgkmcnt(0)
	v_mul_f32_e32 v128, v6, v139
	v_add_f32_e32 v1, v1, v177
	v_add_f32_e32 v123, v2, v135
	v_mul_f32_e32 v135, v3, v137
	v_mul_f32_e32 v2, v4, v137
	;; [unrolled: 1-line block ×3, first 2 shown]
	v_add_f32_e32 v125, v1, v136
	v_add_f32_e32 v123, v123, v138
	v_fmac_f32_e32 v135, v4, v131
	v_fma_f32 v136, v3, v131, -v2
	ds_read_b128 v[1:4], v122 offset:784
	v_add_f32_e32 v10, v125, v10
	v_add_f32_e32 v129, v123, v142
	s_waitcnt vmcnt(28)
	v_mul_f32_e32 v131, v8, v140
	v_mul_f32_e32 v138, v7, v140
	v_fma_f32 v139, v5, v130, -v128
	v_add_f32_e32 v10, v10, v124
	ds_read_b128 v[123:126], v122 offset:800
	v_fmac_f32_e32 v137, v6, v130
	v_add_f32_e32 v10, v10, v127
	v_add_f32_e32 v10, v10, v11
	;; [unrolled: 1-line block ×6, first 2 shown]
	s_waitcnt vmcnt(23) lgkmcnt(1)
	v_mul_f32_e32 v11, v2, v147
	v_fma_f32 v140, v7, v146, -v131
	v_add_f32_e32 v131, v129, v141
	v_mul_f32_e32 v141, v1, v147
	v_fmac_f32_e32 v138, v8, v146
	s_waitcnt vmcnt(22)
	v_mul_f32_e32 v142, v3, v148
	v_mul_f32_e32 v146, v4, v148
	v_add_f32_e32 v131, v131, v154
	v_fmac_f32_e32 v141, v2, v145
	v_fma_f32 v145, v1, v145, -v11
	v_fmac_f32_e32 v142, v4, v144
	v_fma_f32 v144, v3, v144, -v146
	v_add_f32_e32 v1, v131, v155
	ds_read_b128 v[5:8], v122 offset:816
	ds_read_b128 v[127:130], v122 offset:832
	v_add_f32_e32 v136, v136, v140
	s_waitcnt vmcnt(21) lgkmcnt(2)
	v_mul_f32_e32 v139, v124, v149
	v_mul_f32_e32 v147, v123, v149
	v_add_f32_e32 v146, v1, v164
	s_waitcnt vmcnt(20)
	v_mul_f32_e32 v148, v126, v150
	v_add_f32_e32 v136, v136, v145
	v_fma_f32 v123, v123, v143, -v139
	v_fmac_f32_e32 v147, v124, v143
	v_add_f32_e32 v135, v146, v135
	v_mul_f32_e32 v146, v125, v150
	v_add_f32_e32 v136, v136, v144
	ds_read_b128 v[131:134], v122 offset:848
	ds_read_b128 v[1:4], v122 offset:864
	v_add_f32_e32 v135, v135, v137
	ds_read_b64 v[10:11], v122 offset:880
	v_add_f32_e32 v123, v136, v123
	v_add_f32_e32 v135, v135, v138
	s_waitcnt vmcnt(19) lgkmcnt(4)
	v_mul_f32_e32 v137, v5, v151
	v_mul_f32_e32 v143, v6, v151
	s_waitcnt vmcnt(8)
	v_fma_f32 v125, v125, v167, -v148
	v_fmac_f32_e32 v146, v126, v167
	v_add_f32_e32 v135, v135, v141
	v_fmac_f32_e32 v137, v6, v166
	v_fma_f32 v5, v5, v166, -v143
	v_add_f32_e32 v6, v123, v125
	v_mul_f32_e32 v140, v7, v152
	v_add_f32_e32 v135, v135, v142
	s_waitcnt lgkmcnt(3)
	v_mul_f32_e32 v125, v128, v153
	v_mul_f32_e32 v149, v127, v153
	v_add_f32_e32 v5, v6, v5
	v_fmac_f32_e32 v140, v8, v163
	v_add_f32_e32 v126, v135, v147
	v_mul_f32_e32 v135, v8, v152
	v_mul_f32_e32 v8, v130, v156
	;; [unrolled: 1-line block ×3, first 2 shown]
	v_fmac_f32_e32 v149, v128, v162
	v_add_f32_e32 v123, v126, v146
	v_fma_f32 v7, v7, v163, -v135
	s_waitcnt vmcnt(3)
	v_fma_f32 v8, v129, v171, -v8
	s_waitcnt lgkmcnt(2)
	v_mul_f32_e32 v145, v131, v157
	v_fmac_f32_e32 v138, v130, v171
	v_add_f32_e32 v6, v123, v137
	v_fma_f32 v123, v127, v162, -v125
	v_add_f32_e32 v5, v5, v7
	v_mul_f32_e32 v7, v132, v157
	v_mul_f32_e32 v124, v133, v158
	v_add_f32_e32 v6, v6, v140
	v_fmac_f32_e32 v145, v132, v170
	v_add_f32_e32 v5, v5, v123
	v_mul_f32_e32 v123, v134, v158
	v_fma_f32 v7, v131, v170, -v7
	v_add_f32_e32 v6, v6, v149
	s_waitcnt lgkmcnt(1)
	v_mul_f32_e32 v139, v1, v160
	v_add_f32_e32 v5, v5, v8
	v_mul_f32_e32 v8, v2, v160
	v_fma_f32 v123, v133, v169, -v123
	v_add_f32_e32 v6, v6, v138
	v_fmac_f32_e32 v124, v134, v169
	v_add_f32_e32 v5, v5, v7
	v_mul_f32_e32 v7, v4, v161
	v_fmac_f32_e32 v139, v2, v165
	v_add_f32_e32 v6, v6, v145
	v_fma_f32 v1, v1, v165, -v8
	v_add_f32_e32 v2, v5, v123
	v_mul_f32_e32 v141, v3, v161
	s_waitcnt vmcnt(1)
	v_fma_f32 v3, v3, v173, -v7
	v_add_f32_e32 v5, v6, v124
	s_waitcnt lgkmcnt(0)
	v_mul_f32_e32 v6, v11, v168
	v_add_f32_e32 v1, v2, v1
	v_mul_f32_e32 v142, v10, v168
	v_fmac_f32_e32 v141, v4, v173
	v_add_f32_e32 v2, v5, v139
	v_fma_f32 v4, v10, v172, -v6
	v_add_f32_e32 v1, v1, v3
	v_fmac_f32_e32 v142, v11, v172
	v_add_f32_e32 v2, v2, v141
	v_add_f32_e32 v1, v1, v4
	;; [unrolled: 1-line block ×3, first 2 shown]
	s_waitcnt vmcnt(0)
	v_sub_f32_e32 v1, v174, v1
	v_sub_f32_e32 v2, v159, v2
	buffer_store_dword v1, off, s[0:3], 0 offset:8
	buffer_store_dword v2, off, s[0:3], 0 offset:12
	v_cmpx_ne_u32_e32 0, v0
	s_cbranch_execz .LBB54_343
; %bb.342:
	s_clause 0x1
	buffer_load_dword v0, off, s[0:3], 0
	buffer_load_dword v1, off, s[0:3], 0 offset:4
	buffer_store_dword v122, off, s[0:3], 0
	buffer_store_dword v122, off, s[0:3], 0 offset:4
	s_waitcnt vmcnt(0)
	ds_write_b64 v9, v[0:1]
.LBB54_343:
	s_or_b32 exec_lo, exec_lo, s4
	s_waitcnt lgkmcnt(0)
	s_waitcnt_vscnt null, 0x0
	s_barrier
	buffer_gl0_inv
	s_clause 0x2c
	buffer_load_dword v0, off, s[0:3], 0 offset:12
	buffer_load_dword v123, off, s[0:3], 0 offset:24
	;; [unrolled: 1-line block ×45, first 2 shown]
	ds_read2_b64 v[8:11], v122 offset0:57 offset1:58
	ds_read2_b64 v[4:7], v122 offset0:59 offset1:60
	buffer_load_dword v168, off, s[0:3], 0 offset:4
	s_and_b32 vcc_lo, exec_lo, s22
	s_waitcnt vmcnt(45) lgkmcnt(1)
	v_mul_f32_e32 v161, v8, v0
	v_mul_f32_e32 v169, v9, v0
	ds_read2_b64 v[0:3], v122 offset0:61 offset1:62
	s_waitcnt vmcnt(42)
	v_fmac_f32_e32 v161, v9, v131
	v_fma_f32 v131, v8, v131, -v169
	s_waitcnt vmcnt(41)
	v_mul_f32_e32 v169, v10, v130
	v_mul_f32_e32 v8, v11, v130
	s_waitcnt vmcnt(40) lgkmcnt(1)
	v_mul_f32_e32 v130, v4, v128
	v_mul_f32_e32 v128, v5, v128
	v_fmac_f32_e32 v169, v11, v126
	v_fma_f32 v126, v10, v126, -v8
	ds_read2_b64 v[8:11], v122 offset0:63 offset1:64
	v_fmac_f32_e32 v130, v5, v123
	v_fma_f32 v123, v4, v123, -v128
	s_waitcnt vmcnt(39)
	v_mul_f32_e32 v128, v6, v125
	v_mul_f32_e32 v4, v7, v125
	s_waitcnt vmcnt(35)
	v_fmac_f32_e32 v128, v7, v135
	v_fma_f32 v125, v6, v135, -v4
	ds_read2_b64 v[4:7], v122 offset0:65 offset1:66
	s_waitcnt vmcnt(34) lgkmcnt(2)
	v_mul_f32_e32 v135, v0, v134
	v_mul_f32_e32 v134, v1, v134
	v_fmac_f32_e32 v135, v1, v132
	v_fma_f32 v132, v0, v132, -v134
	s_waitcnt vmcnt(33)
	v_mul_f32_e32 v134, v2, v133
	v_mul_f32_e32 v0, v3, v133
	s_waitcnt vmcnt(32) lgkmcnt(1)
	v_mul_f32_e32 v133, v8, v129
	v_mul_f32_e32 v129, v9, v129
	v_fmac_f32_e32 v134, v3, v127
	v_fma_f32 v127, v2, v127, -v0
	ds_read2_b64 v[0:3], v122 offset0:67 offset1:68
	v_fmac_f32_e32 v133, v9, v124
	v_fma_f32 v124, v8, v124, -v129
	s_waitcnt vmcnt(31)
	v_mul_f32_e32 v129, v10, v136
	v_mul_f32_e32 v8, v11, v136
	s_waitcnt vmcnt(27)
	v_fmac_f32_e32 v129, v11, v144
	v_fma_f32 v136, v10, v144, -v8
	s_waitcnt vmcnt(26) lgkmcnt(1)
	v_mul_f32_e32 v144, v4, v143
	v_mul_f32_e32 v143, v5, v143
	ds_read2_b64 v[8:11], v122 offset0:69 offset1:70
	v_fmac_f32_e32 v144, v5, v140
	v_fma_f32 v140, v4, v140, -v143
	s_waitcnt vmcnt(25)
	v_mul_f32_e32 v143, v6, v141
	v_mul_f32_e32 v4, v7, v141
	s_waitcnt vmcnt(24) lgkmcnt(1)
	v_mul_f32_e32 v141, v0, v139
	v_mul_f32_e32 v139, v1, v139
	v_fmac_f32_e32 v143, v7, v138
	v_fma_f32 v138, v6, v138, -v4
	ds_read2_b64 v[4:7], v122 offset0:71 offset1:72
	v_fmac_f32_e32 v141, v1, v137
	v_fma_f32 v137, v0, v137, -v139
	s_waitcnt vmcnt(23)
	v_mul_f32_e32 v139, v2, v142
	v_mul_f32_e32 v0, v3, v142
	s_waitcnt vmcnt(19)
	v_fmac_f32_e32 v139, v3, v152
	v_fma_f32 v142, v2, v152, -v0
	s_waitcnt vmcnt(18) lgkmcnt(1)
	v_mul_f32_e32 v152, v8, v151
	v_mul_f32_e32 v151, v9, v151
	ds_read2_b64 v[0:3], v122 offset0:73 offset1:74
	v_fmac_f32_e32 v152, v9, v148
	v_fma_f32 v148, v8, v148, -v151
	s_waitcnt vmcnt(17)
	v_mul_f32_e32 v151, v10, v149
	v_mul_f32_e32 v8, v11, v149
	s_waitcnt vmcnt(16) lgkmcnt(1)
	v_mul_f32_e32 v149, v4, v147
	v_mul_f32_e32 v147, v5, v147
	v_fmac_f32_e32 v151, v11, v146
	v_fma_f32 v146, v10, v146, -v8
	ds_read2_b64 v[8:11], v122 offset0:75 offset1:76
	v_fmac_f32_e32 v149, v5, v145
	v_fma_f32 v145, v4, v145, -v147
	s_waitcnt vmcnt(15)
	v_mul_f32_e32 v147, v6, v150
	v_mul_f32_e32 v4, v7, v150
	s_waitcnt vmcnt(11)
	v_fmac_f32_e32 v147, v7, v159
	v_fma_f32 v150, v6, v159, -v4
	ds_read2_b64 v[4:7], v122 offset0:77 offset1:78
	s_waitcnt vmcnt(10) lgkmcnt(2)
	v_mul_f32_e32 v159, v0, v158
	v_mul_f32_e32 v158, v1, v158
	v_fmac_f32_e32 v159, v1, v156
	v_fma_f32 v156, v0, v156, -v158
	s_waitcnt vmcnt(9)
	v_mul_f32_e32 v158, v2, v157
	v_mul_f32_e32 v0, v3, v157
	s_waitcnt vmcnt(8) lgkmcnt(1)
	v_mul_f32_e32 v157, v8, v155
	s_waitcnt vmcnt(7)
	v_mul_f32_e32 v1, v11, v160
	v_fmac_f32_e32 v158, v3, v154
	v_fma_f32 v154, v2, v154, -v0
	v_mul_f32_e32 v0, v9, v155
	v_mul_f32_e32 v155, v10, v160
	buffer_load_dword v160, off, s[0:3], 0 offset:188
	v_fmac_f32_e32 v157, v9, v153
	s_waitcnt vmcnt(4)
	v_fma_f32 v9, v10, v167, -v1
	v_fma_f32 v8, v8, v153, -v0
	v_fmac_f32_e32 v155, v11, v167
	ds_read2_b64 v[0:3], v122 offset0:79 offset1:80
	s_waitcnt vmcnt(3) lgkmcnt(1)
	v_mul_f32_e32 v10, v4, v166
	v_mul_f32_e32 v11, v5, v166
	buffer_load_dword v166, off, s[0:3], 0 offset:196
	s_waitcnt vmcnt(3)
	v_mul_f32_e32 v153, v6, v165
	v_mul_f32_e32 v165, v7, v165
	v_fmac_f32_e32 v10, v5, v164
	v_fma_f32 v11, v4, v164, -v11
	v_fmac_f32_e32 v153, v7, v163
	v_fma_f32 v163, v6, v163, -v165
	s_clause 0x4
	buffer_load_dword v164, off, s[0:3], 0 offset:216
	buffer_load_dword v165, off, s[0:3], 0 offset:208
	buffer_load_dword v167, off, s[0:3], 0 offset:200
	buffer_load_dword v4, off, s[0:3], 0 offset:192
	buffer_load_dword v170, off, s[0:3], 0 offset:204
	s_waitcnt vmcnt(6) lgkmcnt(0)
	v_mul_f32_e32 v171, v0, v160
	v_mul_f32_e32 v5, v1, v160
	v_fmac_f32_e32 v171, v1, v162
	v_fma_f32 v162, v0, v162, -v5
	s_waitcnt vmcnt(5)
	v_mul_f32_e32 v160, v2, v166
	v_mul_f32_e32 v6, v3, v166
	s_waitcnt vmcnt(1)
	v_fmac_f32_e32 v160, v3, v4
	v_fma_f32 v166, v2, v4, -v6
	ds_read2_b64 v[0:3], v122 offset0:81 offset1:82
	ds_read2_b64 v[4:7], v122 offset0:83 offset1:84
	s_waitcnt vmcnt(0) lgkmcnt(1)
	v_mul_f32_e32 v172, v0, v170
	v_mul_f32_e32 v170, v1, v170
	v_fmac_f32_e32 v172, v1, v167
	v_fma_f32 v167, v0, v167, -v170
	buffer_load_dword v0, off, s[0:3], 0 offset:212
	s_waitcnt vmcnt(0)
	v_mul_f32_e32 v170, v2, v0
	v_mul_f32_e32 v0, v3, v0
	v_fmac_f32_e32 v170, v3, v165
	v_fma_f32 v165, v2, v165, -v0
	buffer_load_dword v0, off, s[0:3], 0 offset:220
	s_waitcnt vmcnt(0) lgkmcnt(0)
	v_mul_f32_e32 v173, v4, v0
	v_mul_f32_e32 v0, v5, v0
	v_fmac_f32_e32 v173, v5, v164
	v_fma_f32 v164, v4, v164, -v0
	s_clause 0x5
	buffer_load_dword v0, off, s[0:3], 0 offset:228
	buffer_load_dword v174, off, s[0:3], 0 offset:248
	;; [unrolled: 1-line block ×6, first 2 shown]
	s_waitcnt vmcnt(5)
	v_mul_f32_e32 v177, v6, v0
	v_mul_f32_e32 v0, v7, v0
	s_waitcnt vmcnt(1)
	v_fmac_f32_e32 v177, v7, v1
	v_fma_f32 v178, v6, v1, -v0
	ds_read2_b64 v[0:3], v122 offset0:85 offset1:86
	ds_read2_b64 v[4:7], v122 offset0:87 offset1:88
	s_waitcnt vmcnt(0) lgkmcnt(1)
	v_mul_f32_e32 v180, v0, v179
	v_mul_f32_e32 v179, v1, v179
	v_fmac_f32_e32 v180, v1, v176
	v_fma_f32 v176, v0, v176, -v179
	buffer_load_dword v0, off, s[0:3], 0 offset:244
	v_add_f32_e32 v1, 0, v131
	v_add_f32_e32 v1, v1, v126
	;; [unrolled: 1-line block ×14, first 2 shown]
	s_waitcnt vmcnt(0)
	v_mul_f32_e32 v179, v2, v0
	v_mul_f32_e32 v0, v3, v0
	v_fmac_f32_e32 v179, v3, v175
	v_fma_f32 v175, v2, v175, -v0
	s_clause 0x5
	buffer_load_dword v2, off, s[0:3], 0 offset:252
	buffer_load_dword v3, off, s[0:3], 0 offset:260
	;; [unrolled: 1-line block ×6, first 2 shown]
	v_add_f32_e32 v0, 0, v161
	buffer_load_dword v127, off, s[0:3], 0 offset:268
	v_add_f32_e32 v0, v0, v169
	v_add_f32_e32 v0, v0, v130
	buffer_load_dword v130, off, s[0:3], 0 offset:292
	v_add_f32_e32 v0, v0, v128
	buffer_load_dword v128, off, s[0:3], 0 offset:276
	v_add_f32_e32 v0, v0, v135
	v_add_f32_e32 v0, v0, v134
	;; [unrolled: 1-line block ×4, first 2 shown]
	s_clause 0x7
	buffer_load_dword v129, off, s[0:3], 0 offset:284
	buffer_load_dword v131, off, s[0:3], 0 offset:312
	;; [unrolled: 1-line block ×8, first 2 shown]
	v_add_f32_e32 v0, v0, v144
	buffer_load_dword v138, off, s[0:3], 0 offset:324
	v_add_f32_e32 v0, v0, v143
	v_add_f32_e32 v0, v0, v141
	v_add_f32_e32 v0, v0, v139
	v_add_f32_e32 v0, v0, v152
	v_add_f32_e32 v0, v0, v151
	v_add_f32_e32 v0, v0, v149
	s_waitcnt vmcnt(17) lgkmcnt(0)
	v_mul_f32_e32 v139, v4, v2
	v_mul_f32_e32 v2, v5, v2
	s_waitcnt vmcnt(16)
	v_mul_f32_e32 v140, v6, v3
	v_mul_f32_e32 v3, v7, v3
	v_fmac_f32_e32 v139, v5, v174
	v_fma_f32 v141, v4, v174, -v2
	v_add_f32_e32 v4, v1, v145
	v_add_f32_e32 v5, v0, v147
	s_waitcnt vmcnt(12)
	v_fmac_f32_e32 v140, v7, v126
	v_fma_f32 v126, v6, v126, -v3
	ds_read2_b64 v[0:3], v122 offset0:89 offset1:90
	v_add_f32_e32 v4, v4, v150
	s_clause 0x4
	buffer_load_dword v142, off, s[0:3], 0 offset:344
	buffer_load_dword v143, off, s[0:3], 0 offset:336
	;; [unrolled: 1-line block ×5, first 2 shown]
	v_add_f32_e32 v5, v5, v159
	s_clause 0x1
	buffer_load_dword v148, off, s[0:3], 0 offset:340
	buffer_load_dword v149, off, s[0:3], 0 offset:348
	v_add_f32_e32 v4, v4, v156
	v_add_f32_e32 v5, v5, v158
	;; [unrolled: 1-line block ×5, first 2 shown]
	ds_read2_b64 v[4:7], v122 offset0:91 offset1:92
	v_add_f32_e32 v147, v147, v155
	s_waitcnt vmcnt(18) lgkmcnt(1)
	v_mul_f32_e32 v150, v0, v127
	v_mul_f32_e32 v127, v1, v127
	v_add_f32_e32 v8, v8, v9
	s_waitcnt vmcnt(16)
	v_mul_f32_e32 v9, v2, v128
	v_mul_f32_e32 v128, v3, v128
	v_fmac_f32_e32 v150, v1, v125
	v_add_f32_e32 v1, v147, v10
	v_fma_f32 v10, v0, v125, -v127
	v_add_f32_e32 v0, v8, v11
	v_fmac_f32_e32 v9, v3, v124
	v_fma_f32 v124, v2, v124, -v128
	v_add_f32_e32 v1, v1, v153
	s_clause 0x7
	buffer_load_dword v147, off, s[0:3], 0 offset:356
	buffer_load_dword v151, off, s[0:3], 0 offset:364
	;; [unrolled: 1-line block ×8, first 2 shown]
	v_add_f32_e32 v0, v0, v163
	buffer_load_dword v158, off, s[0:3], 0 offset:388
	v_add_f32_e32 v1, v1, v171
	s_waitcnt vmcnt(24) lgkmcnt(0)
	v_mul_f32_e32 v125, v4, v129
	v_add_f32_e32 v0, v0, v162
	v_mul_f32_e32 v2, v5, v129
	v_mul_f32_e32 v128, v6, v130
	v_add_f32_e32 v1, v1, v160
	v_fmac_f32_e32 v125, v5, v123
	v_add_f32_e32 v0, v0, v166
	v_fma_f32 v127, v4, v123, -v2
	s_clause 0x2
	buffer_load_dword v159, off, s[0:3], 0 offset:396
	buffer_load_dword v160, off, s[0:3], 0 offset:404
	;; [unrolled: 1-line block ×3, first 2 shown]
	v_add_f32_e32 v4, v1, v172
	v_mul_f32_e32 v1, v7, v130
	v_add_f32_e32 v5, v0, v167
	s_clause 0x2
	buffer_load_dword v162, off, s[0:3], 0 offset:420
	buffer_load_dword v163, off, s[0:3], 0 offset:428
	;; [unrolled: 1-line block ×3, first 2 shown]
	v_add_f32_e32 v4, v4, v170
	s_waitcnt vmcnt(26)
	v_fma_f32 v129, v6, v134, -v1
	v_add_f32_e32 v5, v5, v165
	ds_read2_b64 v[0:3], v122 offset0:93 offset1:94
	v_fmac_f32_e32 v128, v7, v134
	v_add_f32_e32 v4, v4, v173
	v_add_f32_e32 v5, v5, v164
	s_clause 0x3
	buffer_load_dword v164, off, s[0:3], 0 offset:408
	buffer_load_dword v165, off, s[0:3], 0 offset:400
	buffer_load_dword v167, off, s[0:3], 0 offset:392
	buffer_load_dword v169, off, s[0:3], 0 offset:384
	v_add_f32_e32 v4, v4, v177
	v_add_f32_e32 v8, v5, v178
	;; [unrolled: 1-line block ×3, first 2 shown]
	ds_read2_b64 v[4:7], v122 offset0:95 offset1:96
	v_add_f32_e32 v8, v8, v176
	s_waitcnt vmcnt(29) lgkmcnt(1)
	v_mul_f32_e32 v130, v0, v135
	v_mul_f32_e32 v123, v1, v135
	s_clause 0x2
	buffer_load_dword v135, off, s[0:3], 0 offset:432
	buffer_load_dword v170, off, s[0:3], 0 offset:424
	;; [unrolled: 1-line block ×3, first 2 shown]
	s_waitcnt vmcnt(31)
	v_mul_f32_e32 v134, v2, v136
	v_fmac_f32_e32 v130, v1, v133
	v_fma_f32 v133, v0, v133, -v123
	v_add_f32_e32 v0, v11, v179
	v_add_f32_e32 v1, v8, v175
	v_fmac_f32_e32 v134, v3, v132
	v_add_f32_e32 v0, v0, v139
	buffer_load_dword v139, off, s[0:3], 0
	v_add_f32_e32 v8, v1, v141
	v_mul_f32_e32 v1, v3, v136
	s_waitcnt vmcnt(31) lgkmcnt(0)
	v_mul_f32_e32 v136, v4, v137
	v_add_f32_e32 v11, v0, v140
	v_mul_f32_e32 v123, v5, v137
	v_add_f32_e32 v8, v8, v126
	v_fma_f32 v132, v2, v132, -v1
	ds_read2_b64 v[0:3], v122 offset0:97 offset1:98
	v_add_f32_e32 v11, v11, v150
	v_fmac_f32_e32 v136, v5, v131
	v_add_f32_e32 v126, v8, v10
	v_fma_f32 v141, v4, v131, -v123
	s_waitcnt vmcnt(30)
	v_mul_f32_e32 v137, v6, v138
	v_add_f32_e32 v140, v11, v9
	v_mul_f32_e32 v138, v7, v138
	v_add_f32_e32 v131, v126, v124
	ds_read2_b64 v[8:11], v122 offset0:99 offset1:100
	v_add_f32_e32 v140, v140, v125
	v_add_f32_e32 v127, v131, v127
	;; [unrolled: 1-line block ×4, first 2 shown]
	s_waitcnt vmcnt(26)
	v_fmac_f32_e32 v137, v7, v145
	v_fma_f32 v138, v6, v145, -v138
	s_waitcnt vmcnt(25) lgkmcnt(1)
	v_mul_f32_e32 v145, v0, v146
	v_mul_f32_e32 v131, v1, v146
	s_waitcnt vmcnt(24)
	v_mul_f32_e32 v140, v2, v148
	v_mul_f32_e32 v146, v3, v148
	ds_read2_b64 v[4:7], v122 offset0:101 offset1:102
	ds_read2_b64 v[123:126], v122 offset0:103 offset1:104
	v_fmac_f32_e32 v145, v1, v144
	v_fma_f32 v144, v0, v144, -v131
	v_add_f32_e32 v131, v127, v133
	v_add_f32_e32 v1, v128, v130
	v_fmac_f32_e32 v140, v3, v143
	v_fma_f32 v143, v2, v143, -v146
	v_add_f32_e32 v148, v131, v132
	v_add_f32_e32 v146, v1, v134
	ds_read2_b64 v[0:3], v122 offset0:105 offset1:106
	ds_read2_b64 v[127:130], v122 offset0:107 offset1:108
	;; [unrolled: 1-line block ×3, first 2 shown]
	v_add_f32_e32 v141, v148, v141
	v_add_f32_e32 v122, v146, v136
	s_waitcnt vmcnt(23) lgkmcnt(5)
	v_mul_f32_e32 v146, v9, v149
	v_mul_f32_e32 v136, v8, v149
	s_waitcnt vmcnt(22)
	v_mul_f32_e32 v148, v10, v147
	v_add_f32_e32 v138, v141, v138
	v_add_f32_e32 v122, v122, v137
	v_mul_f32_e32 v147, v11, v147
	v_fma_f32 v8, v8, v142, -v146
	v_fmac_f32_e32 v136, v9, v142
	v_add_f32_e32 v138, v138, v144
	v_add_f32_e32 v122, v122, v145
	s_waitcnt vmcnt(21) lgkmcnt(4)
	v_mul_f32_e32 v137, v4, v151
	v_mul_f32_e32 v145, v5, v151
	s_waitcnt vmcnt(15)
	v_fma_f32 v10, v10, v157, -v147
	v_add_f32_e32 v138, v138, v143
	v_add_f32_e32 v122, v122, v140
	v_fmac_f32_e32 v148, v11, v157
	v_mul_f32_e32 v147, v7, v152
	v_fmac_f32_e32 v137, v5, v156
	v_add_f32_e32 v8, v138, v8
	v_add_f32_e32 v122, v122, v136
	v_fma_f32 v4, v4, v156, -v145
	v_mul_f32_e32 v9, v6, v152
	v_fma_f32 v6, v6, v155, -v147
	v_add_f32_e32 v5, v8, v10
	v_add_f32_e32 v8, v122, v148
	s_waitcnt lgkmcnt(3)
	v_mul_f32_e32 v10, v124, v153
	v_mul_f32_e32 v141, v123, v153
	v_fmac_f32_e32 v9, v7, v155
	v_add_f32_e32 v4, v5, v4
	v_add_f32_e32 v5, v8, v137
	s_waitcnt vmcnt(14)
	v_mul_f32_e32 v7, v126, v158
	v_fma_f32 v8, v123, v154, -v10
	v_mul_f32_e32 v142, v125, v158
	v_add_f32_e32 v4, v4, v6
	v_fmac_f32_e32 v141, v124, v154
	v_add_f32_e32 v5, v5, v9
	s_waitcnt vmcnt(13) lgkmcnt(2)
	v_mul_f32_e32 v144, v0, v159
	v_mul_f32_e32 v6, v1, v159
	s_waitcnt vmcnt(4)
	v_fma_f32 v7, v125, v169, -v7
	v_add_f32_e32 v4, v4, v8
	v_fmac_f32_e32 v142, v126, v169
	v_add_f32_e32 v5, v5, v141
	v_mul_f32_e32 v8, v3, v160
	v_fmac_f32_e32 v144, v1, v167
	v_fma_f32 v0, v0, v167, -v6
	v_add_f32_e32 v1, v4, v7
	v_mul_f32_e32 v11, v2, v160
	v_add_f32_e32 v4, v5, v142
	s_waitcnt lgkmcnt(1)
	v_mul_f32_e32 v5, v128, v161
	v_fma_f32 v2, v2, v165, -v8
	v_add_f32_e32 v0, v1, v0
	v_mul_f32_e32 v146, v127, v161
	v_fmac_f32_e32 v11, v3, v165
	v_add_f32_e32 v1, v4, v144
	v_mul_f32_e32 v3, v130, v162
	v_fma_f32 v4, v127, v164, -v5
	v_add_f32_e32 v0, v0, v2
	v_mul_f32_e32 v140, v129, v162
	v_fmac_f32_e32 v146, v128, v164
	v_add_f32_e32 v1, v1, v11
	s_waitcnt lgkmcnt(0)
	v_mul_f32_e32 v2, v132, v163
	s_waitcnt vmcnt(1)
	v_fma_f32 v3, v129, v171, -v3
	v_add_f32_e32 v0, v0, v4
	v_mul_f32_e32 v143, v131, v163
	v_fmac_f32_e32 v140, v130, v171
	v_add_f32_e32 v1, v1, v146
	v_mul_f32_e32 v4, v134, v166
	v_fma_f32 v2, v131, v170, -v2
	v_add_f32_e32 v0, v0, v3
	v_mul_f32_e32 v136, v133, v166
	v_fmac_f32_e32 v143, v132, v170
	v_add_f32_e32 v1, v1, v140
	v_fma_f32 v3, v133, v135, -v4
	v_add_f32_e32 v0, v0, v2
	v_fmac_f32_e32 v136, v134, v135
	v_add_f32_e32 v1, v1, v143
	v_add_f32_e32 v0, v0, v3
	;; [unrolled: 1-line block ×3, first 2 shown]
	s_waitcnt vmcnt(0)
	v_sub_f32_e32 v0, v139, v0
	v_sub_f32_e32 v1, v168, v1
	buffer_store_dword v0, off, s[0:3], 0
	buffer_store_dword v1, off, s[0:3], 0 offset:4
	s_cbranch_vccz .LBB54_452
; %bb.344:
	v_mov_b32_e32 v0, 0
	global_load_dword v1, v0, s[20:21] offset:212
	s_waitcnt vmcnt(0)
	v_add_nc_u32_e32 v1, -1, v1
	v_cmp_ne_u32_e32 vcc_lo, 53, v1
	s_cbranch_vccz .LBB54_346
; %bb.345:
	v_lshlrev_b32_e32 v1, 3, v1
	s_clause 0x3
	buffer_load_dword v2, v1, s[0:3], 0 offen
	buffer_load_dword v3, v1, s[0:3], 0 offen offset:4
	buffer_load_dword v4, off, s[0:3], 0 offset:424
	buffer_load_dword v5, off, s[0:3], 0 offset:428
	s_waitcnt vmcnt(3)
	buffer_store_dword v2, off, s[0:3], 0 offset:424
	s_waitcnt vmcnt(2)
	buffer_store_dword v3, off, s[0:3], 0 offset:428
	s_waitcnt vmcnt(1)
	buffer_store_dword v4, v1, s[0:3], 0 offen
	s_waitcnt vmcnt(0)
	buffer_store_dword v5, v1, s[0:3], 0 offen offset:4
.LBB54_346:
	global_load_dword v0, v0, s[20:21] offset:208
	s_waitcnt vmcnt(0)
	v_add_nc_u32_e32 v0, -1, v0
	v_cmp_eq_u32_e32 vcc_lo, 52, v0
	s_cbranch_vccnz .LBB54_348
; %bb.347:
	v_lshlrev_b32_e32 v0, 3, v0
	s_clause 0x3
	buffer_load_dword v1, v0, s[0:3], 0 offen
	buffer_load_dword v2, v0, s[0:3], 0 offen offset:4
	buffer_load_dword v3, off, s[0:3], 0 offset:420
	buffer_load_dword v4, off, s[0:3], 0 offset:416
	s_waitcnt vmcnt(3)
	buffer_store_dword v1, off, s[0:3], 0 offset:416
	s_waitcnt vmcnt(2)
	buffer_store_dword v2, off, s[0:3], 0 offset:420
	s_waitcnt vmcnt(1)
	buffer_store_dword v3, v0, s[0:3], 0 offen offset:4
	s_waitcnt vmcnt(0)
	buffer_store_dword v4, v0, s[0:3], 0 offen
.LBB54_348:
	v_mov_b32_e32 v0, 0
	global_load_dword v1, v0, s[20:21] offset:204
	s_waitcnt vmcnt(0)
	v_add_nc_u32_e32 v1, -1, v1
	v_cmp_eq_u32_e32 vcc_lo, 51, v1
	s_cbranch_vccnz .LBB54_350
; %bb.349:
	v_lshlrev_b32_e32 v1, 3, v1
	s_clause 0x3
	buffer_load_dword v2, v1, s[0:3], 0 offen
	buffer_load_dword v3, v1, s[0:3], 0 offen offset:4
	buffer_load_dword v4, off, s[0:3], 0 offset:408
	buffer_load_dword v5, off, s[0:3], 0 offset:412
	s_waitcnt vmcnt(3)
	buffer_store_dword v2, off, s[0:3], 0 offset:408
	s_waitcnt vmcnt(2)
	buffer_store_dword v3, off, s[0:3], 0 offset:412
	s_waitcnt vmcnt(1)
	buffer_store_dword v4, v1, s[0:3], 0 offen
	s_waitcnt vmcnt(0)
	buffer_store_dword v5, v1, s[0:3], 0 offen offset:4
.LBB54_350:
	global_load_dword v0, v0, s[20:21] offset:200
	s_waitcnt vmcnt(0)
	v_add_nc_u32_e32 v0, -1, v0
	v_cmp_eq_u32_e32 vcc_lo, 50, v0
	s_cbranch_vccnz .LBB54_352
; %bb.351:
	v_lshlrev_b32_e32 v0, 3, v0
	s_clause 0x3
	buffer_load_dword v1, v0, s[0:3], 0 offen
	buffer_load_dword v2, v0, s[0:3], 0 offen offset:4
	buffer_load_dword v3, off, s[0:3], 0 offset:404
	buffer_load_dword v4, off, s[0:3], 0 offset:400
	s_waitcnt vmcnt(3)
	buffer_store_dword v1, off, s[0:3], 0 offset:400
	s_waitcnt vmcnt(2)
	buffer_store_dword v2, off, s[0:3], 0 offset:404
	s_waitcnt vmcnt(1)
	buffer_store_dword v3, v0, s[0:3], 0 offen offset:4
	s_waitcnt vmcnt(0)
	buffer_store_dword v4, v0, s[0:3], 0 offen
.LBB54_352:
	v_mov_b32_e32 v0, 0
	global_load_dword v1, v0, s[20:21] offset:196
	s_waitcnt vmcnt(0)
	v_add_nc_u32_e32 v1, -1, v1
	v_cmp_eq_u32_e32 vcc_lo, 49, v1
	s_cbranch_vccnz .LBB54_354
; %bb.353:
	v_lshlrev_b32_e32 v1, 3, v1
	s_clause 0x3
	buffer_load_dword v2, v1, s[0:3], 0 offen
	buffer_load_dword v3, v1, s[0:3], 0 offen offset:4
	buffer_load_dword v4, off, s[0:3], 0 offset:392
	buffer_load_dword v5, off, s[0:3], 0 offset:396
	s_waitcnt vmcnt(3)
	buffer_store_dword v2, off, s[0:3], 0 offset:392
	s_waitcnt vmcnt(2)
	buffer_store_dword v3, off, s[0:3], 0 offset:396
	s_waitcnt vmcnt(1)
	buffer_store_dword v4, v1, s[0:3], 0 offen
	s_waitcnt vmcnt(0)
	buffer_store_dword v5, v1, s[0:3], 0 offen offset:4
.LBB54_354:
	;; [unrolled: 43-line block ×26, first 2 shown]
	global_load_dword v0, v0, s[20:21]
	s_waitcnt vmcnt(0)
	v_add_nc_u32_e32 v0, -1, v0
	v_cmp_eq_u32_e32 vcc_lo, 0, v0
	s_cbranch_vccnz .LBB54_452
; %bb.451:
	v_lshlrev_b32_e32 v0, 3, v0
	s_clause 0x3
	buffer_load_dword v1, v0, s[0:3], 0 offen
	buffer_load_dword v2, v0, s[0:3], 0 offen offset:4
	buffer_load_dword v3, off, s[0:3], 0 offset:4
	buffer_load_dword v4, off, s[0:3], 0
	s_waitcnt vmcnt(3)
	buffer_store_dword v1, off, s[0:3], 0
	s_waitcnt vmcnt(2)
	buffer_store_dword v2, off, s[0:3], 0 offset:4
	s_waitcnt vmcnt(1)
	buffer_store_dword v3, v0, s[0:3], 0 offen offset:4
	s_waitcnt vmcnt(0)
	buffer_store_dword v4, v0, s[0:3], 0 offen
.LBB54_452:
	s_clause 0x3e
	buffer_load_dword v0, off, s[0:3], 0
	buffer_load_dword v1, off, s[0:3], 0 offset:4
	buffer_load_dword v2, off, s[0:3], 0 offset:8
	;; [unrolled: 1-line block ×62, first 2 shown]
	s_clause 0x2e
	buffer_load_dword v173, off, s[0:3], 0 offset:252
	buffer_load_dword v174, off, s[0:3], 0 offset:256
	;; [unrolled: 1-line block ×47, first 2 shown]
	s_waitcnt vmcnt(62)
	global_store_dwordx2 v[104:105], v[0:1], off
	global_store_dwordx2 v[106:107], v[2:3], off
	;; [unrolled: 1-line block ×24, first 2 shown]
	s_waitcnt vmcnt(60)
	global_store_dwordx2 v[56:57], v[158:159], off
	s_waitcnt vmcnt(58)
	global_store_dwordx2 v[58:59], v[160:161], off
	;; [unrolled: 2-line block ×31, first 2 shown]
	s_endpgm
	.section	.rodata,"a",@progbits
	.p2align	6, 0x0
	.amdhsa_kernel _ZN9rocsolver6v33100L18getri_kernel_smallILi55E19rocblas_complex_numIfEPS3_EEvT1_iilPiilS6_bb
		.amdhsa_group_segment_fixed_size 888
		.amdhsa_private_segment_fixed_size 448
		.amdhsa_kernarg_size 60
		.amdhsa_user_sgpr_count 6
		.amdhsa_user_sgpr_private_segment_buffer 1
		.amdhsa_user_sgpr_dispatch_ptr 0
		.amdhsa_user_sgpr_queue_ptr 0
		.amdhsa_user_sgpr_kernarg_segment_ptr 1
		.amdhsa_user_sgpr_dispatch_id 0
		.amdhsa_user_sgpr_flat_scratch_init 0
		.amdhsa_user_sgpr_private_segment_size 0
		.amdhsa_wavefront_size32 1
		.amdhsa_uses_dynamic_stack 0
		.amdhsa_system_sgpr_private_segment_wavefront_offset 1
		.amdhsa_system_sgpr_workgroup_id_x 1
		.amdhsa_system_sgpr_workgroup_id_y 0
		.amdhsa_system_sgpr_workgroup_id_z 0
		.amdhsa_system_sgpr_workgroup_info 0
		.amdhsa_system_vgpr_workitem_id 0
		.amdhsa_next_free_vgpr 254
		.amdhsa_next_free_sgpr 23
		.amdhsa_reserve_vcc 1
		.amdhsa_reserve_flat_scratch 0
		.amdhsa_float_round_mode_32 0
		.amdhsa_float_round_mode_16_64 0
		.amdhsa_float_denorm_mode_32 3
		.amdhsa_float_denorm_mode_16_64 3
		.amdhsa_dx10_clamp 1
		.amdhsa_ieee_mode 1
		.amdhsa_fp16_overflow 0
		.amdhsa_workgroup_processor_mode 1
		.amdhsa_memory_ordered 1
		.amdhsa_forward_progress 1
		.amdhsa_shared_vgpr_count 0
		.amdhsa_exception_fp_ieee_invalid_op 0
		.amdhsa_exception_fp_denorm_src 0
		.amdhsa_exception_fp_ieee_div_zero 0
		.amdhsa_exception_fp_ieee_overflow 0
		.amdhsa_exception_fp_ieee_underflow 0
		.amdhsa_exception_fp_ieee_inexact 0
		.amdhsa_exception_int_div_zero 0
	.end_amdhsa_kernel
	.section	.text._ZN9rocsolver6v33100L18getri_kernel_smallILi55E19rocblas_complex_numIfEPS3_EEvT1_iilPiilS6_bb,"axG",@progbits,_ZN9rocsolver6v33100L18getri_kernel_smallILi55E19rocblas_complex_numIfEPS3_EEvT1_iilPiilS6_bb,comdat
.Lfunc_end54:
	.size	_ZN9rocsolver6v33100L18getri_kernel_smallILi55E19rocblas_complex_numIfEPS3_EEvT1_iilPiilS6_bb, .Lfunc_end54-_ZN9rocsolver6v33100L18getri_kernel_smallILi55E19rocblas_complex_numIfEPS3_EEvT1_iilPiilS6_bb
                                        ; -- End function
	.set _ZN9rocsolver6v33100L18getri_kernel_smallILi55E19rocblas_complex_numIfEPS3_EEvT1_iilPiilS6_bb.num_vgpr, 254
	.set _ZN9rocsolver6v33100L18getri_kernel_smallILi55E19rocblas_complex_numIfEPS3_EEvT1_iilPiilS6_bb.num_agpr, 0
	.set _ZN9rocsolver6v33100L18getri_kernel_smallILi55E19rocblas_complex_numIfEPS3_EEvT1_iilPiilS6_bb.numbered_sgpr, 23
	.set _ZN9rocsolver6v33100L18getri_kernel_smallILi55E19rocblas_complex_numIfEPS3_EEvT1_iilPiilS6_bb.num_named_barrier, 0
	.set _ZN9rocsolver6v33100L18getri_kernel_smallILi55E19rocblas_complex_numIfEPS3_EEvT1_iilPiilS6_bb.private_seg_size, 448
	.set _ZN9rocsolver6v33100L18getri_kernel_smallILi55E19rocblas_complex_numIfEPS3_EEvT1_iilPiilS6_bb.uses_vcc, 1
	.set _ZN9rocsolver6v33100L18getri_kernel_smallILi55E19rocblas_complex_numIfEPS3_EEvT1_iilPiilS6_bb.uses_flat_scratch, 0
	.set _ZN9rocsolver6v33100L18getri_kernel_smallILi55E19rocblas_complex_numIfEPS3_EEvT1_iilPiilS6_bb.has_dyn_sized_stack, 0
	.set _ZN9rocsolver6v33100L18getri_kernel_smallILi55E19rocblas_complex_numIfEPS3_EEvT1_iilPiilS6_bb.has_recursion, 0
	.set _ZN9rocsolver6v33100L18getri_kernel_smallILi55E19rocblas_complex_numIfEPS3_EEvT1_iilPiilS6_bb.has_indirect_call, 0
	.section	.AMDGPU.csdata,"",@progbits
; Kernel info:
; codeLenInByte = 113628
; TotalNumSgprs: 25
; NumVgprs: 254
; ScratchSize: 448
; MemoryBound: 0
; FloatMode: 240
; IeeeMode: 1
; LDSByteSize: 888 bytes/workgroup (compile time only)
; SGPRBlocks: 0
; VGPRBlocks: 31
; NumSGPRsForWavesPerEU: 25
; NumVGPRsForWavesPerEU: 254
; Occupancy: 4
; WaveLimiterHint : 1
; COMPUTE_PGM_RSRC2:SCRATCH_EN: 1
; COMPUTE_PGM_RSRC2:USER_SGPR: 6
; COMPUTE_PGM_RSRC2:TRAP_HANDLER: 0
; COMPUTE_PGM_RSRC2:TGID_X_EN: 1
; COMPUTE_PGM_RSRC2:TGID_Y_EN: 0
; COMPUTE_PGM_RSRC2:TGID_Z_EN: 0
; COMPUTE_PGM_RSRC2:TIDIG_COMP_CNT: 0
	.section	.text._ZN9rocsolver6v33100L18getri_kernel_smallILi56E19rocblas_complex_numIfEPS3_EEvT1_iilPiilS6_bb,"axG",@progbits,_ZN9rocsolver6v33100L18getri_kernel_smallILi56E19rocblas_complex_numIfEPS3_EEvT1_iilPiilS6_bb,comdat
	.globl	_ZN9rocsolver6v33100L18getri_kernel_smallILi56E19rocblas_complex_numIfEPS3_EEvT1_iilPiilS6_bb ; -- Begin function _ZN9rocsolver6v33100L18getri_kernel_smallILi56E19rocblas_complex_numIfEPS3_EEvT1_iilPiilS6_bb
	.p2align	8
	.type	_ZN9rocsolver6v33100L18getri_kernel_smallILi56E19rocblas_complex_numIfEPS3_EEvT1_iilPiilS6_bb,@function
_ZN9rocsolver6v33100L18getri_kernel_smallILi56E19rocblas_complex_numIfEPS3_EEvT1_iilPiilS6_bb: ; @_ZN9rocsolver6v33100L18getri_kernel_smallILi56E19rocblas_complex_numIfEPS3_EEvT1_iilPiilS6_bb
; %bb.0:
	s_add_u32 s0, s0, s7
	s_addc_u32 s1, s1, 0
	s_mov_b32 s7, exec_lo
	v_cmpx_gt_u32_e32 56, v0
	s_cbranch_execz .LBB55_238
; %bb.1:
	s_clause 0x2
	s_load_dword s7, s[4:5], 0x38
	s_load_dwordx4 s[16:19], s[4:5], 0x10
	s_load_dwordx4 s[8:11], s[4:5], 0x28
                                        ; implicit-def: $sgpr20_sgpr21
	s_waitcnt lgkmcnt(0)
	s_bitcmp1_b32 s7, 8
	s_cselect_b32 s22, -1, 0
	s_bfe_u32 s12, s7, 0x10008
	s_ashr_i32 s7, s6, 31
	s_cmp_eq_u32 s12, 0
	s_cbranch_scc1 .LBB55_3
; %bb.2:
	s_load_dword s12, s[4:5], 0x20
	s_mul_i32 s13, s8, s7
	s_mul_hi_u32 s14, s8, s6
	s_mul_i32 s9, s9, s6
	s_add_i32 s13, s14, s13
	s_mul_i32 s8, s8, s6
	s_add_i32 s9, s13, s9
	s_lshl_b64 s[8:9], s[8:9], 2
	s_waitcnt lgkmcnt(0)
	s_ashr_i32 s13, s12, 31
	s_add_u32 s14, s18, s8
	s_addc_u32 s15, s19, s9
	s_lshl_b64 s[8:9], s[12:13], 2
	s_add_u32 s20, s14, s8
	s_addc_u32 s21, s15, s9
.LBB55_3:
	s_clause 0x1
	s_load_dwordx4 s[12:15], s[4:5], 0x0
	s_load_dword s8, s[4:5], 0x38
	s_mul_i32 s4, s16, s7
	s_mul_hi_u32 s5, s16, s6
	s_mul_i32 s9, s17, s6
	s_add_i32 s5, s5, s4
	s_mul_i32 s4, s16, s6
	s_add_i32 s5, s5, s9
	s_lshl_b64 s[4:5], s[4:5], 3
	s_waitcnt lgkmcnt(0)
	v_add3_u32 v1, s15, s15, v0
	s_ashr_i32 s17, s14, 31
	s_mov_b32 s16, s14
	s_add_u32 s9, s12, s4
	s_addc_u32 s12, s13, s5
	v_add_nc_u32_e32 v3, s15, v1
	v_ashrrev_i32_e32 v2, 31, v1
	s_lshl_b64 s[4:5], s[16:17], 3
	s_add_u32 s4, s9, s4
	v_add_nc_u32_e32 v5, s15, v3
	v_ashrrev_i32_e32 v4, 31, v3
	v_lshlrev_b64 v[1:2], 3, v[1:2]
	s_addc_u32 s5, s12, s5
	s_ashr_i32 s13, s15, 31
	v_ashrrev_i32_e32 v6, 31, v5
	v_add_nc_u32_e32 v7, s15, v5
	v_lshlrev_b64 v[3:4], 3, v[3:4]
	v_add_co_u32 v13, vcc_lo, s4, v1
	v_add_co_ci_u32_e64 v14, null, s5, v2, vcc_lo
	v_lshlrev_b64 v[1:2], 3, v[5:6]
	v_ashrrev_i32_e32 v8, 31, v7
	v_add_nc_u32_e32 v5, s15, v7
	v_add_co_u32 v15, vcc_lo, s4, v3
	v_add_co_ci_u32_e64 v16, null, s5, v4, vcc_lo
	v_lshlrev_b64 v[3:4], 3, v[7:8]
	v_ashrrev_i32_e32 v6, 31, v5
	v_add_nc_u32_e32 v7, s15, v5
	;; [unrolled: 5-line block ×40, first 2 shown]
	v_add_co_u32 v93, vcc_lo, s4, v1
	v_add_co_ci_u32_e64 v94, null, s5, v2, vcc_lo
	v_lshlrev_b64 v[1:2], 3, v[5:6]
	v_add_nc_u32_e32 v5, s15, v7
	v_ashrrev_i32_e32 v8, 31, v7
	v_add_co_u32 v95, vcc_lo, s4, v3
	v_add_co_ci_u32_e64 v96, null, s5, v4, vcc_lo
	v_ashrrev_i32_e32 v6, 31, v5
	v_lshlrev_b64 v[3:4], 3, v[7:8]
	v_add_co_u32 v97, vcc_lo, s4, v1
	v_add_co_ci_u32_e64 v98, null, s5, v2, vcc_lo
	v_lshlrev_b64 v[1:2], 3, v[5:6]
	v_add_nc_u32_e32 v5, s15, v5
	v_add_co_u32 v99, vcc_lo, s4, v3
	v_add_co_ci_u32_e64 v100, null, s5, v4, vcc_lo
	v_ashrrev_i32_e32 v6, 31, v5
	v_add_nc_u32_e32 v4, s15, v5
	v_add_co_u32 v101, vcc_lo, s4, v1
	v_add_co_ci_u32_e64 v102, null, s5, v2, vcc_lo
	v_lshlrev_b64 v[1:2], 3, v[5:6]
	v_ashrrev_i32_e32 v5, 31, v4
	v_add_nc_u32_e32 v7, s15, v4
	v_lshlrev_b32_e32 v3, 3, v0
	s_mov_b32 s12, s15
	v_lshlrev_b64 v[5:6], 3, v[4:5]
	v_add_nc_u32_e32 v4, s15, v7
	v_add_co_u32 v105, s9, s4, v3
	v_add_co_ci_u32_e64 v106, null, s5, 0, s9
	v_add_nc_u32_e32 v115, s15, v4
	s_lshl_b64 s[12:13], s[12:13], 3
	v_ashrrev_i32_e32 v8, 31, v7
	v_add_co_u32 v107, vcc_lo, v105, s12
	v_add_nc_u32_e32 v117, s15, v115
	v_add_co_ci_u32_e64 v108, null, s13, v106, vcc_lo
	v_add_co_u32 v103, vcc_lo, s4, v1
	v_add_nc_u32_e32 v119, s15, v117
	v_add_co_ci_u32_e64 v104, null, s5, v2, vcc_lo
	v_add_co_u32 v109, vcc_lo, s4, v5
	v_ashrrev_i32_e32 v5, 31, v4
	v_add_nc_u32_e32 v121, s15, v119
	v_ashrrev_i32_e32 v116, 31, v115
	v_add_co_ci_u32_e64 v110, null, s5, v6, vcc_lo
	v_lshlrev_b64 v[6:7], 3, v[7:8]
	v_ashrrev_i32_e32 v118, 31, v117
	v_lshlrev_b64 v[4:5], 3, v[4:5]
	v_add_nc_u32_e32 v123, s15, v121
	v_ashrrev_i32_e32 v120, 31, v119
	v_lshlrev_b64 v[115:116], 3, v[115:116]
	v_ashrrev_i32_e32 v122, 31, v121
	v_add_co_u32 v111, vcc_lo, s4, v6
	v_lshlrev_b64 v[117:118], 3, v[117:118]
	v_ashrrev_i32_e32 v124, 31, v123
	v_add_co_ci_u32_e64 v112, null, s5, v7, vcc_lo
	v_add_co_u32 v113, vcc_lo, s4, v4
	v_lshlrev_b64 v[119:120], 3, v[119:120]
	v_add_co_ci_u32_e64 v114, null, s5, v5, vcc_lo
	v_add_co_u32 v115, vcc_lo, s4, v115
	v_lshlrev_b64 v[121:122], 3, v[121:122]
	;; [unrolled: 3-line block ×3, first 2 shown]
	v_add_co_ci_u32_e64 v118, null, s5, v118, vcc_lo
	v_add_co_u32 v119, vcc_lo, s4, v119
	v_add_co_ci_u32_e64 v120, null, s5, v120, vcc_lo
	v_add_co_u32 v121, vcc_lo, s4, v121
	;; [unrolled: 2-line block ×3, first 2 shown]
	v_add_co_ci_u32_e64 v124, null, s5, v124, vcc_lo
	s_clause 0x37
	global_load_dwordx2 v[1:2], v3, s[4:5]
	global_load_dwordx2 v[9:10], v[107:108], off
	global_load_dwordx2 v[11:12], v[13:14], off
	;; [unrolled: 1-line block ×55, first 2 shown]
	s_mov_b32 s5, -1
	s_bitcmp0_b32 s8, 0
	s_waitcnt vmcnt(55)
	buffer_store_dword v2, off, s[0:3], 0 offset:4
	buffer_store_dword v1, off, s[0:3], 0
	s_waitcnt vmcnt(54)
	buffer_store_dword v10, off, s[0:3], 0 offset:12
	buffer_store_dword v9, off, s[0:3], 0 offset:8
	s_waitcnt vmcnt(53)
	buffer_store_dword v12, off, s[0:3], 0 offset:20
	buffer_store_dword v11, off, s[0:3], 0 offset:16
	;; [unrolled: 3-line block ×55, first 2 shown]
	s_cbranch_scc1 .LBB55_236
; %bb.4:
	v_cmp_eq_u32_e64 s4, 0, v0
	s_and_saveexec_b32 s5, s4
; %bb.5:
	v_mov_b32_e32 v1, 0
	ds_write_b32 v1, v1 offset:896
; %bb.6:
	s_or_b32 exec_lo, exec_lo, s5
	v_lshl_add_u32 v5, v0, 3, 0
	s_waitcnt lgkmcnt(0)
	s_waitcnt_vscnt null, 0x0
	s_barrier
	buffer_gl0_inv
	s_clause 0x1
	buffer_load_dword v1, v5, s[0:3], 0 offen
	buffer_load_dword v2, v5, s[0:3], 0 offen offset:4
	s_waitcnt vmcnt(1)
	v_cmp_eq_f32_e32 vcc_lo, 0, v1
	s_waitcnt vmcnt(0)
	v_cmp_eq_f32_e64 s5, 0, v2
	s_and_b32 s5, vcc_lo, s5
	s_and_saveexec_b32 s8, s5
	s_cbranch_execz .LBB55_10
; %bb.7:
	v_mov_b32_e32 v1, 0
	s_mov_b32 s9, 0
	ds_read_b32 v2, v1 offset:896
	s_waitcnt lgkmcnt(0)
	v_readfirstlane_b32 s5, v2
	v_add_nc_u32_e32 v2, 1, v0
	s_cmp_eq_u32 s5, 0
	v_cmp_gt_i32_e32 vcc_lo, s5, v2
	s_cselect_b32 s12, -1, 0
	s_or_b32 s12, s12, vcc_lo
	s_and_b32 exec_lo, exec_lo, s12
	s_cbranch_execz .LBB55_10
; %bb.8:
	v_mov_b32_e32 v4, s5
.LBB55_9:                               ; =>This Inner Loop Header: Depth=1
	ds_cmpst_rtn_b32 v4, v1, v4, v2 offset:896
	s_waitcnt lgkmcnt(0)
	v_cmp_ne_u32_e32 vcc_lo, 0, v4
	v_cmp_le_i32_e64 s5, v4, v2
	s_and_b32 s5, vcc_lo, s5
	s_and_b32 s5, exec_lo, s5
	s_or_b32 s9, s5, s9
	s_andn2_b32 exec_lo, exec_lo, s9
	s_cbranch_execnz .LBB55_9
.LBB55_10:
	s_or_b32 exec_lo, exec_lo, s8
	v_mov_b32_e32 v1, 0
	s_barrier
	buffer_gl0_inv
	ds_read_b32 v2, v1 offset:896
	s_and_saveexec_b32 s5, s4
	s_cbranch_execz .LBB55_12
; %bb.11:
	s_lshl_b64 s[8:9], s[6:7], 2
	s_add_u32 s8, s10, s8
	s_addc_u32 s9, s11, s9
	s_waitcnt lgkmcnt(0)
	global_store_dword v1, v2, s[8:9]
.LBB55_12:
	s_or_b32 exec_lo, exec_lo, s5
	s_waitcnt lgkmcnt(0)
	v_cmp_ne_u32_e32 vcc_lo, 0, v2
	s_mov_b32 s5, 0
	s_cbranch_vccnz .LBB55_236
; %bb.13:
	s_clause 0x1
	buffer_load_dword v2, v5, s[0:3], 0 offen
	buffer_load_dword v4, v5, s[0:3], 0 offen offset:4
                                        ; implicit-def: $vgpr7
                                        ; implicit-def: $vgpr6
                                        ; implicit-def: $vgpr1
	s_waitcnt vmcnt(0)
	v_cmp_ngt_f32_e64 s5, |v2|, |v4|
	s_and_saveexec_b32 s8, s5
	s_xor_b32 s5, exec_lo, s8
	s_cbranch_execz .LBB55_15
; %bb.14:
	v_div_scale_f32 v1, null, v4, v4, v2
	v_div_scale_f32 v8, vcc_lo, v2, v4, v2
	v_rcp_f32_e32 v6, v1
	v_fma_f32 v7, -v1, v6, 1.0
	v_fmac_f32_e32 v6, v7, v6
	v_mul_f32_e32 v7, v8, v6
	v_fma_f32 v9, -v1, v7, v8
	v_fmac_f32_e32 v7, v9, v6
	v_fma_f32 v1, -v1, v7, v8
	v_div_fmas_f32 v1, v1, v6, v7
	v_div_fixup_f32 v1, v1, v4, v2
	v_fmac_f32_e32 v4, v2, v1
	v_div_scale_f32 v2, null, v4, v4, 1.0
	v_rcp_f32_e32 v6, v2
	v_fma_f32 v7, -v2, v6, 1.0
	v_fmac_f32_e32 v6, v7, v6
	v_div_scale_f32 v7, vcc_lo, 1.0, v4, 1.0
	v_mul_f32_e32 v8, v7, v6
	v_fma_f32 v9, -v2, v8, v7
	v_fmac_f32_e32 v8, v9, v6
	v_fma_f32 v2, -v2, v8, v7
	v_div_fmas_f32 v2, v2, v6, v8
	v_div_fixup_f32 v2, v2, v4, 1.0
                                        ; implicit-def: $vgpr4
	v_mul_f32_e32 v7, v1, v2
	v_xor_b32_e32 v6, 0x80000000, v2
                                        ; implicit-def: $vgpr2
	v_xor_b32_e32 v1, 0x80000000, v7
.LBB55_15:
	s_andn2_saveexec_b32 s5, s5
	s_cbranch_execz .LBB55_17
; %bb.16:
	v_div_scale_f32 v1, null, v2, v2, v4
	v_div_scale_f32 v8, vcc_lo, v4, v2, v4
	v_rcp_f32_e32 v6, v1
	v_fma_f32 v7, -v1, v6, 1.0
	v_fmac_f32_e32 v6, v7, v6
	v_mul_f32_e32 v7, v8, v6
	v_fma_f32 v9, -v1, v7, v8
	v_fmac_f32_e32 v7, v9, v6
	v_fma_f32 v1, -v1, v7, v8
	v_div_fmas_f32 v1, v1, v6, v7
	v_div_fixup_f32 v6, v1, v2, v4
	v_fmac_f32_e32 v2, v4, v6
	v_div_scale_f32 v1, null, v2, v2, 1.0
	v_div_scale_f32 v8, vcc_lo, 1.0, v2, 1.0
	v_rcp_f32_e32 v4, v1
	v_fma_f32 v7, -v1, v4, 1.0
	v_fmac_f32_e32 v4, v7, v4
	v_mul_f32_e32 v7, v8, v4
	v_fma_f32 v9, -v1, v7, v8
	v_fmac_f32_e32 v7, v9, v4
	v_fma_f32 v1, -v1, v7, v8
	v_div_fmas_f32 v1, v1, v4, v7
	v_div_fixup_f32 v7, v1, v2, 1.0
	v_xor_b32_e32 v1, 0x80000000, v7
	v_mul_f32_e64 v6, v6, -v7
.LBB55_17:
	s_or_b32 exec_lo, exec_lo, s5
	buffer_store_dword v7, v5, s[0:3], 0 offen
	buffer_store_dword v6, v5, s[0:3], 0 offen offset:4
	s_clause 0x1
	buffer_load_dword v8, off, s[0:3], 0 offset:12
	buffer_load_dword v7, off, s[0:3], 0 offset:8
	v_xor_b32_e32 v2, 0x80000000, v6
	v_add_nc_u32_e32 v4, 0x1c0, v3
	s_waitcnt vmcnt(0)
	ds_write2_b64 v3, v[1:2], v[7:8] offset1:56
	s_waitcnt lgkmcnt(0)
	s_waitcnt_vscnt null, 0x0
	s_barrier
	buffer_gl0_inv
	s_and_saveexec_b32 s5, s4
	s_cbranch_execz .LBB55_19
; %bb.18:
	s_clause 0x1
	buffer_load_dword v8, v5, s[0:3], 0 offen offset:4
	buffer_load_dword v9, v5, s[0:3], 0 offen
	ds_read_b64 v[1:2], v4
	v_mov_b32_e32 v6, 0
	ds_read_b64 v[6:7], v6 offset:8
	s_waitcnt vmcnt(1) lgkmcnt(1)
	v_mul_f32_e32 v10, v1, v8
	v_mul_f32_e32 v8, v2, v8
	s_waitcnt vmcnt(0)
	v_fmac_f32_e32 v10, v2, v9
	v_fma_f32 v1, v1, v9, -v8
	v_add_f32_e32 v2, 0, v10
	v_add_f32_e32 v1, 0, v1
	s_waitcnt lgkmcnt(0)
	v_mul_f32_e32 v8, v2, v7
	v_mul_f32_e32 v7, v1, v7
	v_fma_f32 v1, v1, v6, -v8
	v_fmac_f32_e32 v7, v2, v6
	buffer_store_dword v1, off, s[0:3], 0 offset:8
	buffer_store_dword v7, off, s[0:3], 0 offset:12
.LBB55_19:
	s_or_b32 exec_lo, exec_lo, s5
	s_waitcnt_vscnt null, 0x0
	s_barrier
	buffer_gl0_inv
	s_clause 0x1
	buffer_load_dword v1, off, s[0:3], 0 offset:16
	buffer_load_dword v2, off, s[0:3], 0 offset:20
	s_mov_b32 s5, exec_lo
	s_waitcnt vmcnt(0)
	ds_write_b64 v4, v[1:2]
	s_waitcnt lgkmcnt(0)
	s_barrier
	buffer_gl0_inv
	v_cmpx_gt_u32_e32 2, v0
	s_cbranch_execz .LBB55_23
; %bb.20:
	s_clause 0x1
	buffer_load_dword v6, v5, s[0:3], 0 offen offset:4
	buffer_load_dword v5, v5, s[0:3], 0 offen
	ds_read_b64 v[1:2], v4
	s_waitcnt vmcnt(1) lgkmcnt(0)
	v_mul_f32_e32 v7, v2, v6
	v_mul_f32_e32 v6, v1, v6
	s_waitcnt vmcnt(0)
	v_fma_f32 v1, v1, v5, -v7
	v_fmac_f32_e32 v6, v2, v5
	v_add_f32_e32 v2, 0, v1
	v_add_f32_e32 v1, 0, v6
	s_and_saveexec_b32 s8, s4
	s_cbranch_execz .LBB55_22
; %bb.21:
	s_clause 0x1
	buffer_load_dword v7, off, s[0:3], 0 offset:12
	buffer_load_dword v8, off, s[0:3], 0 offset:8
	v_mov_b32_e32 v5, 0
	ds_read_b64 v[5:6], v5 offset:456
	s_waitcnt vmcnt(1) lgkmcnt(0)
	v_mul_f32_e32 v9, v5, v7
	v_mul_f32_e32 v7, v6, v7
	s_waitcnt vmcnt(0)
	v_fmac_f32_e32 v9, v6, v8
	v_fma_f32 v5, v5, v8, -v7
	v_add_f32_e32 v1, v1, v9
	v_add_f32_e32 v2, v2, v5
.LBB55_22:
	s_or_b32 exec_lo, exec_lo, s8
	v_mov_b32_e32 v5, 0
	ds_read_b64 v[5:6], v5 offset:16
	s_waitcnt lgkmcnt(0)
	v_mul_f32_e32 v7, v1, v6
	v_mul_f32_e32 v6, v2, v6
	v_fma_f32 v2, v2, v5, -v7
	v_fmac_f32_e32 v6, v1, v5
	buffer_store_dword v2, off, s[0:3], 0 offset:16
	buffer_store_dword v6, off, s[0:3], 0 offset:20
.LBB55_23:
	s_or_b32 exec_lo, exec_lo, s5
	s_waitcnt_vscnt null, 0x0
	s_barrier
	buffer_gl0_inv
	s_clause 0x1
	buffer_load_dword v5, off, s[0:3], 0 offset:24
	buffer_load_dword v6, off, s[0:3], 0 offset:28
	v_add_nc_u32_e32 v1, -1, v0
	s_mov_b32 s4, exec_lo
	s_waitcnt vmcnt(0)
	ds_write_b64 v4, v[5:6]
	s_waitcnt lgkmcnt(0)
	s_barrier
	buffer_gl0_inv
	v_cmpx_gt_u32_e32 3, v0
	s_cbranch_execz .LBB55_27
; %bb.24:
	v_add_nc_u32_e32 v5, -1, v0
	v_add_nc_u32_e32 v6, 0x1c0, v3
	v_mov_b32_e32 v7, v3
	v_mov_b32_e32 v2, 0
	;; [unrolled: 1-line block ×3, first 2 shown]
	s_mov_b32 s5, 0
	.p2align	6
.LBB55_25:                              ; =>This Inner Loop Header: Depth=1
	s_clause 0x1
	buffer_load_dword v11, v7, s[0:3], 0 offen offset:4
	buffer_load_dword v12, v7, s[0:3], 0 offen
	ds_read_b64 v[9:10], v6
	v_add_nc_u32_e32 v5, 1, v5
	v_add_nc_u32_e32 v6, 8, v6
	;; [unrolled: 1-line block ×3, first 2 shown]
	v_cmp_lt_u32_e32 vcc_lo, 1, v5
	s_or_b32 s5, vcc_lo, s5
	s_waitcnt vmcnt(1) lgkmcnt(0)
	v_mul_f32_e32 v125, v10, v11
	v_mul_f32_e32 v11, v9, v11
	s_waitcnt vmcnt(0)
	v_fma_f32 v9, v9, v12, -v125
	v_fmac_f32_e32 v11, v10, v12
	v_add_f32_e32 v8, v8, v9
	v_add_f32_e32 v2, v2, v11
	s_andn2_b32 exec_lo, exec_lo, s5
	s_cbranch_execnz .LBB55_25
; %bb.26:
	s_or_b32 exec_lo, exec_lo, s5
	v_mov_b32_e32 v5, 0
	ds_read_b64 v[5:6], v5 offset:24
	s_waitcnt lgkmcnt(0)
	v_mul_f32_e32 v7, v2, v6
	v_mul_f32_e32 v6, v8, v6
	v_fma_f32 v7, v8, v5, -v7
	v_fmac_f32_e32 v6, v2, v5
	buffer_store_dword v7, off, s[0:3], 0 offset:24
	buffer_store_dword v6, off, s[0:3], 0 offset:28
.LBB55_27:
	s_or_b32 exec_lo, exec_lo, s4
	s_waitcnt_vscnt null, 0x0
	s_barrier
	buffer_gl0_inv
	s_clause 0x1
	buffer_load_dword v5, off, s[0:3], 0 offset:32
	buffer_load_dword v6, off, s[0:3], 0 offset:36
	s_mov_b32 s4, exec_lo
	s_waitcnt vmcnt(0)
	ds_write_b64 v4, v[5:6]
	s_waitcnt lgkmcnt(0)
	s_barrier
	buffer_gl0_inv
	v_cmpx_gt_u32_e32 4, v0
	s_cbranch_execz .LBB55_31
; %bb.28:
	v_add_nc_u32_e32 v5, -1, v0
	v_add_nc_u32_e32 v6, 0x1c0, v3
	v_mov_b32_e32 v7, v3
	v_mov_b32_e32 v2, 0
	;; [unrolled: 1-line block ×3, first 2 shown]
	s_mov_b32 s5, 0
	.p2align	6
.LBB55_29:                              ; =>This Inner Loop Header: Depth=1
	s_clause 0x1
	buffer_load_dword v11, v7, s[0:3], 0 offen offset:4
	buffer_load_dword v12, v7, s[0:3], 0 offen
	ds_read_b64 v[9:10], v6
	v_add_nc_u32_e32 v5, 1, v5
	v_add_nc_u32_e32 v6, 8, v6
	;; [unrolled: 1-line block ×3, first 2 shown]
	v_cmp_lt_u32_e32 vcc_lo, 2, v5
	s_or_b32 s5, vcc_lo, s5
	s_waitcnt vmcnt(1) lgkmcnt(0)
	v_mul_f32_e32 v125, v10, v11
	v_mul_f32_e32 v11, v9, v11
	s_waitcnt vmcnt(0)
	v_fma_f32 v9, v9, v12, -v125
	v_fmac_f32_e32 v11, v10, v12
	v_add_f32_e32 v8, v8, v9
	v_add_f32_e32 v2, v2, v11
	s_andn2_b32 exec_lo, exec_lo, s5
	s_cbranch_execnz .LBB55_29
; %bb.30:
	s_or_b32 exec_lo, exec_lo, s5
	v_mov_b32_e32 v5, 0
	ds_read_b64 v[5:6], v5 offset:32
	s_waitcnt lgkmcnt(0)
	v_mul_f32_e32 v7, v2, v6
	v_mul_f32_e32 v6, v8, v6
	v_fma_f32 v7, v8, v5, -v7
	v_fmac_f32_e32 v6, v2, v5
	buffer_store_dword v7, off, s[0:3], 0 offset:32
	buffer_store_dword v6, off, s[0:3], 0 offset:36
.LBB55_31:
	s_or_b32 exec_lo, exec_lo, s4
	s_waitcnt_vscnt null, 0x0
	s_barrier
	buffer_gl0_inv
	s_clause 0x1
	buffer_load_dword v5, off, s[0:3], 0 offset:40
	buffer_load_dword v6, off, s[0:3], 0 offset:44
	s_mov_b32 s4, exec_lo
	s_waitcnt vmcnt(0)
	ds_write_b64 v4, v[5:6]
	s_waitcnt lgkmcnt(0)
	s_barrier
	buffer_gl0_inv
	v_cmpx_gt_u32_e32 5, v0
	s_cbranch_execz .LBB55_35
; %bb.32:
	v_add_nc_u32_e32 v5, -1, v0
	v_add_nc_u32_e32 v6, 0x1c0, v3
	v_mov_b32_e32 v7, v3
	v_mov_b32_e32 v2, 0
	;; [unrolled: 1-line block ×3, first 2 shown]
	s_mov_b32 s5, 0
	.p2align	6
.LBB55_33:                              ; =>This Inner Loop Header: Depth=1
	s_clause 0x1
	buffer_load_dword v11, v7, s[0:3], 0 offen offset:4
	buffer_load_dword v12, v7, s[0:3], 0 offen
	ds_read_b64 v[9:10], v6
	v_add_nc_u32_e32 v5, 1, v5
	v_add_nc_u32_e32 v6, 8, v6
	;; [unrolled: 1-line block ×3, first 2 shown]
	v_cmp_lt_u32_e32 vcc_lo, 3, v5
	s_or_b32 s5, vcc_lo, s5
	s_waitcnt vmcnt(1) lgkmcnt(0)
	v_mul_f32_e32 v125, v10, v11
	v_mul_f32_e32 v11, v9, v11
	s_waitcnt vmcnt(0)
	v_fma_f32 v9, v9, v12, -v125
	v_fmac_f32_e32 v11, v10, v12
	v_add_f32_e32 v8, v8, v9
	v_add_f32_e32 v2, v2, v11
	s_andn2_b32 exec_lo, exec_lo, s5
	s_cbranch_execnz .LBB55_33
; %bb.34:
	s_or_b32 exec_lo, exec_lo, s5
	v_mov_b32_e32 v5, 0
	ds_read_b64 v[5:6], v5 offset:40
	s_waitcnt lgkmcnt(0)
	v_mul_f32_e32 v7, v2, v6
	v_mul_f32_e32 v6, v8, v6
	v_fma_f32 v7, v8, v5, -v7
	v_fmac_f32_e32 v6, v2, v5
	buffer_store_dword v7, off, s[0:3], 0 offset:40
	buffer_store_dword v6, off, s[0:3], 0 offset:44
.LBB55_35:
	s_or_b32 exec_lo, exec_lo, s4
	s_waitcnt_vscnt null, 0x0
	s_barrier
	buffer_gl0_inv
	s_clause 0x1
	buffer_load_dword v5, off, s[0:3], 0 offset:48
	buffer_load_dword v6, off, s[0:3], 0 offset:52
	s_mov_b32 s4, exec_lo
	s_waitcnt vmcnt(0)
	ds_write_b64 v4, v[5:6]
	s_waitcnt lgkmcnt(0)
	s_barrier
	buffer_gl0_inv
	v_cmpx_gt_u32_e32 6, v0
	s_cbranch_execz .LBB55_39
; %bb.36:
	v_add_nc_u32_e32 v5, -1, v0
	v_add_nc_u32_e32 v6, 0x1c0, v3
	v_mov_b32_e32 v7, v3
	v_mov_b32_e32 v2, 0
	;; [unrolled: 1-line block ×3, first 2 shown]
	s_mov_b32 s5, 0
	.p2align	6
.LBB55_37:                              ; =>This Inner Loop Header: Depth=1
	s_clause 0x1
	buffer_load_dword v11, v7, s[0:3], 0 offen offset:4
	buffer_load_dword v12, v7, s[0:3], 0 offen
	ds_read_b64 v[9:10], v6
	v_add_nc_u32_e32 v5, 1, v5
	v_add_nc_u32_e32 v6, 8, v6
	;; [unrolled: 1-line block ×3, first 2 shown]
	v_cmp_lt_u32_e32 vcc_lo, 4, v5
	s_or_b32 s5, vcc_lo, s5
	s_waitcnt vmcnt(1) lgkmcnt(0)
	v_mul_f32_e32 v125, v10, v11
	v_mul_f32_e32 v11, v9, v11
	s_waitcnt vmcnt(0)
	v_fma_f32 v9, v9, v12, -v125
	v_fmac_f32_e32 v11, v10, v12
	v_add_f32_e32 v8, v8, v9
	v_add_f32_e32 v2, v2, v11
	s_andn2_b32 exec_lo, exec_lo, s5
	s_cbranch_execnz .LBB55_37
; %bb.38:
	s_or_b32 exec_lo, exec_lo, s5
	v_mov_b32_e32 v5, 0
	ds_read_b64 v[5:6], v5 offset:48
	s_waitcnt lgkmcnt(0)
	v_mul_f32_e32 v7, v2, v6
	v_mul_f32_e32 v6, v8, v6
	v_fma_f32 v7, v8, v5, -v7
	v_fmac_f32_e32 v6, v2, v5
	buffer_store_dword v7, off, s[0:3], 0 offset:48
	buffer_store_dword v6, off, s[0:3], 0 offset:52
.LBB55_39:
	s_or_b32 exec_lo, exec_lo, s4
	s_waitcnt_vscnt null, 0x0
	s_barrier
	buffer_gl0_inv
	s_clause 0x1
	buffer_load_dword v5, off, s[0:3], 0 offset:56
	buffer_load_dword v6, off, s[0:3], 0 offset:60
	s_mov_b32 s4, exec_lo
	s_waitcnt vmcnt(0)
	ds_write_b64 v4, v[5:6]
	s_waitcnt lgkmcnt(0)
	s_barrier
	buffer_gl0_inv
	v_cmpx_gt_u32_e32 7, v0
	s_cbranch_execz .LBB55_43
; %bb.40:
	v_add_nc_u32_e32 v5, -1, v0
	v_add_nc_u32_e32 v6, 0x1c0, v3
	v_mov_b32_e32 v7, v3
	v_mov_b32_e32 v2, 0
	;; [unrolled: 1-line block ×3, first 2 shown]
	s_mov_b32 s5, 0
	.p2align	6
.LBB55_41:                              ; =>This Inner Loop Header: Depth=1
	s_clause 0x1
	buffer_load_dword v11, v7, s[0:3], 0 offen offset:4
	buffer_load_dword v12, v7, s[0:3], 0 offen
	ds_read_b64 v[9:10], v6
	v_add_nc_u32_e32 v5, 1, v5
	v_add_nc_u32_e32 v6, 8, v6
	;; [unrolled: 1-line block ×3, first 2 shown]
	v_cmp_lt_u32_e32 vcc_lo, 5, v5
	s_or_b32 s5, vcc_lo, s5
	s_waitcnt vmcnt(1) lgkmcnt(0)
	v_mul_f32_e32 v125, v10, v11
	v_mul_f32_e32 v11, v9, v11
	s_waitcnt vmcnt(0)
	v_fma_f32 v9, v9, v12, -v125
	v_fmac_f32_e32 v11, v10, v12
	v_add_f32_e32 v8, v8, v9
	v_add_f32_e32 v2, v2, v11
	s_andn2_b32 exec_lo, exec_lo, s5
	s_cbranch_execnz .LBB55_41
; %bb.42:
	s_or_b32 exec_lo, exec_lo, s5
	v_mov_b32_e32 v5, 0
	ds_read_b64 v[5:6], v5 offset:56
	s_waitcnt lgkmcnt(0)
	v_mul_f32_e32 v7, v2, v6
	v_mul_f32_e32 v6, v8, v6
	v_fma_f32 v7, v8, v5, -v7
	v_fmac_f32_e32 v6, v2, v5
	buffer_store_dword v7, off, s[0:3], 0 offset:56
	buffer_store_dword v6, off, s[0:3], 0 offset:60
.LBB55_43:
	s_or_b32 exec_lo, exec_lo, s4
	s_waitcnt_vscnt null, 0x0
	s_barrier
	buffer_gl0_inv
	s_clause 0x1
	buffer_load_dword v5, off, s[0:3], 0 offset:64
	buffer_load_dword v6, off, s[0:3], 0 offset:68
	s_mov_b32 s4, exec_lo
	s_waitcnt vmcnt(0)
	ds_write_b64 v4, v[5:6]
	s_waitcnt lgkmcnt(0)
	s_barrier
	buffer_gl0_inv
	v_cmpx_gt_u32_e32 8, v0
	s_cbranch_execz .LBB55_47
; %bb.44:
	v_add_nc_u32_e32 v5, -1, v0
	v_add_nc_u32_e32 v6, 0x1c0, v3
	v_mov_b32_e32 v7, v3
	v_mov_b32_e32 v2, 0
	;; [unrolled: 1-line block ×3, first 2 shown]
	s_mov_b32 s5, 0
	.p2align	6
.LBB55_45:                              ; =>This Inner Loop Header: Depth=1
	s_clause 0x1
	buffer_load_dword v11, v7, s[0:3], 0 offen offset:4
	buffer_load_dword v12, v7, s[0:3], 0 offen
	ds_read_b64 v[9:10], v6
	v_add_nc_u32_e32 v5, 1, v5
	v_add_nc_u32_e32 v6, 8, v6
	;; [unrolled: 1-line block ×3, first 2 shown]
	v_cmp_lt_u32_e32 vcc_lo, 6, v5
	s_or_b32 s5, vcc_lo, s5
	s_waitcnt vmcnt(1) lgkmcnt(0)
	v_mul_f32_e32 v125, v10, v11
	v_mul_f32_e32 v11, v9, v11
	s_waitcnt vmcnt(0)
	v_fma_f32 v9, v9, v12, -v125
	v_fmac_f32_e32 v11, v10, v12
	v_add_f32_e32 v8, v8, v9
	v_add_f32_e32 v2, v2, v11
	s_andn2_b32 exec_lo, exec_lo, s5
	s_cbranch_execnz .LBB55_45
; %bb.46:
	s_or_b32 exec_lo, exec_lo, s5
	v_mov_b32_e32 v5, 0
	ds_read_b64 v[5:6], v5 offset:64
	s_waitcnt lgkmcnt(0)
	v_mul_f32_e32 v7, v2, v6
	v_mul_f32_e32 v6, v8, v6
	v_fma_f32 v7, v8, v5, -v7
	v_fmac_f32_e32 v6, v2, v5
	buffer_store_dword v7, off, s[0:3], 0 offset:64
	buffer_store_dword v6, off, s[0:3], 0 offset:68
.LBB55_47:
	s_or_b32 exec_lo, exec_lo, s4
	s_waitcnt_vscnt null, 0x0
	s_barrier
	buffer_gl0_inv
	s_clause 0x1
	buffer_load_dword v5, off, s[0:3], 0 offset:72
	buffer_load_dword v6, off, s[0:3], 0 offset:76
	s_mov_b32 s4, exec_lo
	s_waitcnt vmcnt(0)
	ds_write_b64 v4, v[5:6]
	s_waitcnt lgkmcnt(0)
	s_barrier
	buffer_gl0_inv
	v_cmpx_gt_u32_e32 9, v0
	s_cbranch_execz .LBB55_51
; %bb.48:
	v_add_nc_u32_e32 v5, -1, v0
	v_add_nc_u32_e32 v6, 0x1c0, v3
	v_mov_b32_e32 v7, v3
	v_mov_b32_e32 v2, 0
	;; [unrolled: 1-line block ×3, first 2 shown]
	s_mov_b32 s5, 0
	.p2align	6
.LBB55_49:                              ; =>This Inner Loop Header: Depth=1
	s_clause 0x1
	buffer_load_dword v11, v7, s[0:3], 0 offen offset:4
	buffer_load_dword v12, v7, s[0:3], 0 offen
	ds_read_b64 v[9:10], v6
	v_add_nc_u32_e32 v5, 1, v5
	v_add_nc_u32_e32 v6, 8, v6
	;; [unrolled: 1-line block ×3, first 2 shown]
	v_cmp_lt_u32_e32 vcc_lo, 7, v5
	s_or_b32 s5, vcc_lo, s5
	s_waitcnt vmcnt(1) lgkmcnt(0)
	v_mul_f32_e32 v125, v10, v11
	v_mul_f32_e32 v11, v9, v11
	s_waitcnt vmcnt(0)
	v_fma_f32 v9, v9, v12, -v125
	v_fmac_f32_e32 v11, v10, v12
	v_add_f32_e32 v8, v8, v9
	v_add_f32_e32 v2, v2, v11
	s_andn2_b32 exec_lo, exec_lo, s5
	s_cbranch_execnz .LBB55_49
; %bb.50:
	s_or_b32 exec_lo, exec_lo, s5
	v_mov_b32_e32 v5, 0
	ds_read_b64 v[5:6], v5 offset:72
	s_waitcnt lgkmcnt(0)
	v_mul_f32_e32 v7, v2, v6
	v_mul_f32_e32 v6, v8, v6
	v_fma_f32 v7, v8, v5, -v7
	v_fmac_f32_e32 v6, v2, v5
	buffer_store_dword v7, off, s[0:3], 0 offset:72
	buffer_store_dword v6, off, s[0:3], 0 offset:76
.LBB55_51:
	s_or_b32 exec_lo, exec_lo, s4
	s_waitcnt_vscnt null, 0x0
	s_barrier
	buffer_gl0_inv
	s_clause 0x1
	buffer_load_dword v5, off, s[0:3], 0 offset:80
	buffer_load_dword v6, off, s[0:3], 0 offset:84
	s_mov_b32 s4, exec_lo
	s_waitcnt vmcnt(0)
	ds_write_b64 v4, v[5:6]
	s_waitcnt lgkmcnt(0)
	s_barrier
	buffer_gl0_inv
	v_cmpx_gt_u32_e32 10, v0
	s_cbranch_execz .LBB55_55
; %bb.52:
	v_add_nc_u32_e32 v5, -1, v0
	v_add_nc_u32_e32 v6, 0x1c0, v3
	v_mov_b32_e32 v7, v3
	v_mov_b32_e32 v2, 0
	;; [unrolled: 1-line block ×3, first 2 shown]
	s_mov_b32 s5, 0
	.p2align	6
.LBB55_53:                              ; =>This Inner Loop Header: Depth=1
	s_clause 0x1
	buffer_load_dword v11, v7, s[0:3], 0 offen offset:4
	buffer_load_dword v12, v7, s[0:3], 0 offen
	ds_read_b64 v[9:10], v6
	v_add_nc_u32_e32 v5, 1, v5
	v_add_nc_u32_e32 v6, 8, v6
	;; [unrolled: 1-line block ×3, first 2 shown]
	v_cmp_lt_u32_e32 vcc_lo, 8, v5
	s_or_b32 s5, vcc_lo, s5
	s_waitcnt vmcnt(1) lgkmcnt(0)
	v_mul_f32_e32 v125, v10, v11
	v_mul_f32_e32 v11, v9, v11
	s_waitcnt vmcnt(0)
	v_fma_f32 v9, v9, v12, -v125
	v_fmac_f32_e32 v11, v10, v12
	v_add_f32_e32 v8, v8, v9
	v_add_f32_e32 v2, v2, v11
	s_andn2_b32 exec_lo, exec_lo, s5
	s_cbranch_execnz .LBB55_53
; %bb.54:
	s_or_b32 exec_lo, exec_lo, s5
	v_mov_b32_e32 v5, 0
	ds_read_b64 v[5:6], v5 offset:80
	s_waitcnt lgkmcnt(0)
	v_mul_f32_e32 v7, v2, v6
	v_mul_f32_e32 v6, v8, v6
	v_fma_f32 v7, v8, v5, -v7
	v_fmac_f32_e32 v6, v2, v5
	buffer_store_dword v7, off, s[0:3], 0 offset:80
	buffer_store_dword v6, off, s[0:3], 0 offset:84
.LBB55_55:
	s_or_b32 exec_lo, exec_lo, s4
	s_waitcnt_vscnt null, 0x0
	s_barrier
	buffer_gl0_inv
	s_clause 0x1
	buffer_load_dword v5, off, s[0:3], 0 offset:88
	buffer_load_dword v6, off, s[0:3], 0 offset:92
	s_mov_b32 s4, exec_lo
	s_waitcnt vmcnt(0)
	ds_write_b64 v4, v[5:6]
	s_waitcnt lgkmcnt(0)
	s_barrier
	buffer_gl0_inv
	v_cmpx_gt_u32_e32 11, v0
	s_cbranch_execz .LBB55_59
; %bb.56:
	v_add_nc_u32_e32 v5, -1, v0
	v_add_nc_u32_e32 v6, 0x1c0, v3
	v_mov_b32_e32 v7, v3
	v_mov_b32_e32 v2, 0
	;; [unrolled: 1-line block ×3, first 2 shown]
	s_mov_b32 s5, 0
	.p2align	6
.LBB55_57:                              ; =>This Inner Loop Header: Depth=1
	s_clause 0x1
	buffer_load_dword v11, v7, s[0:3], 0 offen offset:4
	buffer_load_dword v12, v7, s[0:3], 0 offen
	ds_read_b64 v[9:10], v6
	v_add_nc_u32_e32 v5, 1, v5
	v_add_nc_u32_e32 v6, 8, v6
	;; [unrolled: 1-line block ×3, first 2 shown]
	v_cmp_lt_u32_e32 vcc_lo, 9, v5
	s_or_b32 s5, vcc_lo, s5
	s_waitcnt vmcnt(1) lgkmcnt(0)
	v_mul_f32_e32 v125, v10, v11
	v_mul_f32_e32 v11, v9, v11
	s_waitcnt vmcnt(0)
	v_fma_f32 v9, v9, v12, -v125
	v_fmac_f32_e32 v11, v10, v12
	v_add_f32_e32 v8, v8, v9
	v_add_f32_e32 v2, v2, v11
	s_andn2_b32 exec_lo, exec_lo, s5
	s_cbranch_execnz .LBB55_57
; %bb.58:
	s_or_b32 exec_lo, exec_lo, s5
	v_mov_b32_e32 v5, 0
	ds_read_b64 v[5:6], v5 offset:88
	s_waitcnt lgkmcnt(0)
	v_mul_f32_e32 v7, v2, v6
	v_mul_f32_e32 v6, v8, v6
	v_fma_f32 v7, v8, v5, -v7
	v_fmac_f32_e32 v6, v2, v5
	buffer_store_dword v7, off, s[0:3], 0 offset:88
	buffer_store_dword v6, off, s[0:3], 0 offset:92
.LBB55_59:
	s_or_b32 exec_lo, exec_lo, s4
	s_waitcnt_vscnt null, 0x0
	s_barrier
	buffer_gl0_inv
	s_clause 0x1
	buffer_load_dword v5, off, s[0:3], 0 offset:96
	buffer_load_dword v6, off, s[0:3], 0 offset:100
	s_mov_b32 s4, exec_lo
	s_waitcnt vmcnt(0)
	ds_write_b64 v4, v[5:6]
	s_waitcnt lgkmcnt(0)
	s_barrier
	buffer_gl0_inv
	v_cmpx_gt_u32_e32 12, v0
	s_cbranch_execz .LBB55_63
; %bb.60:
	v_add_nc_u32_e32 v5, -1, v0
	v_add_nc_u32_e32 v6, 0x1c0, v3
	v_mov_b32_e32 v7, v3
	v_mov_b32_e32 v2, 0
	;; [unrolled: 1-line block ×3, first 2 shown]
	s_mov_b32 s5, 0
	.p2align	6
.LBB55_61:                              ; =>This Inner Loop Header: Depth=1
	s_clause 0x1
	buffer_load_dword v11, v7, s[0:3], 0 offen offset:4
	buffer_load_dword v12, v7, s[0:3], 0 offen
	ds_read_b64 v[9:10], v6
	v_add_nc_u32_e32 v5, 1, v5
	v_add_nc_u32_e32 v6, 8, v6
	v_add_nc_u32_e32 v7, 8, v7
	v_cmp_lt_u32_e32 vcc_lo, 10, v5
	s_or_b32 s5, vcc_lo, s5
	s_waitcnt vmcnt(1) lgkmcnt(0)
	v_mul_f32_e32 v125, v10, v11
	v_mul_f32_e32 v11, v9, v11
	s_waitcnt vmcnt(0)
	v_fma_f32 v9, v9, v12, -v125
	v_fmac_f32_e32 v11, v10, v12
	v_add_f32_e32 v8, v8, v9
	v_add_f32_e32 v2, v2, v11
	s_andn2_b32 exec_lo, exec_lo, s5
	s_cbranch_execnz .LBB55_61
; %bb.62:
	s_or_b32 exec_lo, exec_lo, s5
	v_mov_b32_e32 v5, 0
	ds_read_b64 v[5:6], v5 offset:96
	s_waitcnt lgkmcnt(0)
	v_mul_f32_e32 v7, v2, v6
	v_mul_f32_e32 v6, v8, v6
	v_fma_f32 v7, v8, v5, -v7
	v_fmac_f32_e32 v6, v2, v5
	buffer_store_dword v7, off, s[0:3], 0 offset:96
	buffer_store_dword v6, off, s[0:3], 0 offset:100
.LBB55_63:
	s_or_b32 exec_lo, exec_lo, s4
	s_waitcnt_vscnt null, 0x0
	s_barrier
	buffer_gl0_inv
	s_clause 0x1
	buffer_load_dword v5, off, s[0:3], 0 offset:104
	buffer_load_dword v6, off, s[0:3], 0 offset:108
	s_mov_b32 s4, exec_lo
	s_waitcnt vmcnt(0)
	ds_write_b64 v4, v[5:6]
	s_waitcnt lgkmcnt(0)
	s_barrier
	buffer_gl0_inv
	v_cmpx_gt_u32_e32 13, v0
	s_cbranch_execz .LBB55_67
; %bb.64:
	v_add_nc_u32_e32 v5, -1, v0
	v_add_nc_u32_e32 v6, 0x1c0, v3
	v_mov_b32_e32 v7, v3
	v_mov_b32_e32 v2, 0
	;; [unrolled: 1-line block ×3, first 2 shown]
	s_mov_b32 s5, 0
	.p2align	6
.LBB55_65:                              ; =>This Inner Loop Header: Depth=1
	s_clause 0x1
	buffer_load_dword v11, v7, s[0:3], 0 offen offset:4
	buffer_load_dword v12, v7, s[0:3], 0 offen
	ds_read_b64 v[9:10], v6
	v_add_nc_u32_e32 v5, 1, v5
	v_add_nc_u32_e32 v6, 8, v6
	;; [unrolled: 1-line block ×3, first 2 shown]
	v_cmp_lt_u32_e32 vcc_lo, 11, v5
	s_or_b32 s5, vcc_lo, s5
	s_waitcnt vmcnt(1) lgkmcnt(0)
	v_mul_f32_e32 v125, v10, v11
	v_mul_f32_e32 v11, v9, v11
	s_waitcnt vmcnt(0)
	v_fma_f32 v9, v9, v12, -v125
	v_fmac_f32_e32 v11, v10, v12
	v_add_f32_e32 v8, v8, v9
	v_add_f32_e32 v2, v2, v11
	s_andn2_b32 exec_lo, exec_lo, s5
	s_cbranch_execnz .LBB55_65
; %bb.66:
	s_or_b32 exec_lo, exec_lo, s5
	v_mov_b32_e32 v5, 0
	ds_read_b64 v[5:6], v5 offset:104
	s_waitcnt lgkmcnt(0)
	v_mul_f32_e32 v7, v2, v6
	v_mul_f32_e32 v6, v8, v6
	v_fma_f32 v7, v8, v5, -v7
	v_fmac_f32_e32 v6, v2, v5
	buffer_store_dword v7, off, s[0:3], 0 offset:104
	buffer_store_dword v6, off, s[0:3], 0 offset:108
.LBB55_67:
	s_or_b32 exec_lo, exec_lo, s4
	s_waitcnt_vscnt null, 0x0
	s_barrier
	buffer_gl0_inv
	s_clause 0x1
	buffer_load_dword v5, off, s[0:3], 0 offset:112
	buffer_load_dword v6, off, s[0:3], 0 offset:116
	s_mov_b32 s4, exec_lo
	s_waitcnt vmcnt(0)
	ds_write_b64 v4, v[5:6]
	s_waitcnt lgkmcnt(0)
	s_barrier
	buffer_gl0_inv
	v_cmpx_gt_u32_e32 14, v0
	s_cbranch_execz .LBB55_71
; %bb.68:
	v_add_nc_u32_e32 v5, -1, v0
	v_add_nc_u32_e32 v6, 0x1c0, v3
	v_mov_b32_e32 v7, v3
	v_mov_b32_e32 v2, 0
	;; [unrolled: 1-line block ×3, first 2 shown]
	s_mov_b32 s5, 0
	.p2align	6
.LBB55_69:                              ; =>This Inner Loop Header: Depth=1
	s_clause 0x1
	buffer_load_dword v11, v7, s[0:3], 0 offen offset:4
	buffer_load_dword v12, v7, s[0:3], 0 offen
	ds_read_b64 v[9:10], v6
	v_add_nc_u32_e32 v5, 1, v5
	v_add_nc_u32_e32 v6, 8, v6
	v_add_nc_u32_e32 v7, 8, v7
	v_cmp_lt_u32_e32 vcc_lo, 12, v5
	s_or_b32 s5, vcc_lo, s5
	s_waitcnt vmcnt(1) lgkmcnt(0)
	v_mul_f32_e32 v125, v10, v11
	v_mul_f32_e32 v11, v9, v11
	s_waitcnt vmcnt(0)
	v_fma_f32 v9, v9, v12, -v125
	v_fmac_f32_e32 v11, v10, v12
	v_add_f32_e32 v8, v8, v9
	v_add_f32_e32 v2, v2, v11
	s_andn2_b32 exec_lo, exec_lo, s5
	s_cbranch_execnz .LBB55_69
; %bb.70:
	s_or_b32 exec_lo, exec_lo, s5
	v_mov_b32_e32 v5, 0
	ds_read_b64 v[5:6], v5 offset:112
	s_waitcnt lgkmcnt(0)
	v_mul_f32_e32 v7, v2, v6
	v_mul_f32_e32 v6, v8, v6
	v_fma_f32 v7, v8, v5, -v7
	v_fmac_f32_e32 v6, v2, v5
	buffer_store_dword v7, off, s[0:3], 0 offset:112
	buffer_store_dword v6, off, s[0:3], 0 offset:116
.LBB55_71:
	s_or_b32 exec_lo, exec_lo, s4
	s_waitcnt_vscnt null, 0x0
	s_barrier
	buffer_gl0_inv
	s_clause 0x1
	buffer_load_dword v5, off, s[0:3], 0 offset:120
	buffer_load_dword v6, off, s[0:3], 0 offset:124
	s_mov_b32 s4, exec_lo
	s_waitcnt vmcnt(0)
	ds_write_b64 v4, v[5:6]
	s_waitcnt lgkmcnt(0)
	s_barrier
	buffer_gl0_inv
	v_cmpx_gt_u32_e32 15, v0
	s_cbranch_execz .LBB55_75
; %bb.72:
	v_add_nc_u32_e32 v5, -1, v0
	v_add_nc_u32_e32 v6, 0x1c0, v3
	v_mov_b32_e32 v7, v3
	v_mov_b32_e32 v2, 0
	;; [unrolled: 1-line block ×3, first 2 shown]
	s_mov_b32 s5, 0
	.p2align	6
.LBB55_73:                              ; =>This Inner Loop Header: Depth=1
	s_clause 0x1
	buffer_load_dword v11, v7, s[0:3], 0 offen offset:4
	buffer_load_dword v12, v7, s[0:3], 0 offen
	ds_read_b64 v[9:10], v6
	v_add_nc_u32_e32 v5, 1, v5
	v_add_nc_u32_e32 v6, 8, v6
	;; [unrolled: 1-line block ×3, first 2 shown]
	v_cmp_lt_u32_e32 vcc_lo, 13, v5
	s_or_b32 s5, vcc_lo, s5
	s_waitcnt vmcnt(1) lgkmcnt(0)
	v_mul_f32_e32 v125, v10, v11
	v_mul_f32_e32 v11, v9, v11
	s_waitcnt vmcnt(0)
	v_fma_f32 v9, v9, v12, -v125
	v_fmac_f32_e32 v11, v10, v12
	v_add_f32_e32 v8, v8, v9
	v_add_f32_e32 v2, v2, v11
	s_andn2_b32 exec_lo, exec_lo, s5
	s_cbranch_execnz .LBB55_73
; %bb.74:
	s_or_b32 exec_lo, exec_lo, s5
	v_mov_b32_e32 v5, 0
	ds_read_b64 v[5:6], v5 offset:120
	s_waitcnt lgkmcnt(0)
	v_mul_f32_e32 v7, v2, v6
	v_mul_f32_e32 v6, v8, v6
	v_fma_f32 v7, v8, v5, -v7
	v_fmac_f32_e32 v6, v2, v5
	buffer_store_dword v7, off, s[0:3], 0 offset:120
	buffer_store_dword v6, off, s[0:3], 0 offset:124
.LBB55_75:
	s_or_b32 exec_lo, exec_lo, s4
	s_waitcnt_vscnt null, 0x0
	s_barrier
	buffer_gl0_inv
	s_clause 0x1
	buffer_load_dword v5, off, s[0:3], 0 offset:128
	buffer_load_dword v6, off, s[0:3], 0 offset:132
	s_mov_b32 s4, exec_lo
	s_waitcnt vmcnt(0)
	ds_write_b64 v4, v[5:6]
	s_waitcnt lgkmcnt(0)
	s_barrier
	buffer_gl0_inv
	v_cmpx_gt_u32_e32 16, v0
	s_cbranch_execz .LBB55_79
; %bb.76:
	v_add_nc_u32_e32 v5, -1, v0
	v_add_nc_u32_e32 v6, 0x1c0, v3
	v_mov_b32_e32 v7, v3
	v_mov_b32_e32 v2, 0
	;; [unrolled: 1-line block ×3, first 2 shown]
	s_mov_b32 s5, 0
	.p2align	6
.LBB55_77:                              ; =>This Inner Loop Header: Depth=1
	s_clause 0x1
	buffer_load_dword v11, v7, s[0:3], 0 offen offset:4
	buffer_load_dword v12, v7, s[0:3], 0 offen
	ds_read_b64 v[9:10], v6
	v_add_nc_u32_e32 v5, 1, v5
	v_add_nc_u32_e32 v6, 8, v6
	;; [unrolled: 1-line block ×3, first 2 shown]
	v_cmp_lt_u32_e32 vcc_lo, 14, v5
	s_or_b32 s5, vcc_lo, s5
	s_waitcnt vmcnt(1) lgkmcnt(0)
	v_mul_f32_e32 v125, v10, v11
	v_mul_f32_e32 v11, v9, v11
	s_waitcnt vmcnt(0)
	v_fma_f32 v9, v9, v12, -v125
	v_fmac_f32_e32 v11, v10, v12
	v_add_f32_e32 v8, v8, v9
	v_add_f32_e32 v2, v2, v11
	s_andn2_b32 exec_lo, exec_lo, s5
	s_cbranch_execnz .LBB55_77
; %bb.78:
	s_or_b32 exec_lo, exec_lo, s5
	v_mov_b32_e32 v5, 0
	ds_read_b64 v[5:6], v5 offset:128
	s_waitcnt lgkmcnt(0)
	v_mul_f32_e32 v7, v2, v6
	v_mul_f32_e32 v6, v8, v6
	v_fma_f32 v7, v8, v5, -v7
	v_fmac_f32_e32 v6, v2, v5
	buffer_store_dword v7, off, s[0:3], 0 offset:128
	buffer_store_dword v6, off, s[0:3], 0 offset:132
.LBB55_79:
	s_or_b32 exec_lo, exec_lo, s4
	s_waitcnt_vscnt null, 0x0
	s_barrier
	buffer_gl0_inv
	s_clause 0x1
	buffer_load_dword v5, off, s[0:3], 0 offset:136
	buffer_load_dword v6, off, s[0:3], 0 offset:140
	s_mov_b32 s4, exec_lo
	s_waitcnt vmcnt(0)
	ds_write_b64 v4, v[5:6]
	s_waitcnt lgkmcnt(0)
	s_barrier
	buffer_gl0_inv
	v_cmpx_gt_u32_e32 17, v0
	s_cbranch_execz .LBB55_83
; %bb.80:
	v_add_nc_u32_e32 v5, -1, v0
	v_add_nc_u32_e32 v6, 0x1c0, v3
	v_mov_b32_e32 v7, v3
	v_mov_b32_e32 v2, 0
	;; [unrolled: 1-line block ×3, first 2 shown]
	s_mov_b32 s5, 0
	.p2align	6
.LBB55_81:                              ; =>This Inner Loop Header: Depth=1
	s_clause 0x1
	buffer_load_dword v11, v7, s[0:3], 0 offen offset:4
	buffer_load_dword v12, v7, s[0:3], 0 offen
	ds_read_b64 v[9:10], v6
	v_add_nc_u32_e32 v5, 1, v5
	v_add_nc_u32_e32 v6, 8, v6
	;; [unrolled: 1-line block ×3, first 2 shown]
	v_cmp_lt_u32_e32 vcc_lo, 15, v5
	s_or_b32 s5, vcc_lo, s5
	s_waitcnt vmcnt(1) lgkmcnt(0)
	v_mul_f32_e32 v125, v10, v11
	v_mul_f32_e32 v11, v9, v11
	s_waitcnt vmcnt(0)
	v_fma_f32 v9, v9, v12, -v125
	v_fmac_f32_e32 v11, v10, v12
	v_add_f32_e32 v8, v8, v9
	v_add_f32_e32 v2, v2, v11
	s_andn2_b32 exec_lo, exec_lo, s5
	s_cbranch_execnz .LBB55_81
; %bb.82:
	s_or_b32 exec_lo, exec_lo, s5
	v_mov_b32_e32 v5, 0
	ds_read_b64 v[5:6], v5 offset:136
	s_waitcnt lgkmcnt(0)
	v_mul_f32_e32 v7, v2, v6
	v_mul_f32_e32 v6, v8, v6
	v_fma_f32 v7, v8, v5, -v7
	v_fmac_f32_e32 v6, v2, v5
	buffer_store_dword v7, off, s[0:3], 0 offset:136
	buffer_store_dword v6, off, s[0:3], 0 offset:140
.LBB55_83:
	s_or_b32 exec_lo, exec_lo, s4
	s_waitcnt_vscnt null, 0x0
	s_barrier
	buffer_gl0_inv
	s_clause 0x1
	buffer_load_dword v5, off, s[0:3], 0 offset:144
	buffer_load_dword v6, off, s[0:3], 0 offset:148
	s_mov_b32 s4, exec_lo
	s_waitcnt vmcnt(0)
	ds_write_b64 v4, v[5:6]
	s_waitcnt lgkmcnt(0)
	s_barrier
	buffer_gl0_inv
	v_cmpx_gt_u32_e32 18, v0
	s_cbranch_execz .LBB55_87
; %bb.84:
	v_add_nc_u32_e32 v5, -1, v0
	v_add_nc_u32_e32 v6, 0x1c0, v3
	v_mov_b32_e32 v7, v3
	v_mov_b32_e32 v2, 0
	;; [unrolled: 1-line block ×3, first 2 shown]
	s_mov_b32 s5, 0
	.p2align	6
.LBB55_85:                              ; =>This Inner Loop Header: Depth=1
	s_clause 0x1
	buffer_load_dword v11, v7, s[0:3], 0 offen offset:4
	buffer_load_dword v12, v7, s[0:3], 0 offen
	ds_read_b64 v[9:10], v6
	v_add_nc_u32_e32 v5, 1, v5
	v_add_nc_u32_e32 v6, 8, v6
	;; [unrolled: 1-line block ×3, first 2 shown]
	v_cmp_lt_u32_e32 vcc_lo, 16, v5
	s_or_b32 s5, vcc_lo, s5
	s_waitcnt vmcnt(1) lgkmcnt(0)
	v_mul_f32_e32 v125, v10, v11
	v_mul_f32_e32 v11, v9, v11
	s_waitcnt vmcnt(0)
	v_fma_f32 v9, v9, v12, -v125
	v_fmac_f32_e32 v11, v10, v12
	v_add_f32_e32 v8, v8, v9
	v_add_f32_e32 v2, v2, v11
	s_andn2_b32 exec_lo, exec_lo, s5
	s_cbranch_execnz .LBB55_85
; %bb.86:
	s_or_b32 exec_lo, exec_lo, s5
	v_mov_b32_e32 v5, 0
	ds_read_b64 v[5:6], v5 offset:144
	s_waitcnt lgkmcnt(0)
	v_mul_f32_e32 v7, v2, v6
	v_mul_f32_e32 v6, v8, v6
	v_fma_f32 v7, v8, v5, -v7
	v_fmac_f32_e32 v6, v2, v5
	buffer_store_dword v7, off, s[0:3], 0 offset:144
	buffer_store_dword v6, off, s[0:3], 0 offset:148
.LBB55_87:
	s_or_b32 exec_lo, exec_lo, s4
	s_waitcnt_vscnt null, 0x0
	s_barrier
	buffer_gl0_inv
	s_clause 0x1
	buffer_load_dword v5, off, s[0:3], 0 offset:152
	buffer_load_dword v6, off, s[0:3], 0 offset:156
	s_mov_b32 s4, exec_lo
	s_waitcnt vmcnt(0)
	ds_write_b64 v4, v[5:6]
	s_waitcnt lgkmcnt(0)
	s_barrier
	buffer_gl0_inv
	v_cmpx_gt_u32_e32 19, v0
	s_cbranch_execz .LBB55_91
; %bb.88:
	v_add_nc_u32_e32 v5, -1, v0
	v_add_nc_u32_e32 v6, 0x1c0, v3
	v_mov_b32_e32 v7, v3
	v_mov_b32_e32 v2, 0
	;; [unrolled: 1-line block ×3, first 2 shown]
	s_mov_b32 s5, 0
	.p2align	6
.LBB55_89:                              ; =>This Inner Loop Header: Depth=1
	s_clause 0x1
	buffer_load_dword v11, v7, s[0:3], 0 offen offset:4
	buffer_load_dword v12, v7, s[0:3], 0 offen
	ds_read_b64 v[9:10], v6
	v_add_nc_u32_e32 v5, 1, v5
	v_add_nc_u32_e32 v6, 8, v6
	;; [unrolled: 1-line block ×3, first 2 shown]
	v_cmp_lt_u32_e32 vcc_lo, 17, v5
	s_or_b32 s5, vcc_lo, s5
	s_waitcnt vmcnt(1) lgkmcnt(0)
	v_mul_f32_e32 v125, v10, v11
	v_mul_f32_e32 v11, v9, v11
	s_waitcnt vmcnt(0)
	v_fma_f32 v9, v9, v12, -v125
	v_fmac_f32_e32 v11, v10, v12
	v_add_f32_e32 v8, v8, v9
	v_add_f32_e32 v2, v2, v11
	s_andn2_b32 exec_lo, exec_lo, s5
	s_cbranch_execnz .LBB55_89
; %bb.90:
	s_or_b32 exec_lo, exec_lo, s5
	v_mov_b32_e32 v5, 0
	ds_read_b64 v[5:6], v5 offset:152
	s_waitcnt lgkmcnt(0)
	v_mul_f32_e32 v7, v2, v6
	v_mul_f32_e32 v6, v8, v6
	v_fma_f32 v7, v8, v5, -v7
	v_fmac_f32_e32 v6, v2, v5
	buffer_store_dword v7, off, s[0:3], 0 offset:152
	buffer_store_dword v6, off, s[0:3], 0 offset:156
.LBB55_91:
	s_or_b32 exec_lo, exec_lo, s4
	s_waitcnt_vscnt null, 0x0
	s_barrier
	buffer_gl0_inv
	s_clause 0x1
	buffer_load_dword v5, off, s[0:3], 0 offset:160
	buffer_load_dword v6, off, s[0:3], 0 offset:164
	s_mov_b32 s4, exec_lo
	s_waitcnt vmcnt(0)
	ds_write_b64 v4, v[5:6]
	s_waitcnt lgkmcnt(0)
	s_barrier
	buffer_gl0_inv
	v_cmpx_gt_u32_e32 20, v0
	s_cbranch_execz .LBB55_95
; %bb.92:
	v_add_nc_u32_e32 v5, -1, v0
	v_add_nc_u32_e32 v6, 0x1c0, v3
	v_mov_b32_e32 v7, v3
	v_mov_b32_e32 v2, 0
	;; [unrolled: 1-line block ×3, first 2 shown]
	s_mov_b32 s5, 0
	.p2align	6
.LBB55_93:                              ; =>This Inner Loop Header: Depth=1
	s_clause 0x1
	buffer_load_dword v11, v7, s[0:3], 0 offen offset:4
	buffer_load_dword v12, v7, s[0:3], 0 offen
	ds_read_b64 v[9:10], v6
	v_add_nc_u32_e32 v5, 1, v5
	v_add_nc_u32_e32 v6, 8, v6
	;; [unrolled: 1-line block ×3, first 2 shown]
	v_cmp_lt_u32_e32 vcc_lo, 18, v5
	s_or_b32 s5, vcc_lo, s5
	s_waitcnt vmcnt(1) lgkmcnt(0)
	v_mul_f32_e32 v125, v10, v11
	v_mul_f32_e32 v11, v9, v11
	s_waitcnt vmcnt(0)
	v_fma_f32 v9, v9, v12, -v125
	v_fmac_f32_e32 v11, v10, v12
	v_add_f32_e32 v8, v8, v9
	v_add_f32_e32 v2, v2, v11
	s_andn2_b32 exec_lo, exec_lo, s5
	s_cbranch_execnz .LBB55_93
; %bb.94:
	s_or_b32 exec_lo, exec_lo, s5
	v_mov_b32_e32 v5, 0
	ds_read_b64 v[5:6], v5 offset:160
	s_waitcnt lgkmcnt(0)
	v_mul_f32_e32 v7, v2, v6
	v_mul_f32_e32 v6, v8, v6
	v_fma_f32 v7, v8, v5, -v7
	v_fmac_f32_e32 v6, v2, v5
	buffer_store_dword v7, off, s[0:3], 0 offset:160
	buffer_store_dword v6, off, s[0:3], 0 offset:164
.LBB55_95:
	s_or_b32 exec_lo, exec_lo, s4
	s_waitcnt_vscnt null, 0x0
	s_barrier
	buffer_gl0_inv
	s_clause 0x1
	buffer_load_dword v5, off, s[0:3], 0 offset:168
	buffer_load_dword v6, off, s[0:3], 0 offset:172
	s_mov_b32 s4, exec_lo
	s_waitcnt vmcnt(0)
	ds_write_b64 v4, v[5:6]
	s_waitcnt lgkmcnt(0)
	s_barrier
	buffer_gl0_inv
	v_cmpx_gt_u32_e32 21, v0
	s_cbranch_execz .LBB55_99
; %bb.96:
	v_add_nc_u32_e32 v5, -1, v0
	v_add_nc_u32_e32 v6, 0x1c0, v3
	v_mov_b32_e32 v7, v3
	v_mov_b32_e32 v2, 0
	;; [unrolled: 1-line block ×3, first 2 shown]
	s_mov_b32 s5, 0
	.p2align	6
.LBB55_97:                              ; =>This Inner Loop Header: Depth=1
	s_clause 0x1
	buffer_load_dword v11, v7, s[0:3], 0 offen offset:4
	buffer_load_dword v12, v7, s[0:3], 0 offen
	ds_read_b64 v[9:10], v6
	v_add_nc_u32_e32 v5, 1, v5
	v_add_nc_u32_e32 v6, 8, v6
	;; [unrolled: 1-line block ×3, first 2 shown]
	v_cmp_lt_u32_e32 vcc_lo, 19, v5
	s_or_b32 s5, vcc_lo, s5
	s_waitcnt vmcnt(1) lgkmcnt(0)
	v_mul_f32_e32 v125, v10, v11
	v_mul_f32_e32 v11, v9, v11
	s_waitcnt vmcnt(0)
	v_fma_f32 v9, v9, v12, -v125
	v_fmac_f32_e32 v11, v10, v12
	v_add_f32_e32 v8, v8, v9
	v_add_f32_e32 v2, v2, v11
	s_andn2_b32 exec_lo, exec_lo, s5
	s_cbranch_execnz .LBB55_97
; %bb.98:
	s_or_b32 exec_lo, exec_lo, s5
	v_mov_b32_e32 v5, 0
	ds_read_b64 v[5:6], v5 offset:168
	s_waitcnt lgkmcnt(0)
	v_mul_f32_e32 v7, v2, v6
	v_mul_f32_e32 v6, v8, v6
	v_fma_f32 v7, v8, v5, -v7
	v_fmac_f32_e32 v6, v2, v5
	buffer_store_dword v7, off, s[0:3], 0 offset:168
	buffer_store_dword v6, off, s[0:3], 0 offset:172
.LBB55_99:
	s_or_b32 exec_lo, exec_lo, s4
	s_waitcnt_vscnt null, 0x0
	s_barrier
	buffer_gl0_inv
	s_clause 0x1
	buffer_load_dword v5, off, s[0:3], 0 offset:176
	buffer_load_dword v6, off, s[0:3], 0 offset:180
	s_mov_b32 s4, exec_lo
	s_waitcnt vmcnt(0)
	ds_write_b64 v4, v[5:6]
	s_waitcnt lgkmcnt(0)
	s_barrier
	buffer_gl0_inv
	v_cmpx_gt_u32_e32 22, v0
	s_cbranch_execz .LBB55_103
; %bb.100:
	v_add_nc_u32_e32 v5, -1, v0
	v_add_nc_u32_e32 v6, 0x1c0, v3
	v_mov_b32_e32 v7, v3
	v_mov_b32_e32 v2, 0
	;; [unrolled: 1-line block ×3, first 2 shown]
	s_mov_b32 s5, 0
	.p2align	6
.LBB55_101:                             ; =>This Inner Loop Header: Depth=1
	s_clause 0x1
	buffer_load_dword v11, v7, s[0:3], 0 offen offset:4
	buffer_load_dword v12, v7, s[0:3], 0 offen
	ds_read_b64 v[9:10], v6
	v_add_nc_u32_e32 v5, 1, v5
	v_add_nc_u32_e32 v6, 8, v6
	v_add_nc_u32_e32 v7, 8, v7
	v_cmp_lt_u32_e32 vcc_lo, 20, v5
	s_or_b32 s5, vcc_lo, s5
	s_waitcnt vmcnt(1) lgkmcnt(0)
	v_mul_f32_e32 v125, v10, v11
	v_mul_f32_e32 v11, v9, v11
	s_waitcnt vmcnt(0)
	v_fma_f32 v9, v9, v12, -v125
	v_fmac_f32_e32 v11, v10, v12
	v_add_f32_e32 v8, v8, v9
	v_add_f32_e32 v2, v2, v11
	s_andn2_b32 exec_lo, exec_lo, s5
	s_cbranch_execnz .LBB55_101
; %bb.102:
	s_or_b32 exec_lo, exec_lo, s5
	v_mov_b32_e32 v5, 0
	ds_read_b64 v[5:6], v5 offset:176
	s_waitcnt lgkmcnt(0)
	v_mul_f32_e32 v7, v2, v6
	v_mul_f32_e32 v6, v8, v6
	v_fma_f32 v7, v8, v5, -v7
	v_fmac_f32_e32 v6, v2, v5
	buffer_store_dword v7, off, s[0:3], 0 offset:176
	buffer_store_dword v6, off, s[0:3], 0 offset:180
.LBB55_103:
	s_or_b32 exec_lo, exec_lo, s4
	s_waitcnt_vscnt null, 0x0
	s_barrier
	buffer_gl0_inv
	s_clause 0x1
	buffer_load_dword v5, off, s[0:3], 0 offset:184
	buffer_load_dword v6, off, s[0:3], 0 offset:188
	s_mov_b32 s4, exec_lo
	s_waitcnt vmcnt(0)
	ds_write_b64 v4, v[5:6]
	s_waitcnt lgkmcnt(0)
	s_barrier
	buffer_gl0_inv
	v_cmpx_gt_u32_e32 23, v0
	s_cbranch_execz .LBB55_107
; %bb.104:
	v_add_nc_u32_e32 v5, -1, v0
	v_add_nc_u32_e32 v6, 0x1c0, v3
	v_mov_b32_e32 v7, v3
	v_mov_b32_e32 v2, 0
	;; [unrolled: 1-line block ×3, first 2 shown]
	s_mov_b32 s5, 0
	.p2align	6
.LBB55_105:                             ; =>This Inner Loop Header: Depth=1
	s_clause 0x1
	buffer_load_dword v11, v7, s[0:3], 0 offen offset:4
	buffer_load_dword v12, v7, s[0:3], 0 offen
	ds_read_b64 v[9:10], v6
	v_add_nc_u32_e32 v5, 1, v5
	v_add_nc_u32_e32 v6, 8, v6
	;; [unrolled: 1-line block ×3, first 2 shown]
	v_cmp_lt_u32_e32 vcc_lo, 21, v5
	s_or_b32 s5, vcc_lo, s5
	s_waitcnt vmcnt(1) lgkmcnt(0)
	v_mul_f32_e32 v125, v10, v11
	v_mul_f32_e32 v11, v9, v11
	s_waitcnt vmcnt(0)
	v_fma_f32 v9, v9, v12, -v125
	v_fmac_f32_e32 v11, v10, v12
	v_add_f32_e32 v8, v8, v9
	v_add_f32_e32 v2, v2, v11
	s_andn2_b32 exec_lo, exec_lo, s5
	s_cbranch_execnz .LBB55_105
; %bb.106:
	s_or_b32 exec_lo, exec_lo, s5
	v_mov_b32_e32 v5, 0
	ds_read_b64 v[5:6], v5 offset:184
	s_waitcnt lgkmcnt(0)
	v_mul_f32_e32 v7, v2, v6
	v_mul_f32_e32 v6, v8, v6
	v_fma_f32 v7, v8, v5, -v7
	v_fmac_f32_e32 v6, v2, v5
	buffer_store_dword v7, off, s[0:3], 0 offset:184
	buffer_store_dword v6, off, s[0:3], 0 offset:188
.LBB55_107:
	s_or_b32 exec_lo, exec_lo, s4
	s_waitcnt_vscnt null, 0x0
	s_barrier
	buffer_gl0_inv
	s_clause 0x1
	buffer_load_dword v5, off, s[0:3], 0 offset:192
	buffer_load_dword v6, off, s[0:3], 0 offset:196
	s_mov_b32 s4, exec_lo
	s_waitcnt vmcnt(0)
	ds_write_b64 v4, v[5:6]
	s_waitcnt lgkmcnt(0)
	s_barrier
	buffer_gl0_inv
	v_cmpx_gt_u32_e32 24, v0
	s_cbranch_execz .LBB55_111
; %bb.108:
	v_add_nc_u32_e32 v5, -1, v0
	v_add_nc_u32_e32 v6, 0x1c0, v3
	v_mov_b32_e32 v7, v3
	v_mov_b32_e32 v2, 0
	;; [unrolled: 1-line block ×3, first 2 shown]
	s_mov_b32 s5, 0
	.p2align	6
.LBB55_109:                             ; =>This Inner Loop Header: Depth=1
	s_clause 0x1
	buffer_load_dword v11, v7, s[0:3], 0 offen offset:4
	buffer_load_dword v12, v7, s[0:3], 0 offen
	ds_read_b64 v[9:10], v6
	v_add_nc_u32_e32 v5, 1, v5
	v_add_nc_u32_e32 v6, 8, v6
	;; [unrolled: 1-line block ×3, first 2 shown]
	v_cmp_lt_u32_e32 vcc_lo, 22, v5
	s_or_b32 s5, vcc_lo, s5
	s_waitcnt vmcnt(1) lgkmcnt(0)
	v_mul_f32_e32 v125, v10, v11
	v_mul_f32_e32 v11, v9, v11
	s_waitcnt vmcnt(0)
	v_fma_f32 v9, v9, v12, -v125
	v_fmac_f32_e32 v11, v10, v12
	v_add_f32_e32 v8, v8, v9
	v_add_f32_e32 v2, v2, v11
	s_andn2_b32 exec_lo, exec_lo, s5
	s_cbranch_execnz .LBB55_109
; %bb.110:
	s_or_b32 exec_lo, exec_lo, s5
	v_mov_b32_e32 v5, 0
	ds_read_b64 v[5:6], v5 offset:192
	s_waitcnt lgkmcnt(0)
	v_mul_f32_e32 v7, v2, v6
	v_mul_f32_e32 v6, v8, v6
	v_fma_f32 v7, v8, v5, -v7
	v_fmac_f32_e32 v6, v2, v5
	buffer_store_dword v7, off, s[0:3], 0 offset:192
	buffer_store_dword v6, off, s[0:3], 0 offset:196
.LBB55_111:
	s_or_b32 exec_lo, exec_lo, s4
	s_waitcnt_vscnt null, 0x0
	s_barrier
	buffer_gl0_inv
	s_clause 0x1
	buffer_load_dword v5, off, s[0:3], 0 offset:200
	buffer_load_dword v6, off, s[0:3], 0 offset:204
	s_mov_b32 s4, exec_lo
	s_waitcnt vmcnt(0)
	ds_write_b64 v4, v[5:6]
	s_waitcnt lgkmcnt(0)
	s_barrier
	buffer_gl0_inv
	v_cmpx_gt_u32_e32 25, v0
	s_cbranch_execz .LBB55_115
; %bb.112:
	v_add_nc_u32_e32 v5, -1, v0
	v_add_nc_u32_e32 v6, 0x1c0, v3
	v_mov_b32_e32 v7, v3
	v_mov_b32_e32 v2, 0
	;; [unrolled: 1-line block ×3, first 2 shown]
	s_mov_b32 s5, 0
	.p2align	6
.LBB55_113:                             ; =>This Inner Loop Header: Depth=1
	s_clause 0x1
	buffer_load_dword v11, v7, s[0:3], 0 offen offset:4
	buffer_load_dword v12, v7, s[0:3], 0 offen
	ds_read_b64 v[9:10], v6
	v_add_nc_u32_e32 v5, 1, v5
	v_add_nc_u32_e32 v6, 8, v6
	;; [unrolled: 1-line block ×3, first 2 shown]
	v_cmp_lt_u32_e32 vcc_lo, 23, v5
	s_or_b32 s5, vcc_lo, s5
	s_waitcnt vmcnt(1) lgkmcnt(0)
	v_mul_f32_e32 v125, v10, v11
	v_mul_f32_e32 v11, v9, v11
	s_waitcnt vmcnt(0)
	v_fma_f32 v9, v9, v12, -v125
	v_fmac_f32_e32 v11, v10, v12
	v_add_f32_e32 v8, v8, v9
	v_add_f32_e32 v2, v2, v11
	s_andn2_b32 exec_lo, exec_lo, s5
	s_cbranch_execnz .LBB55_113
; %bb.114:
	s_or_b32 exec_lo, exec_lo, s5
	v_mov_b32_e32 v5, 0
	ds_read_b64 v[5:6], v5 offset:200
	s_waitcnt lgkmcnt(0)
	v_mul_f32_e32 v7, v2, v6
	v_mul_f32_e32 v6, v8, v6
	v_fma_f32 v7, v8, v5, -v7
	v_fmac_f32_e32 v6, v2, v5
	buffer_store_dword v7, off, s[0:3], 0 offset:200
	buffer_store_dword v6, off, s[0:3], 0 offset:204
.LBB55_115:
	s_or_b32 exec_lo, exec_lo, s4
	s_waitcnt_vscnt null, 0x0
	s_barrier
	buffer_gl0_inv
	s_clause 0x1
	buffer_load_dword v5, off, s[0:3], 0 offset:208
	buffer_load_dword v6, off, s[0:3], 0 offset:212
	s_mov_b32 s4, exec_lo
	s_waitcnt vmcnt(0)
	ds_write_b64 v4, v[5:6]
	s_waitcnt lgkmcnt(0)
	s_barrier
	buffer_gl0_inv
	v_cmpx_gt_u32_e32 26, v0
	s_cbranch_execz .LBB55_119
; %bb.116:
	v_add_nc_u32_e32 v5, -1, v0
	v_add_nc_u32_e32 v6, 0x1c0, v3
	v_mov_b32_e32 v7, v3
	v_mov_b32_e32 v2, 0
	;; [unrolled: 1-line block ×3, first 2 shown]
	s_mov_b32 s5, 0
	.p2align	6
.LBB55_117:                             ; =>This Inner Loop Header: Depth=1
	s_clause 0x1
	buffer_load_dword v11, v7, s[0:3], 0 offen offset:4
	buffer_load_dword v12, v7, s[0:3], 0 offen
	ds_read_b64 v[9:10], v6
	v_add_nc_u32_e32 v5, 1, v5
	v_add_nc_u32_e32 v6, 8, v6
	;; [unrolled: 1-line block ×3, first 2 shown]
	v_cmp_lt_u32_e32 vcc_lo, 24, v5
	s_or_b32 s5, vcc_lo, s5
	s_waitcnt vmcnt(1) lgkmcnt(0)
	v_mul_f32_e32 v125, v10, v11
	v_mul_f32_e32 v11, v9, v11
	s_waitcnt vmcnt(0)
	v_fma_f32 v9, v9, v12, -v125
	v_fmac_f32_e32 v11, v10, v12
	v_add_f32_e32 v8, v8, v9
	v_add_f32_e32 v2, v2, v11
	s_andn2_b32 exec_lo, exec_lo, s5
	s_cbranch_execnz .LBB55_117
; %bb.118:
	s_or_b32 exec_lo, exec_lo, s5
	v_mov_b32_e32 v5, 0
	ds_read_b64 v[5:6], v5 offset:208
	s_waitcnt lgkmcnt(0)
	v_mul_f32_e32 v7, v2, v6
	v_mul_f32_e32 v6, v8, v6
	v_fma_f32 v7, v8, v5, -v7
	v_fmac_f32_e32 v6, v2, v5
	buffer_store_dword v7, off, s[0:3], 0 offset:208
	buffer_store_dword v6, off, s[0:3], 0 offset:212
.LBB55_119:
	s_or_b32 exec_lo, exec_lo, s4
	s_waitcnt_vscnt null, 0x0
	s_barrier
	buffer_gl0_inv
	s_clause 0x1
	buffer_load_dword v5, off, s[0:3], 0 offset:216
	buffer_load_dword v6, off, s[0:3], 0 offset:220
	s_mov_b32 s4, exec_lo
	s_waitcnt vmcnt(0)
	ds_write_b64 v4, v[5:6]
	s_waitcnt lgkmcnt(0)
	s_barrier
	buffer_gl0_inv
	v_cmpx_gt_u32_e32 27, v0
	s_cbranch_execz .LBB55_123
; %bb.120:
	v_add_nc_u32_e32 v5, -1, v0
	v_add_nc_u32_e32 v6, 0x1c0, v3
	v_mov_b32_e32 v7, v3
	v_mov_b32_e32 v2, 0
	v_mov_b32_e32 v8, 0
	s_mov_b32 s5, 0
	.p2align	6
.LBB55_121:                             ; =>This Inner Loop Header: Depth=1
	s_clause 0x1
	buffer_load_dword v11, v7, s[0:3], 0 offen offset:4
	buffer_load_dword v12, v7, s[0:3], 0 offen
	ds_read_b64 v[9:10], v6
	v_add_nc_u32_e32 v5, 1, v5
	v_add_nc_u32_e32 v6, 8, v6
	;; [unrolled: 1-line block ×3, first 2 shown]
	v_cmp_lt_u32_e32 vcc_lo, 25, v5
	s_or_b32 s5, vcc_lo, s5
	s_waitcnt vmcnt(1) lgkmcnt(0)
	v_mul_f32_e32 v125, v10, v11
	v_mul_f32_e32 v11, v9, v11
	s_waitcnt vmcnt(0)
	v_fma_f32 v9, v9, v12, -v125
	v_fmac_f32_e32 v11, v10, v12
	v_add_f32_e32 v8, v8, v9
	v_add_f32_e32 v2, v2, v11
	s_andn2_b32 exec_lo, exec_lo, s5
	s_cbranch_execnz .LBB55_121
; %bb.122:
	s_or_b32 exec_lo, exec_lo, s5
	v_mov_b32_e32 v5, 0
	ds_read_b64 v[5:6], v5 offset:216
	s_waitcnt lgkmcnt(0)
	v_mul_f32_e32 v7, v2, v6
	v_mul_f32_e32 v6, v8, v6
	v_fma_f32 v7, v8, v5, -v7
	v_fmac_f32_e32 v6, v2, v5
	buffer_store_dword v7, off, s[0:3], 0 offset:216
	buffer_store_dword v6, off, s[0:3], 0 offset:220
.LBB55_123:
	s_or_b32 exec_lo, exec_lo, s4
	s_waitcnt_vscnt null, 0x0
	s_barrier
	buffer_gl0_inv
	s_clause 0x1
	buffer_load_dword v5, off, s[0:3], 0 offset:224
	buffer_load_dword v6, off, s[0:3], 0 offset:228
	s_mov_b32 s4, exec_lo
	s_waitcnt vmcnt(0)
	ds_write_b64 v4, v[5:6]
	s_waitcnt lgkmcnt(0)
	s_barrier
	buffer_gl0_inv
	v_cmpx_gt_u32_e32 28, v0
	s_cbranch_execz .LBB55_127
; %bb.124:
	v_add_nc_u32_e32 v5, -1, v0
	v_add_nc_u32_e32 v6, 0x1c0, v3
	v_mov_b32_e32 v7, v3
	v_mov_b32_e32 v2, 0
	;; [unrolled: 1-line block ×3, first 2 shown]
	s_mov_b32 s5, 0
	.p2align	6
.LBB55_125:                             ; =>This Inner Loop Header: Depth=1
	s_clause 0x1
	buffer_load_dword v11, v7, s[0:3], 0 offen offset:4
	buffer_load_dword v12, v7, s[0:3], 0 offen
	ds_read_b64 v[9:10], v6
	v_add_nc_u32_e32 v5, 1, v5
	v_add_nc_u32_e32 v6, 8, v6
	;; [unrolled: 1-line block ×3, first 2 shown]
	v_cmp_lt_u32_e32 vcc_lo, 26, v5
	s_or_b32 s5, vcc_lo, s5
	s_waitcnt vmcnt(1) lgkmcnt(0)
	v_mul_f32_e32 v125, v10, v11
	v_mul_f32_e32 v11, v9, v11
	s_waitcnt vmcnt(0)
	v_fma_f32 v9, v9, v12, -v125
	v_fmac_f32_e32 v11, v10, v12
	v_add_f32_e32 v8, v8, v9
	v_add_f32_e32 v2, v2, v11
	s_andn2_b32 exec_lo, exec_lo, s5
	s_cbranch_execnz .LBB55_125
; %bb.126:
	s_or_b32 exec_lo, exec_lo, s5
	v_mov_b32_e32 v5, 0
	ds_read_b64 v[5:6], v5 offset:224
	s_waitcnt lgkmcnt(0)
	v_mul_f32_e32 v7, v2, v6
	v_mul_f32_e32 v6, v8, v6
	v_fma_f32 v7, v8, v5, -v7
	v_fmac_f32_e32 v6, v2, v5
	buffer_store_dword v7, off, s[0:3], 0 offset:224
	buffer_store_dword v6, off, s[0:3], 0 offset:228
.LBB55_127:
	s_or_b32 exec_lo, exec_lo, s4
	s_waitcnt_vscnt null, 0x0
	s_barrier
	buffer_gl0_inv
	s_clause 0x1
	buffer_load_dword v5, off, s[0:3], 0 offset:232
	buffer_load_dword v6, off, s[0:3], 0 offset:236
	s_mov_b32 s4, exec_lo
	s_waitcnt vmcnt(0)
	ds_write_b64 v4, v[5:6]
	s_waitcnt lgkmcnt(0)
	s_barrier
	buffer_gl0_inv
	v_cmpx_gt_u32_e32 29, v0
	s_cbranch_execz .LBB55_131
; %bb.128:
	v_add_nc_u32_e32 v5, -1, v0
	v_add_nc_u32_e32 v6, 0x1c0, v3
	v_mov_b32_e32 v7, v3
	v_mov_b32_e32 v2, 0
	v_mov_b32_e32 v8, 0
	s_mov_b32 s5, 0
	.p2align	6
.LBB55_129:                             ; =>This Inner Loop Header: Depth=1
	s_clause 0x1
	buffer_load_dword v11, v7, s[0:3], 0 offen offset:4
	buffer_load_dword v12, v7, s[0:3], 0 offen
	ds_read_b64 v[9:10], v6
	v_add_nc_u32_e32 v5, 1, v5
	v_add_nc_u32_e32 v6, 8, v6
	;; [unrolled: 1-line block ×3, first 2 shown]
	v_cmp_lt_u32_e32 vcc_lo, 27, v5
	s_or_b32 s5, vcc_lo, s5
	s_waitcnt vmcnt(1) lgkmcnt(0)
	v_mul_f32_e32 v125, v10, v11
	v_mul_f32_e32 v11, v9, v11
	s_waitcnt vmcnt(0)
	v_fma_f32 v9, v9, v12, -v125
	v_fmac_f32_e32 v11, v10, v12
	v_add_f32_e32 v8, v8, v9
	v_add_f32_e32 v2, v2, v11
	s_andn2_b32 exec_lo, exec_lo, s5
	s_cbranch_execnz .LBB55_129
; %bb.130:
	s_or_b32 exec_lo, exec_lo, s5
	v_mov_b32_e32 v5, 0
	ds_read_b64 v[5:6], v5 offset:232
	s_waitcnt lgkmcnt(0)
	v_mul_f32_e32 v7, v2, v6
	v_mul_f32_e32 v6, v8, v6
	v_fma_f32 v7, v8, v5, -v7
	v_fmac_f32_e32 v6, v2, v5
	buffer_store_dword v7, off, s[0:3], 0 offset:232
	buffer_store_dword v6, off, s[0:3], 0 offset:236
.LBB55_131:
	s_or_b32 exec_lo, exec_lo, s4
	s_waitcnt_vscnt null, 0x0
	s_barrier
	buffer_gl0_inv
	s_clause 0x1
	buffer_load_dword v5, off, s[0:3], 0 offset:240
	buffer_load_dword v6, off, s[0:3], 0 offset:244
	s_mov_b32 s4, exec_lo
	s_waitcnt vmcnt(0)
	ds_write_b64 v4, v[5:6]
	s_waitcnt lgkmcnt(0)
	s_barrier
	buffer_gl0_inv
	v_cmpx_gt_u32_e32 30, v0
	s_cbranch_execz .LBB55_135
; %bb.132:
	v_add_nc_u32_e32 v5, -1, v0
	v_add_nc_u32_e32 v6, 0x1c0, v3
	v_mov_b32_e32 v7, v3
	v_mov_b32_e32 v2, 0
	;; [unrolled: 1-line block ×3, first 2 shown]
	s_mov_b32 s5, 0
	.p2align	6
.LBB55_133:                             ; =>This Inner Loop Header: Depth=1
	s_clause 0x1
	buffer_load_dword v11, v7, s[0:3], 0 offen offset:4
	buffer_load_dword v12, v7, s[0:3], 0 offen
	ds_read_b64 v[9:10], v6
	v_add_nc_u32_e32 v5, 1, v5
	v_add_nc_u32_e32 v6, 8, v6
	;; [unrolled: 1-line block ×3, first 2 shown]
	v_cmp_lt_u32_e32 vcc_lo, 28, v5
	s_or_b32 s5, vcc_lo, s5
	s_waitcnt vmcnt(1) lgkmcnt(0)
	v_mul_f32_e32 v125, v10, v11
	v_mul_f32_e32 v11, v9, v11
	s_waitcnt vmcnt(0)
	v_fma_f32 v9, v9, v12, -v125
	v_fmac_f32_e32 v11, v10, v12
	v_add_f32_e32 v8, v8, v9
	v_add_f32_e32 v2, v2, v11
	s_andn2_b32 exec_lo, exec_lo, s5
	s_cbranch_execnz .LBB55_133
; %bb.134:
	s_or_b32 exec_lo, exec_lo, s5
	v_mov_b32_e32 v5, 0
	ds_read_b64 v[5:6], v5 offset:240
	s_waitcnt lgkmcnt(0)
	v_mul_f32_e32 v7, v2, v6
	v_mul_f32_e32 v6, v8, v6
	v_fma_f32 v7, v8, v5, -v7
	v_fmac_f32_e32 v6, v2, v5
	buffer_store_dword v7, off, s[0:3], 0 offset:240
	buffer_store_dword v6, off, s[0:3], 0 offset:244
.LBB55_135:
	s_or_b32 exec_lo, exec_lo, s4
	s_waitcnt_vscnt null, 0x0
	s_barrier
	buffer_gl0_inv
	s_clause 0x1
	buffer_load_dword v5, off, s[0:3], 0 offset:248
	buffer_load_dword v6, off, s[0:3], 0 offset:252
	s_mov_b32 s4, exec_lo
	s_waitcnt vmcnt(0)
	ds_write_b64 v4, v[5:6]
	s_waitcnt lgkmcnt(0)
	s_barrier
	buffer_gl0_inv
	v_cmpx_gt_u32_e32 31, v0
	s_cbranch_execz .LBB55_139
; %bb.136:
	v_add_nc_u32_e32 v5, -1, v0
	v_add_nc_u32_e32 v6, 0x1c0, v3
	v_mov_b32_e32 v7, v3
	v_mov_b32_e32 v2, 0
	;; [unrolled: 1-line block ×3, first 2 shown]
	s_mov_b32 s5, 0
	.p2align	6
.LBB55_137:                             ; =>This Inner Loop Header: Depth=1
	s_clause 0x1
	buffer_load_dword v11, v7, s[0:3], 0 offen offset:4
	buffer_load_dword v12, v7, s[0:3], 0 offen
	ds_read_b64 v[9:10], v6
	v_add_nc_u32_e32 v5, 1, v5
	v_add_nc_u32_e32 v6, 8, v6
	;; [unrolled: 1-line block ×3, first 2 shown]
	v_cmp_lt_u32_e32 vcc_lo, 29, v5
	s_or_b32 s5, vcc_lo, s5
	s_waitcnt vmcnt(1) lgkmcnt(0)
	v_mul_f32_e32 v125, v10, v11
	v_mul_f32_e32 v11, v9, v11
	s_waitcnt vmcnt(0)
	v_fma_f32 v9, v9, v12, -v125
	v_fmac_f32_e32 v11, v10, v12
	v_add_f32_e32 v8, v8, v9
	v_add_f32_e32 v2, v2, v11
	s_andn2_b32 exec_lo, exec_lo, s5
	s_cbranch_execnz .LBB55_137
; %bb.138:
	s_or_b32 exec_lo, exec_lo, s5
	v_mov_b32_e32 v5, 0
	ds_read_b64 v[5:6], v5 offset:248
	s_waitcnt lgkmcnt(0)
	v_mul_f32_e32 v7, v2, v6
	v_mul_f32_e32 v6, v8, v6
	v_fma_f32 v7, v8, v5, -v7
	v_fmac_f32_e32 v6, v2, v5
	buffer_store_dword v7, off, s[0:3], 0 offset:248
	buffer_store_dword v6, off, s[0:3], 0 offset:252
.LBB55_139:
	s_or_b32 exec_lo, exec_lo, s4
	s_waitcnt_vscnt null, 0x0
	s_barrier
	buffer_gl0_inv
	s_clause 0x1
	buffer_load_dword v5, off, s[0:3], 0 offset:256
	buffer_load_dword v6, off, s[0:3], 0 offset:260
	s_mov_b32 s4, exec_lo
	s_waitcnt vmcnt(0)
	ds_write_b64 v4, v[5:6]
	s_waitcnt lgkmcnt(0)
	s_barrier
	buffer_gl0_inv
	v_cmpx_gt_u32_e32 32, v0
	s_cbranch_execz .LBB55_143
; %bb.140:
	v_add_nc_u32_e32 v5, -1, v0
	v_add_nc_u32_e32 v6, 0x1c0, v3
	v_mov_b32_e32 v7, v3
	v_mov_b32_e32 v2, 0
	;; [unrolled: 1-line block ×3, first 2 shown]
	s_mov_b32 s5, 0
	.p2align	6
.LBB55_141:                             ; =>This Inner Loop Header: Depth=1
	s_clause 0x1
	buffer_load_dword v11, v7, s[0:3], 0 offen offset:4
	buffer_load_dword v12, v7, s[0:3], 0 offen
	ds_read_b64 v[9:10], v6
	v_add_nc_u32_e32 v5, 1, v5
	v_add_nc_u32_e32 v6, 8, v6
	v_add_nc_u32_e32 v7, 8, v7
	v_cmp_lt_u32_e32 vcc_lo, 30, v5
	s_or_b32 s5, vcc_lo, s5
	s_waitcnt vmcnt(1) lgkmcnt(0)
	v_mul_f32_e32 v125, v10, v11
	v_mul_f32_e32 v11, v9, v11
	s_waitcnt vmcnt(0)
	v_fma_f32 v9, v9, v12, -v125
	v_fmac_f32_e32 v11, v10, v12
	v_add_f32_e32 v8, v8, v9
	v_add_f32_e32 v2, v2, v11
	s_andn2_b32 exec_lo, exec_lo, s5
	s_cbranch_execnz .LBB55_141
; %bb.142:
	s_or_b32 exec_lo, exec_lo, s5
	v_mov_b32_e32 v5, 0
	ds_read_b64 v[5:6], v5 offset:256
	s_waitcnt lgkmcnt(0)
	v_mul_f32_e32 v7, v2, v6
	v_mul_f32_e32 v6, v8, v6
	v_fma_f32 v7, v8, v5, -v7
	v_fmac_f32_e32 v6, v2, v5
	buffer_store_dword v7, off, s[0:3], 0 offset:256
	buffer_store_dword v6, off, s[0:3], 0 offset:260
.LBB55_143:
	s_or_b32 exec_lo, exec_lo, s4
	s_waitcnt_vscnt null, 0x0
	s_barrier
	buffer_gl0_inv
	s_clause 0x1
	buffer_load_dword v5, off, s[0:3], 0 offset:264
	buffer_load_dword v6, off, s[0:3], 0 offset:268
	s_mov_b32 s4, exec_lo
	s_waitcnt vmcnt(0)
	ds_write_b64 v4, v[5:6]
	s_waitcnt lgkmcnt(0)
	s_barrier
	buffer_gl0_inv
	v_cmpx_gt_u32_e32 33, v0
	s_cbranch_execz .LBB55_147
; %bb.144:
	v_add_nc_u32_e32 v5, -1, v0
	v_add_nc_u32_e32 v6, 0x1c0, v3
	v_mov_b32_e32 v7, v3
	v_mov_b32_e32 v2, 0
	;; [unrolled: 1-line block ×3, first 2 shown]
	s_mov_b32 s5, 0
	.p2align	6
.LBB55_145:                             ; =>This Inner Loop Header: Depth=1
	s_clause 0x1
	buffer_load_dword v11, v7, s[0:3], 0 offen offset:4
	buffer_load_dword v12, v7, s[0:3], 0 offen
	ds_read_b64 v[9:10], v6
	v_add_nc_u32_e32 v5, 1, v5
	v_add_nc_u32_e32 v6, 8, v6
	;; [unrolled: 1-line block ×3, first 2 shown]
	v_cmp_lt_u32_e32 vcc_lo, 31, v5
	s_or_b32 s5, vcc_lo, s5
	s_waitcnt vmcnt(1) lgkmcnt(0)
	v_mul_f32_e32 v125, v10, v11
	v_mul_f32_e32 v11, v9, v11
	s_waitcnt vmcnt(0)
	v_fma_f32 v9, v9, v12, -v125
	v_fmac_f32_e32 v11, v10, v12
	v_add_f32_e32 v8, v8, v9
	v_add_f32_e32 v2, v2, v11
	s_andn2_b32 exec_lo, exec_lo, s5
	s_cbranch_execnz .LBB55_145
; %bb.146:
	s_or_b32 exec_lo, exec_lo, s5
	v_mov_b32_e32 v5, 0
	ds_read_b64 v[5:6], v5 offset:264
	s_waitcnt lgkmcnt(0)
	v_mul_f32_e32 v7, v2, v6
	v_mul_f32_e32 v6, v8, v6
	v_fma_f32 v7, v8, v5, -v7
	v_fmac_f32_e32 v6, v2, v5
	buffer_store_dword v7, off, s[0:3], 0 offset:264
	buffer_store_dword v6, off, s[0:3], 0 offset:268
.LBB55_147:
	s_or_b32 exec_lo, exec_lo, s4
	s_waitcnt_vscnt null, 0x0
	s_barrier
	buffer_gl0_inv
	s_clause 0x1
	buffer_load_dword v5, off, s[0:3], 0 offset:272
	buffer_load_dword v6, off, s[0:3], 0 offset:276
	s_mov_b32 s4, exec_lo
	s_waitcnt vmcnt(0)
	ds_write_b64 v4, v[5:6]
	s_waitcnt lgkmcnt(0)
	s_barrier
	buffer_gl0_inv
	v_cmpx_gt_u32_e32 34, v0
	s_cbranch_execz .LBB55_151
; %bb.148:
	v_add_nc_u32_e32 v5, -1, v0
	v_add_nc_u32_e32 v6, 0x1c0, v3
	v_mov_b32_e32 v7, v3
	v_mov_b32_e32 v2, 0
	v_mov_b32_e32 v8, 0
	s_mov_b32 s5, 0
	.p2align	6
.LBB55_149:                             ; =>This Inner Loop Header: Depth=1
	s_clause 0x1
	buffer_load_dword v11, v7, s[0:3], 0 offen offset:4
	buffer_load_dword v12, v7, s[0:3], 0 offen
	ds_read_b64 v[9:10], v6
	v_add_nc_u32_e32 v5, 1, v5
	v_add_nc_u32_e32 v6, 8, v6
	;; [unrolled: 1-line block ×3, first 2 shown]
	v_cmp_lt_u32_e32 vcc_lo, 32, v5
	s_or_b32 s5, vcc_lo, s5
	s_waitcnt vmcnt(1) lgkmcnt(0)
	v_mul_f32_e32 v125, v10, v11
	v_mul_f32_e32 v11, v9, v11
	s_waitcnt vmcnt(0)
	v_fma_f32 v9, v9, v12, -v125
	v_fmac_f32_e32 v11, v10, v12
	v_add_f32_e32 v8, v8, v9
	v_add_f32_e32 v2, v2, v11
	s_andn2_b32 exec_lo, exec_lo, s5
	s_cbranch_execnz .LBB55_149
; %bb.150:
	s_or_b32 exec_lo, exec_lo, s5
	v_mov_b32_e32 v5, 0
	ds_read_b64 v[5:6], v5 offset:272
	s_waitcnt lgkmcnt(0)
	v_mul_f32_e32 v7, v2, v6
	v_mul_f32_e32 v6, v8, v6
	v_fma_f32 v7, v8, v5, -v7
	v_fmac_f32_e32 v6, v2, v5
	buffer_store_dword v7, off, s[0:3], 0 offset:272
	buffer_store_dword v6, off, s[0:3], 0 offset:276
.LBB55_151:
	s_or_b32 exec_lo, exec_lo, s4
	s_waitcnt_vscnt null, 0x0
	s_barrier
	buffer_gl0_inv
	s_clause 0x1
	buffer_load_dword v5, off, s[0:3], 0 offset:280
	buffer_load_dword v6, off, s[0:3], 0 offset:284
	s_mov_b32 s4, exec_lo
	s_waitcnt vmcnt(0)
	ds_write_b64 v4, v[5:6]
	s_waitcnt lgkmcnt(0)
	s_barrier
	buffer_gl0_inv
	v_cmpx_gt_u32_e32 35, v0
	s_cbranch_execz .LBB55_155
; %bb.152:
	v_add_nc_u32_e32 v5, -1, v0
	v_add_nc_u32_e32 v6, 0x1c0, v3
	v_mov_b32_e32 v7, v3
	v_mov_b32_e32 v2, 0
	;; [unrolled: 1-line block ×3, first 2 shown]
	s_mov_b32 s5, 0
	.p2align	6
.LBB55_153:                             ; =>This Inner Loop Header: Depth=1
	s_clause 0x1
	buffer_load_dword v11, v7, s[0:3], 0 offen offset:4
	buffer_load_dword v12, v7, s[0:3], 0 offen
	ds_read_b64 v[9:10], v6
	v_add_nc_u32_e32 v5, 1, v5
	v_add_nc_u32_e32 v6, 8, v6
	;; [unrolled: 1-line block ×3, first 2 shown]
	v_cmp_lt_u32_e32 vcc_lo, 33, v5
	s_or_b32 s5, vcc_lo, s5
	s_waitcnt vmcnt(1) lgkmcnt(0)
	v_mul_f32_e32 v125, v10, v11
	v_mul_f32_e32 v11, v9, v11
	s_waitcnt vmcnt(0)
	v_fma_f32 v9, v9, v12, -v125
	v_fmac_f32_e32 v11, v10, v12
	v_add_f32_e32 v8, v8, v9
	v_add_f32_e32 v2, v2, v11
	s_andn2_b32 exec_lo, exec_lo, s5
	s_cbranch_execnz .LBB55_153
; %bb.154:
	s_or_b32 exec_lo, exec_lo, s5
	v_mov_b32_e32 v5, 0
	ds_read_b64 v[5:6], v5 offset:280
	s_waitcnt lgkmcnt(0)
	v_mul_f32_e32 v7, v2, v6
	v_mul_f32_e32 v6, v8, v6
	v_fma_f32 v7, v8, v5, -v7
	v_fmac_f32_e32 v6, v2, v5
	buffer_store_dword v7, off, s[0:3], 0 offset:280
	buffer_store_dword v6, off, s[0:3], 0 offset:284
.LBB55_155:
	s_or_b32 exec_lo, exec_lo, s4
	s_waitcnt_vscnt null, 0x0
	s_barrier
	buffer_gl0_inv
	s_clause 0x1
	buffer_load_dword v5, off, s[0:3], 0 offset:288
	buffer_load_dword v6, off, s[0:3], 0 offset:292
	s_mov_b32 s4, exec_lo
	s_waitcnt vmcnt(0)
	ds_write_b64 v4, v[5:6]
	s_waitcnt lgkmcnt(0)
	s_barrier
	buffer_gl0_inv
	v_cmpx_gt_u32_e32 36, v0
	s_cbranch_execz .LBB55_159
; %bb.156:
	v_add_nc_u32_e32 v5, -1, v0
	v_add_nc_u32_e32 v6, 0x1c0, v3
	v_mov_b32_e32 v7, v3
	v_mov_b32_e32 v2, 0
	;; [unrolled: 1-line block ×3, first 2 shown]
	s_mov_b32 s5, 0
	.p2align	6
.LBB55_157:                             ; =>This Inner Loop Header: Depth=1
	s_clause 0x1
	buffer_load_dword v11, v7, s[0:3], 0 offen offset:4
	buffer_load_dword v12, v7, s[0:3], 0 offen
	ds_read_b64 v[9:10], v6
	v_add_nc_u32_e32 v5, 1, v5
	v_add_nc_u32_e32 v6, 8, v6
	;; [unrolled: 1-line block ×3, first 2 shown]
	v_cmp_lt_u32_e32 vcc_lo, 34, v5
	s_or_b32 s5, vcc_lo, s5
	s_waitcnt vmcnt(1) lgkmcnt(0)
	v_mul_f32_e32 v125, v10, v11
	v_mul_f32_e32 v11, v9, v11
	s_waitcnt vmcnt(0)
	v_fma_f32 v9, v9, v12, -v125
	v_fmac_f32_e32 v11, v10, v12
	v_add_f32_e32 v8, v8, v9
	v_add_f32_e32 v2, v2, v11
	s_andn2_b32 exec_lo, exec_lo, s5
	s_cbranch_execnz .LBB55_157
; %bb.158:
	s_or_b32 exec_lo, exec_lo, s5
	v_mov_b32_e32 v5, 0
	ds_read_b64 v[5:6], v5 offset:288
	s_waitcnt lgkmcnt(0)
	v_mul_f32_e32 v7, v2, v6
	v_mul_f32_e32 v6, v8, v6
	v_fma_f32 v7, v8, v5, -v7
	v_fmac_f32_e32 v6, v2, v5
	buffer_store_dword v7, off, s[0:3], 0 offset:288
	buffer_store_dword v6, off, s[0:3], 0 offset:292
.LBB55_159:
	s_or_b32 exec_lo, exec_lo, s4
	s_waitcnt_vscnt null, 0x0
	s_barrier
	buffer_gl0_inv
	s_clause 0x1
	buffer_load_dword v5, off, s[0:3], 0 offset:296
	buffer_load_dword v6, off, s[0:3], 0 offset:300
	s_mov_b32 s4, exec_lo
	s_waitcnt vmcnt(0)
	ds_write_b64 v4, v[5:6]
	s_waitcnt lgkmcnt(0)
	s_barrier
	buffer_gl0_inv
	v_cmpx_gt_u32_e32 37, v0
	s_cbranch_execz .LBB55_163
; %bb.160:
	v_add_nc_u32_e32 v5, -1, v0
	v_add_nc_u32_e32 v6, 0x1c0, v3
	v_mov_b32_e32 v7, v3
	v_mov_b32_e32 v2, 0
	;; [unrolled: 1-line block ×3, first 2 shown]
	s_mov_b32 s5, 0
	.p2align	6
.LBB55_161:                             ; =>This Inner Loop Header: Depth=1
	s_clause 0x1
	buffer_load_dword v11, v7, s[0:3], 0 offen offset:4
	buffer_load_dword v12, v7, s[0:3], 0 offen
	ds_read_b64 v[9:10], v6
	v_add_nc_u32_e32 v5, 1, v5
	v_add_nc_u32_e32 v6, 8, v6
	;; [unrolled: 1-line block ×3, first 2 shown]
	v_cmp_lt_u32_e32 vcc_lo, 35, v5
	s_or_b32 s5, vcc_lo, s5
	s_waitcnt vmcnt(1) lgkmcnt(0)
	v_mul_f32_e32 v125, v10, v11
	v_mul_f32_e32 v11, v9, v11
	s_waitcnt vmcnt(0)
	v_fma_f32 v9, v9, v12, -v125
	v_fmac_f32_e32 v11, v10, v12
	v_add_f32_e32 v8, v8, v9
	v_add_f32_e32 v2, v2, v11
	s_andn2_b32 exec_lo, exec_lo, s5
	s_cbranch_execnz .LBB55_161
; %bb.162:
	s_or_b32 exec_lo, exec_lo, s5
	v_mov_b32_e32 v5, 0
	ds_read_b64 v[5:6], v5 offset:296
	s_waitcnt lgkmcnt(0)
	v_mul_f32_e32 v7, v2, v6
	v_mul_f32_e32 v6, v8, v6
	v_fma_f32 v7, v8, v5, -v7
	v_fmac_f32_e32 v6, v2, v5
	buffer_store_dword v7, off, s[0:3], 0 offset:296
	buffer_store_dword v6, off, s[0:3], 0 offset:300
.LBB55_163:
	s_or_b32 exec_lo, exec_lo, s4
	s_waitcnt_vscnt null, 0x0
	s_barrier
	buffer_gl0_inv
	s_clause 0x1
	buffer_load_dword v5, off, s[0:3], 0 offset:304
	buffer_load_dword v6, off, s[0:3], 0 offset:308
	s_mov_b32 s4, exec_lo
	s_waitcnt vmcnt(0)
	ds_write_b64 v4, v[5:6]
	s_waitcnt lgkmcnt(0)
	s_barrier
	buffer_gl0_inv
	v_cmpx_gt_u32_e32 38, v0
	s_cbranch_execz .LBB55_167
; %bb.164:
	v_add_nc_u32_e32 v5, -1, v0
	v_add_nc_u32_e32 v6, 0x1c0, v3
	v_mov_b32_e32 v7, v3
	v_mov_b32_e32 v2, 0
	;; [unrolled: 1-line block ×3, first 2 shown]
	s_mov_b32 s5, 0
	.p2align	6
.LBB55_165:                             ; =>This Inner Loop Header: Depth=1
	s_clause 0x1
	buffer_load_dword v11, v7, s[0:3], 0 offen offset:4
	buffer_load_dword v12, v7, s[0:3], 0 offen
	ds_read_b64 v[9:10], v6
	v_add_nc_u32_e32 v5, 1, v5
	v_add_nc_u32_e32 v6, 8, v6
	v_add_nc_u32_e32 v7, 8, v7
	v_cmp_lt_u32_e32 vcc_lo, 36, v5
	s_or_b32 s5, vcc_lo, s5
	s_waitcnt vmcnt(1) lgkmcnt(0)
	v_mul_f32_e32 v125, v10, v11
	v_mul_f32_e32 v11, v9, v11
	s_waitcnt vmcnt(0)
	v_fma_f32 v9, v9, v12, -v125
	v_fmac_f32_e32 v11, v10, v12
	v_add_f32_e32 v8, v8, v9
	v_add_f32_e32 v2, v2, v11
	s_andn2_b32 exec_lo, exec_lo, s5
	s_cbranch_execnz .LBB55_165
; %bb.166:
	s_or_b32 exec_lo, exec_lo, s5
	v_mov_b32_e32 v5, 0
	ds_read_b64 v[5:6], v5 offset:304
	s_waitcnt lgkmcnt(0)
	v_mul_f32_e32 v7, v2, v6
	v_mul_f32_e32 v6, v8, v6
	v_fma_f32 v7, v8, v5, -v7
	v_fmac_f32_e32 v6, v2, v5
	buffer_store_dword v7, off, s[0:3], 0 offset:304
	buffer_store_dword v6, off, s[0:3], 0 offset:308
.LBB55_167:
	s_or_b32 exec_lo, exec_lo, s4
	s_waitcnt_vscnt null, 0x0
	s_barrier
	buffer_gl0_inv
	s_clause 0x1
	buffer_load_dword v5, off, s[0:3], 0 offset:312
	buffer_load_dword v6, off, s[0:3], 0 offset:316
	s_mov_b32 s4, exec_lo
	s_waitcnt vmcnt(0)
	ds_write_b64 v4, v[5:6]
	s_waitcnt lgkmcnt(0)
	s_barrier
	buffer_gl0_inv
	v_cmpx_gt_u32_e32 39, v0
	s_cbranch_execz .LBB55_171
; %bb.168:
	v_add_nc_u32_e32 v5, -1, v0
	v_add_nc_u32_e32 v6, 0x1c0, v3
	v_mov_b32_e32 v7, v3
	v_mov_b32_e32 v2, 0
	;; [unrolled: 1-line block ×3, first 2 shown]
	s_mov_b32 s5, 0
	.p2align	6
.LBB55_169:                             ; =>This Inner Loop Header: Depth=1
	s_clause 0x1
	buffer_load_dword v11, v7, s[0:3], 0 offen offset:4
	buffer_load_dword v12, v7, s[0:3], 0 offen
	ds_read_b64 v[9:10], v6
	v_add_nc_u32_e32 v5, 1, v5
	v_add_nc_u32_e32 v6, 8, v6
	;; [unrolled: 1-line block ×3, first 2 shown]
	v_cmp_lt_u32_e32 vcc_lo, 37, v5
	s_or_b32 s5, vcc_lo, s5
	s_waitcnt vmcnt(1) lgkmcnt(0)
	v_mul_f32_e32 v125, v10, v11
	v_mul_f32_e32 v11, v9, v11
	s_waitcnt vmcnt(0)
	v_fma_f32 v9, v9, v12, -v125
	v_fmac_f32_e32 v11, v10, v12
	v_add_f32_e32 v8, v8, v9
	v_add_f32_e32 v2, v2, v11
	s_andn2_b32 exec_lo, exec_lo, s5
	s_cbranch_execnz .LBB55_169
; %bb.170:
	s_or_b32 exec_lo, exec_lo, s5
	v_mov_b32_e32 v5, 0
	ds_read_b64 v[5:6], v5 offset:312
	s_waitcnt lgkmcnt(0)
	v_mul_f32_e32 v7, v2, v6
	v_mul_f32_e32 v6, v8, v6
	v_fma_f32 v7, v8, v5, -v7
	v_fmac_f32_e32 v6, v2, v5
	buffer_store_dword v7, off, s[0:3], 0 offset:312
	buffer_store_dword v6, off, s[0:3], 0 offset:316
.LBB55_171:
	s_or_b32 exec_lo, exec_lo, s4
	s_waitcnt_vscnt null, 0x0
	s_barrier
	buffer_gl0_inv
	s_clause 0x1
	buffer_load_dword v5, off, s[0:3], 0 offset:320
	buffer_load_dword v6, off, s[0:3], 0 offset:324
	s_mov_b32 s4, exec_lo
	s_waitcnt vmcnt(0)
	ds_write_b64 v4, v[5:6]
	s_waitcnt lgkmcnt(0)
	s_barrier
	buffer_gl0_inv
	v_cmpx_gt_u32_e32 40, v0
	s_cbranch_execz .LBB55_175
; %bb.172:
	v_add_nc_u32_e32 v5, -1, v0
	v_add_nc_u32_e32 v6, 0x1c0, v3
	v_mov_b32_e32 v7, v3
	v_mov_b32_e32 v2, 0
	;; [unrolled: 1-line block ×3, first 2 shown]
	s_mov_b32 s5, 0
	.p2align	6
.LBB55_173:                             ; =>This Inner Loop Header: Depth=1
	s_clause 0x1
	buffer_load_dword v11, v7, s[0:3], 0 offen offset:4
	buffer_load_dword v12, v7, s[0:3], 0 offen
	ds_read_b64 v[9:10], v6
	v_add_nc_u32_e32 v5, 1, v5
	v_add_nc_u32_e32 v6, 8, v6
	;; [unrolled: 1-line block ×3, first 2 shown]
	v_cmp_lt_u32_e32 vcc_lo, 38, v5
	s_or_b32 s5, vcc_lo, s5
	s_waitcnt vmcnt(1) lgkmcnt(0)
	v_mul_f32_e32 v125, v10, v11
	v_mul_f32_e32 v11, v9, v11
	s_waitcnt vmcnt(0)
	v_fma_f32 v9, v9, v12, -v125
	v_fmac_f32_e32 v11, v10, v12
	v_add_f32_e32 v8, v8, v9
	v_add_f32_e32 v2, v2, v11
	s_andn2_b32 exec_lo, exec_lo, s5
	s_cbranch_execnz .LBB55_173
; %bb.174:
	s_or_b32 exec_lo, exec_lo, s5
	v_mov_b32_e32 v5, 0
	ds_read_b64 v[5:6], v5 offset:320
	s_waitcnt lgkmcnt(0)
	v_mul_f32_e32 v7, v2, v6
	v_mul_f32_e32 v6, v8, v6
	v_fma_f32 v7, v8, v5, -v7
	v_fmac_f32_e32 v6, v2, v5
	buffer_store_dword v7, off, s[0:3], 0 offset:320
	buffer_store_dword v6, off, s[0:3], 0 offset:324
.LBB55_175:
	s_or_b32 exec_lo, exec_lo, s4
	s_waitcnt_vscnt null, 0x0
	s_barrier
	buffer_gl0_inv
	s_clause 0x1
	buffer_load_dword v5, off, s[0:3], 0 offset:328
	buffer_load_dword v6, off, s[0:3], 0 offset:332
	s_mov_b32 s4, exec_lo
	s_waitcnt vmcnt(0)
	ds_write_b64 v4, v[5:6]
	s_waitcnt lgkmcnt(0)
	s_barrier
	buffer_gl0_inv
	v_cmpx_gt_u32_e32 41, v0
	s_cbranch_execz .LBB55_179
; %bb.176:
	v_add_nc_u32_e32 v5, -1, v0
	v_add_nc_u32_e32 v6, 0x1c0, v3
	v_mov_b32_e32 v7, v3
	v_mov_b32_e32 v2, 0
	;; [unrolled: 1-line block ×3, first 2 shown]
	s_mov_b32 s5, 0
	.p2align	6
.LBB55_177:                             ; =>This Inner Loop Header: Depth=1
	s_clause 0x1
	buffer_load_dword v11, v7, s[0:3], 0 offen offset:4
	buffer_load_dword v12, v7, s[0:3], 0 offen
	ds_read_b64 v[9:10], v6
	v_add_nc_u32_e32 v5, 1, v5
	v_add_nc_u32_e32 v6, 8, v6
	v_add_nc_u32_e32 v7, 8, v7
	v_cmp_lt_u32_e32 vcc_lo, 39, v5
	s_or_b32 s5, vcc_lo, s5
	s_waitcnt vmcnt(1) lgkmcnt(0)
	v_mul_f32_e32 v125, v10, v11
	v_mul_f32_e32 v11, v9, v11
	s_waitcnt vmcnt(0)
	v_fma_f32 v9, v9, v12, -v125
	v_fmac_f32_e32 v11, v10, v12
	v_add_f32_e32 v8, v8, v9
	v_add_f32_e32 v2, v2, v11
	s_andn2_b32 exec_lo, exec_lo, s5
	s_cbranch_execnz .LBB55_177
; %bb.178:
	s_or_b32 exec_lo, exec_lo, s5
	v_mov_b32_e32 v5, 0
	ds_read_b64 v[5:6], v5 offset:328
	s_waitcnt lgkmcnt(0)
	v_mul_f32_e32 v7, v2, v6
	v_mul_f32_e32 v6, v8, v6
	v_fma_f32 v7, v8, v5, -v7
	v_fmac_f32_e32 v6, v2, v5
	buffer_store_dword v7, off, s[0:3], 0 offset:328
	buffer_store_dword v6, off, s[0:3], 0 offset:332
.LBB55_179:
	s_or_b32 exec_lo, exec_lo, s4
	s_waitcnt_vscnt null, 0x0
	s_barrier
	buffer_gl0_inv
	s_clause 0x1
	buffer_load_dword v5, off, s[0:3], 0 offset:336
	buffer_load_dword v6, off, s[0:3], 0 offset:340
	s_mov_b32 s4, exec_lo
	s_waitcnt vmcnt(0)
	ds_write_b64 v4, v[5:6]
	s_waitcnt lgkmcnt(0)
	s_barrier
	buffer_gl0_inv
	v_cmpx_gt_u32_e32 42, v0
	s_cbranch_execz .LBB55_183
; %bb.180:
	v_add_nc_u32_e32 v5, -1, v0
	v_add_nc_u32_e32 v6, 0x1c0, v3
	v_mov_b32_e32 v7, v3
	v_mov_b32_e32 v2, 0
	;; [unrolled: 1-line block ×3, first 2 shown]
	s_mov_b32 s5, 0
	.p2align	6
.LBB55_181:                             ; =>This Inner Loop Header: Depth=1
	s_clause 0x1
	buffer_load_dword v11, v7, s[0:3], 0 offen offset:4
	buffer_load_dword v12, v7, s[0:3], 0 offen
	ds_read_b64 v[9:10], v6
	v_add_nc_u32_e32 v5, 1, v5
	v_add_nc_u32_e32 v6, 8, v6
	;; [unrolled: 1-line block ×3, first 2 shown]
	v_cmp_lt_u32_e32 vcc_lo, 40, v5
	s_or_b32 s5, vcc_lo, s5
	s_waitcnt vmcnt(1) lgkmcnt(0)
	v_mul_f32_e32 v125, v10, v11
	v_mul_f32_e32 v11, v9, v11
	s_waitcnt vmcnt(0)
	v_fma_f32 v9, v9, v12, -v125
	v_fmac_f32_e32 v11, v10, v12
	v_add_f32_e32 v8, v8, v9
	v_add_f32_e32 v2, v2, v11
	s_andn2_b32 exec_lo, exec_lo, s5
	s_cbranch_execnz .LBB55_181
; %bb.182:
	s_or_b32 exec_lo, exec_lo, s5
	v_mov_b32_e32 v5, 0
	ds_read_b64 v[5:6], v5 offset:336
	s_waitcnt lgkmcnt(0)
	v_mul_f32_e32 v7, v2, v6
	v_mul_f32_e32 v6, v8, v6
	v_fma_f32 v7, v8, v5, -v7
	v_fmac_f32_e32 v6, v2, v5
	buffer_store_dword v7, off, s[0:3], 0 offset:336
	buffer_store_dword v6, off, s[0:3], 0 offset:340
.LBB55_183:
	s_or_b32 exec_lo, exec_lo, s4
	s_waitcnt_vscnt null, 0x0
	s_barrier
	buffer_gl0_inv
	s_clause 0x1
	buffer_load_dword v5, off, s[0:3], 0 offset:344
	buffer_load_dword v6, off, s[0:3], 0 offset:348
	s_mov_b32 s4, exec_lo
	s_waitcnt vmcnt(0)
	ds_write_b64 v4, v[5:6]
	s_waitcnt lgkmcnt(0)
	s_barrier
	buffer_gl0_inv
	v_cmpx_gt_u32_e32 43, v0
	s_cbranch_execz .LBB55_187
; %bb.184:
	v_add_nc_u32_e32 v5, -1, v0
	v_add_nc_u32_e32 v6, 0x1c0, v3
	v_mov_b32_e32 v7, v3
	v_mov_b32_e32 v2, 0
	;; [unrolled: 1-line block ×3, first 2 shown]
	s_mov_b32 s5, 0
	.p2align	6
.LBB55_185:                             ; =>This Inner Loop Header: Depth=1
	s_clause 0x1
	buffer_load_dword v11, v7, s[0:3], 0 offen offset:4
	buffer_load_dword v12, v7, s[0:3], 0 offen
	ds_read_b64 v[9:10], v6
	v_add_nc_u32_e32 v5, 1, v5
	v_add_nc_u32_e32 v6, 8, v6
	;; [unrolled: 1-line block ×3, first 2 shown]
	v_cmp_lt_u32_e32 vcc_lo, 41, v5
	s_or_b32 s5, vcc_lo, s5
	s_waitcnt vmcnt(1) lgkmcnt(0)
	v_mul_f32_e32 v125, v10, v11
	v_mul_f32_e32 v11, v9, v11
	s_waitcnt vmcnt(0)
	v_fma_f32 v9, v9, v12, -v125
	v_fmac_f32_e32 v11, v10, v12
	v_add_f32_e32 v8, v8, v9
	v_add_f32_e32 v2, v2, v11
	s_andn2_b32 exec_lo, exec_lo, s5
	s_cbranch_execnz .LBB55_185
; %bb.186:
	s_or_b32 exec_lo, exec_lo, s5
	v_mov_b32_e32 v5, 0
	ds_read_b64 v[5:6], v5 offset:344
	s_waitcnt lgkmcnt(0)
	v_mul_f32_e32 v7, v2, v6
	v_mul_f32_e32 v6, v8, v6
	v_fma_f32 v7, v8, v5, -v7
	v_fmac_f32_e32 v6, v2, v5
	buffer_store_dword v7, off, s[0:3], 0 offset:344
	buffer_store_dword v6, off, s[0:3], 0 offset:348
.LBB55_187:
	s_or_b32 exec_lo, exec_lo, s4
	s_waitcnt_vscnt null, 0x0
	s_barrier
	buffer_gl0_inv
	s_clause 0x1
	buffer_load_dword v5, off, s[0:3], 0 offset:352
	buffer_load_dword v6, off, s[0:3], 0 offset:356
	s_mov_b32 s4, exec_lo
	s_waitcnt vmcnt(0)
	ds_write_b64 v4, v[5:6]
	s_waitcnt lgkmcnt(0)
	s_barrier
	buffer_gl0_inv
	v_cmpx_gt_u32_e32 44, v0
	s_cbranch_execz .LBB55_191
; %bb.188:
	v_add_nc_u32_e32 v5, -1, v0
	v_add_nc_u32_e32 v6, 0x1c0, v3
	v_mov_b32_e32 v7, v3
	v_mov_b32_e32 v2, 0
	;; [unrolled: 1-line block ×3, first 2 shown]
	s_mov_b32 s5, 0
	.p2align	6
.LBB55_189:                             ; =>This Inner Loop Header: Depth=1
	s_clause 0x1
	buffer_load_dword v11, v7, s[0:3], 0 offen offset:4
	buffer_load_dword v12, v7, s[0:3], 0 offen
	ds_read_b64 v[9:10], v6
	v_add_nc_u32_e32 v5, 1, v5
	v_add_nc_u32_e32 v6, 8, v6
	;; [unrolled: 1-line block ×3, first 2 shown]
	v_cmp_lt_u32_e32 vcc_lo, 42, v5
	s_or_b32 s5, vcc_lo, s5
	s_waitcnt vmcnt(1) lgkmcnt(0)
	v_mul_f32_e32 v125, v10, v11
	v_mul_f32_e32 v11, v9, v11
	s_waitcnt vmcnt(0)
	v_fma_f32 v9, v9, v12, -v125
	v_fmac_f32_e32 v11, v10, v12
	v_add_f32_e32 v8, v8, v9
	v_add_f32_e32 v2, v2, v11
	s_andn2_b32 exec_lo, exec_lo, s5
	s_cbranch_execnz .LBB55_189
; %bb.190:
	s_or_b32 exec_lo, exec_lo, s5
	v_mov_b32_e32 v5, 0
	ds_read_b64 v[5:6], v5 offset:352
	s_waitcnt lgkmcnt(0)
	v_mul_f32_e32 v7, v2, v6
	v_mul_f32_e32 v6, v8, v6
	v_fma_f32 v7, v8, v5, -v7
	v_fmac_f32_e32 v6, v2, v5
	buffer_store_dword v7, off, s[0:3], 0 offset:352
	buffer_store_dword v6, off, s[0:3], 0 offset:356
.LBB55_191:
	s_or_b32 exec_lo, exec_lo, s4
	s_waitcnt_vscnt null, 0x0
	s_barrier
	buffer_gl0_inv
	s_clause 0x1
	buffer_load_dword v5, off, s[0:3], 0 offset:360
	buffer_load_dword v6, off, s[0:3], 0 offset:364
	s_mov_b32 s4, exec_lo
	s_waitcnt vmcnt(0)
	ds_write_b64 v4, v[5:6]
	s_waitcnt lgkmcnt(0)
	s_barrier
	buffer_gl0_inv
	v_cmpx_gt_u32_e32 45, v0
	s_cbranch_execz .LBB55_195
; %bb.192:
	v_add_nc_u32_e32 v5, -1, v0
	v_add_nc_u32_e32 v6, 0x1c0, v3
	v_mov_b32_e32 v7, v3
	v_mov_b32_e32 v2, 0
	;; [unrolled: 1-line block ×3, first 2 shown]
	s_mov_b32 s5, 0
	.p2align	6
.LBB55_193:                             ; =>This Inner Loop Header: Depth=1
	s_clause 0x1
	buffer_load_dword v11, v7, s[0:3], 0 offen offset:4
	buffer_load_dword v12, v7, s[0:3], 0 offen
	ds_read_b64 v[9:10], v6
	v_add_nc_u32_e32 v5, 1, v5
	v_add_nc_u32_e32 v6, 8, v6
	;; [unrolled: 1-line block ×3, first 2 shown]
	v_cmp_lt_u32_e32 vcc_lo, 43, v5
	s_or_b32 s5, vcc_lo, s5
	s_waitcnt vmcnt(1) lgkmcnt(0)
	v_mul_f32_e32 v125, v10, v11
	v_mul_f32_e32 v11, v9, v11
	s_waitcnt vmcnt(0)
	v_fma_f32 v9, v9, v12, -v125
	v_fmac_f32_e32 v11, v10, v12
	v_add_f32_e32 v8, v8, v9
	v_add_f32_e32 v2, v2, v11
	s_andn2_b32 exec_lo, exec_lo, s5
	s_cbranch_execnz .LBB55_193
; %bb.194:
	s_or_b32 exec_lo, exec_lo, s5
	v_mov_b32_e32 v5, 0
	ds_read_b64 v[5:6], v5 offset:360
	s_waitcnt lgkmcnt(0)
	v_mul_f32_e32 v7, v2, v6
	v_mul_f32_e32 v6, v8, v6
	v_fma_f32 v7, v8, v5, -v7
	v_fmac_f32_e32 v6, v2, v5
	buffer_store_dword v7, off, s[0:3], 0 offset:360
	buffer_store_dword v6, off, s[0:3], 0 offset:364
.LBB55_195:
	s_or_b32 exec_lo, exec_lo, s4
	s_waitcnt_vscnt null, 0x0
	s_barrier
	buffer_gl0_inv
	s_clause 0x1
	buffer_load_dword v5, off, s[0:3], 0 offset:368
	buffer_load_dword v6, off, s[0:3], 0 offset:372
	s_mov_b32 s4, exec_lo
	s_waitcnt vmcnt(0)
	ds_write_b64 v4, v[5:6]
	s_waitcnt lgkmcnt(0)
	s_barrier
	buffer_gl0_inv
	v_cmpx_gt_u32_e32 46, v0
	s_cbranch_execz .LBB55_199
; %bb.196:
	v_add_nc_u32_e32 v5, -1, v0
	v_add_nc_u32_e32 v6, 0x1c0, v3
	v_mov_b32_e32 v7, v3
	v_mov_b32_e32 v2, 0
	;; [unrolled: 1-line block ×3, first 2 shown]
	s_mov_b32 s5, 0
	.p2align	6
.LBB55_197:                             ; =>This Inner Loop Header: Depth=1
	s_clause 0x1
	buffer_load_dword v11, v7, s[0:3], 0 offen offset:4
	buffer_load_dword v12, v7, s[0:3], 0 offen
	ds_read_b64 v[9:10], v6
	v_add_nc_u32_e32 v5, 1, v5
	v_add_nc_u32_e32 v6, 8, v6
	;; [unrolled: 1-line block ×3, first 2 shown]
	v_cmp_lt_u32_e32 vcc_lo, 44, v5
	s_or_b32 s5, vcc_lo, s5
	s_waitcnt vmcnt(1) lgkmcnt(0)
	v_mul_f32_e32 v125, v10, v11
	v_mul_f32_e32 v11, v9, v11
	s_waitcnt vmcnt(0)
	v_fma_f32 v9, v9, v12, -v125
	v_fmac_f32_e32 v11, v10, v12
	v_add_f32_e32 v8, v8, v9
	v_add_f32_e32 v2, v2, v11
	s_andn2_b32 exec_lo, exec_lo, s5
	s_cbranch_execnz .LBB55_197
; %bb.198:
	s_or_b32 exec_lo, exec_lo, s5
	v_mov_b32_e32 v5, 0
	ds_read_b64 v[5:6], v5 offset:368
	s_waitcnt lgkmcnt(0)
	v_mul_f32_e32 v7, v2, v6
	v_mul_f32_e32 v6, v8, v6
	v_fma_f32 v7, v8, v5, -v7
	v_fmac_f32_e32 v6, v2, v5
	buffer_store_dword v7, off, s[0:3], 0 offset:368
	buffer_store_dword v6, off, s[0:3], 0 offset:372
.LBB55_199:
	s_or_b32 exec_lo, exec_lo, s4
	s_waitcnt_vscnt null, 0x0
	s_barrier
	buffer_gl0_inv
	s_clause 0x1
	buffer_load_dword v5, off, s[0:3], 0 offset:376
	buffer_load_dword v6, off, s[0:3], 0 offset:380
	s_mov_b32 s4, exec_lo
	s_waitcnt vmcnt(0)
	ds_write_b64 v4, v[5:6]
	s_waitcnt lgkmcnt(0)
	s_barrier
	buffer_gl0_inv
	v_cmpx_gt_u32_e32 47, v0
	s_cbranch_execz .LBB55_203
; %bb.200:
	v_add_nc_u32_e32 v5, -1, v0
	v_add_nc_u32_e32 v6, 0x1c0, v3
	v_mov_b32_e32 v7, v3
	v_mov_b32_e32 v2, 0
	;; [unrolled: 1-line block ×3, first 2 shown]
	s_mov_b32 s5, 0
	.p2align	6
.LBB55_201:                             ; =>This Inner Loop Header: Depth=1
	s_clause 0x1
	buffer_load_dword v11, v7, s[0:3], 0 offen offset:4
	buffer_load_dword v12, v7, s[0:3], 0 offen
	ds_read_b64 v[9:10], v6
	v_add_nc_u32_e32 v5, 1, v5
	v_add_nc_u32_e32 v6, 8, v6
	;; [unrolled: 1-line block ×3, first 2 shown]
	v_cmp_lt_u32_e32 vcc_lo, 45, v5
	s_or_b32 s5, vcc_lo, s5
	s_waitcnt vmcnt(1) lgkmcnt(0)
	v_mul_f32_e32 v125, v10, v11
	v_mul_f32_e32 v11, v9, v11
	s_waitcnt vmcnt(0)
	v_fma_f32 v9, v9, v12, -v125
	v_fmac_f32_e32 v11, v10, v12
	v_add_f32_e32 v8, v8, v9
	v_add_f32_e32 v2, v2, v11
	s_andn2_b32 exec_lo, exec_lo, s5
	s_cbranch_execnz .LBB55_201
; %bb.202:
	s_or_b32 exec_lo, exec_lo, s5
	v_mov_b32_e32 v5, 0
	ds_read_b64 v[5:6], v5 offset:376
	s_waitcnt lgkmcnt(0)
	v_mul_f32_e32 v7, v2, v6
	v_mul_f32_e32 v6, v8, v6
	v_fma_f32 v7, v8, v5, -v7
	v_fmac_f32_e32 v6, v2, v5
	buffer_store_dword v7, off, s[0:3], 0 offset:376
	buffer_store_dword v6, off, s[0:3], 0 offset:380
.LBB55_203:
	s_or_b32 exec_lo, exec_lo, s4
	s_waitcnt_vscnt null, 0x0
	s_barrier
	buffer_gl0_inv
	s_clause 0x1
	buffer_load_dword v5, off, s[0:3], 0 offset:384
	buffer_load_dword v6, off, s[0:3], 0 offset:388
	s_mov_b32 s4, exec_lo
	s_waitcnt vmcnt(0)
	ds_write_b64 v4, v[5:6]
	s_waitcnt lgkmcnt(0)
	s_barrier
	buffer_gl0_inv
	v_cmpx_gt_u32_e32 48, v0
	s_cbranch_execz .LBB55_207
; %bb.204:
	v_add_nc_u32_e32 v5, -1, v0
	v_add_nc_u32_e32 v6, 0x1c0, v3
	v_mov_b32_e32 v7, v3
	v_mov_b32_e32 v2, 0
	;; [unrolled: 1-line block ×3, first 2 shown]
	s_mov_b32 s5, 0
	.p2align	6
.LBB55_205:                             ; =>This Inner Loop Header: Depth=1
	s_clause 0x1
	buffer_load_dword v11, v7, s[0:3], 0 offen offset:4
	buffer_load_dword v12, v7, s[0:3], 0 offen
	ds_read_b64 v[9:10], v6
	v_add_nc_u32_e32 v5, 1, v5
	v_add_nc_u32_e32 v6, 8, v6
	;; [unrolled: 1-line block ×3, first 2 shown]
	v_cmp_lt_u32_e32 vcc_lo, 46, v5
	s_or_b32 s5, vcc_lo, s5
	s_waitcnt vmcnt(1) lgkmcnt(0)
	v_mul_f32_e32 v125, v10, v11
	v_mul_f32_e32 v11, v9, v11
	s_waitcnt vmcnt(0)
	v_fma_f32 v9, v9, v12, -v125
	v_fmac_f32_e32 v11, v10, v12
	v_add_f32_e32 v8, v8, v9
	v_add_f32_e32 v2, v2, v11
	s_andn2_b32 exec_lo, exec_lo, s5
	s_cbranch_execnz .LBB55_205
; %bb.206:
	s_or_b32 exec_lo, exec_lo, s5
	v_mov_b32_e32 v5, 0
	ds_read_b64 v[5:6], v5 offset:384
	s_waitcnt lgkmcnt(0)
	v_mul_f32_e32 v7, v2, v6
	v_mul_f32_e32 v6, v8, v6
	v_fma_f32 v7, v8, v5, -v7
	v_fmac_f32_e32 v6, v2, v5
	buffer_store_dword v7, off, s[0:3], 0 offset:384
	buffer_store_dword v6, off, s[0:3], 0 offset:388
.LBB55_207:
	s_or_b32 exec_lo, exec_lo, s4
	s_waitcnt_vscnt null, 0x0
	s_barrier
	buffer_gl0_inv
	s_clause 0x1
	buffer_load_dword v5, off, s[0:3], 0 offset:392
	buffer_load_dword v6, off, s[0:3], 0 offset:396
	s_mov_b32 s4, exec_lo
	s_waitcnt vmcnt(0)
	ds_write_b64 v4, v[5:6]
	s_waitcnt lgkmcnt(0)
	s_barrier
	buffer_gl0_inv
	v_cmpx_gt_u32_e32 49, v0
	s_cbranch_execz .LBB55_211
; %bb.208:
	v_add_nc_u32_e32 v5, -1, v0
	v_add_nc_u32_e32 v6, 0x1c0, v3
	v_mov_b32_e32 v7, v3
	v_mov_b32_e32 v2, 0
	;; [unrolled: 1-line block ×3, first 2 shown]
	s_mov_b32 s5, 0
	.p2align	6
.LBB55_209:                             ; =>This Inner Loop Header: Depth=1
	s_clause 0x1
	buffer_load_dword v11, v7, s[0:3], 0 offen offset:4
	buffer_load_dword v12, v7, s[0:3], 0 offen
	ds_read_b64 v[9:10], v6
	v_add_nc_u32_e32 v5, 1, v5
	v_add_nc_u32_e32 v6, 8, v6
	;; [unrolled: 1-line block ×3, first 2 shown]
	v_cmp_lt_u32_e32 vcc_lo, 47, v5
	s_or_b32 s5, vcc_lo, s5
	s_waitcnt vmcnt(1) lgkmcnt(0)
	v_mul_f32_e32 v125, v10, v11
	v_mul_f32_e32 v11, v9, v11
	s_waitcnt vmcnt(0)
	v_fma_f32 v9, v9, v12, -v125
	v_fmac_f32_e32 v11, v10, v12
	v_add_f32_e32 v8, v8, v9
	v_add_f32_e32 v2, v2, v11
	s_andn2_b32 exec_lo, exec_lo, s5
	s_cbranch_execnz .LBB55_209
; %bb.210:
	s_or_b32 exec_lo, exec_lo, s5
	v_mov_b32_e32 v5, 0
	ds_read_b64 v[5:6], v5 offset:392
	s_waitcnt lgkmcnt(0)
	v_mul_f32_e32 v7, v2, v6
	v_mul_f32_e32 v6, v8, v6
	v_fma_f32 v7, v8, v5, -v7
	v_fmac_f32_e32 v6, v2, v5
	buffer_store_dword v7, off, s[0:3], 0 offset:392
	buffer_store_dword v6, off, s[0:3], 0 offset:396
.LBB55_211:
	s_or_b32 exec_lo, exec_lo, s4
	s_waitcnt_vscnt null, 0x0
	s_barrier
	buffer_gl0_inv
	s_clause 0x1
	buffer_load_dword v5, off, s[0:3], 0 offset:400
	buffer_load_dword v6, off, s[0:3], 0 offset:404
	s_mov_b32 s4, exec_lo
	s_waitcnt vmcnt(0)
	ds_write_b64 v4, v[5:6]
	s_waitcnt lgkmcnt(0)
	s_barrier
	buffer_gl0_inv
	v_cmpx_gt_u32_e32 50, v0
	s_cbranch_execz .LBB55_215
; %bb.212:
	v_add_nc_u32_e32 v5, -1, v0
	v_add_nc_u32_e32 v6, 0x1c0, v3
	v_mov_b32_e32 v7, v3
	v_mov_b32_e32 v2, 0
	;; [unrolled: 1-line block ×3, first 2 shown]
	s_mov_b32 s5, 0
	.p2align	6
.LBB55_213:                             ; =>This Inner Loop Header: Depth=1
	s_clause 0x1
	buffer_load_dword v11, v7, s[0:3], 0 offen offset:4
	buffer_load_dword v12, v7, s[0:3], 0 offen
	ds_read_b64 v[9:10], v6
	v_add_nc_u32_e32 v5, 1, v5
	v_add_nc_u32_e32 v6, 8, v6
	;; [unrolled: 1-line block ×3, first 2 shown]
	v_cmp_lt_u32_e32 vcc_lo, 48, v5
	s_or_b32 s5, vcc_lo, s5
	s_waitcnt vmcnt(1) lgkmcnt(0)
	v_mul_f32_e32 v125, v10, v11
	v_mul_f32_e32 v11, v9, v11
	s_waitcnt vmcnt(0)
	v_fma_f32 v9, v9, v12, -v125
	v_fmac_f32_e32 v11, v10, v12
	v_add_f32_e32 v8, v8, v9
	v_add_f32_e32 v2, v2, v11
	s_andn2_b32 exec_lo, exec_lo, s5
	s_cbranch_execnz .LBB55_213
; %bb.214:
	s_or_b32 exec_lo, exec_lo, s5
	v_mov_b32_e32 v5, 0
	ds_read_b64 v[5:6], v5 offset:400
	s_waitcnt lgkmcnt(0)
	v_mul_f32_e32 v7, v2, v6
	v_mul_f32_e32 v6, v8, v6
	v_fma_f32 v7, v8, v5, -v7
	v_fmac_f32_e32 v6, v2, v5
	buffer_store_dword v7, off, s[0:3], 0 offset:400
	buffer_store_dword v6, off, s[0:3], 0 offset:404
.LBB55_215:
	s_or_b32 exec_lo, exec_lo, s4
	s_waitcnt_vscnt null, 0x0
	s_barrier
	buffer_gl0_inv
	s_clause 0x1
	buffer_load_dword v5, off, s[0:3], 0 offset:408
	buffer_load_dword v6, off, s[0:3], 0 offset:412
	s_mov_b32 s4, exec_lo
	s_waitcnt vmcnt(0)
	ds_write_b64 v4, v[5:6]
	s_waitcnt lgkmcnt(0)
	s_barrier
	buffer_gl0_inv
	v_cmpx_gt_u32_e32 51, v0
	s_cbranch_execz .LBB55_219
; %bb.216:
	v_add_nc_u32_e32 v5, -1, v0
	v_add_nc_u32_e32 v6, 0x1c0, v3
	v_mov_b32_e32 v7, v3
	v_mov_b32_e32 v2, 0
	;; [unrolled: 1-line block ×3, first 2 shown]
	s_mov_b32 s5, 0
	.p2align	6
.LBB55_217:                             ; =>This Inner Loop Header: Depth=1
	s_clause 0x1
	buffer_load_dword v11, v7, s[0:3], 0 offen offset:4
	buffer_load_dword v12, v7, s[0:3], 0 offen
	ds_read_b64 v[9:10], v6
	v_add_nc_u32_e32 v5, 1, v5
	v_add_nc_u32_e32 v6, 8, v6
	;; [unrolled: 1-line block ×3, first 2 shown]
	v_cmp_lt_u32_e32 vcc_lo, 49, v5
	s_or_b32 s5, vcc_lo, s5
	s_waitcnt vmcnt(1) lgkmcnt(0)
	v_mul_f32_e32 v125, v10, v11
	v_mul_f32_e32 v11, v9, v11
	s_waitcnt vmcnt(0)
	v_fma_f32 v9, v9, v12, -v125
	v_fmac_f32_e32 v11, v10, v12
	v_add_f32_e32 v8, v8, v9
	v_add_f32_e32 v2, v2, v11
	s_andn2_b32 exec_lo, exec_lo, s5
	s_cbranch_execnz .LBB55_217
; %bb.218:
	s_or_b32 exec_lo, exec_lo, s5
	v_mov_b32_e32 v5, 0
	ds_read_b64 v[5:6], v5 offset:408
	s_waitcnt lgkmcnt(0)
	v_mul_f32_e32 v7, v2, v6
	v_mul_f32_e32 v6, v8, v6
	v_fma_f32 v7, v8, v5, -v7
	v_fmac_f32_e32 v6, v2, v5
	buffer_store_dword v7, off, s[0:3], 0 offset:408
	buffer_store_dword v6, off, s[0:3], 0 offset:412
.LBB55_219:
	s_or_b32 exec_lo, exec_lo, s4
	s_waitcnt_vscnt null, 0x0
	s_barrier
	buffer_gl0_inv
	s_clause 0x1
	buffer_load_dword v5, off, s[0:3], 0 offset:416
	buffer_load_dword v6, off, s[0:3], 0 offset:420
	s_mov_b32 s4, exec_lo
	s_waitcnt vmcnt(0)
	ds_write_b64 v4, v[5:6]
	s_waitcnt lgkmcnt(0)
	s_barrier
	buffer_gl0_inv
	v_cmpx_gt_u32_e32 52, v0
	s_cbranch_execz .LBB55_223
; %bb.220:
	v_add_nc_u32_e32 v5, -1, v0
	v_add_nc_u32_e32 v6, 0x1c0, v3
	v_mov_b32_e32 v7, v3
	v_mov_b32_e32 v2, 0
	;; [unrolled: 1-line block ×3, first 2 shown]
	s_mov_b32 s5, 0
	.p2align	6
.LBB55_221:                             ; =>This Inner Loop Header: Depth=1
	s_clause 0x1
	buffer_load_dword v11, v7, s[0:3], 0 offen offset:4
	buffer_load_dword v12, v7, s[0:3], 0 offen
	ds_read_b64 v[9:10], v6
	v_add_nc_u32_e32 v5, 1, v5
	v_add_nc_u32_e32 v6, 8, v6
	v_add_nc_u32_e32 v7, 8, v7
	v_cmp_lt_u32_e32 vcc_lo, 50, v5
	s_or_b32 s5, vcc_lo, s5
	s_waitcnt vmcnt(1) lgkmcnt(0)
	v_mul_f32_e32 v125, v10, v11
	v_mul_f32_e32 v11, v9, v11
	s_waitcnt vmcnt(0)
	v_fma_f32 v9, v9, v12, -v125
	v_fmac_f32_e32 v11, v10, v12
	v_add_f32_e32 v8, v8, v9
	v_add_f32_e32 v2, v2, v11
	s_andn2_b32 exec_lo, exec_lo, s5
	s_cbranch_execnz .LBB55_221
; %bb.222:
	s_or_b32 exec_lo, exec_lo, s5
	v_mov_b32_e32 v5, 0
	ds_read_b64 v[5:6], v5 offset:416
	s_waitcnt lgkmcnt(0)
	v_mul_f32_e32 v7, v2, v6
	v_mul_f32_e32 v6, v8, v6
	v_fma_f32 v7, v8, v5, -v7
	v_fmac_f32_e32 v6, v2, v5
	buffer_store_dword v7, off, s[0:3], 0 offset:416
	buffer_store_dword v6, off, s[0:3], 0 offset:420
.LBB55_223:
	s_or_b32 exec_lo, exec_lo, s4
	s_waitcnt_vscnt null, 0x0
	s_barrier
	buffer_gl0_inv
	s_clause 0x1
	buffer_load_dword v5, off, s[0:3], 0 offset:424
	buffer_load_dword v6, off, s[0:3], 0 offset:428
	s_mov_b32 s4, exec_lo
	s_waitcnt vmcnt(0)
	ds_write_b64 v4, v[5:6]
	s_waitcnt lgkmcnt(0)
	s_barrier
	buffer_gl0_inv
	v_cmpx_gt_u32_e32 53, v0
	s_cbranch_execz .LBB55_227
; %bb.224:
	v_add_nc_u32_e32 v5, -1, v0
	v_add_nc_u32_e32 v6, 0x1c0, v3
	v_mov_b32_e32 v7, v3
	v_mov_b32_e32 v2, 0
	;; [unrolled: 1-line block ×3, first 2 shown]
	s_mov_b32 s5, 0
	.p2align	6
.LBB55_225:                             ; =>This Inner Loop Header: Depth=1
	s_clause 0x1
	buffer_load_dword v11, v7, s[0:3], 0 offen offset:4
	buffer_load_dword v12, v7, s[0:3], 0 offen
	ds_read_b64 v[9:10], v6
	v_add_nc_u32_e32 v5, 1, v5
	v_add_nc_u32_e32 v6, 8, v6
	;; [unrolled: 1-line block ×3, first 2 shown]
	v_cmp_lt_u32_e32 vcc_lo, 51, v5
	s_or_b32 s5, vcc_lo, s5
	s_waitcnt vmcnt(1) lgkmcnt(0)
	v_mul_f32_e32 v125, v10, v11
	v_mul_f32_e32 v11, v9, v11
	s_waitcnt vmcnt(0)
	v_fma_f32 v9, v9, v12, -v125
	v_fmac_f32_e32 v11, v10, v12
	v_add_f32_e32 v8, v8, v9
	v_add_f32_e32 v2, v2, v11
	s_andn2_b32 exec_lo, exec_lo, s5
	s_cbranch_execnz .LBB55_225
; %bb.226:
	s_or_b32 exec_lo, exec_lo, s5
	v_mov_b32_e32 v5, 0
	ds_read_b64 v[5:6], v5 offset:424
	s_waitcnt lgkmcnt(0)
	v_mul_f32_e32 v7, v2, v6
	v_mul_f32_e32 v6, v8, v6
	v_fma_f32 v7, v8, v5, -v7
	v_fmac_f32_e32 v6, v2, v5
	buffer_store_dword v7, off, s[0:3], 0 offset:424
	buffer_store_dword v6, off, s[0:3], 0 offset:428
.LBB55_227:
	s_or_b32 exec_lo, exec_lo, s4
	s_waitcnt_vscnt null, 0x0
	s_barrier
	buffer_gl0_inv
	s_clause 0x1
	buffer_load_dword v5, off, s[0:3], 0 offset:432
	buffer_load_dword v6, off, s[0:3], 0 offset:436
	s_mov_b32 s4, exec_lo
	s_waitcnt vmcnt(0)
	ds_write_b64 v4, v[5:6]
	s_waitcnt lgkmcnt(0)
	s_barrier
	buffer_gl0_inv
	v_cmpx_gt_u32_e32 54, v0
	s_cbranch_execz .LBB55_231
; %bb.228:
	v_add_nc_u32_e32 v5, -1, v0
	v_add_nc_u32_e32 v6, 0x1c0, v3
	v_mov_b32_e32 v7, v3
	v_mov_b32_e32 v2, 0
	;; [unrolled: 1-line block ×3, first 2 shown]
	s_mov_b32 s5, 0
	.p2align	6
.LBB55_229:                             ; =>This Inner Loop Header: Depth=1
	s_clause 0x1
	buffer_load_dword v11, v7, s[0:3], 0 offen offset:4
	buffer_load_dword v12, v7, s[0:3], 0 offen
	ds_read_b64 v[9:10], v6
	v_add_nc_u32_e32 v5, 1, v5
	v_add_nc_u32_e32 v6, 8, v6
	;; [unrolled: 1-line block ×3, first 2 shown]
	v_cmp_lt_u32_e32 vcc_lo, 52, v5
	s_or_b32 s5, vcc_lo, s5
	s_waitcnt vmcnt(1) lgkmcnt(0)
	v_mul_f32_e32 v125, v10, v11
	v_mul_f32_e32 v11, v9, v11
	s_waitcnt vmcnt(0)
	v_fma_f32 v9, v9, v12, -v125
	v_fmac_f32_e32 v11, v10, v12
	v_add_f32_e32 v8, v8, v9
	v_add_f32_e32 v2, v2, v11
	s_andn2_b32 exec_lo, exec_lo, s5
	s_cbranch_execnz .LBB55_229
; %bb.230:
	s_or_b32 exec_lo, exec_lo, s5
	v_mov_b32_e32 v5, 0
	ds_read_b64 v[5:6], v5 offset:432
	s_waitcnt lgkmcnt(0)
	v_mul_f32_e32 v7, v2, v6
	v_mul_f32_e32 v6, v8, v6
	v_fma_f32 v7, v8, v5, -v7
	v_fmac_f32_e32 v6, v2, v5
	buffer_store_dword v7, off, s[0:3], 0 offset:432
	buffer_store_dword v6, off, s[0:3], 0 offset:436
.LBB55_231:
	s_or_b32 exec_lo, exec_lo, s4
	s_waitcnt_vscnt null, 0x0
	s_barrier
	buffer_gl0_inv
	s_clause 0x1
	buffer_load_dword v5, off, s[0:3], 0 offset:440
	buffer_load_dword v6, off, s[0:3], 0 offset:444
	s_mov_b32 s4, exec_lo
	s_waitcnt vmcnt(0)
	ds_write_b64 v4, v[5:6]
	s_waitcnt lgkmcnt(0)
	s_barrier
	buffer_gl0_inv
	v_cmpx_ne_u32_e32 55, v0
	s_cbranch_execz .LBB55_235
; %bb.232:
	v_mov_b32_e32 v2, 0
	v_mov_b32_e32 v5, 0
	s_mov_b32 s5, 0
	.p2align	6
.LBB55_233:                             ; =>This Inner Loop Header: Depth=1
	s_clause 0x1
	buffer_load_dword v8, v3, s[0:3], 0 offen offset:4
	buffer_load_dword v9, v3, s[0:3], 0 offen
	ds_read_b64 v[6:7], v4
	v_add_nc_u32_e32 v1, 1, v1
	v_add_nc_u32_e32 v4, 8, v4
	;; [unrolled: 1-line block ×3, first 2 shown]
	v_cmp_lt_u32_e32 vcc_lo, 53, v1
	s_or_b32 s5, vcc_lo, s5
	s_waitcnt vmcnt(1) lgkmcnt(0)
	v_mul_f32_e32 v10, v7, v8
	v_mul_f32_e32 v8, v6, v8
	s_waitcnt vmcnt(0)
	v_fma_f32 v6, v6, v9, -v10
	v_fmac_f32_e32 v8, v7, v9
	v_add_f32_e32 v5, v5, v6
	v_add_f32_e32 v2, v2, v8
	s_andn2_b32 exec_lo, exec_lo, s5
	s_cbranch_execnz .LBB55_233
; %bb.234:
	s_or_b32 exec_lo, exec_lo, s5
	v_mov_b32_e32 v1, 0
	ds_read_b64 v[3:4], v1 offset:440
	s_waitcnt lgkmcnt(0)
	v_mul_f32_e32 v1, v2, v4
	v_mul_f32_e32 v4, v5, v4
	v_fma_f32 v1, v5, v3, -v1
	v_fmac_f32_e32 v4, v2, v3
	buffer_store_dword v1, off, s[0:3], 0 offset:440
	buffer_store_dword v4, off, s[0:3], 0 offset:444
.LBB55_235:
	s_or_b32 exec_lo, exec_lo, s4
	s_mov_b32 s5, -1
	s_waitcnt_vscnt null, 0x0
	s_barrier
	buffer_gl0_inv
.LBB55_236:
	s_and_b32 vcc_lo, exec_lo, s5
	s_cbranch_vccz .LBB55_238
; %bb.237:
	s_lshl_b64 s[4:5], s[6:7], 2
	v_mov_b32_e32 v1, 0
	s_add_u32 s4, s10, s4
	s_addc_u32 s5, s11, s5
	global_load_dword v1, v1, s[4:5]
	s_waitcnt vmcnt(0)
	v_cmp_ne_u32_e32 vcc_lo, 0, v1
	s_cbranch_vccz .LBB55_239
.LBB55_238:
	s_endpgm
.LBB55_239:
	v_lshl_add_u32 v125, v0, 3, 0x1c0
	s_mov_b32 s4, exec_lo
	v_cmpx_eq_u32_e32 55, v0
	s_cbranch_execz .LBB55_241
; %bb.240:
	s_clause 0x1
	buffer_load_dword v1, off, s[0:3], 0 offset:432
	buffer_load_dword v2, off, s[0:3], 0 offset:436
	v_mov_b32_e32 v3, 0
	buffer_store_dword v3, off, s[0:3], 0 offset:432
	buffer_store_dword v3, off, s[0:3], 0 offset:436
	s_waitcnt vmcnt(0)
	ds_write_b64 v125, v[1:2]
.LBB55_241:
	s_or_b32 exec_lo, exec_lo, s4
	s_waitcnt lgkmcnt(0)
	s_waitcnt_vscnt null, 0x0
	s_barrier
	buffer_gl0_inv
	s_clause 0x3
	buffer_load_dword v4, off, s[0:3], 0 offset:444
	buffer_load_dword v5, off, s[0:3], 0 offset:440
	;; [unrolled: 1-line block ×4, first 2 shown]
	v_mov_b32_e32 v1, 0
	s_mov_b32 s4, exec_lo
	ds_read_b64 v[2:3], v1 offset:888
	s_waitcnt vmcnt(3) lgkmcnt(0)
	v_mul_f32_e32 v8, v3, v4
	v_mul_f32_e32 v4, v2, v4
	s_waitcnt vmcnt(2)
	v_fma_f32 v2, v2, v5, -v8
	v_fmac_f32_e32 v4, v3, v5
	v_add_f32_e32 v2, 0, v2
	v_add_f32_e32 v3, 0, v4
	s_waitcnt vmcnt(1)
	v_sub_f32_e32 v2, v6, v2
	s_waitcnt vmcnt(0)
	v_sub_f32_e32 v3, v7, v3
	buffer_store_dword v2, off, s[0:3], 0 offset:432
	buffer_store_dword v3, off, s[0:3], 0 offset:436
	v_cmpx_lt_u32_e32 53, v0
	s_cbranch_execz .LBB55_243
; %bb.242:
	s_clause 0x1
	buffer_load_dword v2, off, s[0:3], 0 offset:424
	buffer_load_dword v3, off, s[0:3], 0 offset:428
	buffer_store_dword v1, off, s[0:3], 0 offset:424
	buffer_store_dword v1, off, s[0:3], 0 offset:428
	s_waitcnt vmcnt(0)
	ds_write_b64 v125, v[2:3]
.LBB55_243:
	s_or_b32 exec_lo, exec_lo, s4
	s_waitcnt lgkmcnt(0)
	s_waitcnt_vscnt null, 0x0
	s_barrier
	buffer_gl0_inv
	s_clause 0x5
	buffer_load_dword v5, off, s[0:3], 0 offset:436
	buffer_load_dword v6, off, s[0:3], 0 offset:444
	buffer_load_dword v7, off, s[0:3], 0 offset:432
	buffer_load_dword v8, off, s[0:3], 0 offset:440
	buffer_load_dword v9, off, s[0:3], 0 offset:424
	buffer_load_dword v10, off, s[0:3], 0 offset:428
	ds_read_b128 v[1:4], v1 offset:880
	s_mov_b32 s4, exec_lo
	s_waitcnt vmcnt(5) lgkmcnt(0)
	v_mul_f32_e32 v11, v2, v5
	v_mul_f32_e32 v5, v1, v5
	s_waitcnt vmcnt(4)
	v_mul_f32_e32 v12, v3, v6
	v_mul_f32_e32 v6, v4, v6
	s_waitcnt vmcnt(3)
	v_fma_f32 v1, v1, v7, -v11
	v_fmac_f32_e32 v5, v2, v7
	s_waitcnt vmcnt(2)
	v_fmac_f32_e32 v12, v4, v8
	v_fma_f32 v2, v3, v8, -v6
	v_add_f32_e32 v1, 0, v1
	v_add_f32_e32 v3, 0, v5
	;; [unrolled: 1-line block ×4, first 2 shown]
	s_waitcnt vmcnt(1)
	v_sub_f32_e32 v1, v9, v1
	s_waitcnt vmcnt(0)
	v_sub_f32_e32 v2, v10, v2
	buffer_store_dword v1, off, s[0:3], 0 offset:424
	buffer_store_dword v2, off, s[0:3], 0 offset:428
	v_cmpx_lt_u32_e32 52, v0
	s_cbranch_execz .LBB55_245
; %bb.244:
	s_clause 0x1
	buffer_load_dword v1, off, s[0:3], 0 offset:416
	buffer_load_dword v2, off, s[0:3], 0 offset:420
	v_mov_b32_e32 v3, 0
	buffer_store_dword v3, off, s[0:3], 0 offset:416
	buffer_store_dword v3, off, s[0:3], 0 offset:420
	s_waitcnt vmcnt(0)
	ds_write_b64 v125, v[1:2]
.LBB55_245:
	s_or_b32 exec_lo, exec_lo, s4
	s_waitcnt lgkmcnt(0)
	s_waitcnt_vscnt null, 0x0
	s_barrier
	buffer_gl0_inv
	s_clause 0x7
	buffer_load_dword v8, off, s[0:3], 0 offset:428
	buffer_load_dword v9, off, s[0:3], 0 offset:436
	;; [unrolled: 1-line block ×8, first 2 shown]
	v_mov_b32_e32 v1, 0
	ds_read2_b64 v[2:5], v1 offset0:109 offset1:110
	ds_read_b64 v[6:7], v1 offset:888
	s_mov_b32 s4, exec_lo
	s_waitcnt vmcnt(7) lgkmcnt(1)
	v_mul_f32_e32 v129, v3, v8
	v_mul_f32_e32 v8, v2, v8
	s_waitcnt vmcnt(6)
	v_mul_f32_e32 v130, v4, v9
	v_mul_f32_e32 v9, v5, v9
	s_waitcnt vmcnt(5) lgkmcnt(0)
	v_mul_f32_e32 v131, v6, v10
	s_waitcnt vmcnt(4)
	v_fma_f32 v2, v2, v11, -v129
	v_fmac_f32_e32 v8, v3, v11
	v_mul_f32_e32 v3, v7, v10
	s_waitcnt vmcnt(3)
	v_fma_f32 v4, v4, v12, -v9
	v_fmac_f32_e32 v130, v5, v12
	v_add_f32_e32 v2, 0, v2
	v_add_f32_e32 v5, 0, v8
	s_waitcnt vmcnt(2)
	v_fma_f32 v3, v6, v126, -v3
	v_fmac_f32_e32 v131, v7, v126
	v_add_f32_e32 v2, v2, v4
	v_add_f32_e32 v4, v5, v130
	;; [unrolled: 1-line block ×4, first 2 shown]
	s_waitcnt vmcnt(1)
	v_sub_f32_e32 v2, v127, v2
	s_waitcnt vmcnt(0)
	v_sub_f32_e32 v3, v128, v3
	buffer_store_dword v2, off, s[0:3], 0 offset:416
	buffer_store_dword v3, off, s[0:3], 0 offset:420
	v_cmpx_lt_u32_e32 51, v0
	s_cbranch_execz .LBB55_247
; %bb.246:
	s_clause 0x1
	buffer_load_dword v2, off, s[0:3], 0 offset:408
	buffer_load_dword v3, off, s[0:3], 0 offset:412
	buffer_store_dword v1, off, s[0:3], 0 offset:408
	buffer_store_dword v1, off, s[0:3], 0 offset:412
	s_waitcnt vmcnt(0)
	ds_write_b64 v125, v[2:3]
.LBB55_247:
	s_or_b32 exec_lo, exec_lo, s4
	s_waitcnt lgkmcnt(0)
	s_waitcnt_vscnt null, 0x0
	s_barrier
	buffer_gl0_inv
	s_clause 0x9
	buffer_load_dword v10, off, s[0:3], 0 offset:420
	buffer_load_dword v11, off, s[0:3], 0 offset:428
	;; [unrolled: 1-line block ×10, first 2 shown]
	ds_read_b128 v[2:5], v1 offset:864
	ds_read_b128 v[6:9], v1 offset:880
	s_mov_b32 s4, exec_lo
	s_waitcnt vmcnt(9) lgkmcnt(1)
	v_mul_f32_e32 v1, v2, v10
	v_mul_f32_e32 v10, v3, v10
	s_waitcnt vmcnt(8)
	v_mul_f32_e32 v133, v4, v11
	v_mul_f32_e32 v11, v5, v11
	s_waitcnt vmcnt(7) lgkmcnt(0)
	v_mul_f32_e32 v134, v6, v12
	s_waitcnt vmcnt(5)
	v_fmac_f32_e32 v1, v3, v127
	v_fma_f32 v2, v2, v127, -v10
	v_mul_f32_e32 v3, v7, v12
	s_waitcnt vmcnt(4)
	v_fma_f32 v4, v4, v128, -v11
	v_fmac_f32_e32 v133, v5, v128
	v_add_f32_e32 v1, 0, v1
	v_add_f32_e32 v2, 0, v2
	v_mul_f32_e32 v5, v9, v126
	s_waitcnt vmcnt(3)
	v_fma_f32 v3, v6, v129, -v3
	v_mul_f32_e32 v135, v8, v126
	v_fmac_f32_e32 v134, v7, v129
	v_add_f32_e32 v2, v2, v4
	v_add_f32_e32 v1, v1, v133
	s_waitcnt vmcnt(2)
	v_fma_f32 v4, v8, v130, -v5
	v_fmac_f32_e32 v135, v9, v130
	v_add_f32_e32 v2, v2, v3
	v_add_f32_e32 v1, v1, v134
	;; [unrolled: 1-line block ×4, first 2 shown]
	s_waitcnt vmcnt(1)
	v_sub_f32_e32 v2, v131, v2
	s_waitcnt vmcnt(0)
	v_sub_f32_e32 v1, v132, v1
	buffer_store_dword v2, off, s[0:3], 0 offset:408
	buffer_store_dword v1, off, s[0:3], 0 offset:412
	v_cmpx_lt_u32_e32 50, v0
	s_cbranch_execz .LBB55_249
; %bb.248:
	s_clause 0x1
	buffer_load_dword v1, off, s[0:3], 0 offset:400
	buffer_load_dword v2, off, s[0:3], 0 offset:404
	v_mov_b32_e32 v3, 0
	buffer_store_dword v3, off, s[0:3], 0 offset:400
	buffer_store_dword v3, off, s[0:3], 0 offset:404
	s_waitcnt vmcnt(0)
	ds_write_b64 v125, v[1:2]
.LBB55_249:
	s_or_b32 exec_lo, exec_lo, s4
	s_waitcnt lgkmcnt(0)
	s_waitcnt_vscnt null, 0x0
	s_barrier
	buffer_gl0_inv
	s_clause 0xb
	buffer_load_dword v12, off, s[0:3], 0 offset:412
	buffer_load_dword v126, off, s[0:3], 0 offset:420
	;; [unrolled: 1-line block ×12, first 2 shown]
	v_mov_b32_e32 v1, 0
	ds_read2_b64 v[2:5], v1 offset0:107 offset1:108
	ds_read2_b64 v[6:9], v1 offset0:109 offset1:110
	ds_read_b64 v[10:11], v1 offset:888
	s_mov_b32 s4, exec_lo
	s_waitcnt vmcnt(11) lgkmcnt(2)
	v_mul_f32_e32 v137, v2, v12
	v_mul_f32_e32 v12, v3, v12
	s_waitcnt vmcnt(10)
	v_mul_f32_e32 v138, v4, v126
	v_mul_f32_e32 v126, v5, v126
	s_waitcnt vmcnt(9) lgkmcnt(1)
	v_mul_f32_e32 v139, v6, v127
	s_waitcnt vmcnt(6)
	v_fmac_f32_e32 v137, v3, v130
	v_fma_f32 v2, v2, v130, -v12
	v_mul_f32_e32 v3, v7, v127
	s_waitcnt vmcnt(5)
	v_fma_f32 v4, v4, v131, -v126
	v_fmac_f32_e32 v138, v5, v131
	v_add_f32_e32 v5, 0, v137
	v_add_f32_e32 v2, 0, v2
	v_mul_f32_e32 v12, v9, v128
	s_waitcnt vmcnt(4)
	v_fma_f32 v3, v6, v132, -v3
	v_mul_f32_e32 v140, v8, v128
	v_fmac_f32_e32 v139, v7, v132
	v_add_f32_e32 v2, v2, v4
	v_add_f32_e32 v4, v5, v138
	s_waitcnt lgkmcnt(0)
	v_mul_f32_e32 v5, v11, v129
	s_waitcnt vmcnt(3)
	v_fma_f32 v6, v8, v133, -v12
	v_mul_f32_e32 v141, v10, v129
	v_add_f32_e32 v2, v2, v3
	v_fmac_f32_e32 v140, v9, v133
	v_add_f32_e32 v3, v4, v139
	s_waitcnt vmcnt(2)
	v_fma_f32 v4, v10, v134, -v5
	v_fmac_f32_e32 v141, v11, v134
	v_add_f32_e32 v2, v2, v6
	v_add_f32_e32 v3, v3, v140
	;; [unrolled: 1-line block ×4, first 2 shown]
	s_waitcnt vmcnt(1)
	v_sub_f32_e32 v2, v135, v2
	s_waitcnt vmcnt(0)
	v_sub_f32_e32 v3, v136, v3
	buffer_store_dword v2, off, s[0:3], 0 offset:400
	buffer_store_dword v3, off, s[0:3], 0 offset:404
	v_cmpx_lt_u32_e32 49, v0
	s_cbranch_execz .LBB55_251
; %bb.250:
	s_clause 0x1
	buffer_load_dword v2, off, s[0:3], 0 offset:392
	buffer_load_dword v3, off, s[0:3], 0 offset:396
	buffer_store_dword v1, off, s[0:3], 0 offset:392
	buffer_store_dword v1, off, s[0:3], 0 offset:396
	s_waitcnt vmcnt(0)
	ds_write_b64 v125, v[2:3]
.LBB55_251:
	s_or_b32 exec_lo, exec_lo, s4
	s_waitcnt lgkmcnt(0)
	s_waitcnt_vscnt null, 0x0
	s_barrier
	buffer_gl0_inv
	s_clause 0xd
	buffer_load_dword v10, off, s[0:3], 0 offset:404
	buffer_load_dword v11, off, s[0:3], 0 offset:412
	;; [unrolled: 1-line block ×14, first 2 shown]
	ds_read_b128 v[2:5], v1 offset:848
	ds_read_b128 v[6:9], v1 offset:864
	;; [unrolled: 1-line block ×3, first 2 shown]
	s_mov_b32 s4, exec_lo
	s_waitcnt vmcnt(13) lgkmcnt(2)
	v_mul_f32_e32 v1, v2, v10
	v_mul_f32_e32 v10, v3, v10
	s_waitcnt vmcnt(12)
	v_mul_f32_e32 v141, v4, v11
	v_mul_f32_e32 v11, v5, v11
	s_waitcnt vmcnt(11) lgkmcnt(1)
	v_mul_f32_e32 v142, v6, v12
	s_waitcnt vmcnt(10)
	v_mul_f32_e32 v143, v8, v130
	s_waitcnt vmcnt(7)
	v_fma_f32 v2, v2, v133, -v10
	v_fmac_f32_e32 v1, v3, v133
	v_mul_f32_e32 v3, v7, v12
	s_waitcnt vmcnt(6)
	v_fma_f32 v4, v4, v134, -v11
	v_fmac_f32_e32 v141, v5, v134
	v_add_f32_e32 v2, 0, v2
	v_add_f32_e32 v1, 0, v1
	v_mul_f32_e32 v5, v9, v130
	s_waitcnt vmcnt(5)
	v_fma_f32 v3, v6, v135, -v3
	v_fmac_f32_e32 v142, v7, v135
	v_add_f32_e32 v2, v2, v4
	v_add_f32_e32 v1, v1, v141
	s_waitcnt lgkmcnt(0)
	v_mul_f32_e32 v4, v127, v131
	s_waitcnt vmcnt(4)
	v_fma_f32 v5, v8, v136, -v5
	v_mul_f32_e32 v144, v126, v131
	v_add_f32_e32 v2, v2, v3
	v_fmac_f32_e32 v143, v9, v136
	v_add_f32_e32 v1, v1, v142
	v_mul_f32_e32 v3, v129, v132
	s_waitcnt vmcnt(3)
	v_fma_f32 v4, v126, v137, -v4
	v_add_f32_e32 v2, v2, v5
	v_mul_f32_e32 v145, v128, v132
	v_fmac_f32_e32 v144, v127, v137
	v_add_f32_e32 v1, v1, v143
	s_waitcnt vmcnt(2)
	v_fma_f32 v3, v128, v138, -v3
	v_add_f32_e32 v2, v2, v4
	v_fmac_f32_e32 v145, v129, v138
	v_add_f32_e32 v1, v1, v144
	v_add_f32_e32 v2, v2, v3
	;; [unrolled: 1-line block ×3, first 2 shown]
	s_waitcnt vmcnt(1)
	v_sub_f32_e32 v2, v139, v2
	s_waitcnt vmcnt(0)
	v_sub_f32_e32 v1, v140, v1
	buffer_store_dword v2, off, s[0:3], 0 offset:392
	buffer_store_dword v1, off, s[0:3], 0 offset:396
	v_cmpx_lt_u32_e32 48, v0
	s_cbranch_execz .LBB55_253
; %bb.252:
	s_clause 0x1
	buffer_load_dword v1, off, s[0:3], 0 offset:384
	buffer_load_dword v2, off, s[0:3], 0 offset:388
	v_mov_b32_e32 v3, 0
	buffer_store_dword v3, off, s[0:3], 0 offset:384
	buffer_store_dword v3, off, s[0:3], 0 offset:388
	s_waitcnt vmcnt(0)
	ds_write_b64 v125, v[1:2]
.LBB55_253:
	s_or_b32 exec_lo, exec_lo, s4
	s_waitcnt lgkmcnt(0)
	s_waitcnt_vscnt null, 0x0
	s_barrier
	buffer_gl0_inv
	s_clause 0xf
	buffer_load_dword v12, off, s[0:3], 0 offset:396
	buffer_load_dword v130, off, s[0:3], 0 offset:404
	;; [unrolled: 1-line block ×16, first 2 shown]
	v_mov_b32_e32 v1, 0
	ds_read2_b64 v[2:5], v1 offset0:105 offset1:106
	ds_read2_b64 v[6:9], v1 offset0:107 offset1:108
	;; [unrolled: 1-line block ×3, first 2 shown]
	ds_read_b64 v[10:11], v1 offset:888
	s_mov_b32 s4, exec_lo
	s_waitcnt vmcnt(15) lgkmcnt(3)
	v_mul_f32_e32 v145, v2, v12
	v_mul_f32_e32 v12, v3, v12
	s_waitcnt vmcnt(14)
	v_mul_f32_e32 v146, v4, v130
	v_mul_f32_e32 v130, v5, v130
	s_waitcnt vmcnt(13) lgkmcnt(2)
	v_mul_f32_e32 v147, v6, v131
	s_waitcnt vmcnt(12)
	v_mul_f32_e32 v148, v8, v132
	s_waitcnt vmcnt(11) lgkmcnt(1)
	v_mul_f32_e32 v149, v126, v133
	s_waitcnt vmcnt(8)
	v_fma_f32 v2, v2, v136, -v12
	v_fmac_f32_e32 v145, v3, v136
	v_mul_f32_e32 v3, v7, v131
	s_waitcnt vmcnt(7)
	v_fma_f32 v4, v4, v137, -v130
	v_fmac_f32_e32 v146, v5, v137
	v_add_f32_e32 v2, 0, v2
	v_add_f32_e32 v5, 0, v145
	v_mul_f32_e32 v12, v9, v132
	s_waitcnt vmcnt(6)
	v_fma_f32 v3, v6, v138, -v3
	v_fmac_f32_e32 v147, v7, v138
	v_add_f32_e32 v2, v2, v4
	v_add_f32_e32 v4, v5, v146
	;; [unrolled: 6-line block ×3, first 2 shown]
	v_mul_f32_e32 v4, v129, v134
	s_waitcnt vmcnt(4)
	v_fma_f32 v5, v126, v140, -v5
	v_mul_f32_e32 v150, v128, v134
	v_add_f32_e32 v2, v2, v6
	v_fmac_f32_e32 v149, v127, v140
	v_add_f32_e32 v3, v3, v148
	s_waitcnt lgkmcnt(0)
	v_mul_f32_e32 v6, v11, v135
	s_waitcnt vmcnt(3)
	v_fma_f32 v4, v128, v141, -v4
	v_add_f32_e32 v2, v2, v5
	v_mul_f32_e32 v151, v10, v135
	v_fmac_f32_e32 v150, v129, v141
	v_add_f32_e32 v3, v3, v149
	s_waitcnt vmcnt(2)
	v_fma_f32 v5, v10, v142, -v6
	v_add_f32_e32 v2, v2, v4
	v_fmac_f32_e32 v151, v11, v142
	v_add_f32_e32 v3, v3, v150
	v_add_f32_e32 v2, v2, v5
	;; [unrolled: 1-line block ×3, first 2 shown]
	s_waitcnt vmcnt(1)
	v_sub_f32_e32 v2, v143, v2
	s_waitcnt vmcnt(0)
	v_sub_f32_e32 v3, v144, v3
	buffer_store_dword v2, off, s[0:3], 0 offset:384
	buffer_store_dword v3, off, s[0:3], 0 offset:388
	v_cmpx_lt_u32_e32 47, v0
	s_cbranch_execz .LBB55_255
; %bb.254:
	s_clause 0x1
	buffer_load_dword v2, off, s[0:3], 0 offset:376
	buffer_load_dword v3, off, s[0:3], 0 offset:380
	buffer_store_dword v1, off, s[0:3], 0 offset:376
	buffer_store_dword v1, off, s[0:3], 0 offset:380
	s_waitcnt vmcnt(0)
	ds_write_b64 v125, v[2:3]
.LBB55_255:
	s_or_b32 exec_lo, exec_lo, s4
	s_waitcnt lgkmcnt(0)
	s_waitcnt_vscnt null, 0x0
	s_barrier
	buffer_gl0_inv
	s_clause 0x11
	buffer_load_dword v10, off, s[0:3], 0 offset:388
	buffer_load_dword v11, off, s[0:3], 0 offset:396
	;; [unrolled: 1-line block ×18, first 2 shown]
	ds_read_b128 v[2:5], v1 offset:832
	ds_read_b128 v[6:9], v1 offset:848
	;; [unrolled: 1-line block ×4, first 2 shown]
	s_mov_b32 s4, exec_lo
	s_waitcnt vmcnt(17) lgkmcnt(3)
	v_mul_f32_e32 v1, v2, v10
	v_mul_f32_e32 v10, v3, v10
	s_waitcnt vmcnt(16)
	v_mul_f32_e32 v149, v4, v11
	v_mul_f32_e32 v11, v5, v11
	s_waitcnt vmcnt(15) lgkmcnt(2)
	v_mul_f32_e32 v150, v6, v12
	s_waitcnt vmcnt(14)
	v_mul_f32_e32 v151, v8, v134
	s_waitcnt vmcnt(13) lgkmcnt(1)
	v_mul_f32_e32 v152, v126, v135
	s_waitcnt vmcnt(12)
	v_mul_f32_e32 v153, v128, v136
	s_waitcnt vmcnt(9)
	v_fma_f32 v2, v2, v139, -v10
	v_fmac_f32_e32 v1, v3, v139
	v_mul_f32_e32 v3, v7, v12
	s_waitcnt vmcnt(8)
	v_fma_f32 v4, v4, v140, -v11
	v_fmac_f32_e32 v149, v5, v140
	v_add_f32_e32 v2, 0, v2
	v_add_f32_e32 v1, 0, v1
	v_mul_f32_e32 v5, v9, v134
	s_waitcnt vmcnt(7)
	v_fma_f32 v3, v6, v141, -v3
	v_fmac_f32_e32 v150, v7, v141
	v_add_f32_e32 v2, v2, v4
	v_add_f32_e32 v1, v1, v149
	;; [unrolled: 6-line block ×4, first 2 shown]
	s_waitcnt lgkmcnt(0)
	v_mul_f32_e32 v5, v131, v137
	s_waitcnt vmcnt(4)
	v_fma_f32 v3, v128, v144, -v3
	v_mul_f32_e32 v154, v130, v137
	v_add_f32_e32 v2, v2, v4
	v_fmac_f32_e32 v153, v129, v144
	v_add_f32_e32 v1, v1, v152
	v_mul_f32_e32 v4, v133, v138
	s_waitcnt vmcnt(3)
	v_fma_f32 v5, v130, v145, -v5
	v_add_f32_e32 v2, v2, v3
	v_mul_f32_e32 v155, v132, v138
	v_fmac_f32_e32 v154, v131, v145
	v_add_f32_e32 v1, v1, v153
	s_waitcnt vmcnt(2)
	v_fma_f32 v3, v132, v146, -v4
	v_add_f32_e32 v2, v2, v5
	v_fmac_f32_e32 v155, v133, v146
	v_add_f32_e32 v1, v1, v154
	v_add_f32_e32 v2, v2, v3
	;; [unrolled: 1-line block ×3, first 2 shown]
	s_waitcnt vmcnt(1)
	v_sub_f32_e32 v2, v147, v2
	s_waitcnt vmcnt(0)
	v_sub_f32_e32 v1, v148, v1
	buffer_store_dword v2, off, s[0:3], 0 offset:376
	buffer_store_dword v1, off, s[0:3], 0 offset:380
	v_cmpx_lt_u32_e32 46, v0
	s_cbranch_execz .LBB55_257
; %bb.256:
	s_clause 0x1
	buffer_load_dword v1, off, s[0:3], 0 offset:368
	buffer_load_dword v2, off, s[0:3], 0 offset:372
	v_mov_b32_e32 v3, 0
	buffer_store_dword v3, off, s[0:3], 0 offset:368
	buffer_store_dword v3, off, s[0:3], 0 offset:372
	s_waitcnt vmcnt(0)
	ds_write_b64 v125, v[1:2]
.LBB55_257:
	s_or_b32 exec_lo, exec_lo, s4
	s_waitcnt lgkmcnt(0)
	s_waitcnt_vscnt null, 0x0
	s_barrier
	buffer_gl0_inv
	s_clause 0x13
	buffer_load_dword v12, off, s[0:3], 0 offset:380
	buffer_load_dword v134, off, s[0:3], 0 offset:388
	;; [unrolled: 1-line block ×20, first 2 shown]
	v_mov_b32_e32 v1, 0
	ds_read2_b64 v[2:5], v1 offset0:103 offset1:104
	ds_read2_b64 v[6:9], v1 offset0:105 offset1:106
	;; [unrolled: 1-line block ×4, first 2 shown]
	ds_read_b64 v[10:11], v1 offset:888
	s_mov_b32 s4, exec_lo
	s_waitcnt vmcnt(19) lgkmcnt(4)
	v_mul_f32_e32 v153, v2, v12
	v_mul_f32_e32 v12, v3, v12
	s_waitcnt vmcnt(18)
	v_mul_f32_e32 v154, v4, v134
	v_mul_f32_e32 v134, v5, v134
	s_waitcnt vmcnt(17) lgkmcnt(3)
	v_mul_f32_e32 v155, v6, v135
	s_waitcnt vmcnt(16)
	v_mul_f32_e32 v156, v8, v136
	s_waitcnt vmcnt(15) lgkmcnt(2)
	v_mul_f32_e32 v157, v126, v137
	s_waitcnt vmcnt(14)
	;; [unrolled: 4-line block ×3, first 2 shown]
	v_fma_f32 v2, v2, v142, -v12
	v_fmac_f32_e32 v153, v3, v142
	v_mul_f32_e32 v3, v7, v135
	s_waitcnt vmcnt(9)
	v_fma_f32 v4, v4, v143, -v134
	v_fmac_f32_e32 v154, v5, v143
	v_add_f32_e32 v2, 0, v2
	v_add_f32_e32 v5, 0, v153
	v_mul_f32_e32 v12, v9, v136
	s_waitcnt vmcnt(8)
	v_fma_f32 v3, v6, v144, -v3
	v_fmac_f32_e32 v155, v7, v144
	v_add_f32_e32 v2, v2, v4
	v_add_f32_e32 v4, v5, v154
	;; [unrolled: 6-line block ×5, first 2 shown]
	v_mul_f32_e32 v5, v133, v140
	s_waitcnt vmcnt(4)
	v_fma_f32 v6, v130, v148, -v6
	v_mul_f32_e32 v160, v132, v140
	v_add_f32_e32 v2, v2, v4
	v_fmac_f32_e32 v159, v131, v148
	v_add_f32_e32 v3, v3, v158
	s_waitcnt lgkmcnt(0)
	v_mul_f32_e32 v4, v11, v141
	s_waitcnt vmcnt(3)
	v_fma_f32 v5, v132, v149, -v5
	v_add_f32_e32 v2, v2, v6
	v_mul_f32_e32 v161, v10, v141
	v_fmac_f32_e32 v160, v133, v149
	v_add_f32_e32 v3, v3, v159
	s_waitcnt vmcnt(2)
	v_fma_f32 v4, v10, v150, -v4
	v_add_f32_e32 v2, v2, v5
	v_fmac_f32_e32 v161, v11, v150
	v_add_f32_e32 v3, v3, v160
	v_add_f32_e32 v2, v2, v4
	;; [unrolled: 1-line block ×3, first 2 shown]
	s_waitcnt vmcnt(1)
	v_sub_f32_e32 v2, v151, v2
	s_waitcnt vmcnt(0)
	v_sub_f32_e32 v3, v152, v3
	buffer_store_dword v2, off, s[0:3], 0 offset:368
	buffer_store_dword v3, off, s[0:3], 0 offset:372
	v_cmpx_lt_u32_e32 45, v0
	s_cbranch_execz .LBB55_259
; %bb.258:
	s_clause 0x1
	buffer_load_dword v2, off, s[0:3], 0 offset:360
	buffer_load_dword v3, off, s[0:3], 0 offset:364
	buffer_store_dword v1, off, s[0:3], 0 offset:360
	buffer_store_dword v1, off, s[0:3], 0 offset:364
	s_waitcnt vmcnt(0)
	ds_write_b64 v125, v[2:3]
.LBB55_259:
	s_or_b32 exec_lo, exec_lo, s4
	s_waitcnt lgkmcnt(0)
	s_waitcnt_vscnt null, 0x0
	s_barrier
	buffer_gl0_inv
	s_clause 0x15
	buffer_load_dword v10, off, s[0:3], 0 offset:372
	buffer_load_dword v11, off, s[0:3], 0 offset:380
	;; [unrolled: 1-line block ×22, first 2 shown]
	ds_read_b128 v[2:5], v1 offset:816
	ds_read_b128 v[6:9], v1 offset:832
	;; [unrolled: 1-line block ×5, first 2 shown]
	s_mov_b32 s4, exec_lo
	s_waitcnt vmcnt(21) lgkmcnt(4)
	v_mul_f32_e32 v1, v2, v10
	v_mul_f32_e32 v10, v3, v10
	s_waitcnt vmcnt(20)
	v_mul_f32_e32 v157, v4, v11
	v_mul_f32_e32 v11, v5, v11
	s_waitcnt vmcnt(19) lgkmcnt(3)
	v_mul_f32_e32 v158, v6, v12
	s_waitcnt vmcnt(18)
	v_mul_f32_e32 v159, v8, v138
	s_waitcnt vmcnt(17) lgkmcnt(2)
	v_mul_f32_e32 v160, v126, v139
	s_waitcnt vmcnt(16)
	;; [unrolled: 4-line block ×3, first 2 shown]
	v_mul_f32_e32 v163, v132, v142
	s_waitcnt vmcnt(11)
	v_fma_f32 v2, v2, v145, -v10
	v_fmac_f32_e32 v1, v3, v145
	v_mul_f32_e32 v3, v7, v12
	s_waitcnt vmcnt(10)
	v_fma_f32 v4, v4, v146, -v11
	v_fmac_f32_e32 v157, v5, v146
	v_add_f32_e32 v2, 0, v2
	v_add_f32_e32 v1, 0, v1
	v_mul_f32_e32 v5, v9, v138
	s_waitcnt vmcnt(9)
	v_fma_f32 v3, v6, v147, -v3
	v_fmac_f32_e32 v158, v7, v147
	v_add_f32_e32 v2, v2, v4
	v_add_f32_e32 v1, v1, v157
	;; [unrolled: 6-line block ×6, first 2 shown]
	s_waitcnt lgkmcnt(0)
	v_mul_f32_e32 v3, v135, v143
	s_waitcnt vmcnt(4)
	v_fma_f32 v4, v132, v152, -v4
	v_mul_f32_e32 v164, v134, v143
	v_add_f32_e32 v2, v2, v5
	v_fmac_f32_e32 v163, v133, v152
	v_add_f32_e32 v1, v1, v162
	v_mul_f32_e32 v5, v137, v144
	s_waitcnt vmcnt(3)
	v_fma_f32 v3, v134, v153, -v3
	v_add_f32_e32 v2, v2, v4
	v_mul_f32_e32 v165, v136, v144
	v_fmac_f32_e32 v164, v135, v153
	v_add_f32_e32 v1, v1, v163
	s_waitcnt vmcnt(2)
	v_fma_f32 v4, v136, v154, -v5
	v_add_f32_e32 v2, v2, v3
	v_fmac_f32_e32 v165, v137, v154
	v_add_f32_e32 v1, v1, v164
	v_add_f32_e32 v2, v2, v4
	;; [unrolled: 1-line block ×3, first 2 shown]
	s_waitcnt vmcnt(1)
	v_sub_f32_e32 v2, v155, v2
	s_waitcnt vmcnt(0)
	v_sub_f32_e32 v1, v156, v1
	buffer_store_dword v2, off, s[0:3], 0 offset:360
	buffer_store_dword v1, off, s[0:3], 0 offset:364
	v_cmpx_lt_u32_e32 44, v0
	s_cbranch_execz .LBB55_261
; %bb.260:
	s_clause 0x1
	buffer_load_dword v1, off, s[0:3], 0 offset:352
	buffer_load_dword v2, off, s[0:3], 0 offset:356
	v_mov_b32_e32 v3, 0
	buffer_store_dword v3, off, s[0:3], 0 offset:352
	buffer_store_dword v3, off, s[0:3], 0 offset:356
	s_waitcnt vmcnt(0)
	ds_write_b64 v125, v[1:2]
.LBB55_261:
	s_or_b32 exec_lo, exec_lo, s4
	s_waitcnt lgkmcnt(0)
	s_waitcnt_vscnt null, 0x0
	s_barrier
	buffer_gl0_inv
	s_clause 0x17
	buffer_load_dword v12, off, s[0:3], 0 offset:364
	buffer_load_dword v138, off, s[0:3], 0 offset:372
	;; [unrolled: 1-line block ×24, first 2 shown]
	v_mov_b32_e32 v1, 0
	ds_read2_b64 v[2:5], v1 offset0:101 offset1:102
	ds_read2_b64 v[6:9], v1 offset0:103 offset1:104
	;; [unrolled: 1-line block ×5, first 2 shown]
	ds_read_b64 v[10:11], v1 offset:888
	s_mov_b32 s4, exec_lo
	s_waitcnt vmcnt(23) lgkmcnt(5)
	v_mul_f32_e32 v161, v2, v12
	v_mul_f32_e32 v12, v3, v12
	s_waitcnt vmcnt(22)
	v_mul_f32_e32 v162, v4, v138
	v_mul_f32_e32 v138, v5, v138
	s_waitcnt vmcnt(21) lgkmcnt(4)
	v_mul_f32_e32 v163, v6, v139
	s_waitcnt vmcnt(20)
	v_mul_f32_e32 v164, v8, v140
	s_waitcnt vmcnt(19) lgkmcnt(3)
	v_mul_f32_e32 v165, v126, v141
	s_waitcnt vmcnt(18)
	;; [unrolled: 4-line block ×4, first 2 shown]
	v_fma_f32 v2, v2, v148, -v12
	v_fmac_f32_e32 v161, v3, v148
	v_mul_f32_e32 v3, v7, v139
	s_waitcnt vmcnt(11)
	v_fma_f32 v4, v4, v149, -v138
	v_fmac_f32_e32 v162, v5, v149
	v_add_f32_e32 v2, 0, v2
	v_add_f32_e32 v5, 0, v161
	v_mul_f32_e32 v12, v9, v140
	s_waitcnt vmcnt(10)
	v_fma_f32 v3, v6, v150, -v3
	v_fmac_f32_e32 v163, v7, v150
	v_add_f32_e32 v2, v2, v4
	v_add_f32_e32 v4, v5, v162
	;; [unrolled: 6-line block ×7, first 2 shown]
	v_mul_f32_e32 v6, v137, v146
	s_waitcnt vmcnt(4)
	v_fma_f32 v4, v134, v156, -v4
	v_mul_f32_e32 v170, v136, v146
	v_add_f32_e32 v2, v2, v5
	v_fmac_f32_e32 v169, v135, v156
	v_add_f32_e32 v3, v3, v168
	s_waitcnt lgkmcnt(0)
	v_mul_f32_e32 v5, v11, v147
	s_waitcnt vmcnt(3)
	v_fma_f32 v6, v136, v157, -v6
	v_add_f32_e32 v2, v2, v4
	v_mul_f32_e32 v171, v10, v147
	v_fmac_f32_e32 v170, v137, v157
	v_add_f32_e32 v3, v3, v169
	s_waitcnt vmcnt(2)
	v_fma_f32 v4, v10, v158, -v5
	v_add_f32_e32 v2, v2, v6
	v_fmac_f32_e32 v171, v11, v158
	v_add_f32_e32 v3, v3, v170
	v_add_f32_e32 v2, v2, v4
	;; [unrolled: 1-line block ×3, first 2 shown]
	s_waitcnt vmcnt(1)
	v_sub_f32_e32 v2, v159, v2
	s_waitcnt vmcnt(0)
	v_sub_f32_e32 v3, v160, v3
	buffer_store_dword v2, off, s[0:3], 0 offset:352
	buffer_store_dword v3, off, s[0:3], 0 offset:356
	v_cmpx_lt_u32_e32 43, v0
	s_cbranch_execz .LBB55_263
; %bb.262:
	s_clause 0x1
	buffer_load_dword v2, off, s[0:3], 0 offset:344
	buffer_load_dword v3, off, s[0:3], 0 offset:348
	buffer_store_dword v1, off, s[0:3], 0 offset:344
	buffer_store_dword v1, off, s[0:3], 0 offset:348
	s_waitcnt vmcnt(0)
	ds_write_b64 v125, v[2:3]
.LBB55_263:
	s_or_b32 exec_lo, exec_lo, s4
	s_waitcnt lgkmcnt(0)
	s_waitcnt_vscnt null, 0x0
	s_barrier
	buffer_gl0_inv
	s_clause 0x19
	buffer_load_dword v10, off, s[0:3], 0 offset:356
	buffer_load_dword v11, off, s[0:3], 0 offset:364
	;; [unrolled: 1-line block ×26, first 2 shown]
	ds_read_b128 v[2:5], v1 offset:800
	ds_read_b128 v[6:9], v1 offset:816
	;; [unrolled: 1-line block ×6, first 2 shown]
	s_mov_b32 s4, exec_lo
	s_waitcnt vmcnt(25) lgkmcnt(5)
	v_mul_f32_e32 v1, v2, v10
	v_mul_f32_e32 v10, v3, v10
	s_waitcnt vmcnt(24)
	v_mul_f32_e32 v165, v4, v11
	v_mul_f32_e32 v11, v5, v11
	s_waitcnt vmcnt(23) lgkmcnt(4)
	v_mul_f32_e32 v166, v6, v12
	s_waitcnt vmcnt(22)
	v_mul_f32_e32 v167, v8, v142
	s_waitcnt vmcnt(21) lgkmcnt(3)
	v_mul_f32_e32 v168, v126, v143
	s_waitcnt vmcnt(20)
	;; [unrolled: 4-line block ×4, first 2 shown]
	v_mul_f32_e32 v173, v136, v148
	s_waitcnt vmcnt(13)
	v_fma_f32 v2, v2, v151, -v10
	v_fmac_f32_e32 v1, v3, v151
	v_mul_f32_e32 v3, v7, v12
	s_waitcnt vmcnt(12)
	v_fma_f32 v4, v4, v152, -v11
	v_fmac_f32_e32 v165, v5, v152
	v_add_f32_e32 v2, 0, v2
	v_add_f32_e32 v1, 0, v1
	v_mul_f32_e32 v5, v9, v142
	s_waitcnt vmcnt(11)
	v_fma_f32 v3, v6, v153, -v3
	v_fmac_f32_e32 v166, v7, v153
	v_add_f32_e32 v2, v2, v4
	v_add_f32_e32 v1, v1, v165
	;; [unrolled: 6-line block ×8, first 2 shown]
	s_waitcnt lgkmcnt(0)
	v_mul_f32_e32 v4, v139, v149
	s_waitcnt vmcnt(4)
	v_fma_f32 v5, v136, v160, -v5
	v_mul_f32_e32 v174, v138, v149
	v_add_f32_e32 v2, v2, v3
	v_fmac_f32_e32 v173, v137, v160
	v_add_f32_e32 v1, v1, v172
	v_mul_f32_e32 v3, v141, v150
	s_waitcnt vmcnt(3)
	v_fma_f32 v4, v138, v161, -v4
	v_add_f32_e32 v2, v2, v5
	v_mul_f32_e32 v175, v140, v150
	v_fmac_f32_e32 v174, v139, v161
	v_add_f32_e32 v1, v1, v173
	s_waitcnt vmcnt(2)
	v_fma_f32 v3, v140, v162, -v3
	v_add_f32_e32 v2, v2, v4
	v_fmac_f32_e32 v175, v141, v162
	v_add_f32_e32 v1, v1, v174
	v_add_f32_e32 v2, v2, v3
	;; [unrolled: 1-line block ×3, first 2 shown]
	s_waitcnt vmcnt(1)
	v_sub_f32_e32 v2, v163, v2
	s_waitcnt vmcnt(0)
	v_sub_f32_e32 v1, v164, v1
	buffer_store_dword v2, off, s[0:3], 0 offset:344
	buffer_store_dword v1, off, s[0:3], 0 offset:348
	v_cmpx_lt_u32_e32 42, v0
	s_cbranch_execz .LBB55_265
; %bb.264:
	s_clause 0x1
	buffer_load_dword v1, off, s[0:3], 0 offset:336
	buffer_load_dword v2, off, s[0:3], 0 offset:340
	v_mov_b32_e32 v3, 0
	buffer_store_dword v3, off, s[0:3], 0 offset:336
	buffer_store_dword v3, off, s[0:3], 0 offset:340
	s_waitcnt vmcnt(0)
	ds_write_b64 v125, v[1:2]
.LBB55_265:
	s_or_b32 exec_lo, exec_lo, s4
	s_waitcnt lgkmcnt(0)
	s_waitcnt_vscnt null, 0x0
	s_barrier
	buffer_gl0_inv
	s_clause 0x1b
	buffer_load_dword v12, off, s[0:3], 0 offset:348
	buffer_load_dword v142, off, s[0:3], 0 offset:356
	;; [unrolled: 1-line block ×28, first 2 shown]
	v_mov_b32_e32 v1, 0
	ds_read2_b64 v[2:5], v1 offset0:99 offset1:100
	ds_read2_b64 v[6:9], v1 offset0:101 offset1:102
	;; [unrolled: 1-line block ×6, first 2 shown]
	ds_read_b64 v[10:11], v1 offset:888
	s_mov_b32 s4, exec_lo
	s_waitcnt vmcnt(27) lgkmcnt(6)
	v_mul_f32_e32 v169, v2, v12
	v_mul_f32_e32 v12, v3, v12
	s_waitcnt vmcnt(26)
	v_mul_f32_e32 v170, v4, v142
	v_mul_f32_e32 v142, v5, v142
	s_waitcnt vmcnt(25) lgkmcnt(5)
	v_mul_f32_e32 v171, v6, v143
	s_waitcnt vmcnt(24)
	v_mul_f32_e32 v172, v8, v144
	s_waitcnt vmcnt(23) lgkmcnt(4)
	v_mul_f32_e32 v173, v126, v145
	s_waitcnt vmcnt(22)
	v_mul_f32_e32 v174, v128, v146
	s_waitcnt vmcnt(21) lgkmcnt(3)
	v_mul_f32_e32 v175, v130, v147
	s_waitcnt vmcnt(20)
	v_mul_f32_e32 v176, v132, v148
	s_waitcnt vmcnt(19) lgkmcnt(2)
	v_mul_f32_e32 v177, v134, v149
	s_waitcnt vmcnt(18)
	v_mul_f32_e32 v178, v136, v150
	s_waitcnt vmcnt(17) lgkmcnt(1)
	v_mul_f32_e32 v179, v138, v151
	s_waitcnt vmcnt(14)
	v_fma_f32 v2, v2, v154, -v12
	v_fmac_f32_e32 v169, v3, v154
	v_mul_f32_e32 v3, v7, v143
	s_waitcnt vmcnt(13)
	v_fma_f32 v4, v4, v155, -v142
	v_fmac_f32_e32 v170, v5, v155
	v_add_f32_e32 v2, 0, v2
	v_add_f32_e32 v5, 0, v169
	v_mul_f32_e32 v12, v9, v144
	s_waitcnt vmcnt(12)
	v_fma_f32 v3, v6, v156, -v3
	v_fmac_f32_e32 v171, v7, v156
	v_add_f32_e32 v2, v2, v4
	v_add_f32_e32 v4, v5, v170
	;; [unrolled: 6-line block ×9, first 2 shown]
	v_mul_f32_e32 v4, v141, v152
	s_waitcnt vmcnt(4)
	v_fma_f32 v5, v138, v164, -v5
	v_mul_f32_e32 v180, v140, v152
	v_add_f32_e32 v2, v2, v6
	v_fmac_f32_e32 v179, v139, v164
	v_add_f32_e32 v3, v3, v178
	s_waitcnt lgkmcnt(0)
	v_mul_f32_e32 v6, v11, v153
	s_waitcnt vmcnt(3)
	v_fma_f32 v4, v140, v165, -v4
	v_add_f32_e32 v2, v2, v5
	v_mul_f32_e32 v181, v10, v153
	v_fmac_f32_e32 v180, v141, v165
	v_add_f32_e32 v3, v3, v179
	s_waitcnt vmcnt(2)
	v_fma_f32 v5, v10, v166, -v6
	v_add_f32_e32 v2, v2, v4
	v_fmac_f32_e32 v181, v11, v166
	v_add_f32_e32 v3, v3, v180
	v_add_f32_e32 v2, v2, v5
	;; [unrolled: 1-line block ×3, first 2 shown]
	s_waitcnt vmcnt(1)
	v_sub_f32_e32 v2, v167, v2
	s_waitcnt vmcnt(0)
	v_sub_f32_e32 v3, v168, v3
	buffer_store_dword v2, off, s[0:3], 0 offset:336
	buffer_store_dword v3, off, s[0:3], 0 offset:340
	v_cmpx_lt_u32_e32 41, v0
	s_cbranch_execz .LBB55_267
; %bb.266:
	s_clause 0x1
	buffer_load_dword v2, off, s[0:3], 0 offset:328
	buffer_load_dword v3, off, s[0:3], 0 offset:332
	buffer_store_dword v1, off, s[0:3], 0 offset:328
	buffer_store_dword v1, off, s[0:3], 0 offset:332
	s_waitcnt vmcnt(0)
	ds_write_b64 v125, v[2:3]
.LBB55_267:
	s_or_b32 exec_lo, exec_lo, s4
	s_waitcnt lgkmcnt(0)
	s_waitcnt_vscnt null, 0x0
	s_barrier
	buffer_gl0_inv
	s_clause 0x1d
	buffer_load_dword v10, off, s[0:3], 0 offset:340
	buffer_load_dword v11, off, s[0:3], 0 offset:348
	;; [unrolled: 1-line block ×30, first 2 shown]
	ds_read_b128 v[2:5], v1 offset:784
	ds_read_b128 v[6:9], v1 offset:800
	;; [unrolled: 1-line block ×7, first 2 shown]
	s_mov_b32 s4, exec_lo
	s_waitcnt vmcnt(29) lgkmcnt(6)
	v_mul_f32_e32 v1, v2, v10
	v_mul_f32_e32 v10, v3, v10
	s_waitcnt vmcnt(28)
	v_mul_f32_e32 v173, v4, v11
	v_mul_f32_e32 v11, v5, v11
	s_waitcnt vmcnt(27) lgkmcnt(5)
	v_mul_f32_e32 v174, v6, v12
	s_waitcnt vmcnt(26)
	v_mul_f32_e32 v175, v8, v146
	s_waitcnt vmcnt(25) lgkmcnt(4)
	v_mul_f32_e32 v176, v126, v147
	s_waitcnt vmcnt(24)
	;; [unrolled: 4-line block ×5, first 2 shown]
	v_mul_f32_e32 v183, v140, v154
	s_waitcnt vmcnt(15)
	v_fma_f32 v2, v2, v157, -v10
	v_fmac_f32_e32 v1, v3, v157
	v_mul_f32_e32 v3, v7, v12
	s_waitcnt vmcnt(14)
	v_fma_f32 v4, v4, v158, -v11
	v_fmac_f32_e32 v173, v5, v158
	v_add_f32_e32 v2, 0, v2
	v_add_f32_e32 v1, 0, v1
	v_mul_f32_e32 v5, v9, v146
	s_waitcnt vmcnt(13)
	v_fma_f32 v3, v6, v159, -v3
	v_fmac_f32_e32 v174, v7, v159
	v_add_f32_e32 v2, v2, v4
	v_add_f32_e32 v1, v1, v173
	;; [unrolled: 6-line block ×10, first 2 shown]
	s_waitcnt lgkmcnt(0)
	v_mul_f32_e32 v5, v143, v155
	s_waitcnt vmcnt(4)
	v_fma_f32 v3, v140, v168, -v3
	v_mul_f32_e32 v184, v142, v155
	v_add_f32_e32 v2, v2, v4
	v_fmac_f32_e32 v183, v141, v168
	v_add_f32_e32 v1, v1, v182
	v_mul_f32_e32 v4, v145, v156
	s_waitcnt vmcnt(3)
	v_fma_f32 v5, v142, v169, -v5
	v_add_f32_e32 v2, v2, v3
	v_mul_f32_e32 v185, v144, v156
	v_fmac_f32_e32 v184, v143, v169
	v_add_f32_e32 v1, v1, v183
	s_waitcnt vmcnt(2)
	v_fma_f32 v3, v144, v170, -v4
	v_add_f32_e32 v2, v2, v5
	v_fmac_f32_e32 v185, v145, v170
	v_add_f32_e32 v1, v1, v184
	v_add_f32_e32 v2, v2, v3
	;; [unrolled: 1-line block ×3, first 2 shown]
	s_waitcnt vmcnt(1)
	v_sub_f32_e32 v2, v171, v2
	s_waitcnt vmcnt(0)
	v_sub_f32_e32 v1, v172, v1
	buffer_store_dword v2, off, s[0:3], 0 offset:328
	buffer_store_dword v1, off, s[0:3], 0 offset:332
	v_cmpx_lt_u32_e32 40, v0
	s_cbranch_execz .LBB55_269
; %bb.268:
	s_clause 0x1
	buffer_load_dword v1, off, s[0:3], 0 offset:320
	buffer_load_dword v2, off, s[0:3], 0 offset:324
	v_mov_b32_e32 v3, 0
	buffer_store_dword v3, off, s[0:3], 0 offset:320
	buffer_store_dword v3, off, s[0:3], 0 offset:324
	s_waitcnt vmcnt(0)
	ds_write_b64 v125, v[1:2]
.LBB55_269:
	s_or_b32 exec_lo, exec_lo, s4
	s_waitcnt lgkmcnt(0)
	s_waitcnt_vscnt null, 0x0
	s_barrier
	buffer_gl0_inv
	s_clause 0x1f
	buffer_load_dword v12, off, s[0:3], 0 offset:332
	buffer_load_dword v146, off, s[0:3], 0 offset:340
	;; [unrolled: 1-line block ×32, first 2 shown]
	v_mov_b32_e32 v1, 0
	ds_read2_b64 v[2:5], v1 offset0:97 offset1:98
	ds_read2_b64 v[6:9], v1 offset0:99 offset1:100
	;; [unrolled: 1-line block ×7, first 2 shown]
	ds_read_b64 v[10:11], v1 offset:888
	s_mov_b32 s4, exec_lo
	s_waitcnt vmcnt(31) lgkmcnt(7)
	v_mul_f32_e32 v177, v2, v12
	v_mul_f32_e32 v12, v3, v12
	s_waitcnt vmcnt(30)
	v_mul_f32_e32 v178, v4, v146
	v_mul_f32_e32 v146, v5, v146
	s_waitcnt vmcnt(29) lgkmcnt(6)
	v_mul_f32_e32 v179, v6, v147
	s_waitcnt vmcnt(28)
	v_mul_f32_e32 v180, v8, v148
	s_waitcnt vmcnt(27) lgkmcnt(5)
	v_mul_f32_e32 v181, v126, v149
	s_waitcnt vmcnt(26)
	;; [unrolled: 4-line block ×6, first 2 shown]
	v_fma_f32 v2, v2, v160, -v12
	v_fmac_f32_e32 v177, v3, v160
	v_mul_f32_e32 v3, v7, v147
	s_waitcnt vmcnt(15)
	v_fma_f32 v4, v4, v161, -v146
	v_fmac_f32_e32 v178, v5, v161
	v_add_f32_e32 v2, 0, v2
	v_add_f32_e32 v5, 0, v177
	v_mul_f32_e32 v12, v9, v148
	s_waitcnt vmcnt(14)
	v_fma_f32 v3, v6, v162, -v3
	v_fmac_f32_e32 v179, v7, v162
	v_add_f32_e32 v2, v2, v4
	v_add_f32_e32 v4, v5, v178
	;; [unrolled: 6-line block ×11, first 2 shown]
	v_mul_f32_e32 v5, v145, v158
	s_waitcnt vmcnt(4)
	v_fma_f32 v6, v142, v172, -v6
	v_mul_f32_e32 v190, v144, v158
	v_add_f32_e32 v2, v2, v4
	v_fmac_f32_e32 v189, v143, v172
	v_add_f32_e32 v3, v3, v188
	s_waitcnt lgkmcnt(0)
	v_mul_f32_e32 v4, v11, v159
	s_waitcnt vmcnt(3)
	v_fma_f32 v5, v144, v173, -v5
	v_add_f32_e32 v2, v2, v6
	v_mul_f32_e32 v191, v10, v159
	v_fmac_f32_e32 v190, v145, v173
	v_add_f32_e32 v3, v3, v189
	s_waitcnt vmcnt(2)
	v_fma_f32 v4, v10, v174, -v4
	v_add_f32_e32 v2, v2, v5
	v_fmac_f32_e32 v191, v11, v174
	v_add_f32_e32 v3, v3, v190
	v_add_f32_e32 v2, v2, v4
	;; [unrolled: 1-line block ×3, first 2 shown]
	s_waitcnt vmcnt(1)
	v_sub_f32_e32 v2, v175, v2
	s_waitcnt vmcnt(0)
	v_sub_f32_e32 v3, v176, v3
	buffer_store_dword v2, off, s[0:3], 0 offset:320
	buffer_store_dword v3, off, s[0:3], 0 offset:324
	v_cmpx_lt_u32_e32 39, v0
	s_cbranch_execz .LBB55_271
; %bb.270:
	s_clause 0x1
	buffer_load_dword v2, off, s[0:3], 0 offset:312
	buffer_load_dword v3, off, s[0:3], 0 offset:316
	buffer_store_dword v1, off, s[0:3], 0 offset:312
	buffer_store_dword v1, off, s[0:3], 0 offset:316
	s_waitcnt vmcnt(0)
	ds_write_b64 v125, v[2:3]
.LBB55_271:
	s_or_b32 exec_lo, exec_lo, s4
	s_waitcnt lgkmcnt(0)
	s_waitcnt_vscnt null, 0x0
	s_barrier
	buffer_gl0_inv
	s_clause 0x21
	buffer_load_dword v10, off, s[0:3], 0 offset:324
	buffer_load_dword v11, off, s[0:3], 0 offset:332
	buffer_load_dword v12, off, s[0:3], 0 offset:340
	buffer_load_dword v150, off, s[0:3], 0 offset:348
	buffer_load_dword v151, off, s[0:3], 0 offset:356
	buffer_load_dword v152, off, s[0:3], 0 offset:364
	buffer_load_dword v153, off, s[0:3], 0 offset:372
	buffer_load_dword v154, off, s[0:3], 0 offset:380
	buffer_load_dword v155, off, s[0:3], 0 offset:388
	buffer_load_dword v156, off, s[0:3], 0 offset:396
	buffer_load_dword v157, off, s[0:3], 0 offset:404
	buffer_load_dword v158, off, s[0:3], 0 offset:412
	buffer_load_dword v159, off, s[0:3], 0 offset:420
	buffer_load_dword v160, off, s[0:3], 0 offset:428
	buffer_load_dword v161, off, s[0:3], 0 offset:436
	buffer_load_dword v162, off, s[0:3], 0 offset:444
	buffer_load_dword v163, off, s[0:3], 0 offset:320
	buffer_load_dword v164, off, s[0:3], 0 offset:328
	buffer_load_dword v165, off, s[0:3], 0 offset:336
	buffer_load_dword v166, off, s[0:3], 0 offset:344
	buffer_load_dword v167, off, s[0:3], 0 offset:352
	buffer_load_dword v168, off, s[0:3], 0 offset:360
	buffer_load_dword v169, off, s[0:3], 0 offset:368
	buffer_load_dword v170, off, s[0:3], 0 offset:376
	buffer_load_dword v171, off, s[0:3], 0 offset:384
	buffer_load_dword v172, off, s[0:3], 0 offset:392
	buffer_load_dword v173, off, s[0:3], 0 offset:400
	buffer_load_dword v174, off, s[0:3], 0 offset:408
	buffer_load_dword v175, off, s[0:3], 0 offset:416
	buffer_load_dword v176, off, s[0:3], 0 offset:424
	buffer_load_dword v177, off, s[0:3], 0 offset:432
	buffer_load_dword v178, off, s[0:3], 0 offset:440
	buffer_load_dword v179, off, s[0:3], 0 offset:312
	buffer_load_dword v180, off, s[0:3], 0 offset:316
	ds_read_b128 v[2:5], v1 offset:768
	ds_read_b128 v[6:9], v1 offset:784
	;; [unrolled: 1-line block ×8, first 2 shown]
	s_mov_b32 s4, exec_lo
	s_waitcnt vmcnt(33) lgkmcnt(7)
	v_mul_f32_e32 v1, v2, v10
	v_mul_f32_e32 v10, v3, v10
	s_waitcnt vmcnt(32)
	v_mul_f32_e32 v181, v4, v11
	v_mul_f32_e32 v11, v5, v11
	s_waitcnt vmcnt(31) lgkmcnt(6)
	v_mul_f32_e32 v182, v6, v12
	s_waitcnt vmcnt(30)
	v_mul_f32_e32 v183, v8, v150
	s_waitcnt vmcnt(29) lgkmcnt(5)
	v_mul_f32_e32 v184, v126, v151
	s_waitcnt vmcnt(28)
	;; [unrolled: 4-line block ×6, first 2 shown]
	v_mul_f32_e32 v193, v144, v160
	s_waitcnt vmcnt(17)
	v_fma_f32 v2, v2, v163, -v10
	v_fmac_f32_e32 v1, v3, v163
	v_mul_f32_e32 v3, v7, v12
	s_waitcnt vmcnt(16)
	v_fma_f32 v4, v4, v164, -v11
	v_fmac_f32_e32 v181, v5, v164
	v_add_f32_e32 v2, 0, v2
	v_add_f32_e32 v1, 0, v1
	v_mul_f32_e32 v5, v9, v150
	s_waitcnt vmcnt(15)
	v_fma_f32 v3, v6, v165, -v3
	v_fmac_f32_e32 v182, v7, v165
	v_add_f32_e32 v2, v2, v4
	v_add_f32_e32 v1, v1, v181
	;; [unrolled: 6-line block ×12, first 2 shown]
	s_waitcnt lgkmcnt(0)
	v_mul_f32_e32 v3, v147, v161
	s_waitcnt vmcnt(4)
	v_fma_f32 v4, v144, v176, -v4
	v_mul_f32_e32 v194, v146, v161
	v_add_f32_e32 v2, v2, v5
	v_fmac_f32_e32 v193, v145, v176
	v_add_f32_e32 v1, v1, v192
	v_mul_f32_e32 v5, v149, v162
	s_waitcnt vmcnt(3)
	v_fma_f32 v3, v146, v177, -v3
	v_add_f32_e32 v2, v2, v4
	v_mul_f32_e32 v195, v148, v162
	v_fmac_f32_e32 v194, v147, v177
	v_add_f32_e32 v1, v1, v193
	s_waitcnt vmcnt(2)
	v_fma_f32 v4, v148, v178, -v5
	v_add_f32_e32 v2, v2, v3
	v_fmac_f32_e32 v195, v149, v178
	v_add_f32_e32 v1, v1, v194
	v_add_f32_e32 v2, v2, v4
	;; [unrolled: 1-line block ×3, first 2 shown]
	s_waitcnt vmcnt(1)
	v_sub_f32_e32 v2, v179, v2
	s_waitcnt vmcnt(0)
	v_sub_f32_e32 v1, v180, v1
	buffer_store_dword v2, off, s[0:3], 0 offset:312
	buffer_store_dword v1, off, s[0:3], 0 offset:316
	v_cmpx_lt_u32_e32 38, v0
	s_cbranch_execz .LBB55_273
; %bb.272:
	s_clause 0x1
	buffer_load_dword v1, off, s[0:3], 0 offset:304
	buffer_load_dword v2, off, s[0:3], 0 offset:308
	v_mov_b32_e32 v3, 0
	buffer_store_dword v3, off, s[0:3], 0 offset:304
	buffer_store_dword v3, off, s[0:3], 0 offset:308
	s_waitcnt vmcnt(0)
	ds_write_b64 v125, v[1:2]
.LBB55_273:
	s_or_b32 exec_lo, exec_lo, s4
	s_waitcnt lgkmcnt(0)
	s_waitcnt_vscnt null, 0x0
	s_barrier
	buffer_gl0_inv
	s_clause 0x23
	buffer_load_dword v12, off, s[0:3], 0 offset:316
	buffer_load_dword v150, off, s[0:3], 0 offset:324
	;; [unrolled: 1-line block ×36, first 2 shown]
	v_mov_b32_e32 v1, 0
	ds_read2_b64 v[2:5], v1 offset0:95 offset1:96
	ds_read2_b64 v[6:9], v1 offset0:97 offset1:98
	;; [unrolled: 1-line block ×8, first 2 shown]
	ds_read_b64 v[10:11], v1 offset:888
	s_mov_b32 s4, exec_lo
	s_waitcnt vmcnt(35) lgkmcnt(8)
	v_mul_f32_e32 v185, v2, v12
	v_mul_f32_e32 v12, v3, v12
	s_waitcnt vmcnt(34)
	v_mul_f32_e32 v186, v4, v150
	v_mul_f32_e32 v150, v5, v150
	s_waitcnt vmcnt(33) lgkmcnt(7)
	v_mul_f32_e32 v187, v6, v151
	s_waitcnt vmcnt(32)
	v_mul_f32_e32 v188, v8, v152
	s_waitcnt vmcnt(31) lgkmcnt(6)
	v_mul_f32_e32 v189, v126, v153
	s_waitcnt vmcnt(30)
	;; [unrolled: 4-line block ×7, first 2 shown]
	v_fma_f32 v2, v2, v166, -v12
	v_fmac_f32_e32 v185, v3, v166
	v_mul_f32_e32 v3, v7, v151
	s_waitcnt vmcnt(17)
	v_fma_f32 v4, v4, v167, -v150
	v_fmac_f32_e32 v186, v5, v167
	v_add_f32_e32 v2, 0, v2
	v_add_f32_e32 v5, 0, v185
	v_mul_f32_e32 v12, v9, v152
	s_waitcnt vmcnt(16)
	v_fma_f32 v3, v6, v168, -v3
	v_fmac_f32_e32 v187, v7, v168
	v_add_f32_e32 v2, v2, v4
	v_add_f32_e32 v4, v5, v186
	;; [unrolled: 6-line block ×13, first 2 shown]
	v_mul_f32_e32 v6, v149, v164
	s_waitcnt vmcnt(4)
	v_fma_f32 v4, v146, v180, -v4
	v_mul_f32_e32 v200, v148, v164
	v_add_f32_e32 v2, v2, v5
	v_fmac_f32_e32 v199, v147, v180
	v_add_f32_e32 v3, v3, v198
	s_waitcnt lgkmcnt(0)
	v_mul_f32_e32 v5, v11, v165
	s_waitcnt vmcnt(3)
	v_fma_f32 v6, v148, v181, -v6
	v_add_f32_e32 v2, v2, v4
	v_mul_f32_e32 v201, v10, v165
	v_fmac_f32_e32 v200, v149, v181
	v_add_f32_e32 v3, v3, v199
	s_waitcnt vmcnt(2)
	v_fma_f32 v4, v10, v182, -v5
	v_add_f32_e32 v2, v2, v6
	v_fmac_f32_e32 v201, v11, v182
	v_add_f32_e32 v3, v3, v200
	v_add_f32_e32 v2, v2, v4
	v_add_f32_e32 v3, v3, v201
	s_waitcnt vmcnt(1)
	v_sub_f32_e32 v2, v183, v2
	s_waitcnt vmcnt(0)
	v_sub_f32_e32 v3, v184, v3
	buffer_store_dword v2, off, s[0:3], 0 offset:304
	buffer_store_dword v3, off, s[0:3], 0 offset:308
	v_cmpx_lt_u32_e32 37, v0
	s_cbranch_execz .LBB55_275
; %bb.274:
	s_clause 0x1
	buffer_load_dword v2, off, s[0:3], 0 offset:296
	buffer_load_dword v3, off, s[0:3], 0 offset:300
	buffer_store_dword v1, off, s[0:3], 0 offset:296
	buffer_store_dword v1, off, s[0:3], 0 offset:300
	s_waitcnt vmcnt(0)
	ds_write_b64 v125, v[2:3]
.LBB55_275:
	s_or_b32 exec_lo, exec_lo, s4
	s_waitcnt lgkmcnt(0)
	s_waitcnt_vscnt null, 0x0
	s_barrier
	buffer_gl0_inv
	s_clause 0x25
	buffer_load_dword v10, off, s[0:3], 0 offset:308
	buffer_load_dword v11, off, s[0:3], 0 offset:316
	;; [unrolled: 1-line block ×38, first 2 shown]
	ds_read_b128 v[2:5], v1 offset:752
	ds_read_b128 v[6:9], v1 offset:768
	;; [unrolled: 1-line block ×9, first 2 shown]
	s_mov_b32 s4, exec_lo
	s_waitcnt vmcnt(37) lgkmcnt(8)
	v_mul_f32_e32 v1, v2, v10
	v_mul_f32_e32 v10, v3, v10
	s_waitcnt vmcnt(36)
	v_mul_f32_e32 v189, v4, v11
	v_mul_f32_e32 v11, v5, v11
	s_waitcnt vmcnt(35) lgkmcnt(7)
	v_mul_f32_e32 v190, v6, v12
	s_waitcnt vmcnt(34)
	v_mul_f32_e32 v191, v8, v154
	s_waitcnt vmcnt(33) lgkmcnt(6)
	v_mul_f32_e32 v192, v126, v155
	s_waitcnt vmcnt(32)
	;; [unrolled: 4-line block ×7, first 2 shown]
	v_mul_f32_e32 v203, v148, v166
	s_waitcnt vmcnt(19)
	v_fma_f32 v2, v2, v169, -v10
	v_fmac_f32_e32 v1, v3, v169
	v_mul_f32_e32 v3, v7, v12
	s_waitcnt vmcnt(18)
	v_fma_f32 v4, v4, v170, -v11
	v_fmac_f32_e32 v189, v5, v170
	v_add_f32_e32 v2, 0, v2
	v_add_f32_e32 v1, 0, v1
	v_mul_f32_e32 v5, v9, v154
	s_waitcnt vmcnt(17)
	v_fma_f32 v3, v6, v171, -v3
	v_fmac_f32_e32 v190, v7, v171
	v_add_f32_e32 v2, v2, v4
	v_add_f32_e32 v1, v1, v189
	;; [unrolled: 6-line block ×14, first 2 shown]
	s_waitcnt lgkmcnt(0)
	v_mul_f32_e32 v4, v151, v167
	s_waitcnt vmcnt(4)
	v_fma_f32 v5, v148, v184, -v5
	v_mul_f32_e32 v204, v150, v167
	v_add_f32_e32 v2, v2, v3
	v_fmac_f32_e32 v203, v149, v184
	v_add_f32_e32 v1, v1, v202
	v_mul_f32_e32 v3, v153, v168
	s_waitcnt vmcnt(3)
	v_fma_f32 v4, v150, v185, -v4
	v_add_f32_e32 v2, v2, v5
	v_mul_f32_e32 v205, v152, v168
	v_fmac_f32_e32 v204, v151, v185
	v_add_f32_e32 v1, v1, v203
	s_waitcnt vmcnt(2)
	v_fma_f32 v3, v152, v186, -v3
	v_add_f32_e32 v2, v2, v4
	v_fmac_f32_e32 v205, v153, v186
	v_add_f32_e32 v1, v1, v204
	v_add_f32_e32 v2, v2, v3
	;; [unrolled: 1-line block ×3, first 2 shown]
	s_waitcnt vmcnt(1)
	v_sub_f32_e32 v2, v187, v2
	s_waitcnt vmcnt(0)
	v_sub_f32_e32 v1, v188, v1
	buffer_store_dword v2, off, s[0:3], 0 offset:296
	buffer_store_dword v1, off, s[0:3], 0 offset:300
	v_cmpx_lt_u32_e32 36, v0
	s_cbranch_execz .LBB55_277
; %bb.276:
	s_clause 0x1
	buffer_load_dword v1, off, s[0:3], 0 offset:288
	buffer_load_dword v2, off, s[0:3], 0 offset:292
	v_mov_b32_e32 v3, 0
	buffer_store_dword v3, off, s[0:3], 0 offset:288
	buffer_store_dword v3, off, s[0:3], 0 offset:292
	s_waitcnt vmcnt(0)
	ds_write_b64 v125, v[1:2]
.LBB55_277:
	s_or_b32 exec_lo, exec_lo, s4
	s_waitcnt lgkmcnt(0)
	s_waitcnt_vscnt null, 0x0
	s_barrier
	buffer_gl0_inv
	s_clause 0x27
	buffer_load_dword v12, off, s[0:3], 0 offset:300
	buffer_load_dword v154, off, s[0:3], 0 offset:308
	;; [unrolled: 1-line block ×40, first 2 shown]
	v_mov_b32_e32 v1, 0
	ds_read2_b64 v[2:5], v1 offset0:93 offset1:94
	ds_read2_b64 v[6:9], v1 offset0:95 offset1:96
	;; [unrolled: 1-line block ×9, first 2 shown]
	ds_read_b64 v[10:11], v1 offset:888
	s_mov_b32 s4, exec_lo
	s_waitcnt vmcnt(39) lgkmcnt(9)
	v_mul_f32_e32 v193, v2, v12
	v_mul_f32_e32 v12, v3, v12
	s_waitcnt vmcnt(38)
	v_mul_f32_e32 v194, v4, v154
	v_mul_f32_e32 v154, v5, v154
	s_waitcnt vmcnt(37) lgkmcnt(8)
	v_mul_f32_e32 v195, v6, v155
	s_waitcnt vmcnt(36)
	v_mul_f32_e32 v196, v8, v156
	s_waitcnt vmcnt(35) lgkmcnt(7)
	v_mul_f32_e32 v197, v126, v157
	s_waitcnt vmcnt(34)
	;; [unrolled: 4-line block ×8, first 2 shown]
	v_fma_f32 v2, v2, v172, -v12
	v_fmac_f32_e32 v193, v3, v172
	v_mul_f32_e32 v3, v7, v155
	s_waitcnt vmcnt(19)
	v_fma_f32 v4, v4, v173, -v154
	v_fmac_f32_e32 v194, v5, v173
	v_add_f32_e32 v2, 0, v2
	v_add_f32_e32 v5, 0, v193
	v_mul_f32_e32 v12, v9, v156
	s_waitcnt vmcnt(18)
	v_fma_f32 v3, v6, v174, -v3
	v_fmac_f32_e32 v195, v7, v174
	v_add_f32_e32 v2, v2, v4
	v_add_f32_e32 v4, v5, v194
	;; [unrolled: 6-line block ×15, first 2 shown]
	v_mul_f32_e32 v4, v153, v170
	s_waitcnt vmcnt(4)
	v_fma_f32 v5, v150, v188, -v5
	v_mul_f32_e32 v210, v152, v170
	v_add_f32_e32 v2, v2, v6
	v_fmac_f32_e32 v209, v151, v188
	v_add_f32_e32 v3, v3, v208
	s_waitcnt lgkmcnt(0)
	v_mul_f32_e32 v6, v11, v171
	s_waitcnt vmcnt(3)
	v_fma_f32 v4, v152, v189, -v4
	v_add_f32_e32 v2, v2, v5
	v_mul_f32_e32 v211, v10, v171
	v_fmac_f32_e32 v210, v153, v189
	v_add_f32_e32 v3, v3, v209
	s_waitcnt vmcnt(2)
	v_fma_f32 v5, v10, v190, -v6
	v_add_f32_e32 v2, v2, v4
	v_fmac_f32_e32 v211, v11, v190
	v_add_f32_e32 v3, v3, v210
	v_add_f32_e32 v2, v2, v5
	;; [unrolled: 1-line block ×3, first 2 shown]
	s_waitcnt vmcnt(1)
	v_sub_f32_e32 v2, v191, v2
	s_waitcnt vmcnt(0)
	v_sub_f32_e32 v3, v192, v3
	buffer_store_dword v2, off, s[0:3], 0 offset:288
	buffer_store_dword v3, off, s[0:3], 0 offset:292
	v_cmpx_lt_u32_e32 35, v0
	s_cbranch_execz .LBB55_279
; %bb.278:
	s_clause 0x1
	buffer_load_dword v2, off, s[0:3], 0 offset:280
	buffer_load_dword v3, off, s[0:3], 0 offset:284
	buffer_store_dword v1, off, s[0:3], 0 offset:280
	buffer_store_dword v1, off, s[0:3], 0 offset:284
	s_waitcnt vmcnt(0)
	ds_write_b64 v125, v[2:3]
.LBB55_279:
	s_or_b32 exec_lo, exec_lo, s4
	s_waitcnt lgkmcnt(0)
	s_waitcnt_vscnt null, 0x0
	s_barrier
	buffer_gl0_inv
	s_clause 0x29
	buffer_load_dword v10, off, s[0:3], 0 offset:292
	buffer_load_dword v11, off, s[0:3], 0 offset:300
	;; [unrolled: 1-line block ×42, first 2 shown]
	ds_read_b128 v[2:5], v1 offset:736
	ds_read_b128 v[6:9], v1 offset:752
	;; [unrolled: 1-line block ×10, first 2 shown]
	s_mov_b32 s4, exec_lo
	s_waitcnt vmcnt(41) lgkmcnt(9)
	v_mul_f32_e32 v1, v2, v10
	v_mul_f32_e32 v10, v3, v10
	s_waitcnt vmcnt(40)
	v_mul_f32_e32 v197, v4, v11
	v_mul_f32_e32 v11, v5, v11
	s_waitcnt vmcnt(39) lgkmcnt(8)
	v_mul_f32_e32 v198, v6, v12
	s_waitcnt vmcnt(38)
	v_mul_f32_e32 v199, v8, v158
	s_waitcnt vmcnt(37) lgkmcnt(7)
	v_mul_f32_e32 v200, v126, v159
	s_waitcnt vmcnt(36)
	;; [unrolled: 4-line block ×8, first 2 shown]
	v_mul_f32_e32 v213, v152, v172
	s_waitcnt vmcnt(21)
	v_fma_f32 v2, v2, v175, -v10
	v_fmac_f32_e32 v1, v3, v175
	v_mul_f32_e32 v3, v7, v12
	s_waitcnt vmcnt(20)
	v_fma_f32 v4, v4, v176, -v11
	v_fmac_f32_e32 v197, v5, v176
	v_add_f32_e32 v2, 0, v2
	v_add_f32_e32 v1, 0, v1
	v_mul_f32_e32 v5, v9, v158
	s_waitcnt vmcnt(19)
	v_fma_f32 v3, v6, v177, -v3
	v_fmac_f32_e32 v198, v7, v177
	v_add_f32_e32 v2, v2, v4
	v_add_f32_e32 v1, v1, v197
	;; [unrolled: 6-line block ×16, first 2 shown]
	s_waitcnt lgkmcnt(0)
	v_mul_f32_e32 v5, v155, v173
	s_waitcnt vmcnt(4)
	v_fma_f32 v3, v152, v192, -v3
	v_mul_f32_e32 v214, v154, v173
	v_add_f32_e32 v2, v2, v4
	v_fmac_f32_e32 v213, v153, v192
	v_add_f32_e32 v1, v1, v212
	v_mul_f32_e32 v4, v157, v174
	s_waitcnt vmcnt(3)
	v_fma_f32 v5, v154, v193, -v5
	v_add_f32_e32 v2, v2, v3
	v_mul_f32_e32 v215, v156, v174
	v_fmac_f32_e32 v214, v155, v193
	v_add_f32_e32 v1, v1, v213
	s_waitcnt vmcnt(2)
	v_fma_f32 v3, v156, v194, -v4
	v_add_f32_e32 v2, v2, v5
	v_fmac_f32_e32 v215, v157, v194
	v_add_f32_e32 v1, v1, v214
	v_add_f32_e32 v2, v2, v3
	;; [unrolled: 1-line block ×3, first 2 shown]
	s_waitcnt vmcnt(1)
	v_sub_f32_e32 v2, v195, v2
	s_waitcnt vmcnt(0)
	v_sub_f32_e32 v1, v196, v1
	buffer_store_dword v2, off, s[0:3], 0 offset:280
	buffer_store_dword v1, off, s[0:3], 0 offset:284
	v_cmpx_lt_u32_e32 34, v0
	s_cbranch_execz .LBB55_281
; %bb.280:
	s_clause 0x1
	buffer_load_dword v1, off, s[0:3], 0 offset:272
	buffer_load_dword v2, off, s[0:3], 0 offset:276
	v_mov_b32_e32 v3, 0
	buffer_store_dword v3, off, s[0:3], 0 offset:272
	buffer_store_dword v3, off, s[0:3], 0 offset:276
	s_waitcnt vmcnt(0)
	ds_write_b64 v125, v[1:2]
.LBB55_281:
	s_or_b32 exec_lo, exec_lo, s4
	s_waitcnt lgkmcnt(0)
	s_waitcnt_vscnt null, 0x0
	s_barrier
	buffer_gl0_inv
	s_clause 0x2b
	buffer_load_dword v12, off, s[0:3], 0 offset:284
	buffer_load_dword v158, off, s[0:3], 0 offset:292
	;; [unrolled: 1-line block ×44, first 2 shown]
	v_mov_b32_e32 v1, 0
	ds_read2_b64 v[2:5], v1 offset0:91 offset1:92
	ds_read2_b64 v[6:9], v1 offset0:93 offset1:94
	;; [unrolled: 1-line block ×10, first 2 shown]
	ds_read_b64 v[10:11], v1 offset:888
	s_mov_b32 s4, exec_lo
	s_waitcnt vmcnt(43) lgkmcnt(10)
	v_mul_f32_e32 v201, v2, v12
	v_mul_f32_e32 v12, v3, v12
	s_waitcnt vmcnt(42)
	v_mul_f32_e32 v202, v4, v158
	v_mul_f32_e32 v158, v5, v158
	s_waitcnt vmcnt(41) lgkmcnt(9)
	v_mul_f32_e32 v203, v6, v159
	s_waitcnt vmcnt(40)
	v_mul_f32_e32 v204, v8, v160
	s_waitcnt vmcnt(39) lgkmcnt(8)
	v_mul_f32_e32 v205, v126, v161
	s_waitcnt vmcnt(38)
	;; [unrolled: 4-line block ×9, first 2 shown]
	v_fma_f32 v2, v2, v178, -v12
	v_fmac_f32_e32 v201, v3, v178
	v_mul_f32_e32 v3, v7, v159
	s_waitcnt vmcnt(21)
	v_fma_f32 v4, v4, v179, -v158
	v_fmac_f32_e32 v202, v5, v179
	v_add_f32_e32 v2, 0, v2
	v_add_f32_e32 v5, 0, v201
	v_mul_f32_e32 v12, v9, v160
	s_waitcnt vmcnt(20)
	v_fma_f32 v3, v6, v180, -v3
	v_fmac_f32_e32 v203, v7, v180
	v_add_f32_e32 v2, v2, v4
	v_add_f32_e32 v4, v5, v202
	;; [unrolled: 6-line block ×17, first 2 shown]
	v_mul_f32_e32 v5, v157, v176
	s_waitcnt vmcnt(4)
	v_fma_f32 v6, v154, v196, -v6
	v_mul_f32_e32 v220, v156, v176
	v_add_f32_e32 v2, v2, v4
	v_fmac_f32_e32 v219, v155, v196
	v_add_f32_e32 v3, v3, v218
	s_waitcnt lgkmcnt(0)
	v_mul_f32_e32 v4, v11, v177
	s_waitcnt vmcnt(3)
	v_fma_f32 v5, v156, v197, -v5
	v_add_f32_e32 v2, v2, v6
	v_mul_f32_e32 v221, v10, v177
	v_fmac_f32_e32 v220, v157, v197
	v_add_f32_e32 v3, v3, v219
	s_waitcnt vmcnt(2)
	v_fma_f32 v4, v10, v198, -v4
	v_add_f32_e32 v2, v2, v5
	v_fmac_f32_e32 v221, v11, v198
	v_add_f32_e32 v3, v3, v220
	v_add_f32_e32 v2, v2, v4
	;; [unrolled: 1-line block ×3, first 2 shown]
	s_waitcnt vmcnt(1)
	v_sub_f32_e32 v2, v199, v2
	s_waitcnt vmcnt(0)
	v_sub_f32_e32 v3, v200, v3
	buffer_store_dword v2, off, s[0:3], 0 offset:272
	buffer_store_dword v3, off, s[0:3], 0 offset:276
	v_cmpx_lt_u32_e32 33, v0
	s_cbranch_execz .LBB55_283
; %bb.282:
	s_clause 0x1
	buffer_load_dword v2, off, s[0:3], 0 offset:264
	buffer_load_dword v3, off, s[0:3], 0 offset:268
	buffer_store_dword v1, off, s[0:3], 0 offset:264
	buffer_store_dword v1, off, s[0:3], 0 offset:268
	s_waitcnt vmcnt(0)
	ds_write_b64 v125, v[2:3]
.LBB55_283:
	s_or_b32 exec_lo, exec_lo, s4
	s_waitcnt lgkmcnt(0)
	s_waitcnt_vscnt null, 0x0
	s_barrier
	buffer_gl0_inv
	s_clause 0x2d
	buffer_load_dword v10, off, s[0:3], 0 offset:276
	buffer_load_dword v11, off, s[0:3], 0 offset:284
	;; [unrolled: 1-line block ×46, first 2 shown]
	ds_read_b128 v[2:5], v1 offset:720
	ds_read_b128 v[6:9], v1 offset:736
	;; [unrolled: 1-line block ×11, first 2 shown]
	s_mov_b32 s4, exec_lo
	s_waitcnt vmcnt(45) lgkmcnt(10)
	v_mul_f32_e32 v1, v2, v10
	v_mul_f32_e32 v10, v3, v10
	s_waitcnt vmcnt(44)
	v_mul_f32_e32 v205, v4, v11
	v_mul_f32_e32 v11, v5, v11
	s_waitcnt vmcnt(43) lgkmcnt(9)
	v_mul_f32_e32 v206, v6, v12
	s_waitcnt vmcnt(42)
	v_mul_f32_e32 v207, v8, v162
	s_waitcnt vmcnt(41) lgkmcnt(8)
	v_mul_f32_e32 v208, v126, v163
	s_waitcnt vmcnt(40)
	;; [unrolled: 4-line block ×9, first 2 shown]
	v_mul_f32_e32 v223, v156, v178
	s_waitcnt vmcnt(23)
	v_fma_f32 v2, v2, v181, -v10
	v_fmac_f32_e32 v1, v3, v181
	v_mul_f32_e32 v3, v7, v12
	s_waitcnt vmcnt(22)
	v_fma_f32 v4, v4, v182, -v11
	v_fmac_f32_e32 v205, v5, v182
	v_add_f32_e32 v2, 0, v2
	v_add_f32_e32 v1, 0, v1
	v_mul_f32_e32 v5, v9, v162
	s_waitcnt vmcnt(21)
	v_fma_f32 v3, v6, v183, -v3
	v_fmac_f32_e32 v206, v7, v183
	v_add_f32_e32 v2, v2, v4
	v_add_f32_e32 v1, v1, v205
	;; [unrolled: 6-line block ×18, first 2 shown]
	s_waitcnt lgkmcnt(0)
	v_mul_f32_e32 v3, v159, v179
	s_waitcnt vmcnt(4)
	v_fma_f32 v4, v156, v200, -v4
	v_mul_f32_e32 v224, v158, v179
	v_add_f32_e32 v2, v2, v5
	v_fmac_f32_e32 v223, v157, v200
	v_add_f32_e32 v1, v1, v222
	v_mul_f32_e32 v5, v161, v180
	s_waitcnt vmcnt(3)
	v_fma_f32 v3, v158, v201, -v3
	v_add_f32_e32 v2, v2, v4
	v_mul_f32_e32 v225, v160, v180
	v_fmac_f32_e32 v224, v159, v201
	v_add_f32_e32 v1, v1, v223
	s_waitcnt vmcnt(2)
	v_fma_f32 v4, v160, v202, -v5
	v_add_f32_e32 v2, v2, v3
	v_fmac_f32_e32 v225, v161, v202
	v_add_f32_e32 v1, v1, v224
	v_add_f32_e32 v2, v2, v4
	;; [unrolled: 1-line block ×3, first 2 shown]
	s_waitcnt vmcnt(1)
	v_sub_f32_e32 v2, v203, v2
	s_waitcnt vmcnt(0)
	v_sub_f32_e32 v1, v204, v1
	buffer_store_dword v2, off, s[0:3], 0 offset:264
	buffer_store_dword v1, off, s[0:3], 0 offset:268
	v_cmpx_lt_u32_e32 32, v0
	s_cbranch_execz .LBB55_285
; %bb.284:
	s_clause 0x1
	buffer_load_dword v1, off, s[0:3], 0 offset:256
	buffer_load_dword v2, off, s[0:3], 0 offset:260
	v_mov_b32_e32 v3, 0
	buffer_store_dword v3, off, s[0:3], 0 offset:256
	buffer_store_dword v3, off, s[0:3], 0 offset:260
	s_waitcnt vmcnt(0)
	ds_write_b64 v125, v[1:2]
.LBB55_285:
	s_or_b32 exec_lo, exec_lo, s4
	s_waitcnt lgkmcnt(0)
	s_waitcnt_vscnt null, 0x0
	s_barrier
	buffer_gl0_inv
	s_clause 0x2f
	buffer_load_dword v12, off, s[0:3], 0 offset:268
	buffer_load_dword v162, off, s[0:3], 0 offset:276
	;; [unrolled: 1-line block ×48, first 2 shown]
	v_mov_b32_e32 v1, 0
	ds_read2_b64 v[2:5], v1 offset0:89 offset1:90
	ds_read2_b64 v[6:9], v1 offset0:91 offset1:92
	;; [unrolled: 1-line block ×11, first 2 shown]
	ds_read_b64 v[10:11], v1 offset:888
	s_mov_b32 s4, exec_lo
	s_waitcnt vmcnt(47) lgkmcnt(11)
	v_mul_f32_e32 v209, v2, v12
	v_mul_f32_e32 v12, v3, v12
	s_waitcnt vmcnt(46)
	v_mul_f32_e32 v210, v4, v162
	v_mul_f32_e32 v162, v5, v162
	s_waitcnt vmcnt(45) lgkmcnt(10)
	v_mul_f32_e32 v211, v6, v163
	s_waitcnt vmcnt(44)
	v_mul_f32_e32 v212, v8, v164
	s_waitcnt vmcnt(43) lgkmcnt(9)
	v_mul_f32_e32 v213, v126, v165
	s_waitcnt vmcnt(42)
	;; [unrolled: 4-line block ×10, first 2 shown]
	v_fma_f32 v2, v2, v184, -v12
	v_fmac_f32_e32 v209, v3, v184
	v_mul_f32_e32 v3, v7, v163
	s_waitcnt vmcnt(23)
	v_fma_f32 v4, v4, v185, -v162
	v_fmac_f32_e32 v210, v5, v185
	v_add_f32_e32 v2, 0, v2
	v_add_f32_e32 v5, 0, v209
	v_mul_f32_e32 v12, v9, v164
	s_waitcnt vmcnt(22)
	v_fma_f32 v3, v6, v186, -v3
	v_fmac_f32_e32 v211, v7, v186
	v_add_f32_e32 v2, v2, v4
	v_add_f32_e32 v4, v5, v210
	;; [unrolled: 6-line block ×19, first 2 shown]
	v_mul_f32_e32 v6, v161, v182
	s_waitcnt vmcnt(4)
	v_fma_f32 v4, v158, v204, -v4
	v_mul_f32_e32 v230, v160, v182
	v_add_f32_e32 v2, v2, v5
	v_fmac_f32_e32 v229, v159, v204
	v_add_f32_e32 v3, v3, v228
	s_waitcnt lgkmcnt(0)
	v_mul_f32_e32 v5, v11, v183
	s_waitcnt vmcnt(3)
	v_fma_f32 v6, v160, v205, -v6
	v_add_f32_e32 v2, v2, v4
	v_mul_f32_e32 v231, v10, v183
	v_fmac_f32_e32 v230, v161, v205
	v_add_f32_e32 v3, v3, v229
	s_waitcnt vmcnt(2)
	v_fma_f32 v4, v10, v206, -v5
	v_add_f32_e32 v2, v2, v6
	v_fmac_f32_e32 v231, v11, v206
	v_add_f32_e32 v3, v3, v230
	v_add_f32_e32 v2, v2, v4
	;; [unrolled: 1-line block ×3, first 2 shown]
	s_waitcnt vmcnt(1)
	v_sub_f32_e32 v2, v207, v2
	s_waitcnt vmcnt(0)
	v_sub_f32_e32 v3, v208, v3
	buffer_store_dword v2, off, s[0:3], 0 offset:256
	buffer_store_dword v3, off, s[0:3], 0 offset:260
	v_cmpx_lt_u32_e32 31, v0
	s_cbranch_execz .LBB55_287
; %bb.286:
	s_clause 0x1
	buffer_load_dword v2, off, s[0:3], 0 offset:248
	buffer_load_dword v3, off, s[0:3], 0 offset:252
	buffer_store_dword v1, off, s[0:3], 0 offset:248
	buffer_store_dword v1, off, s[0:3], 0 offset:252
	s_waitcnt vmcnt(0)
	ds_write_b64 v125, v[2:3]
.LBB55_287:
	s_or_b32 exec_lo, exec_lo, s4
	s_waitcnt lgkmcnt(0)
	s_waitcnt_vscnt null, 0x0
	s_barrier
	buffer_gl0_inv
	s_clause 0x31
	buffer_load_dword v10, off, s[0:3], 0 offset:260
	buffer_load_dword v11, off, s[0:3], 0 offset:268
	buffer_load_dword v12, off, s[0:3], 0 offset:276
	buffer_load_dword v166, off, s[0:3], 0 offset:284
	buffer_load_dword v167, off, s[0:3], 0 offset:292
	buffer_load_dword v168, off, s[0:3], 0 offset:300
	buffer_load_dword v169, off, s[0:3], 0 offset:308
	buffer_load_dword v170, off, s[0:3], 0 offset:316
	buffer_load_dword v171, off, s[0:3], 0 offset:324
	buffer_load_dword v172, off, s[0:3], 0 offset:332
	buffer_load_dword v173, off, s[0:3], 0 offset:340
	buffer_load_dword v174, off, s[0:3], 0 offset:348
	buffer_load_dword v175, off, s[0:3], 0 offset:356
	buffer_load_dword v176, off, s[0:3], 0 offset:364
	buffer_load_dword v177, off, s[0:3], 0 offset:372
	buffer_load_dword v178, off, s[0:3], 0 offset:380
	buffer_load_dword v179, off, s[0:3], 0 offset:388
	buffer_load_dword v180, off, s[0:3], 0 offset:396
	buffer_load_dword v181, off, s[0:3], 0 offset:404
	buffer_load_dword v182, off, s[0:3], 0 offset:412
	buffer_load_dword v183, off, s[0:3], 0 offset:420
	buffer_load_dword v184, off, s[0:3], 0 offset:428
	buffer_load_dword v185, off, s[0:3], 0 offset:436
	buffer_load_dword v186, off, s[0:3], 0 offset:444
	buffer_load_dword v187, off, s[0:3], 0 offset:256
	buffer_load_dword v188, off, s[0:3], 0 offset:264
	buffer_load_dword v189, off, s[0:3], 0 offset:272
	buffer_load_dword v190, off, s[0:3], 0 offset:280
	buffer_load_dword v191, off, s[0:3], 0 offset:288
	buffer_load_dword v192, off, s[0:3], 0 offset:296
	buffer_load_dword v193, off, s[0:3], 0 offset:304
	buffer_load_dword v194, off, s[0:3], 0 offset:312
	buffer_load_dword v195, off, s[0:3], 0 offset:320
	buffer_load_dword v196, off, s[0:3], 0 offset:328
	buffer_load_dword v197, off, s[0:3], 0 offset:336
	buffer_load_dword v198, off, s[0:3], 0 offset:344
	buffer_load_dword v199, off, s[0:3], 0 offset:352
	buffer_load_dword v200, off, s[0:3], 0 offset:360
	buffer_load_dword v201, off, s[0:3], 0 offset:368
	buffer_load_dword v202, off, s[0:3], 0 offset:376
	buffer_load_dword v203, off, s[0:3], 0 offset:384
	buffer_load_dword v204, off, s[0:3], 0 offset:392
	buffer_load_dword v205, off, s[0:3], 0 offset:400
	buffer_load_dword v206, off, s[0:3], 0 offset:408
	buffer_load_dword v207, off, s[0:3], 0 offset:416
	buffer_load_dword v208, off, s[0:3], 0 offset:424
	buffer_load_dword v209, off, s[0:3], 0 offset:432
	buffer_load_dword v210, off, s[0:3], 0 offset:440
	buffer_load_dword v211, off, s[0:3], 0 offset:248
	buffer_load_dword v212, off, s[0:3], 0 offset:252
	ds_read_b128 v[2:5], v1 offset:704
	ds_read_b128 v[6:9], v1 offset:720
	;; [unrolled: 1-line block ×12, first 2 shown]
	s_mov_b32 s4, exec_lo
	s_waitcnt vmcnt(49) lgkmcnt(11)
	v_mul_f32_e32 v1, v2, v10
	v_mul_f32_e32 v10, v3, v10
	s_waitcnt vmcnt(48)
	v_mul_f32_e32 v213, v4, v11
	v_mul_f32_e32 v11, v5, v11
	s_waitcnt vmcnt(47) lgkmcnt(10)
	v_mul_f32_e32 v214, v6, v12
	s_waitcnt vmcnt(46)
	v_mul_f32_e32 v215, v8, v166
	s_waitcnt vmcnt(45) lgkmcnt(9)
	v_mul_f32_e32 v216, v126, v167
	s_waitcnt vmcnt(44)
	;; [unrolled: 4-line block ×10, first 2 shown]
	v_mul_f32_e32 v233, v160, v184
	s_waitcnt vmcnt(25)
	v_fma_f32 v2, v2, v187, -v10
	v_fmac_f32_e32 v1, v3, v187
	v_mul_f32_e32 v3, v7, v12
	s_waitcnt vmcnt(24)
	v_fma_f32 v4, v4, v188, -v11
	v_fmac_f32_e32 v213, v5, v188
	v_add_f32_e32 v2, 0, v2
	v_add_f32_e32 v1, 0, v1
	v_mul_f32_e32 v5, v9, v166
	s_waitcnt vmcnt(23)
	v_fma_f32 v3, v6, v189, -v3
	v_fmac_f32_e32 v214, v7, v189
	v_add_f32_e32 v2, v2, v4
	v_add_f32_e32 v1, v1, v213
	;; [unrolled: 6-line block ×20, first 2 shown]
	s_waitcnt lgkmcnt(0)
	v_mul_f32_e32 v4, v163, v185
	s_waitcnt vmcnt(4)
	v_fma_f32 v5, v160, v208, -v5
	v_mul_f32_e32 v234, v162, v185
	v_add_f32_e32 v2, v2, v3
	v_fmac_f32_e32 v233, v161, v208
	v_add_f32_e32 v1, v1, v232
	v_mul_f32_e32 v3, v165, v186
	s_waitcnt vmcnt(3)
	v_fma_f32 v4, v162, v209, -v4
	v_add_f32_e32 v2, v2, v5
	v_mul_f32_e32 v235, v164, v186
	v_fmac_f32_e32 v234, v163, v209
	v_add_f32_e32 v1, v1, v233
	s_waitcnt vmcnt(2)
	v_fma_f32 v3, v164, v210, -v3
	v_add_f32_e32 v2, v2, v4
	v_fmac_f32_e32 v235, v165, v210
	v_add_f32_e32 v1, v1, v234
	v_add_f32_e32 v2, v2, v3
	;; [unrolled: 1-line block ×3, first 2 shown]
	s_waitcnt vmcnt(1)
	v_sub_f32_e32 v2, v211, v2
	s_waitcnt vmcnt(0)
	v_sub_f32_e32 v1, v212, v1
	buffer_store_dword v2, off, s[0:3], 0 offset:248
	buffer_store_dword v1, off, s[0:3], 0 offset:252
	v_cmpx_lt_u32_e32 30, v0
	s_cbranch_execz .LBB55_289
; %bb.288:
	s_clause 0x1
	buffer_load_dword v1, off, s[0:3], 0 offset:240
	buffer_load_dword v2, off, s[0:3], 0 offset:244
	v_mov_b32_e32 v3, 0
	buffer_store_dword v3, off, s[0:3], 0 offset:240
	buffer_store_dword v3, off, s[0:3], 0 offset:244
	s_waitcnt vmcnt(0)
	ds_write_b64 v125, v[1:2]
.LBB55_289:
	s_or_b32 exec_lo, exec_lo, s4
	s_waitcnt lgkmcnt(0)
	s_waitcnt_vscnt null, 0x0
	s_barrier
	buffer_gl0_inv
	s_clause 0x33
	buffer_load_dword v12, off, s[0:3], 0 offset:252
	buffer_load_dword v166, off, s[0:3], 0 offset:260
	buffer_load_dword v167, off, s[0:3], 0 offset:268
	buffer_load_dword v168, off, s[0:3], 0 offset:276
	buffer_load_dword v169, off, s[0:3], 0 offset:284
	buffer_load_dword v170, off, s[0:3], 0 offset:292
	buffer_load_dword v171, off, s[0:3], 0 offset:300
	buffer_load_dword v172, off, s[0:3], 0 offset:308
	buffer_load_dword v173, off, s[0:3], 0 offset:316
	buffer_load_dword v174, off, s[0:3], 0 offset:324
	buffer_load_dword v175, off, s[0:3], 0 offset:332
	buffer_load_dword v176, off, s[0:3], 0 offset:340
	buffer_load_dword v177, off, s[0:3], 0 offset:348
	buffer_load_dword v178, off, s[0:3], 0 offset:356
	buffer_load_dword v179, off, s[0:3], 0 offset:364
	buffer_load_dword v180, off, s[0:3], 0 offset:372
	buffer_load_dword v181, off, s[0:3], 0 offset:380
	buffer_load_dword v182, off, s[0:3], 0 offset:388
	buffer_load_dword v183, off, s[0:3], 0 offset:396
	buffer_load_dword v184, off, s[0:3], 0 offset:404
	buffer_load_dword v185, off, s[0:3], 0 offset:412
	buffer_load_dword v186, off, s[0:3], 0 offset:420
	buffer_load_dword v187, off, s[0:3], 0 offset:428
	buffer_load_dword v188, off, s[0:3], 0 offset:436
	buffer_load_dword v189, off, s[0:3], 0 offset:444
	buffer_load_dword v190, off, s[0:3], 0 offset:248
	buffer_load_dword v191, off, s[0:3], 0 offset:256
	buffer_load_dword v192, off, s[0:3], 0 offset:264
	buffer_load_dword v193, off, s[0:3], 0 offset:272
	buffer_load_dword v194, off, s[0:3], 0 offset:280
	buffer_load_dword v195, off, s[0:3], 0 offset:288
	buffer_load_dword v196, off, s[0:3], 0 offset:296
	buffer_load_dword v197, off, s[0:3], 0 offset:304
	buffer_load_dword v198, off, s[0:3], 0 offset:312
	buffer_load_dword v199, off, s[0:3], 0 offset:320
	buffer_load_dword v200, off, s[0:3], 0 offset:328
	buffer_load_dword v201, off, s[0:3], 0 offset:336
	buffer_load_dword v202, off, s[0:3], 0 offset:344
	buffer_load_dword v203, off, s[0:3], 0 offset:352
	buffer_load_dword v204, off, s[0:3], 0 offset:360
	buffer_load_dword v205, off, s[0:3], 0 offset:368
	buffer_load_dword v206, off, s[0:3], 0 offset:376
	buffer_load_dword v207, off, s[0:3], 0 offset:384
	buffer_load_dword v208, off, s[0:3], 0 offset:392
	buffer_load_dword v209, off, s[0:3], 0 offset:400
	buffer_load_dword v210, off, s[0:3], 0 offset:408
	buffer_load_dword v211, off, s[0:3], 0 offset:416
	buffer_load_dword v212, off, s[0:3], 0 offset:424
	buffer_load_dword v213, off, s[0:3], 0 offset:432
	buffer_load_dword v214, off, s[0:3], 0 offset:440
	buffer_load_dword v215, off, s[0:3], 0 offset:240
	buffer_load_dword v216, off, s[0:3], 0 offset:244
	v_mov_b32_e32 v1, 0
	ds_read2_b64 v[2:5], v1 offset0:87 offset1:88
	ds_read2_b64 v[6:9], v1 offset0:89 offset1:90
	;; [unrolled: 1-line block ×12, first 2 shown]
	ds_read_b64 v[10:11], v1 offset:888
	s_mov_b32 s4, exec_lo
	s_waitcnt vmcnt(51) lgkmcnt(12)
	v_mul_f32_e32 v217, v2, v12
	v_mul_f32_e32 v12, v3, v12
	s_waitcnt vmcnt(50)
	v_mul_f32_e32 v218, v4, v166
	v_mul_f32_e32 v166, v5, v166
	s_waitcnt vmcnt(49) lgkmcnt(11)
	v_mul_f32_e32 v219, v6, v167
	s_waitcnt vmcnt(48)
	v_mul_f32_e32 v220, v8, v168
	s_waitcnt vmcnt(47) lgkmcnt(10)
	v_mul_f32_e32 v221, v126, v169
	s_waitcnt vmcnt(46)
	;; [unrolled: 4-line block ×11, first 2 shown]
	v_fma_f32 v2, v2, v190, -v12
	v_fmac_f32_e32 v217, v3, v190
	v_mul_f32_e32 v3, v7, v167
	s_waitcnt vmcnt(25)
	v_fma_f32 v4, v4, v191, -v166
	v_fmac_f32_e32 v218, v5, v191
	v_add_f32_e32 v2, 0, v2
	v_add_f32_e32 v5, 0, v217
	v_mul_f32_e32 v12, v9, v168
	s_waitcnt vmcnt(24)
	v_fma_f32 v3, v6, v192, -v3
	v_fmac_f32_e32 v219, v7, v192
	v_add_f32_e32 v2, v2, v4
	v_add_f32_e32 v4, v5, v218
	;; [unrolled: 6-line block ×21, first 2 shown]
	v_mul_f32_e32 v4, v165, v188
	s_waitcnt vmcnt(4)
	v_fma_f32 v5, v162, v212, -v5
	v_mul_f32_e32 v240, v164, v188
	v_add_f32_e32 v2, v2, v6
	v_fmac_f32_e32 v239, v163, v212
	v_add_f32_e32 v3, v3, v238
	s_waitcnt lgkmcnt(0)
	v_mul_f32_e32 v6, v11, v189
	s_waitcnt vmcnt(3)
	v_fma_f32 v4, v164, v213, -v4
	v_add_f32_e32 v2, v2, v5
	v_mul_f32_e32 v241, v10, v189
	v_fmac_f32_e32 v240, v165, v213
	v_add_f32_e32 v3, v3, v239
	s_waitcnt vmcnt(2)
	v_fma_f32 v5, v10, v214, -v6
	v_add_f32_e32 v2, v2, v4
	v_fmac_f32_e32 v241, v11, v214
	v_add_f32_e32 v3, v3, v240
	v_add_f32_e32 v2, v2, v5
	;; [unrolled: 1-line block ×3, first 2 shown]
	s_waitcnt vmcnt(1)
	v_sub_f32_e32 v2, v215, v2
	s_waitcnt vmcnt(0)
	v_sub_f32_e32 v3, v216, v3
	buffer_store_dword v2, off, s[0:3], 0 offset:240
	buffer_store_dword v3, off, s[0:3], 0 offset:244
	v_cmpx_lt_u32_e32 29, v0
	s_cbranch_execz .LBB55_291
; %bb.290:
	s_clause 0x1
	buffer_load_dword v2, off, s[0:3], 0 offset:232
	buffer_load_dword v3, off, s[0:3], 0 offset:236
	buffer_store_dword v1, off, s[0:3], 0 offset:232
	buffer_store_dword v1, off, s[0:3], 0 offset:236
	s_waitcnt vmcnt(0)
	ds_write_b64 v125, v[2:3]
.LBB55_291:
	s_or_b32 exec_lo, exec_lo, s4
	s_waitcnt lgkmcnt(0)
	s_waitcnt_vscnt null, 0x0
	s_barrier
	buffer_gl0_inv
	s_clause 0x35
	buffer_load_dword v10, off, s[0:3], 0 offset:244
	buffer_load_dword v11, off, s[0:3], 0 offset:252
	;; [unrolled: 1-line block ×54, first 2 shown]
	ds_read_b128 v[2:5], v1 offset:688
	ds_read_b128 v[6:9], v1 offset:704
	;; [unrolled: 1-line block ×13, first 2 shown]
	s_mov_b32 s4, exec_lo
	s_waitcnt vmcnt(53) lgkmcnt(12)
	v_mul_f32_e32 v1, v2, v10
	v_mul_f32_e32 v10, v3, v10
	s_waitcnt vmcnt(52)
	v_mul_f32_e32 v221, v4, v11
	v_mul_f32_e32 v11, v5, v11
	s_waitcnt vmcnt(51) lgkmcnt(11)
	v_mul_f32_e32 v222, v6, v12
	s_waitcnt vmcnt(50)
	v_mul_f32_e32 v223, v8, v170
	s_waitcnt vmcnt(49) lgkmcnt(10)
	v_mul_f32_e32 v224, v126, v171
	s_waitcnt vmcnt(48)
	;; [unrolled: 4-line block ×11, first 2 shown]
	v_mul_f32_e32 v243, v164, v190
	s_waitcnt vmcnt(27)
	v_fma_f32 v2, v2, v193, -v10
	v_fmac_f32_e32 v1, v3, v193
	v_mul_f32_e32 v3, v7, v12
	s_waitcnt vmcnt(26)
	v_fma_f32 v4, v4, v194, -v11
	v_fmac_f32_e32 v221, v5, v194
	v_add_f32_e32 v2, 0, v2
	v_add_f32_e32 v1, 0, v1
	v_mul_f32_e32 v5, v9, v170
	s_waitcnt vmcnt(25)
	v_fma_f32 v3, v6, v195, -v3
	v_fmac_f32_e32 v222, v7, v195
	v_add_f32_e32 v2, v2, v4
	v_add_f32_e32 v1, v1, v221
	;; [unrolled: 6-line block ×22, first 2 shown]
	s_waitcnt lgkmcnt(0)
	v_mul_f32_e32 v5, v167, v191
	s_waitcnt vmcnt(4)
	v_fma_f32 v3, v164, v216, -v3
	v_mul_f32_e32 v244, v166, v191
	v_add_f32_e32 v2, v2, v4
	v_fmac_f32_e32 v243, v165, v216
	v_add_f32_e32 v1, v1, v242
	v_mul_f32_e32 v4, v169, v192
	s_waitcnt vmcnt(3)
	v_fma_f32 v5, v166, v217, -v5
	v_add_f32_e32 v2, v2, v3
	v_mul_f32_e32 v245, v168, v192
	v_fmac_f32_e32 v244, v167, v217
	v_add_f32_e32 v1, v1, v243
	s_waitcnt vmcnt(2)
	v_fma_f32 v3, v168, v218, -v4
	v_add_f32_e32 v2, v2, v5
	v_fmac_f32_e32 v245, v169, v218
	v_add_f32_e32 v1, v1, v244
	v_add_f32_e32 v2, v2, v3
	;; [unrolled: 1-line block ×3, first 2 shown]
	s_waitcnt vmcnt(1)
	v_sub_f32_e32 v2, v219, v2
	s_waitcnt vmcnt(0)
	v_sub_f32_e32 v1, v220, v1
	buffer_store_dword v2, off, s[0:3], 0 offset:232
	buffer_store_dword v1, off, s[0:3], 0 offset:236
	v_cmpx_lt_u32_e32 28, v0
	s_cbranch_execz .LBB55_293
; %bb.292:
	s_clause 0x1
	buffer_load_dword v1, off, s[0:3], 0 offset:224
	buffer_load_dword v2, off, s[0:3], 0 offset:228
	v_mov_b32_e32 v3, 0
	buffer_store_dword v3, off, s[0:3], 0 offset:224
	buffer_store_dword v3, off, s[0:3], 0 offset:228
	s_waitcnt vmcnt(0)
	ds_write_b64 v125, v[1:2]
.LBB55_293:
	s_or_b32 exec_lo, exec_lo, s4
	s_waitcnt lgkmcnt(0)
	s_waitcnt_vscnt null, 0x0
	s_barrier
	buffer_gl0_inv
	s_clause 0x37
	buffer_load_dword v12, off, s[0:3], 0 offset:236
	buffer_load_dword v170, off, s[0:3], 0 offset:244
	;; [unrolled: 1-line block ×56, first 2 shown]
	v_mov_b32_e32 v1, 0
	ds_read2_b64 v[2:5], v1 offset0:85 offset1:86
	ds_read2_b64 v[6:9], v1 offset0:87 offset1:88
	;; [unrolled: 1-line block ×13, first 2 shown]
	ds_read_b64 v[10:11], v1 offset:888
	s_mov_b32 s4, exec_lo
	s_waitcnt vmcnt(55) lgkmcnt(13)
	v_mul_f32_e32 v225, v2, v12
	v_mul_f32_e32 v12, v3, v12
	s_waitcnt vmcnt(54)
	v_mul_f32_e32 v226, v4, v170
	v_mul_f32_e32 v170, v5, v170
	s_waitcnt vmcnt(53) lgkmcnt(12)
	v_mul_f32_e32 v227, v6, v171
	s_waitcnt vmcnt(52)
	v_mul_f32_e32 v228, v8, v172
	s_waitcnt vmcnt(51) lgkmcnt(11)
	v_mul_f32_e32 v229, v126, v173
	s_waitcnt vmcnt(50)
	;; [unrolled: 4-line block ×12, first 2 shown]
	v_fma_f32 v2, v2, v196, -v12
	v_fmac_f32_e32 v225, v3, v196
	v_mul_f32_e32 v3, v7, v171
	s_waitcnt vmcnt(27)
	v_fma_f32 v4, v4, v197, -v170
	v_fmac_f32_e32 v226, v5, v197
	v_add_f32_e32 v2, 0, v2
	v_add_f32_e32 v5, 0, v225
	v_mul_f32_e32 v12, v9, v172
	s_waitcnt vmcnt(26)
	v_fma_f32 v3, v6, v198, -v3
	v_fmac_f32_e32 v227, v7, v198
	v_add_f32_e32 v2, v2, v4
	v_add_f32_e32 v4, v5, v226
	;; [unrolled: 6-line block ×23, first 2 shown]
	v_mul_f32_e32 v5, v169, v194
	s_waitcnt vmcnt(4)
	v_fma_f32 v6, v166, v220, -v6
	v_mul_f32_e32 v250, v168, v194
	v_add_f32_e32 v2, v2, v4
	v_fmac_f32_e32 v249, v167, v220
	v_add_f32_e32 v3, v3, v248
	s_waitcnt lgkmcnt(0)
	v_mul_f32_e32 v4, v11, v195
	s_waitcnt vmcnt(3)
	v_fma_f32 v5, v168, v221, -v5
	v_add_f32_e32 v2, v2, v6
	v_mul_f32_e32 v251, v10, v195
	v_fmac_f32_e32 v250, v169, v221
	v_add_f32_e32 v3, v3, v249
	s_waitcnt vmcnt(2)
	v_fma_f32 v4, v10, v222, -v4
	v_add_f32_e32 v2, v2, v5
	v_fmac_f32_e32 v251, v11, v222
	v_add_f32_e32 v3, v3, v250
	v_add_f32_e32 v2, v2, v4
	;; [unrolled: 1-line block ×3, first 2 shown]
	s_waitcnt vmcnt(1)
	v_sub_f32_e32 v2, v223, v2
	s_waitcnt vmcnt(0)
	v_sub_f32_e32 v3, v224, v3
	buffer_store_dword v2, off, s[0:3], 0 offset:224
	buffer_store_dword v3, off, s[0:3], 0 offset:228
	v_cmpx_lt_u32_e32 27, v0
	s_cbranch_execz .LBB55_295
; %bb.294:
	s_clause 0x1
	buffer_load_dword v2, off, s[0:3], 0 offset:216
	buffer_load_dword v3, off, s[0:3], 0 offset:220
	buffer_store_dword v1, off, s[0:3], 0 offset:216
	buffer_store_dword v1, off, s[0:3], 0 offset:220
	s_waitcnt vmcnt(0)
	ds_write_b64 v125, v[2:3]
.LBB55_295:
	s_or_b32 exec_lo, exec_lo, s4
	s_waitcnt lgkmcnt(0)
	s_waitcnt_vscnt null, 0x0
	s_barrier
	buffer_gl0_inv
	s_clause 0x39
	buffer_load_dword v145, off, s[0:3], 0 offset:228
	buffer_load_dword v146, off, s[0:3], 0 offset:236
	;; [unrolled: 1-line block ×58, first 2 shown]
	ds_read_b128 v[133:136], v1 offset:672
	ds_read_b128 v[137:140], v1 offset:688
	ds_read_b128 v[141:144], v1 offset:704
	s_mov_b32 s4, exec_lo
	s_waitcnt vmcnt(57) lgkmcnt(2)
	v_mul_f32_e32 v185, v133, v145
	v_mul_f32_e32 v145, v134, v145
	s_waitcnt vmcnt(56)
	v_mul_f32_e32 v186, v135, v146
	v_mul_f32_e32 v146, v136, v146
	s_waitcnt vmcnt(53)
	v_fmac_f32_e32 v185, v134, v149
	v_fma_f32 v145, v133, v149, -v145
	v_fmac_f32_e32 v186, v136, v148
	v_fma_f32 v149, v135, v148, -v146
	ds_read_b128 v[133:136], v1 offset:720
	s_waitcnt vmcnt(52) lgkmcnt(2)
	v_mul_f32_e32 v187, v137, v150
	v_mul_f32_e32 v146, v138, v150
	s_waitcnt vmcnt(51)
	v_mul_f32_e32 v150, v139, v151
	v_mul_f32_e32 v148, v140, v151
	s_waitcnt vmcnt(50) lgkmcnt(1)
	v_mul_f32_e32 v188, v141, v152
	v_mul_f32_e32 v151, v142, v152
	s_waitcnt vmcnt(49)
	v_mul_f32_e32 v189, v143, v153
	v_mul_f32_e32 v152, v144, v153
	v_fmac_f32_e32 v187, v138, v147
	v_fma_f32 v153, v137, v147, -v146
	s_waitcnt vmcnt(45)
	v_fmac_f32_e32 v150, v140, v157
	v_fma_f32 v157, v139, v157, -v148
	ds_read_b128 v[137:140], v1 offset:736
	v_fmac_f32_e32 v188, v142, v156
	v_fma_f32 v156, v141, v156, -v151
	v_fmac_f32_e32 v189, v144, v155
	v_fma_f32 v190, v143, v155, -v152
	ds_read_b128 v[141:144], v1 offset:752
	v_add_f32_e32 v151, 0, v145
	s_waitcnt vmcnt(44) lgkmcnt(2)
	v_mul_f32_e32 v191, v133, v158
	v_mul_f32_e32 v146, v134, v158
	s_waitcnt vmcnt(43)
	v_mul_f32_e32 v158, v135, v159
	v_mul_f32_e32 v147, v136, v159
	v_add_f32_e32 v152, 0, v185
	v_add_f32_e32 v149, v151, v149
	v_fmac_f32_e32 v191, v134, v154
	v_fma_f32 v159, v133, v154, -v146
	s_waitcnt vmcnt(39)
	v_fmac_f32_e32 v158, v136, v163
	v_fma_f32 v163, v135, v163, -v147
	ds_read_b128 v[133:136], v1 offset:768
	ds_read_b128 v[145:148], v1 offset:784
	v_add_f32_e32 v152, v152, v186
	v_add_f32_e32 v149, v149, v153
	s_waitcnt vmcnt(38) lgkmcnt(3)
	v_mul_f32_e32 v185, v137, v164
	v_mul_f32_e32 v151, v138, v164
	s_waitcnt vmcnt(37)
	v_mul_f32_e32 v164, v139, v165
	v_mul_f32_e32 v154, v140, v165
	v_add_f32_e32 v152, v152, v187
	s_waitcnt vmcnt(36) lgkmcnt(2)
	v_mul_f32_e32 v165, v141, v166
	v_mul_f32_e32 v153, v142, v166
	v_fmac_f32_e32 v164, v140, v161
	v_fma_f32 v161, v139, v161, -v154
	v_add_f32_e32 v154, v149, v157
	v_add_f32_e32 v155, v152, v150
	s_waitcnt vmcnt(35)
	v_mul_f32_e32 v157, v144, v167
	v_mul_f32_e32 v186, v143, v167
	v_fmac_f32_e32 v165, v142, v160
	v_fma_f32 v166, v141, v160, -v153
	v_add_f32_e32 v160, v154, v156
	s_waitcnt vmcnt(31)
	v_fma_f32 v167, v143, v170, -v157
	v_add_f32_e32 v157, v155, v188
	v_fmac_f32_e32 v186, v144, v170
	s_waitcnt vmcnt(30) lgkmcnt(1)
	v_mul_f32_e32 v170, v133, v171
	v_add_f32_e32 v160, v160, v190
	v_mul_f32_e32 v171, v134, v171
	v_add_f32_e32 v157, v157, v189
	v_fmac_f32_e32 v185, v138, v162
	v_fmac_f32_e32 v170, v134, v169
	v_add_f32_e32 v134, v160, v159
	v_fma_f32 v162, v137, v162, -v151
	v_add_f32_e32 v157, v157, v191
	v_fma_f32 v169, v133, v169, -v171
	ds_read_b128 v[137:140], v1 offset:800
	ds_read_b128 v[149:152], v1 offset:816
	v_add_f32_e32 v163, v134, v163
	s_waitcnt vmcnt(29)
	v_mul_f32_e32 v187, v135, v172
	v_add_f32_e32 v171, v157, v158
	v_mul_f32_e32 v172, v136, v172
	ds_read_b128 v[141:144], v1 offset:832
	ds_read_b128 v[153:156], v1 offset:848
	v_add_f32_e32 v162, v163, v162
	v_fmac_f32_e32 v187, v136, v168
	v_add_f32_e32 v171, v171, v185
	v_fma_f32 v168, v135, v168, -v172
	ds_read_b128 v[133:136], v1 offset:864
	ds_read_b128 v[157:160], v1 offset:880
	v_add_f32_e32 v161, v162, v161
	s_waitcnt vmcnt(28) lgkmcnt(6)
	v_mul_f32_e32 v1, v145, v173
	v_add_f32_e32 v164, v171, v164
	v_mul_f32_e32 v163, v146, v173
	s_waitcnt vmcnt(27)
	v_mul_f32_e32 v173, v148, v174
	v_add_f32_e32 v161, v161, v166
	v_fmac_f32_e32 v1, v146, v12
	v_add_f32_e32 v164, v164, v165
	v_fma_f32 v12, v145, v12, -v163
	v_mul_f32_e32 v172, v147, v174
	v_add_f32_e32 v161, v161, v167
	s_waitcnt vmcnt(26) lgkmcnt(5)
	v_mul_f32_e32 v162, v137, v131
	v_add_f32_e32 v164, v164, v186
	v_mul_f32_e32 v131, v138, v131
	s_waitcnt vmcnt(11)
	v_fma_f32 v147, v147, v178, -v173
	v_add_f32_e32 v161, v161, v169
	v_fmac_f32_e32 v172, v148, v178
	v_add_f32_e32 v164, v164, v170
	v_mul_f32_e32 v171, v139, v130
	v_mul_f32_e32 v130, v140, v130
	v_add_f32_e32 v146, v161, v168
	v_fma_f32 v131, v137, v177, -v131
	v_add_f32_e32 v161, v164, v187
	v_fmac_f32_e32 v162, v138, v177
	s_waitcnt lgkmcnt(4)
	v_mul_f32_e32 v174, v149, v129
	v_add_f32_e32 v12, v146, v12
	v_mul_f32_e32 v129, v150, v129
	v_add_f32_e32 v1, v161, v1
	v_fma_f32 v130, v139, v176, -v130
	v_fmac_f32_e32 v171, v140, v176
	v_add_f32_e32 v12, v12, v147
	v_mul_f32_e32 v166, v151, v128
	v_add_f32_e32 v1, v1, v172
	v_mul_f32_e32 v128, v152, v128
	v_fma_f32 v129, v149, v175, -v129
	v_add_f32_e32 v12, v12, v131
	v_fmac_f32_e32 v174, v150, v175
	v_add_f32_e32 v1, v1, v162
	s_waitcnt lgkmcnt(3)
	v_mul_f32_e32 v165, v141, v126
	v_mul_f32_e32 v126, v142, v126
	v_add_f32_e32 v12, v12, v130
	s_waitcnt vmcnt(7)
	v_fma_f32 v128, v151, v182, -v128
	v_add_f32_e32 v1, v1, v171
	v_fmac_f32_e32 v166, v152, v182
	v_mul_f32_e32 v185, v143, v11
	v_add_f32_e32 v12, v12, v129
	v_mul_f32_e32 v11, v144, v11
	v_add_f32_e32 v1, v1, v174
	v_fma_f32 v126, v141, v181, -v126
	v_fmac_f32_e32 v165, v142, v181
	v_add_f32_e32 v12, v12, v128
	s_waitcnt lgkmcnt(2)
	v_mul_f32_e32 v167, v153, v10
	v_add_f32_e32 v1, v1, v166
	v_mul_f32_e32 v10, v154, v10
	v_fma_f32 v11, v143, v180, -v11
	v_add_f32_e32 v12, v12, v126
	v_fmac_f32_e32 v185, v144, v180
	v_add_f32_e32 v1, v1, v165
	v_mul_f32_e32 v186, v155, v8
	v_mul_f32_e32 v8, v156, v8
	v_fma_f32 v10, v153, v179, -v10
	v_add_f32_e32 v11, v12, v11
	v_fmac_f32_e32 v167, v154, v179
	v_add_f32_e32 v1, v1, v185
	s_waitcnt lgkmcnt(1)
	v_mul_f32_e32 v188, v133, v7
	v_mul_f32_e32 v7, v134, v7
	s_waitcnt vmcnt(3)
	v_fma_f32 v8, v155, v184, -v8
	v_add_f32_e32 v10, v11, v10
	v_fmac_f32_e32 v186, v156, v184
	v_add_f32_e32 v1, v1, v167
	v_mul_f32_e32 v169, v135, v6
	v_mul_f32_e32 v6, v136, v6
	v_fma_f32 v7, v133, v183, -v7
	v_add_f32_e32 v8, v10, v8
	v_fmac_f32_e32 v188, v134, v183
	v_add_f32_e32 v1, v1, v186
	s_waitcnt lgkmcnt(0)
	v_mul_f32_e32 v170, v157, v5
	v_mul_f32_e32 v5, v158, v5
	v_fma_f32 v6, v135, v132, -v6
	v_add_f32_e32 v7, v8, v7
	v_fmac_f32_e32 v169, v136, v132
	v_add_f32_e32 v1, v1, v188
	v_mul_f32_e32 v145, v159, v2
	v_mul_f32_e32 v2, v160, v2
	v_fma_f32 v5, v157, v127, -v5
	v_add_f32_e32 v6, v7, v6
	v_fmac_f32_e32 v170, v158, v127
	v_add_f32_e32 v1, v1, v169
	s_waitcnt vmcnt(2)
	v_fma_f32 v2, v159, v9, -v2
	v_fmac_f32_e32 v145, v160, v9
	v_add_f32_e32 v5, v6, v5
	v_add_f32_e32 v1, v1, v170
	;; [unrolled: 1-line block ×4, first 2 shown]
	s_waitcnt vmcnt(1)
	v_sub_f32_e32 v2, v3, v2
	s_waitcnt vmcnt(0)
	v_sub_f32_e32 v1, v4, v1
	buffer_store_dword v2, off, s[0:3], 0 offset:216
	buffer_store_dword v1, off, s[0:3], 0 offset:220
	v_cmpx_lt_u32_e32 26, v0
	s_cbranch_execz .LBB55_297
; %bb.296:
	s_clause 0x1
	buffer_load_dword v1, off, s[0:3], 0 offset:208
	buffer_load_dword v2, off, s[0:3], 0 offset:212
	v_mov_b32_e32 v3, 0
	buffer_store_dword v3, off, s[0:3], 0 offset:208
	buffer_store_dword v3, off, s[0:3], 0 offset:212
	s_waitcnt vmcnt(0)
	ds_write_b64 v125, v[1:2]
.LBB55_297:
	s_or_b32 exec_lo, exec_lo, s4
	s_waitcnt lgkmcnt(0)
	s_waitcnt_vscnt null, 0x0
	s_barrier
	buffer_gl0_inv
	s_clause 0x3b
	buffer_load_dword v157, off, s[0:3], 0 offset:220
	buffer_load_dword v158, off, s[0:3], 0 offset:228
	buffer_load_dword v136, off, s[0:3], 0 offset:232
	buffer_load_dword v159, off, s[0:3], 0 offset:224
	buffer_load_dword v160, off, s[0:3], 0 offset:216
	buffer_load_dword v141, off, s[0:3], 0 offset:236
	buffer_load_dword v140, off, s[0:3], 0 offset:244
	buffer_load_dword v138, off, s[0:3], 0 offset:252
	buffer_load_dword v143, off, s[0:3], 0 offset:264
	buffer_load_dword v161, off, s[0:3], 0 offset:256
	buffer_load_dword v162, off, s[0:3], 0 offset:248
	buffer_load_dword v163, off, s[0:3], 0 offset:240
	buffer_load_dword v164, off, s[0:3], 0 offset:260
	buffer_load_dword v165, off, s[0:3], 0 offset:268
	buffer_load_dword v166, off, s[0:3], 0 offset:276
	buffer_load_dword v133, off, s[0:3], 0 offset:296
	buffer_load_dword v167, off, s[0:3], 0 offset:288
	buffer_load_dword v168, off, s[0:3], 0 offset:280
	buffer_load_dword v169, off, s[0:3], 0 offset:272
	buffer_load_dword v170, off, s[0:3], 0 offset:284
	buffer_load_dword v171, off, s[0:3], 0 offset:292
	buffer_load_dword v172, off, s[0:3], 0 offset:300
	buffer_load_dword v137, off, s[0:3], 0 offset:308
	buffer_load_dword v127, off, s[0:3], 0 offset:328
	buffer_load_dword v173, off, s[0:3], 0 offset:320
	buffer_load_dword v174, off, s[0:3], 0 offset:312
	buffer_load_dword v175, off, s[0:3], 0 offset:304
	buffer_load_dword v176, off, s[0:3], 0 offset:316
	buffer_load_dword v177, off, s[0:3], 0 offset:324
	buffer_load_dword v131, off, s[0:3], 0 offset:332
	buffer_load_dword v132, off, s[0:3], 0 offset:340
	buffer_load_dword v128, off, s[0:3], 0 offset:348
	buffer_load_dword v10, off, s[0:3], 0 offset:356
	buffer_load_dword v8, off, s[0:3], 0 offset:364
	buffer_load_dword v6, off, s[0:3], 0 offset:372
	buffer_load_dword v5, off, s[0:3], 0 offset:380
	buffer_load_dword v178, off, s[0:3], 0 offset:360
	buffer_load_dword v179, off, s[0:3], 0 offset:352
	buffer_load_dword v180, off, s[0:3], 0 offset:344
	buffer_load_dword v181, off, s[0:3], 0 offset:336
	buffer_load_dword v182, off, s[0:3], 0 offset:388
	buffer_load_dword v183, off, s[0:3], 0 offset:396
	buffer_load_dword v139, off, s[0:3], 0 offset:404
	buffer_load_dword v134, off, s[0:3], 0 offset:412
	buffer_load_dword v130, off, s[0:3], 0 offset:420
	buffer_load_dword v126, off, s[0:3], 0 offset:428
	buffer_load_dword v9, off, s[0:3], 0 offset:436
	buffer_load_dword v4, off, s[0:3], 0 offset:444
	buffer_load_dword v144, off, s[0:3], 0 offset:392
	buffer_load_dword v184, off, s[0:3], 0 offset:384
	buffer_load_dword v185, off, s[0:3], 0 offset:376
	buffer_load_dword v186, off, s[0:3], 0 offset:368
	buffer_load_dword v12, off, s[0:3], 0 offset:424
	buffer_load_dword v129, off, s[0:3], 0 offset:416
	buffer_load_dword v135, off, s[0:3], 0 offset:408
	buffer_load_dword v142, off, s[0:3], 0 offset:400
	buffer_load_dword v7, off, s[0:3], 0 offset:440
	buffer_load_dword v11, off, s[0:3], 0 offset:432
	buffer_load_dword v2, off, s[0:3], 0 offset:208
	buffer_load_dword v3, off, s[0:3], 0 offset:212
	v_mov_b32_e32 v1, 0
	ds_read2_b64 v[145:148], v1 offset0:83 offset1:84
	ds_read2_b64 v[149:152], v1 offset0:85 offset1:86
	;; [unrolled: 1-line block ×3, first 2 shown]
	s_mov_b32 s4, exec_lo
	s_waitcnt vmcnt(59) lgkmcnt(2)
	v_mul_f32_e32 v187, v145, v157
	s_waitcnt vmcnt(58)
	v_mul_f32_e32 v188, v147, v158
	v_mul_f32_e32 v157, v146, v157
	;; [unrolled: 1-line block ×3, first 2 shown]
	s_waitcnt vmcnt(55)
	v_fmac_f32_e32 v187, v146, v160
	v_fmac_f32_e32 v188, v148, v159
	v_fma_f32 v157, v145, v160, -v157
	v_fma_f32 v158, v147, v159, -v158
	ds_read2_b64 v[145:148], v1 offset0:89 offset1:90
	s_waitcnt vmcnt(54) lgkmcnt(2)
	v_mul_f32_e32 v189, v149, v141
	v_mul_f32_e32 v141, v150, v141
	s_waitcnt vmcnt(53)
	v_mul_f32_e32 v190, v151, v140
	v_mul_f32_e32 v140, v152, v140
	s_waitcnt vmcnt(47) lgkmcnt(1)
	v_mul_f32_e32 v159, v156, v164
	v_fmac_f32_e32 v189, v150, v136
	v_fma_f32 v136, v149, v136, -v141
	v_fmac_f32_e32 v190, v152, v163
	v_fma_f32 v140, v151, v163, -v140
	ds_read2_b64 v[149:152], v1 offset0:91 offset1:92
	v_mul_f32_e32 v191, v155, v164
	v_mul_f32_e32 v141, v153, v138
	;; [unrolled: 1-line block ×3, first 2 shown]
	v_fma_f32 v192, v155, v161, -v159
	v_fmac_f32_e32 v191, v156, v161
	v_add_f32_e32 v161, 0, v187
	v_fmac_f32_e32 v141, v154, v162
	v_fma_f32 v138, v153, v162, -v138
	s_waitcnt vmcnt(46) lgkmcnt(1)
	v_mul_f32_e32 v193, v145, v165
	v_mul_f32_e32 v159, v146, v165
	ds_read2_b64 v[153:156], v1 offset0:93 offset1:94
	v_add_f32_e32 v161, v161, v188
	s_waitcnt vmcnt(45)
	v_mul_f32_e32 v194, v147, v166
	v_fmac_f32_e32 v193, v146, v143
	v_add_f32_e32 v146, 0, v157
	v_mul_f32_e32 v160, v148, v166
	v_add_f32_e32 v161, v161, v189
	s_waitcnt vmcnt(41)
	v_fmac_f32_e32 v194, v148, v169
	v_fma_f32 v143, v145, v143, -v159
	v_add_f32_e32 v162, v146, v158
	v_fma_f32 v169, v147, v169, -v160
	v_add_f32_e32 v161, v161, v190
	ds_read2_b64 v[145:148], v1 offset0:95 offset1:96
	ds_read2_b64 v[157:160], v1 offset0:97 offset1:98
	s_waitcnt vmcnt(40) lgkmcnt(3)
	v_mul_f32_e32 v187, v149, v170
	v_add_f32_e32 v136, v162, v136
	v_mul_f32_e32 v162, v150, v170
	v_add_f32_e32 v141, v161, v141
	s_waitcnt vmcnt(39)
	v_mul_f32_e32 v163, v152, v171
	v_mul_f32_e32 v188, v151, v171
	v_add_f32_e32 v136, v136, v140
	s_waitcnt vmcnt(37) lgkmcnt(2)
	v_mul_f32_e32 v140, v155, v137
	v_mul_f32_e32 v137, v156, v137
	v_fma_f32 v170, v149, v168, -v162
	v_fmac_f32_e32 v187, v150, v168
	v_add_f32_e32 v136, v136, v138
	v_add_f32_e32 v138, v141, v191
	s_waitcnt vmcnt(33)
	v_fma_f32 v141, v155, v175, -v137
	v_mul_f32_e32 v189, v153, v172
	v_mul_f32_e32 v165, v154, v172
	v_add_f32_e32 v136, v136, v192
	v_add_f32_e32 v137, v138, v193
	v_fma_f32 v190, v151, v167, -v163
	s_waitcnt vmcnt(32) lgkmcnt(1)
	v_mul_f32_e32 v138, v145, v176
	v_mul_f32_e32 v171, v146, v176
	v_add_f32_e32 v136, v136, v143
	v_add_f32_e32 v137, v137, v194
	v_fmac_f32_e32 v188, v152, v167
	v_fmac_f32_e32 v140, v156, v175
	;; [unrolled: 1-line block ×3, first 2 shown]
	v_add_f32_e32 v136, v136, v169
	v_add_f32_e32 v175, v137, v187
	v_fma_f32 v133, v153, v133, -v165
	ds_read2_b64 v[149:152], v1 offset0:99 offset1:100
	ds_read2_b64 v[161:164], v1 offset0:101 offset1:102
	s_waitcnt vmcnt(31)
	v_mul_f32_e32 v143, v147, v177
	v_add_f32_e32 v176, v136, v170
	v_add_f32_e32 v175, v175, v188
	v_mul_f32_e32 v172, v148, v177
	v_fmac_f32_e32 v138, v146, v174
	v_fma_f32 v174, v145, v174, -v171
	v_add_f32_e32 v176, v176, v190
	v_add_f32_e32 v175, v175, v189
	v_fmac_f32_e32 v143, v148, v173
	v_fma_f32 v173, v147, v173, -v172
	s_waitcnt vmcnt(30) lgkmcnt(2)
	v_mul_f32_e32 v177, v157, v131
	v_add_f32_e32 v133, v176, v133
	v_add_f32_e32 v140, v175, v140
	v_mul_f32_e32 v131, v158, v131
	s_waitcnt vmcnt(29)
	v_mul_f32_e32 v187, v159, v132
	v_mul_f32_e32 v132, v160, v132
	v_add_f32_e32 v133, v133, v141
	v_add_f32_e32 v138, v140, v138
	v_fmac_f32_e32 v177, v158, v127
	v_fma_f32 v127, v157, v127, -v131
	s_waitcnt vmcnt(28) lgkmcnt(1)
	v_mul_f32_e32 v188, v149, v128
	v_add_f32_e32 v133, v133, v174
	v_add_f32_e32 v138, v138, v143
	v_mul_f32_e32 v128, v150, v128
	s_waitcnt vmcnt(20)
	v_fma_f32 v132, v159, v181, -v132
	ds_read2_b64 v[153:156], v1 offset0:103 offset1:104
	ds_read2_b64 v[165:168], v1 offset0:105 offset1:106
	v_add_f32_e32 v133, v133, v173
	v_fmac_f32_e32 v187, v160, v181
	v_mul_f32_e32 v176, v151, v10
	v_mul_f32_e32 v10, v152, v10
	v_fma_f32 v128, v149, v180, -v128
	v_add_f32_e32 v127, v133, v127
	v_add_f32_e32 v133, v138, v177
	v_fmac_f32_e32 v188, v150, v180
	s_waitcnt lgkmcnt(2)
	v_mul_f32_e32 v131, v161, v8
	v_mul_f32_e32 v8, v162, v8
	v_add_f32_e32 v127, v127, v132
	v_add_f32_e32 v132, v133, v187
	v_fma_f32 v10, v151, v179, -v10
	v_fmac_f32_e32 v176, v152, v179
	v_mul_f32_e32 v157, v163, v6
	v_add_f32_e32 v127, v127, v128
	v_add_f32_e32 v128, v132, v188
	v_mul_f32_e32 v6, v164, v6
	v_fma_f32 v8, v161, v178, -v8
	v_fmac_f32_e32 v131, v162, v178
	v_add_f32_e32 v10, v127, v10
	v_add_f32_e32 v127, v128, v176
	s_waitcnt lgkmcnt(1)
	v_mul_f32_e32 v141, v153, v5
	v_mul_f32_e32 v5, v154, v5
	s_waitcnt vmcnt(8)
	v_fma_f32 v6, v163, v186, -v6
	v_add_f32_e32 v8, v10, v8
	v_fmac_f32_e32 v157, v164, v186
	v_add_f32_e32 v10, v127, v131
	ds_read2_b64 v[145:148], v1 offset0:107 offset1:108
	ds_read2_b64 v[169:172], v1 offset0:109 offset1:110
	ds_read_b64 v[136:137], v1 offset:888
	v_mul_f32_e32 v127, v156, v182
	v_fma_f32 v5, v153, v185, -v5
	v_add_f32_e32 v6, v8, v6
	v_mul_f32_e32 v158, v155, v182
	v_fmac_f32_e32 v141, v154, v185
	v_add_f32_e32 v8, v10, v157
	s_waitcnt lgkmcnt(3)
	v_mul_f32_e32 v10, v166, v183
	v_fma_f32 v127, v155, v184, -v127
	v_add_f32_e32 v5, v6, v5
	v_mul_f32_e32 v159, v165, v183
	v_fmac_f32_e32 v158, v156, v184
	v_add_f32_e32 v6, v8, v141
	v_mul_f32_e32 v8, v168, v139
	v_fma_f32 v10, v165, v144, -v10
	v_add_f32_e32 v5, v5, v127
	v_mul_f32_e32 v140, v167, v139
	v_fmac_f32_e32 v159, v166, v144
	v_add_f32_e32 v6, v6, v158
	s_waitcnt lgkmcnt(2)
	v_mul_f32_e32 v127, v146, v134
	s_waitcnt vmcnt(4)
	v_fma_f32 v8, v167, v142, -v8
	v_add_f32_e32 v5, v5, v10
	v_mul_f32_e32 v160, v145, v134
	v_fmac_f32_e32 v140, v168, v142
	v_add_f32_e32 v6, v6, v159
	v_mul_f32_e32 v10, v148, v130
	v_fma_f32 v127, v145, v135, -v127
	v_add_f32_e32 v5, v5, v8
	v_mul_f32_e32 v174, v147, v130
	v_fmac_f32_e32 v160, v146, v135
	v_add_f32_e32 v6, v6, v140
	s_waitcnt lgkmcnt(1)
	v_mul_f32_e32 v8, v170, v126
	v_fma_f32 v10, v147, v129, -v10
	v_add_f32_e32 v5, v5, v127
	v_mul_f32_e32 v143, v169, v126
	v_fmac_f32_e32 v174, v148, v129
	v_add_f32_e32 v6, v6, v160
	v_mul_f32_e32 v173, v171, v9
	v_mul_f32_e32 v9, v172, v9
	v_fma_f32 v8, v169, v12, -v8
	v_add_f32_e32 v5, v5, v10
	v_fmac_f32_e32 v143, v170, v12
	v_add_f32_e32 v6, v6, v174
	s_waitcnt lgkmcnt(0)
	v_mul_f32_e32 v138, v136, v4
	v_mul_f32_e32 v4, v137, v4
	s_waitcnt vmcnt(2)
	v_fma_f32 v9, v171, v11, -v9
	v_add_f32_e32 v5, v5, v8
	v_fmac_f32_e32 v173, v172, v11
	v_add_f32_e32 v6, v6, v143
	v_fma_f32 v4, v136, v7, -v4
	v_fmac_f32_e32 v138, v137, v7
	v_add_f32_e32 v5, v5, v9
	v_add_f32_e32 v6, v6, v173
	;; [unrolled: 1-line block ×4, first 2 shown]
	s_waitcnt vmcnt(1)
	v_sub_f32_e32 v2, v2, v4
	s_waitcnt vmcnt(0)
	v_sub_f32_e32 v3, v3, v5
	buffer_store_dword v2, off, s[0:3], 0 offset:208
	buffer_store_dword v3, off, s[0:3], 0 offset:212
	v_cmpx_lt_u32_e32 25, v0
	s_cbranch_execz .LBB55_299
; %bb.298:
	s_clause 0x1
	buffer_load_dword v2, off, s[0:3], 0 offset:200
	buffer_load_dword v3, off, s[0:3], 0 offset:204
	buffer_store_dword v1, off, s[0:3], 0 offset:200
	buffer_store_dword v1, off, s[0:3], 0 offset:204
	s_waitcnt vmcnt(0)
	ds_write_b64 v125, v[2:3]
.LBB55_299:
	s_or_b32 exec_lo, exec_lo, s4
	s_waitcnt lgkmcnt(0)
	s_waitcnt_vscnt null, 0x0
	s_barrier
	buffer_gl0_inv
	s_clause 0x3d
	buffer_load_dword v155, off, s[0:3], 0 offset:212
	buffer_load_dword v156, off, s[0:3], 0 offset:220
	;; [unrolled: 1-line block ×62, first 2 shown]
	ds_read_b128 v[147:150], v1 offset:656
	ds_read_b128 v[151:154], v1 offset:672
	s_mov_b32 s4, exec_lo
	s_waitcnt vmcnt(61) lgkmcnt(1)
	v_mul_f32_e32 v166, v147, v155
	s_waitcnt vmcnt(60)
	v_mul_f32_e32 v186, v149, v156
	v_mul_f32_e32 v155, v148, v155
	;; [unrolled: 1-line block ×3, first 2 shown]
	s_waitcnt vmcnt(57)
	v_fmac_f32_e32 v166, v148, v158
	v_fmac_f32_e32 v186, v150, v157
	v_fma_f32 v155, v147, v158, -v155
	v_fma_f32 v187, v149, v157, -v156
	ds_read_b128 v[147:150], v1 offset:688
	s_waitcnt vmcnt(56) lgkmcnt(1)
	v_mul_f32_e32 v188, v151, v159
	v_mul_f32_e32 v156, v152, v159
	s_waitcnt vmcnt(55)
	v_mul_f32_e32 v189, v153, v160
	v_mul_f32_e32 v157, v154, v160
	v_fmac_f32_e32 v188, v152, v144
	v_fma_f32 v144, v151, v144, -v156
	s_waitcnt vmcnt(51)
	v_fmac_f32_e32 v189, v154, v161
	v_fma_f32 v190, v153, v161, -v157
	ds_read_b128 v[151:154], v1 offset:704
	s_waitcnt vmcnt(49) lgkmcnt(1)
	v_mul_f32_e32 v192, v149, v139
	v_mul_f32_e32 v139, v150, v139
	;; [unrolled: 1-line block ×4, first 2 shown]
	v_fmac_f32_e32 v192, v150, v134
	v_fma_f32 v134, v149, v134, -v139
	v_fmac_f32_e32 v191, v148, v135
	v_fma_f32 v135, v147, v135, -v140
	ds_read_b128 v[147:150], v1 offset:720
	s_waitcnt vmcnt(48) lgkmcnt(1)
	v_mul_f32_e32 v193, v151, v11
	v_mul_f32_e32 v11, v152, v11
	s_waitcnt vmcnt(47)
	v_mul_f32_e32 v194, v153, v162
	v_mul_f32_e32 v139, v154, v162
	v_add_f32_e32 v140, 0, v166
	v_fmac_f32_e32 v193, v152, v7
	v_fma_f32 v7, v151, v7, -v11
	s_waitcnt vmcnt(43)
	v_fmac_f32_e32 v194, v154, v163
	v_fma_f32 v11, v153, v163, -v139
	ds_read_b128 v[151:154], v1 offset:736
	v_add_f32_e32 v139, 0, v155
	v_add_f32_e32 v140, v140, v186
	ds_read_b128 v[155:158], v1 offset:752
	ds_read_b128 v[159:162], v1 offset:768
	v_add_f32_e32 v139, v139, v187
	v_add_f32_e32 v140, v140, v188
	s_waitcnt vmcnt(42) lgkmcnt(3)
	v_mul_f32_e32 v187, v147, v146
	v_add_f32_e32 v139, v139, v144
	v_add_f32_e32 v140, v140, v189
	v_mul_f32_e32 v146, v148, v146
	s_waitcnt vmcnt(41)
	v_mul_f32_e32 v186, v149, v138
	v_mul_f32_e32 v138, v150, v138
	v_add_f32_e32 v139, v139, v190
	v_fmac_f32_e32 v187, v148, v141
	v_fma_f32 v144, v147, v141, -v146
	v_fmac_f32_e32 v186, v150, v9
	s_waitcnt vmcnt(40) lgkmcnt(2)
	v_mul_f32_e32 v188, v151, v136
	v_mul_f32_e32 v136, v152, v136
	v_add_f32_e32 v135, v139, v135
	v_add_f32_e32 v139, v140, v191
	s_waitcnt vmcnt(39)
	v_mul_f32_e32 v189, v153, v142
	v_fmac_f32_e32 v188, v152, v8
	v_fma_f32 v136, v151, v8, -v136
	v_add_f32_e32 v8, v135, v134
	v_add_f32_e32 v134, v139, v192
	v_mul_f32_e32 v142, v154, v142
	s_waitcnt vmcnt(38) lgkmcnt(1)
	v_mul_f32_e32 v190, v155, v130
	v_mul_f32_e32 v130, v156, v130
	v_add_f32_e32 v7, v8, v7
	v_add_f32_e32 v8, v134, v193
	v_fma_f32 v9, v149, v9, -v138
	s_waitcnt vmcnt(32) lgkmcnt(0)
	v_mul_f32_e32 v134, v159, v128
	v_mul_f32_e32 v128, v160, v128
	v_add_f32_e32 v7, v7, v11
	v_add_f32_e32 v8, v8, v194
	v_mul_f32_e32 v11, v157, v131
	v_fmac_f32_e32 v189, v154, v165
	v_fma_f32 v135, v153, v165, -v142
	v_add_f32_e32 v7, v7, v144
	v_fma_f32 v142, v155, v164, -v130
	s_waitcnt vmcnt(31)
	v_mul_f32_e32 v154, v162, v129
	v_add_f32_e32 v155, v8, v187
	v_mul_f32_e32 v130, v158, v131
	v_fmac_f32_e32 v11, v158, v12
	v_fma_f32 v158, v159, v10, -v128
	v_add_f32_e32 v159, v7, v9
	v_mul_f32_e32 v144, v161, v129
	v_fmac_f32_e32 v134, v160, v10
	s_waitcnt vmcnt(27)
	v_fma_f32 v160, v161, v170, -v154
	v_add_f32_e32 v161, v155, v186
	v_add_f32_e32 v136, v159, v136
	ds_read_b128 v[138:141], v1 offset:784
	ds_read_b128 v[146:149], v1 offset:800
	v_fmac_f32_e32 v190, v156, v164
	v_fma_f32 v12, v157, v12, -v130
	v_add_f32_e32 v161, v161, v188
	v_add_f32_e32 v135, v136, v135
	ds_read_b128 v[150:153], v1 offset:816
	ds_read_b128 v[163:166], v1 offset:832
	;; [unrolled: 1-line block ×4, first 2 shown]
	v_fmac_f32_e32 v144, v162, v170
	v_add_f32_e32 v161, v161, v189
	v_add_f32_e32 v135, v135, v142
	ds_read_b128 v[154:157], v1 offset:880
	v_add_f32_e32 v161, v161, v190
	v_add_f32_e32 v12, v135, v12
	v_add_f32_e32 v11, v161, v11
	s_waitcnt vmcnt(26) lgkmcnt(6)
	v_mul_f32_e32 v159, v139, v171
	v_add_f32_e32 v12, v12, v158
	v_mul_f32_e32 v1, v138, v171
	s_waitcnt vmcnt(25)
	v_mul_f32_e32 v170, v141, v172
	v_add_f32_e32 v11, v11, v134
	v_fma_f32 v138, v138, v169, -v159
	v_add_f32_e32 v12, v12, v160
	v_mul_f32_e32 v162, v140, v172
	v_fmac_f32_e32 v1, v139, v169
	v_add_f32_e32 v11, v11, v144
	s_waitcnt vmcnt(24) lgkmcnt(5)
	v_mul_f32_e32 v144, v147, v173
	v_fma_f32 v140, v140, v168, -v170
	v_add_f32_e32 v12, v12, v138
	v_mul_f32_e32 v136, v146, v173
	v_fmac_f32_e32 v162, v141, v168
	v_add_f32_e32 v1, v11, v1
	s_waitcnt vmcnt(23)
	v_mul_f32_e32 v11, v149, v174
	v_fma_f32 v138, v146, v167, -v144
	v_add_f32_e32 v12, v12, v140
	v_mul_f32_e32 v171, v148, v174
	v_fmac_f32_e32 v136, v147, v167
	v_add_f32_e32 v1, v1, v162
	s_waitcnt vmcnt(22) lgkmcnt(4)
	v_mul_f32_e32 v140, v151, v175
	s_waitcnt vmcnt(9)
	v_fma_f32 v11, v148, v180, -v11
	v_add_f32_e32 v12, v12, v138
	v_mul_f32_e32 v172, v150, v175
	v_fmac_f32_e32 v171, v149, v180
	v_add_f32_e32 v1, v1, v136
	v_mul_f32_e32 v136, v153, v176
	v_fma_f32 v138, v150, v179, -v140
	v_add_f32_e32 v11, v12, v11
	v_mul_f32_e32 v142, v152, v176
	v_fmac_f32_e32 v172, v151, v179
	v_add_f32_e32 v1, v1, v171
	s_waitcnt lgkmcnt(3)
	v_mul_f32_e32 v12, v164, v177
	v_fma_f32 v136, v152, v178, -v136
	v_add_f32_e32 v11, v11, v138
	v_mul_f32_e32 v186, v163, v177
	v_fmac_f32_e32 v142, v153, v178
	v_add_f32_e32 v1, v1, v172
	v_mul_f32_e32 v187, v165, v137
	v_mul_f32_e32 v137, v166, v137
	v_fma_f32 v12, v163, v145, -v12
	v_add_f32_e32 v11, v11, v136
	v_fmac_f32_e32 v186, v164, v145
	v_add_f32_e32 v1, v1, v142
	s_waitcnt lgkmcnt(2)
	v_mul_f32_e32 v135, v7, v132
	v_mul_f32_e32 v132, v8, v132
	s_waitcnt vmcnt(5)
	v_fma_f32 v136, v165, v143, -v137
	v_add_f32_e32 v11, v11, v12
	v_fmac_f32_e32 v187, v166, v143
	v_add_f32_e32 v1, v1, v186
	v_mul_f32_e32 v12, v10, v126
	v_fmac_f32_e32 v135, v8, v133
	v_fma_f32 v7, v7, v133, -v132
	v_add_f32_e32 v8, v11, v136
	v_mul_f32_e32 v161, v9, v126
	v_add_f32_e32 v1, v1, v187
	s_waitcnt lgkmcnt(1)
	v_mul_f32_e32 v188, v128, v6
	v_mul_f32_e32 v6, v129, v6
	v_fma_f32 v9, v9, v127, -v12
	v_add_f32_e32 v7, v8, v7
	v_fmac_f32_e32 v161, v10, v127
	v_add_f32_e32 v1, v1, v135
	v_mul_f32_e32 v158, v130, v4
	v_mul_f32_e32 v4, v131, v4
	v_fmac_f32_e32 v188, v129, v5
	v_fma_f32 v5, v128, v5, -v6
	v_add_f32_e32 v6, v7, v9
	v_add_f32_e32 v1, v1, v161
	s_waitcnt lgkmcnt(0)
	v_mul_f32_e32 v134, v154, v3
	v_mul_f32_e32 v3, v155, v3
	s_waitcnt vmcnt(2)
	v_fma_f32 v4, v130, v183, -v4
	v_add_f32_e32 v5, v6, v5
	v_fmac_f32_e32 v158, v131, v183
	v_add_f32_e32 v1, v1, v188
	v_mul_f32_e32 v139, v156, v2
	v_mul_f32_e32 v2, v157, v2
	v_fma_f32 v3, v154, v182, -v3
	v_add_f32_e32 v4, v5, v4
	v_fmac_f32_e32 v134, v155, v182
	v_add_f32_e32 v1, v1, v158
	v_fma_f32 v2, v156, v181, -v2
	v_fmac_f32_e32 v139, v157, v181
	v_add_f32_e32 v3, v4, v3
	v_add_f32_e32 v1, v1, v134
	;; [unrolled: 1-line block ×4, first 2 shown]
	s_waitcnt vmcnt(1)
	v_sub_f32_e32 v2, v184, v2
	s_waitcnt vmcnt(0)
	v_sub_f32_e32 v1, v185, v1
	buffer_store_dword v2, off, s[0:3], 0 offset:200
	buffer_store_dword v1, off, s[0:3], 0 offset:204
	v_cmpx_lt_u32_e32 24, v0
	s_cbranch_execz .LBB55_301
; %bb.300:
	s_clause 0x1
	buffer_load_dword v1, off, s[0:3], 0 offset:192
	buffer_load_dword v2, off, s[0:3], 0 offset:196
	v_mov_b32_e32 v3, 0
	buffer_store_dword v3, off, s[0:3], 0 offset:192
	buffer_store_dword v3, off, s[0:3], 0 offset:196
	s_waitcnt vmcnt(0)
	ds_write_b64 v125, v[1:2]
.LBB55_301:
	s_or_b32 exec_lo, exec_lo, s4
	s_waitcnt lgkmcnt(0)
	s_waitcnt_vscnt null, 0x0
	s_barrier
	buffer_gl0_inv
	s_clause 0x3e
	buffer_load_dword v7, off, s[0:3], 0 offset:204
	buffer_load_dword v8, off, s[0:3], 0 offset:212
	;; [unrolled: 1-line block ×64, first 2 shown]
	v_mov_b32_e32 v1, 0
	ds_read2_b64 v[165:168], v1 offset0:81 offset1:82
	ds_read2_b64 v[169:172], v1 offset0:83 offset1:84
	s_mov_b32 s4, exec_lo
	ds_read2_b64 v[177:180], v1 offset0:95 offset1:96
	s_waitcnt vmcnt(62) lgkmcnt(2)
	v_mul_f32_e32 v173, v165, v7
	v_mul_f32_e32 v174, v167, v8
	;; [unrolled: 1-line block ×4, first 2 shown]
	s_waitcnt vmcnt(59)
	v_fmac_f32_e32 v173, v166, v129
	v_fmac_f32_e32 v174, v168, v128
	v_fma_f32 v7, v165, v129, -v7
	v_fma_f32 v8, v167, v128, -v8
	ds_read2_b64 v[165:168], v1 offset0:85 offset1:86
	s_waitcnt vmcnt(58) lgkmcnt(2)
	v_mul_f32_e32 v128, v169, v11
	s_waitcnt vmcnt(57)
	v_mul_f32_e32 v129, v171, v12
	v_mul_f32_e32 v11, v170, v11
	v_mul_f32_e32 v12, v172, v12
	v_add_f32_e32 v7, 0, v7
	v_fmac_f32_e32 v128, v170, v5
	s_waitcnt vmcnt(53)
	v_fmac_f32_e32 v129, v172, v155
	v_fma_f32 v5, v169, v5, -v11
	v_fma_f32 v11, v171, v155, -v12
	ds_read2_b64 v[169:172], v1 offset0:87 offset1:88
	v_add_f32_e32 v7, v7, v8
	v_add_f32_e32 v5, v7, v5
	s_waitcnt vmcnt(51) lgkmcnt(1)
	v_mul_f32_e32 v155, v167, v153
	v_mul_f32_e32 v153, v168, v153
	;; [unrolled: 1-line block ×4, first 2 shown]
	v_add_f32_e32 v5, v5, v11
	v_fmac_f32_e32 v155, v168, v146
	v_fma_f32 v146, v167, v146, -v153
	v_fmac_f32_e32 v12, v166, v150
	v_fma_f32 v150, v165, v150, -v154
	ds_read2_b64 v[165:168], v1 offset0:89 offset1:90
	s_waitcnt vmcnt(50) lgkmcnt(1)
	v_mul_f32_e32 v153, v169, v149
	v_mul_f32_e32 v149, v170, v149
	s_waitcnt vmcnt(49)
	v_mul_f32_e32 v195, v171, v147
	v_mul_f32_e32 v147, v172, v147
	v_add_f32_e32 v5, v5, v150
	v_fmac_f32_e32 v153, v170, v140
	v_fma_f32 v140, v169, v140, -v149
	v_add_f32_e32 v149, 0, v173
	s_waitcnt vmcnt(45)
	v_fmac_f32_e32 v195, v172, v163
	v_fma_f32 v147, v171, v163, -v147
	ds_read2_b64 v[169:172], v1 offset0:91 offset1:92
	v_add_f32_e32 v5, v5, v146
	v_add_f32_e32 v149, v149, v174
	ds_read2_b64 v[173:176], v1 offset0:93 offset1:94
	v_add_f32_e32 v5, v5, v140
	v_add_f32_e32 v8, v149, v128
	s_waitcnt vmcnt(44) lgkmcnt(2)
	v_mul_f32_e32 v149, v166, v161
	v_mul_f32_e32 v128, v165, v161
	v_add_f32_e32 v5, v5, v147
	v_add_f32_e32 v7, v8, v129
	s_waitcnt vmcnt(43)
	v_mul_f32_e32 v11, v167, v157
	v_fma_f32 v8, v165, v158, -v149
	v_fmac_f32_e32 v128, v166, v158
	v_add_f32_e32 v7, v7, v12
	v_mul_f32_e32 v12, v168, v157
	v_add_f32_e32 v5, v5, v8
	s_waitcnt vmcnt(42) lgkmcnt(1)
	v_mul_f32_e32 v129, v169, v156
	v_mul_f32_e32 v149, v170, v156
	v_add_f32_e32 v7, v7, v155
	v_fma_f32 v12, v167, v138, -v12
	v_fmac_f32_e32 v11, v168, v138
	s_waitcnt vmcnt(41)
	v_mul_f32_e32 v157, v172, v159
	v_fmac_f32_e32 v129, v170, v136
	v_add_f32_e32 v7, v7, v153
	v_fma_f32 v136, v169, v136, -v149
	v_add_f32_e32 v5, v5, v12
	v_mul_f32_e32 v150, v171, v159
	s_waitcnt vmcnt(40) lgkmcnt(0)
	v_mul_f32_e32 v138, v174, v148
	v_add_f32_e32 v7, v7, v195
	s_waitcnt vmcnt(36)
	v_fma_f32 v157, v171, v164, -v157
	v_add_f32_e32 v5, v5, v136
	v_mul_f32_e32 v158, v173, v148
	ds_read2_b64 v[153:156], v1 offset0:97 offset1:98
	ds_read2_b64 v[165:168], v1 offset0:99 offset1:100
	v_add_f32_e32 v7, v7, v128
	v_fmac_f32_e32 v150, v172, v164
	v_fma_f32 v159, v173, v162, -v138
	s_waitcnt vmcnt(35)
	v_mul_f32_e32 v138, v176, v151
	v_add_f32_e32 v5, v5, v157
	v_add_f32_e32 v7, v7, v11
	v_fmac_f32_e32 v158, v174, v162
	v_mul_f32_e32 v128, v175, v151
	s_waitcnt vmcnt(34)
	v_mul_f32_e32 v151, v177, v144
	s_waitcnt vmcnt(33)
	v_mul_f32_e32 v11, v179, v145
	v_add_f32_e32 v12, v7, v129
	v_mul_f32_e32 v8, v178, v144
	v_mul_f32_e32 v144, v180, v145
	v_fma_f32 v145, v175, v141, -v138
	v_add_f32_e32 v5, v5, v159
	v_add_f32_e32 v12, v12, v150
	v_fmac_f32_e32 v128, v176, v141
	v_fma_f32 v177, v177, v139, -v8
	v_fmac_f32_e32 v151, v178, v139
	v_add_f32_e32 v5, v5, v145
	v_add_f32_e32 v12, v12, v158
	s_waitcnt vmcnt(28)
	v_fma_f32 v129, v179, v152, -v144
	s_waitcnt vmcnt(27) lgkmcnt(1)
	v_mul_f32_e32 v136, v153, v142
	v_mul_f32_e32 v142, v154, v142
	v_add_f32_e32 v5, v5, v177
	v_add_f32_e32 v12, v12, v128
	ds_read2_b64 v[146:149], v1 offset0:101 offset1:102
	ds_read2_b64 v[161:164], v1 offset0:103 offset1:104
	v_fmac_f32_e32 v11, v180, v152
	s_waitcnt vmcnt(26)
	v_mul_f32_e32 v144, v155, v143
	v_mul_f32_e32 v143, v156, v143
	v_add_f32_e32 v12, v12, v151
	v_fmac_f32_e32 v136, v154, v137
	v_fma_f32 v137, v153, v137, -v142
	v_add_f32_e32 v5, v5, v129
	s_waitcnt lgkmcnt(2)
	v_mul_f32_e32 v150, v165, v135
	v_add_f32_e32 v11, v12, v11
	v_mul_f32_e32 v135, v166, v135
	v_fmac_f32_e32 v144, v156, v134
	v_fma_f32 v134, v155, v134, -v143
	v_add_f32_e32 v5, v5, v137
	v_add_f32_e32 v11, v11, v136
	s_waitcnt vmcnt(25)
	v_mul_f32_e32 v12, v168, v133
	v_fmac_f32_e32 v150, v166, v2
	v_fma_f32 v2, v165, v2, -v135
	v_add_f32_e32 v5, v5, v134
	v_mul_f32_e32 v152, v167, v133
	v_add_f32_e32 v11, v11, v144
	s_waitcnt vmcnt(24) lgkmcnt(1)
	v_mul_f32_e32 v142, v146, v132
	v_mul_f32_e32 v132, v147, v132
	s_waitcnt vmcnt(13)
	v_fma_f32 v12, v167, v181, -v12
	v_add_f32_e32 v2, v5, v2
	ds_read2_b64 v[138:141], v1 offset0:105 offset1:106
	ds_read2_b64 v[169:172], v1 offset0:107 offset1:108
	v_fmac_f32_e32 v152, v168, v181
	v_add_f32_e32 v5, v11, v150
	v_mul_f32_e32 v128, v148, v130
	v_mul_f32_e32 v11, v149, v130
	s_waitcnt vmcnt(10)
	v_fma_f32 v130, v146, v184, -v132
	v_add_f32_e32 v2, v2, v12
	v_fmac_f32_e32 v142, v147, v184
	v_add_f32_e32 v5, v5, v152
	s_waitcnt lgkmcnt(2)
	v_mul_f32_e32 v12, v162, v131
	v_fma_f32 v11, v148, v183, -v11
	v_add_f32_e32 v2, v2, v130
	v_mul_f32_e32 v145, v161, v131
	v_fmac_f32_e32 v128, v149, v183
	v_add_f32_e32 v5, v5, v142
	v_mul_f32_e32 v143, v163, v127
	v_mul_f32_e32 v127, v164, v127
	v_fma_f32 v12, v161, v182, -v12
	v_add_f32_e32 v2, v2, v11
	v_fmac_f32_e32 v145, v162, v182
	v_add_f32_e32 v5, v5, v128
	s_waitcnt lgkmcnt(1)
	v_mul_f32_e32 v153, v138, v126
	v_mul_f32_e32 v11, v139, v126
	s_waitcnt vmcnt(6)
	v_fma_f32 v126, v163, v188, -v127
	v_add_f32_e32 v2, v2, v12
	ds_read2_b64 v[173:176], v1 offset0:109 offset1:110
	ds_read_b64 v[7:8], v1 offset:888
	v_fmac_f32_e32 v143, v164, v188
	v_add_f32_e32 v5, v5, v145
	v_mul_f32_e32 v151, v140, v10
	v_mul_f32_e32 v10, v141, v10
	v_fma_f32 v11, v138, v187, -v11
	v_add_f32_e32 v2, v2, v126
	v_fmac_f32_e32 v153, v139, v187
	v_add_f32_e32 v5, v5, v143
	s_waitcnt lgkmcnt(2)
	v_mul_f32_e32 v154, v169, v9
	v_mul_f32_e32 v9, v170, v9
	v_fma_f32 v10, v140, v186, -v10
	v_add_f32_e32 v2, v2, v11
	v_fmac_f32_e32 v151, v141, v186
	v_add_f32_e32 v5, v5, v153
	v_mul_f32_e32 v155, v171, v6
	v_mul_f32_e32 v6, v172, v6
	v_fma_f32 v9, v169, v185, -v9
	v_add_f32_e32 v2, v2, v10
	v_fmac_f32_e32 v154, v170, v185
	v_add_f32_e32 v5, v5, v151
	s_waitcnt lgkmcnt(1)
	v_mul_f32_e32 v129, v173, v4
	v_mul_f32_e32 v4, v174, v4
	s_waitcnt vmcnt(2)
	v_fma_f32 v6, v171, v192, -v6
	v_add_f32_e32 v2, v2, v9
	v_fmac_f32_e32 v155, v172, v192
	v_add_f32_e32 v5, v5, v154
	v_mul_f32_e32 v133, v175, v3
	v_mul_f32_e32 v3, v176, v3
	v_fma_f32 v4, v173, v191, -v4
	v_add_f32_e32 v2, v2, v6
	v_fmac_f32_e32 v129, v174, v191
	v_add_f32_e32 v5, v5, v155
	s_waitcnt lgkmcnt(0)
	v_mul_f32_e32 v6, v8, v160
	v_fma_f32 v3, v175, v190, -v3
	v_add_f32_e32 v2, v2, v4
	v_mul_f32_e32 v136, v7, v160
	v_fmac_f32_e32 v133, v176, v190
	v_add_f32_e32 v4, v5, v129
	v_fma_f32 v5, v7, v189, -v6
	v_add_f32_e32 v2, v2, v3
	v_fmac_f32_e32 v136, v8, v189
	v_add_f32_e32 v3, v4, v133
	v_add_f32_e32 v2, v2, v5
	;; [unrolled: 1-line block ×3, first 2 shown]
	s_waitcnt vmcnt(1)
	v_sub_f32_e32 v2, v193, v2
	s_waitcnt vmcnt(0)
	v_sub_f32_e32 v3, v194, v3
	buffer_store_dword v2, off, s[0:3], 0 offset:192
	buffer_store_dword v3, off, s[0:3], 0 offset:196
	v_cmpx_lt_u32_e32 23, v0
	s_cbranch_execz .LBB55_303
; %bb.302:
	s_clause 0x1
	buffer_load_dword v2, off, s[0:3], 0 offset:184
	buffer_load_dword v3, off, s[0:3], 0 offset:188
	buffer_store_dword v1, off, s[0:3], 0 offset:184
	buffer_store_dword v1, off, s[0:3], 0 offset:188
	s_waitcnt vmcnt(0)
	ds_write_b64 v125, v[2:3]
.LBB55_303:
	s_or_b32 exec_lo, exec_lo, s4
	s_waitcnt lgkmcnt(0)
	s_waitcnt_vscnt null, 0x0
	s_barrier
	buffer_gl0_inv
	s_clause 0x31
	buffer_load_dword v127, off, s[0:3], 0 offset:196
	buffer_load_dword v4, off, s[0:3], 0 offset:204
	;; [unrolled: 1-line block ×50, first 2 shown]
	ds_read_b128 v[159:162], v1 offset:640
	s_clause 0x1
	buffer_load_dword v177, off, s[0:3], 0 offset:444
	buffer_load_dword v178, off, s[0:3], 0 offset:344
	ds_read_b128 v[163:166], v1 offset:656
	s_clause 0x2
	buffer_load_dword v179, off, s[0:3], 0 offset:368
	buffer_load_dword v180, off, s[0:3], 0 offset:360
	;; [unrolled: 1-line block ×3, first 2 shown]
	ds_read_b128 v[167:170], v1 offset:672
	s_clause 0x4
	buffer_load_dword v182, off, s[0:3], 0 offset:400
	buffer_load_dword v183, off, s[0:3], 0 offset:392
	;; [unrolled: 1-line block ×5, first 2 shown]
	s_mov_b32 s4, exec_lo
	s_waitcnt vmcnt(59) lgkmcnt(2)
	v_mul_f32_e32 v186, v159, v127
	v_mul_f32_e32 v127, v160, v127
	s_waitcnt vmcnt(58)
	v_mul_f32_e32 v188, v161, v4
	v_mul_f32_e32 v4, v162, v4
	s_waitcnt vmcnt(55)
	v_fmac_f32_e32 v186, v160, v9
	v_fma_f32 v9, v159, v9, -v127
	v_fmac_f32_e32 v188, v162, v6
	v_fma_f32 v189, v161, v6, -v4
	ds_read_b128 v[159:162], v1 offset:688
	s_clause 0x3
	buffer_load_dword v192, off, s[0:3], 0 offset:432
	buffer_load_dword v193, off, s[0:3], 0 offset:424
	;; [unrolled: 1-line block ×4, first 2 shown]
	s_waitcnt vmcnt(57) lgkmcnt(2)
	v_mul_f32_e32 v190, v165, v7
	v_mul_f32_e32 v4, v166, v7
	s_waitcnt vmcnt(51) lgkmcnt(1)
	v_mul_f32_e32 v191, v169, v137
	buffer_load_dword v197, off, s[0:3], 0 offset:184
	v_mul_f32_e32 v127, v163, v8
	v_fmac_f32_e32 v190, v166, v138
	v_fma_f32 v138, v165, v138, -v4
	v_mul_f32_e32 v4, v170, v137
	v_fmac_f32_e32 v191, v170, v132
	buffer_load_dword v170, off, s[0:3], 0 offset:440
	v_mul_f32_e32 v8, v164, v8
	v_fmac_f32_e32 v127, v164, v3
	v_fma_f32 v7, v163, v3, -v8
	v_mul_f32_e32 v3, v168, v5
	v_mul_f32_e32 v8, v167, v5
	v_fma_f32 v137, v167, v135, -v3
	v_fma_f32 v167, v169, v132, -v4
	ds_read_b128 v[3:6], v1 offset:704
	v_fmac_f32_e32 v8, v168, v135
	s_waitcnt vmcnt(52) lgkmcnt(1)
	v_mul_f32_e32 v168, v159, v134
	v_mul_f32_e32 v132, v160, v134
	s_waitcnt vmcnt(51)
	v_mul_f32_e32 v169, v161, v133
	v_mul_f32_e32 v133, v162, v133
	v_fmac_f32_e32 v168, v160, v129
	v_fma_f32 v129, v159, v129, -v132
	s_waitcnt vmcnt(47)
	v_fmac_f32_e32 v169, v162, v155
	v_fma_f32 v155, v161, v155, -v133
	ds_read_b128 v[132:135], v1 offset:720
	ds_read_b128 v[159:162], v1 offset:752
	s_waitcnt vmcnt(46) lgkmcnt(2)
	v_mul_f32_e32 v196, v3, v154
	v_mul_f32_e32 v154, v4, v154
	v_fmac_f32_e32 v196, v4, v152
	v_fma_f32 v152, v3, v152, -v154
	v_add_f32_e32 v3, 0, v9
	v_add_f32_e32 v4, 0, v186
	s_waitcnt vmcnt(45)
	v_mul_f32_e32 v9, v5, v150
	v_mul_f32_e32 v150, v6, v150
	v_add_f32_e32 v3, v3, v189
	v_add_f32_e32 v154, v4, v188
	v_fmac_f32_e32 v9, v6, v148
	v_fma_f32 v186, v5, v148, -v150
	s_waitcnt vmcnt(44) lgkmcnt(1)
	v_mul_f32_e32 v188, v132, v144
	v_add_f32_e32 v7, v3, v7
	v_add_f32_e32 v127, v154, v127
	ds_read_b128 v[3:6], v1 offset:736
	v_fmac_f32_e32 v188, v133, v139
	v_add_f32_e32 v7, v7, v138
	v_add_f32_e32 v127, v127, v190
	v_mul_f32_e32 v138, v133, v144
	s_waitcnt vmcnt(43)
	v_mul_f32_e32 v144, v134, v142
	v_mul_f32_e32 v142, v135, v142
	v_add_f32_e32 v7, v7, v137
	v_add_f32_e32 v8, v127, v8
	v_fma_f32 v189, v132, v139, -v138
	s_waitcnt vmcnt(39)
	v_fmac_f32_e32 v144, v135, v157
	v_fma_f32 v142, v134, v157, -v142
	v_add_f32_e32 v7, v7, v167
	v_add_f32_e32 v8, v8, v191
	ds_read_b128 v[132:135], v1 offset:768
	ds_read_b128 v[163:166], v1 offset:784
	s_waitcnt vmcnt(36) lgkmcnt(3)
	v_mul_f32_e32 v139, v160, v149
	s_waitcnt vmcnt(35)
	v_mul_f32_e32 v167, v161, v136
	v_add_f32_e32 v7, v7, v129
	v_add_f32_e32 v8, v8, v168
	s_waitcnt lgkmcnt(2)
	v_mul_f32_e32 v137, v4, v153
	v_mul_f32_e32 v127, v3, v153
	;; [unrolled: 1-line block ×3, first 2 shown]
	v_add_f32_e32 v7, v7, v155
	v_add_f32_e32 v8, v8, v169
	v_fma_f32 v168, v3, v147, -v137
	v_mul_f32_e32 v157, v5, v151
	v_fmac_f32_e32 v127, v4, v147
	v_add_f32_e32 v7, v7, v152
	v_add_f32_e32 v8, v8, v196
	v_fma_f32 v190, v5, v143, -v138
	v_mul_f32_e32 v129, v159, v149
	v_fmac_f32_e32 v157, v6, v143
	v_add_f32_e32 v7, v7, v186
	v_add_f32_e32 v8, v8, v9
	v_mul_f32_e32 v136, v162, v136
	v_fma_f32 v155, v159, v131, -v139
	v_fmac_f32_e32 v129, v160, v131
	v_add_f32_e32 v7, v7, v189
	v_add_f32_e32 v8, v8, v188
	s_waitcnt vmcnt(30)
	v_fmac_f32_e32 v167, v162, v156
	v_fma_f32 v156, v161, v156, -v136
	s_waitcnt vmcnt(28) lgkmcnt(1)
	v_mul_f32_e32 v9, v134, v146
	v_add_f32_e32 v7, v7, v142
	v_add_f32_e32 v8, v8, v144
	v_mul_f32_e32 v131, v133, v145
	ds_read_b128 v[3:6], v1 offset:800
	ds_read_b128 v[147:150], v1 offset:816
	v_mul_f32_e32 v159, v132, v145
	v_add_f32_e32 v7, v7, v168
	v_add_f32_e32 v8, v8, v127
	v_mul_f32_e32 v143, v135, v146
	v_fmac_f32_e32 v9, v135, v140
	v_fma_f32 v135, v132, v141, -v131
	v_add_f32_e32 v7, v7, v190
	v_add_f32_e32 v8, v8, v157
	v_fmac_f32_e32 v159, v133, v141
	ds_read_b128 v[136:139], v1 offset:832
	ds_read_b128 v[151:154], v1 offset:848
	v_fma_f32 v145, v134, v140, -v143
	v_add_f32_e32 v7, v7, v155
	v_add_f32_e32 v8, v8, v129
	ds_read_b128 v[131:134], v1 offset:864
	ds_read_b128 v[140:143], v1 offset:880
	s_waitcnt lgkmcnt(6)
	v_mul_f32_e32 v1, v163, v128
	v_mul_f32_e32 v128, v164, v128
	v_add_f32_e32 v7, v7, v156
	v_add_f32_e32 v8, v8, v167
	s_waitcnt vmcnt(27)
	v_mul_f32_e32 v127, v165, v130
	v_mul_f32_e32 v130, v166, v130
	v_fmac_f32_e32 v1, v164, v2
	v_add_f32_e32 v7, v7, v135
	v_add_f32_e32 v8, v8, v159
	v_fma_f32 v2, v163, v2, -v128
	s_waitcnt vmcnt(26) lgkmcnt(5)
	v_mul_f32_e32 v144, v3, v126
	s_waitcnt vmcnt(14)
	v_fmac_f32_e32 v127, v166, v178
	v_add_f32_e32 v7, v7, v145
	v_add_f32_e32 v8, v8, v9
	v_mul_f32_e32 v9, v4, v126
	v_fma_f32 v126, v165, v178, -v130
	v_mul_f32_e32 v146, v5, v12
	v_add_f32_e32 v2, v7, v2
	v_add_f32_e32 v1, v8, v1
	v_mul_f32_e32 v7, v6, v12
	s_waitcnt vmcnt(11)
	v_fma_f32 v3, v3, v181, -v9
	v_fmac_f32_e32 v144, v4, v181
	v_add_f32_e32 v2, v2, v126
	v_add_f32_e32 v1, v1, v127
	s_waitcnt lgkmcnt(4)
	v_mul_f32_e32 v4, v148, v11
	v_fma_f32 v5, v5, v180, -v7
	v_mul_f32_e32 v157, v147, v11
	v_add_f32_e32 v2, v2, v3
	v_fmac_f32_e32 v146, v6, v180
	v_add_f32_e32 v1, v1, v144
	v_mul_f32_e32 v3, v150, v10
	v_fma_f32 v4, v147, v179, -v4
	v_add_f32_e32 v2, v2, v5
	v_mul_f32_e32 v155, v149, v10
	v_fmac_f32_e32 v157, v148, v179
	v_add_f32_e32 v1, v1, v146
	s_waitcnt lgkmcnt(3)
	v_mul_f32_e32 v5, v137, v171
	s_waitcnt vmcnt(7)
	v_fma_f32 v3, v149, v185, -v3
	v_add_f32_e32 v2, v2, v4
	v_mul_f32_e32 v129, v136, v171
	v_fmac_f32_e32 v155, v150, v185
	v_add_f32_e32 v1, v1, v157
	v_mul_f32_e32 v4, v139, v172
	v_fma_f32 v5, v136, v184, -v5
	v_add_f32_e32 v2, v2, v3
	v_mul_f32_e32 v160, v138, v172
	v_fmac_f32_e32 v129, v137, v184
	v_add_f32_e32 v1, v1, v155
	s_waitcnt lgkmcnt(2)
	v_mul_f32_e32 v3, v152, v173
	v_fma_f32 v4, v138, v183, -v4
	v_add_f32_e32 v2, v2, v5
	v_mul_f32_e32 v156, v151, v173
	v_fmac_f32_e32 v160, v139, v183
	v_add_f32_e32 v1, v1, v129
	v_mul_f32_e32 v5, v154, v174
	v_fma_f32 v3, v151, v182, -v3
	v_add_f32_e32 v2, v2, v4
	v_mul_f32_e32 v161, v153, v174
	v_fmac_f32_e32 v156, v152, v182
	v_add_f32_e32 v1, v1, v160
	s_waitcnt lgkmcnt(1)
	v_mul_f32_e32 v4, v132, v175
	v_add_f32_e32 v2, v2, v3
	v_mul_f32_e32 v162, v131, v175
	v_mul_f32_e32 v3, v134, v176
	v_add_f32_e32 v1, v1, v156
	v_mul_f32_e32 v135, v133, v176
	s_waitcnt lgkmcnt(0)
	v_mul_f32_e32 v159, v140, v158
	v_mul_f32_e32 v128, v142, v177
	s_waitcnt vmcnt(5)
	v_fmac_f32_e32 v159, v141, v192
	s_waitcnt vmcnt(4)
	v_fma_f32 v3, v133, v193, -v3
	s_waitcnt vmcnt(3)
	v_fma_f32 v4, v131, v194, -v4
	;; [unrolled: 2-line block ×3, first 2 shown]
	v_fmac_f32_e32 v161, v154, v195
	v_fmac_f32_e32 v162, v132, v194
	;; [unrolled: 1-line block ×3, first 2 shown]
	v_add_f32_e32 v2, v2, v5
	v_add_f32_e32 v1, v1, v161
	v_mul_f32_e32 v5, v141, v158
	v_add_f32_e32 v2, v2, v4
	v_add_f32_e32 v1, v1, v162
	v_mul_f32_e32 v4, v143, v177
	v_fma_f32 v5, v140, v192, -v5
	s_waitcnt vmcnt(0)
	v_fmac_f32_e32 v128, v143, v170
	v_add_f32_e32 v2, v2, v3
	v_add_f32_e32 v1, v1, v135
	v_fma_f32 v3, v142, v170, -v4
	v_add_f32_e32 v2, v2, v5
	v_add_f32_e32 v1, v1, v159
	v_add_f32_e32 v2, v2, v3
	v_add_f32_e32 v1, v1, v128
	v_sub_f32_e32 v2, v197, v2
	v_sub_f32_e32 v1, v187, v1
	buffer_store_dword v2, off, s[0:3], 0 offset:184
	buffer_store_dword v1, off, s[0:3], 0 offset:188
	v_cmpx_lt_u32_e32 22, v0
	s_cbranch_execz .LBB55_305
; %bb.304:
	s_clause 0x1
	buffer_load_dword v1, off, s[0:3], 0 offset:176
	buffer_load_dword v2, off, s[0:3], 0 offset:180
	v_mov_b32_e32 v3, 0
	buffer_store_dword v3, off, s[0:3], 0 offset:176
	buffer_store_dword v3, off, s[0:3], 0 offset:180
	s_waitcnt vmcnt(0)
	ds_write_b64 v125, v[1:2]
.LBB55_305:
	s_or_b32 exec_lo, exec_lo, s4
	s_waitcnt lgkmcnt(0)
	s_waitcnt_vscnt null, 0x0
	s_barrier
	buffer_gl0_inv
	s_clause 0x26
	buffer_load_dword v3, off, s[0:3], 0 offset:188
	buffer_load_dword v4, off, s[0:3], 0 offset:196
	buffer_load_dword v6, off, s[0:3], 0 offset:204
	buffer_load_dword v2, off, s[0:3], 0 offset:200
	buffer_load_dword v9, off, s[0:3], 0 offset:192
	buffer_load_dword v12, off, s[0:3], 0 offset:184
	buffer_load_dword v7, off, s[0:3], 0 offset:212
	buffer_load_dword v133, off, s[0:3], 0 offset:232
	buffer_load_dword v137, off, s[0:3], 0 offset:224
	buffer_load_dword v139, off, s[0:3], 0 offset:216
	buffer_load_dword v144, off, s[0:3], 0 offset:208
	buffer_load_dword v143, off, s[0:3], 0 offset:220
	buffer_load_dword v142, off, s[0:3], 0 offset:228
	buffer_load_dword v138, off, s[0:3], 0 offset:236
	buffer_load_dword v136, off, s[0:3], 0 offset:244
	buffer_load_dword v145, off, s[0:3], 0 offset:264
	buffer_load_dword v151, off, s[0:3], 0 offset:256
	buffer_load_dword v157, off, s[0:3], 0 offset:248
	buffer_load_dword v160, off, s[0:3], 0 offset:240
	buffer_load_dword v159, off, s[0:3], 0 offset:252
	buffer_load_dword v154, off, s[0:3], 0 offset:260
	buffer_load_dword v149, off, s[0:3], 0 offset:268
	buffer_load_dword v148, off, s[0:3], 0 offset:276
	buffer_load_dword v135, off, s[0:3], 0 offset:296
	buffer_load_dword v150, off, s[0:3], 0 offset:288
	buffer_load_dword v152, off, s[0:3], 0 offset:280
	buffer_load_dword v161, off, s[0:3], 0 offset:272
	buffer_load_dword v156, off, s[0:3], 0 offset:284
	buffer_load_dword v155, off, s[0:3], 0 offset:292
	buffer_load_dword v153, off, s[0:3], 0 offset:300
	buffer_load_dword v140, off, s[0:3], 0 offset:308
	buffer_load_dword v131, off, s[0:3], 0 offset:312
	buffer_load_dword v134, off, s[0:3], 0 offset:316
	buffer_load_dword v127, off, s[0:3], 0 offset:328
	buffer_load_dword v129, off, s[0:3], 0 offset:332
	buffer_load_dword v141, off, s[0:3], 0 offset:320
	buffer_load_dword v158, off, s[0:3], 0 offset:304
	buffer_load_dword v146, off, s[0:3], 0 offset:324
	buffer_load_dword v132, off, s[0:3], 0 offset:340
	v_mov_b32_e32 v1, 0
	s_clause 0x2
	buffer_load_dword v130, off, s[0:3], 0 offset:348
	buffer_load_dword v128, off, s[0:3], 0 offset:356
	;; [unrolled: 1-line block ×3, first 2 shown]
	s_mov_b32 s4, exec_lo
	ds_read2_b64 v[163:166], v1 offset0:79 offset1:80
	s_clause 0x1
	buffer_load_dword v11, off, s[0:3], 0 offset:372
	buffer_load_dword v10, off, s[0:3], 0 offset:380
	ds_read2_b64 v[167:170], v1 offset0:81 offset1:82
	s_clause 0xc
	buffer_load_dword v147, off, s[0:3], 0 offset:336
	buffer_load_dword v8, off, s[0:3], 0 offset:388
	;; [unrolled: 1-line block ×13, first 2 shown]
	ds_read2_b64 v[171:174], v1 offset0:83 offset1:84
	s_waitcnt vmcnt(56) lgkmcnt(2)
	v_mul_f32_e32 v184, v163, v3
	v_mul_f32_e32 v3, v164, v3
	s_waitcnt vmcnt(55)
	v_mul_f32_e32 v185, v165, v4
	v_mul_f32_e32 v4, v166, v4
	s_waitcnt vmcnt(54) lgkmcnt(1)
	v_mul_f32_e32 v186, v167, v6
	v_mul_f32_e32 v6, v168, v6
	s_waitcnt vmcnt(51)
	v_fmac_f32_e32 v184, v164, v12
	v_fma_f32 v3, v163, v12, -v3
	v_fmac_f32_e32 v185, v166, v9
	v_fma_f32 v4, v165, v9, -v4
	ds_read2_b64 v[163:166], v1 offset0:85 offset1:86
	v_fmac_f32_e32 v186, v168, v2
	v_fma_f32 v2, v167, v2, -v6
	s_clause 0x3
	buffer_load_dword v6, off, s[0:3], 0 offset:392
	buffer_load_dword v12, off, s[0:3], 0 offset:384
	;; [unrolled: 1-line block ×4, first 2 shown]
	s_waitcnt vmcnt(54)
	v_mul_f32_e32 v9, v169, v7
	v_mul_f32_e32 v7, v170, v7
	s_waitcnt vmcnt(48) lgkmcnt(1)
	v_mul_f32_e32 v189, v173, v142
	v_mul_f32_e32 v142, v174, v142
	v_add_f32_e32 v3, 0, v3
	v_fmac_f32_e32 v9, v170, v144
	v_fma_f32 v7, v169, v144, -v7
	v_mul_f32_e32 v144, v171, v143
	ds_read2_b64 v[167:170], v1 offset0:87 offset1:88
	v_mul_f32_e32 v143, v172, v143
	v_fmac_f32_e32 v189, v174, v137
	v_fma_f32 v142, v173, v137, -v142
	v_fmac_f32_e32 v144, v172, v139
	s_clause 0x3
	buffer_load_dword v172, off, s[0:3], 0 offset:424
	buffer_load_dword v173, off, s[0:3], 0 offset:416
	;; [unrolled: 1-line block ×4, first 2 shown]
	v_fma_f32 v143, v171, v139, -v143
	v_add_f32_e32 v3, v3, v4
	s_waitcnt vmcnt(51) lgkmcnt(1)
	v_mul_f32_e32 v171, v163, v138
	v_mul_f32_e32 v137, v164, v138
	s_waitcnt vmcnt(50)
	v_mul_f32_e32 v191, v165, v136
	v_mul_f32_e32 v136, v166, v136
	v_add_f32_e32 v2, v3, v2
	v_fmac_f32_e32 v171, v164, v133
	v_fma_f32 v133, v163, v133, -v137
	v_add_f32_e32 v163, 0, v184
	s_waitcnt vmcnt(46)
	v_fmac_f32_e32 v191, v166, v160
	v_fma_f32 v160, v165, v160, -v136
	ds_read2_b64 v[136:139], v1 offset0:89 offset1:90
	v_add_f32_e32 v2, v2, v7
	s_waitcnt vmcnt(45) lgkmcnt(1)
	v_mul_f32_e32 v192, v167, v159
	v_mul_f32_e32 v159, v168, v159
	v_add_f32_e32 v2, v2, v143
	v_fmac_f32_e32 v192, v168, v157
	v_fma_f32 v157, v167, v157, -v159
	v_add_f32_e32 v159, v163, v185
	s_clause 0x2
	buffer_load_dword v184, off, s[0:3], 0 offset:440
	buffer_load_dword v185, off, s[0:3], 0 offset:432
	;; [unrolled: 1-line block ×3, first 2 shown]
	v_add_f32_e32 v2, v2, v142
	ds_read2_b64 v[163:166], v1 offset0:91 offset1:92
	v_add_f32_e32 v159, v159, v186
	s_waitcnt vmcnt(47)
	v_mul_f32_e32 v186, v169, v154
	v_mul_f32_e32 v154, v170, v154
	v_add_f32_e32 v2, v2, v133
	v_add_f32_e32 v9, v159, v9
	v_fmac_f32_e32 v186, v170, v151
	v_fma_f32 v3, v169, v151, -v154
	ds_read2_b64 v[167:170], v1 offset0:93 offset1:94
	v_add_f32_e32 v2, v2, v160
	v_add_f32_e32 v7, v9, v144
	s_waitcnt vmcnt(46) lgkmcnt(2)
	v_mul_f32_e32 v9, v136, v149
	v_mul_f32_e32 v144, v137, v149
	s_waitcnt vmcnt(45)
	v_mul_f32_e32 v193, v138, v148
	v_mul_f32_e32 v143, v139, v148
	v_add_f32_e32 v7, v7, v189
	v_add_f32_e32 v2, v2, v157
	v_fmac_f32_e32 v9, v137, v145
	v_fma_f32 v194, v136, v145, -v144
	s_waitcnt vmcnt(41)
	v_fmac_f32_e32 v193, v139, v161
	v_add_f32_e32 v7, v7, v171
	v_fma_f32 v161, v138, v161, -v143
	ds_read2_b64 v[136:139], v1 offset0:95 offset1:96
	ds_read2_b64 v[142:145], v1 offset0:97 offset1:98
	v_add_f32_e32 v2, v2, v3
	s_waitcnt vmcnt(40) lgkmcnt(3)
	v_mul_f32_e32 v171, v163, v156
	v_add_f32_e32 v7, v7, v191
	v_mul_f32_e32 v148, v164, v156
	s_waitcnt vmcnt(39)
	v_mul_f32_e32 v133, v166, v155
	v_add_f32_e32 v2, v2, v194
	v_mul_f32_e32 v189, v165, v155
	v_add_f32_e32 v7, v7, v192
	s_waitcnt vmcnt(38) lgkmcnt(2)
	v_mul_f32_e32 v191, v167, v153
	v_fmac_f32_e32 v171, v164, v152
	v_fma_f32 v195, v163, v152, -v148
	v_fma_f32 v196, v165, v150, -v133
	v_add_f32_e32 v7, v7, v186
	s_waitcnt vmcnt(37)
	v_mul_f32_e32 v133, v170, v140
	v_add_f32_e32 v2, v2, v161
	v_mul_f32_e32 v156, v168, v153
	v_fmac_f32_e32 v189, v166, v150
	v_add_f32_e32 v3, v7, v9
	v_fmac_f32_e32 v191, v168, v135
	s_waitcnt vmcnt(31)
	v_fma_f32 v168, v169, v158, -v133
	s_waitcnt lgkmcnt(1)
	v_mul_f32_e32 v7, v136, v134
	s_waitcnt vmcnt(30)
	v_mul_f32_e32 v9, v138, v146
	v_add_f32_e32 v3, v3, v193
	v_mul_f32_e32 v133, v137, v134
	v_mul_f32_e32 v134, v139, v146
	v_add_f32_e32 v161, v2, v195
	v_mul_f32_e32 v160, v169, v140
	v_add_f32_e32 v146, v3, v171
	v_fma_f32 v167, v167, v135, -v156
	s_waitcnt lgkmcnt(0)
	v_mul_f32_e32 v169, v142, v129
	v_add_f32_e32 v161, v161, v196
	v_fmac_f32_e32 v160, v170, v158
	v_add_f32_e32 v146, v146, v189
	v_mul_f32_e32 v129, v143, v129
	ds_read2_b64 v[148:151], v1 offset0:99 offset1:100
	ds_read2_b64 v[152:155], v1 offset0:101 offset1:102
	v_add_f32_e32 v161, v161, v167
	v_fmac_f32_e32 v7, v137, v131
	v_add_f32_e32 v146, v146, v191
	v_fma_f32 v131, v136, v131, -v133
	v_fmac_f32_e32 v169, v143, v127
	v_fma_f32 v127, v142, v127, -v129
	v_fmac_f32_e32 v9, v139, v141
	v_add_f32_e32 v142, v146, v160
	v_add_f32_e32 v146, v161, v168
	v_fma_f32 v141, v138, v141, -v134
	s_waitcnt vmcnt(29)
	v_mul_f32_e32 v170, v144, v132
	v_mul_f32_e32 v132, v145, v132
	v_add_f32_e32 v7, v142, v7
	v_add_f32_e32 v131, v146, v131
	ds_read2_b64 v[156:159], v1 offset0:103 offset1:104
	ds_read2_b64 v[163:166], v1 offset0:105 offset1:106
	s_waitcnt vmcnt(23)
	v_fmac_f32_e32 v170, v145, v147
	v_fma_f32 v132, v144, v147, -v132
	v_add_f32_e32 v7, v7, v9
	v_add_f32_e32 v131, v131, v141
	s_waitcnt lgkmcnt(3)
	v_mul_f32_e32 v171, v148, v130
	v_mul_f32_e32 v130, v149, v130
	;; [unrolled: 1-line block ×3, first 2 shown]
	v_add_f32_e32 v7, v7, v169
	v_add_f32_e32 v127, v131, v127
	v_mul_f32_e32 v167, v150, v128
	s_waitcnt vmcnt(14)
	v_fma_f32 v130, v148, v180, -v130
	v_fmac_f32_e32 v171, v149, v180
	v_add_f32_e32 v7, v7, v170
	v_add_f32_e32 v127, v127, v132
	s_waitcnt lgkmcnt(2)
	v_mul_f32_e32 v129, v152, v126
	v_mul_f32_e32 v126, v153, v126
	s_waitcnt vmcnt(13)
	v_fma_f32 v9, v150, v181, -v9
	v_fmac_f32_e32 v167, v151, v181
	v_add_f32_e32 v127, v127, v130
	v_add_f32_e32 v7, v7, v171
	v_mul_f32_e32 v143, v154, v11
	v_mul_f32_e32 v11, v155, v11
	s_waitcnt vmcnt(12)
	v_fma_f32 v126, v152, v182, -v126
	v_add_f32_e32 v9, v127, v9
	v_fmac_f32_e32 v129, v153, v182
	v_add_f32_e32 v7, v7, v167
	s_waitcnt lgkmcnt(1)
	v_mul_f32_e32 v160, v156, v10
	v_mul_f32_e32 v10, v157, v10
	v_add_f32_e32 v9, v9, v126
	ds_read2_b64 v[133:136], v1 offset0:107 offset1:108
	ds_read2_b64 v[137:140], v1 offset0:109 offset1:110
	ds_read_b64 v[2:3], v1 offset:888
	v_add_f32_e32 v7, v7, v129
	v_mul_f32_e32 v144, v158, v8
	v_mul_f32_e32 v8, v159, v8
	s_waitcnt lgkmcnt(3)
	v_mul_f32_e32 v145, v163, v5
	v_mul_f32_e32 v5, v164, v5
	;; [unrolled: 1-line block ×3, first 2 shown]
	s_waitcnt lgkmcnt(2)
	v_mul_f32_e32 v146, v133, v175
	v_mul_f32_e32 v147, v135, v176
	s_waitcnt lgkmcnt(1)
	v_mul_f32_e32 v128, v137, v177
	v_mul_f32_e32 v141, v139, v178
	s_waitcnt lgkmcnt(0)
	v_mul_f32_e32 v131, v2, v179
	s_waitcnt vmcnt(10)
	v_fmac_f32_e32 v145, v164, v6
	s_waitcnt vmcnt(9)
	v_fma_f32 v8, v158, v12, -v8
	s_waitcnt vmcnt(8)
	v_fma_f32 v10, v156, v187, -v10
	;; [unrolled: 2-line block ×3, first 2 shown]
	v_fmac_f32_e32 v143, v155, v188
	v_fmac_f32_e32 v160, v157, v187
	;; [unrolled: 1-line block ×3, first 2 shown]
	v_fma_f32 v5, v163, v6, -v5
	v_add_f32_e32 v9, v9, v11
	v_add_f32_e32 v7, v7, v143
	v_add_f32_e32 v9, v9, v10
	v_add_f32_e32 v7, v7, v160
	v_mul_f32_e32 v10, v166, v162
	s_waitcnt vmcnt(4)
	v_fmac_f32_e32 v146, v134, v174
	s_waitcnt vmcnt(3)
	v_fmac_f32_e32 v142, v166, v190
	v_add_f32_e32 v6, v9, v8
	v_add_f32_e32 v7, v7, v144
	v_mul_f32_e32 v8, v134, v175
	v_fma_f32 v9, v165, v190, -v10
	v_fmac_f32_e32 v147, v136, v173
	v_add_f32_e32 v5, v6, v5
	v_add_f32_e32 v6, v7, v145
	v_mul_f32_e32 v7, v136, v176
	v_fma_f32 v8, v133, v174, -v8
	;; [unrolled: 5-line block ×3, first 2 shown]
	v_add_f32_e32 v5, v5, v8
	v_add_f32_e32 v6, v6, v146
	v_mul_f32_e32 v8, v140, v178
	v_fma_f32 v9, v137, v172, -v9
	v_add_f32_e32 v5, v5, v7
	v_add_f32_e32 v6, v6, v147
	v_mul_f32_e32 v7, v3, v179
	s_waitcnt vmcnt(1)
	v_fma_f32 v8, v139, v185, -v8
	v_fmac_f32_e32 v141, v140, v185
	v_add_f32_e32 v5, v5, v9
	v_add_f32_e32 v6, v6, v128
	v_fmac_f32_e32 v131, v3, v184
	v_fma_f32 v2, v2, v184, -v7
	v_add_f32_e32 v3, v5, v8
	v_add_f32_e32 v5, v6, v141
	;; [unrolled: 1-line block ×4, first 2 shown]
	s_waitcnt vmcnt(0)
	v_sub_f32_e32 v2, v4, v2
	v_sub_f32_e32 v3, v183, v3
	buffer_store_dword v2, off, s[0:3], 0 offset:176
	buffer_store_dword v3, off, s[0:3], 0 offset:180
	v_cmpx_lt_u32_e32 21, v0
	s_cbranch_execz .LBB55_307
; %bb.306:
	s_clause 0x1
	buffer_load_dword v2, off, s[0:3], 0 offset:168
	buffer_load_dword v3, off, s[0:3], 0 offset:172
	buffer_store_dword v1, off, s[0:3], 0 offset:168
	buffer_store_dword v1, off, s[0:3], 0 offset:172
	s_waitcnt vmcnt(0)
	ds_write_b64 v125, v[2:3]
.LBB55_307:
	s_or_b32 exec_lo, exec_lo, s4
	s_waitcnt lgkmcnt(0)
	s_waitcnt_vscnt null, 0x0
	s_barrier
	buffer_gl0_inv
	s_clause 0x25
	buffer_load_dword v149, off, s[0:3], 0 offset:180
	buffer_load_dword v5, off, s[0:3], 0 offset:188
	;; [unrolled: 1-line block ×38, first 2 shown]
	ds_read_b128 v[150:153], v1 offset:624
	buffer_load_dword v173, off, s[0:3], 0 offset:332
	ds_read_b128 v[154:157], v1 offset:640
	ds_read_b128 v[158:161], v1 offset:656
	;; [unrolled: 1-line block ×4, first 2 shown]
	s_clause 0x9
	buffer_load_dword v174, off, s[0:3], 0 offset:328
	buffer_load_dword v175, off, s[0:3], 0 offset:336
	;; [unrolled: 1-line block ×10, first 2 shown]
	s_mov_b32 s4, exec_lo
	s_waitcnt vmcnt(48) lgkmcnt(4)
	v_mul_f32_e32 v183, v150, v149
	v_mul_f32_e32 v149, v151, v149
	s_waitcnt vmcnt(47)
	v_mul_f32_e32 v185, v152, v5
	v_mul_f32_e32 v5, v153, v5
	s_waitcnt vmcnt(44)
	v_fmac_f32_e32 v183, v151, v8
	s_waitcnt vmcnt(42) lgkmcnt(3)
	v_mul_f32_e32 v189, v156, v3
	v_mul_f32_e32 v3, v157, v3
	v_fma_f32 v8, v150, v8, -v149
	v_fmac_f32_e32 v185, v153, v6
	v_fma_f32 v6, v152, v6, -v5
	v_mul_f32_e32 v149, v154, v7
	v_mul_f32_e32 v5, v155, v7
	s_clause 0x6
	buffer_load_dword v150, off, s[0:3], 0 offset:396
	buffer_load_dword v151, off, s[0:3], 0 offset:404
	;; [unrolled: 1-line block ×7, first 2 shown]
	s_waitcnt vmcnt(44)
	v_fmac_f32_e32 v189, v157, v130
	v_fma_f32 v130, v156, v130, -v3
	s_clause 0x1
	buffer_load_dword v156, off, s[0:3], 0 offset:344
	buffer_load_dword v157, off, s[0:3], 0 offset:352
	v_fmac_f32_e32 v149, v155, v2
	v_fma_f32 v7, v154, v2, -v5
	s_waitcnt lgkmcnt(2)
	v_mul_f32_e32 v154, v158, v4
	v_mul_f32_e32 v2, v159, v4
	s_waitcnt vmcnt(45)
	v_mul_f32_e32 v155, v160, v129
	v_mul_f32_e32 v3, v161, v129
	s_waitcnt vmcnt(44) lgkmcnt(1)
	v_mul_f32_e32 v129, v162, v12
	v_fmac_f32_e32 v154, v159, v127
	v_fma_f32 v127, v158, v127, -v2
	v_fmac_f32_e32 v155, v161, v126
	v_fma_f32 v126, v160, v126, -v3
	s_clause 0x3
	buffer_load_dword v158, off, s[0:3], 0 offset:384
	buffer_load_dword v159, off, s[0:3], 0 offset:376
	;; [unrolled: 1-line block ×4, first 2 shown]
	v_mul_f32_e32 v2, v163, v12
	s_waitcnt vmcnt(47)
	v_mul_f32_e32 v12, v164, v11
	v_mul_f32_e32 v3, v165, v11
	v_fmac_f32_e32 v129, v163, v9
	s_waitcnt vmcnt(41) lgkmcnt(0)
	v_mul_f32_e32 v163, v168, v140
	v_fma_f32 v11, v162, v9, -v2
	v_mul_f32_e32 v162, v166, v141
	v_mul_f32_e32 v9, v167, v141
	;; [unrolled: 1-line block ×3, first 2 shown]
	v_fmac_f32_e32 v12, v165, v142
	v_fma_f32 v142, v164, v142, -v3
	ds_read_b128 v[2:5], v1 offset:704
	v_fmac_f32_e32 v162, v167, v139
	v_fma_f32 v164, v166, v139, -v9
	v_fmac_f32_e32 v163, v169, v138
	v_fma_f32 v165, v168, v138, -v140
	s_clause 0x7
	buffer_load_dword v166, off, s[0:3], 0 offset:416
	buffer_load_dword v167, off, s[0:3], 0 offset:408
	;; [unrolled: 1-line block ×8, first 2 shown]
	v_add_f32_e32 v8, 0, v8
	v_add_f32_e32 v9, 0, v183
	ds_read_b128 v[138:141], v1 offset:752
	v_add_f32_e32 v6, v8, v6
	v_add_f32_e32 v9, v9, v185
	s_waitcnt vmcnt(48) lgkmcnt(1)
	v_mul_f32_e32 v183, v2, v135
	v_mul_f32_e32 v8, v3, v135
	s_waitcnt vmcnt(47)
	v_mul_f32_e32 v185, v4, v134
	v_fmac_f32_e32 v183, v3, v132
	v_fma_f32 v135, v2, v132, -v8
	v_add_f32_e32 v2, v6, v7
	v_add_f32_e32 v3, v9, v149
	ds_read_b128 v[6:9], v1 offset:720
	s_waitcnt vmcnt(43)
	v_fmac_f32_e32 v185, v5, v148
	v_add_f32_e32 v130, v2, v130
	v_mul_f32_e32 v2, v5, v134
	v_add_f32_e32 v132, v3, v189
	v_add_f32_e32 v127, v130, v127
	v_fma_f32 v194, v4, v148, -v2
	ds_read_b128 v[2:5], v1 offset:736
	v_add_f32_e32 v130, v132, v154
	v_add_f32_e32 v126, v127, v126
	;; [unrolled: 1-line block ×4, first 2 shown]
	s_waitcnt vmcnt(42) lgkmcnt(1)
	v_mul_f32_e32 v132, v7, v147
	v_mul_f32_e32 v127, v6, v147
	v_fma_f32 v126, v6, v146, -v132
	v_add_f32_e32 v6, v130, v129
	v_fmac_f32_e32 v127, v7, v146
	v_add_f32_e32 v7, v11, v142
	s_waitcnt vmcnt(41)
	v_mul_f32_e32 v11, v8, v145
	s_waitcnt vmcnt(40) lgkmcnt(0)
	v_mul_f32_e32 v130, v3, v144
	v_add_f32_e32 v6, v6, v12
	v_mul_f32_e32 v129, v9, v145
	v_add_f32_e32 v7, v7, v164
	v_mul_f32_e32 v12, v2, v144
	ds_read_b128 v[146:149], v1 offset:768
	v_add_f32_e32 v6, v6, v162
	v_fma_f32 v162, v2, v131, -v130
	v_add_f32_e32 v2, v7, v165
	v_fmac_f32_e32 v11, v9, v133
	v_fma_f32 v142, v8, v133, -v129
	v_fmac_f32_e32 v12, v3, v131
	v_add_f32_e32 v3, v6, v163
	s_waitcnt vmcnt(38)
	v_mul_f32_e32 v133, v139, v137
	v_mul_f32_e32 v155, v138, v137
	v_add_f32_e32 v137, v2, v135
	v_mul_f32_e32 v134, v5, v143
	v_mul_f32_e32 v154, v4, v143
	s_waitcnt vmcnt(37)
	v_fma_f32 v164, v138, v136, -v133
	v_add_f32_e32 v138, v3, v183
	v_add_f32_e32 v137, v137, v194
	s_waitcnt vmcnt(32)
	v_fma_f32 v163, v4, v172, -v134
	ds_read_b128 v[6:9], v1 offset:784
	ds_read_b128 v[129:132], v1 offset:800
	v_fmac_f32_e32 v154, v5, v172
	v_add_f32_e32 v138, v138, v185
	v_add_f32_e32 v126, v137, v126
	v_mul_f32_e32 v165, v140, v128
	v_mul_f32_e32 v128, v141, v128
	v_fmac_f32_e32 v155, v139, v136
	v_add_f32_e32 v127, v138, v127
	v_add_f32_e32 v126, v126, v142
	s_waitcnt lgkmcnt(2)
	v_mul_f32_e32 v137, v147, v171
	v_fmac_f32_e32 v165, v141, v10
	v_fma_f32 v10, v140, v10, -v128
	v_add_f32_e32 v11, v127, v11
	v_add_f32_e32 v126, v126, v162
	v_mul_f32_e32 v172, v146, v171
	s_waitcnt vmcnt(31)
	v_mul_f32_e32 v183, v148, v173
	v_mul_f32_e32 v145, v149, v173
	v_add_f32_e32 v11, v11, v12
	v_add_f32_e32 v126, v126, v163
	v_fma_f32 v128, v146, v170, -v137
	v_fmac_f32_e32 v172, v147, v170
	s_waitcnt vmcnt(30)
	v_fmac_f32_e32 v183, v149, v174
	v_add_f32_e32 v11, v11, v154
	v_add_f32_e32 v126, v126, v164
	v_fma_f32 v149, v148, v174, -v145
	s_waitcnt vmcnt(28) lgkmcnt(1)
	v_mul_f32_e32 v127, v7, v176
	ds_read_b128 v[2:5], v1 offset:816
	ds_read_b128 v[133:136], v1 offset:832
	v_add_f32_e32 v11, v11, v155
	v_add_f32_e32 v10, v126, v10
	ds_read_b128 v[137:140], v1 offset:848
	ds_read_b128 v[141:144], v1 offset:864
	;; [unrolled: 1-line block ×3, first 2 shown]
	v_mul_f32_e32 v1, v6, v176
	v_add_f32_e32 v11, v11, v165
	v_add_f32_e32 v10, v10, v128
	s_waitcnt vmcnt(27)
	v_mul_f32_e32 v162, v9, v177
	v_fma_f32 v6, v6, v175, -v127
	v_mul_f32_e32 v12, v8, v177
	v_add_f32_e32 v11, v11, v172
	v_add_f32_e32 v10, v10, v149
	v_fmac_f32_e32 v1, v7, v175
	s_waitcnt vmcnt(26) lgkmcnt(5)
	v_mul_f32_e32 v127, v130, v178
	v_mul_f32_e32 v163, v129, v178
	v_add_f32_e32 v11, v11, v183
	v_add_f32_e32 v6, v10, v6
	s_waitcnt vmcnt(25)
	v_mul_f32_e32 v154, v131, v179
	s_waitcnt vmcnt(24) lgkmcnt(4)
	v_mul_f32_e32 v170, v2, v180
	s_waitcnt vmcnt(23)
	v_mul_f32_e32 v164, v4, v181
	v_add_f32_e32 v1, v11, v1
	s_waitcnt vmcnt(22) lgkmcnt(3)
	v_mul_f32_e32 v155, v133, v182
	s_waitcnt vmcnt(20)
	v_mul_f32_e32 v171, v135, v150
	s_waitcnt vmcnt(19) lgkmcnt(2)
	v_mul_f32_e32 v126, v137, v151
	s_waitcnt vmcnt(18)
	v_mul_f32_e32 v165, v139, v186
	;; [unrolled: 4-line block ×3, first 2 shown]
	s_waitcnt vmcnt(15) lgkmcnt(0)
	v_mul_f32_e32 v172, v145, v153
	s_waitcnt vmcnt(13)
	v_fma_f32 v8, v8, v156, -v162
	v_fmac_f32_e32 v12, v9, v156
	v_mul_f32_e32 v9, v132, v179
	s_waitcnt vmcnt(12)
	v_fma_f32 v10, v129, v157, -v127
	v_fmac_f32_e32 v163, v130, v157
	v_add_f32_e32 v6, v6, v8
	v_add_f32_e32 v1, v1, v12
	v_mul_f32_e32 v8, v3, v180
	v_mul_f32_e32 v7, v147, v188
	v_add_f32_e32 v6, v6, v10
	v_add_f32_e32 v1, v1, v163
	v_mul_f32_e32 v10, v5, v181
	s_waitcnt vmcnt(8)
	v_fma_f32 v9, v131, v161, -v9
	v_fmac_f32_e32 v154, v132, v161
	v_fmac_f32_e32 v170, v3, v160
	v_fma_f32 v2, v2, v160, -v8
	v_fma_f32 v4, v4, v159, -v10
	v_add_f32_e32 v3, v6, v9
	v_add_f32_e32 v1, v1, v154
	v_mul_f32_e32 v6, v134, v182
	v_fmac_f32_e32 v164, v5, v159
	v_fmac_f32_e32 v155, v134, v158
	v_add_f32_e32 v2, v3, v2
	v_add_f32_e32 v1, v1, v170
	v_mul_f32_e32 v3, v136, v150
	v_fma_f32 v5, v133, v158, -v6
	s_waitcnt vmcnt(4)
	v_fmac_f32_e32 v171, v136, v169
	v_add_f32_e32 v2, v2, v4
	v_add_f32_e32 v1, v1, v164
	v_mul_f32_e32 v4, v138, v151
	v_fma_f32 v3, v135, v169, -v3
	v_fmac_f32_e32 v126, v138, v168
	v_add_f32_e32 v2, v2, v5
	v_add_f32_e32 v1, v1, v155
	v_mul_f32_e32 v5, v140, v186
	v_fma_f32 v4, v137, v168, -v4
	v_fmac_f32_e32 v165, v140, v167
	v_add_f32_e32 v2, v2, v3
	v_add_f32_e32 v1, v1, v171
	v_mul_f32_e32 v3, v142, v187
	v_fma_f32 v5, v139, v167, -v5
	v_fmac_f32_e32 v173, v142, v166
	v_add_f32_e32 v2, v2, v4
	v_add_f32_e32 v1, v1, v126
	v_mul_f32_e32 v4, v144, v152
	v_fma_f32 v3, v141, v166, -v3
	s_waitcnt vmcnt(1)
	v_fmac_f32_e32 v128, v144, v192
	v_add_f32_e32 v2, v2, v5
	v_add_f32_e32 v1, v1, v165
	v_mul_f32_e32 v5, v146, v153
	v_fma_f32 v4, v143, v192, -v4
	v_fmac_f32_e32 v172, v146, v191
	v_add_f32_e32 v2, v2, v3
	v_add_f32_e32 v1, v1, v173
	v_mul_f32_e32 v3, v148, v188
	v_fma_f32 v5, v145, v191, -v5
	v_fmac_f32_e32 v7, v148, v190
	v_add_f32_e32 v2, v2, v4
	v_add_f32_e32 v1, v1, v128
	v_fma_f32 v3, v147, v190, -v3
	v_add_f32_e32 v2, v2, v5
	v_add_f32_e32 v1, v1, v172
	;; [unrolled: 1-line block ×4, first 2 shown]
	s_waitcnt vmcnt(0)
	v_sub_f32_e32 v2, v193, v2
	v_sub_f32_e32 v1, v184, v1
	buffer_store_dword v2, off, s[0:3], 0 offset:168
	buffer_store_dword v1, off, s[0:3], 0 offset:172
	v_cmpx_lt_u32_e32 20, v0
	s_cbranch_execz .LBB55_309
; %bb.308:
	s_clause 0x1
	buffer_load_dword v1, off, s[0:3], 0 offset:160
	buffer_load_dword v2, off, s[0:3], 0 offset:164
	v_mov_b32_e32 v3, 0
	buffer_store_dword v3, off, s[0:3], 0 offset:160
	buffer_store_dword v3, off, s[0:3], 0 offset:164
	s_waitcnt vmcnt(0)
	ds_write_b64 v125, v[1:2]
.LBB55_309:
	s_or_b32 exec_lo, exec_lo, s4
	s_waitcnt lgkmcnt(0)
	s_waitcnt_vscnt null, 0x0
	s_barrier
	buffer_gl0_inv
	s_clause 0x23
	buffer_load_dword v2, off, s[0:3], 0 offset:172
	buffer_load_dword v3, off, s[0:3], 0 offset:180
	;; [unrolled: 1-line block ×36, first 2 shown]
	v_mov_b32_e32 v1, 0
	s_clause 0x1
	buffer_load_dword v167, off, s[0:3], 0 offset:308
	buffer_load_dword v168, off, s[0:3], 0 offset:316
	s_mov_b32 s4, exec_lo
	ds_read2_b64 v[4:7], v1 offset0:77 offset1:78
	s_clause 0x7
	buffer_load_dword v169, off, s[0:3], 0 offset:324
	buffer_load_dword v170, off, s[0:3], 0 offset:332
	;; [unrolled: 1-line block ×8, first 2 shown]
	ds_read2_b64 v[8:11], v1 offset0:79 offset1:80
	s_clause 0x3
	buffer_load_dword v177, off, s[0:3], 0 offset:356
	buffer_load_dword v178, off, s[0:3], 0 offset:364
	;; [unrolled: 1-line block ×4, first 2 shown]
	ds_read2_b64 v[126:129], v1 offset0:81 offset1:82
	s_clause 0x4
	buffer_load_dword v181, off, s[0:3], 0 offset:388
	buffer_load_dword v182, off, s[0:3], 0 offset:396
	;; [unrolled: 1-line block ×5, first 2 shown]
	ds_read2_b64 v[130:133], v1 offset0:83 offset1:84
	s_waitcnt vmcnt(54) lgkmcnt(3)
	v_mul_f32_e32 v186, v5, v2
	v_mul_f32_e32 v187, v4, v2
	s_waitcnt vmcnt(53)
	v_mul_f32_e32 v188, v6, v3
	v_mul_f32_e32 v2, v7, v3
	s_waitcnt vmcnt(50)
	v_fma_f32 v186, v4, v135, -v186
	v_fmac_f32_e32 v187, v5, v135
	v_fmac_f32_e32 v188, v7, v134
	v_fma_f32 v134, v6, v134, -v2
	ds_read2_b64 v[2:5], v1 offset0:85 offset1:86
	s_waitcnt vmcnt(49) lgkmcnt(3)
	v_mul_f32_e32 v135, v8, v136
	v_mul_f32_e32 v6, v9, v136
	s_clause 0x7
	buffer_load_dword v190, off, s[0:3], 0 offset:420
	buffer_load_dword v191, off, s[0:3], 0 offset:428
	;; [unrolled: 1-line block ×8, first 2 shown]
	s_waitcnt vmcnt(56)
	v_mul_f32_e32 v136, v10, v137
	v_mul_f32_e32 v7, v11, v137
	s_waitcnt vmcnt(55) lgkmcnt(2)
	v_mul_f32_e32 v137, v126, v138
	v_mul_f32_e32 v138, v127, v138
	v_fmac_f32_e32 v135, v9, v12
	v_fma_f32 v12, v8, v12, -v6
	s_waitcnt vmcnt(54)
	v_mul_f32_e32 v6, v129, v139
	v_mul_f32_e32 v189, v128, v139
	s_waitcnt vmcnt(50)
	v_fmac_f32_e32 v136, v11, v143
	v_fma_f32 v11, v126, v142, -v138
	s_waitcnt vmcnt(49) lgkmcnt(1)
	v_mul_f32_e32 v138, v130, v144
	v_fma_f32 v126, v128, v141, -v6
	v_mul_f32_e32 v6, v131, v144
	v_fma_f32 v10, v10, v143, -v7
	v_fmac_f32_e32 v137, v127, v142
	v_fmac_f32_e32 v189, v129, v141
	s_waitcnt vmcnt(48)
	v_mul_f32_e32 v139, v132, v145
	v_mul_f32_e32 v7, v133, v145
	v_fmac_f32_e32 v138, v131, v140
	v_fma_f32 v130, v130, v140, -v6
	s_waitcnt vmcnt(43) lgkmcnt(0)
	v_mul_f32_e32 v140, v2, v150
	v_mul_f32_e32 v127, v3, v150
	s_waitcnt vmcnt(42)
	v_mul_f32_e32 v141, v4, v151
	v_mul_f32_e32 v128, v5, v151
	v_fmac_f32_e32 v139, v133, v149
	v_fma_f32 v131, v132, v149, -v7
	ds_read2_b64 v[6:9], v1 offset0:87 offset1:88
	v_fmac_f32_e32 v140, v3, v148
	v_fma_f32 v142, v2, v148, -v127
	v_fmac_f32_e32 v141, v5, v147
	v_fma_f32 v143, v4, v147, -v128
	s_clause 0x3
	buffer_load_dword v147, off, s[0:3], 0 offset:408
	buffer_load_dword v148, off, s[0:3], 0 offset:400
	;; [unrolled: 1-line block ×4, first 2 shown]
	v_add_f32_e32 v2, 0, v186
	s_clause 0x3
	buffer_load_dword v151, off, s[0:3], 0 offset:440
	buffer_load_dword v186, off, s[0:3], 0 offset:432
	;; [unrolled: 1-line block ×4, first 2 shown]
	v_add_f32_e32 v3, 0, v187
	buffer_load_dword v187, off, s[0:3], 0 offset:160
	v_add_f32_e32 v2, v2, v134
	v_add_f32_e32 v3, v3, v188
	v_add_f32_e32 v2, v2, v12
	v_add_f32_e32 v3, v3, v135
	s_waitcnt vmcnt(50) lgkmcnt(0)
	v_mul_f32_e32 v12, v6, v152
	v_mul_f32_e32 v4, v7, v152
	v_fmac_f32_e32 v12, v7, v146
	v_fma_f32 v134, v6, v146, -v4
	v_add_f32_e32 v6, v2, v10
	v_add_f32_e32 v7, v3, v136
	ds_read2_b64 v[2:5], v1 offset0:89 offset1:90
	v_add_f32_e32 v10, v6, v11
	s_waitcnt vmcnt(49)
	v_mul_f32_e32 v11, v8, v153
	v_mul_f32_e32 v6, v9, v153
	v_add_f32_e32 v127, v7, v137
	v_add_f32_e32 v10, v10, v126
	s_waitcnt vmcnt(45)
	v_fmac_f32_e32 v11, v9, v157
	v_fma_f32 v144, v8, v157, -v6
	ds_read2_b64 v[6:9], v1 offset0:91 offset1:92
	v_add_f32_e32 v132, v127, v189
	ds_read2_b64 v[126:129], v1 offset0:93 offset1:94
	v_add_f32_e32 v10, v10, v130
	v_add_f32_e32 v132, v132, v138
	;; [unrolled: 1-line block ×3, first 2 shown]
	s_waitcnt vmcnt(44) lgkmcnt(2)
	v_mul_f32_e32 v130, v3, v158
	v_mul_f32_e32 v145, v2, v158
	s_waitcnt vmcnt(43)
	v_mul_f32_e32 v135, v5, v159
	v_fma_f32 v146, v2, v156, -v130
	v_add_f32_e32 v2, v132, v139
	v_fmac_f32_e32 v145, v3, v156
	v_add_f32_e32 v3, v10, v142
	ds_read2_b64 v[130:133], v1 offset0:95 offset1:96
	v_mul_f32_e32 v10, v4, v159
	v_add_f32_e32 v2, v2, v140
	s_waitcnt vmcnt(42) lgkmcnt(2)
	v_mul_f32_e32 v136, v7, v160
	v_add_f32_e32 v3, v3, v143
	v_mul_f32_e32 v152, v6, v160
	s_waitcnt vmcnt(40) lgkmcnt(1)
	v_mul_f32_e32 v156, v126, v162
	v_add_f32_e32 v2, v2, v141
	v_fma_f32 v143, v6, v154, -v136
	v_add_f32_e32 v6, v3, v134
	v_fmac_f32_e32 v152, v7, v154
	s_waitcnt vmcnt(37)
	v_fmac_f32_e32 v156, v127, v165
	v_add_f32_e32 v7, v2, v12
	v_mul_f32_e32 v12, v127, v162
	v_add_f32_e32 v127, v6, v144
	v_fma_f32 v142, v4, v155, -v135
	v_fmac_f32_e32 v10, v5, v155
	v_add_f32_e32 v11, v7, v11
	v_fma_f32 v12, v126, v165, -v12
	v_add_f32_e32 v126, v127, v146
	v_mul_f32_e32 v138, v9, v161
	v_mul_f32_e32 v153, v8, v161
	v_add_f32_e32 v11, v11, v145
	ds_read2_b64 v[2:5], v1 offset0:97 offset1:98
	ds_read2_b64 v[134:137], v1 offset0:99 offset1:100
	v_add_f32_e32 v126, v126, v142
	s_waitcnt vmcnt(36)
	v_fma_f32 v154, v8, v166, -v138
	v_fmac_f32_e32 v153, v9, v166
	v_add_f32_e32 v10, v11, v10
	s_waitcnt vmcnt(35)
	v_mul_f32_e32 v127, v129, v167
	v_add_f32_e32 v161, v126, v143
	v_mul_f32_e32 v146, v128, v167
	s_waitcnt vmcnt(34) lgkmcnt(2)
	v_mul_f32_e32 v142, v131, v168
	v_add_f32_e32 v152, v10, v152
	v_fma_f32 v159, v128, v164, -v127
	v_add_f32_e32 v154, v161, v154
	v_mul_f32_e32 v155, v130, v168
	v_fmac_f32_e32 v146, v129, v164
	v_add_f32_e32 v152, v152, v153
	s_waitcnt vmcnt(33)
	v_mul_f32_e32 v158, v133, v169
	v_add_f32_e32 v12, v154, v12
	v_fma_f32 v160, v130, v163, -v142
	v_mul_f32_e32 v157, v132, v169
	v_add_f32_e32 v152, v152, v156
	v_fmac_f32_e32 v155, v131, v163
	v_add_f32_e32 v12, v12, v159
	s_waitcnt vmcnt(26)
	v_fma_f32 v158, v132, v176, -v158
	s_waitcnt lgkmcnt(1)
	v_mul_f32_e32 v162, v3, v170
	v_add_f32_e32 v146, v152, v146
	ds_read2_b64 v[6:9], v1 offset0:101 offset1:102
	ds_read2_b64 v[138:141], v1 offset0:103 offset1:104
	v_add_f32_e32 v12, v12, v160
	v_fmac_f32_e32 v157, v133, v176
	v_mul_f32_e32 v161, v2, v170
	v_add_f32_e32 v146, v146, v155
	v_mul_f32_e32 v163, v5, v171
	v_fma_f32 v2, v2, v175, -v162
	v_add_f32_e32 v12, v12, v158
	v_mul_f32_e32 v153, v4, v171
	v_fmac_f32_e32 v161, v3, v175
	v_add_f32_e32 v146, v146, v157
	s_waitcnt lgkmcnt(2)
	v_mul_f32_e32 v162, v135, v172
	v_fma_f32 v4, v4, v174, -v163
	v_add_f32_e32 v2, v12, v2
	v_mul_f32_e32 v154, v134, v172
	v_fmac_f32_e32 v153, v5, v174
	v_add_f32_e32 v12, v146, v161
	s_waitcnt vmcnt(25)
	v_mul_f32_e32 v157, v137, v177
	v_fma_f32 v134, v134, v173, -v162
	v_add_f32_e32 v2, v2, v4
	v_mul_f32_e32 v156, v136, v177
	v_fmac_f32_e32 v154, v135, v173
	v_add_f32_e32 v4, v12, v153
	s_waitcnt vmcnt(24) lgkmcnt(1)
	v_mul_f32_e32 v12, v7, v178
	v_add_f32_e32 v2, v2, v134
	ds_read2_b64 v[126:129], v1 offset0:105 offset1:106
	ds_read2_b64 v[142:145], v1 offset0:107 offset1:108
	v_mul_f32_e32 v3, v6, v178
	v_add_f32_e32 v4, v4, v154
	s_waitcnt vmcnt(23)
	v_mul_f32_e32 v134, v9, v179
	v_mul_f32_e32 v159, v8, v179
	s_waitcnt vmcnt(22) lgkmcnt(2)
	v_mul_f32_e32 v152, v138, v180
	s_waitcnt vmcnt(21)
	v_mul_f32_e32 v5, v140, v181
	ds_read2_b64 v[130:133], v1 offset0:109 offset1:110
	ds_read_b64 v[10:11], v1 offset:888
	s_waitcnt vmcnt(20) lgkmcnt(3)
	v_mul_f32_e32 v163, v126, v182
	s_waitcnt vmcnt(19)
	v_mul_f32_e32 v155, v128, v183
	s_waitcnt vmcnt(18) lgkmcnt(2)
	v_mul_f32_e32 v160, v142, v184
	s_waitcnt vmcnt(16)
	v_mul_f32_e32 v164, v144, v190
	s_waitcnt vmcnt(12)
	v_fmac_f32_e32 v152, v139, v194
	s_waitcnt vmcnt(11)
	v_fma_f32 v8, v8, v195, -v134
	s_waitcnt vmcnt(10)
	v_fma_f32 v6, v6, v196, -v12
	;; [unrolled: 2-line block ×3, first 2 shown]
	v_fmac_f32_e32 v156, v137, v197
	v_fmac_f32_e32 v3, v7, v196
	v_mul_f32_e32 v7, v139, v180
	v_fmac_f32_e32 v159, v9, v195
	v_add_f32_e32 v2, v2, v135
	v_add_f32_e32 v4, v4, v156
	s_waitcnt lgkmcnt(1)
	v_mul_f32_e32 v158, v130, v191
	v_mul_f32_e32 v165, v132, v192
	s_waitcnt lgkmcnt(0)
	v_mul_f32_e32 v146, v10, v193
	v_add_f32_e32 v2, v2, v6
	v_add_f32_e32 v3, v4, v3
	v_mul_f32_e32 v4, v141, v181
	v_fma_f32 v6, v138, v194, -v7
	v_mul_f32_e32 v7, v127, v182
	v_add_f32_e32 v2, v2, v8
	v_add_f32_e32 v3, v3, v159
	;; [unrolled: 1-line block ×4, first 2 shown]
	v_mul_f32_e32 v6, v129, v183
	s_waitcnt vmcnt(8)
	v_fmac_f32_e32 v160, v143, v147
	s_waitcnt vmcnt(7)
	v_fmac_f32_e32 v155, v129, v148
	s_waitcnt vmcnt(6)
	v_fma_f32 v7, v126, v149, -v7
	s_waitcnt vmcnt(5)
	v_fma_f32 v4, v140, v150, -v4
	v_fmac_f32_e32 v5, v141, v150
	v_fmac_f32_e32 v163, v127, v149
	s_waitcnt vmcnt(1)
	v_fmac_f32_e32 v164, v145, v199
	v_fmac_f32_e32 v158, v131, v198
	v_add_f32_e32 v2, v2, v4
	v_add_f32_e32 v3, v3, v5
	v_mul_f32_e32 v4, v143, v184
	v_fma_f32 v5, v128, v148, -v6
	v_mul_f32_e32 v6, v145, v190
	v_add_f32_e32 v2, v2, v7
	v_add_f32_e32 v3, v3, v163
	v_fma_f32 v4, v142, v147, -v4
	v_fmac_f32_e32 v165, v133, v186
	v_fma_f32 v6, v144, v199, -v6
	v_add_f32_e32 v2, v2, v5
	v_add_f32_e32 v3, v3, v155
	v_mul_f32_e32 v5, v131, v191
	v_fmac_f32_e32 v146, v11, v151
	v_add_f32_e32 v2, v2, v4
	v_add_f32_e32 v3, v3, v160
	v_mul_f32_e32 v4, v133, v192
	v_fma_f32 v5, v130, v198, -v5
	v_add_f32_e32 v2, v2, v6
	v_add_f32_e32 v3, v3, v164
	v_mul_f32_e32 v6, v11, v193
	v_fma_f32 v4, v132, v186, -v4
	v_add_f32_e32 v2, v2, v5
	v_add_f32_e32 v3, v3, v158
	v_fma_f32 v5, v10, v151, -v6
	v_add_f32_e32 v2, v2, v4
	v_add_f32_e32 v3, v3, v165
	v_add_f32_e32 v2, v2, v5
	v_add_f32_e32 v3, v3, v146
	s_waitcnt vmcnt(0)
	v_sub_f32_e32 v2, v187, v2
	v_sub_f32_e32 v3, v185, v3
	buffer_store_dword v2, off, s[0:3], 0 offset:160
	buffer_store_dword v3, off, s[0:3], 0 offset:164
	v_cmpx_lt_u32_e32 19, v0
	s_cbranch_execz .LBB55_311
; %bb.310:
	s_clause 0x1
	buffer_load_dword v2, off, s[0:3], 0 offset:152
	buffer_load_dword v3, off, s[0:3], 0 offset:156
	buffer_store_dword v1, off, s[0:3], 0 offset:152
	buffer_store_dword v1, off, s[0:3], 0 offset:156
	s_waitcnt vmcnt(0)
	ds_write_b64 v125, v[2:3]
.LBB55_311:
	s_or_b32 exec_lo, exec_lo, s4
	s_waitcnt lgkmcnt(0)
	s_waitcnt_vscnt null, 0x0
	s_barrier
	buffer_gl0_inv
	s_clause 0x23
	buffer_load_dword v134, off, s[0:3], 0 offset:164
	buffer_load_dword v135, off, s[0:3], 0 offset:172
	;; [unrolled: 1-line block ×36, first 2 shown]
	ds_read_b128 v[5:8], v1 offset:608
	s_clause 0x2
	buffer_load_dword v170, off, s[0:3], 0 offset:300
	buffer_load_dword v171, off, s[0:3], 0 offset:308
	;; [unrolled: 1-line block ×3, first 2 shown]
	ds_read_b128 v[9:12], v1 offset:624
	s_clause 0x3
	buffer_load_dword v173, off, s[0:3], 0 offset:348
	buffer_load_dword v4, off, s[0:3], 0 offset:356
	;; [unrolled: 1-line block ×4, first 2 shown]
	ds_read_b128 v[126:129], v1 offset:640
	s_clause 0x6
	buffer_load_dword v174, off, s[0:3], 0 offset:324
	buffer_load_dword v175, off, s[0:3], 0 offset:332
	;; [unrolled: 1-line block ×7, first 2 shown]
	ds_read_b128 v[130:133], v1 offset:656
	buffer_load_dword v184, off, s[0:3], 0 offset:156
	s_mov_b32 s4, exec_lo
	s_waitcnt vmcnt(50) lgkmcnt(3)
	v_mul_f32_e32 v181, v6, v134
	v_mul_f32_e32 v182, v5, v134
	s_waitcnt vmcnt(49)
	v_mul_f32_e32 v183, v7, v135
	v_mul_f32_e32 v134, v8, v135
	s_waitcnt vmcnt(46)
	v_fma_f32 v181, v5, v137, -v181
	v_fmac_f32_e32 v182, v6, v137
	v_fmac_f32_e32 v183, v8, v136
	v_fma_f32 v185, v7, v136, -v134
	ds_read_b128 v[5:8], v1 offset:672
	ds_read_b128 v[134:137], v1 offset:688
	s_waitcnt vmcnt(45) lgkmcnt(4)
	v_mul_f32_e32 v186, v9, v139
	v_mul_f32_e32 v139, v10, v139
	s_waitcnt vmcnt(43) lgkmcnt(3)
	v_mul_f32_e32 v188, v126, v141
	v_mul_f32_e32 v141, v127, v141
	;; [unrolled: 1-line block ×3, first 2 shown]
	v_fmac_f32_e32 v186, v10, v138
	v_fma_f32 v138, v9, v138, -v139
	s_waitcnt vmcnt(42)
	v_mul_f32_e32 v9, v129, v142
	v_mul_f32_e32 v140, v12, v140
	v_mul_f32_e32 v139, v128, v142
	s_waitcnt vmcnt(39)
	v_fmac_f32_e32 v188, v127, v145
	v_fma_f32 v126, v126, v145, -v141
	v_fma_f32 v127, v128, v144, -v9
	s_waitcnt vmcnt(37) lgkmcnt(2)
	v_mul_f32_e32 v128, v130, v147
	v_mul_f32_e32 v9, v131, v147
	s_waitcnt vmcnt(36)
	v_mul_f32_e32 v141, v132, v148
	v_mul_f32_e32 v10, v133, v148
	v_fmac_f32_e32 v187, v12, v146
	v_fma_f32 v140, v11, v146, -v140
	s_clause 0x3
	buffer_load_dword v146, off, s[0:3], 0 offset:380
	buffer_load_dword v189, off, s[0:3], 0 offset:388
	buffer_load_dword v190, off, s[0:3], 0 offset:396
	buffer_load_dword v191, off, s[0:3], 0 offset:404
	v_fmac_f32_e32 v139, v129, v144
	s_clause 0x4
	buffer_load_dword v192, off, s[0:3], 0 offset:412
	buffer_load_dword v193, off, s[0:3], 0 offset:420
	;; [unrolled: 1-line block ×5, first 2 shown]
	v_fmac_f32_e32 v128, v131, v143
	v_fma_f32 v129, v130, v143, -v9
	s_waitcnt vmcnt(44) lgkmcnt(1)
	v_mul_f32_e32 v130, v5, v149
	v_mul_f32_e32 v9, v6, v149
	s_waitcnt vmcnt(40)
	v_fmac_f32_e32 v141, v133, v153
	v_fma_f32 v131, v132, v153, -v10
	s_waitcnt vmcnt(39)
	v_mul_f32_e32 v142, v7, v154
	v_mul_f32_e32 v10, v8, v154
	s_clause 0x3
	buffer_load_dword v148, off, s[0:3], 0 offset:368
	buffer_load_dword v149, off, s[0:3], 0 offset:360
	;; [unrolled: 1-line block ×4, first 2 shown]
	v_fmac_f32_e32 v130, v6, v152
	v_fma_f32 v132, v5, v152, -v9
	v_fmac_f32_e32 v142, v8, v151
	v_fma_f32 v143, v7, v151, -v10
	ds_read_b128 v[5:8], v1 offset:704
	s_waitcnt vmcnt(42) lgkmcnt(1)
	v_mul_f32_e32 v144, v134, v155
	v_mul_f32_e32 v9, v135, v155
	s_waitcnt vmcnt(41)
	v_mul_f32_e32 v145, v136, v156
	v_mul_f32_e32 v10, v137, v156
	v_fmac_f32_e32 v144, v135, v150
	v_fma_f32 v134, v134, v150, -v9
	s_clause 0x3
	buffer_load_dword v150, off, s[0:3], 0 offset:400
	buffer_load_dword v151, off, s[0:3], 0 offset:392
	;; [unrolled: 1-line block ×4, first 2 shown]
	v_add_f32_e32 v9, 0, v181
	s_waitcnt vmcnt(41)
	v_fmac_f32_e32 v145, v137, v160
	v_fma_f32 v135, v136, v160, -v10
	v_add_f32_e32 v10, 0, v182
	v_add_f32_e32 v133, v9, v185
	;; [unrolled: 1-line block ×3, first 2 shown]
	ds_read_b128 v[9:12], v1 offset:720
	v_add_f32_e32 v133, v133, v138
	s_waitcnt vmcnt(40) lgkmcnt(1)
	v_mul_f32_e32 v138, v5, v161
	v_mul_f32_e32 v137, v6, v161
	v_add_f32_e32 v136, v136, v186
	s_waitcnt vmcnt(39)
	v_mul_f32_e32 v185, v7, v162
	v_fmac_f32_e32 v138, v6, v159
	v_fma_f32 v156, v5, v159, -v137
	s_clause 0x5
	buffer_load_dword v159, off, s[0:3], 0 offset:432
	buffer_load_dword v160, off, s[0:3], 0 offset:424
	;; [unrolled: 1-line block ×6, first 2 shown]
	v_add_f32_e32 v5, v133, v140
	v_add_f32_e32 v6, v136, v187
	v_fmac_f32_e32 v185, v8, v158
	v_add_f32_e32 v5, v5, v126
	v_add_f32_e32 v6, v6, v188
	v_mul_f32_e32 v126, v8, v162
	s_waitcnt vmcnt(43) lgkmcnt(0)
	v_mul_f32_e32 v137, v12, v164
	v_mul_f32_e32 v162, v9, v163
	v_add_f32_e32 v5, v5, v127
	v_add_f32_e32 v127, v6, v139
	v_fma_f32 v158, v7, v158, -v126
	v_fmac_f32_e32 v162, v10, v157
	v_add_f32_e32 v133, v5, v129
	ds_read_b128 v[5:8], v1 offset:736
	v_add_f32_e32 v136, v127, v128
	ds_read_b128 v[126:129], v1 offset:752
	v_add_f32_e32 v131, v133, v131
	v_mul_f32_e32 v133, v10, v163
	v_add_f32_e32 v136, v136, v141
	v_mul_f32_e32 v163, v11, v164
	s_waitcnt vmcnt(39)
	v_fma_f32 v164, v11, v168, -v137
	v_add_f32_e32 v139, v131, v132
	v_fma_f32 v157, v9, v157, -v133
	v_add_f32_e32 v136, v136, v130
	v_fmac_f32_e32 v163, v12, v168
	ds_read_b128 v[9:12], v1 offset:768
	ds_read_b128 v[130:133], v1 offset:784
	v_add_f32_e32 v137, v139, v143
	v_add_f32_e32 v136, v136, v142
	;; [unrolled: 1-line block ×3, first 2 shown]
	s_waitcnt vmcnt(38) lgkmcnt(3)
	v_mul_f32_e32 v168, v5, v169
	v_mul_f32_e32 v139, v6, v169
	s_waitcnt vmcnt(37)
	v_mul_f32_e32 v169, v7, v170
	v_mul_f32_e32 v140, v8, v170
	v_add_f32_e32 v136, v136, v144
	v_fmac_f32_e32 v168, v6, v167
	v_fma_f32 v167, v5, v167, -v139
	v_add_f32_e32 v139, v134, v135
	v_fmac_f32_e32 v169, v8, v166
	v_fma_f32 v166, v7, v166, -v140
	v_add_f32_e32 v140, v136, v145
	s_waitcnt vmcnt(35) lgkmcnt(2)
	v_mul_f32_e32 v142, v129, v172
	v_add_f32_e32 v143, v139, v156
	s_waitcnt vmcnt(30) lgkmcnt(1)
	v_mul_f32_e32 v144, v10, v174
	v_mul_f32_e32 v170, v126, v171
	;; [unrolled: 1-line block ×3, first 2 shown]
	s_waitcnt vmcnt(24)
	v_fma_f32 v156, v128, v180, -v142
	v_add_f32_e32 v142, v140, v138
	v_add_f32_e32 v143, v143, v158
	v_mul_f32_e32 v158, v9, v174
	v_fmac_f32_e32 v170, v127, v165
	v_fma_f32 v165, v126, v165, -v141
	v_add_f32_e32 v142, v142, v185
	v_mul_f32_e32 v171, v128, v172
	v_fmac_f32_e32 v158, v10, v179
	v_add_f32_e32 v10, v143, v157
	ds_read_b128 v[5:8], v1 offset:800
	ds_read_b128 v[134:137], v1 offset:816
	v_add_f32_e32 v142, v142, v162
	v_fmac_f32_e32 v171, v129, v180
	v_mul_f32_e32 v145, v12, v175
	v_add_f32_e32 v164, v10, v164
	v_fma_f32 v157, v9, v179, -v144
	v_add_f32_e32 v163, v142, v163
	v_mul_f32_e32 v172, v11, v175
	v_fma_f32 v162, v11, v178, -v145
	v_add_f32_e32 v164, v164, v167
	s_waitcnt lgkmcnt(2)
	v_mul_f32_e32 v167, v131, v176
	v_add_f32_e32 v163, v163, v168
	ds_read_b128 v[126:129], v1 offset:832
	ds_read_b128 v[138:141], v1 offset:848
	v_fmac_f32_e32 v172, v12, v178
	v_add_f32_e32 v164, v164, v166
	ds_read_b128 v[9:12], v1 offset:864
	ds_read_b128 v[142:145], v1 offset:880
	v_add_f32_e32 v163, v163, v169
	v_mul_f32_e32 v1, v130, v176
	v_mul_f32_e32 v168, v132, v173
	v_add_f32_e32 v164, v164, v165
	v_mul_f32_e32 v173, v133, v173
	v_add_f32_e32 v163, v163, v170
	v_fma_f32 v130, v130, v177, -v167
	v_fmac_f32_e32 v1, v131, v177
	v_add_f32_e32 v156, v164, v156
	s_waitcnt lgkmcnt(5)
	v_mul_f32_e32 v166, v5, v4
	v_add_f32_e32 v163, v163, v171
	v_mul_f32_e32 v4, v6, v4
	v_mul_f32_e32 v169, v7, v3
	v_add_f32_e32 v156, v156, v157
	v_mul_f32_e32 v3, v8, v3
	v_add_f32_e32 v158, v163, v158
	s_waitcnt lgkmcnt(4)
	v_mul_f32_e32 v174, v134, v2
	v_mul_f32_e32 v2, v135, v2
	v_add_f32_e32 v156, v156, v162
	v_add_f32_e32 v158, v158, v172
	;; [unrolled: 1-line block ×4, first 2 shown]
	s_waitcnt vmcnt(22)
	v_mul_f32_e32 v165, v136, v146
	s_waitcnt vmcnt(21) lgkmcnt(3)
	v_mul_f32_e32 v170, v126, v189
	s_waitcnt vmcnt(20)
	v_mul_f32_e32 v175, v128, v190
	s_waitcnt vmcnt(19) lgkmcnt(2)
	v_mul_f32_e32 v164, v138, v191
	;; [unrolled: 4-line block ×4, first 2 shown]
	s_waitcnt vmcnt(14)
	v_mul_f32_e32 v131, v144, v147
	s_waitcnt vmcnt(13)
	v_fma_f32 v2, v134, v148, -v2
	s_waitcnt vmcnt(12)
	v_fma_f32 v3, v7, v149, -v3
	;; [unrolled: 2-line block ×4, first 2 shown]
	v_fmac_f32_e32 v168, v133, v154
	v_fmac_f32_e32 v166, v6, v153
	;; [unrolled: 1-line block ×4, first 2 shown]
	v_add_f32_e32 v5, v130, v132
	v_add_f32_e32 v1, v1, v168
	;; [unrolled: 1-line block ×4, first 2 shown]
	v_mul_f32_e32 v5, v137, v146
	s_waitcnt vmcnt(6)
	v_fmac_f32_e32 v165, v137, v155
	v_fmac_f32_e32 v170, v127, v152
	v_add_f32_e32 v3, v4, v3
	v_add_f32_e32 v1, v1, v169
	v_mul_f32_e32 v4, v127, v189
	v_fma_f32 v5, v136, v155, -v5
	v_fmac_f32_e32 v175, v129, v151
	v_add_f32_e32 v2, v3, v2
	v_add_f32_e32 v1, v1, v174
	v_mul_f32_e32 v3, v129, v190
	v_fma_f32 v4, v126, v152, -v4
	;; [unrolled: 5-line block ×3, first 2 shown]
	s_waitcnt vmcnt(5)
	v_fmac_f32_e32 v163, v143, v159
	v_add_f32_e32 v2, v2, v4
	v_add_f32_e32 v1, v1, v170
	v_mul_f32_e32 v4, v141, v192
	v_fma_f32 v5, v138, v150, -v5
	s_waitcnt vmcnt(2)
	v_fmac_f32_e32 v171, v141, v181
	v_add_f32_e32 v2, v2, v3
	v_add_f32_e32 v1, v1, v175
	v_mul_f32_e32 v3, v10, v193
	v_fma_f32 v4, v140, v181, -v4
	v_fmac_f32_e32 v176, v10, v161
	v_add_f32_e32 v2, v2, v5
	v_add_f32_e32 v1, v1, v164
	v_mul_f32_e32 v5, v12, v194
	v_fma_f32 v3, v9, v161, -v3
	v_fmac_f32_e32 v157, v12, v160
	v_add_f32_e32 v2, v2, v4
	v_add_f32_e32 v1, v1, v171
	v_mul_f32_e32 v4, v143, v195
	v_fma_f32 v5, v11, v160, -v5
	s_waitcnt vmcnt(1)
	v_fmac_f32_e32 v131, v145, v182
	v_add_f32_e32 v2, v2, v3
	v_add_f32_e32 v1, v1, v176
	v_mul_f32_e32 v3, v145, v147
	v_fma_f32 v4, v142, v159, -v4
	v_add_f32_e32 v2, v2, v5
	v_add_f32_e32 v1, v1, v157
	v_fma_f32 v3, v144, v182, -v3
	v_add_f32_e32 v2, v2, v4
	v_add_f32_e32 v1, v1, v163
	;; [unrolled: 1-line block ×4, first 2 shown]
	s_waitcnt vmcnt(0)
	v_sub_f32_e32 v2, v183, v2
	v_sub_f32_e32 v1, v184, v1
	buffer_store_dword v2, off, s[0:3], 0 offset:152
	buffer_store_dword v1, off, s[0:3], 0 offset:156
	v_cmpx_lt_u32_e32 18, v0
	s_cbranch_execz .LBB55_313
; %bb.312:
	s_clause 0x1
	buffer_load_dword v1, off, s[0:3], 0 offset:144
	buffer_load_dword v2, off, s[0:3], 0 offset:148
	v_mov_b32_e32 v3, 0
	buffer_store_dword v3, off, s[0:3], 0 offset:144
	buffer_store_dword v3, off, s[0:3], 0 offset:148
	s_waitcnt vmcnt(0)
	ds_write_b64 v125, v[1:2]
.LBB55_313:
	s_or_b32 exec_lo, exec_lo, s4
	s_waitcnt lgkmcnt(0)
	s_waitcnt_vscnt null, 0x0
	s_barrier
	buffer_gl0_inv
	s_clause 0x25
	buffer_load_dword v2, off, s[0:3], 0 offset:156
	buffer_load_dword v3, off, s[0:3], 0 offset:164
	;; [unrolled: 1-line block ×38, first 2 shown]
	v_mov_b32_e32 v1, 0
	ds_read2_b64 v[4:7], v1 offset0:75 offset1:76
	ds_read2_b64 v[8:11], v1 offset0:77 offset1:78
	s_clause 0x10
	buffer_load_dword v169, off, s[0:3], 0 offset:308
	buffer_load_dword v170, off, s[0:3], 0 offset:316
	;; [unrolled: 1-line block ×17, first 2 shown]
	ds_read2_b64 v[126:129], v1 offset0:79 offset1:80
	ds_read2_b64 v[130:133], v1 offset0:81 offset1:82
	s_mov_b32 s4, exec_lo
	s_waitcnt vmcnt(54) lgkmcnt(3)
	v_mul_f32_e32 v186, v5, v2
	v_mul_f32_e32 v187, v4, v2
	s_waitcnt vmcnt(53)
	v_mul_f32_e32 v188, v6, v3
	v_mul_f32_e32 v2, v7, v3
	s_waitcnt vmcnt(52) lgkmcnt(2)
	v_mul_f32_e32 v189, v8, v12
	v_mul_f32_e32 v3, v9, v12
	s_waitcnt vmcnt(49)
	v_fma_f32 v12, v4, v136, -v186
	s_waitcnt vmcnt(48)
	v_mul_f32_e32 v4, v11, v137
	v_fmac_f32_e32 v187, v5, v136
	v_mul_f32_e32 v136, v10, v137
	v_fmac_f32_e32 v188, v7, v135
	v_fma_f32 v135, v6, v135, -v2
	v_fmac_f32_e32 v189, v9, v134
	v_fma_f32 v134, v8, v134, -v3
	s_waitcnt vmcnt(44)
	v_fma_f32 v10, v10, v141, -v4
	ds_read2_b64 v[2:5], v1 offset0:83 offset1:84
	ds_read2_b64 v[6:9], v1 offset0:85 offset1:86
	v_fmac_f32_e32 v136, v11, v141
	s_waitcnt vmcnt(43) lgkmcnt(3)
	v_mul_f32_e32 v11, v126, v142
	v_mul_f32_e32 v137, v127, v142
	s_waitcnt vmcnt(42)
	v_mul_f32_e32 v141, v128, v143
	v_mul_f32_e32 v142, v129, v143
	s_waitcnt vmcnt(41) lgkmcnt(2)
	v_mul_f32_e32 v143, v130, v144
	v_mul_f32_e32 v144, v131, v144
	v_fmac_f32_e32 v11, v127, v140
	v_fma_f32 v126, v126, v140, -v137
	s_waitcnt vmcnt(40)
	v_mul_f32_e32 v127, v132, v145
	v_mul_f32_e32 v137, v133, v145
	v_fmac_f32_e32 v141, v129, v139
	v_fma_f32 v128, v128, v139, -v142
	v_fmac_f32_e32 v143, v131, v138
	v_fma_f32 v129, v130, v138, -v144
	s_waitcnt vmcnt(36)
	v_fmac_f32_e32 v127, v133, v149
	v_fma_f32 v130, v132, v149, -v137
	s_clause 0x3
	buffer_load_dword v186, off, s[0:3], 0 offset:372
	buffer_load_dword v190, off, s[0:3], 0 offset:380
	;; [unrolled: 1-line block ×4, first 2 shown]
	s_waitcnt vmcnt(39) lgkmcnt(1)
	v_mul_f32_e32 v131, v2, v150
	v_mul_f32_e32 v132, v3, v150
	s_waitcnt vmcnt(38)
	v_mul_f32_e32 v133, v4, v151
	v_mul_f32_e32 v137, v5, v151
	s_waitcnt vmcnt(37) lgkmcnt(0)
	v_mul_f32_e32 v139, v7, v152
	s_clause 0x3
	buffer_load_dword v149, off, s[0:3], 0 offset:404
	buffer_load_dword v193, off, s[0:3], 0 offset:412
	;; [unrolled: 1-line block ×4, first 2 shown]
	v_fmac_f32_e32 v131, v3, v148
	v_fma_f32 v132, v2, v148, -v132
	v_mul_f32_e32 v138, v6, v152
	v_fmac_f32_e32 v133, v5, v147
	v_fma_f32 v137, v4, v147, -v137
	ds_read2_b64 v[2:5], v1 offset0:87 offset1:88
	v_fma_f32 v139, v6, v146, -v139
	s_waitcnt vmcnt(40)
	v_mul_f32_e32 v6, v9, v153
	s_clause 0x1
	buffer_load_dword v150, off, s[0:3], 0 offset:436
	buffer_load_dword v147, off, s[0:3], 0 offset:444
	v_fmac_f32_e32 v138, v7, v146
	v_mul_f32_e32 v140, v8, v153
	s_waitcnt vmcnt(38)
	v_fma_f32 v142, v8, v157, -v6
	v_add_f32_e32 v6, 0, v12
	s_clause 0x3
	buffer_load_dword v12, off, s[0:3], 0 offset:392
	buffer_load_dword v146, off, s[0:3], 0 offset:384
	;; [unrolled: 1-line block ×4, first 2 shown]
	v_add_f32_e32 v7, 0, v187
	v_fmac_f32_e32 v140, v9, v157
	v_add_f32_e32 v6, v6, v135
	v_add_f32_e32 v135, v7, v188
	v_add_f32_e32 v134, v6, v134
	ds_read2_b64 v[6:9], v1 offset0:89 offset1:90
	s_waitcnt vmcnt(41) lgkmcnt(1)
	v_mul_f32_e32 v144, v2, v158
	v_mul_f32_e32 v145, v3, v158
	v_add_f32_e32 v135, v135, v189
	v_add_f32_e32 v10, v134, v10
	v_fmac_f32_e32 v144, v3, v156
	v_fma_f32 v134, v2, v156, -v145
	s_clause 0x6
	buffer_load_dword v152, off, s[0:3], 0 offset:424
	buffer_load_dword v153, off, s[0:3], 0 offset:416
	;; [unrolled: 1-line block ×7, first 2 shown]
	v_add_f32_e32 v2, v135, v136
	v_add_f32_e32 v3, v10, v126
	s_waitcnt vmcnt(47)
	v_mul_f32_e32 v10, v4, v159
	v_add_f32_e32 v2, v2, v11
	v_add_f32_e32 v3, v3, v128
	v_mul_f32_e32 v11, v5, v159
	v_fmac_f32_e32 v10, v5, v155
	s_waitcnt vmcnt(45) lgkmcnt(0)
	v_mul_f32_e32 v145, v8, v161
	v_add_f32_e32 v2, v2, v141
	v_add_f32_e32 v3, v3, v129
	v_fma_f32 v11, v4, v155, -v11
	s_waitcnt vmcnt(41)
	v_fmac_f32_e32 v145, v9, v165
	v_add_f32_e32 v126, v2, v143
	v_add_f32_e32 v130, v3, v130
	ds_read2_b64 v[2:5], v1 offset0:91 offset1:92
	v_mul_f32_e32 v143, v6, v160
	v_add_f32_e32 v135, v126, v127
	v_add_f32_e32 v130, v130, v132
	v_mul_f32_e32 v132, v7, v160
	ds_read2_b64 v[126:129], v1 offset0:93 offset1:94
	v_fmac_f32_e32 v143, v7, v154
	v_add_f32_e32 v131, v135, v131
	v_mul_f32_e32 v135, v9, v161
	v_add_f32_e32 v136, v130, v137
	v_fma_f32 v154, v6, v154, -v132
	v_fma_f32 v155, v8, v165, -v135
	v_add_f32_e32 v135, v131, v133
	v_add_f32_e32 v136, v136, v139
	ds_read2_b64 v[6:9], v1 offset0:95 offset1:96
	ds_read2_b64 v[130:133], v1 offset0:97 offset1:98
	v_add_f32_e32 v135, v135, v138
	s_waitcnt vmcnt(39) lgkmcnt(3)
	v_mul_f32_e32 v160, v4, v167
	v_mul_f32_e32 v138, v5, v167
	v_add_f32_e32 v136, v136, v142
	v_mul_f32_e32 v137, v3, v166
	v_add_f32_e32 v135, v135, v140
	v_fmac_f32_e32 v160, v5, v163
	v_fma_f32 v163, v4, v163, -v138
	v_add_f32_e32 v138, v136, v134
	v_mul_f32_e32 v159, v2, v166
	v_add_f32_e32 v140, v135, v144
	v_fma_f32 v142, v2, v164, -v137
	s_waitcnt vmcnt(38) lgkmcnt(2)
	v_mul_f32_e32 v161, v126, v168
	v_add_f32_e32 v11, v138, v11
	v_fmac_f32_e32 v159, v3, v164
	v_add_f32_e32 v10, v140, v10
	v_mul_f32_e32 v139, v127, v168
	s_waitcnt vmcnt(37)
	v_mul_f32_e32 v141, v129, v169
	v_add_f32_e32 v11, v11, v154
	s_waitcnt vmcnt(36) lgkmcnt(1)
	v_mul_f32_e32 v154, v6, v170
	v_add_f32_e32 v10, v10, v143
	v_mul_f32_e32 v143, v7, v170
	v_fmac_f32_e32 v161, v127, v162
	v_fma_f32 v162, v126, v162, -v139
	s_waitcnt vmcnt(31)
	v_fmac_f32_e32 v154, v7, v175
	v_add_f32_e32 v7, v11, v155
	v_add_f32_e32 v10, v10, v145
	v_mul_f32_e32 v165, v128, v169
	s_waitcnt vmcnt(30)
	v_fma_f32 v164, v128, v176, -v141
	ds_read2_b64 v[2:5], v1 offset0:99 offset1:100
	ds_read2_b64 v[134:137], v1 offset0:101 offset1:102
	v_add_f32_e32 v168, v7, v142
	v_add_f32_e32 v159, v10, v159
	v_fmac_f32_e32 v165, v129, v176
	v_mul_f32_e32 v144, v9, v171
	v_fma_f32 v155, v6, v175, -v143
	v_add_f32_e32 v163, v168, v163
	v_add_f32_e32 v159, v159, v160
	v_mul_f32_e32 v166, v8, v171
	v_fma_f32 v167, v8, v174, -v144
	s_waitcnt lgkmcnt(2)
	v_mul_f32_e32 v169, v131, v172
	v_add_f32_e32 v162, v163, v162
	v_add_f32_e32 v159, v159, v161
	v_fmac_f32_e32 v166, v9, v174
	v_mul_f32_e32 v168, v130, v172
	s_waitcnt vmcnt(29)
	v_mul_f32_e32 v170, v133, v177
	v_add_f32_e32 v162, v162, v164
	v_add_f32_e32 v159, v159, v165
	v_fma_f32 v130, v130, v173, -v169
	v_mul_f32_e32 v160, v132, v177
	v_fmac_f32_e32 v168, v131, v173
	v_add_f32_e32 v155, v162, v155
	v_add_f32_e32 v154, v159, v154
	s_waitcnt vmcnt(28) lgkmcnt(1)
	v_mul_f32_e32 v163, v2, v178
	v_mul_f32_e32 v169, v3, v178
	s_waitcnt vmcnt(22)
	v_fma_f32 v132, v132, v184, -v170
	v_add_f32_e32 v155, v155, v167
	v_add_f32_e32 v154, v154, v166
	ds_read2_b64 v[126:129], v1 offset0:103 offset1:104
	ds_read2_b64 v[138:141], v1 offset0:105 offset1:106
	v_fmac_f32_e32 v160, v133, v184
	v_mul_f32_e32 v166, v5, v179
	v_add_f32_e32 v130, v155, v130
	v_add_f32_e32 v154, v154, v168
	v_fmac_f32_e32 v163, v3, v183
	v_fma_f32 v2, v2, v183, -v169
	v_mul_f32_e32 v161, v4, v179
	v_add_f32_e32 v3, v130, v132
	v_add_f32_e32 v130, v154, v160
	s_waitcnt lgkmcnt(2)
	v_mul_f32_e32 v132, v135, v180
	v_fma_f32 v4, v4, v182, -v166
	v_mul_f32_e32 v131, v134, v180
	v_add_f32_e32 v2, v3, v2
	v_fmac_f32_e32 v161, v5, v182
	v_add_f32_e32 v3, v130, v163
	v_fma_f32 v130, v134, v181, -v132
	v_fmac_f32_e32 v131, v135, v181
	v_add_f32_e32 v2, v2, v4
	ds_read2_b64 v[6:9], v1 offset0:107 offset1:108
	ds_read2_b64 v[142:145], v1 offset0:109 offset1:110
	ds_read_b64 v[10:11], v1 offset:888
	v_add_f32_e32 v3, v3, v161
	v_add_f32_e32 v2, v2, v130
	;; [unrolled: 1-line block ×3, first 2 shown]
	s_waitcnt vmcnt(20)
	v_mul_f32_e32 v5, v137, v186
	v_mul_f32_e32 v164, v136, v186
	s_waitcnt vmcnt(19) lgkmcnt(4)
	v_mul_f32_e32 v4, v127, v190
	v_mul_f32_e32 v165, v126, v190
	s_waitcnt vmcnt(18)
	v_mul_f32_e32 v130, v129, v191
	v_mul_f32_e32 v133, v128, v191
	s_waitcnt vmcnt(17) lgkmcnt(3)
	v_mul_f32_e32 v170, v138, v192
	s_waitcnt vmcnt(16)
	v_mul_f32_e32 v159, v140, v149
	s_waitcnt vmcnt(15) lgkmcnt(2)
	v_mul_f32_e32 v162, v6, v193
	s_waitcnt vmcnt(14)
	;; [unrolled: 4-line block ×4, first 2 shown]
	v_fmac_f32_e32 v170, v139, v12
	s_waitcnt vmcnt(9)
	v_fmac_f32_e32 v133, v129, v146
	s_waitcnt vmcnt(8)
	v_fma_f32 v4, v126, v148, -v4
	s_waitcnt vmcnt(7)
	v_fma_f32 v5, v136, v151, -v5
	v_fmac_f32_e32 v164, v137, v151
	v_fmac_f32_e32 v165, v127, v148
	v_fma_f32 v126, v128, v146, -v130
	v_add_f32_e32 v2, v2, v5
	v_add_f32_e32 v3, v3, v164
	v_mul_f32_e32 v5, v139, v192
	v_add_f32_e32 v2, v2, v4
	v_add_f32_e32 v3, v3, v165
	v_mul_f32_e32 v4, v141, v149
	v_fma_f32 v5, v138, v12, -v5
	v_mul_f32_e32 v12, v7, v193
	v_add_f32_e32 v2, v2, v126
	v_add_f32_e32 v3, v3, v133
	s_waitcnt vmcnt(4)
	v_fmac_f32_e32 v162, v7, v156
	s_waitcnt vmcnt(3)
	v_fma_f32 v4, v140, v157, -v4
	v_fmac_f32_e32 v159, v141, v157
	v_add_f32_e32 v2, v2, v5
	v_add_f32_e32 v3, v3, v170
	v_mul_f32_e32 v5, v9, v194
	v_fma_f32 v6, v6, v156, -v12
	v_fmac_f32_e32 v171, v9, v153
	v_add_f32_e32 v2, v2, v4
	v_add_f32_e32 v3, v3, v159
	v_mul_f32_e32 v4, v143, v195
	;; [unrolled: 5-line block ×3, first 2 shown]
	v_fma_f32 v4, v142, v152, -v4
	s_waitcnt vmcnt(1)
	v_fmac_f32_e32 v172, v145, v187
	v_add_f32_e32 v2, v2, v5
	v_add_f32_e32 v3, v3, v171
	v_mul_f32_e32 v5, v11, v147
	v_fma_f32 v6, v144, v187, -v6
	v_fmac_f32_e32 v155, v11, v158
	v_add_f32_e32 v2, v2, v4
	v_add_f32_e32 v3, v3, v167
	v_fma_f32 v4, v10, v158, -v5
	v_add_f32_e32 v2, v2, v6
	v_add_f32_e32 v3, v3, v172
	;; [unrolled: 1-line block ×4, first 2 shown]
	s_waitcnt vmcnt(0)
	v_sub_f32_e32 v2, v188, v2
	v_sub_f32_e32 v3, v185, v3
	buffer_store_dword v2, off, s[0:3], 0 offset:144
	buffer_store_dword v3, off, s[0:3], 0 offset:148
	v_cmpx_lt_u32_e32 17, v0
	s_cbranch_execz .LBB55_315
; %bb.314:
	s_clause 0x1
	buffer_load_dword v2, off, s[0:3], 0 offset:136
	buffer_load_dword v3, off, s[0:3], 0 offset:140
	buffer_store_dword v1, off, s[0:3], 0 offset:136
	buffer_store_dword v1, off, s[0:3], 0 offset:140
	s_waitcnt vmcnt(0)
	ds_write_b64 v125, v[2:3]
.LBB55_315:
	s_or_b32 exec_lo, exec_lo, s4
	s_waitcnt lgkmcnt(0)
	s_waitcnt_vscnt null, 0x0
	s_barrier
	buffer_gl0_inv
	s_clause 0x1e
	buffer_load_dword v2, off, s[0:3], 0 offset:148
	buffer_load_dword v3, off, s[0:3], 0 offset:156
	;; [unrolled: 1-line block ×31, first 2 shown]
	ds_read_b128 v[4:7], v1 offset:592
	s_clause 0x3
	buffer_load_dword v170, off, s[0:3], 0 offset:288
	buffer_load_dword v171, off, s[0:3], 0 offset:280
	buffer_load_dword v172, off, s[0:3], 0 offset:272
	buffer_load_dword v173, off, s[0:3], 0 offset:264
	ds_read_b128 v[8:11], v1 offset:608
	s_clause 0xa
	buffer_load_dword v174, off, s[0:3], 0 offset:276
	buffer_load_dword v175, off, s[0:3], 0 offset:284
	;; [unrolled: 1-line block ×11, first 2 shown]
	ds_read_b128 v[126:129], v1 offset:624
	ds_read_b128 v[130:133], v1 offset:640
	;; [unrolled: 1-line block ×4, first 2 shown]
	buffer_load_dword v185, off, s[0:3], 0 offset:140
	s_mov_b32 s4, exec_lo
	s_waitcnt vmcnt(46) lgkmcnt(5)
	v_mul_f32_e32 v186, v5, v2
	v_mul_f32_e32 v187, v4, v2
	s_waitcnt vmcnt(45)
	v_mul_f32_e32 v188, v6, v3
	v_mul_f32_e32 v2, v7, v3
	s_waitcnt vmcnt(44) lgkmcnt(4)
	v_mul_f32_e32 v189, v8, v12
	v_mul_f32_e32 v3, v9, v12
	s_waitcnt vmcnt(41)
	v_fma_f32 v12, v4, v144, -v186
	v_fmac_f32_e32 v187, v5, v144
	s_waitcnt vmcnt(40)
	v_mul_f32_e32 v144, v10, v145
	v_mul_f32_e32 v4, v11, v145
	v_fmac_f32_e32 v188, v7, v143
	s_waitcnt vmcnt(35) lgkmcnt(3)
	v_mul_f32_e32 v145, v127, v150
	v_fma_f32 v143, v6, v143, -v2
	v_fmac_f32_e32 v144, v11, v149
	v_mul_f32_e32 v11, v126, v150
	v_fma_f32 v10, v10, v149, -v4
	s_waitcnt vmcnt(34)
	v_mul_f32_e32 v149, v128, v151
	v_mul_f32_e32 v150, v129, v151
	s_waitcnt vmcnt(33) lgkmcnt(2)
	v_mul_f32_e32 v151, v130, v152
	v_mul_f32_e32 v152, v131, v152
	v_fmac_f32_e32 v11, v127, v148
	v_fma_f32 v126, v126, v148, -v145
	s_waitcnt vmcnt(32)
	v_mul_f32_e32 v127, v132, v153
	v_mul_f32_e32 v145, v133, v153
	v_fmac_f32_e32 v189, v9, v142
	v_fma_f32 v142, v8, v142, -v3
	ds_read_b128 v[2:5], v1 offset:688
	ds_read_b128 v[6:9], v1 offset:704
	v_fmac_f32_e32 v149, v129, v147
	v_fma_f32 v128, v128, v147, -v150
	v_fmac_f32_e32 v151, v131, v146
	v_fma_f32 v129, v130, v146, -v152
	s_waitcnt vmcnt(28)
	v_fmac_f32_e32 v127, v133, v157
	v_fma_f32 v130, v132, v157, -v145
	s_clause 0x7
	buffer_load_dword v145, off, s[0:3], 0 offset:332
	buffer_load_dword v146, off, s[0:3], 0 offset:340
	;; [unrolled: 1-line block ×8, first 2 shown]
	s_waitcnt vmcnt(35) lgkmcnt(3)
	v_mul_f32_e32 v131, v134, v158
	v_mul_f32_e32 v132, v135, v158
	s_waitcnt vmcnt(34)
	v_mul_f32_e32 v133, v136, v159
	v_mul_f32_e32 v158, v137, v159
	s_waitcnt vmcnt(33) lgkmcnt(2)
	v_mul_f32_e32 v159, v138, v160
	v_mul_f32_e32 v160, v139, v160
	v_fmac_f32_e32 v131, v135, v156
	v_fma_f32 v132, v134, v156, -v132
	s_waitcnt vmcnt(32)
	v_mul_f32_e32 v134, v140, v161
	v_mul_f32_e32 v135, v141, v161
	v_fmac_f32_e32 v133, v137, v155
	v_fmac_f32_e32 v159, v139, v154
	v_fma_f32 v137, v138, v154, -v160
	s_waitcnt vmcnt(28)
	v_fmac_f32_e32 v134, v141, v165
	v_fma_f32 v135, v140, v165, -v135
	s_waitcnt vmcnt(27) lgkmcnt(1)
	v_mul_f32_e32 v138, v2, v166
	v_mul_f32_e32 v139, v3, v166
	s_waitcnt vmcnt(26)
	v_mul_f32_e32 v140, v4, v167
	v_mul_f32_e32 v141, v5, v167
	v_fma_f32 v136, v136, v155, -v158
	s_clause 0x8
	buffer_load_dword v155, off, s[0:3], 0 offset:364
	buffer_load_dword v156, off, s[0:3], 0 offset:372
	;; [unrolled: 1-line block ×9, first 2 shown]
	v_fmac_f32_e32 v138, v3, v164
	v_fma_f32 v139, v2, v164, -v139
	buffer_load_dword v164, off, s[0:3], 0 offset:436
	v_fmac_f32_e32 v140, v5, v163
	v_fma_f32 v141, v4, v163, -v141
	s_clause 0x4
	buffer_load_dword v163, off, s[0:3], 0 offset:444
	buffer_load_dword v167, off, s[0:3], 0 offset:384
	;; [unrolled: 1-line block ×5, first 2 shown]
	v_add_f32_e32 v3, 0, v187
	v_add_f32_e32 v2, 0, v12
	s_waitcnt vmcnt(40) lgkmcnt(0)
	v_mul_f32_e32 v4, v7, v168
	v_add_f32_e32 v3, v3, v188
	v_add_f32_e32 v2, v2, v143
	v_fma_f32 v143, v6, v162, -v4
	v_add_f32_e32 v3, v3, v189
	s_clause 0x3
	buffer_load_dword v12, off, s[0:3], 0 offset:416
	buffer_load_dword v187, off, s[0:3], 0 offset:408
	;; [unrolled: 1-line block ×4, first 2 shown]
	v_add_f32_e32 v2, v2, v142
	v_mul_f32_e32 v142, v6, v168
	v_add_f32_e32 v3, v3, v144
	s_waitcnt vmcnt(43)
	v_mul_f32_e32 v144, v8, v169
	v_add_f32_e32 v2, v2, v10
	s_clause 0x2
	buffer_load_dword v10, off, s[0:3], 0 offset:440
	buffer_load_dword v193, off, s[0:3], 0 offset:432
	;; [unrolled: 1-line block ×3, first 2 shown]
	v_fmac_f32_e32 v142, v7, v162
	v_add_f32_e32 v3, v3, v11
	buffer_load_dword v11, off, s[0:3], 0 offset:136
	v_add_f32_e32 v2, v2, v126
	s_waitcnt vmcnt(43)
	v_fmac_f32_e32 v144, v9, v173
	v_add_f32_e32 v3, v3, v149
	v_add_f32_e32 v2, v2, v128
	;; [unrolled: 1-line block ×4, first 2 shown]
	ds_read_b128 v[2:5], v1 offset:720
	v_add_f32_e32 v127, v7, v127
	v_add_f32_e32 v126, v6, v130
	v_mul_f32_e32 v6, v9, v169
	v_add_f32_e32 v131, v127, v131
	v_add_f32_e32 v130, v126, v132
	v_fma_f32 v149, v8, v173, -v6
	ds_read_b128 v[6:9], v1 offset:736
	ds_read_b128 v[126:129], v1 offset:752
	v_add_f32_e32 v131, v131, v133
	v_add_f32_e32 v130, v130, v136
	;; [unrolled: 1-line block ×3, first 2 shown]
	s_waitcnt vmcnt(42) lgkmcnt(2)
	v_mul_f32_e32 v132, v3, v174
	v_mul_f32_e32 v151, v2, v174
	v_fma_f32 v162, v2, v172, -v132
	v_add_f32_e32 v2, v131, v159
	v_fmac_f32_e32 v151, v3, v172
	v_add_f32_e32 v3, v136, v135
	ds_read_b128 v[130:133], v1 offset:768
	s_waitcnt vmcnt(41)
	v_mul_f32_e32 v159, v4, v175
	v_add_f32_e32 v2, v2, v134
	s_waitcnt vmcnt(40) lgkmcnt(2)
	v_mul_f32_e32 v168, v6, v176
	v_mul_f32_e32 v134, v7, v176
	v_add_f32_e32 v3, v3, v139
	s_waitcnt vmcnt(38) lgkmcnt(1)
	v_mul_f32_e32 v172, v126, v178
	v_add_f32_e32 v2, v2, v138
	v_fmac_f32_e32 v168, v7, v170
	v_fma_f32 v170, v6, v170, -v134
	v_add_f32_e32 v6, v3, v141
	v_mul_f32_e32 v138, v127, v178
	v_add_f32_e32 v7, v2, v140
	s_waitcnt vmcnt(33)
	v_fmac_f32_e32 v172, v127, v183
	v_mul_f32_e32 v135, v5, v175
	v_add_f32_e32 v127, v6, v143
	v_fma_f32 v174, v126, v183, -v138
	v_add_f32_e32 v126, v7, v142
	v_fmac_f32_e32 v159, v5, v171
	v_fma_f32 v171, v4, v171, -v135
	v_add_f32_e32 v127, v127, v149
	s_waitcnt lgkmcnt(0)
	v_mul_f32_e32 v143, v131, v180
	v_add_f32_e32 v126, v126, v144
	v_mul_f32_e32 v175, v130, v180
	v_mul_f32_e32 v139, v9, v177
	v_add_f32_e32 v127, v127, v162
	v_fma_f32 v178, v130, v181, -v143
	v_add_f32_e32 v130, v126, v151
	v_mul_f32_e32 v169, v8, v177
	s_waitcnt vmcnt(32)
	v_fma_f32 v173, v8, v184, -v139
	v_add_f32_e32 v151, v127, v171
	ds_read_b128 v[2:5], v1 offset:784
	ds_read_b128 v[134:137], v1 offset:800
	v_add_f32_e32 v159, v130, v159
	v_fmac_f32_e32 v169, v9, v184
	v_mul_f32_e32 v142, v129, v179
	v_add_f32_e32 v151, v151, v170
	v_mul_f32_e32 v149, v128, v179
	v_add_f32_e32 v159, v159, v168
	v_fmac_f32_e32 v175, v131, v181
	v_fma_f32 v177, v128, v182, -v142
	v_add_f32_e32 v151, v151, v173
	v_fmac_f32_e32 v149, v129, v182
	v_add_f32_e32 v159, v159, v169
	ds_read_b128 v[6:9], v1 offset:816
	ds_read_b128 v[138:141], v1 offset:832
	v_add_f32_e32 v151, v151, v174
	v_add_f32_e32 v159, v159, v172
	;; [unrolled: 1-line block ×6, first 2 shown]
	s_waitcnt vmcnt(30)
	v_mul_f32_e32 v162, v132, v145
	v_mul_f32_e32 v176, v133, v145
	ds_read_b128 v[126:129], v1 offset:848
	ds_read_b128 v[142:145], v1 offset:864
	s_waitcnt vmcnt(28) lgkmcnt(5)
	v_mul_f32_e32 v168, v4, v147
	v_mul_f32_e32 v147, v5, v147
	s_waitcnt vmcnt(27) lgkmcnt(4)
	v_mul_f32_e32 v170, v134, v148
	v_mul_f32_e32 v148, v135, v148
	s_waitcnt vmcnt(23)
	v_fmac_f32_e32 v162, v133, v157
	v_fma_f32 v157, v132, v157, -v176
	ds_read_b128 v[130:133], v1 offset:880
	v_mul_f32_e32 v1, v2, v146
	v_mul_f32_e32 v146, v3, v146
	v_add_f32_e32 v149, v149, v162
	v_fma_f32 v4, v4, v152, -v147
	v_fmac_f32_e32 v168, v5, v152
	v_fmac_f32_e32 v1, v3, v153
	v_fma_f32 v2, v2, v153, -v146
	v_add_f32_e32 v146, v151, v157
	v_fma_f32 v134, v134, v150, -v148
	v_fmac_f32_e32 v170, v135, v150
	v_add_f32_e32 v1, v149, v1
	v_add_f32_e32 v2, v146, v2
	s_waitcnt vmcnt(22)
	v_mul_f32_e32 v5, v137, v155
	v_mul_f32_e32 v169, v136, v155
	v_add_f32_e32 v2, v2, v4
	v_add_f32_e32 v1, v1, v168
	s_waitcnt vmcnt(21) lgkmcnt(4)
	v_mul_f32_e32 v4, v7, v156
	v_mul_f32_e32 v171, v6, v156
	s_waitcnt vmcnt(20)
	v_mul_f32_e32 v173, v8, v158
	v_add_f32_e32 v2, v2, v134
	v_add_f32_e32 v1, v1, v170
	v_mul_f32_e32 v134, v9, v158
	s_waitcnt vmcnt(9)
	v_fma_f32 v4, v6, v191, -v4
	s_waitcnt vmcnt(8)
	v_fma_f32 v5, v136, v192, -v5
	v_fmac_f32_e32 v169, v137, v192
	v_fmac_f32_e32 v171, v7, v191
	v_fma_f32 v6, v8, v190, -v134
	s_waitcnt lgkmcnt(3)
	v_mul_f32_e32 v172, v138, v161
	v_add_f32_e32 v2, v2, v5
	v_add_f32_e32 v1, v1, v169
	v_mul_f32_e32 v5, v139, v161
	v_fmac_f32_e32 v173, v9, v190
	v_mul_f32_e32 v174, v140, v154
	v_add_f32_e32 v2, v2, v4
	v_add_f32_e32 v1, v1, v171
	v_mul_f32_e32 v4, v141, v154
	v_fma_f32 v5, v138, v167, -v5
	v_fmac_f32_e32 v172, v139, v167
	v_add_f32_e32 v2, v2, v6
	v_add_f32_e32 v1, v1, v173
	s_waitcnt lgkmcnt(2)
	v_mul_f32_e32 v6, v127, v160
	s_waitcnt vmcnt(4)
	v_fma_f32 v4, v140, v189, -v4
	v_mul_f32_e32 v176, v126, v160
	v_add_f32_e32 v2, v2, v5
	v_fmac_f32_e32 v174, v141, v189
	v_add_f32_e32 v1, v1, v172
	v_mul_f32_e32 v5, v129, v165
	v_fma_f32 v6, v126, v188, -v6
	v_add_f32_e32 v2, v2, v4
	v_mul_f32_e32 v159, v128, v165
	v_fmac_f32_e32 v176, v127, v188
	v_add_f32_e32 v1, v1, v174
	s_waitcnt lgkmcnt(1)
	v_mul_f32_e32 v4, v143, v186
	v_fma_f32 v5, v128, v187, -v5
	v_add_f32_e32 v2, v2, v6
	v_mul_f32_e32 v177, v142, v186
	v_fmac_f32_e32 v159, v129, v187
	v_add_f32_e32 v1, v1, v176
	v_mul_f32_e32 v6, v145, v166
	v_fma_f32 v4, v142, v12, -v4
	v_add_f32_e32 v2, v2, v5
	v_mul_f32_e32 v178, v144, v166
	v_fmac_f32_e32 v177, v143, v12
	v_add_f32_e32 v1, v1, v159
	s_waitcnt lgkmcnt(0)
	v_mul_f32_e32 v5, v131, v164
	s_waitcnt vmcnt(1)
	v_fma_f32 v6, v144, v194, -v6
	v_add_f32_e32 v2, v2, v4
	v_mul_f32_e32 v175, v130, v164
	v_fmac_f32_e32 v178, v145, v194
	v_add_f32_e32 v1, v1, v177
	v_mul_f32_e32 v4, v133, v163
	v_fma_f32 v5, v130, v193, -v5
	v_add_f32_e32 v2, v2, v6
	v_mul_f32_e32 v3, v132, v163
	v_fmac_f32_e32 v175, v131, v193
	v_add_f32_e32 v1, v1, v178
	v_fma_f32 v4, v132, v10, -v4
	v_add_f32_e32 v2, v2, v5
	v_fmac_f32_e32 v3, v133, v10
	v_add_f32_e32 v1, v1, v175
	v_add_f32_e32 v2, v2, v4
	;; [unrolled: 1-line block ×3, first 2 shown]
	s_waitcnt vmcnt(0)
	v_sub_f32_e32 v2, v11, v2
	v_sub_f32_e32 v1, v185, v1
	buffer_store_dword v2, off, s[0:3], 0 offset:136
	buffer_store_dword v1, off, s[0:3], 0 offset:140
	v_cmpx_lt_u32_e32 16, v0
	s_cbranch_execz .LBB55_317
; %bb.316:
	s_clause 0x1
	buffer_load_dword v1, off, s[0:3], 0 offset:128
	buffer_load_dword v2, off, s[0:3], 0 offset:132
	v_mov_b32_e32 v3, 0
	buffer_store_dword v3, off, s[0:3], 0 offset:128
	buffer_store_dword v3, off, s[0:3], 0 offset:132
	s_waitcnt vmcnt(0)
	ds_write_b64 v125, v[1:2]
.LBB55_317:
	s_or_b32 exec_lo, exec_lo, s4
	s_waitcnt lgkmcnt(0)
	s_waitcnt_vscnt null, 0x0
	s_barrier
	buffer_gl0_inv
	s_clause 0x25
	buffer_load_dword v2, off, s[0:3], 0 offset:140
	buffer_load_dword v3, off, s[0:3], 0 offset:148
	;; [unrolled: 1-line block ×38, first 2 shown]
	v_mov_b32_e32 v1, 0
	ds_read2_b64 v[4:7], v1 offset0:73 offset1:74
	ds_read2_b64 v[8:11], v1 offset0:75 offset1:76
	s_clause 0x10
	buffer_load_dword v169, off, s[0:3], 0 offset:292
	buffer_load_dword v170, off, s[0:3], 0 offset:300
	;; [unrolled: 1-line block ×17, first 2 shown]
	ds_read2_b64 v[126:129], v1 offset0:77 offset1:78
	ds_read2_b64 v[130:133], v1 offset0:79 offset1:80
	s_mov_b32 s4, exec_lo
	s_waitcnt vmcnt(54) lgkmcnt(3)
	v_mul_f32_e32 v186, v5, v2
	v_mul_f32_e32 v187, v4, v2
	s_waitcnt vmcnt(53)
	v_mul_f32_e32 v188, v6, v3
	v_mul_f32_e32 v2, v7, v3
	s_waitcnt vmcnt(52) lgkmcnt(2)
	v_mul_f32_e32 v189, v8, v12
	v_mul_f32_e32 v3, v9, v12
	s_waitcnt vmcnt(49)
	v_fma_f32 v12, v4, v136, -v186
	v_fmac_f32_e32 v187, v5, v136
	s_waitcnt vmcnt(48)
	v_mul_f32_e32 v136, v10, v137
	v_mul_f32_e32 v4, v11, v137
	v_fmac_f32_e32 v188, v7, v135
	s_waitcnt vmcnt(43) lgkmcnt(1)
	v_mul_f32_e32 v137, v127, v142
	v_fma_f32 v135, v6, v135, -v2
	v_fmac_f32_e32 v189, v9, v134
	v_fma_f32 v134, v8, v134, -v3
	v_fmac_f32_e32 v136, v11, v141
	v_fma_f32 v10, v10, v141, -v4
	ds_read2_b64 v[2:5], v1 offset0:81 offset1:82
	ds_read2_b64 v[6:9], v1 offset0:83 offset1:84
	v_mul_f32_e32 v11, v126, v142
	s_waitcnt vmcnt(42)
	v_mul_f32_e32 v141, v128, v143
	v_mul_f32_e32 v142, v129, v143
	s_waitcnt vmcnt(41) lgkmcnt(2)
	v_mul_f32_e32 v143, v130, v144
	v_fma_f32 v137, v126, v140, -v137
	s_waitcnt vmcnt(40)
	v_mul_f32_e32 v126, v133, v145
	v_mul_f32_e32 v144, v131, v144
	v_fmac_f32_e32 v11, v127, v140
	v_fmac_f32_e32 v141, v129, v139
	v_fma_f32 v139, v128, v139, -v142
	s_clause 0x3
	buffer_load_dword v186, off, s[0:3], 0 offset:356
	buffer_load_dword v190, off, s[0:3], 0 offset:364
	;; [unrolled: 1-line block ×4, first 2 shown]
	v_fmac_f32_e32 v143, v131, v138
	s_waitcnt vmcnt(40)
	v_fma_f32 v131, v132, v149, -v126
	ds_read2_b64 v[126:129], v1 offset0:85 offset1:86
	v_mul_f32_e32 v140, v132, v145
	v_fma_f32 v130, v130, v138, -v144
	s_waitcnt vmcnt(39) lgkmcnt(2)
	v_mul_f32_e32 v132, v2, v150
	v_fmac_f32_e32 v140, v133, v149
	v_mul_f32_e32 v133, v3, v150
	s_waitcnt vmcnt(37) lgkmcnt(1)
	v_mul_f32_e32 v145, v7, v152
	v_mul_f32_e32 v138, v4, v151
	v_mul_f32_e32 v142, v5, v151
	v_mul_f32_e32 v144, v6, v152
	v_fmac_f32_e32 v132, v3, v148
	v_fma_f32 v133, v2, v148, -v133
	s_waitcnt vmcnt(36)
	v_mul_f32_e32 v148, v8, v153
	v_mul_f32_e32 v2, v9, v153
	v_fma_f32 v145, v6, v146, -v145
	v_fmac_f32_e32 v138, v5, v147
	v_fma_f32 v142, v4, v147, -v142
	s_clause 0x3
	buffer_load_dword v147, off, s[0:3], 0 offset:388
	buffer_load_dword v149, off, s[0:3], 0 offset:396
	;; [unrolled: 1-line block ×4, first 2 shown]
	s_waitcnt vmcnt(35) lgkmcnt(0)
	v_mul_f32_e32 v152, v126, v158
	v_mul_f32_e32 v6, v127, v158
	v_fmac_f32_e32 v144, v7, v146
	v_fmac_f32_e32 v148, v9, v157
	v_fma_f32 v146, v8, v157, -v2
	ds_read2_b64 v[2:5], v1 offset0:87 offset1:88
	s_waitcnt vmcnt(34)
	v_mul_f32_e32 v153, v128, v159
	v_mul_f32_e32 v7, v129, v159
	buffer_load_dword v157, off, s[0:3], 0 offset:420
	v_fmac_f32_e32 v152, v127, v156
	v_fma_f32 v156, v126, v156, -v6
	v_add_f32_e32 v6, 0, v12
	s_clause 0x6
	buffer_load_dword v12, off, s[0:3], 0 offset:428
	buffer_load_dword v158, off, s[0:3], 0 offset:436
	;; [unrolled: 1-line block ×7, first 2 shown]
	v_fmac_f32_e32 v153, v129, v155
	v_fma_f32 v155, v128, v155, -v7
	v_add_f32_e32 v7, 0, v187
	v_add_f32_e32 v6, v6, v135
	v_add_f32_e32 v7, v7, v188
	v_add_f32_e32 v6, v6, v134
	s_waitcnt vmcnt(41) lgkmcnt(0)
	v_mul_f32_e32 v8, v3, v160
	v_add_f32_e32 v7, v7, v189
	s_clause 0x8
	buffer_load_dword v187, off, s[0:3], 0 offset:408
	buffer_load_dword v188, off, s[0:3], 0 offset:400
	;; [unrolled: 1-line block ×9, first 2 shown]
	v_add_f32_e32 v6, v6, v10
	v_add_f32_e32 v7, v7, v136
	v_mul_f32_e32 v10, v2, v160
	v_add_f32_e32 v6, v6, v137
	v_add_f32_e32 v7, v7, v11
	v_fmac_f32_e32 v10, v3, v154
	v_fma_f32 v11, v2, v154, -v8
	v_add_f32_e32 v6, v6, v139
	v_add_f32_e32 v7, v7, v141
	s_waitcnt vmcnt(49)
	v_mul_f32_e32 v139, v4, v161
	v_add_f32_e32 v6, v6, v130
	v_add_f32_e32 v7, v7, v143
	s_waitcnt vmcnt(45)
	v_fmac_f32_e32 v139, v5, v165
	v_add_f32_e32 v2, v6, v131
	v_add_f32_e32 v3, v7, v140
	ds_read2_b64 v[6:9], v1 offset0:89 offset1:90
	v_add_f32_e32 v126, v2, v133
	v_mul_f32_e32 v2, v5, v161
	v_add_f32_e32 v127, v3, v132
	v_add_f32_e32 v130, v126, v142
	v_fma_f32 v140, v4, v165, -v2
	ds_read2_b64 v[2:5], v1 offset0:91 offset1:92
	v_add_f32_e32 v131, v127, v138
	ds_read2_b64 v[126:129], v1 offset0:93 offset1:94
	v_add_f32_e32 v130, v130, v145
	v_add_f32_e32 v131, v131, v144
	;; [unrolled: 1-line block ×3, first 2 shown]
	s_waitcnt vmcnt(44) lgkmcnt(2)
	v_mul_f32_e32 v132, v7, v166
	v_mul_f32_e32 v142, v6, v166
	s_waitcnt vmcnt(43)
	v_mul_f32_e32 v144, v8, v167
	v_fma_f32 v143, v6, v164, -v132
	v_add_f32_e32 v6, v131, v148
	v_fmac_f32_e32 v142, v7, v164
	v_add_f32_e32 v7, v134, v156
	ds_read2_b64 v[130:133], v1 offset0:95 offset1:96
	s_waitcnt vmcnt(42) lgkmcnt(2)
	v_mul_f32_e32 v135, v3, v168
	v_add_f32_e32 v6, v6, v152
	v_mul_f32_e32 v146, v2, v168
	v_add_f32_e32 v7, v7, v155
	v_mul_f32_e32 v134, v9, v167
	v_fmac_f32_e32 v144, v9, v163
	v_add_f32_e32 v6, v6, v153
	v_fma_f32 v153, v2, v162, -v135
	v_add_f32_e32 v2, v7, v11
	v_fmac_f32_e32 v146, v3, v162
	v_fma_f32 v145, v8, v163, -v134
	v_add_f32_e32 v3, v6, v10
	s_waitcnt vmcnt(40) lgkmcnt(1)
	v_mul_f32_e32 v10, v127, v170
	v_add_f32_e32 v11, v2, v140
	v_mul_f32_e32 v138, v5, v169
	v_mul_f32_e32 v148, v4, v169
	v_mul_f32_e32 v152, v126, v170
	s_waitcnt vmcnt(35)
	v_fma_f32 v155, v126, v175, -v10
	v_add_f32_e32 v10, v3, v139
	v_add_f32_e32 v11, v11, v143
	s_waitcnt vmcnt(34)
	v_fma_f32 v154, v4, v176, -v138
	ds_read2_b64 v[6:9], v1 offset0:97 offset1:98
	ds_read2_b64 v[134:137], v1 offset0:99 offset1:100
	v_fmac_f32_e32 v148, v5, v176
	v_add_f32_e32 v10, v10, v142
	v_add_f32_e32 v11, v11, v145
	v_mul_f32_e32 v126, v129, v171
	v_fmac_f32_e32 v152, v127, v175
	v_mul_f32_e32 v156, v128, v171
	v_add_f32_e32 v10, v10, v144
	v_add_f32_e32 v153, v11, v153
	s_waitcnt lgkmcnt(2)
	v_mul_f32_e32 v127, v131, v172
	v_fma_f32 v163, v128, v174, -v126
	v_mul_f32_e32 v160, v130, v172
	v_add_f32_e32 v146, v10, v146
	v_add_f32_e32 v153, v153, v154
	v_fmac_f32_e32 v156, v129, v174
	s_waitcnt vmcnt(33)
	v_mul_f32_e32 v162, v133, v177
	v_fma_f32 v164, v130, v173, -v127
	v_add_f32_e32 v146, v146, v148
	v_add_f32_e32 v153, v153, v155
	v_mul_f32_e32 v161, v132, v177
	v_fmac_f32_e32 v160, v131, v173
	s_waitcnt vmcnt(26)
	v_fma_f32 v162, v132, v184, -v162
	v_add_f32_e32 v146, v146, v152
	v_add_f32_e32 v153, v153, v163
	s_waitcnt lgkmcnt(1)
	v_mul_f32_e32 v165, v7, v178
	ds_read2_b64 v[2:5], v1 offset0:101 offset1:102
	ds_read2_b64 v[138:141], v1 offset0:103 offset1:104
	v_fmac_f32_e32 v161, v133, v184
	v_add_f32_e32 v146, v146, v156
	v_add_f32_e32 v153, v153, v164
	v_mul_f32_e32 v154, v6, v178
	v_mul_f32_e32 v166, v9, v179
	v_fma_f32 v6, v6, v183, -v165
	v_add_f32_e32 v146, v146, v160
	v_add_f32_e32 v153, v153, v162
	v_mul_f32_e32 v148, v8, v179
	v_fmac_f32_e32 v154, v7, v183
	s_waitcnt lgkmcnt(2)
	v_mul_f32_e32 v165, v135, v180
	v_add_f32_e32 v146, v146, v161
	v_fma_f32 v8, v8, v182, -v166
	v_add_f32_e32 v6, v153, v6
	v_mul_f32_e32 v155, v134, v180
	v_fmac_f32_e32 v148, v9, v182
	v_add_f32_e32 v146, v146, v154
	v_fma_f32 v134, v134, v181, -v165
	v_add_f32_e32 v6, v6, v8
	v_fmac_f32_e32 v155, v135, v181
	ds_read2_b64 v[126:129], v1 offset0:105 offset1:106
	ds_read2_b64 v[142:145], v1 offset0:107 offset1:108
	v_add_f32_e32 v8, v146, v148
	ds_read2_b64 v[130:133], v1 offset0:109 offset1:110
	ds_read_b64 v[10:11], v1 offset:888
	v_add_f32_e32 v6, v6, v134
	v_add_f32_e32 v8, v8, v155
	s_waitcnt vmcnt(24)
	v_mul_f32_e32 v161, v137, v186
	v_mul_f32_e32 v152, v136, v186
	s_waitcnt vmcnt(23) lgkmcnt(5)
	v_mul_f32_e32 v7, v2, v190
	v_mul_f32_e32 v135, v3, v190
	s_waitcnt vmcnt(22)
	v_mul_f32_e32 v134, v5, v191
	v_mul_f32_e32 v163, v4, v191
	s_waitcnt vmcnt(21) lgkmcnt(4)
	v_mul_f32_e32 v156, v138, v192
	s_waitcnt vmcnt(20)
	v_mul_f32_e32 v9, v140, v147
	s_waitcnt vmcnt(19) lgkmcnt(3)
	v_mul_f32_e32 v166, v126, v149
	s_waitcnt vmcnt(18)
	;; [unrolled: 4-line block ×3, first 2 shown]
	v_mul_f32_e32 v167, v144, v157
	s_waitcnt vmcnt(12)
	v_fmac_f32_e32 v156, v139, v193
	s_waitcnt vmcnt(11)
	v_fma_f32 v4, v4, v194, -v134
	s_waitcnt vmcnt(10)
	v_fmac_f32_e32 v7, v3, v195
	s_waitcnt vmcnt(9)
	v_fma_f32 v136, v136, v196, -v161
	v_fmac_f32_e32 v152, v137, v196
	v_fma_f32 v2, v2, v195, -v135
	v_fmac_f32_e32 v163, v5, v194
	v_mul_f32_e32 v5, v141, v147
	v_add_f32_e32 v3, v6, v136
	v_add_f32_e32 v6, v8, v152
	v_mul_f32_e32 v8, v139, v192
	s_waitcnt lgkmcnt(1)
	v_mul_f32_e32 v162, v130, v12
	v_mul_f32_e32 v168, v132, v158
	v_add_f32_e32 v2, v3, v2
	v_add_f32_e32 v3, v6, v7
	v_fma_f32 v6, v138, v193, -v8
	s_waitcnt vmcnt(6)
	v_fmac_f32_e32 v166, v127, v189
	s_waitcnt vmcnt(5)
	v_fma_f32 v5, v140, v197, -v5
	v_add_f32_e32 v2, v2, v4
	v_add_f32_e32 v3, v3, v163
	v_mul_f32_e32 v4, v127, v149
	v_fmac_f32_e32 v9, v141, v197
	v_fmac_f32_e32 v160, v129, v188
	v_add_f32_e32 v2, v2, v6
	v_add_f32_e32 v3, v3, v156
	v_mul_f32_e32 v6, v129, v150
	v_fma_f32 v4, v126, v189, -v4
	v_fmac_f32_e32 v164, v143, v187
	v_add_f32_e32 v2, v2, v5
	v_add_f32_e32 v3, v3, v9
	v_mul_f32_e32 v5, v143, v151
	v_fma_f32 v6, v128, v188, -v6
	s_waitcnt vmcnt(1)
	v_fmac_f32_e32 v167, v145, v201
	v_add_f32_e32 v2, v2, v4
	v_add_f32_e32 v3, v3, v166
	v_mul_f32_e32 v4, v145, v157
	v_fma_f32 v5, v142, v187, -v5
	v_fmac_f32_e32 v162, v131, v200
	v_add_f32_e32 v2, v2, v6
	v_add_f32_e32 v3, v3, v160
	v_mul_f32_e32 v6, v131, v12
	v_fma_f32 v4, v144, v201, -v4
	s_waitcnt lgkmcnt(0)
	v_mul_f32_e32 v153, v10, v159
	v_add_f32_e32 v2, v2, v5
	v_add_f32_e32 v3, v3, v164
	v_mul_f32_e32 v5, v133, v158
	v_fma_f32 v6, v130, v200, -v6
	v_fmac_f32_e32 v168, v133, v199
	v_add_f32_e32 v2, v2, v4
	v_add_f32_e32 v3, v3, v167
	v_mul_f32_e32 v4, v11, v159
	v_fma_f32 v5, v132, v199, -v5
	v_fmac_f32_e32 v153, v11, v198
	v_add_f32_e32 v2, v2, v6
	v_add_f32_e32 v3, v3, v162
	v_fma_f32 v4, v10, v198, -v4
	v_add_f32_e32 v2, v2, v5
	v_add_f32_e32 v3, v3, v168
	;; [unrolled: 1-line block ×4, first 2 shown]
	s_waitcnt vmcnt(0)
	v_sub_f32_e32 v2, v202, v2
	v_sub_f32_e32 v3, v185, v3
	buffer_store_dword v2, off, s[0:3], 0 offset:128
	buffer_store_dword v3, off, s[0:3], 0 offset:132
	v_cmpx_lt_u32_e32 15, v0
	s_cbranch_execz .LBB55_319
; %bb.318:
	s_clause 0x1
	buffer_load_dword v2, off, s[0:3], 0 offset:120
	buffer_load_dword v3, off, s[0:3], 0 offset:124
	buffer_store_dword v1, off, s[0:3], 0 offset:120
	buffer_store_dword v1, off, s[0:3], 0 offset:124
	s_waitcnt vmcnt(0)
	ds_write_b64 v125, v[2:3]
.LBB55_319:
	s_or_b32 exec_lo, exec_lo, s4
	s_waitcnt lgkmcnt(0)
	s_waitcnt_vscnt null, 0x0
	s_barrier
	buffer_gl0_inv
	s_clause 0x23
	buffer_load_dword v10, off, s[0:3], 0 offset:132
	buffer_load_dword v11, off, s[0:3], 0 offset:140
	;; [unrolled: 1-line block ×36, first 2 shown]
	ds_read_b128 v[2:5], v1 offset:576
	s_clause 0x1
	buffer_load_dword v175, off, s[0:3], 0 offset:268
	buffer_load_dword v176, off, s[0:3], 0 offset:276
	ds_read_b128 v[6:9], v1 offset:592
	ds_read_b128 v[126:129], v1 offset:608
	s_clause 0x7
	buffer_load_dword v177, off, s[0:3], 0 offset:284
	buffer_load_dword v178, off, s[0:3], 0 offset:292
	;; [unrolled: 1-line block ×8, first 2 shown]
	ds_read_b128 v[130:133], v1 offset:624
	ds_read_b128 v[134:137], v1 offset:640
	;; [unrolled: 1-line block ×3, first 2 shown]
	buffer_load_dword v187, off, s[0:3], 0 offset:124
	s_mov_b32 s4, exec_lo
	s_waitcnt vmcnt(46) lgkmcnt(5)
	v_mul_f32_e32 v185, v3, v10
	v_mul_f32_e32 v10, v2, v10
	s_waitcnt vmcnt(45)
	v_mul_f32_e32 v186, v4, v11
	v_mul_f32_e32 v11, v5, v11
	s_waitcnt vmcnt(42)
	v_fma_f32 v185, v2, v143, -v185
	v_fmac_f32_e32 v10, v3, v143
	v_fmac_f32_e32 v186, v5, v142
	v_fma_f32 v11, v4, v142, -v11
	s_waitcnt vmcnt(41) lgkmcnt(4)
	v_mul_f32_e32 v142, v6, v144
	v_mul_f32_e32 v143, v7, v144
	s_waitcnt vmcnt(40)
	v_mul_f32_e32 v144, v8, v145
	v_mul_f32_e32 v145, v9, v145
	s_waitcnt vmcnt(39) lgkmcnt(3)
	v_mul_f32_e32 v188, v126, v146
	v_mul_f32_e32 v146, v127, v146
	v_fmac_f32_e32 v142, v7, v12
	v_fma_f32 v12, v6, v12, -v143
	s_waitcnt vmcnt(38)
	v_mul_f32_e32 v143, v128, v147
	v_mul_f32_e32 v6, v129, v147
	ds_read_b128 v[2:5], v1 offset:672
	s_waitcnt vmcnt(34)
	v_fmac_f32_e32 v144, v9, v151
	v_fma_f32 v145, v8, v151, -v145
	v_fmac_f32_e32 v188, v127, v150
	v_fma_f32 v126, v126, v150, -v146
	;; [unrolled: 2-line block ×3, first 2 shown]
	s_clause 0x7
	buffer_load_dword v146, off, s[0:3], 0 offset:316
	buffer_load_dword v147, off, s[0:3], 0 offset:324
	;; [unrolled: 1-line block ×8, first 2 shown]
	s_waitcnt vmcnt(41) lgkmcnt(3)
	v_mul_f32_e32 v6, v131, v152
	s_waitcnt vmcnt(40)
	v_mul_f32_e32 v7, v133, v153
	v_mul_f32_e32 v128, v130, v152
	;; [unrolled: 1-line block ×3, first 2 shown]
	s_waitcnt vmcnt(39) lgkmcnt(2)
	v_mul_f32_e32 v152, v134, v154
	v_fma_f32 v130, v130, v148, -v6
	s_waitcnt vmcnt(34)
	v_fma_f32 v132, v132, v159, -v7
	ds_read_b128 v[6:9], v1 offset:688
	v_mul_f32_e32 v153, v135, v154
	v_fmac_f32_e32 v128, v131, v148
	v_mul_f32_e32 v131, v136, v155
	v_mul_f32_e32 v148, v137, v155
	v_fmac_f32_e32 v129, v133, v159
	v_fmac_f32_e32 v152, v135, v158
	v_fma_f32 v133, v134, v158, -v153
	v_fmac_f32_e32 v131, v137, v157
	v_fma_f32 v134, v136, v157, -v148
	s_waitcnt vmcnt(33) lgkmcnt(2)
	v_mul_f32_e32 v135, v138, v160
	v_mul_f32_e32 v136, v139, v160
	s_waitcnt vmcnt(32)
	v_mul_f32_e32 v137, v140, v161
	s_waitcnt vmcnt(31) lgkmcnt(1)
	v_mul_f32_e32 v158, v2, v162
	v_mul_f32_e32 v159, v3, v162
	;; [unrolled: 1-line block ×3, first 2 shown]
	v_fmac_f32_e32 v135, v139, v156
	v_fma_f32 v136, v138, v156, -v136
	s_waitcnt vmcnt(30)
	v_mul_f32_e32 v138, v4, v163
	v_mul_f32_e32 v139, v5, v163
	s_waitcnt vmcnt(26)
	v_fmac_f32_e32 v137, v141, v167
	v_fmac_f32_e32 v158, v3, v166
	v_fma_f32 v141, v2, v166, -v159
	s_waitcnt vmcnt(25) lgkmcnt(0)
	v_mul_f32_e32 v166, v6, v168
	v_mul_f32_e32 v2, v7, v168
	v_add_f32_e32 v3, 0, v185
	s_clause 0x3
	buffer_load_dword v148, off, s[0:3], 0 offset:348
	buffer_load_dword v153, off, s[0:3], 0 offset:356
	;; [unrolled: 1-line block ×4, first 2 shown]
	v_fma_f32 v140, v140, v167, -v157
	s_clause 0x3
	buffer_load_dword v156, off, s[0:3], 0 offset:380
	buffer_load_dword v157, off, s[0:3], 0 offset:388
	;; [unrolled: 1-line block ×4, first 2 shown]
	v_fmac_f32_e32 v138, v5, v165
	v_fma_f32 v139, v4, v165, -v139
	s_clause 0x3
	buffer_load_dword v159, off, s[0:3], 0 offset:412
	buffer_load_dword v162, off, s[0:3], 0 offset:420
	;; [unrolled: 1-line block ×4, first 2 shown]
	v_add_f32_e32 v4, 0, v10
	buffer_load_dword v10, off, s[0:3], 0 offset:444
	v_fmac_f32_e32 v166, v7, v164
	v_fma_f32 v164, v6, v164, -v2
	v_add_f32_e32 v2, v3, v11
	s_clause 0x3
	buffer_load_dword v11, off, s[0:3], 0 offset:368
	buffer_load_dword v167, off, s[0:3], 0 offset:360
	;; [unrolled: 1-line block ×4, first 2 shown]
	v_add_f32_e32 v6, v4, v186
	v_add_f32_e32 v7, v2, v12
	s_waitcnt vmcnt(41)
	v_mul_f32_e32 v2, v9, v169
	v_mul_f32_e32 v12, v8, v169
	v_add_f32_e32 v6, v6, v142
	v_add_f32_e32 v7, v7, v145
	s_waitcnt vmcnt(37)
	v_fma_f32 v169, v8, v173, -v2
	ds_read_b128 v[2:5], v1 offset:704
	v_fmac_f32_e32 v12, v9, v173
	s_clause 0x3
	buffer_load_dword v173, off, s[0:3], 0 offset:400
	buffer_load_dword v186, off, s[0:3], 0 offset:392
	;; [unrolled: 1-line block ×4, first 2 shown]
	v_add_f32_e32 v7, v7, v126
	v_add_f32_e32 v6, v6, v144
	;; [unrolled: 1-line block ×6, first 2 shown]
	ds_read_b128 v[6:9], v1 offset:720
	v_add_f32_e32 v127, v127, v128
	s_waitcnt vmcnt(40) lgkmcnt(1)
	v_mul_f32_e32 v142, v2, v174
	v_mul_f32_e32 v130, v3, v174
	s_waitcnt vmcnt(39)
	v_mul_f32_e32 v144, v4, v175
	v_fmac_f32_e32 v142, v3, v172
	v_fma_f32 v143, v2, v172, -v130
	s_clause 0x4
	buffer_load_dword v172, off, s[0:3], 0 offset:432
	buffer_load_dword v174, off, s[0:3], 0 offset:424
	;; [unrolled: 1-line block ×5, first 2 shown]
	v_add_f32_e32 v3, v127, v129
	v_add_f32_e32 v2, v126, v132
	v_mul_f32_e32 v126, v5, v175
	v_fmac_f32_e32 v144, v5, v171
	v_add_f32_e32 v3, v3, v152
	buffer_load_dword v152, off, s[0:3], 0 offset:120
	v_add_f32_e32 v2, v2, v133
	v_fma_f32 v145, v4, v171, -v126
	s_waitcnt vmcnt(44) lgkmcnt(0)
	v_mul_f32_e32 v171, v6, v176
	v_add_f32_e32 v127, v3, v131
	v_mul_f32_e32 v132, v7, v176
	v_add_f32_e32 v2, v2, v134
	s_waitcnt vmcnt(43)
	v_mul_f32_e32 v175, v8, v177
	v_mul_f32_e32 v133, v9, v177
	v_add_f32_e32 v131, v127, v135
	ds_read_b128 v[126:129], v1 offset:752
	v_add_f32_e32 v130, v2, v136
	ds_read_b128 v[2:5], v1 offset:736
	v_fmac_f32_e32 v171, v7, v170
	v_add_f32_e32 v131, v131, v137
	v_fma_f32 v170, v6, v170, -v132
	v_add_f32_e32 v130, v130, v140
	s_waitcnt vmcnt(36)
	v_fmac_f32_e32 v175, v9, v184
	v_fma_f32 v176, v8, v184, -v133
	v_add_f32_e32 v135, v131, v158
	v_add_f32_e32 v134, v130, v141
	ds_read_b128 v[6:9], v1 offset:768
	ds_read_b128 v[130:133], v1 offset:784
	v_add_f32_e32 v135, v135, v138
	v_add_f32_e32 v134, v134, v139
	;; [unrolled: 1-line block ×3, first 2 shown]
	s_waitcnt lgkmcnt(3)
	v_mul_f32_e32 v138, v127, v180
	v_add_f32_e32 v134, v134, v164
	v_mul_f32_e32 v164, v126, v180
	s_waitcnt lgkmcnt(2)
	v_mul_f32_e32 v136, v3, v178
	v_add_f32_e32 v12, v135, v12
	v_mul_f32_e32 v158, v2, v178
	v_add_f32_e32 v139, v134, v169
	v_mul_f32_e32 v137, v5, v179
	v_fma_f32 v178, v2, v183, -v136
	v_add_f32_e32 v12, v12, v142
	v_mul_f32_e32 v177, v4, v179
	v_add_f32_e32 v143, v139, v143
	v_fmac_f32_e32 v158, v3, v183
	v_fma_f32 v179, v4, v182, -v137
	v_add_f32_e32 v12, v12, v144
	v_fmac_f32_e32 v177, v5, v182
	v_add_f32_e32 v142, v143, v145
	v_fmac_f32_e32 v164, v127, v181
	ds_read_b128 v[2:5], v1 offset:800
	ds_read_b128 v[134:137], v1 offset:816
	v_add_f32_e32 v12, v12, v171
	v_add_f32_e32 v12, v12, v175
	;; [unrolled: 1-line block ×5, first 2 shown]
	s_waitcnt vmcnt(34)
	v_mul_f32_e32 v166, v128, v146
	s_waitcnt vmcnt(33) lgkmcnt(3)
	v_mul_f32_e32 v180, v6, v147
	v_mul_f32_e32 v143, v7, v147
	;; [unrolled: 1-line block ×3, first 2 shown]
	v_fma_f32 v146, v126, v181, -v138
	s_waitcnt vmcnt(32)
	v_mul_f32_e32 v181, v8, v149
	s_waitcnt vmcnt(28)
	v_fmac_f32_e32 v180, v7, v190
	v_add_f32_e32 v7, v142, v170
	s_waitcnt vmcnt(27)
	v_fma_f32 v169, v128, v191, -v140
	v_fmac_f32_e32 v166, v129, v191
	v_mul_f32_e32 v144, v9, v149
	v_fma_f32 v147, v6, v190, -v143
	v_add_f32_e32 v170, v7, v176
	ds_read_b128 v[126:129], v1 offset:832
	ds_read_b128 v[138:141], v1 offset:848
	v_add_f32_e32 v12, v12, v166
	v_fmac_f32_e32 v181, v9, v189
	v_fma_f32 v149, v8, v189, -v144
	v_add_f32_e32 v170, v170, v178
	ds_read_b128 v[6:9], v1 offset:864
	ds_read_b128 v[142:145], v1 offset:880
	s_waitcnt lgkmcnt(6)
	v_mul_f32_e32 v1, v130, v150
	v_mul_f32_e32 v150, v131, v150
	v_add_f32_e32 v12, v12, v180
	v_add_f32_e32 v170, v170, v179
	v_fmac_f32_e32 v1, v131, v151
	v_fma_f32 v130, v130, v151, -v150
	v_add_f32_e32 v12, v12, v181
	v_add_f32_e32 v146, v170, v146
	;; [unrolled: 1-line block ×5, first 2 shown]
	s_waitcnt vmcnt(26)
	v_mul_f32_e32 v158, v132, v148
	v_mul_f32_e32 v148, v133, v148
	s_waitcnt vmcnt(25) lgkmcnt(5)
	v_mul_f32_e32 v171, v2, v153
	s_waitcnt vmcnt(24)
	v_mul_f32_e32 v12, v5, v154
	v_add_f32_e32 v146, v146, v149
	v_mul_f32_e32 v149, v3, v153
	v_mul_f32_e32 v175, v4, v154
	s_waitcnt vmcnt(23) lgkmcnt(4)
	v_mul_f32_e32 v176, v134, v155
	s_waitcnt vmcnt(22)
	v_mul_f32_e32 v170, v136, v156
	v_add_f32_e32 v130, v146, v130
	s_waitcnt vmcnt(21) lgkmcnt(3)
	v_mul_f32_e32 v164, v126, v157
	s_waitcnt vmcnt(20)
	v_mul_f32_e32 v177, v128, v160
	s_waitcnt vmcnt(12)
	v_fma_f32 v4, v4, v167, -v12
	s_waitcnt vmcnt(11)
	v_fmac_f32_e32 v171, v3, v168
	s_waitcnt vmcnt(10)
	v_fma_f32 v132, v132, v185, -v148
	v_fmac_f32_e32 v158, v133, v185
	v_fma_f32 v2, v2, v168, -v149
	v_fmac_f32_e32 v175, v5, v167
	v_fmac_f32_e32 v176, v135, v11
	v_add_f32_e32 v3, v130, v132
	v_add_f32_e32 v1, v1, v158
	v_mul_f32_e32 v130, v135, v155
	s_waitcnt lgkmcnt(2)
	v_mul_f32_e32 v169, v138, v161
	v_mul_f32_e32 v166, v140, v159
	v_add_f32_e32 v2, v3, v2
	v_add_f32_e32 v1, v1, v171
	v_mul_f32_e32 v3, v137, v156
	v_fma_f32 v5, v134, v11, -v130
	s_waitcnt vmcnt(6)
	v_fmac_f32_e32 v170, v137, v193
	v_add_f32_e32 v2, v2, v4
	v_add_f32_e32 v1, v1, v175
	v_mul_f32_e32 v4, v127, v157
	v_fma_f32 v3, v136, v193, -v3
	v_fmac_f32_e32 v164, v127, v192
	v_add_f32_e32 v2, v2, v5
	v_add_f32_e32 v1, v1, v176
	v_mul_f32_e32 v5, v129, v160
	v_fma_f32 v4, v126, v192, -v4
	v_fmac_f32_e32 v177, v129, v186
	v_add_f32_e32 v2, v2, v3
	v_add_f32_e32 v1, v1, v170
	v_mul_f32_e32 v3, v139, v161
	v_fma_f32 v5, v128, v186, -v5
	v_fmac_f32_e32 v169, v139, v173
	v_add_f32_e32 v2, v2, v4
	v_add_f32_e32 v1, v1, v164
	v_mul_f32_e32 v4, v141, v159
	v_fma_f32 v3, v138, v173, -v3
	s_waitcnt lgkmcnt(1)
	v_mul_f32_e32 v178, v6, v162
	v_add_f32_e32 v2, v2, v5
	v_add_f32_e32 v1, v1, v177
	v_mul_f32_e32 v5, v7, v162
	s_waitcnt vmcnt(2)
	v_fma_f32 v4, v140, v194, -v4
	v_fmac_f32_e32 v166, v141, v194
	v_add_f32_e32 v2, v2, v3
	v_add_f32_e32 v1, v1, v169
	v_mul_f32_e32 v3, v9, v163
	v_fma_f32 v5, v6, v188, -v5
	v_mul_f32_e32 v147, v8, v163
	v_add_f32_e32 v2, v2, v4
	v_fmac_f32_e32 v178, v7, v188
	v_add_f32_e32 v1, v1, v166
	s_waitcnt lgkmcnt(0)
	v_mul_f32_e32 v4, v143, v165
	v_fma_f32 v3, v8, v174, -v3
	v_add_f32_e32 v2, v2, v5
	v_mul_f32_e32 v179, v142, v165
	v_fmac_f32_e32 v147, v9, v174
	v_add_f32_e32 v1, v1, v178
	v_mul_f32_e32 v5, v145, v10
	v_fma_f32 v4, v142, v172, -v4
	v_add_f32_e32 v2, v2, v3
	v_mul_f32_e32 v131, v144, v10
	v_fmac_f32_e32 v179, v143, v172
	v_add_f32_e32 v1, v1, v147
	s_waitcnt vmcnt(1)
	v_fma_f32 v3, v144, v195, -v5
	v_add_f32_e32 v2, v2, v4
	v_fmac_f32_e32 v131, v145, v195
	v_add_f32_e32 v1, v1, v179
	v_add_f32_e32 v2, v2, v3
	;; [unrolled: 1-line block ×3, first 2 shown]
	s_waitcnt vmcnt(0)
	v_sub_f32_e32 v2, v152, v2
	v_sub_f32_e32 v1, v187, v1
	buffer_store_dword v2, off, s[0:3], 0 offset:120
	buffer_store_dword v1, off, s[0:3], 0 offset:124
	v_cmpx_lt_u32_e32 14, v0
	s_cbranch_execz .LBB55_321
; %bb.320:
	s_clause 0x1
	buffer_load_dword v1, off, s[0:3], 0 offset:112
	buffer_load_dword v2, off, s[0:3], 0 offset:116
	v_mov_b32_e32 v3, 0
	buffer_store_dword v3, off, s[0:3], 0 offset:112
	buffer_store_dword v3, off, s[0:3], 0 offset:116
	s_waitcnt vmcnt(0)
	ds_write_b64 v125, v[1:2]
.LBB55_321:
	s_or_b32 exec_lo, exec_lo, s4
	s_waitcnt lgkmcnt(0)
	s_waitcnt_vscnt null, 0x0
	s_barrier
	buffer_gl0_inv
	s_clause 0x23
	buffer_load_dword v3, off, s[0:3], 0 offset:124
	buffer_load_dword v2, off, s[0:3], 0 offset:132
	;; [unrolled: 1-line block ×36, first 2 shown]
	v_mov_b32_e32 v1, 0
	s_mov_b32 s4, exec_lo
	ds_read2_b64 v[4:7], v1 offset0:71 offset1:72
	s_clause 0x1
	buffer_load_dword v175, off, s[0:3], 0 offset:260
	buffer_load_dword v176, off, s[0:3], 0 offset:268
	ds_read2_b64 v[8:11], v1 offset0:73 offset1:74
	s_clause 0x8
	buffer_load_dword v177, off, s[0:3], 0 offset:276
	buffer_load_dword v178, off, s[0:3], 0 offset:284
	;; [unrolled: 1-line block ×9, first 2 shown]
	ds_read2_b64 v[126:129], v1 offset0:75 offset1:76
	ds_read2_b64 v[130:133], v1 offset0:77 offset1:78
	buffer_load_dword v186, off, s[0:3], 0 offset:116
	ds_read2_b64 v[134:137], v1 offset0:79 offset1:80
	ds_read2_b64 v[138:141], v1 offset0:81 offset1:82
	s_waitcnt vmcnt(47) lgkmcnt(5)
	v_mul_f32_e32 v187, v5, v3
	v_mul_f32_e32 v188, v4, v3
	s_waitcnt vmcnt(46)
	v_mul_f32_e32 v189, v6, v2
	v_mul_f32_e32 v2, v7, v2
	s_waitcnt vmcnt(43)
	v_fma_f32 v187, v4, v143, -v187
	v_fmac_f32_e32 v188, v5, v143
	s_waitcnt vmcnt(42) lgkmcnt(4)
	v_mul_f32_e32 v143, v8, v144
	v_mul_f32_e32 v144, v9, v144
	v_fmac_f32_e32 v189, v7, v142
	v_fma_f32 v142, v6, v142, -v2
	s_waitcnt vmcnt(41)
	v_mul_f32_e32 v190, v10, v145
	v_mul_f32_e32 v6, v11, v145
	v_fmac_f32_e32 v143, v9, v12
	v_fma_f32 v12, v8, v12, -v144
	s_waitcnt vmcnt(40) lgkmcnt(3)
	v_mul_f32_e32 v144, v126, v146
	v_mul_f32_e32 v7, v127, v146
	s_waitcnt vmcnt(36)
	v_fmac_f32_e32 v190, v11, v150
	v_fma_f32 v10, v10, v150, -v6
	s_waitcnt vmcnt(35)
	v_mul_f32_e32 v11, v128, v151
	v_mul_f32_e32 v6, v129, v151
	ds_read2_b64 v[2:5], v1 offset0:83 offset1:84
	s_waitcnt vmcnt(34) lgkmcnt(3)
	v_mul_f32_e32 v145, v130, v152
	v_mul_f32_e32 v8, v131, v152
	s_waitcnt vmcnt(33)
	v_mul_f32_e32 v146, v132, v153
	v_mul_f32_e32 v9, v133, v153
	v_fmac_f32_e32 v144, v127, v149
	v_fma_f32 v126, v126, v149, -v7
	v_fmac_f32_e32 v11, v129, v148
	v_fma_f32 v127, v128, v148, -v6
	s_clause 0x6
	buffer_load_dword v148, off, s[0:3], 0 offset:316
	buffer_load_dword v149, off, s[0:3], 0 offset:324
	buffer_load_dword v150, off, s[0:3], 0 offset:332
	buffer_load_dword v151, off, s[0:3], 0 offset:328
	buffer_load_dword v152, off, s[0:3], 0 offset:320
	buffer_load_dword v153, off, s[0:3], 0 offset:312
	buffer_load_dword v191, off, s[0:3], 0 offset:304
	v_fma_f32 v128, v130, v147, -v8
	s_waitcnt vmcnt(36)
	v_fma_f32 v129, v132, v157, -v9
	ds_read2_b64 v[6:9], v1 offset0:85 offset1:86
	v_fmac_f32_e32 v145, v131, v147
	v_fmac_f32_e32 v146, v133, v157
	s_waitcnt vmcnt(35) lgkmcnt(3)
	v_mul_f32_e32 v131, v135, v158
	s_waitcnt vmcnt(34)
	v_mul_f32_e32 v132, v136, v159
	v_mul_f32_e32 v133, v137, v159
	;; [unrolled: 1-line block ×3, first 2 shown]
	s_waitcnt vmcnt(33) lgkmcnt(2)
	v_mul_f32_e32 v147, v138, v160
	v_mul_f32_e32 v157, v139, v160
	v_fma_f32 v131, v134, v156, -v131
	s_waitcnt vmcnt(32)
	v_mul_f32_e32 v134, v140, v161
	v_fmac_f32_e32 v132, v137, v155
	v_fma_f32 v133, v136, v155, -v133
	s_waitcnt vmcnt(31) lgkmcnt(1)
	v_mul_f32_e32 v136, v2, v162
	v_mul_f32_e32 v137, v3, v162
	v_fmac_f32_e32 v130, v135, v156
	v_mul_f32_e32 v135, v141, v161
	v_fmac_f32_e32 v147, v139, v154
	v_fma_f32 v138, v138, v154, -v157
	s_waitcnt vmcnt(27)
	v_fmac_f32_e32 v134, v141, v166
	s_clause 0x7
	buffer_load_dword v154, off, s[0:3], 0 offset:340
	buffer_load_dword v155, off, s[0:3], 0 offset:348
	;; [unrolled: 1-line block ×8, first 2 shown]
	v_fmac_f32_e32 v136, v3, v165
	v_fma_f32 v137, v2, v165, -v137
	s_waitcnt vmcnt(33) lgkmcnt(0)
	v_mul_f32_e32 v141, v6, v168
	v_mul_f32_e32 v2, v7, v168
	v_add_f32_e32 v3, 0, v187
	v_fma_f32 v135, v140, v166, -v135
	v_mul_f32_e32 v139, v4, v167
	v_fmac_f32_e32 v141, v7, v163
	v_fma_f32 v163, v6, v163, -v2
	v_add_f32_e32 v2, 0, v188
	v_add_f32_e32 v3, v3, v142
	v_mul_f32_e32 v140, v5, v167
	s_clause 0x1
	buffer_load_dword v162, off, s[0:3], 0 offset:372
	buffer_load_dword v165, off, s[0:3], 0 offset:380
	v_fmac_f32_e32 v139, v5, v164
	v_add_f32_e32 v2, v2, v189
	v_add_f32_e32 v6, v3, v12
	s_waitcnt vmcnt(34)
	v_mul_f32_e32 v3, v9, v169
	v_fma_f32 v140, v4, v164, -v140
	s_clause 0x5
	buffer_load_dword v164, off, s[0:3], 0 offset:388
	buffer_load_dword v166, off, s[0:3], 0 offset:396
	;; [unrolled: 1-line block ×6, first 2 shown]
	v_mul_f32_e32 v12, v8, v169
	v_add_f32_e32 v7, v2, v143
	s_waitcnt vmcnt(36)
	v_fma_f32 v142, v8, v173, -v3
	ds_read2_b64 v[2:5], v1 offset0:87 offset1:88
	s_clause 0x1
	buffer_load_dword v189, off, s[0:3], 0 offset:436
	buffer_load_dword v169, off, s[0:3], 0 offset:444
	v_fmac_f32_e32 v12, v9, v173
	v_add_f32_e32 v7, v7, v190
	s_clause 0x3
	buffer_load_dword v173, off, s[0:3], 0 offset:392
	buffer_load_dword v190, off, s[0:3], 0 offset:384
	;; [unrolled: 1-line block ×4, first 2 shown]
	v_add_f32_e32 v6, v6, v10
	v_add_f32_e32 v7, v7, v144
	;; [unrolled: 1-line block ×6, first 2 shown]
	s_waitcnt vmcnt(41) lgkmcnt(0)
	v_mul_f32_e32 v143, v2, v174
	v_mul_f32_e32 v126, v3, v174
	v_add_f32_e32 v11, v6, v128
	ds_read2_b64 v[6:9], v1 offset0:89 offset1:90
	v_fmac_f32_e32 v143, v3, v172
	v_fma_f32 v144, v2, v172, -v126
	v_add_f32_e32 v2, v10, v146
	s_clause 0x6
	buffer_load_dword v146, off, s[0:3], 0 offset:424
	buffer_load_dword v172, off, s[0:3], 0 offset:416
	;; [unrolled: 1-line block ×7, first 2 shown]
	v_add_f32_e32 v11, v11, v129
	v_add_f32_e32 v2, v2, v130
	s_waitcnt vmcnt(47)
	v_mul_f32_e32 v10, v4, v175
	v_add_f32_e32 v3, v11, v131
	v_add_f32_e32 v2, v2, v132
	v_mul_f32_e32 v11, v5, v175
	v_fmac_f32_e32 v10, v5, v171
	v_add_f32_e32 v3, v3, v133
	v_add_f32_e32 v126, v2, v147
	s_waitcnt vmcnt(46) lgkmcnt(0)
	v_mul_f32_e32 v145, v6, v176
	v_mul_f32_e32 v132, v7, v176
	s_waitcnt vmcnt(45)
	v_mul_f32_e32 v147, v8, v177
	v_add_f32_e32 v3, v3, v138
	v_add_f32_e32 v131, v126, v134
	v_mul_f32_e32 v133, v9, v177
	v_fma_f32 v11, v4, v171, -v11
	ds_read2_b64 v[126:129], v1 offset0:93 offset1:94
	v_add_f32_e32 v130, v3, v135
	v_add_f32_e32 v131, v131, v136
	ds_read2_b64 v[2:5], v1 offset0:91 offset1:92
	v_fmac_f32_e32 v145, v7, v170
	v_fma_f32 v170, v6, v170, -v132
	v_add_f32_e32 v130, v130, v137
	v_add_f32_e32 v135, v131, v139
	s_waitcnt vmcnt(38)
	v_fmac_f32_e32 v147, v9, v184
	v_fma_f32 v171, v8, v184, -v133
	v_add_f32_e32 v134, v130, v140
	ds_read2_b64 v[6:9], v1 offset0:95 offset1:96
	ds_read2_b64 v[130:133], v1 offset0:97 offset1:98
	v_add_f32_e32 v135, v135, v141
	v_add_f32_e32 v134, v134, v163
	;; [unrolled: 1-line block ×3, first 2 shown]
	s_waitcnt lgkmcnt(3)
	v_mul_f32_e32 v138, v127, v180
	v_add_f32_e32 v134, v134, v142
	v_mul_f32_e32 v176, v126, v180
	v_add_f32_e32 v12, v12, v143
	s_waitcnt lgkmcnt(2)
	v_mul_f32_e32 v136, v3, v178
	v_mul_f32_e32 v163, v2, v178
	v_add_f32_e32 v139, v134, v144
	v_mul_f32_e32 v137, v5, v179
	v_add_f32_e32 v10, v12, v10
	v_fma_f32 v142, v2, v183, -v136
	v_mul_f32_e32 v175, v4, v179
	v_add_f32_e32 v11, v139, v11
	v_fmac_f32_e32 v163, v3, v183
	v_add_f32_e32 v10, v10, v145
	v_fma_f32 v178, v4, v182, -v137
	v_fmac_f32_e32 v175, v5, v182
	v_add_f32_e32 v11, v11, v170
	s_waitcnt vmcnt(37)
	v_mul_f32_e32 v140, v129, v185
	v_add_f32_e32 v10, v10, v147
	v_fma_f32 v179, v126, v181, -v138
	v_mul_f32_e32 v177, v128, v185
	v_fmac_f32_e32 v176, v127, v181
	ds_read2_b64 v[2:5], v1 offset0:99 offset1:100
	ds_read2_b64 v[134:137], v1 offset0:101 offset1:102
	s_waitcnt vmcnt(35) lgkmcnt(3)
	v_mul_f32_e32 v12, v6, v148
	v_mul_f32_e32 v143, v7, v148
	s_waitcnt vmcnt(34)
	v_mul_f32_e32 v170, v8, v149
	v_mul_f32_e32 v144, v9, v149
	s_waitcnt vmcnt(30)
	v_fmac_f32_e32 v12, v7, v153
	v_add_f32_e32 v7, v11, v171
	v_fmac_f32_e32 v170, v9, v152
	v_fma_f32 v148, v8, v152, -v144
	v_add_f32_e32 v152, v10, v163
	s_waitcnt vmcnt(29)
	v_fma_f32 v180, v128, v191, -v140
	v_add_f32_e32 v149, v7, v142
	v_fmac_f32_e32 v177, v129, v191
	v_fma_f32 v147, v6, v153, -v143
	v_add_f32_e32 v152, v152, v175
	s_waitcnt lgkmcnt(2)
	v_mul_f32_e32 v153, v130, v150
	v_add_f32_e32 v149, v149, v178
	v_mul_f32_e32 v150, v131, v150
	ds_read2_b64 v[126:129], v1 offset0:103 offset1:104
	ds_read2_b64 v[138:141], v1 offset0:105 offset1:106
	v_add_f32_e32 v152, v152, v176
	v_fmac_f32_e32 v153, v131, v151
	v_add_f32_e32 v149, v149, v179
	v_fma_f32 v130, v130, v151, -v150
	s_waitcnt vmcnt(28)
	v_mul_f32_e32 v163, v132, v154
	v_add_f32_e32 v151, v152, v177
	v_mul_f32_e32 v154, v133, v154
	v_add_f32_e32 v149, v149, v180
	s_waitcnt vmcnt(27) lgkmcnt(3)
	v_mul_f32_e32 v171, v2, v155
	v_mul_f32_e32 v155, v3, v155
	v_add_f32_e32 v12, v151, v12
	s_waitcnt vmcnt(21)
	v_fma_f32 v132, v132, v161, -v154
	v_add_f32_e32 v147, v149, v147
	v_fmac_f32_e32 v163, v133, v161
	v_fmac_f32_e32 v171, v3, v160
	v_add_f32_e32 v12, v12, v170
	v_fma_f32 v2, v2, v160, -v155
	v_add_f32_e32 v147, v147, v148
	v_mul_f32_e32 v148, v5, v156
	v_mul_f32_e32 v175, v4, v156
	v_add_f32_e32 v12, v12, v153
	s_waitcnt lgkmcnt(2)
	v_mul_f32_e32 v131, v134, v157
	v_add_f32_e32 v130, v147, v130
	v_fma_f32 v4, v4, v159, -v148
	v_fmac_f32_e32 v175, v5, v159
	v_add_f32_e32 v12, v12, v163
	s_waitcnt vmcnt(20)
	v_mul_f32_e32 v5, v137, v162
	v_add_f32_e32 v3, v130, v132
	v_mul_f32_e32 v130, v135, v157
	v_mul_f32_e32 v150, v136, v162
	v_fmac_f32_e32 v131, v135, v158
	s_waitcnt vmcnt(19) lgkmcnt(1)
	v_mul_f32_e32 v152, v126, v165
	v_add_f32_e32 v2, v3, v2
	v_add_f32_e32 v3, v12, v171
	v_fma_f32 v12, v134, v158, -v130
	ds_read2_b64 v[6:9], v1 offset0:107 offset1:108
	ds_read2_b64 v[142:145], v1 offset0:109 offset1:110
	ds_read_b64 v[10:11], v1 offset:888
	s_waitcnt vmcnt(18)
	v_mul_f32_e32 v133, v128, v164
	v_add_f32_e32 v2, v2, v4
	v_add_f32_e32 v3, v3, v175
	v_mul_f32_e32 v4, v127, v165
	s_waitcnt vmcnt(7)
	v_fma_f32 v5, v136, v193, -v5
	v_fmac_f32_e32 v150, v137, v193
	v_add_f32_e32 v2, v2, v12
	v_add_f32_e32 v3, v3, v131
	v_mul_f32_e32 v12, v129, v164
	v_fma_f32 v4, v126, v192, -v4
	v_fmac_f32_e32 v152, v127, v192
	v_add_f32_e32 v2, v2, v5
	v_add_f32_e32 v3, v3, v150
	s_waitcnt lgkmcnt(3)
	v_mul_f32_e32 v5, v139, v166
	v_fma_f32 v12, v128, v190, -v12
	v_mul_f32_e32 v154, v138, v166
	v_add_f32_e32 v2, v2, v4
	v_fmac_f32_e32 v133, v129, v190
	v_add_f32_e32 v3, v3, v152
	v_mul_f32_e32 v4, v141, v167
	v_fma_f32 v5, v138, v173, -v5
	v_add_f32_e32 v2, v2, v12
	v_mul_f32_e32 v149, v140, v167
	v_fmac_f32_e32 v154, v139, v173
	v_add_f32_e32 v3, v3, v133
	s_waitcnt lgkmcnt(2)
	v_mul_f32_e32 v12, v7, v168
	s_waitcnt vmcnt(3)
	v_fma_f32 v4, v140, v194, -v4
	v_add_f32_e32 v2, v2, v5
	v_mul_f32_e32 v151, v6, v168
	v_fmac_f32_e32 v149, v141, v194
	v_add_f32_e32 v3, v3, v154
	v_mul_f32_e32 v5, v9, v187
	v_fma_f32 v6, v6, v174, -v12
	v_add_f32_e32 v2, v2, v4
	v_mul_f32_e32 v161, v8, v187
	v_fmac_f32_e32 v151, v7, v174
	v_add_f32_e32 v3, v3, v149
	s_waitcnt lgkmcnt(1)
	v_mul_f32_e32 v4, v143, v188
	v_fma_f32 v5, v8, v172, -v5
	v_add_f32_e32 v2, v2, v6
	v_mul_f32_e32 v156, v142, v188
	v_fmac_f32_e32 v161, v9, v172
	v_add_f32_e32 v3, v3, v151
	v_mul_f32_e32 v6, v145, v189
	v_fma_f32 v4, v142, v146, -v4
	v_add_f32_e32 v2, v2, v5
	v_mul_f32_e32 v170, v144, v189
	v_fmac_f32_e32 v156, v143, v146
	v_add_f32_e32 v3, v3, v161
	s_waitcnt lgkmcnt(0)
	v_mul_f32_e32 v5, v11, v169
	s_waitcnt vmcnt(1)
	v_fma_f32 v6, v144, v196, -v6
	v_add_f32_e32 v2, v2, v4
	v_mul_f32_e32 v147, v10, v169
	v_fmac_f32_e32 v170, v145, v196
	v_add_f32_e32 v3, v3, v156
	v_fma_f32 v4, v10, v195, -v5
	v_add_f32_e32 v2, v2, v6
	v_fmac_f32_e32 v147, v11, v195
	v_add_f32_e32 v3, v3, v170
	v_add_f32_e32 v2, v2, v4
	;; [unrolled: 1-line block ×3, first 2 shown]
	s_waitcnt vmcnt(0)
	v_sub_f32_e32 v2, v197, v2
	v_sub_f32_e32 v3, v186, v3
	buffer_store_dword v2, off, s[0:3], 0 offset:112
	buffer_store_dword v3, off, s[0:3], 0 offset:116
	v_cmpx_lt_u32_e32 13, v0
	s_cbranch_execz .LBB55_323
; %bb.322:
	s_clause 0x1
	buffer_load_dword v2, off, s[0:3], 0 offset:104
	buffer_load_dword v3, off, s[0:3], 0 offset:108
	buffer_store_dword v1, off, s[0:3], 0 offset:104
	buffer_store_dword v1, off, s[0:3], 0 offset:108
	s_waitcnt vmcnt(0)
	ds_write_b64 v125, v[2:3]
.LBB55_323:
	s_or_b32 exec_lo, exec_lo, s4
	s_waitcnt lgkmcnt(0)
	s_waitcnt_vscnt null, 0x0
	s_barrier
	buffer_gl0_inv
	s_clause 0x24
	buffer_load_dword v2, off, s[0:3], 0 offset:116
	buffer_load_dword v3, off, s[0:3], 0 offset:124
	;; [unrolled: 1-line block ×37, first 2 shown]
	ds_read_b128 v[6:9], v1 offset:560
	ds_read_b128 v[126:129], v1 offset:576
	s_clause 0x8
	buffer_load_dword v178, off, s[0:3], 0 offset:260
	buffer_load_dword v179, off, s[0:3], 0 offset:268
	;; [unrolled: 1-line block ×9, first 2 shown]
	ds_read_b128 v[130:133], v1 offset:592
	ds_read_b128 v[134:137], v1 offset:608
	;; [unrolled: 1-line block ×4, first 2 shown]
	buffer_load_dword v185, off, s[0:3], 0 offset:108
	s_mov_b32 s4, exec_lo
	s_waitcnt vmcnt(46) lgkmcnt(5)
	v_mul_f32_e32 v186, v7, v2
	v_mul_f32_e32 v2, v6, v2
	s_waitcnt vmcnt(45)
	v_mul_f32_e32 v187, v8, v3
	v_mul_f32_e32 v3, v9, v3
	s_waitcnt vmcnt(44) lgkmcnt(4)
	v_mul_f32_e32 v188, v126, v10
	v_mul_f32_e32 v10, v127, v10
	s_waitcnt vmcnt(41)
	v_fma_f32 v186, v6, v146, -v186
	v_fmac_f32_e32 v2, v7, v146
	s_waitcnt vmcnt(40)
	v_mul_f32_e32 v146, v128, v147
	v_mul_f32_e32 v6, v129, v147
	v_fmac_f32_e32 v187, v9, v12
	v_fma_f32 v3, v8, v12, -v3
	s_waitcnt vmcnt(35) lgkmcnt(3)
	v_mul_f32_e32 v12, v130, v152
	v_mul_f32_e32 v147, v131, v152
	v_fmac_f32_e32 v188, v127, v11
	v_fma_f32 v10, v126, v11, -v10
	v_fmac_f32_e32 v146, v129, v151
	v_fma_f32 v11, v128, v151, -v6
	s_waitcnt vmcnt(34)
	v_mul_f32_e32 v151, v132, v153
	v_mul_f32_e32 v152, v133, v153
	s_waitcnt vmcnt(33) lgkmcnt(2)
	v_mul_f32_e32 v153, v134, v154
	v_mul_f32_e32 v154, v135, v154
	v_fmac_f32_e32 v12, v131, v150
	v_fma_f32 v147, v130, v150, -v147
	s_waitcnt vmcnt(32)
	v_mul_f32_e32 v150, v136, v155
	v_mul_f32_e32 v130, v137, v155
	ds_read_b128 v[6:9], v1 offset:656
	ds_read_b128 v[126:129], v1 offset:672
	v_fmac_f32_e32 v151, v133, v149
	v_fma_f32 v149, v132, v149, -v152
	s_waitcnt vmcnt(31) lgkmcnt(3)
	v_mul_f32_e32 v152, v138, v156
	v_mul_f32_e32 v131, v139, v156
	s_waitcnt vmcnt(30)
	v_mul_f32_e32 v155, v140, v157
	v_mul_f32_e32 v132, v141, v157
	v_fmac_f32_e32 v153, v135, v148
	v_fma_f32 v134, v134, v148, -v154
	s_waitcnt vmcnt(26)
	v_fmac_f32_e32 v150, v137, v161
	v_fma_f32 v135, v136, v161, -v130
	s_clause 0x7
	buffer_load_dword v148, off, s[0:3], 0 offset:300
	buffer_load_dword v154, off, s[0:3], 0 offset:308
	;; [unrolled: 1-line block ×8, first 2 shown]
	v_fmac_f32_e32 v152, v139, v160
	v_fma_f32 v136, v138, v160, -v131
	v_fmac_f32_e32 v155, v141, v159
	v_fma_f32 v137, v140, v159, -v132
	s_waitcnt vmcnt(33) lgkmcnt(2)
	v_mul_f32_e32 v138, v142, v162
	v_mul_f32_e32 v139, v143, v162
	s_waitcnt vmcnt(32)
	v_mul_f32_e32 v140, v144, v163
	v_mul_f32_e32 v141, v145, v163
	ds_read_b128 v[130:133], v1 offset:688
	buffer_load_dword v159, off, s[0:3], 0 offset:332
	v_fmac_f32_e32 v138, v143, v158
	v_fma_f32 v139, v142, v158, -v139
	s_waitcnt vmcnt(32) lgkmcnt(2)
	v_mul_f32_e32 v142, v6, v164
	v_mul_f32_e32 v143, v7, v164
	s_waitcnt vmcnt(28)
	v_fmac_f32_e32 v140, v145, v168
	v_fma_f32 v141, v144, v168, -v141
	s_waitcnt vmcnt(27)
	v_mul_f32_e32 v144, v8, v169
	v_mul_f32_e32 v145, v9, v169
	v_fmac_f32_e32 v142, v7, v167
	v_fma_f32 v143, v6, v167, -v143
	s_waitcnt vmcnt(26) lgkmcnt(1)
	v_mul_f32_e32 v158, v126, v170
	v_fmac_f32_e32 v144, v9, v166
	v_fma_f32 v145, v8, v166, -v145
	s_clause 0x4
	buffer_load_dword v162, off, s[0:3], 0 offset:340
	buffer_load_dword v163, off, s[0:3], 0 offset:352
	;; [unrolled: 1-line block ×5, first 2 shown]
	v_mul_f32_e32 v160, v127, v170
	s_waitcnt vmcnt(30)
	v_mul_f32_e32 v169, v129, v171
	v_fmac_f32_e32 v158, v127, v165
	v_add_f32_e32 v2, 0, v2
	v_mul_f32_e32 v168, v128, v171
	v_fma_f32 v160, v126, v165, -v160
	s_waitcnt vmcnt(26)
	v_fma_f32 v165, v128, v175, -v169
	s_waitcnt vmcnt(25) lgkmcnt(0)
	v_mul_f32_e32 v169, v130, v176
	v_mul_f32_e32 v126, v131, v176
	v_add_f32_e32 v2, v2, v187
	ds_read_b128 v[6:9], v1 offset:704
	s_clause 0x1
	buffer_load_dword v170, off, s[0:3], 0 offset:348
	buffer_load_dword v171, off, s[0:3], 0 offset:356
	v_fmac_f32_e32 v169, v131, v174
	v_fma_f32 v174, v130, v174, -v126
	v_add_f32_e32 v126, 0, v186
	v_add_f32_e32 v2, v2, v188
	v_fmac_f32_e32 v168, v129, v175
	s_waitcnt vmcnt(26)
	v_mul_f32_e32 v175, v132, v177
	v_mul_f32_e32 v127, v133, v177
	v_add_f32_e32 v3, v126, v3
	v_add_f32_e32 v2, v2, v146
	s_clause 0x4
	buffer_load_dword v176, off, s[0:3], 0 offset:364
	buffer_load_dword v177, off, s[0:3], 0 offset:372
	;; [unrolled: 1-line block ×5, first 2 shown]
	v_add_f32_e32 v3, v3, v10
	s_clause 0x5
	buffer_load_dword v194, off, s[0:3], 0 offset:404
	buffer_load_dword v195, off, s[0:3], 0 offset:412
	;; [unrolled: 1-line block ×6, first 2 shown]
	v_add_f32_e32 v3, v3, v11
	v_add_f32_e32 v2, v2, v12
	s_waitcnt vmcnt(36) lgkmcnt(0)
	v_mul_f32_e32 v200, v6, v178
	v_mul_f32_e32 v126, v7, v178
	v_fmac_f32_e32 v175, v133, v173
	v_add_f32_e32 v3, v3, v147
	s_clause 0x3
	buffer_load_dword v11, off, s[0:3], 0 offset:384
	buffer_load_dword v12, off, s[0:3], 0 offset:376
	;; [unrolled: 1-line block ×4, first 2 shown]
	v_add_f32_e32 v2, v2, v151
	v_fma_f32 v173, v132, v173, -v127
	v_fmac_f32_e32 v200, v7, v172
	v_add_f32_e32 v3, v3, v149
	v_add_f32_e32 v2, v2, v153
	s_clause 0x3
	buffer_load_dword v149, off, s[0:3], 0 offset:416
	buffer_load_dword v151, off, s[0:3], 0 offset:408
	;; [unrolled: 1-line block ×4, first 2 shown]
	v_add_f32_e32 v3, v3, v134
	v_add_f32_e32 v2, v2, v150
	s_clause 0x2
	buffer_load_dword v150, off, s[0:3], 0 offset:440
	buffer_load_dword v198, off, s[0:3], 0 offset:432
	;; [unrolled: 1-line block ×3, first 2 shown]
	ds_read_b128 v[130:133], v1 offset:752
	v_add_f32_e32 v3, v3, v135
	v_add_f32_e32 v2, v2, v152
	buffer_load_dword v152, off, s[0:3], 0 offset:104
	v_add_f32_e32 v3, v3, v136
	v_add_f32_e32 v2, v2, v155
	v_fma_f32 v155, v6, v172, -v126
	ds_read_b128 v[126:129], v1 offset:720
	v_add_f32_e32 v3, v3, v137
	s_waitcnt vmcnt(47)
	v_mul_f32_e32 v172, v8, v179
	v_add_f32_e32 v2, v2, v138
	v_mul_f32_e32 v6, v9, v179
	v_add_f32_e32 v3, v3, v139
	s_waitcnt vmcnt(40)
	v_fmac_f32_e32 v172, v9, v184
	v_add_f32_e32 v2, v2, v140
	v_fma_f32 v178, v8, v184, -v6
	ds_read_b128 v[6:9], v1 offset:736
	v_add_f32_e32 v3, v3, v141
	v_add_f32_e32 v2, v2, v142
	;; [unrolled: 1-line block ×4, first 2 shown]
	s_waitcnt lgkmcnt(1)
	v_mul_f32_e32 v142, v126, v180
	v_add_f32_e32 v3, v3, v145
	v_mul_f32_e32 v134, v127, v180
	v_add_f32_e32 v2, v2, v158
	v_mul_f32_e32 v158, v128, v181
	v_fmac_f32_e32 v142, v127, v183
	v_add_f32_e32 v3, v3, v160
	v_fma_f32 v143, v126, v183, -v134
	ds_read_b128 v[134:137], v1 offset:768
	v_add_f32_e32 v2, v2, v168
	s_waitcnt lgkmcnt(1)
	v_mul_f32_e32 v127, v7, v182
	v_add_f32_e32 v3, v3, v165
	v_mul_f32_e32 v160, v6, v182
	v_mul_f32_e32 v126, v129, v181
	v_add_f32_e32 v2, v2, v169
	v_fma_f32 v168, v6, v4, -v127
	v_add_f32_e32 v3, v3, v174
	v_fmac_f32_e32 v160, v7, v4
	v_fma_f32 v144, v128, v5, -v126
	v_add_f32_e32 v7, v2, v175
	v_fmac_f32_e32 v158, v129, v5
	v_add_f32_e32 v6, v3, v173
	ds_read_b128 v[2:5], v1 offset:784
	ds_read_b128 v[126:129], v1 offset:800
	s_waitcnt vmcnt(38)
	v_mul_f32_e32 v165, v8, v148
	v_mul_f32_e32 v138, v9, v148
	s_waitcnt vmcnt(37)
	v_mul_f32_e32 v148, v130, v154
	v_mul_f32_e32 v139, v131, v154
	;; [unrolled: 3-line block ×3, first 2 shown]
	s_waitcnt vmcnt(35) lgkmcnt(2)
	v_mul_f32_e32 v156, v134, v157
	s_waitcnt vmcnt(32)
	v_fmac_f32_e32 v148, v131, v190
	v_add_f32_e32 v131, v6, v155
	v_fma_f32 v155, v130, v190, -v139
	v_add_f32_e32 v130, v7, v200
	v_fmac_f32_e32 v156, v135, v161
	s_waitcnt vmcnt(31)
	v_fma_f32 v154, v8, v191, -v138
	v_add_f32_e32 v131, v131, v178
	v_fmac_f32_e32 v165, v9, v191
	v_add_f32_e32 v130, v130, v172
	v_fmac_f32_e32 v169, v133, v189
	s_waitcnt vmcnt(30)
	v_mul_f32_e32 v172, v136, v159
	v_add_f32_e32 v131, v131, v143
	v_mul_f32_e32 v143, v135, v157
	v_mul_f32_e32 v157, v137, v159
	v_fma_f32 v159, v132, v189, -v145
	ds_read_b128 v[6:9], v1 offset:816
	ds_read_b128 v[138:141], v1 offset:832
	v_add_f32_e32 v173, v131, v144
	v_fma_f32 v161, v134, v161, -v143
	v_add_f32_e32 v134, v130, v142
	ds_read_b128 v[130:133], v1 offset:848
	ds_read_b128 v[142:145], v1 offset:864
	v_add_f32_e32 v158, v134, v158
	s_waitcnt vmcnt(25)
	v_fmac_f32_e32 v172, v137, v167
	v_fma_f32 v157, v136, v167, -v157
	v_add_f32_e32 v167, v173, v168
	ds_read_b128 v[134:137], v1 offset:880
	v_add_f32_e32 v158, v158, v160
	s_waitcnt lgkmcnt(6)
	v_mul_f32_e32 v1, v2, v162
	v_mul_f32_e32 v162, v3, v162
	v_add_f32_e32 v154, v167, v154
	v_add_f32_e32 v158, v158, v165
	v_fmac_f32_e32 v1, v3, v166
	s_waitcnt vmcnt(24)
	v_mul_f32_e32 v168, v5, v170
	v_add_f32_e32 v154, v154, v155
	v_fma_f32 v2, v2, v166, -v162
	v_add_f32_e32 v148, v158, v148
	v_mul_f32_e32 v160, v4, v170
	v_fma_f32 v4, v4, v164, -v168
	v_add_f32_e32 v154, v154, v159
	s_waitcnt vmcnt(23) lgkmcnt(5)
	v_mul_f32_e32 v167, v126, v171
	v_add_f32_e32 v148, v148, v169
	v_fmac_f32_e32 v160, v5, v164
	s_waitcnt vmcnt(22)
	v_mul_f32_e32 v5, v129, v176
	v_add_f32_e32 v154, v154, v161
	v_mul_f32_e32 v165, v128, v176
	v_add_f32_e32 v148, v148, v156
	v_fmac_f32_e32 v167, v127, v163
	s_waitcnt vmcnt(21) lgkmcnt(4)
	v_mul_f32_e32 v170, v6, v177
	v_add_f32_e32 v154, v154, v157
	v_mul_f32_e32 v157, v127, v171
	v_add_f32_e32 v148, v148, v172
	s_waitcnt vmcnt(20)
	v_mul_f32_e32 v155, v8, v192
	s_waitcnt vmcnt(19) lgkmcnt(3)
	v_mul_f32_e32 v158, v138, v186
	v_add_f32_e32 v2, v154, v2
	v_fma_f32 v126, v126, v163, -v157
	v_add_f32_e32 v1, v148, v1
	s_waitcnt vmcnt(10)
	v_fmac_f32_e32 v155, v9, v12
	s_waitcnt vmcnt(9)
	v_fmac_f32_e32 v170, v7, v146
	v_add_f32_e32 v2, v2, v4
	v_mul_f32_e32 v4, v7, v177
	v_add_f32_e32 v1, v1, v160
	s_waitcnt vmcnt(8)
	v_fma_f32 v5, v128, v147, -v5
	v_fmac_f32_e32 v165, v129, v147
	v_add_f32_e32 v2, v2, v126
	v_mul_f32_e32 v126, v9, v192
	v_add_f32_e32 v1, v1, v167
	v_fma_f32 v4, v6, v146, -v4
	v_mul_f32_e32 v173, v140, v193
	v_add_f32_e32 v2, v2, v5
	v_mul_f32_e32 v5, v139, v186
	v_add_f32_e32 v1, v1, v165
	v_fma_f32 v6, v8, v12, -v126
	v_fmac_f32_e32 v158, v139, v11
	v_add_f32_e32 v2, v2, v4
	v_mul_f32_e32 v4, v141, v193
	v_add_f32_e32 v1, v1, v170
	v_fma_f32 v5, v138, v11, -v5
	s_waitcnt lgkmcnt(2)
	v_mul_f32_e32 v159, v130, v194
	v_add_f32_e32 v2, v2, v6
	v_mul_f32_e32 v6, v131, v194
	v_add_f32_e32 v1, v1, v155
	s_waitcnt vmcnt(4)
	v_fma_f32 v4, v140, v197, -v4
	v_fmac_f32_e32 v173, v141, v197
	v_add_f32_e32 v2, v2, v5
	v_mul_f32_e32 v5, v133, v195
	v_add_f32_e32 v1, v1, v158
	v_fma_f32 v6, v130, v153, -v6
	v_mul_f32_e32 v169, v132, v195
	v_add_f32_e32 v2, v2, v4
	v_fmac_f32_e32 v159, v131, v153
	v_add_f32_e32 v1, v1, v173
	s_waitcnt lgkmcnt(1)
	v_mul_f32_e32 v4, v143, v196
	v_fma_f32 v5, v132, v151, -v5
	v_add_f32_e32 v2, v2, v6
	v_mul_f32_e32 v174, v142, v196
	v_fmac_f32_e32 v169, v133, v151
	v_add_f32_e32 v1, v1, v159
	v_mul_f32_e32 v6, v145, v187
	v_fma_f32 v4, v142, v149, -v4
	v_add_f32_e32 v2, v2, v5
	v_mul_f32_e32 v161, v144, v187
	v_fmac_f32_e32 v174, v143, v149
	v_add_f32_e32 v1, v1, v169
	s_waitcnt lgkmcnt(0)
	v_mul_f32_e32 v5, v135, v10
	s_waitcnt vmcnt(1)
	v_fma_f32 v6, v144, v199, -v6
	v_add_f32_e32 v2, v2, v4
	v_mul_f32_e32 v156, v134, v10
	v_fmac_f32_e32 v161, v145, v199
	v_add_f32_e32 v1, v1, v174
	v_mul_f32_e32 v4, v137, v188
	v_fma_f32 v5, v134, v198, -v5
	v_add_f32_e32 v2, v2, v6
	v_mul_f32_e32 v3, v136, v188
	v_fmac_f32_e32 v156, v135, v198
	v_add_f32_e32 v1, v1, v161
	v_fma_f32 v4, v136, v150, -v4
	v_add_f32_e32 v2, v2, v5
	v_fmac_f32_e32 v3, v137, v150
	v_add_f32_e32 v1, v1, v156
	v_add_f32_e32 v2, v2, v4
	;; [unrolled: 1-line block ×3, first 2 shown]
	s_waitcnt vmcnt(0)
	v_sub_f32_e32 v2, v152, v2
	v_sub_f32_e32 v1, v185, v1
	buffer_store_dword v2, off, s[0:3], 0 offset:104
	buffer_store_dword v1, off, s[0:3], 0 offset:108
	v_cmpx_lt_u32_e32 12, v0
	s_cbranch_execz .LBB55_325
; %bb.324:
	s_clause 0x1
	buffer_load_dword v1, off, s[0:3], 0 offset:96
	buffer_load_dword v2, off, s[0:3], 0 offset:100
	v_mov_b32_e32 v3, 0
	buffer_store_dword v3, off, s[0:3], 0 offset:96
	buffer_store_dword v3, off, s[0:3], 0 offset:100
	s_waitcnt vmcnt(0)
	ds_write_b64 v125, v[1:2]
.LBB55_325:
	s_or_b32 exec_lo, exec_lo, s4
	s_waitcnt lgkmcnt(0)
	s_waitcnt_vscnt null, 0x0
	s_barrier
	buffer_gl0_inv
	s_clause 0x25
	buffer_load_dword v2, off, s[0:3], 0 offset:108
	buffer_load_dword v1, off, s[0:3], 0 offset:116
	;; [unrolled: 1-line block ×38, first 2 shown]
	v_mov_b32_e32 v126, 0
	ds_read2_b64 v[8:11], v126 offset0:69 offset1:70
	ds_read2_b64 v[127:130], v126 offset0:71 offset1:72
	s_clause 0x7
	buffer_load_dword v173, off, s[0:3], 0 offset:260
	buffer_load_dword v174, off, s[0:3], 0 offset:268
	;; [unrolled: 1-line block ×8, first 2 shown]
	ds_read2_b64 v[131:134], v126 offset0:73 offset1:74
	s_clause 0x9
	buffer_load_dword v7, off, s[0:3], 0 offset:292
	buffer_load_dword v3, off, s[0:3], 0 offset:300
	;; [unrolled: 1-line block ×10, first 2 shown]
	ds_read2_b64 v[135:138], v126 offset0:75 offset1:76
	s_mov_b32 s4, exec_lo
	s_waitcnt vmcnt(55) lgkmcnt(3)
	v_mul_f32_e32 v187, v9, v2
	v_mul_f32_e32 v2, v8, v2
	s_waitcnt vmcnt(54)
	v_mul_f32_e32 v188, v10, v1
	v_mul_f32_e32 v1, v11, v1
	s_waitcnt vmcnt(51)
	v_fma_f32 v187, v8, v140, -v187
	v_fmac_f32_e32 v2, v9, v140
	v_fmac_f32_e32 v188, v11, v139
	v_fma_f32 v1, v10, v139, -v1
	ds_read2_b64 v[8:11], v126 offset0:77 offset1:78
	s_waitcnt vmcnt(50) lgkmcnt(3)
	v_mul_f32_e32 v140, v127, v141
	v_mul_f32_e32 v141, v128, v141
	s_waitcnt vmcnt(49)
	v_mul_f32_e32 v139, v129, v142
	v_mul_f32_e32 v142, v130, v142
	v_add_f32_e32 v2, 0, v2
	v_fmac_f32_e32 v140, v128, v12
	v_fma_f32 v12, v127, v12, -v141
	s_waitcnt vmcnt(48) lgkmcnt(2)
	v_mul_f32_e32 v141, v131, v143
	v_mul_f32_e32 v143, v132, v143
	s_waitcnt vmcnt(44)
	v_fmac_f32_e32 v139, v130, v147
	v_fma_f32 v142, v129, v147, -v142
	ds_read2_b64 v[127:130], v126 offset0:79 offset1:80
	s_waitcnt vmcnt(43)
	v_mul_f32_e32 v147, v133, v148
	v_mul_f32_e32 v148, v134, v148
	v_fmac_f32_e32 v141, v132, v146
	v_fma_f32 v143, v131, v146, -v143
	s_waitcnt vmcnt(42) lgkmcnt(2)
	v_mul_f32_e32 v146, v135, v149
	v_mul_f32_e32 v149, v136, v149
	v_fmac_f32_e32 v147, v134, v145
	v_fma_f32 v145, v133, v145, -v148
	ds_read2_b64 v[131:134], v126 offset0:81 offset1:82
	s_waitcnt vmcnt(41)
	v_mul_f32_e32 v148, v137, v150
	v_mul_f32_e32 v150, v138, v150
	v_fmac_f32_e32 v146, v136, v144
	v_fma_f32 v144, v135, v144, -v149
	s_waitcnt vmcnt(40) lgkmcnt(2)
	v_mul_f32_e32 v149, v8, v151
	s_waitcnt vmcnt(36)
	v_fmac_f32_e32 v148, v138, v155
	v_fma_f32 v150, v137, v155, -v150
	ds_read2_b64 v[135:138], v126 offset0:83 offset1:84
	v_mul_f32_e32 v151, v9, v151
	s_waitcnt vmcnt(35)
	v_mul_f32_e32 v155, v10, v156
	v_mul_f32_e32 v156, v11, v156
	v_fmac_f32_e32 v149, v9, v154
	v_add_f32_e32 v2, v2, v188
	v_fma_f32 v151, v8, v154, -v151
	v_fmac_f32_e32 v155, v11, v153
	v_fma_f32 v153, v10, v153, -v156
	ds_read2_b64 v[8:11], v126 offset0:85 offset1:86
	s_waitcnt vmcnt(34) lgkmcnt(3)
	v_mul_f32_e32 v154, v127, v157
	v_mul_f32_e32 v157, v128, v157
	s_waitcnt vmcnt(33)
	v_mul_f32_e32 v156, v129, v158
	v_mul_f32_e32 v158, v130, v158
	v_add_f32_e32 v2, v2, v140
	v_fmac_f32_e32 v154, v128, v152
	v_fma_f32 v152, v127, v152, -v157
	s_waitcnt vmcnt(32) lgkmcnt(2)
	v_mul_f32_e32 v157, v131, v159
	v_mul_f32_e32 v127, v132, v159
	s_waitcnt vmcnt(27)
	v_mul_f32_e32 v159, v133, v164
	v_mul_f32_e32 v128, v134, v164
	v_fmac_f32_e32 v156, v130, v163
	v_fma_f32 v158, v129, v163, -v158
	s_waitcnt vmcnt(26) lgkmcnt(1)
	v_mul_f32_e32 v163, v135, v165
	v_mul_f32_e32 v129, v136, v165
	s_waitcnt vmcnt(25)
	v_mul_f32_e32 v164, v137, v166
	v_mul_f32_e32 v130, v138, v166
	v_fmac_f32_e32 v157, v132, v162
	v_fma_f32 v131, v131, v162, -v127
	v_fmac_f32_e32 v159, v134, v161
	v_fma_f32 v132, v133, v161, -v128
	s_clause 0x6
	buffer_load_dword v161, off, s[0:3], 0 offset:332
	buffer_load_dword v162, off, s[0:3], 0 offset:344
	;; [unrolled: 1-line block ×7, first 2 shown]
	v_add_f32_e32 v134, 0, v187
	v_fmac_f32_e32 v163, v136, v160
	v_fma_f32 v135, v135, v160, -v129
	s_waitcnt vmcnt(27) lgkmcnt(0)
	v_mul_f32_e32 v160, v8, v170
	v_mul_f32_e32 v133, v9, v170
	v_add_f32_e32 v1, v134, v1
	v_fmac_f32_e32 v164, v138, v169
	v_fma_f32 v136, v137, v169, -v130
	buffer_load_dword v169, off, s[0:3], 0 offset:356
	s_waitcnt vmcnt(27)
	v_mul_f32_e32 v170, v10, v171
	v_fmac_f32_e32 v160, v9, v168
	v_fma_f32 v168, v8, v168, -v133
	v_mul_f32_e32 v8, v11, v171
	v_add_f32_e32 v1, v1, v12
	ds_read2_b64 v[127:130], v126 offset0:87 offset1:88
	s_clause 0x2
	buffer_load_dword v187, off, s[0:3], 0 offset:364
	buffer_load_dword v192, off, s[0:3], 0 offset:372
	buffer_load_dword v171, off, s[0:3], 0 offset:380
	v_fmac_f32_e32 v170, v11, v167
	v_fma_f32 v12, v10, v167, -v8
	s_clause 0x1
	buffer_load_dword v167, off, s[0:3], 0 offset:388
	buffer_load_dword v188, off, s[0:3], 0 offset:396
	v_add_f32_e32 v1, v1, v142
	s_clause 0x9
	buffer_load_dword v193, off, s[0:3], 0 offset:404
	buffer_load_dword v194, off, s[0:3], 0 offset:412
	;; [unrolled: 1-line block ×10, first 2 shown]
	v_add_f32_e32 v2, v2, v139
	v_add_f32_e32 v1, v1, v143
	;; [unrolled: 1-line block ×6, first 2 shown]
	s_waitcnt vmcnt(41) lgkmcnt(0)
	v_mul_f32_e32 v139, v127, v172
	v_mul_f32_e32 v8, v128, v172
	s_waitcnt vmcnt(40)
	v_mul_f32_e32 v140, v129, v173
	v_add_f32_e32 v2, v2, v146
	v_add_f32_e32 v1, v1, v150
	s_clause 0x3
	buffer_load_dword v147, off, s[0:3], 0 offset:408
	buffer_load_dword v150, off, s[0:3], 0 offset:400
	;; [unrolled: 1-line block ×4, first 2 shown]
	v_fmac_f32_e32 v139, v128, v6
	v_fma_f32 v6, v127, v6, -v8
	v_add_f32_e32 v2, v2, v148
	v_add_f32_e32 v1, v1, v151
	v_mul_f32_e32 v127, v130, v173
	s_waitcnt vmcnt(37)
	v_fmac_f32_e32 v140, v130, v178
	v_add_f32_e32 v2, v2, v149
	v_add_f32_e32 v1, v1, v153
	s_clause 0x3
	buffer_load_dword v148, off, s[0:3], 0 offset:440
	buffer_load_dword v149, off, s[0:3], 0 offset:432
	;; [unrolled: 1-line block ×4, first 2 shown]
	ds_read2_b64 v[8:11], v126 offset0:89 offset1:90
	v_fma_f32 v141, v129, v178, -v127
	v_add_f32_e32 v2, v2, v155
	buffer_load_dword v155, off, s[0:3], 0 offset:96
	v_add_f32_e32 v1, v1, v152
	ds_read2_b64 v[127:130], v126 offset0:91 offset1:92
	v_add_f32_e32 v2, v2, v154
	v_add_f32_e32 v1, v1, v158
	;; [unrolled: 1-line block ×6, first 2 shown]
	ds_read2_b64 v[131:134], v126 offset0:93 offset1:94
	s_waitcnt lgkmcnt(2)
	v_mul_f32_e32 v143, v8, v174
	v_add_f32_e32 v2, v2, v159
	v_mul_f32_e32 v145, v10, v175
	v_add_f32_e32 v1, v1, v135
	v_mul_f32_e32 v135, v9, v174
	v_fmac_f32_e32 v143, v9, v177
	v_add_f32_e32 v2, v2, v163
	s_waitcnt lgkmcnt(1)
	v_mul_f32_e32 v9, v128, v176
	v_add_f32_e32 v1, v1, v136
	v_fma_f32 v144, v8, v177, -v135
	v_mul_f32_e32 v8, v11, v175
	v_add_f32_e32 v2, v2, v164
	ds_read2_b64 v[135:138], v126 offset0:95 offset1:96
	v_add_f32_e32 v1, v1, v168
	v_mul_f32_e32 v152, v127, v176
	v_fma_f32 v146, v10, v5, -v8
	v_add_f32_e32 v2, v2, v160
	v_fmac_f32_e32 v145, v11, v5
	v_add_f32_e32 v1, v1, v12
	s_waitcnt vmcnt(41)
	v_mul_f32_e32 v142, v130, v7
	v_fma_f32 v156, v127, v4, -v9
	v_add_f32_e32 v2, v2, v170
	v_mul_f32_e32 v12, v129, v7
	v_add_f32_e32 v1, v1, v6
	v_fmac_f32_e32 v152, v128, v4
	s_waitcnt vmcnt(40) lgkmcnt(1)
	v_mul_f32_e32 v154, v131, v3
	v_add_f32_e32 v2, v2, v139
	v_mul_f32_e32 v3, v132, v3
	v_add_f32_e32 v1, v1, v141
	s_waitcnt vmcnt(34)
	v_fma_f32 v157, v129, v184, -v142
	ds_read2_b64 v[4:7], v126 offset0:97 offset1:98
	ds_read2_b64 v[8:11], v126 offset0:99 offset1:100
	v_add_f32_e32 v2, v2, v140
	v_fmac_f32_e32 v12, v130, v184
	v_add_f32_e32 v1, v1, v144
	v_fma_f32 v3, v131, v183, -v3
	v_mul_f32_e32 v131, v134, v179
	v_add_f32_e32 v2, v2, v143
	v_fmac_f32_e32 v154, v132, v183
	v_add_f32_e32 v1, v1, v146
	v_mul_f32_e32 v158, v133, v179
	s_waitcnt lgkmcnt(2)
	v_mul_f32_e32 v132, v136, v180
	v_add_f32_e32 v2, v2, v145
	v_fma_f32 v164, v133, v182, -v131
	v_add_f32_e32 v156, v1, v156
	v_mul_f32_e32 v159, v135, v180
	v_fmac_f32_e32 v158, v134, v182
	v_add_f32_e32 v152, v2, v152
	s_waitcnt vmcnt(33)
	v_mul_f32_e32 v163, v138, v185
	v_add_f32_e32 v156, v156, v157
	v_fma_f32 v168, v135, v181, -v132
	v_mul_f32_e32 v160, v137, v185
	v_add_f32_e32 v12, v152, v12
	v_fmac_f32_e32 v159, v136, v181
	v_add_f32_e32 v3, v156, v3
	ds_read2_b64 v[127:130], v126 offset0:101 offset1:102
	ds_read2_b64 v[139:142], v126 offset0:103 offset1:104
	;; [unrolled: 1-line block ×4, first 2 shown]
	v_add_f32_e32 v12, v12, v154
	v_add_f32_e32 v3, v3, v164
	;; [unrolled: 1-line block ×5, first 2 shown]
	s_waitcnt vmcnt(31) lgkmcnt(5)
	v_mul_f32_e32 v157, v4, v161
	v_mul_f32_e32 v161, v5, v161
	s_waitcnt vmcnt(27)
	v_fma_f32 v163, v137, v189, -v163
	v_fmac_f32_e32 v160, v138, v189
	s_waitcnt vmcnt(26)
	v_mul_f32_e32 v170, v7, v190
	v_fma_f32 v4, v4, v166, -v161
	v_mul_f32_e32 v152, v6, v190
	v_add_f32_e32 v3, v3, v163
	v_fmac_f32_e32 v157, v5, v166
	v_add_f32_e32 v12, v12, v160
	s_waitcnt vmcnt(25) lgkmcnt(4)
	v_mul_f32_e32 v164, v9, v191
	v_fma_f32 v6, v6, v165, -v170
	v_add_f32_e32 v3, v3, v4
	v_mul_f32_e32 v156, v8, v191
	v_fmac_f32_e32 v152, v7, v165
	v_add_f32_e32 v4, v12, v157
	s_waitcnt vmcnt(24)
	v_mul_f32_e32 v160, v11, v169
	v_fma_f32 v8, v8, v162, -v164
	v_add_f32_e32 v3, v3, v6
	v_mul_f32_e32 v154, v10, v169
	v_fmac_f32_e32 v156, v9, v162
	v_add_f32_e32 v4, v4, v152
	s_waitcnt vmcnt(23) lgkmcnt(3)
	v_mul_f32_e32 v6, v128, v187
	v_add_f32_e32 v3, v3, v8
	v_mul_f32_e32 v5, v127, v187
	s_waitcnt vmcnt(22)
	v_mul_f32_e32 v8, v130, v192
	v_add_f32_e32 v4, v4, v156
	s_waitcnt vmcnt(10)
	v_fma_f32 v6, v127, v201, -v6
	s_waitcnt vmcnt(9)
	v_fma_f32 v9, v10, v202, -v160
	v_fmac_f32_e32 v154, v11, v202
	v_mul_f32_e32 v161, v129, v192
	v_fmac_f32_e32 v5, v128, v201
	v_fma_f32 v8, v129, v200, -v8
	v_add_f32_e32 v3, v3, v9
	v_add_f32_e32 v4, v4, v154
	s_waitcnt lgkmcnt(2)
	v_mul_f32_e32 v9, v140, v171
	v_mul_f32_e32 v158, v139, v171
	v_fmac_f32_e32 v161, v130, v200
	v_add_f32_e32 v3, v3, v6
	v_add_f32_e32 v4, v4, v5
	v_mul_f32_e32 v5, v142, v167
	v_fma_f32 v6, v139, v199, -v9
	v_mul_f32_e32 v7, v141, v167
	v_add_f32_e32 v3, v3, v8
	v_fmac_f32_e32 v158, v140, v199
	v_add_f32_e32 v4, v4, v161
	s_waitcnt lgkmcnt(1)
	v_mul_f32_e32 v8, v132, v188
	s_waitcnt vmcnt(5)
	v_fma_f32 v5, v141, v204, -v5
	v_add_f32_e32 v3, v3, v6
	ds_read2_b64 v[135:138], v126 offset0:109 offset1:110
	ds_read_b64 v[1:2], v126 offset:888
	v_mul_f32_e32 v165, v131, v188
	v_fmac_f32_e32 v7, v142, v204
	v_add_f32_e32 v4, v4, v158
	v_mul_f32_e32 v6, v134, v193
	v_fma_f32 v8, v131, v203, -v8
	v_add_f32_e32 v3, v3, v5
	v_mul_f32_e32 v159, v133, v193
	v_fmac_f32_e32 v165, v132, v203
	v_add_f32_e32 v4, v4, v7
	s_waitcnt lgkmcnt(2)
	v_mul_f32_e32 v5, v144, v194
	v_fma_f32 v6, v133, v150, -v6
	v_add_f32_e32 v3, v3, v8
	v_mul_f32_e32 v166, v143, v194
	v_fmac_f32_e32 v159, v134, v150
	v_add_f32_e32 v4, v4, v165
	v_mul_f32_e32 v7, v146, v195
	v_fma_f32 v5, v143, v147, -v5
	v_add_f32_e32 v3, v3, v6
	v_mul_f32_e32 v168, v145, v195
	v_fmac_f32_e32 v166, v144, v147
	v_add_f32_e32 v4, v4, v159
	s_waitcnt lgkmcnt(1)
	v_mul_f32_e32 v6, v136, v196
	s_waitcnt vmcnt(1)
	v_fma_f32 v7, v145, v153, -v7
	v_add_f32_e32 v3, v3, v5
	v_mul_f32_e32 v163, v135, v196
	v_fmac_f32_e32 v168, v146, v153
	v_add_f32_e32 v4, v4, v166
	v_mul_f32_e32 v5, v138, v197
	v_fma_f32 v6, v135, v151, -v6
	v_add_f32_e32 v3, v3, v7
	v_mul_f32_e32 v169, v137, v197
	v_fmac_f32_e32 v163, v136, v151
	v_add_f32_e32 v4, v4, v168
	s_waitcnt lgkmcnt(0)
	v_mul_f32_e32 v12, v1, v198
	v_mul_f32_e32 v7, v2, v198
	v_fma_f32 v5, v137, v149, -v5
	v_add_f32_e32 v3, v3, v6
	v_fmac_f32_e32 v169, v138, v149
	v_add_f32_e32 v4, v4, v163
	v_fmac_f32_e32 v12, v2, v148
	v_fma_f32 v1, v1, v148, -v7
	v_add_f32_e32 v2, v3, v5
	v_add_f32_e32 v3, v4, v169
	;; [unrolled: 1-line block ×4, first 2 shown]
	s_waitcnt vmcnt(0)
	v_sub_f32_e32 v1, v155, v1
	v_sub_f32_e32 v2, v186, v2
	buffer_store_dword v1, off, s[0:3], 0 offset:96
	buffer_store_dword v2, off, s[0:3], 0 offset:100
	v_cmpx_lt_u32_e32 11, v0
	s_cbranch_execz .LBB55_327
; %bb.326:
	s_clause 0x1
	buffer_load_dword v1, off, s[0:3], 0 offset:88
	buffer_load_dword v2, off, s[0:3], 0 offset:92
	buffer_store_dword v126, off, s[0:3], 0 offset:88
	buffer_store_dword v126, off, s[0:3], 0 offset:92
	s_waitcnt vmcnt(0)
	ds_write_b64 v125, v[1:2]
.LBB55_327:
	s_or_b32 exec_lo, exec_lo, s4
	s_waitcnt lgkmcnt(0)
	s_waitcnt_vscnt null, 0x0
	s_barrier
	buffer_gl0_inv
	s_clause 0x2b
	buffer_load_dword v149, off, s[0:3], 0 offset:100
	buffer_load_dword v150, off, s[0:3], 0 offset:108
	;; [unrolled: 1-line block ×44, first 2 shown]
	ds_read_b128 v[9:12], v126 offset:544
	s_clause 0x1
	buffer_load_dword v175, off, s[0:3], 0 offset:268
	buffer_load_dword v169, off, s[0:3], 0 offset:276
	ds_read_b128 v[5:8], v126 offset:560
	ds_read_b128 v[1:4], v126 offset:576
	s_clause 0x7
	buffer_load_dword v170, off, s[0:3], 0 offset:284
	buffer_load_dword v159, off, s[0:3], 0 offset:292
	;; [unrolled: 1-line block ×8, first 2 shown]
	ds_read_b128 v[176:179], v126 offset:592
	buffer_load_dword v187, off, s[0:3], 0 offset:92
	s_mov_b32 s4, exec_lo
	s_waitcnt vmcnt(54) lgkmcnt(3)
	v_mul_f32_e32 v185, v9, v149
	s_waitcnt vmcnt(53)
	v_mul_f32_e32 v186, v11, v150
	v_mul_f32_e32 v149, v10, v149
	;; [unrolled: 1-line block ×3, first 2 shown]
	s_waitcnt vmcnt(50)
	v_fmac_f32_e32 v185, v10, v133
	v_fmac_f32_e32 v186, v12, v132
	v_fma_f32 v133, v9, v133, -v149
	v_fma_f32 v132, v11, v132, -v150
	ds_read_b128 v[9:12], v126 offset:608
	s_waitcnt vmcnt(49) lgkmcnt(3)
	v_mul_f32_e32 v149, v5, v130
	v_mul_f32_e32 v130, v6, v130
	s_waitcnt vmcnt(48)
	v_mul_f32_e32 v150, v7, v129
	v_mul_f32_e32 v129, v8, v129
	s_waitcnt vmcnt(47) lgkmcnt(2)
	v_mul_f32_e32 v188, v1, v128
	v_fmac_f32_e32 v149, v6, v127
	v_fma_f32 v189, v5, v127, -v130
	s_waitcnt vmcnt(46)
	v_mul_f32_e32 v190, v3, v131
	v_mul_f32_e32 v127, v2, v128
	;; [unrolled: 1-line block ×3, first 2 shown]
	s_waitcnt vmcnt(42)
	v_fmac_f32_e32 v150, v8, v139
	v_fma_f32 v131, v7, v139, -v129
	ds_read_b128 v[5:8], v126 offset:624
	v_fmac_f32_e32 v188, v2, v138
	v_fmac_f32_e32 v190, v4, v136
	v_fma_f32 v138, v1, v138, -v127
	v_fma_f32 v136, v3, v136, -v128
	ds_read_b128 v[1:4], v126 offset:640
	s_waitcnt vmcnt(41) lgkmcnt(3)
	v_mul_f32_e32 v139, v176, v137
	v_mul_f32_e32 v127, v177, v137
	s_waitcnt vmcnt(40)
	v_mul_f32_e32 v137, v178, v135
	v_mul_f32_e32 v128, v179, v135
	s_waitcnt vmcnt(39) lgkmcnt(2)
	v_mul_f32_e32 v135, v9, v140
	v_fmac_f32_e32 v139, v177, v134
	v_fma_f32 v134, v176, v134, -v127
	s_waitcnt vmcnt(34)
	v_fmac_f32_e32 v137, v179, v147
	v_fma_f32 v147, v178, v147, -v128
	ds_read_b128 v[127:130], v126 offset:656
	v_mul_f32_e32 v176, v11, v141
	v_mul_f32_e32 v141, v12, v141
	;; [unrolled: 1-line block ×3, first 2 shown]
	v_fmac_f32_e32 v135, v10, v146
	s_waitcnt vmcnt(32) lgkmcnt(2)
	v_mul_f32_e32 v177, v7, v143
	v_fmac_f32_e32 v176, v12, v144
	v_fma_f32 v141, v11, v144, -v141
	v_mul_f32_e32 v144, v5, v145
	v_mul_f32_e32 v145, v6, v145
	;; [unrolled: 1-line block ×3, first 2 shown]
	v_fma_f32 v140, v9, v146, -v140
	ds_read_b128 v[9:12], v126 offset:672
	v_fmac_f32_e32 v144, v6, v142
	v_fma_f32 v142, v5, v142, -v145
	s_waitcnt vmcnt(31) lgkmcnt(2)
	v_mul_f32_e32 v145, v1, v148
	v_mul_f32_e32 v5, v2, v148
	buffer_load_dword v146, off, s[0:3], 0 offset:316
	s_waitcnt vmcnt(28)
	v_fmac_f32_e32 v177, v8, v163
	v_fma_f32 v143, v7, v163, -v143
	s_clause 0x3
	buffer_load_dword v148, off, s[0:3], 0 offset:336
	buffer_load_dword v163, off, s[0:3], 0 offset:328
	;; [unrolled: 1-line block ×4, first 2 shown]
	s_waitcnt vmcnt(31)
	v_mul_f32_e32 v191, v3, v162
	v_mul_f32_e32 v6, v4, v162
	v_fmac_f32_e32 v145, v2, v157
	v_fma_f32 v157, v1, v157, -v5
	s_waitcnt vmcnt(30) lgkmcnt(1)
	v_mul_f32_e32 v162, v127, v154
	s_waitcnt vmcnt(29)
	v_mul_f32_e32 v192, v129, v155
	v_mul_f32_e32 v1, v128, v154
	v_mul_f32_e32 v2, v130, v155
	s_clause 0x2
	buffer_load_dword v154, off, s[0:3], 0 offset:324
	buffer_load_dword v155, off, s[0:3], 0 offset:332
	;; [unrolled: 1-line block ×3, first 2 shown]
	v_fmac_f32_e32 v191, v4, v153
	v_fma_f32 v153, v3, v153, -v6
	v_fmac_f32_e32 v162, v128, v151
	v_fma_f32 v127, v127, v151, -v1
	s_waitcnt vmcnt(28)
	v_fma_f32 v128, v129, v174, -v2
	ds_read_b128 v[1:4], v126 offset:688
	s_waitcnt vmcnt(27) lgkmcnt(1)
	v_mul_f32_e32 v5, v10, v172
	v_add_f32_e32 v6, 0, v185
	v_fmac_f32_e32 v192, v130, v174
	v_add_f32_e32 v7, 0, v133
	v_mul_f32_e32 v129, v9, v172
	v_fma_f32 v130, v9, v168, -v5
	v_add_f32_e32 v5, v6, v186
	s_waitcnt vmcnt(26)
	v_mul_f32_e32 v151, v11, v171
	v_add_f32_e32 v6, v7, v132
	v_mul_f32_e32 v8, v12, v171
	v_fmac_f32_e32 v129, v10, v168
	v_add_f32_e32 v5, v5, v149
	s_clause 0x3
	buffer_load_dword v168, off, s[0:3], 0 offset:348
	buffer_load_dword v171, off, s[0:3], 0 offset:356
	;; [unrolled: 1-line block ×4, first 2 shown]
	v_add_f32_e32 v6, v6, v189
	v_fmac_f32_e32 v151, v12, v166
	v_fma_f32 v132, v11, v166, -v8
	v_add_f32_e32 v5, v5, v150
	s_clause 0x3
	buffer_load_dword v149, off, s[0:3], 0 offset:380
	buffer_load_dword v166, off, s[0:3], 0 offset:388
	;; [unrolled: 1-line block ×4, first 2 shown]
	v_add_f32_e32 v6, v6, v131
	s_waitcnt vmcnt(33) lgkmcnt(0)
	v_mul_f32_e32 v131, v1, v164
	v_mul_f32_e32 v7, v2, v164
	v_add_f32_e32 v5, v5, v188
	s_clause 0x3
	buffer_load_dword v150, off, s[0:3], 0 offset:412
	buffer_load_dword v189, off, s[0:3], 0 offset:420
	;; [unrolled: 1-line block ×4, first 2 shown]
	v_add_f32_e32 v6, v6, v138
	buffer_load_dword v164, off, s[0:3], 0 offset:444
	v_fmac_f32_e32 v131, v2, v160
	v_fma_f32 v133, v1, v160, -v7
	v_add_f32_e32 v5, v5, v190
	s_clause 0x3
	buffer_load_dword v160, off, s[0:3], 0 offset:368
	buffer_load_dword v188, off, s[0:3], 0 offset:360
	;; [unrolled: 1-line block ×4, first 2 shown]
	v_add_f32_e32 v1, v6, v136
	v_add_f32_e32 v5, v5, v139
	;; [unrolled: 1-line block ×3, first 2 shown]
	s_waitcnt vmcnt(41)
	v_mul_f32_e32 v134, v3, v158
	v_mul_f32_e32 v1, v4, v158
	v_add_f32_e32 v5, v5, v137
	v_add_f32_e32 v6, v6, v147
	s_waitcnt vmcnt(37)
	v_fmac_f32_e32 v134, v4, v173
	v_fma_f32 v136, v3, v173, -v1
	ds_read_b128 v[1:4], v126 offset:704
	s_clause 0x3
	buffer_load_dword v147, off, s[0:3], 0 offset:400
	buffer_load_dword v158, off, s[0:3], 0 offset:392
	;; [unrolled: 1-line block ×4, first 2 shown]
	v_add_f32_e32 v6, v6, v140
	v_add_f32_e32 v5, v5, v135
	;; [unrolled: 1-line block ×4, first 2 shown]
	ds_read_b128 v[5:8], v126 offset:720
	v_add_f32_e32 v9, v9, v142
	v_add_f32_e32 v10, v10, v144
	s_waitcnt vmcnt(40) lgkmcnt(1)
	v_mul_f32_e32 v135, v1, v167
	v_mul_f32_e32 v11, v2, v167
	s_waitcnt vmcnt(39)
	v_mul_f32_e32 v139, v3, v175
	v_fmac_f32_e32 v135, v2, v165
	v_fma_f32 v137, v1, v165, -v11
	v_add_f32_e32 v1, v9, v143
	s_clause 0x3
	buffer_load_dword v143, off, s[0:3], 0 offset:432
	buffer_load_dword v144, off, s[0:3], 0 offset:424
	;; [unrolled: 1-line block ×4, first 2 shown]
	v_add_f32_e32 v2, v10, v177
	v_mul_f32_e32 v9, v4, v175
	v_fmac_f32_e32 v139, v4, v161
	v_add_f32_e32 v1, v1, v157
	buffer_load_dword v157, off, s[0:3], 0 offset:440
	v_add_f32_e32 v2, v2, v145
	buffer_load_dword v145, off, s[0:3], 0 offset:88
	v_fma_f32 v140, v3, v161, -v9
	v_add_f32_e32 v1, v1, v153
	s_waitcnt vmcnt(44) lgkmcnt(0)
	v_mul_f32_e32 v141, v5, v169
	v_add_f32_e32 v10, v2, v191
	s_waitcnt vmcnt(43)
	v_mul_f32_e32 v142, v7, v170
	v_mul_f32_e32 v153, v8, v170
	v_add_f32_e32 v127, v1, v127
	ds_read_b128 v[1:4], v126 offset:736
	v_add_f32_e32 v138, v10, v162
	ds_read_b128 v[9:12], v126 offset:752
	v_fmac_f32_e32 v141, v6, v152
	v_add_f32_e32 v127, v127, v128
	v_mul_f32_e32 v128, v6, v169
	v_add_f32_e32 v138, v138, v192
	s_waitcnt vmcnt(36)
	v_fmac_f32_e32 v142, v8, v184
	v_fma_f32 v153, v7, v184, -v153
	v_add_f32_e32 v161, v127, v130
	v_fma_f32 v152, v5, v152, -v128
	v_add_f32_e32 v138, v138, v129
	ds_read_b128 v[5:8], v126 offset:768
	ds_read_b128 v[127:130], v126 offset:784
	v_add_f32_e32 v132, v161, v132
	v_add_f32_e32 v138, v138, v151
	;; [unrolled: 1-line block ×3, first 2 shown]
	s_waitcnt lgkmcnt(3)
	v_mul_f32_e32 v161, v1, v159
	v_add_f32_e32 v131, v138, v131
	v_mul_f32_e32 v159, v2, v159
	v_mul_f32_e32 v151, v3, v156
	v_add_f32_e32 v136, v132, v136
	v_mul_f32_e32 v156, v4, v156
	v_add_f32_e32 v170, v131, v134
	v_fma_f32 v159, v1, v183, -v159
	v_fmac_f32_e32 v161, v2, v183
	v_add_f32_e32 v176, v136, v137
	s_waitcnt lgkmcnt(2)
	v_mul_f32_e32 v138, v10, v180
	v_add_f32_e32 v170, v170, v135
	v_fma_f32 v156, v3, v182, -v156
	v_mul_f32_e32 v162, v9, v180
	v_add_f32_e32 v140, v176, v140
	v_fmac_f32_e32 v151, v4, v182
	v_add_f32_e32 v139, v170, v139
	v_fma_f32 v175, v9, v181, -v138
	v_fmac_f32_e32 v162, v10, v181
	ds_read_b128 v[1:4], v126 offset:800
	ds_read_b128 v[131:134], v126 offset:816
	v_add_f32_e32 v139, v139, v141
	s_waitcnt vmcnt(34)
	v_mul_f32_e32 v169, v11, v146
	v_mul_f32_e32 v146, v12, v146
	s_waitcnt vmcnt(30)
	v_fmac_f32_e32 v169, v12, v179
	v_fma_f32 v146, v11, v179, -v146
	ds_read_b128 v[9:12], v126 offset:832
	ds_read_b128 v[135:138], v126 offset:848
	s_waitcnt vmcnt(29) lgkmcnt(5)
	v_mul_f32_e32 v176, v5, v154
	v_mul_f32_e32 v154, v6, v154
	s_waitcnt vmcnt(28)
	v_mul_f32_e32 v170, v7, v155
	v_mul_f32_e32 v155, v8, v155
	v_fmac_f32_e32 v176, v6, v178
	v_add_f32_e32 v6, v140, v152
	v_fma_f32 v152, v5, v178, -v154
	v_fma_f32 v154, v7, v163, -v155
	v_add_f32_e32 v155, v139, v142
	v_fmac_f32_e32 v170, v8, v163
	v_add_f32_e32 v153, v6, v153
	ds_read_b128 v[5:8], v126 offset:864
	ds_read_b128 v[139:142], v126 offset:880
	s_waitcnt vmcnt(27) lgkmcnt(6)
	v_mul_f32_e32 v126, v127, v193
	v_add_f32_e32 v155, v155, v161
	v_add_f32_e32 v153, v153, v159
	v_mul_f32_e32 v159, v128, v193
	s_waitcnt vmcnt(26)
	v_mul_f32_e32 v163, v130, v168
	v_add_f32_e32 v151, v155, v151
	v_mul_f32_e32 v161, v129, v168
	v_add_f32_e32 v153, v153, v156
	v_fma_f32 v127, v127, v148, -v159
	v_fmac_f32_e32 v126, v128, v148
	v_add_f32_e32 v151, v151, v162
	s_waitcnt vmcnt(25) lgkmcnt(5)
	v_mul_f32_e32 v156, v1, v171
	v_add_f32_e32 v153, v153, v175
	s_waitcnt vmcnt(24)
	v_mul_f32_e32 v155, v3, v172
	s_waitcnt vmcnt(23) lgkmcnt(4)
	v_mul_f32_e32 v168, v131, v174
	v_add_f32_e32 v151, v151, v169
	s_waitcnt vmcnt(22)
	v_mul_f32_e32 v175, v133, v149
	v_add_f32_e32 v146, v153, v146
	s_waitcnt vmcnt(21) lgkmcnt(3)
	v_mul_f32_e32 v162, v9, v166
	s_waitcnt vmcnt(20)
	v_mul_f32_e32 v177, v11, v185
	v_add_f32_e32 v151, v151, v176
	s_waitcnt vmcnt(12)
	v_fmac_f32_e32 v155, v4, v188
	v_add_f32_e32 v146, v146, v152
	s_waitcnt vmcnt(10)
	v_fma_f32 v129, v129, v196, -v163
	v_fmac_f32_e32 v161, v130, v196
	v_add_f32_e32 v148, v151, v170
	v_mul_f32_e32 v151, v2, v171
	v_add_f32_e32 v146, v146, v154
	v_mul_f32_e32 v130, v4, v172
	v_fmac_f32_e32 v156, v2, v190
	v_add_f32_e32 v126, v148, v126
	v_fma_f32 v1, v1, v190, -v151
	v_add_f32_e32 v127, v146, v127
	v_fma_f32 v3, v3, v188, -v130
	v_mul_f32_e32 v4, v134, v149
	v_add_f32_e32 v126, v126, v161
	v_fmac_f32_e32 v168, v132, v160
	v_add_f32_e32 v2, v127, v129
	v_mul_f32_e32 v127, v132, v174
	s_waitcnt vmcnt(6)
	v_fma_f32 v4, v133, v197, -v4
	v_fmac_f32_e32 v175, v134, v197
	v_fmac_f32_e32 v162, v10, v173
	v_add_f32_e32 v1, v2, v1
	v_add_f32_e32 v2, v126, v156
	v_fma_f32 v126, v131, v160, -v127
	s_waitcnt lgkmcnt(2)
	v_mul_f32_e32 v153, v135, v186
	v_fmac_f32_e32 v177, v12, v158
	v_add_f32_e32 v1, v1, v3
	v_add_f32_e32 v2, v2, v155
	v_mul_f32_e32 v3, v10, v166
	v_mul_f32_e32 v169, v137, v150
	v_fmac_f32_e32 v153, v136, v147
	v_add_f32_e32 v1, v1, v126
	v_add_f32_e32 v2, v2, v168
	v_mul_f32_e32 v126, v12, v185
	v_fma_f32 v3, v9, v173, -v3
	s_waitcnt lgkmcnt(1)
	v_mul_f32_e32 v178, v5, v189
	v_add_f32_e32 v1, v1, v4
	v_add_f32_e32 v2, v2, v175
	v_mul_f32_e32 v4, v136, v186
	v_fma_f32 v9, v11, v158, -v126
	v_mul_f32_e32 v152, v7, v194
	v_add_f32_e32 v1, v1, v3
	v_add_f32_e32 v2, v2, v162
	v_mul_f32_e32 v3, v138, v150
	v_fma_f32 v4, v135, v147, -v4
	s_waitcnt vmcnt(2)
	v_fmac_f32_e32 v169, v138, v167
	v_add_f32_e32 v1, v1, v9
	v_add_f32_e32 v2, v2, v177
	v_mul_f32_e32 v9, v6, v189
	v_fma_f32 v3, v137, v167, -v3
	v_fmac_f32_e32 v178, v6, v165
	v_add_f32_e32 v1, v1, v4
	v_add_f32_e32 v2, v2, v153
	v_mul_f32_e32 v4, v8, v194
	v_fma_f32 v5, v5, v165, -v9
	s_waitcnt lgkmcnt(0)
	v_mul_f32_e32 v176, v139, v195
	v_add_f32_e32 v1, v1, v3
	v_add_f32_e32 v2, v2, v169
	v_mul_f32_e32 v3, v140, v195
	v_fma_f32 v4, v7, v144, -v4
	v_fmac_f32_e32 v152, v8, v144
	v_add_f32_e32 v1, v1, v5
	v_add_f32_e32 v2, v2, v178
	v_mul_f32_e32 v5, v142, v164
	v_fma_f32 v3, v139, v143, -v3
	v_mul_f32_e32 v128, v141, v164
	v_add_f32_e32 v1, v1, v4
	v_fmac_f32_e32 v176, v140, v143
	v_add_f32_e32 v2, v2, v152
	s_waitcnt vmcnt(1)
	v_fma_f32 v4, v141, v157, -v5
	v_fmac_f32_e32 v128, v142, v157
	v_add_f32_e32 v1, v1, v3
	v_add_f32_e32 v2, v2, v176
	;; [unrolled: 1-line block ×4, first 2 shown]
	s_waitcnt vmcnt(0)
	v_sub_f32_e32 v1, v145, v1
	v_sub_f32_e32 v2, v187, v2
	buffer_store_dword v1, off, s[0:3], 0 offset:88
	buffer_store_dword v2, off, s[0:3], 0 offset:92
	v_cmpx_lt_u32_e32 10, v0
	s_cbranch_execz .LBB55_329
; %bb.328:
	s_clause 0x1
	buffer_load_dword v1, off, s[0:3], 0 offset:80
	buffer_load_dword v2, off, s[0:3], 0 offset:84
	v_mov_b32_e32 v3, 0
	buffer_store_dword v3, off, s[0:3], 0 offset:80
	buffer_store_dword v3, off, s[0:3], 0 offset:84
	s_waitcnt vmcnt(0)
	ds_write_b64 v125, v[1:2]
.LBB55_329:
	s_or_b32 exec_lo, exec_lo, s4
	s_waitcnt lgkmcnt(0)
	s_waitcnt_vscnt null, 0x0
	s_barrier
	buffer_gl0_inv
	s_clause 0x2b
	buffer_load_dword v128, off, s[0:3], 0 offset:92
	buffer_load_dword v129, off, s[0:3], 0 offset:100
	;; [unrolled: 1-line block ×44, first 2 shown]
	v_mov_b32_e32 v126, 0
	ds_read2_b64 v[9:12], v126 offset0:67 offset1:68
	ds_read2_b64 v[5:8], v126 offset0:69 offset1:70
	s_clause 0x1
	buffer_load_dword v175, off, s[0:3], 0 offset:260
	buffer_load_dword v170, off, s[0:3], 0 offset:268
	ds_read2_b64 v[1:4], v126 offset0:71 offset1:72
	s_clause 0x9
	buffer_load_dword v169, off, s[0:3], 0 offset:276
	buffer_load_dword v157, off, s[0:3], 0 offset:284
	;; [unrolled: 1-line block ×10, first 2 shown]
	ds_read2_b64 v[177:180], v126 offset0:73 offset1:74
	s_mov_b32 s4, exec_lo
	s_waitcnt vmcnt(55) lgkmcnt(3)
	v_mul_f32_e32 v187, v9, v128
	v_mul_f32_e32 v128, v10, v128
	s_waitcnt vmcnt(54)
	v_mul_f32_e32 v188, v11, v129
	v_mul_f32_e32 v129, v12, v129
	s_waitcnt vmcnt(51)
	v_fmac_f32_e32 v187, v10, v134
	v_fma_f32 v134, v9, v134, -v128
	s_waitcnt vmcnt(50) lgkmcnt(2)
	v_mul_f32_e32 v189, v5, v133
	v_mul_f32_e32 v128, v6, v133
	v_fmac_f32_e32 v188, v12, v130
	v_fma_f32 v133, v11, v130, -v129
	ds_read2_b64 v[9:12], v126 offset0:75 offset1:76
	s_waitcnt vmcnt(49)
	v_mul_f32_e32 v190, v7, v131
	v_mul_f32_e32 v129, v8, v131
	v_fmac_f32_e32 v189, v6, v127
	v_fma_f32 v131, v5, v127, -v128
	s_waitcnt vmcnt(48) lgkmcnt(2)
	v_mul_f32_e32 v191, v1, v132
	v_mul_f32_e32 v127, v2, v132
	s_waitcnt vmcnt(44)
	v_fmac_f32_e32 v190, v8, v141
	v_fma_f32 v132, v7, v141, -v129
	ds_read2_b64 v[5:8], v126 offset0:77 offset1:78
	s_waitcnt vmcnt(43)
	v_mul_f32_e32 v141, v3, v140
	v_mul_f32_e32 v128, v4, v140
	v_fmac_f32_e32 v191, v2, v138
	v_fma_f32 v138, v1, v138, -v127
	s_waitcnt vmcnt(42) lgkmcnt(2)
	v_mul_f32_e32 v140, v177, v139
	v_mul_f32_e32 v127, v178, v139
	v_fmac_f32_e32 v141, v4, v136
	v_fma_f32 v136, v3, v136, -v128
	ds_read2_b64 v[1:4], v126 offset0:79 offset1:80
	s_waitcnt vmcnt(41)
	v_mul_f32_e32 v139, v179, v137
	v_mul_f32_e32 v128, v180, v137
	v_fmac_f32_e32 v140, v178, v135
	v_fma_f32 v135, v177, v135, -v127
	s_waitcnt vmcnt(40) lgkmcnt(2)
	v_mul_f32_e32 v137, v9, v142
	s_waitcnt vmcnt(36)
	v_fmac_f32_e32 v139, v180, v149
	v_fma_f32 v149, v179, v149, -v128
	ds_read2_b64 v[127:130], v126 offset0:81 offset1:82
	v_mul_f32_e32 v142, v10, v142
	s_waitcnt vmcnt(35)
	v_mul_f32_e32 v177, v11, v148
	v_mul_f32_e32 v148, v12, v148
	v_fmac_f32_e32 v137, v10, v146
	v_fma_f32 v142, v9, v146, -v142
	s_waitcnt vmcnt(34) lgkmcnt(2)
	v_mul_f32_e32 v146, v5, v147
	v_mul_f32_e32 v147, v6, v147
	v_fmac_f32_e32 v177, v12, v144
	v_fma_f32 v144, v11, v144, -v148
	s_waitcnt vmcnt(33)
	v_mul_f32_e32 v148, v7, v145
	v_mul_f32_e32 v145, v8, v145
	v_fmac_f32_e32 v146, v6, v143
	v_fma_f32 v143, v5, v143, -v147
	s_waitcnt vmcnt(32) lgkmcnt(1)
	v_mul_f32_e32 v147, v1, v150
	v_mul_f32_e32 v5, v2, v150
	ds_read2_b64 v[9:12], v126 offset0:83 offset1:84
	s_waitcnt vmcnt(28)
	v_fmac_f32_e32 v148, v8, v163
	v_fma_f32 v145, v7, v163, -v145
	s_clause 0x3
	buffer_load_dword v150, off, s[0:3], 0 offset:328
	buffer_load_dword v163, off, s[0:3], 0 offset:320
	;; [unrolled: 1-line block ×4, first 2 shown]
	s_waitcnt vmcnt(31)
	v_mul_f32_e32 v180, v3, v161
	v_mul_f32_e32 v6, v4, v161
	v_fmac_f32_e32 v147, v2, v159
	v_fma_f32 v159, v1, v159, -v5
	s_waitcnt vmcnt(30) lgkmcnt(1)
	v_mul_f32_e32 v161, v127, v155
	s_waitcnt vmcnt(29)
	v_mul_f32_e32 v192, v129, v156
	v_mul_f32_e32 v1, v128, v155
	;; [unrolled: 1-line block ×3, first 2 shown]
	s_clause 0x2
	buffer_load_dword v155, off, s[0:3], 0 offset:316
	buffer_load_dword v156, off, s[0:3], 0 offset:324
	;; [unrolled: 1-line block ×3, first 2 shown]
	v_fmac_f32_e32 v180, v4, v153
	v_fma_f32 v153, v3, v153, -v6
	v_fmac_f32_e32 v161, v128, v152
	v_fma_f32 v127, v127, v152, -v1
	s_waitcnt vmcnt(28)
	v_fma_f32 v128, v129, v174, -v2
	ds_read2_b64 v[1:4], v126 offset0:85 offset1:86
	v_add_f32_e32 v5, 0, v187
	s_waitcnt vmcnt(27) lgkmcnt(1)
	v_mul_f32_e32 v6, v10, v171
	v_add_f32_e32 v8, 0, v134
	v_fmac_f32_e32 v192, v130, v174
	v_mul_f32_e32 v129, v9, v171
	v_add_f32_e32 v5, v5, v188
	v_fma_f32 v134, v9, v168, -v6
	v_add_f32_e32 v6, v8, v133
	s_waitcnt vmcnt(26)
	v_mul_f32_e32 v130, v11, v172
	v_mul_f32_e32 v7, v12, v172
	v_add_f32_e32 v5, v5, v189
	v_fmac_f32_e32 v129, v10, v168
	v_add_f32_e32 v6, v6, v131
	v_fmac_f32_e32 v130, v12, v167
	v_fma_f32 v152, v11, v167, -v7
	v_add_f32_e32 v5, v5, v190
	s_clause 0x7
	buffer_load_dword v167, off, s[0:3], 0 offset:340
	buffer_load_dword v168, off, s[0:3], 0 offset:348
	;; [unrolled: 1-line block ×8, first 2 shown]
	v_add_f32_e32 v6, v6, v132
	s_clause 0x1
	buffer_load_dword v190, off, s[0:3], 0 offset:372
	buffer_load_dword v194, off, s[0:3], 0 offset:380
	s_waitcnt vmcnt(35) lgkmcnt(0)
	v_mul_f32_e32 v131, v1, v164
	v_mul_f32_e32 v7, v2, v164
	v_add_f32_e32 v5, v5, v191
	s_waitcnt vmcnt(34)
	v_mul_f32_e32 v133, v3, v160
	s_clause 0x1
	buffer_load_dword v164, off, s[0:3], 0 offset:388
	buffer_load_dword v191, off, s[0:3], 0 offset:396
	v_fmac_f32_e32 v131, v2, v162
	v_fma_f32 v132, v1, v162, -v7
	v_add_f32_e32 v1, v6, v138
	v_add_f32_e32 v2, v5, v141
	s_clause 0x3
	buffer_load_dword v162, off, s[0:3], 0 offset:404
	buffer_load_dword v195, off, s[0:3], 0 offset:412
	;; [unrolled: 1-line block ×4, first 2 shown]
	s_waitcnt vmcnt(36)
	v_fmac_f32_e32 v133, v4, v173
	buffer_load_dword v198, off, s[0:3], 0 offset:436
	v_add_f32_e32 v1, v1, v136
	v_add_f32_e32 v5, v2, v140
	v_mul_f32_e32 v2, v4, v160
	buffer_load_dword v160, off, s[0:3], 0 offset:444
	v_add_f32_e32 v6, v1, v135
	v_add_f32_e32 v5, v5, v139
	v_fma_f32 v135, v3, v173, -v2
	ds_read2_b64 v[1:4], v126 offset0:87 offset1:88
	v_add_f32_e32 v6, v6, v149
	v_add_f32_e32 v5, v5, v137
	s_clause 0x3
	buffer_load_dword v149, off, s[0:3], 0 offset:392
	buffer_load_dword v173, off, s[0:3], 0 offset:384
	;; [unrolled: 1-line block ×4, first 2 shown]
	v_add_f32_e32 v6, v6, v142
	v_add_f32_e32 v5, v5, v177
	;; [unrolled: 1-line block ×4, first 2 shown]
	ds_read2_b64 v[5:8], v126 offset0:89 offset1:90
	v_add_f32_e32 v9, v9, v143
	v_add_f32_e32 v10, v10, v148
	s_waitcnt vmcnt(41) lgkmcnt(1)
	v_mul_f32_e32 v136, v1, v166
	v_mul_f32_e32 v11, v2, v166
	s_waitcnt vmcnt(40)
	v_mul_f32_e32 v138, v3, v175
	v_fmac_f32_e32 v136, v2, v165
	v_fma_f32 v137, v1, v165, -v11
	v_add_f32_e32 v1, v9, v145
	v_add_f32_e32 v2, v10, v147
	s_clause 0x3
	buffer_load_dword v145, off, s[0:3], 0 offset:424
	buffer_load_dword v146, off, s[0:3], 0 offset:416
	;; [unrolled: 1-line block ×4, first 2 shown]
	v_mul_f32_e32 v9, v4, v175
	v_fmac_f32_e32 v138, v4, v158
	v_add_f32_e32 v1, v1, v159
	s_clause 0x1
	buffer_load_dword v159, off, s[0:3], 0 offset:440
	buffer_load_dword v165, off, s[0:3], 0 offset:432
	v_add_f32_e32 v2, v2, v180
	s_waitcnt vmcnt(45) lgkmcnt(0)
	v_mul_f32_e32 v140, v5, v170
	s_waitcnt vmcnt(44)
	v_mul_f32_e32 v141, v7, v169
	v_add_f32_e32 v1, v1, v153
	buffer_load_dword v153, off, s[0:3], 0 offset:80
	v_add_f32_e32 v2, v2, v161
	v_fma_f32 v139, v3, v158, -v9
	v_fmac_f32_e32 v140, v6, v151
	v_add_f32_e32 v10, v1, v127
	s_waitcnt vmcnt(38)
	v_fmac_f32_e32 v141, v8, v185
	v_add_f32_e32 v127, v2, v192
	ds_read2_b64 v[1:4], v126 offset0:91 offset1:92
	v_add_f32_e32 v128, v10, v128
	ds_read2_b64 v[9:12], v126 offset0:93 offset1:94
	v_add_f32_e32 v127, v127, v129
	v_mul_f32_e32 v129, v6, v170
	v_add_f32_e32 v128, v128, v134
	v_mul_f32_e32 v134, v8, v169
	v_add_f32_e32 v143, v127, v130
	v_fma_f32 v142, v5, v151, -v129
	v_fma_f32 v144, v7, v185, -v134
	v_add_f32_e32 v134, v128, v152
	v_add_f32_e32 v131, v143, v131
	ds_read2_b64 v[5:8], v126 offset0:95 offset1:96
	ds_read2_b64 v[127:130], v126 offset0:97 offset1:98
	v_add_f32_e32 v132, v134, v132
	v_add_f32_e32 v131, v131, v133
	s_waitcnt lgkmcnt(3)
	v_mul_f32_e32 v151, v2, v157
	v_mul_f32_e32 v143, v1, v157
	;; [unrolled: 1-line block ×3, first 2 shown]
	v_add_f32_e32 v132, v132, v135
	v_add_f32_e32 v136, v131, v136
	v_fma_f32 v151, v1, v184, -v151
	v_mul_f32_e32 v152, v3, v154
	v_fmac_f32_e32 v143, v2, v184
	v_add_f32_e32 v137, v132, v137
	v_add_f32_e32 v169, v136, v138
	s_waitcnt lgkmcnt(2)
	v_mul_f32_e32 v135, v10, v182
	v_fma_f32 v158, v3, v183, -v134
	v_mul_f32_e32 v154, v9, v182
	v_add_f32_e32 v139, v137, v139
	v_add_f32_e32 v140, v169, v140
	v_fmac_f32_e32 v152, v4, v183
	s_waitcnt vmcnt(37)
	v_mul_f32_e32 v161, v12, v186
	v_fma_f32 v166, v9, v181, -v135
	v_add_f32_e32 v139, v139, v142
	v_mul_f32_e32 v157, v11, v186
	v_fmac_f32_e32 v154, v10, v181
	ds_read2_b64 v[1:4], v126 offset0:99 offset1:100
	ds_read2_b64 v[131:134], v126 offset0:101 offset1:102
	v_add_f32_e32 v139, v139, v144
	v_add_f32_e32 v151, v139, v151
	;; [unrolled: 1-line block ×4, first 2 shown]
	s_waitcnt vmcnt(32)
	v_fma_f32 v161, v11, v179, -v161
	v_fmac_f32_e32 v157, v12, v179
	ds_read2_b64 v[9:12], v126 offset0:103 offset1:104
	ds_read2_b64 v[135:138], v126 offset0:105 offset1:106
	v_add_f32_e32 v151, v151, v161
	s_waitcnt vmcnt(31) lgkmcnt(5)
	v_mul_f32_e32 v169, v5, v155
	s_waitcnt vmcnt(30)
	v_mul_f32_e32 v170, v7, v156
	v_mul_f32_e32 v142, v6, v155
	;; [unrolled: 1-line block ×3, first 2 shown]
	s_waitcnt vmcnt(29) lgkmcnt(4)
	v_mul_f32_e32 v175, v128, v193
	v_fmac_f32_e32 v169, v6, v178
	v_add_f32_e32 v6, v140, v141
	v_fmac_f32_e32 v170, v8, v163
	v_fma_f32 v155, v7, v163, -v155
	v_fma_f32 v156, v5, v178, -v142
	v_add_f32_e32 v163, v6, v143
	ds_read2_b64 v[5:8], v126 offset0:107 offset1:108
	ds_read2_b64 v[139:142], v126 offset0:109 offset1:110
	ds_read_b64 v[143:144], v126 offset:888
	v_add_f32_e32 v151, v151, v156
	v_add_f32_e32 v152, v163, v152
	v_mul_f32_e32 v163, v127, v193
	v_fma_f32 v127, v127, v150, -v175
	s_waitcnt vmcnt(28)
	v_mul_f32_e32 v158, v129, v167
	v_mul_f32_e32 v167, v130, v167
	v_add_f32_e32 v152, v152, v154
	v_fmac_f32_e32 v163, v128, v150
	v_add_f32_e32 v151, v151, v155
	s_waitcnt vmcnt(27) lgkmcnt(6)
	v_mul_f32_e32 v154, v1, v168
	v_mul_f32_e32 v161, v2, v168
	v_add_f32_e32 v150, v152, v157
	s_waitcnt vmcnt(21)
	v_fma_f32 v129, v129, v189, -v167
	v_add_f32_e32 v127, v151, v127
	v_fmac_f32_e32 v158, v130, v189
	v_mul_f32_e32 v155, v4, v171
	v_add_f32_e32 v150, v150, v169
	v_fmac_f32_e32 v154, v2, v188
	v_fma_f32 v1, v1, v188, -v161
	v_add_f32_e32 v2, v127, v129
	v_mul_f32_e32 v166, v3, v171
	v_add_f32_e32 v150, v150, v170
	s_waitcnt lgkmcnt(5)
	v_mul_f32_e32 v129, v132, v172
	v_fma_f32 v3, v3, v187, -v155
	v_add_f32_e32 v1, v2, v1
	v_mul_f32_e32 v128, v131, v172
	v_add_f32_e32 v150, v150, v163
	v_fmac_f32_e32 v166, v4, v187
	s_waitcnt vmcnt(20)
	v_mul_f32_e32 v4, v134, v190
	v_add_f32_e32 v1, v1, v3
	v_mul_f32_e32 v152, v133, v190
	v_add_f32_e32 v127, v150, v158
	v_fmac_f32_e32 v128, v132, v174
	s_waitcnt vmcnt(19) lgkmcnt(4)
	v_mul_f32_e32 v3, v10, v194
	v_mul_f32_e32 v157, v9, v194
	s_waitcnt vmcnt(18)
	v_mul_f32_e32 v130, v11, v164
	v_add_f32_e32 v2, v127, v154
	v_fma_f32 v127, v131, v174, -v129
	s_waitcnt vmcnt(7)
	v_fma_f32 v4, v133, v200, -v4
	v_fmac_f32_e32 v152, v134, v200
	v_fma_f32 v3, v9, v199, -v3
	v_add_f32_e32 v2, v2, v166
	v_add_f32_e32 v1, v1, v127
	v_mul_f32_e32 v127, v12, v164
	v_fmac_f32_e32 v157, v10, v199
	s_waitcnt lgkmcnt(3)
	v_mul_f32_e32 v167, v135, v191
	v_add_f32_e32 v2, v2, v128
	v_add_f32_e32 v1, v1, v4
	v_mul_f32_e32 v4, v136, v191
	v_fma_f32 v9, v11, v173, -v127
	v_fmac_f32_e32 v130, v12, v173
	v_add_f32_e32 v2, v2, v152
	v_add_f32_e32 v1, v1, v3
	v_mul_f32_e32 v3, v138, v162
	v_fma_f32 v4, v135, v149, -v4
	v_mul_f32_e32 v156, v137, v162
	v_add_f32_e32 v2, v2, v157
	v_add_f32_e32 v1, v1, v9
	v_fmac_f32_e32 v167, v136, v149
	s_waitcnt lgkmcnt(2)
	v_mul_f32_e32 v9, v6, v195
	v_mul_f32_e32 v168, v5, v195
	v_add_f32_e32 v2, v2, v130
	s_waitcnt vmcnt(3)
	v_fma_f32 v3, v137, v148, -v3
	v_add_f32_e32 v1, v1, v4
	v_fmac_f32_e32 v156, v138, v148
	v_mul_f32_e32 v4, v8, v196
	v_add_f32_e32 v2, v2, v167
	v_fma_f32 v5, v5, v147, -v9
	v_add_f32_e32 v1, v1, v3
	v_mul_f32_e32 v169, v7, v196
	v_fmac_f32_e32 v168, v6, v147
	v_add_f32_e32 v2, v2, v156
	s_waitcnt lgkmcnt(1)
	v_mul_f32_e32 v3, v140, v197
	v_fma_f32 v4, v7, v146, -v4
	v_add_f32_e32 v1, v1, v5
	v_mul_f32_e32 v170, v139, v197
	v_fmac_f32_e32 v169, v8, v146
	v_add_f32_e32 v2, v2, v168
	v_mul_f32_e32 v5, v142, v198
	v_fma_f32 v3, v139, v145, -v3
	v_add_f32_e32 v1, v1, v4
	v_mul_f32_e32 v171, v141, v198
	v_fmac_f32_e32 v170, v140, v145
	v_add_f32_e32 v2, v2, v169
	s_waitcnt lgkmcnt(0)
	v_mul_f32_e32 v4, v144, v160
	s_waitcnt vmcnt(1)
	v_fma_f32 v5, v141, v165, -v5
	v_add_f32_e32 v1, v1, v3
	v_mul_f32_e32 v151, v143, v160
	v_fmac_f32_e32 v171, v142, v165
	v_add_f32_e32 v2, v2, v170
	v_fma_f32 v3, v143, v159, -v4
	v_add_f32_e32 v1, v1, v5
	v_fmac_f32_e32 v151, v144, v159
	v_add_f32_e32 v2, v2, v171
	v_add_f32_e32 v1, v1, v3
	;; [unrolled: 1-line block ×3, first 2 shown]
	s_waitcnt vmcnt(0)
	v_sub_f32_e32 v1, v153, v1
	v_sub_f32_e32 v2, v176, v2
	buffer_store_dword v1, off, s[0:3], 0 offset:80
	buffer_store_dword v2, off, s[0:3], 0 offset:84
	v_cmpx_lt_u32_e32 9, v0
	s_cbranch_execz .LBB55_331
; %bb.330:
	s_clause 0x1
	buffer_load_dword v1, off, s[0:3], 0 offset:72
	buffer_load_dword v2, off, s[0:3], 0 offset:76
	buffer_store_dword v126, off, s[0:3], 0 offset:72
	buffer_store_dword v126, off, s[0:3], 0 offset:76
	s_waitcnt vmcnt(0)
	ds_write_b64 v125, v[1:2]
.LBB55_331:
	s_or_b32 exec_lo, exec_lo, s4
	s_waitcnt lgkmcnt(0)
	s_waitcnt_vscnt null, 0x0
	s_barrier
	buffer_gl0_inv
	s_clause 0x2c
	buffer_load_dword v167, off, s[0:3], 0 offset:84
	buffer_load_dword v168, off, s[0:3], 0 offset:92
	buffer_load_dword v9, off, s[0:3], 0 offset:96
	buffer_load_dword v128, off, s[0:3], 0 offset:88
	buffer_load_dword v129, off, s[0:3], 0 offset:80
	buffer_load_dword v12, off, s[0:3], 0 offset:100
	buffer_load_dword v11, off, s[0:3], 0 offset:108
	buffer_load_dword v10, off, s[0:3], 0 offset:116
	buffer_load_dword v127, off, s[0:3], 0 offset:124
	buffer_load_dword v130, off, s[0:3], 0 offset:128
	buffer_load_dword v132, off, s[0:3], 0 offset:120
	buffer_load_dword v134, off, s[0:3], 0 offset:112
	buffer_load_dword v135, off, s[0:3], 0 offset:104
	buffer_load_dword v133, off, s[0:3], 0 offset:132
	buffer_load_dword v131, off, s[0:3], 0 offset:140
	buffer_load_dword v136, off, s[0:3], 0 offset:148
	buffer_load_dword v137, off, s[0:3], 0 offset:156
	buffer_load_dword v138, off, s[0:3], 0 offset:160
	buffer_load_dword v140, off, s[0:3], 0 offset:152
	buffer_load_dword v142, off, s[0:3], 0 offset:144
	buffer_load_dword v143, off, s[0:3], 0 offset:136
	buffer_load_dword v141, off, s[0:3], 0 offset:164
	buffer_load_dword v139, off, s[0:3], 0 offset:172
	buffer_load_dword v144, off, s[0:3], 0 offset:180
	buffer_load_dword v145, off, s[0:3], 0 offset:188
	buffer_load_dword v146, off, s[0:3], 0 offset:192
	buffer_load_dword v149, off, s[0:3], 0 offset:184
	buffer_load_dword v151, off, s[0:3], 0 offset:176
	buffer_load_dword v152, off, s[0:3], 0 offset:168
	buffer_load_dword v147, off, s[0:3], 0 offset:196
	buffer_load_dword v148, off, s[0:3], 0 offset:204
	buffer_load_dword v153, off, s[0:3], 0 offset:212
	buffer_load_dword v154, off, s[0:3], 0 offset:224
	buffer_load_dword v155, off, s[0:3], 0 offset:216
	buffer_load_dword v158, off, s[0:3], 0 offset:208
	buffer_load_dword v160, off, s[0:3], 0 offset:200
	buffer_load_dword v159, off, s[0:3], 0 offset:220
	buffer_load_dword v156, off, s[0:3], 0 offset:228
	buffer_load_dword v157, off, s[0:3], 0 offset:236
	buffer_load_dword v150, off, s[0:3], 0 offset:256
	buffer_load_dword v162, off, s[0:3], 0 offset:248
	buffer_load_dword v163, off, s[0:3], 0 offset:240
	buffer_load_dword v166, off, s[0:3], 0 offset:232
	buffer_load_dword v164, off, s[0:3], 0 offset:244
	buffer_load_dword v165, off, s[0:3], 0 offset:252
	ds_read_b128 v[5:8], v126 offset:528
	buffer_load_dword v161, off, s[0:3], 0 offset:260
	ds_read_b128 v[1:4], v126 offset:544
	ds_read_b128 v[177:180], v126 offset:560
	s_clause 0x7
	buffer_load_dword v175, off, s[0:3], 0 offset:268
	buffer_load_dword v173, off, s[0:3], 0 offset:276
	;; [unrolled: 1-line block ×8, first 2 shown]
	ds_read_b128 v[181:184], v126 offset:576
	s_mov_b32 s4, exec_lo
	s_waitcnt vmcnt(53) lgkmcnt(3)
	v_mul_f32_e32 v185, v5, v167
	s_waitcnt vmcnt(52)
	v_mul_f32_e32 v186, v7, v168
	v_mul_f32_e32 v187, v6, v167
	;; [unrolled: 1-line block ×3, first 2 shown]
	buffer_load_dword v167, off, s[0:3], 0 offset:76
	s_waitcnt vmcnt(50)
	v_fmac_f32_e32 v185, v6, v129
	v_fmac_f32_e32 v186, v8, v128
	v_fma_f32 v187, v5, v129, -v187
	v_fma_f32 v168, v7, v128, -v168
	ds_read_b128 v[5:8], v126 offset:592
	s_waitcnt vmcnt(49) lgkmcnt(3)
	v_mul_f32_e32 v188, v1, v12
	v_mul_f32_e32 v12, v2, v12
	s_waitcnt vmcnt(48)
	v_mul_f32_e32 v189, v3, v11
	v_mul_f32_e32 v11, v4, v11
	s_waitcnt vmcnt(47) lgkmcnt(2)
	v_mul_f32_e32 v190, v177, v10
	v_fmac_f32_e32 v188, v2, v9
	v_fma_f32 v191, v1, v9, -v12
	s_waitcnt vmcnt(46)
	v_mul_f32_e32 v192, v179, v127
	v_mul_f32_e32 v9, v178, v10
	;; [unrolled: 1-line block ×3, first 2 shown]
	s_waitcnt vmcnt(42)
	v_fmac_f32_e32 v189, v4, v135
	v_fma_f32 v135, v3, v135, -v11
	ds_read_b128 v[1:4], v126 offset:608
	v_fmac_f32_e32 v190, v178, v134
	v_fmac_f32_e32 v192, v180, v132
	v_fma_f32 v134, v177, v134, -v9
	v_fma_f32 v132, v179, v132, -v10
	ds_read_b128 v[9:12], v126 offset:624
	s_waitcnt vmcnt(41) lgkmcnt(3)
	v_mul_f32_e32 v177, v181, v133
	v_mul_f32_e32 v127, v182, v133
	s_waitcnt vmcnt(40)
	v_mul_f32_e32 v133, v183, v131
	v_mul_f32_e32 v128, v184, v131
	s_waitcnt vmcnt(39) lgkmcnt(2)
	v_mul_f32_e32 v131, v5, v136
	v_fmac_f32_e32 v177, v182, v130
	v_fma_f32 v178, v181, v130, -v127
	s_waitcnt vmcnt(34)
	v_fmac_f32_e32 v133, v184, v143
	v_fma_f32 v143, v183, v143, -v128
	ds_read_b128 v[127:130], v126 offset:640
	v_mul_f32_e32 v179, v7, v137
	v_mul_f32_e32 v136, v6, v136
	;; [unrolled: 1-line block ×3, first 2 shown]
	v_fmac_f32_e32 v131, v6, v142
	v_fmac_f32_e32 v179, v8, v140
	v_fma_f32 v136, v5, v142, -v136
	v_fma_f32 v137, v7, v140, -v137
	ds_read_b128 v[5:8], v126 offset:656
	s_waitcnt vmcnt(33) lgkmcnt(3)
	v_mul_f32_e32 v140, v1, v141
	v_mul_f32_e32 v141, v2, v141
	s_waitcnt vmcnt(32)
	v_mul_f32_e32 v142, v3, v139
	v_mul_f32_e32 v139, v4, v139
	s_waitcnt vmcnt(31) lgkmcnt(2)
	v_mul_f32_e32 v180, v9, v144
	v_fmac_f32_e32 v140, v2, v138
	v_fma_f32 v138, v1, v138, -v141
	s_waitcnt vmcnt(30)
	v_mul_f32_e32 v141, v11, v145
	v_mul_f32_e32 v145, v12, v145
	s_waitcnt vmcnt(26)
	v_fmac_f32_e32 v142, v4, v152
	v_fma_f32 v139, v3, v152, -v139
	ds_read_b128 v[1:4], v126 offset:672
	v_mul_f32_e32 v144, v10, v144
	v_fmac_f32_e32 v141, v12, v149
	v_fma_f32 v145, v11, v149, -v145
	s_waitcnt vmcnt(25) lgkmcnt(2)
	v_mul_f32_e32 v149, v127, v147
	v_mul_f32_e32 v147, v128, v147
	v_fmac_f32_e32 v180, v10, v151
	v_fma_f32 v144, v9, v151, -v144
	ds_read_b128 v[9:12], v126 offset:688
	v_fmac_f32_e32 v149, v128, v146
	v_fma_f32 v127, v127, v146, -v147
	s_clause 0x1
	buffer_load_dword v146, off, s[0:3], 0 offset:300
	buffer_load_dword v147, off, s[0:3], 0 offset:308
	s_waitcnt vmcnt(26)
	v_mul_f32_e32 v151, v129, v148
	v_mul_f32_e32 v148, v130, v148
	s_waitcnt vmcnt(25) lgkmcnt(2)
	v_mul_f32_e32 v152, v5, v153
	v_mul_f32_e32 v153, v6, v153
	s_waitcnt vmcnt(21)
	v_fmac_f32_e32 v151, v130, v160
	v_fma_f32 v128, v129, v160, -v148
	s_waitcnt vmcnt(20)
	v_mul_f32_e32 v129, v7, v159
	v_mul_f32_e32 v130, v8, v159
	v_fmac_f32_e32 v152, v6, v158
	v_fma_f32 v148, v5, v158, -v153
	s_clause 0x3
	buffer_load_dword v153, off, s[0:3], 0 offset:320
	buffer_load_dword v158, off, s[0:3], 0 offset:312
	;; [unrolled: 1-line block ×4, first 2 shown]
	v_fmac_f32_e32 v129, v8, v155
	v_fma_f32 v130, v7, v155, -v130
	s_waitcnt vmcnt(23) lgkmcnt(1)
	v_mul_f32_e32 v155, v1, v156
	s_waitcnt vmcnt(22)
	v_mul_f32_e32 v181, v3, v157
	v_mul_f32_e32 v5, v2, v156
	v_mul_f32_e32 v6, v4, v157
	s_clause 0x1
	buffer_load_dword v156, off, s[0:3], 0 offset:316
	buffer_load_dword v157, off, s[0:3], 0 offset:324
	s_waitcnt vmcnt(18) lgkmcnt(0)
	v_mul_f32_e32 v184, v11, v165
	v_fmac_f32_e32 v181, v4, v166
	v_fmac_f32_e32 v155, v2, v154
	v_fma_f32 v166, v3, v166, -v6
	v_mul_f32_e32 v6, v12, v165
	v_fma_f32 v154, v1, v154, -v5
	v_mul_f32_e32 v183, v9, v164
	v_mul_f32_e32 v5, v10, v164
	v_fmac_f32_e32 v184, v12, v162
	v_fma_f32 v162, v11, v162, -v6
	v_add_f32_e32 v6, 0, v187
	v_fmac_f32_e32 v183, v10, v163
	v_fma_f32 v163, v9, v163, -v5
	v_add_f32_e32 v5, 0, v185
	buffer_load_dword v182, off, s[0:3], 0 offset:332
	v_add_f32_e32 v6, v6, v168
	ds_read_b128 v[1:4], v126 offset:704
	s_clause 0x3
	buffer_load_dword v164, off, s[0:3], 0 offset:352
	buffer_load_dword v165, off, s[0:3], 0 offset:344
	;; [unrolled: 1-line block ×4, first 2 shown]
	v_add_f32_e32 v5, v5, v186
	s_clause 0x2
	buffer_load_dword v186, off, s[0:3], 0 offset:340
	buffer_load_dword v168, off, s[0:3], 0 offset:348
	;; [unrolled: 1-line block ×3, first 2 shown]
	v_add_f32_e32 v6, v6, v191
	v_add_f32_e32 v5, v5, v188
	;; [unrolled: 1-line block ×4, first 2 shown]
	s_clause 0x2
	buffer_load_dword v188, off, s[0:3], 0 offset:364
	buffer_load_dword v189, off, s[0:3], 0 offset:372
	;; [unrolled: 1-line block ×3, first 2 shown]
	v_add_f32_e32 v6, v6, v134
	v_add_f32_e32 v5, v5, v190
	s_clause 0x2
	buffer_load_dword v190, off, s[0:3], 0 offset:388
	buffer_load_dword v194, off, s[0:3], 0 offset:396
	buffer_load_dword v195, off, s[0:3], 0 offset:404
	s_waitcnt vmcnt(31) lgkmcnt(0)
	v_mul_f32_e32 v135, v1, v161
	v_add_f32_e32 v6, v6, v132
	v_add_f32_e32 v5, v5, v192
	s_clause 0x2
	buffer_load_dword v192, off, s[0:3], 0 offset:412
	buffer_load_dword v196, off, s[0:3], 0 offset:420
	;; [unrolled: 1-line block ×3, first 2 shown]
	v_mul_f32_e32 v7, v2, v161
	v_add_f32_e32 v6, v6, v178
	v_add_f32_e32 v5, v5, v177
	s_clause 0x1
	buffer_load_dword v177, off, s[0:3], 0 offset:436
	buffer_load_dword v178, off, s[0:3], 0 offset:444
	v_fmac_f32_e32 v135, v2, v150
	v_add_f32_e32 v6, v6, v143
	s_clause 0x3
	buffer_load_dword v143, off, s[0:3], 0 offset:384
	buffer_load_dword v198, off, s[0:3], 0 offset:376
	;; [unrolled: 1-line block ×4, first 2 shown]
	v_add_f32_e32 v5, v5, v133
	v_add_f32_e32 v6, v6, v136
	v_fma_f32 v136, v1, v150, -v7
	v_add_f32_e32 v5, v5, v131
	v_add_f32_e32 v6, v6, v137
	;; [unrolled: 1-line block ×3, first 2 shown]
	s_clause 0x3
	buffer_load_dword v179, off, s[0:3], 0 offset:416
	buffer_load_dword v201, off, s[0:3], 0 offset:408
	;; [unrolled: 1-line block ×4, first 2 shown]
	v_add_f32_e32 v6, v6, v138
	v_add_f32_e32 v5, v5, v140
	;; [unrolled: 1-line block ×3, first 2 shown]
	s_waitcnt vmcnt(43)
	v_mul_f32_e32 v139, v3, v175
	v_add_f32_e32 v5, v5, v142
	v_add_f32_e32 v6, v6, v144
	s_waitcnt vmcnt(36)
	v_fmac_f32_e32 v139, v4, v176
	v_add_f32_e32 v5, v5, v180
	s_clause 0x3
	buffer_load_dword v180, off, s[0:3], 0 offset:440
	buffer_load_dword v204, off, s[0:3], 0 offset:432
	;; [unrolled: 1-line block ×4, first 2 shown]
	v_add_f32_e32 v6, v6, v145
	v_add_f32_e32 v5, v5, v141
	;; [unrolled: 1-line block ×4, first 2 shown]
	ds_read_b128 v[5:8], v126 offset:720
	v_add_f32_e32 v9, v1, v128
	v_mul_f32_e32 v1, v4, v175
	v_add_f32_e32 v10, v2, v151
	v_add_f32_e32 v127, v9, v148
	v_fma_f32 v140, v3, v176, -v1
	ds_read_b128 v[1:4], v126 offset:736
	v_add_f32_e32 v128, v10, v152
	ds_read_b128 v[9:12], v126 offset:752
	v_add_f32_e32 v127, v127, v130
	v_add_f32_e32 v128, v128, v129
	;; [unrolled: 1-line block ×3, first 2 shown]
	s_waitcnt lgkmcnt(2)
	v_mul_f32_e32 v130, v6, v173
	v_mul_f32_e32 v141, v5, v173
	v_mul_f32_e32 v145, v7, v172
	v_fma_f32 v142, v5, v174, -v130
	v_add_f32_e32 v5, v128, v155
	v_fmac_f32_e32 v141, v6, v174
	v_add_f32_e32 v6, v131, v166
	ds_read_b128 v[127:130], v126 offset:768
	s_waitcnt lgkmcnt(2)
	v_mul_f32_e32 v132, v2, v171
	v_add_f32_e32 v5, v5, v181
	v_mul_f32_e32 v148, v1, v171
	v_add_f32_e32 v6, v6, v163
	v_mul_f32_e32 v131, v8, v172
	v_fma_f32 v151, v1, v169, -v132
	v_add_f32_e32 v5, v5, v183
	v_fmac_f32_e32 v148, v2, v169
	v_add_f32_e32 v1, v6, v162
	v_fma_f32 v150, v7, v170, -v131
	v_fmac_f32_e32 v145, v8, v170
	v_add_f32_e32 v2, v5, v184
	ds_read_b128 v[5:8], v126 offset:784
	ds_read_b128 v[131:134], v126 offset:800
	s_waitcnt vmcnt(38)
	v_mul_f32_e32 v149, v3, v146
	v_mul_f32_e32 v137, v4, v146
	s_waitcnt vmcnt(37) lgkmcnt(3)
	v_mul_f32_e32 v146, v9, v147
	v_mul_f32_e32 v138, v10, v147
	s_waitcnt vmcnt(34)
	v_fmac_f32_e32 v146, v10, v159
	v_add_f32_e32 v10, v1, v136
	v_fma_f32 v152, v9, v159, -v138
	v_add_f32_e32 v9, v2, v135
	s_waitcnt vmcnt(33)
	v_fma_f32 v147, v3, v160, -v137
	v_fmac_f32_e32 v149, v4, v160
	v_add_f32_e32 v10, v10, v140
	s_waitcnt vmcnt(32)
	v_mul_f32_e32 v154, v11, v156
	v_add_f32_e32 v9, v9, v139
	s_waitcnt vmcnt(31) lgkmcnt(2)
	v_mul_f32_e32 v155, v127, v157
	v_mul_f32_e32 v139, v128, v157
	v_add_f32_e32 v10, v10, v142
	v_mul_f32_e32 v140, v12, v156
	v_fmac_f32_e32 v154, v12, v158
	v_fmac_f32_e32 v155, v128, v153
	v_fma_f32 v153, v127, v153, -v139
	v_add_f32_e32 v127, v9, v141
	v_add_f32_e32 v150, v10, v150
	v_fma_f32 v158, v11, v158, -v140
	ds_read_b128 v[1:4], v126 offset:816
	ds_read_b128 v[135:138], v126 offset:832
	;; [unrolled: 1-line block ×4, first 2 shown]
	v_add_f32_e32 v145, v127, v145
	v_add_f32_e32 v150, v150, v151
	s_waitcnt vmcnt(30)
	v_mul_f32_e32 v156, v129, v182
	v_mul_f32_e32 v157, v130, v182
	v_add_f32_e32 v145, v145, v148
	v_add_f32_e32 v147, v150, v147
	s_waitcnt vmcnt(26)
	v_fmac_f32_e32 v156, v130, v193
	v_fma_f32 v130, v129, v193, -v157
	s_waitcnt vmcnt(25) lgkmcnt(5)
	v_mul_f32_e32 v151, v6, v186
	v_add_f32_e32 v145, v145, v149
	v_add_f32_e32 v147, v147, v152
	v_mul_f32_e32 v157, v5, v186
	s_waitcnt vmcnt(24)
	v_mul_f32_e32 v159, v8, v168
	v_fma_f32 v5, v5, v185, -v151
	v_add_f32_e32 v145, v145, v146
	v_add_f32_e32 v147, v147, v158
	v_mul_f32_e32 v148, v7, v168
	v_fmac_f32_e32 v157, v6, v185
	v_fma_f32 v7, v7, v165, -v159
	v_add_f32_e32 v145, v145, v154
	v_add_f32_e32 v147, v147, v153
	s_waitcnt vmcnt(23) lgkmcnt(4)
	v_mul_f32_e32 v150, v131, v187
	v_fmac_f32_e32 v148, v8, v165
	s_waitcnt vmcnt(22)
	v_mul_f32_e32 v149, v133, v188
	v_add_f32_e32 v145, v145, v155
	v_add_f32_e32 v130, v147, v130
	v_mul_f32_e32 v147, v132, v187
	v_fmac_f32_e32 v150, v132, v164
	s_waitcnt vmcnt(21) lgkmcnt(3)
	v_mul_f32_e32 v160, v1, v189
	v_add_f32_e32 v145, v145, v156
	v_add_f32_e32 v5, v130, v5
	v_mul_f32_e32 v130, v134, v188
	v_fma_f32 v131, v131, v164, -v147
	s_waitcnt vmcnt(20)
	v_mul_f32_e32 v152, v3, v191
	v_add_f32_e32 v8, v145, v157
	v_add_f32_e32 v5, v5, v7
	s_waitcnt vmcnt(8)
	v_fma_f32 v130, v133, v200, -v130
	v_fmac_f32_e32 v149, v134, v200
	v_fmac_f32_e32 v160, v2, v199
	v_add_f32_e32 v7, v8, v148
	v_mul_f32_e32 v8, v2, v189
	v_add_f32_e32 v5, v5, v131
	v_mul_f32_e32 v131, v4, v191
	s_waitcnt lgkmcnt(2)
	v_mul_f32_e32 v146, v135, v190
	v_add_f32_e32 v7, v7, v150
	v_fma_f32 v1, v1, v199, -v8
	v_add_f32_e32 v2, v5, v130
	v_fma_f32 v3, v3, v198, -v131
	v_fmac_f32_e32 v152, v4, v198
	v_add_f32_e32 v5, v7, v149
	v_mul_f32_e32 v7, v136, v190
	v_add_f32_e32 v1, v2, v1
	v_mul_f32_e32 v4, v138, v194
	v_mul_f32_e32 v161, v137, v194
	v_add_f32_e32 v2, v5, v160
	v_fma_f32 v5, v135, v143, -v7
	v_add_f32_e32 v1, v1, v3
	v_fmac_f32_e32 v146, v136, v143
	ds_read_b128 v[126:129], v126 offset:880
	v_add_f32_e32 v2, v2, v152
	s_waitcnt lgkmcnt(2)
	v_mul_f32_e32 v3, v10, v195
	s_waitcnt vmcnt(4)
	v_fma_f32 v4, v137, v203, -v4
	v_add_f32_e32 v1, v1, v5
	v_mul_f32_e32 v158, v9, v195
	v_fmac_f32_e32 v161, v138, v203
	v_add_f32_e32 v2, v2, v146
	v_mul_f32_e32 v5, v12, v192
	v_fma_f32 v3, v9, v202, -v3
	v_add_f32_e32 v1, v1, v4
	v_mul_f32_e32 v154, v11, v192
	v_fmac_f32_e32 v158, v10, v202
	v_add_f32_e32 v2, v2, v161
	s_waitcnt lgkmcnt(1)
	v_mul_f32_e32 v4, v140, v196
	v_fma_f32 v5, v11, v201, -v5
	v_add_f32_e32 v1, v1, v3
	v_mul_f32_e32 v162, v139, v196
	v_fmac_f32_e32 v154, v12, v201
	v_add_f32_e32 v2, v2, v158
	v_mul_f32_e32 v3, v142, v197
	v_fma_f32 v4, v139, v179, -v4
	v_add_f32_e32 v1, v1, v5
	v_mul_f32_e32 v153, v141, v197
	v_fmac_f32_e32 v162, v140, v179
	v_add_f32_e32 v2, v2, v154
	s_waitcnt lgkmcnt(0)
	v_mul_f32_e32 v5, v127, v177
	s_waitcnt vmcnt(1)
	v_fma_f32 v3, v141, v205, -v3
	v_add_f32_e32 v1, v1, v4
	v_mul_f32_e32 v155, v126, v177
	v_fmac_f32_e32 v153, v142, v205
	v_add_f32_e32 v2, v2, v162
	v_mul_f32_e32 v4, v129, v178
	v_fma_f32 v5, v126, v204, -v5
	v_add_f32_e32 v1, v1, v3
	v_mul_f32_e32 v6, v128, v178
	v_fmac_f32_e32 v155, v127, v204
	v_add_f32_e32 v2, v2, v153
	v_fma_f32 v3, v128, v180, -v4
	v_add_f32_e32 v1, v1, v5
	v_fmac_f32_e32 v6, v129, v180
	v_add_f32_e32 v2, v2, v155
	v_add_f32_e32 v1, v1, v3
	;; [unrolled: 1-line block ×3, first 2 shown]
	s_waitcnt vmcnt(0)
	v_sub_f32_e32 v1, v144, v1
	v_sub_f32_e32 v2, v167, v2
	buffer_store_dword v1, off, s[0:3], 0 offset:72
	buffer_store_dword v2, off, s[0:3], 0 offset:76
	v_cmpx_lt_u32_e32 8, v0
	s_cbranch_execz .LBB55_333
; %bb.332:
	s_clause 0x1
	buffer_load_dword v1, off, s[0:3], 0 offset:64
	buffer_load_dword v2, off, s[0:3], 0 offset:68
	v_mov_b32_e32 v3, 0
	buffer_store_dword v3, off, s[0:3], 0 offset:64
	buffer_store_dword v3, off, s[0:3], 0 offset:68
	s_waitcnt vmcnt(0)
	ds_write_b64 v125, v[1:2]
.LBB55_333:
	s_or_b32 exec_lo, exec_lo, s4
	s_waitcnt lgkmcnt(0)
	s_waitcnt_vscnt null, 0x0
	s_barrier
	buffer_gl0_inv
	s_clause 0x2c
	buffer_load_dword v11, off, s[0:3], 0 offset:76
	buffer_load_dword v12, off, s[0:3], 0 offset:84
	;; [unrolled: 1-line block ×45, first 2 shown]
	v_mov_b32_e32 v9, 0
	ds_read2_b64 v[5:8], v9 offset0:65 offset1:66
	ds_read2_b64 v[1:4], v9 offset0:67 offset1:68
	s_clause 0x9
	buffer_load_dword v174, off, s[0:3], 0 offset:252
	buffer_load_dword v171, off, s[0:3], 0 offset:260
	;; [unrolled: 1-line block ×10, first 2 shown]
	ds_read2_b64 v[178:181], v9 offset0:69 offset1:70
	ds_read2_b64 v[182:185], v9 offset0:71 offset1:72
	s_mov_b32 s4, exec_lo
	s_waitcnt vmcnt(54) lgkmcnt(3)
	v_mul_f32_e32 v186, v5, v11
	v_mul_f32_e32 v11, v6, v11
	s_waitcnt vmcnt(53)
	v_mul_f32_e32 v187, v7, v12
	v_mul_f32_e32 v12, v8, v12
	s_waitcnt vmcnt(52) lgkmcnt(2)
	v_mul_f32_e32 v188, v1, v126
	s_waitcnt vmcnt(49)
	v_fmac_f32_e32 v186, v6, v129
	v_fma_f32 v11, v5, v129, -v11
	s_waitcnt vmcnt(48)
	v_mul_f32_e32 v189, v3, v128
	v_mul_f32_e32 v5, v2, v126
	;; [unrolled: 1-line block ×3, first 2 shown]
	v_fmac_f32_e32 v187, v8, v127
	s_waitcnt vmcnt(43) lgkmcnt(1)
	v_mul_f32_e32 v190, v178, v136
	v_mul_f32_e32 v126, v179, v136
	v_fma_f32 v12, v7, v127, -v12
	v_fmac_f32_e32 v188, v2, v10
	v_fmac_f32_e32 v189, v4, v137
	v_fma_f32 v10, v1, v10, -v5
	v_fma_f32 v137, v3, v137, -v6
	ds_read2_b64 v[1:4], v9 offset0:73 offset1:74
	ds_read2_b64 v[5:8], v9 offset0:75 offset1:76
	s_waitcnt vmcnt(42)
	v_mul_f32_e32 v136, v180, v135
	v_mul_f32_e32 v127, v181, v135
	s_waitcnt vmcnt(41) lgkmcnt(2)
	v_mul_f32_e32 v135, v182, v133
	v_fmac_f32_e32 v190, v179, v132
	v_fma_f32 v178, v178, v132, -v126
	s_waitcnt vmcnt(40)
	v_mul_f32_e32 v179, v184, v134
	v_mul_f32_e32 v126, v183, v133
	;; [unrolled: 1-line block ×3, first 2 shown]
	v_fmac_f32_e32 v136, v181, v131
	v_fma_f32 v134, v180, v131, -v127
	v_fmac_f32_e32 v135, v183, v130
	s_waitcnt vmcnt(36)
	v_fmac_f32_e32 v179, v185, v145
	v_fma_f32 v180, v182, v130, -v126
	v_fma_f32 v145, v184, v145, -v128
	ds_read2_b64 v[126:129], v9 offset0:77 offset1:78
	ds_read2_b64 v[130:133], v9 offset0:79 offset1:80
	s_waitcnt vmcnt(35) lgkmcnt(3)
	v_mul_f32_e32 v181, v1, v143
	s_waitcnt vmcnt(34)
	v_mul_f32_e32 v182, v3, v144
	v_mul_f32_e32 v143, v2, v143
	;; [unrolled: 1-line block ×3, first 2 shown]
	s_waitcnt vmcnt(33) lgkmcnt(2)
	v_mul_f32_e32 v183, v5, v142
	v_mul_f32_e32 v142, v6, v142
	v_fmac_f32_e32 v181, v2, v140
	v_fmac_f32_e32 v182, v4, v139
	v_fma_f32 v140, v1, v140, -v143
	v_fma_f32 v139, v3, v139, -v144
	s_clause 0x1
	buffer_load_dword v143, off, s[0:3], 0 offset:292
	buffer_load_dword v144, off, s[0:3], 0 offset:300
	s_waitcnt vmcnt(34)
	v_mul_f32_e32 v184, v7, v141
	v_mul_f32_e32 v141, v8, v141
	v_fmac_f32_e32 v183, v6, v138
	v_fma_f32 v138, v5, v138, -v142
	ds_read2_b64 v[1:4], v9 offset0:81 offset1:82
	s_waitcnt vmcnt(29) lgkmcnt(2)
	v_mul_f32_e32 v142, v126, v153
	v_mul_f32_e32 v5, v127, v153
	s_waitcnt vmcnt(28)
	v_mul_f32_e32 v6, v129, v154
	v_fmac_f32_e32 v184, v8, v156
	v_fma_f32 v141, v7, v156, -v141
	v_fmac_f32_e32 v142, v127, v148
	v_fma_f32 v126, v126, v148, -v5
	v_fma_f32 v127, v128, v147, -v6
	ds_read2_b64 v[5:8], v9 offset0:83 offset1:84
	v_mul_f32_e32 v156, v128, v154
	s_waitcnt vmcnt(27) lgkmcnt(2)
	v_mul_f32_e32 v153, v130, v150
	s_waitcnt vmcnt(26)
	v_mul_f32_e32 v154, v132, v151
	v_mul_f32_e32 v150, v131, v150
	;; [unrolled: 1-line block ×3, first 2 shown]
	v_fmac_f32_e32 v156, v129, v147
	v_fmac_f32_e32 v153, v131, v146
	s_waitcnt vmcnt(22)
	v_fmac_f32_e32 v154, v133, v169
	v_fma_f32 v128, v130, v146, -v150
	v_fma_f32 v129, v132, v169, -v151
	s_clause 0x5
	buffer_load_dword v146, off, s[0:3], 0 offset:308
	buffer_load_dword v147, off, s[0:3], 0 offset:316
	;; [unrolled: 1-line block ×6, first 2 shown]
	s_waitcnt vmcnt(27) lgkmcnt(1)
	v_mul_f32_e32 v130, v1, v164
	s_waitcnt vmcnt(26)
	v_mul_f32_e32 v131, v3, v165
	v_mul_f32_e32 v132, v2, v164
	;; [unrolled: 1-line block ×3, first 2 shown]
	v_add_f32_e32 v165, 0, v186
	v_fmac_f32_e32 v130, v2, v162
	v_fmac_f32_e32 v131, v4, v158
	v_fma_f32 v132, v1, v162, -v132
	v_fma_f32 v133, v3, v158, -v133
	ds_read2_b64 v[1:4], v9 offset0:85 offset1:86
	s_waitcnt vmcnt(25) lgkmcnt(1)
	v_mul_f32_e32 v158, v5, v159
	v_mul_f32_e32 v159, v6, v159
	buffer_load_dword v164, off, s[0:3], 0 offset:324
	s_waitcnt vmcnt(25)
	v_mul_f32_e32 v162, v7, v160
	v_mul_f32_e32 v160, v8, v160
	v_fmac_f32_e32 v158, v6, v157
	v_add_f32_e32 v6, 0, v11
	v_add_f32_e32 v11, v165, v187
	v_fma_f32 v157, v5, v157, -v159
	s_waitcnt vmcnt(21)
	v_fmac_f32_e32 v162, v8, v176
	v_fma_f32 v159, v7, v176, -v160
	v_add_f32_e32 v5, v6, v12
	v_add_f32_e32 v11, v11, v188
	s_clause 0x4
	buffer_load_dword v12, off, s[0:3], 0 offset:344
	buffer_load_dword v160, off, s[0:3], 0 offset:336
	;; [unrolled: 1-line block ×5, first 2 shown]
	v_add_f32_e32 v10, v5, v10
	v_add_f32_e32 v11, v11, v189
	ds_read2_b64 v[5:8], v9 offset0:87 offset1:88
	s_waitcnt vmcnt(25) lgkmcnt(1)
	v_mul_f32_e32 v186, v1, v175
	v_mul_f32_e32 v175, v2, v175
	v_add_f32_e32 v10, v10, v137
	v_add_f32_e32 v11, v11, v190
	s_clause 0x1
	buffer_load_dword v187, off, s[0:3], 0 offset:340
	buffer_load_dword v188, off, s[0:3], 0 offset:348
	v_fmac_f32_e32 v186, v2, v172
	v_fma_f32 v137, v1, v172, -v175
	v_add_f32_e32 v1, v10, v178
	v_add_f32_e32 v2, v11, v136
	buffer_load_dword v189, off, s[0:3], 0 offset:356
	s_waitcnt vmcnt(27)
	v_mul_f32_e32 v172, v3, v170
	v_mul_f32_e32 v10, v4, v170
	v_add_f32_e32 v1, v1, v134
	v_add_f32_e32 v2, v2, v135
	s_clause 0x2
	buffer_load_dword v175, off, s[0:3], 0 offset:364
	buffer_load_dword v178, off, s[0:3], 0 offset:372
	;; [unrolled: 1-line block ×3, first 2 shown]
	v_fmac_f32_e32 v172, v4, v166
	v_fma_f32 v10, v3, v166, -v10
	v_add_f32_e32 v2, v2, v179
	s_clause 0x1
	buffer_load_dword v166, off, s[0:3], 0 offset:388
	buffer_load_dword v190, off, s[0:3], 0 offset:396
	v_add_f32_e32 v1, v1, v180
	s_clause 0x2
	buffer_load_dword v179, off, s[0:3], 0 offset:404
	buffer_load_dword v180, off, s[0:3], 0 offset:412
	;; [unrolled: 1-line block ×3, first 2 shown]
	s_waitcnt vmcnt(34) lgkmcnt(0)
	v_mul_f32_e32 v11, v5, v174
	v_add_f32_e32 v2, v2, v181
	s_clause 0x2
	buffer_load_dword v181, off, s[0:3], 0 offset:428
	buffer_load_dword v192, off, s[0:3], 0 offset:436
	buffer_load_dword v193, off, s[0:3], 0 offset:444
	v_add_f32_e32 v1, v1, v145
	v_mul_f32_e32 v3, v6, v174
	v_fmac_f32_e32 v11, v6, v149
	v_add_f32_e32 v2, v2, v182
	s_clause 0x3
	buffer_load_dword v182, off, s[0:3], 0 offset:376
	buffer_load_dword v194, off, s[0:3], 0 offset:368
	;; [unrolled: 1-line block ×4, first 2 shown]
	v_add_f32_e32 v1, v1, v140
	v_fma_f32 v134, v5, v149, -v3
	v_add_f32_e32 v2, v2, v183
	v_add_f32_e32 v1, v1, v139
	;; [unrolled: 1-line block ×3, first 2 shown]
	s_clause 0x3
	buffer_load_dword v183, off, s[0:3], 0 offset:408
	buffer_load_dword v184, off, s[0:3], 0 offset:400
	;; [unrolled: 1-line block ×4, first 2 shown]
	v_add_f32_e32 v1, v1, v138
	s_waitcnt vmcnt(44)
	v_mul_f32_e32 v138, v7, v171
	v_add_f32_e32 v2, v2, v142
	v_add_f32_e32 v1, v1, v141
	s_waitcnt vmcnt(37)
	v_fmac_f32_e32 v138, v8, v173
	v_add_f32_e32 v2, v2, v156
	s_clause 0x4
	buffer_load_dword v156, off, s[0:3], 0 offset:440
	buffer_load_dword v199, off, s[0:3], 0 offset:432
	;; [unrolled: 1-line block ×5, first 2 shown]
	v_add_f32_e32 v1, v1, v126
	v_add_f32_e32 v2, v2, v153
	;; [unrolled: 1-line block ×6, first 2 shown]
	v_mul_f32_e32 v5, v8, v171
	v_add_f32_e32 v6, v1, v129
	ds_read2_b64 v[1:4], v9 offset0:89 offset1:90
	v_add_f32_e32 v130, v126, v131
	v_fma_f32 v139, v7, v173, -v5
	v_add_f32_e32 v127, v6, v132
	ds_read2_b64 v[5:8], v9 offset0:91 offset1:92
	v_add_f32_e32 v130, v130, v158
	v_add_f32_e32 v131, v127, v133
	ds_read2_b64 v[126:129], v9 offset0:93 offset1:94
	v_add_f32_e32 v135, v130, v162
	v_add_f32_e32 v131, v131, v157
	s_waitcnt lgkmcnt(2)
	v_mul_f32_e32 v132, v2, v167
	v_mul_f32_e32 v142, v1, v167
	;; [unrolled: 1-line block ×3, first 2 shown]
	v_fma_f32 v145, v1, v168, -v132
	v_add_f32_e32 v1, v131, v159
	v_fmac_f32_e32 v142, v2, v168
	v_add_f32_e32 v2, v135, v186
	s_waitcnt lgkmcnt(1)
	v_mul_f32_e32 v153, v5, v161
	v_mul_f32_e32 v136, v6, v161
	v_add_f32_e32 v1, v1, v137
	ds_read2_b64 v[130:133], v9 offset0:95 offset1:96
	v_add_f32_e32 v2, v2, v172
	v_fmac_f32_e32 v153, v6, v152
	v_fma_f32 v152, v5, v152, -v136
	v_add_f32_e32 v1, v1, v10
	v_mul_f32_e32 v135, v4, v163
	v_add_f32_e32 v5, v2, v11
	v_fmac_f32_e32 v149, v4, v155
	v_add_f32_e32 v6, v1, v134
	v_fma_f32 v10, v3, v155, -v135
	ds_read2_b64 v[1:4], v9 offset0:97 offset1:98
	ds_read2_b64 v[134:137], v9 offset0:99 offset1:100
	s_waitcnt vmcnt(40)
	v_mul_f32_e32 v140, v8, v143
	s_waitcnt vmcnt(39) lgkmcnt(3)
	v_mul_f32_e32 v157, v126, v144
	v_mul_f32_e32 v11, v127, v144
	;; [unrolled: 1-line block ×3, first 2 shown]
	s_waitcnt vmcnt(38)
	v_mul_f32_e32 v158, v128, v146
	s_waitcnt vmcnt(34)
	v_fmac_f32_e32 v157, v127, v151
	v_fma_f32 v151, v126, v151, -v11
	v_add_f32_e32 v11, v6, v139
	v_add_f32_e32 v127, v5, v138
	s_waitcnt vmcnt(33)
	v_fma_f32 v155, v7, v169, -v140
	v_fmac_f32_e32 v154, v8, v169
	v_fmac_f32_e32 v158, v129, v150
	v_add_f32_e32 v11, v11, v145
	v_add_f32_e32 v126, v127, v142
	v_mul_f32_e32 v127, v129, v146
	s_waitcnt lgkmcnt(2)
	v_mul_f32_e32 v146, v130, v147
	v_mul_f32_e32 v142, v131, v147
	v_add_f32_e32 v10, v11, v10
	v_add_f32_e32 v126, v126, v149
	v_fma_f32 v150, v128, v150, -v127
	s_waitcnt vmcnt(32)
	v_mul_f32_e32 v147, v133, v164
	v_fmac_f32_e32 v146, v131, v148
	v_add_f32_e32 v152, v10, v152
	v_add_f32_e32 v153, v126, v153
	v_fma_f32 v148, v130, v148, -v142
	v_mul_f32_e32 v149, v132, v164
	ds_read2_b64 v[5:8], v9 offset0:101 offset1:102
	ds_read2_b64 v[138:141], v9 offset0:103 offset1:104
	v_add_f32_e32 v152, v152, v155
	v_add_f32_e32 v153, v153, v154
	s_waitcnt vmcnt(28)
	v_fma_f32 v147, v132, v176, -v147
	s_waitcnt vmcnt(27) lgkmcnt(3)
	v_mul_f32_e32 v159, v2, v185
	v_fmac_f32_e32 v149, v133, v176
	v_add_f32_e32 v151, v152, v151
	v_add_f32_e32 v153, v153, v157
	v_mul_f32_e32 v154, v1, v185
	v_fma_f32 v1, v1, v165, -v159
	ds_read2_b64 v[126:129], v9 offset0:105 offset1:106
	ds_read2_b64 v[142:145], v9 offset0:107 offset1:108
	v_add_f32_e32 v150, v151, v150
	v_add_f32_e32 v153, v153, v158
	s_waitcnt vmcnt(26)
	v_mul_f32_e32 v161, v4, v187
	v_mul_f32_e32 v155, v3, v187
	v_fmac_f32_e32 v154, v2, v165
	v_add_f32_e32 v148, v150, v148
	v_add_f32_e32 v146, v153, v146
	s_waitcnt vmcnt(25) lgkmcnt(4)
	v_mul_f32_e32 v157, v134, v188
	v_mul_f32_e32 v159, v135, v188
	v_fma_f32 v3, v3, v160, -v161
	v_add_f32_e32 v147, v148, v147
	v_add_f32_e32 v146, v146, v149
	v_fmac_f32_e32 v155, v4, v160
	s_waitcnt vmcnt(24)
	v_mul_f32_e32 v148, v137, v189
	v_fmac_f32_e32 v157, v135, v12
	v_add_f32_e32 v1, v147, v1
	v_add_f32_e32 v146, v146, v154
	v_fma_f32 v12, v134, v12, -v159
	v_mul_f32_e32 v152, v136, v189
	s_waitcnt vmcnt(23) lgkmcnt(3)
	v_mul_f32_e32 v134, v6, v175
	v_add_f32_e32 v1, v1, v3
	v_add_f32_e32 v3, v146, v155
	v_mul_f32_e32 v2, v5, v175
	s_waitcnt vmcnt(22)
	v_mul_f32_e32 v158, v7, v178
	s_waitcnt vmcnt(21) lgkmcnt(2)
	v_mul_f32_e32 v151, v138, v170
	v_add_f32_e32 v1, v1, v12
	v_add_f32_e32 v3, v3, v157
	v_mul_f32_e32 v12, v8, v178
	s_waitcnt vmcnt(9)
	v_fma_f32 v135, v136, v196, -v148
	v_fmac_f32_e32 v152, v137, v196
	v_fma_f32 v5, v5, v195, -v134
	v_fmac_f32_e32 v2, v6, v195
	v_mul_f32_e32 v6, v139, v170
	v_add_f32_e32 v1, v1, v135
	v_add_f32_e32 v3, v3, v152
	v_fma_f32 v7, v7, v194, -v12
	v_fmac_f32_e32 v158, v8, v194
	v_mul_f32_e32 v4, v140, v166
	v_add_f32_e32 v1, v1, v5
	v_add_f32_e32 v2, v3, v2
	v_mul_f32_e32 v3, v141, v166
	v_fma_f32 v5, v138, v182, -v6
	v_fmac_f32_e32 v151, v139, v182
	v_add_f32_e32 v1, v1, v7
	v_add_f32_e32 v2, v2, v158
	s_waitcnt lgkmcnt(1)
	v_mul_f32_e32 v6, v127, v190
	s_waitcnt vmcnt(5)
	v_fma_f32 v3, v140, v198, -v3
	ds_read2_b64 v[130:133], v9 offset0:109 offset1:110
	ds_read_b64 v[10:11], v9 offset:888
	v_add_f32_e32 v1, v1, v5
	v_mul_f32_e32 v160, v126, v190
	v_fmac_f32_e32 v4, v141, v198
	v_add_f32_e32 v2, v2, v151
	v_mul_f32_e32 v5, v129, v179
	v_fma_f32 v6, v126, v197, -v6
	v_add_f32_e32 v1, v1, v3
	v_mul_f32_e32 v150, v128, v179
	v_fmac_f32_e32 v160, v127, v197
	v_add_f32_e32 v2, v2, v4
	s_waitcnt lgkmcnt(2)
	v_mul_f32_e32 v3, v143, v180
	v_fma_f32 v4, v128, v184, -v5
	v_add_f32_e32 v1, v1, v6
	v_mul_f32_e32 v153, v142, v180
	v_fmac_f32_e32 v150, v129, v184
	v_add_f32_e32 v2, v2, v160
	v_mul_f32_e32 v5, v145, v191
	v_fma_f32 v3, v142, v183, -v3
	v_add_f32_e32 v1, v1, v4
	v_mul_f32_e32 v161, v144, v191
	v_fmac_f32_e32 v153, v143, v183
	v_add_f32_e32 v2, v2, v150
	s_waitcnt lgkmcnt(1)
	v_mul_f32_e32 v4, v131, v181
	s_waitcnt vmcnt(1)
	v_fma_f32 v5, v144, v201, -v5
	v_add_f32_e32 v1, v1, v3
	v_mul_f32_e32 v149, v130, v181
	v_fmac_f32_e32 v161, v145, v201
	v_add_f32_e32 v2, v2, v153
	v_mul_f32_e32 v3, v133, v192
	v_fma_f32 v4, v130, v200, -v4
	v_add_f32_e32 v1, v1, v5
	v_mul_f32_e32 v162, v132, v192
	v_fmac_f32_e32 v149, v131, v200
	v_add_f32_e32 v2, v2, v161
	s_waitcnt lgkmcnt(0)
	v_mul_f32_e32 v5, v11, v193
	v_fma_f32 v3, v132, v199, -v3
	v_add_f32_e32 v1, v1, v4
	v_mul_f32_e32 v147, v10, v193
	v_fmac_f32_e32 v162, v133, v199
	v_add_f32_e32 v2, v2, v149
	v_fma_f32 v4, v10, v156, -v5
	v_add_f32_e32 v1, v1, v3
	v_fmac_f32_e32 v147, v11, v156
	v_add_f32_e32 v2, v2, v162
	v_add_f32_e32 v1, v1, v4
	;; [unrolled: 1-line block ×3, first 2 shown]
	s_waitcnt vmcnt(0)
	v_sub_f32_e32 v1, v202, v1
	v_sub_f32_e32 v2, v177, v2
	buffer_store_dword v1, off, s[0:3], 0 offset:64
	buffer_store_dword v2, off, s[0:3], 0 offset:68
	v_cmpx_lt_u32_e32 7, v0
	s_cbranch_execz .LBB55_335
; %bb.334:
	s_clause 0x1
	buffer_load_dword v1, off, s[0:3], 0 offset:56
	buffer_load_dword v2, off, s[0:3], 0 offset:60
	buffer_store_dword v9, off, s[0:3], 0 offset:56
	buffer_store_dword v9, off, s[0:3], 0 offset:60
	s_waitcnt vmcnt(0)
	ds_write_b64 v125, v[1:2]
.LBB55_335:
	s_or_b32 exec_lo, exec_lo, s4
	s_waitcnt lgkmcnt(0)
	s_waitcnt_vscnt null, 0x0
	s_barrier
	buffer_gl0_inv
	s_clause 0x33
	buffer_load_dword v160, off, s[0:3], 0 offset:68
	buffer_load_dword v161, off, s[0:3], 0 offset:76
	buffer_load_dword v1, off, s[0:3], 0 offset:80
	buffer_load_dword v5, off, s[0:3], 0 offset:72
	buffer_load_dword v7, off, s[0:3], 0 offset:64
	buffer_load_dword v2, off, s[0:3], 0 offset:84
	buffer_load_dword v3, off, s[0:3], 0 offset:92
	buffer_load_dword v6, off, s[0:3], 0 offset:100
	buffer_load_dword v4, off, s[0:3], 0 offset:108
	buffer_load_dword v8, off, s[0:3], 0 offset:112
	buffer_load_dword v11, off, s[0:3], 0 offset:104
	buffer_load_dword v126, off, s[0:3], 0 offset:96
	buffer_load_dword v127, off, s[0:3], 0 offset:88
	buffer_load_dword v12, off, s[0:3], 0 offset:116
	buffer_load_dword v10, off, s[0:3], 0 offset:124
	buffer_load_dword v128, off, s[0:3], 0 offset:132
	buffer_load_dword v129, off, s[0:3], 0 offset:140
	buffer_load_dword v130, off, s[0:3], 0 offset:144
	buffer_load_dword v132, off, s[0:3], 0 offset:136
	buffer_load_dword v134, off, s[0:3], 0 offset:128
	buffer_load_dword v135, off, s[0:3], 0 offset:120
	buffer_load_dword v133, off, s[0:3], 0 offset:148
	buffer_load_dword v131, off, s[0:3], 0 offset:156
	buffer_load_dword v136, off, s[0:3], 0 offset:164
	buffer_load_dword v137, off, s[0:3], 0 offset:172
	buffer_load_dword v138, off, s[0:3], 0 offset:176
	buffer_load_dword v140, off, s[0:3], 0 offset:168
	buffer_load_dword v142, off, s[0:3], 0 offset:160
	buffer_load_dword v143, off, s[0:3], 0 offset:152
	buffer_load_dword v141, off, s[0:3], 0 offset:180
	buffer_load_dword v139, off, s[0:3], 0 offset:188
	buffer_load_dword v144, off, s[0:3], 0 offset:196
	buffer_load_dword v145, off, s[0:3], 0 offset:204
	buffer_load_dword v146, off, s[0:3], 0 offset:208
	buffer_load_dword v147, off, s[0:3], 0 offset:200
	buffer_load_dword v151, off, s[0:3], 0 offset:192
	buffer_load_dword v152, off, s[0:3], 0 offset:184
	buffer_load_dword v148, off, s[0:3], 0 offset:212
	buffer_load_dword v149, off, s[0:3], 0 offset:220
	buffer_load_dword v150, off, s[0:3], 0 offset:240
	buffer_load_dword v155, off, s[0:3], 0 offset:232
	buffer_load_dword v156, off, s[0:3], 0 offset:224
	buffer_load_dword v159, off, s[0:3], 0 offset:216
	buffer_load_dword v157, off, s[0:3], 0 offset:228
	buffer_load_dword v158, off, s[0:3], 0 offset:236
	buffer_load_dword v154, off, s[0:3], 0 offset:244
	buffer_load_dword v153, off, s[0:3], 0 offset:252
	buffer_load_dword v162, off, s[0:3], 0 offset:272
	buffer_load_dword v163, off, s[0:3], 0 offset:276
	buffer_load_dword v164, off, s[0:3], 0 offset:264
	buffer_load_dword v165, off, s[0:3], 0 offset:256
	buffer_load_dword v168, off, s[0:3], 0 offset:248
	ds_read_b128 v[169:172], v9 offset:512
	ds_read_b128 v[173:176], v9 offset:528
	;; [unrolled: 1-line block ×3, first 2 shown]
	s_clause 0x1
	buffer_load_dword v166, off, s[0:3], 0 offset:260
	buffer_load_dword v167, off, s[0:3], 0 offset:268
	ds_read_b128 v[181:184], v9 offset:560
	s_mov_b32 s4, exec_lo
	s_waitcnt vmcnt(53) lgkmcnt(3)
	v_mul_f32_e32 v185, v169, v160
	v_mul_f32_e32 v186, v170, v160
	s_waitcnt vmcnt(52)
	v_mul_f32_e32 v187, v171, v161
	v_mul_f32_e32 v161, v172, v161
	buffer_load_dword v160, off, s[0:3], 0 offset:60
	s_waitcnt vmcnt(50)
	v_fmac_f32_e32 v185, v170, v7
	v_fma_f32 v186, v169, v7, -v186
	v_fmac_f32_e32 v187, v172, v5
	v_fma_f32 v161, v171, v5, -v161
	ds_read_b128 v[169:172], v9 offset:576
	s_waitcnt vmcnt(49) lgkmcnt(3)
	v_mul_f32_e32 v188, v173, v2
	s_waitcnt vmcnt(48)
	v_mul_f32_e32 v189, v175, v3
	v_mul_f32_e32 v2, v174, v2
	;; [unrolled: 1-line block ×3, first 2 shown]
	s_waitcnt vmcnt(47) lgkmcnt(2)
	v_mul_f32_e32 v190, v177, v6
	v_mul_f32_e32 v5, v178, v6
	v_fmac_f32_e32 v188, v174, v1
	v_fma_f32 v191, v173, v1, -v2
	s_waitcnt vmcnt(46)
	v_mul_f32_e32 v192, v179, v4
	v_mul_f32_e32 v6, v180, v4
	s_waitcnt vmcnt(42)
	v_fma_f32 v193, v175, v127, -v3
	ds_read_b128 v[1:4], v9 offset:592
	v_fmac_f32_e32 v189, v176, v127
	v_fmac_f32_e32 v190, v178, v126
	v_fma_f32 v177, v177, v126, -v5
	v_fmac_f32_e32 v192, v180, v11
	v_fma_f32 v11, v179, v11, -v6
	ds_read_b128 v[173:176], v9 offset:608
	s_waitcnt vmcnt(41) lgkmcnt(3)
	v_mul_f32_e32 v178, v181, v12
	v_mul_f32_e32 v5, v182, v12
	s_waitcnt vmcnt(40)
	v_mul_f32_e32 v12, v183, v10
	v_mul_f32_e32 v6, v184, v10
	s_waitcnt vmcnt(39) lgkmcnt(2)
	v_mul_f32_e32 v10, v169, v128
	v_fmac_f32_e32 v178, v182, v8
	v_fma_f32 v179, v181, v8, -v5
	v_mul_f32_e32 v126, v170, v128
	s_waitcnt vmcnt(38)
	v_mul_f32_e32 v127, v172, v129
	s_waitcnt vmcnt(34)
	v_fmac_f32_e32 v12, v184, v135
	v_fma_f32 v135, v183, v135, -v6
	ds_read_b128 v[5:8], v9 offset:624
	v_mul_f32_e32 v180, v171, v129
	v_fmac_f32_e32 v10, v170, v134
	v_fma_f32 v134, v169, v134, -v126
	v_fma_f32 v169, v171, v132, -v127
	ds_read_b128 v[126:129], v9 offset:640
	v_fmac_f32_e32 v180, v172, v132
	s_waitcnt vmcnt(33) lgkmcnt(3)
	v_mul_f32_e32 v170, v1, v133
	v_mul_f32_e32 v132, v2, v133
	s_waitcnt vmcnt(32)
	v_mul_f32_e32 v171, v3, v131
	v_mul_f32_e32 v131, v4, v131
	s_waitcnt vmcnt(31) lgkmcnt(2)
	v_mul_f32_e32 v172, v173, v136
	v_fmac_f32_e32 v170, v2, v130
	v_fma_f32 v181, v1, v130, -v132
	v_mul_f32_e32 v130, v174, v136
	s_waitcnt vmcnt(30)
	v_mul_f32_e32 v182, v175, v137
	v_mul_f32_e32 v132, v176, v137
	s_waitcnt vmcnt(26)
	v_fmac_f32_e32 v171, v4, v143
	v_fma_f32 v136, v3, v143, -v131
	ds_read_b128 v[1:4], v9 offset:656
	v_fmac_f32_e32 v172, v174, v142
	v_fma_f32 v137, v173, v142, -v130
	s_waitcnt vmcnt(25) lgkmcnt(2)
	v_mul_f32_e32 v142, v5, v141
	v_fmac_f32_e32 v182, v176, v140
	v_fma_f32 v140, v175, v140, -v132
	ds_read_b128 v[130:133], v9 offset:672
	v_mul_f32_e32 v141, v6, v141
	s_waitcnt vmcnt(24)
	v_mul_f32_e32 v143, v7, v139
	v_mul_f32_e32 v139, v8, v139
	s_waitcnt vmcnt(23) lgkmcnt(2)
	v_mul_f32_e32 v173, v126, v144
	v_fmac_f32_e32 v142, v6, v138
	v_mul_f32_e32 v6, v127, v144
	v_fma_f32 v5, v5, v138, -v141
	s_waitcnt vmcnt(22)
	v_mul_f32_e32 v138, v128, v145
	v_mul_f32_e32 v141, v129, v145
	s_waitcnt vmcnt(18)
	v_fmac_f32_e32 v143, v8, v152
	v_fma_f32 v7, v7, v152, -v139
	v_fmac_f32_e32 v173, v127, v151
	v_fma_f32 v6, v126, v151, -v6
	s_clause 0x5
	buffer_load_dword v139, off, s[0:3], 0 offset:284
	buffer_load_dword v144, off, s[0:3], 0 offset:288
	;; [unrolled: 1-line block ×6, first 2 shown]
	v_fma_f32 v126, v128, v147, -v141
	s_waitcnt vmcnt(23) lgkmcnt(1)
	v_mul_f32_e32 v127, v1, v148
	s_waitcnt vmcnt(22)
	v_mul_f32_e32 v141, v3, v149
	v_mul_f32_e32 v8, v2, v148
	;; [unrolled: 1-line block ×3, first 2 shown]
	v_fmac_f32_e32 v138, v129, v147
	v_fmac_f32_e32 v127, v2, v146
	s_waitcnt vmcnt(18)
	v_fmac_f32_e32 v141, v4, v159
	v_fma_f32 v129, v1, v146, -v8
	v_fma_f32 v146, v3, v159, -v128
	s_waitcnt vmcnt(17) lgkmcnt(0)
	v_mul_f32_e32 v159, v130, v157
	v_mul_f32_e32 v8, v131, v157
	s_clause 0x1
	buffer_load_dword v147, off, s[0:3], 0 offset:300
	buffer_load_dword v148, off, s[0:3], 0 offset:308
	ds_read_b128 v[1:4], v9 offset:688
	buffer_load_dword v149, off, s[0:3], 0 offset:316
	s_waitcnt vmcnt(19)
	v_mul_f32_e32 v175, v132, v158
	v_mul_f32_e32 v128, v133, v158
	v_fmac_f32_e32 v159, v131, v156
	v_fma_f32 v130, v130, v156, -v8
	s_clause 0x5
	buffer_load_dword v156, off, s[0:3], 0 offset:336
	buffer_load_dword v157, off, s[0:3], 0 offset:328
	;; [unrolled: 1-line block ×6, first 2 shown]
	v_fmac_f32_e32 v175, v133, v155
	v_fma_f32 v155, v132, v155, -v128
	v_add_f32_e32 v8, 0, v185
	v_add_f32_e32 v128, 0, v186
	;; [unrolled: 1-line block ×4, first 2 shown]
	buffer_load_dword v161, off, s[0:3], 0 offset:340
	s_waitcnt vmcnt(25) lgkmcnt(0)
	v_mul_f32_e32 v131, v2, v154
	v_add_f32_e32 v8, v8, v188
	v_add_f32_e32 v128, v128, v191
	s_waitcnt vmcnt(24)
	v_mul_f32_e32 v132, v4, v153
	s_clause 0x3
	buffer_load_dword v185, off, s[0:3], 0 offset:348
	buffer_load_dword v186, off, s[0:3], 0 offset:356
	;; [unrolled: 1-line block ×4, first 2 shown]
	v_add_f32_e32 v8, v8, v189
	v_add_f32_e32 v128, v128, v193
	v_mul_f32_e32 v189, v1, v154
	v_mul_f32_e32 v154, v3, v153
	v_add_f32_e32 v8, v8, v190
	v_add_f32_e32 v128, v128, v177
	v_fmac_f32_e32 v189, v2, v150
	v_fma_f32 v150, v1, v150, -v131
	s_clause 0x3
	buffer_load_dword v153, off, s[0:3], 0 offset:380
	buffer_load_dword v177, off, s[0:3], 0 offset:388
	;; [unrolled: 1-line block ×4, first 2 shown]
	v_add_f32_e32 v1, v8, v192
	v_add_f32_e32 v2, v128, v11
	s_waitcnt vmcnt(27)
	v_fmac_f32_e32 v154, v4, v168
	v_fma_f32 v11, v3, v168, -v132
	s_clause 0x1
	buffer_load_dword v168, off, s[0:3], 0 offset:412
	buffer_load_dword v192, off, s[0:3], 0 offset:420
	v_add_f32_e32 v1, v1, v178
	v_add_f32_e32 v2, v2, v179
	s_clause 0x6
	buffer_load_dword v178, off, s[0:3], 0 offset:428
	buffer_load_dword v179, off, s[0:3], 0 offset:436
	;; [unrolled: 1-line block ×7, first 2 shown]
	v_add_f32_e32 v1, v1, v12
	v_add_f32_e32 v2, v2, v135
	;; [unrolled: 1-line block ×6, first 2 shown]
	s_clause 0x3
	buffer_load_dword v169, off, s[0:3], 0 offset:400
	buffer_load_dword v180, off, s[0:3], 0 offset:392
	;; [unrolled: 1-line block ×4, first 2 shown]
	v_add_f32_e32 v1, v1, v170
	v_add_f32_e32 v2, v2, v181
	;; [unrolled: 1-line block ×3, first 2 shown]
	s_clause 0x4
	buffer_load_dword v170, off, s[0:3], 0 offset:432
	buffer_load_dword v171, off, s[0:3], 0 offset:424
	;; [unrolled: 1-line block ×5, first 2 shown]
	v_add_f32_e32 v2, v2, v136
	v_add_f32_e32 v1, v1, v172
	buffer_load_dword v172, off, s[0:3], 0 offset:440
	v_add_f32_e32 v2, v2, v137
	v_add_f32_e32 v1, v1, v182
	;; [unrolled: 1-line block ×5, first 2 shown]
	ds_read_b128 v[1:4], v9 offset:704
	v_add_f32_e32 v5, v5, v7
	v_add_f32_e32 v7, v8, v143
	;; [unrolled: 1-line block ×4, first 2 shown]
	ds_read_b128 v[5:8], v9 offset:720
	v_add_f32_e32 v10, v10, v126
	v_add_f32_e32 v12, v12, v138
	;; [unrolled: 1-line block ×4, first 2 shown]
	s_waitcnt vmcnt(44) lgkmcnt(1)
	v_mul_f32_e32 v142, v3, v167
	v_mul_f32_e32 v128, v4, v167
	v_mul_f32_e32 v140, v1, v166
	v_add_f32_e32 v10, v10, v146
	v_add_f32_e32 v12, v12, v141
	v_mul_f32_e32 v126, v2, v166
	v_fmac_f32_e32 v142, v4, v164
	v_fma_f32 v143, v3, v164, -v128
	v_add_f32_e32 v10, v10, v130
	v_add_f32_e32 v12, v12, v159
	s_waitcnt lgkmcnt(0)
	v_mul_f32_e32 v146, v5, v163
	v_mul_f32_e32 v131, v6, v163
	v_fmac_f32_e32 v140, v2, v165
	v_fma_f32 v138, v1, v165, -v126
	ds_read_b128 v[1:4], v9 offset:736
	ds_read_b128 v[126:129], v9 offset:752
	v_add_f32_e32 v10, v10, v155
	v_fmac_f32_e32 v146, v6, v162
	v_fma_f32 v162, v5, v162, -v131
	v_add_f32_e32 v12, v12, v175
	v_add_f32_e32 v10, v10, v150
	;; [unrolled: 1-line block ×9, first 2 shown]
	s_waitcnt vmcnt(42)
	v_mul_f32_e32 v164, v7, v139
	v_mul_f32_e32 v132, v8, v139
	s_waitcnt vmcnt(40) lgkmcnt(1)
	v_mul_f32_e32 v155, v1, v145
	v_mul_f32_e32 v134, v2, v145
	s_waitcnt vmcnt(37)
	v_fmac_f32_e32 v164, v8, v174
	v_fma_f32 v163, v7, v174, -v132
	ds_read_b128 v[5:8], v9 offset:768
	ds_read_b128 v[130:133], v9 offset:784
	v_fmac_f32_e32 v155, v2, v144
	v_fma_f32 v144, v1, v144, -v134
	s_waitcnt vmcnt(36)
	v_mul_f32_e32 v145, v3, v147
	v_mul_f32_e32 v135, v4, v147
	s_waitcnt vmcnt(35) lgkmcnt(2)
	v_mul_f32_e32 v147, v126, v148
	v_mul_f32_e32 v139, v127, v148
	s_waitcnt vmcnt(34)
	v_mul_f32_e32 v12, v129, v149
	v_mul_f32_e32 v150, v128, v149
	v_fmac_f32_e32 v145, v4, v152
	v_fmac_f32_e32 v147, v127, v151
	v_fma_f32 v149, v126, v151, -v139
	s_waitcnt vmcnt(29) lgkmcnt(1)
	v_mul_f32_e32 v143, v5, v183
	v_fma_f32 v151, v128, v176, -v12
	v_mul_f32_e32 v12, v6, v183
	v_fma_f32 v148, v3, v152, -v135
	s_waitcnt vmcnt(28)
	v_mul_f32_e32 v142, v7, v184
	v_fmac_f32_e32 v143, v6, v158
	v_add_f32_e32 v6, v10, v162
	v_mul_f32_e32 v152, v8, v184
	v_add_f32_e32 v10, v11, v146
	v_fmac_f32_e32 v142, v8, v157
	ds_read_b128 v[1:4], v9 offset:800
	ds_read_b128 v[134:137], v9 offset:816
	v_add_f32_e32 v154, v6, v163
	v_fma_f32 v152, v7, v157, -v152
	v_add_f32_e32 v157, v10, v164
	v_fmac_f32_e32 v150, v129, v176
	v_fma_f32 v146, v5, v158, -v12
	v_add_f32_e32 v144, v154, v144
	s_waitcnt vmcnt(27) lgkmcnt(2)
	v_mul_f32_e32 v154, v131, v161
	v_add_f32_e32 v155, v157, v155
	v_mul_f32_e32 v158, v130, v161
	s_waitcnt vmcnt(26)
	v_mul_f32_e32 v159, v133, v185
	v_add_f32_e32 v144, v144, v148
	v_fma_f32 v130, v130, v156, -v154
	v_add_f32_e32 v145, v155, v145
	v_mul_f32_e32 v157, v132, v185
	v_fmac_f32_e32 v158, v131, v156
	v_add_f32_e32 v144, v144, v149
	ds_read_b128 v[126:129], v9 offset:832
	ds_read_b128 v[138:141], v9 offset:848
	v_add_f32_e32 v145, v145, v147
	s_waitcnt vmcnt(25) lgkmcnt(3)
	v_mul_f32_e32 v148, v1, v186
	s_waitcnt vmcnt(24)
	v_mul_f32_e32 v155, v3, v187
	v_add_f32_e32 v144, v144, v151
	s_waitcnt vmcnt(23) lgkmcnt(2)
	v_mul_f32_e32 v161, v134, v188
	v_add_f32_e32 v145, v145, v150
	s_waitcnt vmcnt(22)
	v_mul_f32_e32 v149, v136, v153
	s_waitcnt vmcnt(12)
	v_fmac_f32_e32 v155, v4, v195
	v_add_f32_e32 v144, v144, v146
	s_waitcnt vmcnt(10)
	v_fma_f32 v132, v132, v197, -v159
	v_add_f32_e32 v143, v145, v143
	v_fmac_f32_e32 v157, v133, v197
	v_fmac_f32_e32 v148, v2, v196
	v_add_f32_e32 v144, v144, v152
	v_fmac_f32_e32 v161, v135, v194
	v_add_f32_e32 v142, v143, v142
	v_mul_f32_e32 v143, v2, v186
	ds_read_b128 v[5:8], v9 offset:864
	ds_read_b128 v[9:12], v9 offset:880
	v_add_f32_e32 v130, v144, v130
	s_waitcnt lgkmcnt(3)
	v_mul_f32_e32 v147, v126, v177
	v_add_f32_e32 v133, v142, v158
	v_mul_f32_e32 v142, v4, v187
	v_fma_f32 v1, v1, v196, -v143
	v_add_f32_e32 v2, v130, v132
	v_mul_f32_e32 v132, v135, v188
	v_add_f32_e32 v130, v133, v157
	v_fma_f32 v3, v3, v195, -v142
	v_mul_f32_e32 v4, v137, v153
	v_add_f32_e32 v1, v2, v1
	s_waitcnt vmcnt(6)
	v_fmac_f32_e32 v149, v137, v199
	v_add_f32_e32 v2, v130, v148
	v_fma_f32 v130, v134, v194, -v132
	v_fma_f32 v4, v136, v199, -v4
	v_add_f32_e32 v1, v1, v3
	v_mul_f32_e32 v3, v127, v177
	v_add_f32_e32 v2, v2, v155
	v_mul_f32_e32 v162, v128, v190
	v_fmac_f32_e32 v147, v127, v198
	v_add_f32_e32 v1, v1, v130
	v_mul_f32_e32 v130, v129, v190
	v_add_f32_e32 v2, v2, v161
	v_fma_f32 v3, v126, v198, -v3
	s_waitcnt lgkmcnt(2)
	v_mul_f32_e32 v151, v138, v191
	v_add_f32_e32 v1, v1, v4
	v_mul_f32_e32 v4, v139, v191
	v_add_f32_e32 v2, v2, v149
	v_fma_f32 v126, v128, v180, -v130
	v_fmac_f32_e32 v162, v129, v180
	v_add_f32_e32 v1, v1, v3
	v_mul_f32_e32 v3, v141, v168
	v_add_f32_e32 v2, v2, v147
	v_fma_f32 v4, v138, v169, -v4
	v_mul_f32_e32 v150, v140, v168
	v_add_f32_e32 v1, v1, v126
	v_fmac_f32_e32 v151, v139, v169
	v_add_f32_e32 v2, v2, v162
	s_waitcnt lgkmcnt(1)
	v_mul_f32_e32 v126, v6, v192
	s_waitcnt vmcnt(2)
	v_fma_f32 v3, v140, v200, -v3
	v_add_f32_e32 v1, v1, v4
	v_mul_f32_e32 v163, v5, v192
	v_fmac_f32_e32 v150, v141, v200
	v_add_f32_e32 v2, v2, v151
	v_mul_f32_e32 v4, v8, v178
	v_fma_f32 v5, v5, v181, -v126
	v_add_f32_e32 v1, v1, v3
	v_mul_f32_e32 v146, v7, v178
	v_fmac_f32_e32 v163, v6, v181
	v_add_f32_e32 v2, v2, v150
	s_waitcnt lgkmcnt(0)
	v_mul_f32_e32 v3, v10, v179
	v_fma_f32 v4, v7, v171, -v4
	v_add_f32_e32 v1, v1, v5
	v_mul_f32_e32 v145, v9, v179
	v_fmac_f32_e32 v146, v8, v171
	v_add_f32_e32 v2, v2, v163
	v_mul_f32_e32 v5, v12, v193
	v_fma_f32 v3, v9, v170, -v3
	v_add_f32_e32 v1, v1, v4
	v_mul_f32_e32 v131, v11, v193
	v_fmac_f32_e32 v145, v10, v170
	v_add_f32_e32 v2, v2, v146
	s_waitcnt vmcnt(0)
	v_fma_f32 v4, v11, v172, -v5
	v_add_f32_e32 v1, v1, v3
	v_fmac_f32_e32 v131, v12, v172
	v_add_f32_e32 v2, v2, v145
	v_add_f32_e32 v1, v1, v4
	;; [unrolled: 1-line block ×3, first 2 shown]
	v_sub_f32_e32 v1, v201, v1
	v_sub_f32_e32 v2, v160, v2
	buffer_store_dword v1, off, s[0:3], 0 offset:56
	buffer_store_dword v2, off, s[0:3], 0 offset:60
	v_cmpx_lt_u32_e32 6, v0
	s_cbranch_execz .LBB55_337
; %bb.336:
	s_clause 0x1
	buffer_load_dword v1, off, s[0:3], 0 offset:48
	buffer_load_dword v2, off, s[0:3], 0 offset:52
	v_mov_b32_e32 v3, 0
	buffer_store_dword v3, off, s[0:3], 0 offset:48
	buffer_store_dword v3, off, s[0:3], 0 offset:52
	s_waitcnt vmcnt(0)
	ds_write_b64 v125, v[1:2]
.LBB55_337:
	s_or_b32 exec_lo, exec_lo, s4
	s_waitcnt lgkmcnt(0)
	s_waitcnt_vscnt null, 0x0
	s_barrier
	buffer_gl0_inv
	s_clause 0x33
	buffer_load_dword v11, off, s[0:3], 0 offset:60
	buffer_load_dword v12, off, s[0:3], 0 offset:68
	;; [unrolled: 1-line block ×52, first 2 shown]
	v_mov_b32_e32 v9, 0
	ds_read2_b64 v[5:8], v9 offset0:63 offset1:64
	ds_read2_b64 v[1:4], v9 offset0:65 offset1:66
	;; [unrolled: 1-line block ×3, first 2 shown]
	s_clause 0x2
	buffer_load_dword v175, off, s[0:3], 0 offset:252
	buffer_load_dword v176, off, s[0:3], 0 offset:260
	;; [unrolled: 1-line block ×3, first 2 shown]
	ds_read2_b64 v[182:185], v9 offset0:69 offset1:70
	s_mov_b32 s4, exec_lo
	s_waitcnt vmcnt(54) lgkmcnt(3)
	v_mul_f32_e32 v186, v5, v11
	s_waitcnt vmcnt(53)
	v_mul_f32_e32 v187, v7, v12
	v_mul_f32_e32 v11, v6, v11
	;; [unrolled: 1-line block ×3, first 2 shown]
	s_waitcnt vmcnt(50)
	v_fmac_f32_e32 v186, v6, v131
	v_fmac_f32_e32 v187, v8, v129
	v_fma_f32 v11, v5, v131, -v11
	v_fma_f32 v12, v7, v129, -v12
	ds_read2_b64 v[5:8], v9 offset0:71 offset1:72
	s_waitcnt vmcnt(49) lgkmcnt(3)
	v_mul_f32_e32 v188, v1, v126
	s_waitcnt vmcnt(48)
	v_mul_f32_e32 v189, v3, v127
	v_mul_f32_e32 v126, v2, v126
	;; [unrolled: 1-line block ×3, first 2 shown]
	s_waitcnt vmcnt(47) lgkmcnt(2)
	v_mul_f32_e32 v190, v178, v130
	v_mul_f32_e32 v129, v179, v130
	v_fmac_f32_e32 v188, v2, v10
	v_fma_f32 v10, v1, v10, -v126
	s_waitcnt vmcnt(46)
	v_mul_f32_e32 v191, v180, v128
	v_mul_f32_e32 v126, v181, v128
	s_waitcnt vmcnt(42)
	v_fmac_f32_e32 v189, v4, v137
	v_fma_f32 v137, v3, v137, -v127
	ds_read2_b64 v[1:4], v9 offset0:73 offset1:74
	v_fmac_f32_e32 v190, v179, v136
	v_fma_f32 v136, v178, v136, -v129
	v_fmac_f32_e32 v191, v181, v134
	v_fma_f32 v134, v180, v134, -v126
	ds_read2_b64 v[126:129], v9 offset0:75 offset1:76
	s_waitcnt vmcnt(41) lgkmcnt(3)
	v_mul_f32_e32 v178, v182, v135
	v_mul_f32_e32 v130, v183, v135
	s_waitcnt vmcnt(40)
	v_mul_f32_e32 v135, v184, v133
	v_mul_f32_e32 v131, v185, v133
	s_waitcnt vmcnt(39) lgkmcnt(2)
	v_mul_f32_e32 v179, v5, v138
	v_fmac_f32_e32 v178, v183, v132
	v_fma_f32 v180, v182, v132, -v130
	s_waitcnt vmcnt(38)
	v_mul_f32_e32 v181, v7, v139
	v_mul_f32_e32 v138, v6, v138
	;; [unrolled: 1-line block ×3, first 2 shown]
	s_waitcnt vmcnt(34)
	v_fmac_f32_e32 v135, v185, v145
	v_fma_f32 v145, v184, v145, -v131
	ds_read2_b64 v[130:133], v9 offset0:77 offset1:78
	v_fmac_f32_e32 v179, v6, v144
	v_fmac_f32_e32 v181, v8, v142
	v_fma_f32 v138, v5, v144, -v138
	v_fma_f32 v139, v7, v142, -v139
	ds_read2_b64 v[5:8], v9 offset0:79 offset1:80
	s_waitcnt vmcnt(33) lgkmcnt(3)
	v_mul_f32_e32 v142, v1, v143
	v_mul_f32_e32 v143, v2, v143
	s_waitcnt vmcnt(32)
	v_mul_f32_e32 v144, v3, v141
	v_mul_f32_e32 v141, v4, v141
	s_waitcnt vmcnt(31) lgkmcnt(2)
	v_mul_f32_e32 v182, v126, v146
	v_fmac_f32_e32 v142, v2, v140
	v_fma_f32 v140, v1, v140, -v143
	s_waitcnt vmcnt(30)
	v_mul_f32_e32 v143, v128, v147
	v_mul_f32_e32 v147, v129, v147
	;; [unrolled: 1-line block ×3, first 2 shown]
	s_waitcnt vmcnt(26)
	v_fmac_f32_e32 v144, v4, v154
	v_fma_f32 v141, v3, v154, -v141
	v_fmac_f32_e32 v143, v129, v151
	v_fma_f32 v147, v128, v151, -v147
	s_waitcnt vmcnt(25) lgkmcnt(1)
	v_mul_f32_e32 v151, v130, v152
	v_mul_f32_e32 v152, v131, v152
	ds_read2_b64 v[1:4], v9 offset0:81 offset1:82
	v_fmac_f32_e32 v182, v127, v153
	v_fma_f32 v146, v126, v153, -v146
	s_waitcnt vmcnt(24)
	v_mul_f32_e32 v153, v132, v150
	v_mul_f32_e32 v150, v133, v150
	s_waitcnt vmcnt(23) lgkmcnt(1)
	v_mul_f32_e32 v154, v5, v155
	v_fmac_f32_e32 v151, v131, v148
	v_fma_f32 v130, v130, v148, -v152
	v_mul_f32_e32 v148, v6, v155
	ds_read2_b64 v[126:129], v9 offset0:83 offset1:84
	s_waitcnt vmcnt(22)
	v_mul_f32_e32 v131, v7, v157
	v_mul_f32_e32 v152, v8, v157
	s_waitcnt vmcnt(18)
	v_fmac_f32_e32 v153, v133, v165
	v_fma_f32 v132, v132, v165, -v150
	v_fmac_f32_e32 v154, v6, v164
	v_fma_f32 v5, v5, v164, -v148
	s_clause 0x5
	buffer_load_dword v133, off, s[0:3], 0 offset:276
	buffer_load_dword v148, off, s[0:3], 0 offset:280
	;; [unrolled: 1-line block ×6, first 2 shown]
	v_fmac_f32_e32 v131, v8, v163
	v_fma_f32 v6, v7, v163, -v152
	s_clause 0x1
	buffer_load_dword v152, off, s[0:3], 0 offset:292
	buffer_load_dword v163, off, s[0:3], 0 offset:300
	s_waitcnt vmcnt(25) lgkmcnt(1)
	v_mul_f32_e32 v165, v1, v161
	s_waitcnt vmcnt(24)
	v_mul_f32_e32 v183, v3, v162
	v_mul_f32_e32 v7, v2, v161
	;; [unrolled: 1-line block ×3, first 2 shown]
	buffer_load_dword v161, off, s[0:3], 0 offset:308
	v_fmac_f32_e32 v165, v2, v159
	s_waitcnt vmcnt(21)
	v_fmac_f32_e32 v183, v4, v173
	v_fma_f32 v159, v1, v159, -v7
	v_fma_f32 v162, v3, v173, -v8
	ds_read2_b64 v[1:4], v9 offset0:85 offset1:86
	s_waitcnt vmcnt(20) lgkmcnt(1)
	v_mul_f32_e32 v173, v126, v171
	s_waitcnt vmcnt(19)
	v_mul_f32_e32 v184, v128, v172
	v_mul_f32_e32 v7, v127, v171
	;; [unrolled: 1-line block ×3, first 2 shown]
	s_clause 0x4
	buffer_load_dword v171, off, s[0:3], 0 offset:328
	buffer_load_dword v172, off, s[0:3], 0 offset:320
	;; [unrolled: 1-line block ×5, first 2 shown]
	v_fmac_f32_e32 v173, v127, v170
	v_fmac_f32_e32 v184, v129, v169
	v_fma_f32 v170, v126, v170, -v7
	v_add_f32_e32 v7, 0, v186
	v_fma_f32 v169, v128, v169, -v8
	buffer_load_dword v186, off, s[0:3], 0 offset:324
	v_add_f32_e32 v8, 0, v11
	v_add_f32_e32 v7, v7, v187
	buffer_load_dword v187, off, s[0:3], 0 offset:332
	v_add_f32_e32 v8, v8, v12
	v_add_f32_e32 v7, v7, v188
	s_waitcnt vmcnt(25) lgkmcnt(0)
	v_mul_f32_e32 v11, v1, v168
	v_mul_f32_e32 v12, v2, v168
	s_waitcnt vmcnt(24)
	v_mul_f32_e32 v168, v3, v167
	v_mul_f32_e32 v126, v4, v167
	v_fmac_f32_e32 v11, v2, v166
	v_add_f32_e32 v2, v7, v189
	v_fma_f32 v12, v1, v166, -v12
	s_clause 0x2
	buffer_load_dword v166, off, s[0:3], 0 offset:340
	buffer_load_dword v167, off, s[0:3], 0 offset:348
	buffer_load_dword v188, off, s[0:3], 0 offset:356
	v_add_f32_e32 v1, v8, v10
	buffer_load_dword v189, off, s[0:3], 0 offset:372
	v_add_f32_e32 v2, v2, v190
	s_waitcnt vmcnt(23)
	v_fmac_f32_e32 v168, v4, v174
	v_fma_f32 v10, v3, v174, -v126
	s_clause 0x5
	buffer_load_dword v174, off, s[0:3], 0 offset:364
	buffer_load_dword v190, off, s[0:3], 0 offset:360
	;; [unrolled: 1-line block ×6, first 2 shown]
	v_add_f32_e32 v1, v1, v137
	v_add_f32_e32 v2, v2, v191
	s_clause 0x1
	buffer_load_dword v191, off, s[0:3], 0 offset:388
	buffer_load_dword v198, off, s[0:3], 0 offset:396
	v_add_f32_e32 v1, v1, v136
	v_add_f32_e32 v2, v2, v178
	v_add_f32_e32 v1, v1, v134
	v_add_f32_e32 v2, v2, v135
	v_add_f32_e32 v1, v1, v180
	v_add_f32_e32 v2, v2, v179
	s_clause 0x5
	buffer_load_dword v178, off, s[0:3], 0 offset:404
	buffer_load_dword v180, off, s[0:3], 0 offset:412
	;; [unrolled: 1-line block ×6, first 2 shown]
	v_add_f32_e32 v2, v2, v181
	s_clause 0x3
	buffer_load_dword v181, off, s[0:3], 0 offset:392
	buffer_load_dword v202, off, s[0:3], 0 offset:384
	;; [unrolled: 1-line block ×4, first 2 shown]
	v_add_f32_e32 v1, v1, v145
	v_add_f32_e32 v2, v2, v142
	;; [unrolled: 1-line block ×6, first 2 shown]
	s_clause 0x3
	buffer_load_dword v182, off, s[0:3], 0 offset:424
	buffer_load_dword v205, off, s[0:3], 0 offset:416
	;; [unrolled: 1-line block ×4, first 2 shown]
	v_add_f32_e32 v1, v1, v140
	v_add_f32_e32 v2, v2, v143
	;; [unrolled: 1-line block ×5, first 2 shown]
	s_clause 0x1
	buffer_load_dword v146, off, s[0:3], 0 offset:440
	buffer_load_dword v208, off, s[0:3], 0 offset:432
	v_add_f32_e32 v7, v2, v153
	v_add_f32_e32 v1, v1, v147
	buffer_load_dword v147, off, s[0:3], 0 offset:48
	v_add_f32_e32 v7, v7, v154
	v_add_f32_e32 v1, v1, v130
	v_add_f32_e32 v126, v7, v131
	v_add_f32_e32 v8, v1, v132
	ds_read2_b64 v[1:4], v9 offset0:87 offset1:88
	v_add_f32_e32 v126, v126, v165
	v_add_f32_e32 v5, v8, v5
	;; [unrolled: 1-line block ×4, first 2 shown]
	ds_read2_b64 v[5:8], v9 offset0:89 offset1:90
	v_add_f32_e32 v130, v130, v173
	v_add_f32_e32 v127, v127, v159
	;; [unrolled: 1-line block ×4, first 2 shown]
	s_waitcnt vmcnt(47) lgkmcnt(1)
	v_mul_f32_e32 v134, v1, v175
	s_waitcnt vmcnt(46)
	v_mul_f32_e32 v138, v3, v176
	v_mul_f32_e32 v128, v2, v175
	;; [unrolled: 1-line block ×3, first 2 shown]
	v_add_f32_e32 v131, v131, v170
	v_fmac_f32_e32 v134, v2, v160
	v_fmac_f32_e32 v138, v4, v158
	v_fma_f32 v135, v1, v160, -v128
	v_fma_f32 v139, v3, v158, -v129
	v_add_f32_e32 v137, v131, v169
	ds_read2_b64 v[1:4], v9 offset0:91 offset1:92
	ds_read2_b64 v[126:129], v9 offset0:93 offset1:94
	s_waitcnt lgkmcnt(2)
	v_mul_f32_e32 v142, v5, v156
	v_mul_f32_e32 v132, v6, v156
	v_add_f32_e32 v12, v137, v12
	v_add_f32_e32 v11, v136, v11
	v_fmac_f32_e32 v142, v6, v149
	v_fma_f32 v144, v5, v149, -v132
	v_add_f32_e32 v10, v12, v10
	v_add_f32_e32 v11, v11, v168
	;; [unrolled: 1-line block ×8, first 2 shown]
	s_waitcnt vmcnt(44)
	v_mul_f32_e32 v143, v7, v133
	v_mul_f32_e32 v133, v8, v133
	s_waitcnt vmcnt(42) lgkmcnt(1)
	v_mul_f32_e32 v149, v1, v150
	v_mul_f32_e32 v136, v2, v150
	s_waitcnt vmcnt(39)
	v_fmac_f32_e32 v143, v8, v164
	v_fma_f32 v145, v7, v164, -v133
	ds_read2_b64 v[5:8], v9 offset0:95 offset1:96
	ds_read2_b64 v[130:133], v9 offset0:97 offset1:98
	s_waitcnt vmcnt(37) lgkmcnt(2)
	v_mul_f32_e32 v151, v126, v163
	v_mul_f32_e32 v140, v127, v163
	;; [unrolled: 1-line block ×3, first 2 shown]
	v_fmac_f32_e32 v149, v2, v148
	v_fma_f32 v148, v1, v148, -v136
	v_fmac_f32_e32 v151, v127, v155
	v_fma_f32 v153, v126, v155, -v140
	v_add_f32_e32 v10, v10, v145
	v_mul_f32_e32 v150, v3, v152
	v_fma_f32 v152, v3, v157, -v137
	s_waitcnt vmcnt(36)
	v_mul_f32_e32 v141, v129, v161
	v_mul_f32_e32 v12, v128, v161
	v_add_f32_e32 v148, v10, v148
	v_fmac_f32_e32 v150, v4, v157
	ds_read2_b64 v[1:4], v9 offset0:99 offset1:100
	ds_read2_b64 v[134:137], v9 offset0:101 offset1:102
	s_waitcnt vmcnt(32)
	v_fma_f32 v154, v128, v192, -v141
	v_fmac_f32_e32 v12, v129, v192
	v_add_f32_e32 v148, v148, v152
	s_waitcnt vmcnt(31) lgkmcnt(3)
	v_mul_f32_e32 v155, v5, v193
	v_mul_f32_e32 v142, v6, v193
	ds_read2_b64 v[126:129], v9 offset0:103 offset1:104
	ds_read2_b64 v[138:141], v9 offset0:105 offset1:106
	s_waitcnt vmcnt(30)
	v_mul_f32_e32 v144, v8, v186
	v_add_f32_e32 v148, v148, v153
	v_fmac_f32_e32 v155, v6, v185
	v_add_f32_e32 v6, v11, v143
	v_fma_f32 v157, v5, v185, -v142
	v_mul_f32_e32 v156, v7, v186
	v_add_f32_e32 v148, v148, v154
	v_fma_f32 v158, v7, v172, -v144
	v_add_f32_e32 v149, v6, v149
	s_waitcnt vmcnt(29) lgkmcnt(4)
	v_mul_f32_e32 v159, v131, v187
	v_fmac_f32_e32 v156, v8, v172
	v_add_f32_e32 v148, v148, v157
	ds_read2_b64 v[5:8], v9 offset0:107 offset1:108
	ds_read2_b64 v[142:145], v9 offset0:109 offset1:110
	ds_read_b64 v[10:11], v9 offset:888
	v_add_f32_e32 v149, v149, v150
	v_mul_f32_e32 v150, v130, v187
	s_waitcnt vmcnt(28)
	v_mul_f32_e32 v160, v133, v166
	v_fma_f32 v130, v130, v171, -v159
	v_add_f32_e32 v148, v148, v158
	v_add_f32_e32 v149, v149, v151
	v_mul_f32_e32 v152, v132, v166
	v_fmac_f32_e32 v150, v131, v171
	s_waitcnt vmcnt(27) lgkmcnt(6)
	v_mul_f32_e32 v151, v1, v167
	v_mul_f32_e32 v159, v2, v167
	v_add_f32_e32 v12, v149, v12
	s_waitcnt vmcnt(20)
	v_fma_f32 v132, v132, v196, -v160
	v_add_f32_e32 v130, v148, v130
	v_fmac_f32_e32 v152, v133, v196
	v_fmac_f32_e32 v151, v2, v195
	v_add_f32_e32 v12, v12, v155
	v_fma_f32 v1, v1, v195, -v159
	v_add_f32_e32 v2, v130, v132
	v_mul_f32_e32 v153, v3, v188
	s_waitcnt lgkmcnt(5)
	v_mul_f32_e32 v130, v135, v174
	v_add_f32_e32 v12, v12, v156
	v_mul_f32_e32 v156, v4, v188
	v_add_f32_e32 v1, v2, v1
	v_mul_f32_e32 v131, v134, v174
	v_fmac_f32_e32 v153, v4, v194
	v_add_f32_e32 v12, v12, v150
	v_fma_f32 v3, v3, v194, -v156
	v_mul_f32_e32 v4, v137, v189
	v_mul_f32_e32 v149, v136, v189
	v_fmac_f32_e32 v131, v135, v190
	v_add_f32_e32 v12, v12, v152
	v_add_f32_e32 v1, v1, v3
	s_waitcnt vmcnt(19) lgkmcnt(4)
	v_mul_f32_e32 v3, v127, v197
	s_waitcnt vmcnt(7)
	v_fma_f32 v4, v136, v204, -v4
	v_mul_f32_e32 v154, v126, v197
	v_add_f32_e32 v2, v12, v151
	v_fma_f32 v12, v134, v190, -v130
	v_fmac_f32_e32 v149, v137, v204
	v_fma_f32 v3, v126, v203, -v3
	v_mul_f32_e32 v133, v128, v191
	v_add_f32_e32 v2, v2, v153
	v_add_f32_e32 v1, v1, v12
	v_mul_f32_e32 v12, v129, v191
	v_fmac_f32_e32 v154, v127, v203
	s_waitcnt lgkmcnt(3)
	v_mul_f32_e32 v160, v138, v198
	v_add_f32_e32 v2, v2, v131
	v_add_f32_e32 v1, v1, v4
	v_mul_f32_e32 v4, v139, v198
	v_fma_f32 v12, v128, v202, -v12
	v_fmac_f32_e32 v133, v129, v202
	v_add_f32_e32 v2, v2, v149
	v_add_f32_e32 v1, v1, v3
	v_mul_f32_e32 v3, v141, v178
	v_fma_f32 v4, v138, v181, -v4
	v_mul_f32_e32 v155, v140, v178
	v_add_f32_e32 v2, v2, v154
	v_add_f32_e32 v1, v1, v12
	v_fmac_f32_e32 v160, v139, v181
	s_waitcnt lgkmcnt(2)
	v_mul_f32_e32 v12, v6, v180
	s_waitcnt vmcnt(3)
	v_fma_f32 v3, v140, v207, -v3
	v_add_f32_e32 v2, v2, v133
	v_add_f32_e32 v1, v1, v4
	v_mul_f32_e32 v157, v5, v180
	v_fmac_f32_e32 v155, v141, v207
	v_mul_f32_e32 v4, v8, v199
	v_add_f32_e32 v2, v2, v160
	v_fma_f32 v5, v5, v206, -v12
	v_add_f32_e32 v1, v1, v3
	v_mul_f32_e32 v161, v7, v199
	v_fmac_f32_e32 v157, v6, v206
	v_add_f32_e32 v2, v2, v155
	s_waitcnt lgkmcnt(1)
	v_mul_f32_e32 v3, v143, v200
	v_fma_f32 v4, v7, v205, -v4
	v_add_f32_e32 v1, v1, v5
	v_mul_f32_e32 v158, v142, v200
	v_fmac_f32_e32 v161, v8, v205
	v_add_f32_e32 v2, v2, v157
	v_mul_f32_e32 v5, v145, v201
	v_fma_f32 v3, v142, v182, -v3
	v_add_f32_e32 v1, v1, v4
	v_mul_f32_e32 v162, v144, v201
	v_fmac_f32_e32 v158, v143, v182
	v_add_f32_e32 v2, v2, v161
	s_waitcnt lgkmcnt(0)
	v_mul_f32_e32 v4, v11, v179
	s_waitcnt vmcnt(1)
	v_fma_f32 v5, v144, v208, -v5
	v_add_f32_e32 v1, v1, v3
	v_mul_f32_e32 v148, v10, v179
	v_fmac_f32_e32 v162, v145, v208
	v_add_f32_e32 v2, v2, v158
	v_fma_f32 v3, v10, v146, -v4
	v_add_f32_e32 v1, v1, v5
	v_fmac_f32_e32 v148, v11, v146
	v_add_f32_e32 v2, v2, v162
	v_add_f32_e32 v1, v1, v3
	;; [unrolled: 1-line block ×3, first 2 shown]
	s_waitcnt vmcnt(0)
	v_sub_f32_e32 v1, v147, v1
	v_sub_f32_e32 v2, v177, v2
	buffer_store_dword v1, off, s[0:3], 0 offset:48
	buffer_store_dword v2, off, s[0:3], 0 offset:52
	v_cmpx_lt_u32_e32 5, v0
	s_cbranch_execz .LBB55_339
; %bb.338:
	s_clause 0x1
	buffer_load_dword v1, off, s[0:3], 0 offset:40
	buffer_load_dword v2, off, s[0:3], 0 offset:44
	buffer_store_dword v9, off, s[0:3], 0 offset:40
	buffer_store_dword v9, off, s[0:3], 0 offset:44
	s_waitcnt vmcnt(0)
	ds_write_b64 v125, v[1:2]
.LBB55_339:
	s_or_b32 exec_lo, exec_lo, s4
	s_waitcnt lgkmcnt(0)
	s_waitcnt_vscnt null, 0x0
	s_barrier
	buffer_gl0_inv
	s_clause 0x35
	buffer_load_dword v1, off, s[0:3], 0 offset:52
	buffer_load_dword v3, off, s[0:3], 0 offset:60
	;; [unrolled: 1-line block ×54, first 2 shown]
	ds_read_b128 v[170:173], v9 offset:496
	ds_read_b128 v[174:177], v9 offset:512
	;; [unrolled: 1-line block ×4, first 2 shown]
	buffer_load_dword v164, off, s[0:3], 0 offset:44
	s_mov_b32 s4, exec_lo
	s_waitcnt vmcnt(54) lgkmcnt(3)
	v_mul_f32_e32 v186, v170, v1
	v_mul_f32_e32 v1, v171, v1
	s_waitcnt vmcnt(53)
	v_mul_f32_e32 v187, v172, v3
	v_mul_f32_e32 v3, v173, v3
	s_waitcnt vmcnt(52) lgkmcnt(2)
	v_mul_f32_e32 v188, v174, v5
	v_mul_f32_e32 v5, v175, v5
	s_waitcnt vmcnt(49)
	v_fma_f32 v189, v170, v7, -v1
	s_waitcnt vmcnt(48)
	v_mul_f32_e32 v1, v177, v6
	v_fmac_f32_e32 v186, v171, v7
	v_fmac_f32_e32 v187, v173, v4
	v_fma_f32 v191, v172, v4, -v3
	v_fmac_f32_e32 v188, v175, v2
	v_fma_f32 v174, v174, v2, -v5
	s_waitcnt vmcnt(44)
	v_fma_f32 v175, v176, v129, -v1
	ds_read_b128 v[1:4], v9 offset:560
	ds_read_b128 v[170:173], v9 offset:576
	v_mul_f32_e32 v190, v176, v6
	s_waitcnt vmcnt(43) lgkmcnt(3)
	v_mul_f32_e32 v176, v178, v128
	v_mul_f32_e32 v5, v179, v128
	s_waitcnt vmcnt(42)
	v_mul_f32_e32 v6, v181, v127
	s_waitcnt vmcnt(41) lgkmcnt(2)
	v_mul_f32_e32 v192, v182, v12
	v_fmac_f32_e32 v190, v177, v129
	v_mul_f32_e32 v177, v180, v127
	v_fmac_f32_e32 v176, v179, v11
	v_fma_f32 v11, v178, v11, -v5
	s_waitcnt vmcnt(40)
	v_mul_f32_e32 v178, v184, v126
	v_mul_f32_e32 v5, v183, v12
	;; [unrolled: 1-line block ×3, first 2 shown]
	v_fmac_f32_e32 v177, v181, v10
	v_fma_f32 v10, v180, v10, -v6
	v_fmac_f32_e32 v192, v183, v8
	s_waitcnt vmcnt(36)
	v_fmac_f32_e32 v178, v185, v137
	v_fma_f32 v12, v182, v8, -v5
	v_fma_f32 v137, v184, v137, -v7
	ds_read_b128 v[5:8], v9 offset:592
	ds_read_b128 v[126:129], v9 offset:608
	s_waitcnt vmcnt(35) lgkmcnt(3)
	v_mul_f32_e32 v179, v1, v136
	v_mul_f32_e32 v136, v2, v136
	s_waitcnt vmcnt(34)
	v_mul_f32_e32 v180, v3, v135
	v_mul_f32_e32 v135, v4, v135
	s_waitcnt vmcnt(33) lgkmcnt(2)
	v_mul_f32_e32 v181, v170, v133
	v_fmac_f32_e32 v179, v2, v132
	v_fma_f32 v136, v1, v132, -v136
	s_waitcnt vmcnt(32)
	v_mul_f32_e32 v182, v172, v134
	v_mul_f32_e32 v1, v171, v133
	;; [unrolled: 1-line block ×3, first 2 shown]
	v_fmac_f32_e32 v180, v4, v131
	v_fma_f32 v134, v3, v131, -v135
	v_fmac_f32_e32 v181, v171, v130
	s_waitcnt vmcnt(28)
	v_fmac_f32_e32 v182, v173, v144
	v_fma_f32 v135, v170, v130, -v1
	v_fma_f32 v144, v172, v144, -v2
	ds_read_b128 v[1:4], v9 offset:624
	ds_read_b128 v[130:133], v9 offset:640
	s_waitcnt vmcnt(27) lgkmcnt(3)
	v_mul_f32_e32 v170, v5, v143
	v_mul_f32_e32 v143, v6, v143
	s_waitcnt vmcnt(26)
	v_mul_f32_e32 v171, v7, v142
	v_mul_f32_e32 v142, v8, v142
	s_waitcnt vmcnt(25) lgkmcnt(2)
	v_mul_f32_e32 v172, v126, v141
	v_mul_f32_e32 v141, v127, v141
	v_fmac_f32_e32 v170, v6, v140
	v_fma_f32 v140, v5, v140, -v143
	s_waitcnt vmcnt(24)
	v_mul_f32_e32 v143, v128, v145
	v_mul_f32_e32 v5, v129, v145
	v_fmac_f32_e32 v171, v8, v139
	v_fma_f32 v139, v7, v139, -v142
	v_fmac_f32_e32 v172, v127, v138
	v_fma_f32 v138, v126, v138, -v141
	s_waitcnt vmcnt(20)
	v_fmac_f32_e32 v143, v129, v152
	v_fma_f32 v141, v128, v152, -v5
	ds_read_b128 v[5:8], v9 offset:656
	ds_read_b128 v[126:129], v9 offset:672
	s_waitcnt vmcnt(19) lgkmcnt(3)
	v_mul_f32_e32 v145, v2, v151
	v_mul_f32_e32 v142, v1, v151
	s_waitcnt vmcnt(18)
	v_mul_f32_e32 v151, v3, v150
	v_mul_f32_e32 v150, v4, v150
	s_waitcnt vmcnt(17) lgkmcnt(2)
	v_mul_f32_e32 v152, v130, v149
	v_fma_f32 v145, v1, v148, -v145
	s_waitcnt vmcnt(16)
	v_mul_f32_e32 v1, v133, v153
	v_mul_f32_e32 v149, v131, v149
	v_fmac_f32_e32 v142, v2, v148
	v_mul_f32_e32 v148, v132, v153
	v_fmac_f32_e32 v151, v4, v147
	v_fma_f32 v147, v3, v147, -v150
	s_clause 0x4
	buffer_load_dword v150, off, s[0:3], 0 offset:268
	buffer_load_dword v153, off, s[0:3], 0 offset:288
	;; [unrolled: 1-line block ×5, first 2 shown]
	v_fmac_f32_e32 v152, v131, v146
	s_waitcnt vmcnt(17)
	v_fma_f32 v131, v132, v161, -v1
	ds_read_b128 v[1:4], v9 offset:688
	v_fmac_f32_e32 v148, v133, v161
	v_fma_f32 v130, v130, v146, -v149
	s_waitcnt vmcnt(16) lgkmcnt(2)
	v_mul_f32_e32 v132, v5, v159
	v_mul_f32_e32 v133, v6, v159
	s_waitcnt vmcnt(15)
	v_mul_f32_e32 v146, v7, v158
	v_mul_f32_e32 v149, v8, v158
	buffer_load_dword v158, off, s[0:3], 0 offset:284
	v_fmac_f32_e32 v132, v6, v157
	v_fma_f32 v133, v5, v157, -v133
	buffer_load_dword v157, off, s[0:3], 0 offset:276
	v_fmac_f32_e32 v146, v8, v155
	v_fma_f32 v149, v7, v155, -v149
	s_waitcnt vmcnt(16) lgkmcnt(1)
	v_mul_f32_e32 v155, v126, v156
	v_mul_f32_e32 v5, v127, v156
	s_waitcnt vmcnt(15)
	v_mul_f32_e32 v6, v129, v160
	v_mul_f32_e32 v156, v128, v160
	v_fmac_f32_e32 v155, v127, v154
	v_fma_f32 v154, v126, v154, -v5
	s_waitcnt vmcnt(10)
	v_fma_f32 v159, v128, v169, -v6
	ds_read_b128 v[5:8], v9 offset:704
	s_waitcnt vmcnt(9) lgkmcnt(1)
	v_mul_f32_e32 v160, v1, v168
	v_mul_f32_e32 v126, v2, v168
	s_waitcnt vmcnt(8)
	v_mul_f32_e32 v185, v3, v167
	v_fmac_f32_e32 v156, v129, v169
	s_clause 0x2
	buffer_load_dword v161, off, s[0:3], 0 offset:292
	buffer_load_dword v168, off, s[0:3], 0 offset:300
	;; [unrolled: 1-line block ×3, first 2 shown]
	v_fmac_f32_e32 v160, v2, v166
	v_fma_f32 v166, v1, v166, -v126
	v_mul_f32_e32 v1, v4, v167
	v_fmac_f32_e32 v185, v4, v165
	v_add_f32_e32 v2, 0, v189
	s_clause 0x3
	buffer_load_dword v167, off, s[0:3], 0 offset:320
	buffer_load_dword v193, off, s[0:3], 0 offset:312
	;; [unrolled: 1-line block ×4, first 2 shown]
	v_fma_f32 v165, v3, v165, -v1
	v_add_f32_e32 v1, 0, v186
	v_add_f32_e32 v2, v2, v191
	buffer_load_dword v186, off, s[0:3], 0 offset:316
	v_add_f32_e32 v1, v1, v187
	v_add_f32_e32 v2, v2, v174
	s_waitcnt lgkmcnt(0)
	v_mul_f32_e32 v3, v6, v163
	v_add_f32_e32 v1, v1, v188
	s_clause 0x1
	buffer_load_dword v187, off, s[0:3], 0 offset:324
	buffer_load_dword v188, off, s[0:3], 0 offset:332
	v_add_f32_e32 v2, v2, v175
	v_add_f32_e32 v1, v1, v190
	;; [unrolled: 1-line block ×3, first 2 shown]
	v_fma_f32 v11, v5, v162, -v3
	v_add_f32_e32 v1, v1, v176
	s_clause 0x5
	buffer_load_dword v174, off, s[0:3], 0 offset:352
	buffer_load_dword v175, off, s[0:3], 0 offset:344
	;; [unrolled: 1-line block ×6, first 2 shown]
	v_add_f32_e32 v2, v2, v10
	v_add_f32_e32 v1, v1, v177
	buffer_load_dword v177, off, s[0:3], 0 offset:340
	v_mul_f32_e32 v10, v5, v163
	v_add_f32_e32 v2, v2, v12
	v_add_f32_e32 v1, v1, v192
	v_fmac_f32_e32 v10, v6, v162
	v_add_f32_e32 v2, v2, v137
	v_add_f32_e32 v1, v1, v178
	s_clause 0x2
	buffer_load_dword v178, off, s[0:3], 0 offset:364
	buffer_load_dword v192, off, s[0:3], 0 offset:372
	buffer_load_dword v196, off, s[0:3], 0 offset:380
	v_add_f32_e32 v2, v2, v136
	v_add_f32_e32 v1, v1, v179
	s_clause 0x2
	buffer_load_dword v179, off, s[0:3], 0 offset:388
	buffer_load_dword v197, off, s[0:3], 0 offset:396
	buffer_load_dword v198, off, s[0:3], 0 offset:404
	;; [unrolled: 6-line block ×3, first 2 shown]
	buffer_load_dword v201, off, s[0:3], 0 offset:444
	v_add_f32_e32 v2, v2, v135
	v_add_f32_e32 v1, v1, v181
	buffer_load_dword v181, off, s[0:3], 0 offset:436
	v_add_f32_e32 v2, v2, v144
	v_add_f32_e32 v1, v1, v182
	;; [unrolled: 1-line block ×4, first 2 shown]
	s_clause 0x3
	buffer_load_dword v170, off, s[0:3], 0 offset:384
	buffer_load_dword v182, off, s[0:3], 0 offset:376
	;; [unrolled: 1-line block ×4, first 2 shown]
	v_add_f32_e32 v2, v2, v139
	v_add_f32_e32 v1, v1, v171
	;; [unrolled: 1-line block ×4, first 2 shown]
	s_clause 0x7
	buffer_load_dword v171, off, s[0:3], 0 offset:416
	buffer_load_dword v172, off, s[0:3], 0 offset:408
	;; [unrolled: 1-line block ×8, first 2 shown]
	v_add_f32_e32 v2, v2, v141
	v_add_f32_e32 v1, v1, v143
	;; [unrolled: 1-line block ×8, first 2 shown]
	ds_read_b128 v[1:4], v9 offset:720
	v_add_f32_e32 v12, v5, v131
	v_add_f32_e32 v126, v6, v148
	;; [unrolled: 1-line block ×4, first 2 shown]
	ds_read_b128 v[126:129], v9 offset:752
	v_add_f32_e32 v12, v12, v149
	v_add_f32_e32 v130, v130, v146
	;; [unrolled: 1-line block ×3, first 2 shown]
	s_waitcnt vmcnt(46)
	v_mul_f32_e32 v142, v7, v150
	v_mul_f32_e32 v5, v8, v150
	s_waitcnt vmcnt(42)
	v_fmac_f32_e32 v142, v8, v184
	v_fma_f32 v143, v7, v184, -v5
	ds_read_b128 v[5:8], v9 offset:736
	s_waitcnt vmcnt(41) lgkmcnt(2)
	v_mul_f32_e32 v134, v4, v158
	s_waitcnt vmcnt(40)
	v_mul_f32_e32 v131, v2, v157
	v_mul_f32_e32 v144, v1, v157
	v_fma_f32 v149, v3, v173, -v134
	v_fma_f32 v145, v1, v183, -v131
	v_add_f32_e32 v1, v130, v155
	v_fmac_f32_e32 v144, v2, v183
	v_add_f32_e32 v2, v12, v159
	ds_read_b128 v[130:133], v9 offset:768
	v_mul_f32_e32 v12, v3, v158
	v_add_f32_e32 v1, v1, v156
	v_add_f32_e32 v2, v2, v166
	s_waitcnt vmcnt(39) lgkmcnt(1)
	v_mul_f32_e32 v135, v6, v161
	v_mul_f32_e32 v146, v5, v161
	v_add_f32_e32 v1, v1, v160
	s_waitcnt vmcnt(37)
	v_mul_f32_e32 v148, v126, v169
	v_fmac_f32_e32 v12, v4, v173
	v_fma_f32 v150, v5, v153, -v135
	v_add_f32_e32 v5, v2, v165
	v_fmac_f32_e32 v146, v6, v153
	v_add_f32_e32 v6, v1, v185
	v_mul_f32_e32 v138, v8, v168
	v_mul_f32_e32 v139, v127, v169
	v_add_f32_e32 v11, v5, v11
	s_waitcnt vmcnt(34)
	v_fmac_f32_e32 v148, v127, v194
	v_add_f32_e32 v10, v6, v10
	v_mul_f32_e32 v147, v7, v168
	s_waitcnt vmcnt(33)
	v_fma_f32 v151, v7, v195, -v138
	v_add_f32_e32 v11, v11, v143
	ds_read_b128 v[1:4], v9 offset:784
	ds_read_b128 v[134:137], v9 offset:800
	v_add_f32_e32 v10, v10, v142
	v_fmac_f32_e32 v147, v8, v195
	v_fma_f32 v152, v126, v194, -v139
	s_waitcnt vmcnt(31) lgkmcnt(2)
	v_mul_f32_e32 v154, v130, v187
	v_add_f32_e32 v11, v11, v145
	s_waitcnt vmcnt(30)
	v_mul_f32_e32 v155, v132, v188
	v_add_f32_e32 v10, v10, v144
	v_mul_f32_e32 v127, v131, v187
	v_fmac_f32_e32 v154, v131, v167
	v_add_f32_e32 v131, v11, v149
	v_mul_f32_e32 v156, v133, v188
	v_mul_f32_e32 v126, v129, v186
	;; [unrolled: 1-line block ×3, first 2 shown]
	v_fma_f32 v130, v130, v167, -v127
	s_waitcnt vmcnt(26)
	v_fmac_f32_e32 v155, v133, v189
	v_add_f32_e32 v133, v10, v12
	v_add_f32_e32 v131, v131, v150
	v_fma_f32 v157, v128, v193, -v126
	v_fmac_f32_e32 v153, v129, v193
	v_fma_f32 v132, v132, v189, -v156
	v_add_f32_e32 v133, v133, v146
	v_add_f32_e32 v131, v131, v151
	s_waitcnt vmcnt(23) lgkmcnt(1)
	v_mul_f32_e32 v150, v2, v177
	ds_read_b128 v[5:8], v9 offset:816
	ds_read_b128 v[138:141], v9 offset:832
	v_mul_f32_e32 v149, v1, v177
	v_add_f32_e32 v133, v133, v147
	v_add_f32_e32 v131, v131, v152
	v_mul_f32_e32 v156, v4, v190
	v_fma_f32 v1, v1, v176, -v150
	v_mul_f32_e32 v146, v3, v190
	v_add_f32_e32 v133, v133, v148
	v_add_f32_e32 v131, v131, v157
	v_fmac_f32_e32 v149, v2, v176
	v_fma_f32 v3, v3, v175, -v156
	s_waitcnt lgkmcnt(2)
	v_mul_f32_e32 v151, v134, v191
	v_add_f32_e32 v133, v133, v153
	v_add_f32_e32 v130, v131, v130
	v_fmac_f32_e32 v146, v4, v175
	s_waitcnt vmcnt(22)
	v_mul_f32_e32 v147, v136, v178
	v_fmac_f32_e32 v151, v135, v174
	v_add_f32_e32 v133, v133, v154
	v_add_f32_e32 v130, v130, v132
	ds_read_b128 v[126:129], v9 offset:848
	ds_read_b128 v[142:145], v9 offset:864
	s_waitcnt vmcnt(21) lgkmcnt(3)
	v_mul_f32_e32 v158, v5, v192
	s_waitcnt vmcnt(20)
	v_mul_f32_e32 v152, v7, v196
	v_add_f32_e32 v132, v133, v155
	v_mul_f32_e32 v133, v135, v191
	v_add_f32_e32 v1, v130, v1
	v_mul_f32_e32 v130, v137, v178
	s_waitcnt vmcnt(19) lgkmcnt(2)
	v_mul_f32_e32 v148, v138, v179
	v_add_f32_e32 v4, v132, v149
	v_fma_f32 v132, v134, v174, -v133
	v_add_f32_e32 v1, v1, v3
	s_waitcnt vmcnt(9)
	v_fmac_f32_e32 v158, v6, v202
	s_waitcnt vmcnt(8)
	v_fma_f32 v130, v136, v203, -v130
	v_add_f32_e32 v3, v4, v146
	v_mul_f32_e32 v4, v6, v192
	v_add_f32_e32 v1, v1, v132
	v_fmac_f32_e32 v147, v137, v203
	v_mul_f32_e32 v132, v8, v196
	v_add_f32_e32 v3, v3, v151
	v_fma_f32 v4, v5, v202, -v4
	v_add_f32_e32 v1, v1, v130
	v_mul_f32_e32 v5, v139, v179
	v_fma_f32 v6, v7, v182, -v132
	v_add_f32_e32 v3, v3, v147
	v_fmac_f32_e32 v152, v8, v182
	v_add_f32_e32 v1, v1, v4
	v_mul_f32_e32 v4, v141, v197
	v_fma_f32 v5, v138, v170, -v5
	v_add_f32_e32 v3, v3, v158
	v_mul_f32_e32 v159, v140, v197
	v_add_f32_e32 v1, v1, v6
	v_fmac_f32_e32 v148, v139, v170
	ds_read_b128 v[9:12], v9 offset:880
	v_add_f32_e32 v3, v3, v152
	s_waitcnt lgkmcnt(2)
	v_mul_f32_e32 v6, v127, v198
	s_waitcnt vmcnt(4)
	v_fma_f32 v4, v140, v205, -v4
	v_add_f32_e32 v1, v1, v5
	v_mul_f32_e32 v157, v126, v198
	v_fmac_f32_e32 v159, v141, v205
	v_add_f32_e32 v3, v3, v148
	v_mul_f32_e32 v5, v129, v180
	v_fma_f32 v6, v126, v204, -v6
	v_add_f32_e32 v1, v1, v4
	v_mul_f32_e32 v153, v128, v180
	v_fmac_f32_e32 v157, v127, v204
	v_add_f32_e32 v3, v3, v159
	s_waitcnt lgkmcnt(1)
	v_mul_f32_e32 v4, v143, v199
	v_fma_f32 v5, v128, v172, -v5
	v_add_f32_e32 v1, v1, v6
	v_mul_f32_e32 v160, v142, v199
	v_fmac_f32_e32 v153, v129, v172
	v_add_f32_e32 v3, v3, v157
	v_mul_f32_e32 v6, v145, v200
	v_fma_f32 v4, v142, v171, -v4
	v_add_f32_e32 v1, v1, v5
	v_mul_f32_e32 v131, v144, v200
	v_fmac_f32_e32 v160, v143, v171
	v_add_f32_e32 v3, v3, v153
	s_waitcnt lgkmcnt(0)
	v_mul_f32_e32 v5, v10, v181
	s_waitcnt vmcnt(1)
	v_fma_f32 v6, v144, v208, -v6
	v_add_f32_e32 v1, v1, v4
	v_mul_f32_e32 v154, v9, v181
	v_fmac_f32_e32 v131, v145, v208
	v_add_f32_e32 v3, v3, v160
	v_mul_f32_e32 v4, v12, v201
	v_fma_f32 v5, v9, v207, -v5
	v_add_f32_e32 v1, v1, v6
	v_mul_f32_e32 v2, v11, v201
	v_fmac_f32_e32 v154, v10, v207
	v_add_f32_e32 v3, v3, v131
	v_fma_f32 v4, v11, v206, -v4
	v_add_f32_e32 v1, v1, v5
	v_fmac_f32_e32 v2, v12, v206
	v_add_f32_e32 v3, v3, v154
	v_add_f32_e32 v1, v1, v4
	;; [unrolled: 1-line block ×3, first 2 shown]
	s_waitcnt vmcnt(0)
	v_sub_f32_e32 v1, v209, v1
	v_sub_f32_e32 v2, v164, v2
	buffer_store_dword v1, off, s[0:3], 0 offset:40
	buffer_store_dword v2, off, s[0:3], 0 offset:44
	v_cmpx_lt_u32_e32 4, v0
	s_cbranch_execz .LBB55_341
; %bb.340:
	s_clause 0x1
	buffer_load_dword v1, off, s[0:3], 0 offset:32
	buffer_load_dword v2, off, s[0:3], 0 offset:36
	v_mov_b32_e32 v3, 0
	buffer_store_dword v3, off, s[0:3], 0 offset:32
	buffer_store_dword v3, off, s[0:3], 0 offset:36
	s_waitcnt vmcnt(0)
	ds_write_b64 v125, v[1:2]
.LBB55_341:
	s_or_b32 exec_lo, exec_lo, s4
	s_waitcnt lgkmcnt(0)
	s_waitcnt_vscnt null, 0x0
	s_barrier
	buffer_gl0_inv
	s_clause 0x35
	buffer_load_dword v2, off, s[0:3], 0 offset:44
	buffer_load_dword v4, off, s[0:3], 0 offset:52
	buffer_load_dword v6, off, s[0:3], 0 offset:60
	buffer_load_dword v3, off, s[0:3], 0 offset:56
	buffer_load_dword v5, off, s[0:3], 0 offset:48
	buffer_load_dword v8, off, s[0:3], 0 offset:40
	buffer_load_dword v7, off, s[0:3], 0 offset:68
	buffer_load_dword v9, off, s[0:3], 0 offset:88
	buffer_load_dword v10, off, s[0:3], 0 offset:80
	buffer_load_dword v11, off, s[0:3], 0 offset:72
	buffer_load_dword v129, off, s[0:3], 0 offset:64
	buffer_load_dword v127, off, s[0:3], 0 offset:76
	buffer_load_dword v128, off, s[0:3], 0 offset:84
	buffer_load_dword v126, off, s[0:3], 0 offset:92
	buffer_load_dword v12, off, s[0:3], 0 offset:100
	buffer_load_dword v130, off, s[0:3], 0 offset:120
	buffer_load_dword v131, off, s[0:3], 0 offset:112
	buffer_load_dword v132, off, s[0:3], 0 offset:104
	buffer_load_dword v137, off, s[0:3], 0 offset:96
	buffer_load_dword v136, off, s[0:3], 0 offset:108
	buffer_load_dword v135, off, s[0:3], 0 offset:116
	buffer_load_dword v133, off, s[0:3], 0 offset:124
	buffer_load_dword v134, off, s[0:3], 0 offset:132
	buffer_load_dword v138, off, s[0:3], 0 offset:152
	buffer_load_dword v139, off, s[0:3], 0 offset:144
	buffer_load_dword v140, off, s[0:3], 0 offset:136
	buffer_load_dword v145, off, s[0:3], 0 offset:128
	buffer_load_dword v144, off, s[0:3], 0 offset:140
	buffer_load_dword v143, off, s[0:3], 0 offset:148
	buffer_load_dword v142, off, s[0:3], 0 offset:156
	buffer_load_dword v141, off, s[0:3], 0 offset:164
	buffer_load_dword v146, off, s[0:3], 0 offset:172
	buffer_load_dword v147, off, s[0:3], 0 offset:184
	buffer_load_dword v148, off, s[0:3], 0 offset:176
	buffer_load_dword v150, off, s[0:3], 0 offset:168
	buffer_load_dword v154, off, s[0:3], 0 offset:160
	buffer_load_dword v152, off, s[0:3], 0 offset:180
	buffer_load_dword v149, off, s[0:3], 0 offset:188
	buffer_load_dword v153, off, s[0:3], 0 offset:196
	buffer_load_dword v151, off, s[0:3], 0 offset:216
	buffer_load_dword v157, off, s[0:3], 0 offset:208
	buffer_load_dword v158, off, s[0:3], 0 offset:200
	buffer_load_dword v161, off, s[0:3], 0 offset:192
	buffer_load_dword v160, off, s[0:3], 0 offset:204
	buffer_load_dword v159, off, s[0:3], 0 offset:212
	buffer_load_dword v155, off, s[0:3], 0 offset:220
	buffer_load_dword v156, off, s[0:3], 0 offset:228
	buffer_load_dword v162, off, s[0:3], 0 offset:248
	buffer_load_dword v163, off, s[0:3], 0 offset:252
	buffer_load_dword v164, off, s[0:3], 0 offset:240
	buffer_load_dword v166, off, s[0:3], 0 offset:232
	buffer_load_dword v169, off, s[0:3], 0 offset:224
	buffer_load_dword v168, off, s[0:3], 0 offset:236
	buffer_load_dword v165, off, s[0:3], 0 offset:244
	v_mov_b32_e32 v1, 0
	ds_read2_b64 v[170:173], v1 offset0:61 offset1:62
	ds_read2_b64 v[174:177], v1 offset0:63 offset1:64
	buffer_load_dword v167, off, s[0:3], 0 offset:36
	ds_read2_b64 v[178:181], v1 offset0:65 offset1:66
	ds_read2_b64 v[182:185], v1 offset0:67 offset1:68
	s_mov_b32 s4, exec_lo
	s_waitcnt vmcnt(54) lgkmcnt(3)
	v_mul_f32_e32 v186, v170, v2
	v_mul_f32_e32 v2, v171, v2
	s_waitcnt vmcnt(53)
	v_mul_f32_e32 v187, v172, v4
	v_mul_f32_e32 v4, v173, v4
	s_waitcnt vmcnt(52) lgkmcnt(2)
	v_mul_f32_e32 v188, v174, v6
	v_mul_f32_e32 v6, v175, v6
	s_waitcnt vmcnt(49)
	v_fma_f32 v189, v170, v8, -v2
	s_waitcnt vmcnt(48)
	v_mul_f32_e32 v2, v177, v7
	v_fmac_f32_e32 v186, v171, v8
	v_fmac_f32_e32 v187, v173, v5
	v_fma_f32 v191, v172, v5, -v4
	v_fmac_f32_e32 v188, v175, v3
	v_fma_f32 v174, v174, v3, -v6
	s_waitcnt vmcnt(44)
	v_fma_f32 v175, v176, v129, -v2
	ds_read2_b64 v[2:5], v1 offset0:69 offset1:70
	ds_read2_b64 v[170:173], v1 offset0:71 offset1:72
	v_mul_f32_e32 v190, v176, v7
	s_waitcnt vmcnt(43) lgkmcnt(3)
	v_mul_f32_e32 v176, v178, v127
	v_mul_f32_e32 v6, v179, v127
	s_waitcnt vmcnt(42)
	v_mul_f32_e32 v7, v181, v128
	s_waitcnt vmcnt(41) lgkmcnt(2)
	v_mul_f32_e32 v192, v182, v126
	v_fmac_f32_e32 v190, v177, v129
	v_mul_f32_e32 v177, v180, v128
	v_mul_f32_e32 v8, v183, v126
	v_fmac_f32_e32 v176, v179, v11
	v_fma_f32 v11, v178, v11, -v6
	s_waitcnt vmcnt(40)
	v_mul_f32_e32 v178, v184, v12
	v_mul_f32_e32 v6, v185, v12
	v_fmac_f32_e32 v177, v181, v10
	v_fma_f32 v10, v180, v10, -v7
	v_fmac_f32_e32 v192, v183, v9
	v_fma_f32 v12, v182, v9, -v8
	s_waitcnt vmcnt(36)
	v_fmac_f32_e32 v178, v185, v137
	v_fma_f32 v137, v184, v137, -v6
	ds_read2_b64 v[6:9], v1 offset0:73 offset1:74
	ds_read2_b64 v[126:129], v1 offset0:75 offset1:76
	s_waitcnt vmcnt(35) lgkmcnt(3)
	v_mul_f32_e32 v179, v2, v136
	v_mul_f32_e32 v136, v3, v136
	s_waitcnt vmcnt(34)
	v_mul_f32_e32 v180, v4, v135
	v_mul_f32_e32 v135, v5, v135
	s_waitcnt vmcnt(33) lgkmcnt(2)
	v_mul_f32_e32 v181, v170, v133
	v_fmac_f32_e32 v179, v3, v132
	v_fma_f32 v136, v2, v132, -v136
	s_waitcnt vmcnt(32)
	v_mul_f32_e32 v182, v172, v134
	v_mul_f32_e32 v2, v171, v133
	;; [unrolled: 1-line block ×3, first 2 shown]
	v_fmac_f32_e32 v180, v5, v131
	v_fma_f32 v134, v4, v131, -v135
	v_fmac_f32_e32 v181, v171, v130
	s_waitcnt vmcnt(28)
	v_fmac_f32_e32 v182, v173, v145
	v_fma_f32 v135, v170, v130, -v2
	v_fma_f32 v145, v172, v145, -v3
	ds_read2_b64 v[2:5], v1 offset0:77 offset1:78
	ds_read2_b64 v[130:133], v1 offset0:79 offset1:80
	s_waitcnt vmcnt(27) lgkmcnt(3)
	v_mul_f32_e32 v170, v6, v144
	v_mul_f32_e32 v144, v7, v144
	s_waitcnt vmcnt(26)
	v_mul_f32_e32 v171, v8, v143
	v_mul_f32_e32 v143, v9, v143
	s_waitcnt vmcnt(25) lgkmcnt(2)
	v_mul_f32_e32 v172, v126, v142
	v_fmac_f32_e32 v170, v7, v140
	v_fma_f32 v140, v6, v140, -v144
	v_fmac_f32_e32 v171, v9, v139
	v_fma_f32 v139, v8, v139, -v143
	s_clause 0x4
	buffer_load_dword v143, off, s[0:3], 0 offset:260
	buffer_load_dword v144, off, s[0:3], 0 offset:280
	;; [unrolled: 1-line block ×5, first 2 shown]
	v_mul_f32_e32 v142, v127, v142
	s_waitcnt vmcnt(29)
	v_mul_f32_e32 v6, v129, v141
	v_mul_f32_e32 v185, v128, v141
	v_fmac_f32_e32 v172, v127, v138
	v_fma_f32 v126, v126, v138, -v142
	s_waitcnt vmcnt(24)
	v_fma_f32 v128, v128, v154, -v6
	ds_read2_b64 v[6:9], v1 offset0:81 offset1:82
	buffer_load_dword v142, off, s[0:3], 0 offset:268
	s_waitcnt lgkmcnt(2)
	v_mul_f32_e32 v127, v2, v146
	v_mul_f32_e32 v138, v3, v146
	v_fmac_f32_e32 v185, v129, v154
	s_waitcnt vmcnt(24)
	v_mul_f32_e32 v129, v4, v152
	v_mul_f32_e32 v141, v5, v152
	v_fmac_f32_e32 v127, v3, v150
	v_fma_f32 v138, v2, v150, -v138
	s_waitcnt vmcnt(23) lgkmcnt(1)
	v_mul_f32_e32 v146, v130, v149
	v_mul_f32_e32 v2, v131, v149
	s_waitcnt vmcnt(22)
	v_mul_f32_e32 v3, v133, v153
	v_fmac_f32_e32 v129, v5, v148
	v_fma_f32 v141, v4, v148, -v141
	s_clause 0x1
	buffer_load_dword v148, off, s[0:3], 0 offset:276
	buffer_load_dword v149, off, s[0:3], 0 offset:284
	v_mul_f32_e32 v150, v132, v153
	v_fmac_f32_e32 v146, v131, v147
	v_fma_f32 v130, v130, v147, -v2
	s_clause 0x1
	buffer_load_dword v147, off, s[0:3], 0 offset:292
	buffer_load_dword v152, off, s[0:3], 0 offset:300
	v_add_f32_e32 v131, 0, v186
	s_waitcnt vmcnt(22)
	v_fma_f32 v132, v132, v161, -v3
	ds_read2_b64 v[2:5], v1 offset0:83 offset1:84
	v_fmac_f32_e32 v150, v133, v161
	s_waitcnt vmcnt(21) lgkmcnt(1)
	v_mul_f32_e32 v133, v6, v160
	v_mul_f32_e32 v153, v7, v160
	v_add_f32_e32 v131, v131, v187
	v_add_f32_e32 v160, 0, v189
	s_waitcnt vmcnt(20)
	v_mul_f32_e32 v154, v8, v159
	v_mul_f32_e32 v159, v9, v159
	v_fmac_f32_e32 v133, v7, v158
	v_fma_f32 v153, v6, v158, -v153
	v_add_f32_e32 v6, v160, v191
	v_add_f32_e32 v7, v131, v188
	v_fmac_f32_e32 v154, v9, v157
	v_fma_f32 v157, v8, v157, -v159
	s_clause 0x3
	buffer_load_dword v158, off, s[0:3], 0 offset:312
	buffer_load_dword v159, off, s[0:3], 0 offset:304
	;; [unrolled: 1-line block ×4, first 2 shown]
	v_add_f32_e32 v6, v6, v174
	v_add_f32_e32 v131, v7, v190
	s_clause 0x2
	buffer_load_dword v174, off, s[0:3], 0 offset:308
	buffer_load_dword v186, off, s[0:3], 0 offset:316
	;; [unrolled: 1-line block ×3, first 2 shown]
	v_add_f32_e32 v175, v6, v175
	ds_read2_b64 v[6:9], v1 offset0:85 offset1:86
	v_add_f32_e32 v131, v131, v176
	s_waitcnt vmcnt(26) lgkmcnt(1)
	v_mul_f32_e32 v176, v2, v155
	v_mul_f32_e32 v155, v3, v155
	v_add_f32_e32 v11, v175, v11
	s_waitcnt vmcnt(25)
	v_mul_f32_e32 v175, v4, v156
	v_mul_f32_e32 v156, v5, v156
	v_fmac_f32_e32 v176, v3, v151
	v_add_f32_e32 v3, v131, v177
	v_fma_f32 v131, v2, v151, -v155
	v_add_f32_e32 v2, v11, v10
	s_waitcnt vmcnt(20)
	v_fmac_f32_e32 v175, v5, v169
	v_fma_f32 v151, v4, v169, -v156
	v_add_f32_e32 v10, v3, v192
	s_clause 0x4
	buffer_load_dword v155, off, s[0:3], 0 offset:344
	buffer_load_dword v156, off, s[0:3], 0 offset:336
	;; [unrolled: 1-line block ×5, first 2 shown]
	v_add_f32_e32 v12, v2, v12
	ds_read2_b64 v[2:5], v1 offset0:87 offset1:88
	v_add_f32_e32 v10, v10, v178
	s_clause 0x1
	buffer_load_dword v178, off, s[0:3], 0 offset:340
	buffer_load_dword v189, off, s[0:3], 0 offset:348
	s_waitcnt vmcnt(26) lgkmcnt(1)
	v_mul_f32_e32 v188, v6, v168
	v_mul_f32_e32 v168, v7, v168
	v_add_f32_e32 v12, v12, v137
	v_add_f32_e32 v10, v10, v179
	buffer_load_dword v179, off, s[0:3], 0 offset:356
	v_fmac_f32_e32 v188, v7, v166
	v_fma_f32 v137, v6, v166, -v168
	s_waitcnt vmcnt(26)
	v_mul_f32_e32 v166, v8, v165
	v_add_f32_e32 v7, v10, v180
	v_mul_f32_e32 v10, v9, v165
	v_add_f32_e32 v6, v12, v136
	s_clause 0x2
	buffer_load_dword v12, off, s[0:3], 0 offset:364
	buffer_load_dword v168, off, s[0:3], 0 offset:372
	;; [unrolled: 1-line block ×3, first 2 shown]
	v_add_f32_e32 v7, v7, v181
	v_fmac_f32_e32 v166, v9, v164
	v_fma_f32 v10, v8, v164, -v10
	s_clause 0x1
	buffer_load_dword v164, off, s[0:3], 0 offset:388
	buffer_load_dword v180, off, s[0:3], 0 offset:396
	v_add_f32_e32 v6, v6, v134
	v_add_f32_e32 v7, v7, v182
	s_clause 0x2
	buffer_load_dword v181, off, s[0:3], 0 offset:404
	buffer_load_dword v182, off, s[0:3], 0 offset:412
	;; [unrolled: 1-line block ×3, first 2 shown]
	s_waitcnt lgkmcnt(0)
	v_mul_f32_e32 v134, v2, v163
	v_mul_f32_e32 v8, v3, v163
	v_add_f32_e32 v6, v6, v135
	v_add_f32_e32 v7, v7, v170
	s_clause 0x2
	buffer_load_dword v170, off, s[0:3], 0 offset:428
	buffer_load_dword v191, off, s[0:3], 0 offset:436
	;; [unrolled: 1-line block ×3, first 2 shown]
	v_fmac_f32_e32 v134, v3, v162
	v_fma_f32 v135, v2, v162, -v8
	v_add_f32_e32 v6, v6, v145
	v_add_f32_e32 v7, v7, v171
	s_clause 0x3
	buffer_load_dword v171, off, s[0:3], 0 offset:376
	buffer_load_dword v193, off, s[0:3], 0 offset:368
	;; [unrolled: 1-line block ×4, first 2 shown]
	v_add_f32_e32 v6, v6, v140
	v_add_f32_e32 v7, v7, v172
	;; [unrolled: 1-line block ×4, first 2 shown]
	s_clause 0x8
	buffer_load_dword v172, off, s[0:3], 0 offset:408
	buffer_load_dword v185, off, s[0:3], 0 offset:400
	;; [unrolled: 1-line block ×9, first 2 shown]
	v_add_f32_e32 v6, v6, v126
	v_add_f32_e32 v7, v7, v127
	;; [unrolled: 1-line block ×11, first 2 shown]
	ds_read2_b64 v[6:9], v1 offset0:89 offset1:90
	v_add_f32_e32 v130, v126, v154
	v_add_f32_e32 v127, v3, v153
	;; [unrolled: 1-line block ×4, first 2 shown]
	ds_read2_b64 v[126:129], v1 offset0:93 offset1:94
	v_add_f32_e32 v136, v130, v175
	v_add_f32_e32 v131, v132, v131
	s_waitcnt vmcnt(48)
	v_mul_f32_e32 v138, v4, v143
	v_mul_f32_e32 v2, v5, v143
	s_waitcnt vmcnt(44)
	v_fmac_f32_e32 v138, v5, v184
	v_fma_f32 v139, v4, v184, -v2
	ds_read2_b64 v[2:5], v1 offset0:91 offset1:92
	s_waitcnt vmcnt(43) lgkmcnt(2)
	v_mul_f32_e32 v133, v7, v142
	v_mul_f32_e32 v143, v6, v142
	v_fma_f32 v142, v6, v183, -v133
	v_add_f32_e32 v6, v131, v151
	v_fmac_f32_e32 v143, v7, v183
	v_add_f32_e32 v7, v136, v188
	ds_read2_b64 v[130:133], v1 offset0:95 offset1:96
	v_add_f32_e32 v6, v6, v137
	s_waitcnt vmcnt(42)
	v_mul_f32_e32 v145, v8, v148
	v_add_f32_e32 v7, v7, v166
	s_waitcnt vmcnt(41) lgkmcnt(1)
	v_mul_f32_e32 v146, v2, v149
	v_mul_f32_e32 v137, v3, v149
	v_add_f32_e32 v6, v6, v10
	s_waitcnt vmcnt(39)
	v_mul_f32_e32 v141, v127, v152
	v_mul_f32_e32 v136, v9, v148
	v_fmac_f32_e32 v146, v3, v144
	v_mul_f32_e32 v148, v4, v147
	v_add_f32_e32 v3, v6, v135
	v_mul_f32_e32 v140, v5, v147
	v_mul_f32_e32 v147, v126, v152
	v_fma_f32 v149, v2, v144, -v137
	v_add_f32_e32 v2, v7, v134
	v_fma_f32 v10, v8, v173, -v136
	v_fmac_f32_e32 v145, v9, v173
	ds_read2_b64 v[6:9], v1 offset0:97 offset1:98
	ds_read2_b64 v[134:137], v1 offset0:99 offset1:100
	s_waitcnt vmcnt(36)
	v_fma_f32 v151, v126, v160, -v141
	v_add_f32_e32 v126, v3, v139
	v_fmac_f32_e32 v147, v127, v160
	v_add_f32_e32 v127, v2, v138
	s_waitcnt vmcnt(35)
	v_fma_f32 v150, v4, v161, -v140
	v_fmac_f32_e32 v148, v5, v161
	v_add_f32_e32 v126, v126, v142
	s_waitcnt vmcnt(34)
	v_mul_f32_e32 v152, v128, v174
	v_add_f32_e32 v127, v127, v143
	v_mul_f32_e32 v143, v129, v174
	s_waitcnt vmcnt(33) lgkmcnt(2)
	v_mul_f32_e32 v153, v130, v186
	v_add_f32_e32 v10, v126, v10
	v_mul_f32_e32 v142, v131, v186
	v_add_f32_e32 v127, v127, v145
	v_fmac_f32_e32 v152, v129, v159
	v_fma_f32 v159, v128, v159, -v143
	v_add_f32_e32 v149, v10, v149
	s_waitcnt vmcnt(32)
	v_mul_f32_e32 v157, v133, v187
	v_add_f32_e32 v146, v127, v146
	v_fmac_f32_e32 v153, v131, v158
	v_fma_f32 v158, v130, v158, -v142
	v_add_f32_e32 v149, v149, v150
	v_mul_f32_e32 v154, v132, v187
	v_add_f32_e32 v146, v146, v148
	s_waitcnt vmcnt(28)
	v_fma_f32 v157, v132, v11, -v157
	s_waitcnt vmcnt(27) lgkmcnt(1)
	v_mul_f32_e32 v160, v7, v177
	v_add_f32_e32 v149, v149, v151
	ds_read2_b64 v[2:5], v1 offset0:101 offset1:102
	ds_read2_b64 v[138:141], v1 offset0:103 offset1:104
	v_add_f32_e32 v146, v146, v147
	v_fmac_f32_e32 v154, v133, v11
	v_mul_f32_e32 v148, v6, v177
	v_add_f32_e32 v149, v149, v159
	s_waitcnt vmcnt(26)
	v_mul_f32_e32 v161, v9, v178
	v_add_f32_e32 v146, v146, v152
	v_fma_f32 v6, v6, v169, -v160
	v_mul_f32_e32 v150, v8, v178
	v_add_f32_e32 v149, v149, v158
	v_fmac_f32_e32 v148, v7, v169
	v_add_f32_e32 v146, v146, v153
	s_waitcnt vmcnt(25) lgkmcnt(2)
	v_mul_f32_e32 v160, v135, v189
	v_fma_f32 v8, v8, v156, -v161
	v_add_f32_e32 v149, v149, v157
	v_mul_f32_e32 v147, v134, v189
	v_add_f32_e32 v146, v146, v154
	v_fmac_f32_e32 v150, v9, v156
	s_waitcnt vmcnt(24)
	v_mul_f32_e32 v154, v137, v179
	v_add_f32_e32 v6, v149, v6
	v_fma_f32 v134, v134, v155, -v160
	v_add_f32_e32 v146, v146, v148
	v_mul_f32_e32 v151, v136, v179
	v_fmac_f32_e32 v147, v135, v155
	v_add_f32_e32 v6, v6, v8
	s_waitcnt vmcnt(23) lgkmcnt(1)
	v_mul_f32_e32 v7, v2, v12
	v_add_f32_e32 v8, v146, v150
	v_mul_f32_e32 v12, v3, v12
	ds_read2_b64 v[126:129], v1 offset0:105 offset1:106
	ds_read2_b64 v[142:145], v1 offset0:107 offset1:108
	v_add_f32_e32 v6, v6, v134
	s_waitcnt vmcnt(9)
	v_fma_f32 v135, v136, v195, -v154
	v_fmac_f32_e32 v151, v137, v195
	v_add_f32_e32 v8, v8, v147
	v_mul_f32_e32 v134, v5, v168
	v_fmac_f32_e32 v7, v3, v194
	v_fma_f32 v2, v2, v194, -v12
	v_add_f32_e32 v3, v6, v135
	v_mul_f32_e32 v152, v4, v168
	v_add_f32_e32 v6, v8, v151
	s_waitcnt lgkmcnt(2)
	v_mul_f32_e32 v8, v139, v165
	v_fma_f32 v4, v4, v193, -v134
	v_add_f32_e32 v2, v3, v2
	v_mul_f32_e32 v159, v138, v165
	v_fmac_f32_e32 v152, v5, v193
	v_add_f32_e32 v3, v6, v7
	v_mul_f32_e32 v5, v141, v164
	v_fma_f32 v6, v138, v171, -v8
	v_add_f32_e32 v2, v2, v4
	v_mul_f32_e32 v9, v140, v164
	v_fmac_f32_e32 v159, v139, v171
	v_add_f32_e32 v3, v3, v152
	s_waitcnt lgkmcnt(1)
	v_mul_f32_e32 v4, v127, v180
	s_waitcnt vmcnt(5)
	v_fma_f32 v5, v140, v197, -v5
	v_add_f32_e32 v2, v2, v6
	ds_read2_b64 v[130:133], v1 offset0:109 offset1:110
	ds_read_b64 v[10:11], v1 offset:888
	v_mul_f32_e32 v156, v126, v180
	v_fmac_f32_e32 v9, v141, v197
	v_add_f32_e32 v3, v3, v159
	v_mul_f32_e32 v6, v129, v181
	v_fma_f32 v4, v126, v196, -v4
	v_add_f32_e32 v2, v2, v5
	v_mul_f32_e32 v153, v128, v181
	v_fmac_f32_e32 v156, v127, v196
	v_add_f32_e32 v3, v3, v9
	s_waitcnt lgkmcnt(2)
	v_mul_f32_e32 v5, v143, v182
	v_fma_f32 v6, v128, v185, -v6
	v_add_f32_e32 v2, v2, v4
	v_mul_f32_e32 v158, v142, v182
	v_fmac_f32_e32 v153, v129, v185
	v_add_f32_e32 v3, v3, v156
	v_mul_f32_e32 v4, v145, v190
	v_fma_f32 v5, v142, v172, -v5
	v_add_f32_e32 v2, v2, v6
	v_mul_f32_e32 v161, v144, v190
	v_fmac_f32_e32 v158, v143, v172
	v_add_f32_e32 v3, v3, v153
	s_waitcnt lgkmcnt(1)
	v_mul_f32_e32 v6, v131, v170
	s_waitcnt vmcnt(1)
	v_fma_f32 v4, v144, v201, -v4
	v_add_f32_e32 v2, v2, v5
	v_mul_f32_e32 v157, v130, v170
	v_fmac_f32_e32 v161, v145, v201
	v_add_f32_e32 v3, v3, v158
	v_mul_f32_e32 v5, v133, v191
	v_fma_f32 v6, v130, v200, -v6
	v_add_f32_e32 v2, v2, v4
	v_mul_f32_e32 v162, v132, v191
	v_fmac_f32_e32 v157, v131, v200
	v_add_f32_e32 v3, v3, v161
	s_waitcnt lgkmcnt(0)
	v_mul_f32_e32 v4, v11, v192
	v_fma_f32 v5, v132, v199, -v5
	v_add_f32_e32 v2, v2, v6
	v_mul_f32_e32 v148, v10, v192
	v_fmac_f32_e32 v162, v133, v199
	v_add_f32_e32 v3, v3, v157
	v_fma_f32 v4, v10, v198, -v4
	v_add_f32_e32 v2, v2, v5
	v_fmac_f32_e32 v148, v11, v198
	v_add_f32_e32 v3, v3, v162
	v_add_f32_e32 v2, v2, v4
	;; [unrolled: 1-line block ×3, first 2 shown]
	s_waitcnt vmcnt(0)
	v_sub_f32_e32 v2, v202, v2
	v_sub_f32_e32 v3, v167, v3
	buffer_store_dword v2, off, s[0:3], 0 offset:32
	buffer_store_dword v3, off, s[0:3], 0 offset:36
	v_cmpx_lt_u32_e32 3, v0
	s_cbranch_execz .LBB55_343
; %bb.342:
	s_clause 0x1
	buffer_load_dword v2, off, s[0:3], 0 offset:24
	buffer_load_dword v3, off, s[0:3], 0 offset:28
	buffer_store_dword v1, off, s[0:3], 0 offset:24
	buffer_store_dword v1, off, s[0:3], 0 offset:28
	s_waitcnt vmcnt(0)
	ds_write_b64 v125, v[2:3]
.LBB55_343:
	s_or_b32 exec_lo, exec_lo, s4
	s_waitcnt lgkmcnt(0)
	s_waitcnt_vscnt null, 0x0
	s_barrier
	buffer_gl0_inv
	s_clause 0x3b
	buffer_load_dword v161, off, s[0:3], 0 offset:36
	buffer_load_dword v2, off, s[0:3], 0 offset:48
	;; [unrolled: 1-line block ×60, first 2 shown]
	ds_read_b128 v[175:178], v1 offset:480
	ds_read_b128 v[179:182], v1 offset:496
	ds_read_b128 v[183:186], v1 offset:512
	s_mov_b32 s4, exec_lo
	s_waitcnt vmcnt(59) lgkmcnt(2)
	v_mul_f32_e32 v187, v175, v161
	v_mul_f32_e32 v188, v176, v161
	buffer_load_dword v161, off, s[0:3], 0 offset:28
	s_waitcnt vmcnt(56)
	v_mul_f32_e32 v189, v177, v6
	v_mul_f32_e32 v6, v178, v6
	v_fmac_f32_e32 v187, v176, v7
	v_fma_f32 v188, v175, v7, -v188
	s_waitcnt vmcnt(55) lgkmcnt(1)
	v_mul_f32_e32 v191, v179, v5
	v_fmac_f32_e32 v189, v178, v4
	v_fma_f32 v190, v177, v4, -v6
	v_mul_f32_e32 v175, v180, v5
	ds_read_b128 v[4:7], v1 offset:528
	v_fmac_f32_e32 v191, v180, v2
	s_waitcnt vmcnt(49) lgkmcnt(1)
	v_mul_f32_e32 v195, v183, v127
	v_mul_f32_e32 v193, v181, v3
	v_fma_f32 v192, v179, v2, -v175
	v_mul_f32_e32 v2, v182, v3
	ds_read_b128 v[175:178], v1 offset:544
	v_fmac_f32_e32 v195, v184, v12
	v_fmac_f32_e32 v193, v182, v128
	v_fma_f32 v194, v181, v128, -v2
	v_mul_f32_e32 v2, v184, v127
	ds_read_b128 v[179:182], v1 offset:560
	v_fma_f32 v12, v183, v12, -v2
	s_waitcnt vmcnt(48)
	v_mul_f32_e32 v183, v185, v126
	v_mul_f32_e32 v2, v186, v126
	s_waitcnt vmcnt(47) lgkmcnt(2)
	v_mul_f32_e32 v184, v4, v11
	v_fmac_f32_e32 v183, v186, v10
	v_fma_f32 v10, v185, v10, -v2
	v_mul_f32_e32 v2, v5, v11
	s_waitcnt vmcnt(46)
	v_mul_f32_e32 v185, v6, v9
	v_fmac_f32_e32 v184, v5, v8
	s_waitcnt vmcnt(41) lgkmcnt(1)
	v_mul_f32_e32 v186, v175, v135
	v_fma_f32 v11, v4, v8, -v2
	v_mul_f32_e32 v2, v7, v9
	v_fmac_f32_e32 v185, v7, v136
	v_fmac_f32_e32 v186, v176, v133
	s_waitcnt vmcnt(39) lgkmcnt(0)
	v_mul_f32_e32 v126, v180, v132
	v_fma_f32 v136, v6, v136, -v2
	v_mul_f32_e32 v6, v176, v135
	ds_read_b128 v[2:5], v1 offset:576
	v_mul_f32_e32 v135, v177, v134
	v_fma_f32 v133, v175, v133, -v6
	v_mul_f32_e32 v6, v178, v134
	v_fmac_f32_e32 v135, v178, v131
	v_mul_f32_e32 v134, v179, v132
	v_fma_f32 v132, v179, v129, -v126
	s_waitcnt vmcnt(38)
	v_mul_f32_e32 v175, v181, v130
	v_fma_f32 v131, v177, v131, -v6
	ds_read_b128 v[6:9], v1 offset:592
	v_mul_f32_e32 v126, v182, v130
	v_fmac_f32_e32 v134, v180, v129
	s_waitcnt vmcnt(34)
	v_fmac_f32_e32 v175, v182, v143
	v_fma_f32 v130, v181, v143, -v126
	ds_read_b128 v[126:129], v1 offset:608
	s_waitcnt vmcnt(33) lgkmcnt(2)
	v_mul_f32_e32 v143, v2, v142
	v_mul_f32_e32 v142, v3, v142
	v_fmac_f32_e32 v143, v3, v140
	v_fma_f32 v140, v2, v140, -v142
	s_waitcnt vmcnt(32)
	v_mul_f32_e32 v142, v4, v141
	v_mul_f32_e32 v2, v5, v141
	s_waitcnt vmcnt(31) lgkmcnt(1)
	v_mul_f32_e32 v141, v6, v139
	v_fmac_f32_e32 v142, v5, v138
	v_fma_f32 v138, v4, v138, -v2
	v_mul_f32_e32 v2, v7, v139
	s_waitcnt vmcnt(30)
	v_mul_f32_e32 v139, v8, v144
	v_mul_f32_e32 v144, v9, v144
	v_fmac_f32_e32 v141, v7, v137
	v_fma_f32 v137, v6, v137, -v2
	ds_read_b128 v[2:5], v1 offset:624
	s_waitcnt vmcnt(26)
	v_fmac_f32_e32 v139, v9, v152
	v_fma_f32 v144, v8, v152, -v144
	ds_read_b128 v[6:9], v1 offset:640
	s_waitcnt vmcnt(25) lgkmcnt(2)
	v_mul_f32_e32 v152, v126, v150
	v_mul_f32_e32 v150, v127, v150
	v_fmac_f32_e32 v152, v127, v148
	s_waitcnt vmcnt(24)
	v_mul_f32_e32 v127, v128, v149
	v_fma_f32 v126, v126, v148, -v150
	v_mul_f32_e32 v148, v129, v149
	buffer_load_dword v150, off, s[0:3], 0 offset:276
	v_fmac_f32_e32 v127, v129, v146
	buffer_load_dword v129, off, s[0:3], 0 offset:268
	v_fma_f32 v128, v128, v146, -v148
	s_waitcnt vmcnt(25) lgkmcnt(1)
	v_mul_f32_e32 v146, v2, v147
	v_mul_f32_e32 v147, v3, v147
	s_waitcnt vmcnt(24)
	v_mul_f32_e32 v148, v4, v151
	v_mul_f32_e32 v149, v5, v151
	v_fmac_f32_e32 v146, v3, v145
	v_fma_f32 v145, v2, v145, -v147
	s_waitcnt vmcnt(20)
	v_fmac_f32_e32 v148, v5, v160
	v_fma_f32 v147, v4, v160, -v149
	ds_read_b128 v[2:5], v1 offset:656
	s_waitcnt vmcnt(19) lgkmcnt(1)
	v_mul_f32_e32 v149, v6, v159
	v_mul_f32_e32 v151, v7, v159
	s_waitcnt vmcnt(18)
	v_mul_f32_e32 v159, v8, v158
	v_mul_f32_e32 v158, v9, v158
	buffer_load_dword v160, off, s[0:3], 0 offset:284
	v_fmac_f32_e32 v149, v7, v157
	v_fma_f32 v151, v6, v157, -v151
	v_add_f32_e32 v6, 0, v187
	v_add_f32_e32 v7, 0, v188
	v_fmac_f32_e32 v159, v9, v156
	v_fma_f32 v156, v8, v156, -v158
	s_clause 0x3
	buffer_load_dword v157, off, s[0:3], 0 offset:304
	buffer_load_dword v158, off, s[0:3], 0 offset:296
	;; [unrolled: 1-line block ×4, first 2 shown]
	v_add_f32_e32 v6, v6, v189
	v_add_f32_e32 v7, v7, v190
	s_clause 0x3
	buffer_load_dword v178, off, s[0:3], 0 offset:292
	buffer_load_dword v179, off, s[0:3], 0 offset:300
	;; [unrolled: 1-line block ×4, first 2 shown]
	v_add_f32_e32 v6, v6, v191
	v_add_f32_e32 v7, v7, v192
	s_waitcnt vmcnt(26) lgkmcnt(0)
	v_mul_f32_e32 v182, v2, v154
	v_mul_f32_e32 v8, v3, v154
	s_waitcnt vmcnt(25)
	v_mul_f32_e32 v154, v4, v155
	v_add_f32_e32 v6, v6, v193
	v_add_f32_e32 v7, v7, v194
	v_mul_f32_e32 v9, v5, v155
	v_fmac_f32_e32 v182, v3, v153
	v_fma_f32 v153, v2, v153, -v8
	v_add_f32_e32 v6, v6, v195
	v_add_f32_e32 v7, v7, v12
	s_waitcnt vmcnt(20)
	v_fmac_f32_e32 v154, v5, v169
	v_fma_f32 v155, v4, v169, -v9
	ds_read_b128 v[2:5], v1 offset:672
	v_add_f32_e32 v6, v6, v183
	v_add_f32_e32 v7, v7, v10
	s_clause 0x3
	buffer_load_dword v12, off, s[0:3], 0 offset:336
	buffer_load_dword v169, off, s[0:3], 0 offset:328
	;; [unrolled: 1-line block ×4, first 2 shown]
	v_add_f32_e32 v6, v6, v184
	v_add_f32_e32 v10, v7, v11
	s_clause 0x2
	buffer_load_dword v11, off, s[0:3], 0 offset:324
	buffer_load_dword v183, off, s[0:3], 0 offset:332
	;; [unrolled: 1-line block ×3, first 2 shown]
	v_add_f32_e32 v185, v6, v185
	ds_read_b128 v[6:9], v1 offset:688
	v_add_f32_e32 v10, v10, v136
	v_add_f32_e32 v185, v185, v186
	;; [unrolled: 1-line block ×3, first 2 shown]
	s_waitcnt vmcnt(26) lgkmcnt(1)
	v_mul_f32_e32 v136, v2, v168
	v_mul_f32_e32 v168, v3, v168
	s_waitcnt vmcnt(25)
	v_mul_f32_e32 v133, v5, v167
	v_mul_f32_e32 v186, v4, v167
	v_fmac_f32_e32 v136, v3, v166
	v_fma_f32 v166, v2, v166, -v168
	v_add_f32_e32 v2, v185, v135
	v_add_f32_e32 v3, v10, v131
	v_fma_f32 v135, v4, v164, -v133
	s_clause 0x3
	buffer_load_dword v10, off, s[0:3], 0 offset:348
	buffer_load_dword v167, off, s[0:3], 0 offset:356
	buffer_load_dword v168, off, s[0:3], 0 offset:364
	buffer_load_dword v185, off, s[0:3], 0 offset:372
	v_fmac_f32_e32 v186, v5, v164
	v_add_f32_e32 v2, v2, v134
	v_add_f32_e32 v3, v3, v132
	s_waitcnt lgkmcnt(0)
	v_mul_f32_e32 v134, v6, v163
	v_mul_f32_e32 v4, v7, v163
	s_clause 0x3
	buffer_load_dword v164, off, s[0:3], 0 offset:380
	buffer_load_dword v189, off, s[0:3], 0 offset:388
	;; [unrolled: 1-line block ×4, first 2 shown]
	v_add_f32_e32 v2, v2, v175
	v_add_f32_e32 v3, v3, v130
	s_clause 0x4
	buffer_load_dword v175, off, s[0:3], 0 offset:412
	buffer_load_dword v192, off, s[0:3], 0 offset:420
	;; [unrolled: 1-line block ×5, first 2 shown]
	v_fmac_f32_e32 v134, v7, v162
	v_add_f32_e32 v2, v2, v143
	v_add_f32_e32 v3, v3, v140
	v_fma_f32 v140, v6, v162, -v4
	s_clause 0x3
	buffer_load_dword v162, off, s[0:3], 0 offset:368
	buffer_load_dword v195, off, s[0:3], 0 offset:360
	;; [unrolled: 1-line block ×4, first 2 shown]
	v_add_f32_e32 v6, v2, v142
	v_add_f32_e32 v2, v3, v138
	;; [unrolled: 1-line block ×4, first 2 shown]
	s_waitcnt vmcnt(41)
	v_mul_f32_e32 v2, v9, v165
	v_mul_f32_e32 v137, v8, v165
	v_add_f32_e32 v6, v6, v139
	v_add_f32_e32 v7, v7, v144
	s_waitcnt vmcnt(37)
	v_fma_f32 v138, v8, v174, -v2
	ds_read_b128 v[2:5], v1 offset:704
	v_fmac_f32_e32 v137, v9, v174
	s_clause 0x3
	buffer_load_dword v165, off, s[0:3], 0 offset:400
	buffer_load_dword v174, off, s[0:3], 0 offset:392
	;; [unrolled: 1-line block ×4, first 2 shown]
	v_add_f32_e32 v7, v7, v126
	v_add_f32_e32 v6, v6, v152
	;; [unrolled: 1-line block ×4, first 2 shown]
	ds_read_b128 v[6:9], v1 offset:720
	v_add_f32_e32 v126, v126, v145
	v_add_f32_e32 v127, v127, v146
	s_waitcnt vmcnt(40) lgkmcnt(1)
	v_mul_f32_e32 v139, v2, v173
	v_mul_f32_e32 v128, v3, v173
	v_fmac_f32_e32 v139, v3, v172
	v_fma_f32 v141, v2, v172, -v128
	v_add_f32_e32 v2, v126, v147
	v_add_f32_e32 v3, v127, v148
	s_clause 0x3
	buffer_load_dword v146, off, s[0:3], 0 offset:432
	buffer_load_dword v147, off, s[0:3], 0 offset:424
	;; [unrolled: 1-line block ×4, first 2 shown]
	v_add_f32_e32 v2, v2, v151
	buffer_load_dword v151, off, s[0:3], 0 offset:440
	v_add_f32_e32 v3, v3, v149
	buffer_load_dword v149, off, s[0:3], 0 offset:24
	v_add_f32_e32 v2, v2, v156
	v_add_f32_e32 v127, v3, v159
	;; [unrolled: 1-line block ×13, first 2 shown]
	s_waitcnt vmcnt(44) lgkmcnt(0)
	v_mul_f32_e32 v144, v6, v150
	v_mul_f32_e32 v132, v7, v150
	s_waitcnt vmcnt(43)
	v_mul_f32_e32 v142, v4, v129
	v_mul_f32_e32 v126, v5, v129
	v_fmac_f32_e32 v144, v7, v170
	v_fma_f32 v150, v6, v170, -v132
	v_fmac_f32_e32 v142, v5, v171
	v_fma_f32 v143, v4, v171, -v126
	ds_read_b128 v[2:5], v1 offset:736
	ds_read_b128 v[126:129], v1 offset:752
	v_add_f32_e32 v171, v138, v141
	v_add_f32_e32 v143, v171, v143
	s_waitcnt vmcnt(42)
	v_mul_f32_e32 v145, v8, v160
	v_mul_f32_e32 v133, v9, v160
	s_waitcnt vmcnt(38)
	v_fmac_f32_e32 v145, v9, v177
	v_fma_f32 v154, v8, v177, -v133
	ds_read_b128 v[6:9], v1 offset:768
	ds_read_b128 v[130:133], v1 offset:784
	s_waitcnt vmcnt(36) lgkmcnt(3)
	v_mul_f32_e32 v156, v4, v179
	v_mul_f32_e32 v159, v5, v179
	;; [unrolled: 1-line block ×4, first 2 shown]
	s_waitcnt vmcnt(35) lgkmcnt(2)
	v_mul_f32_e32 v160, v126, v180
	v_fmac_f32_e32 v156, v5, v158
	v_fma_f32 v158, v4, v158, -v159
	v_add_f32_e32 v159, v134, v137
	v_fma_f32 v155, v2, v176, -v155
	v_fmac_f32_e32 v153, v3, v176
	v_mul_f32_e32 v140, v127, v180
	s_waitcnt vmcnt(34)
	v_mul_f32_e32 v170, v129, v181
	v_add_f32_e32 v159, v159, v139
	v_fmac_f32_e32 v160, v127, v157
	v_mul_f32_e32 v166, v128, v181
	v_fma_f32 v157, v126, v157, -v140
	ds_read_b128 v[2:5], v1 offset:800
	ds_read_b128 v[134:137], v1 offset:816
	v_add_f32_e32 v142, v159, v142
	s_waitcnt vmcnt(30)
	v_fma_f32 v170, v128, v188, -v170
	v_fmac_f32_e32 v166, v129, v188
	v_add_f32_e32 v142, v142, v144
	s_waitcnt vmcnt(29) lgkmcnt(3)
	v_mul_f32_e32 v171, v6, v11
	v_mul_f32_e32 v11, v7, v11
	s_waitcnt vmcnt(28)
	v_mul_f32_e32 v159, v8, v183
	v_mul_f32_e32 v172, v9, v183
	ds_read_b128 v[126:129], v1 offset:832
	ds_read_b128 v[138:141], v1 offset:848
	v_fmac_f32_e32 v171, v7, v187
	v_add_f32_e32 v7, v143, v150
	v_fmac_f32_e32 v159, v9, v169
	v_fma_f32 v150, v8, v169, -v172
	v_add_f32_e32 v169, v142, v145
	v_fma_f32 v11, v6, v187, -v11
	v_add_f32_e32 v154, v7, v154
	ds_read_b128 v[6:9], v1 offset:864
	ds_read_b128 v[142:145], v1 offset:880
	s_waitcnt vmcnt(27) lgkmcnt(6)
	v_mul_f32_e32 v1, v130, v184
	v_add_f32_e32 v153, v169, v153
	v_add_f32_e32 v154, v154, v155
	v_mul_f32_e32 v155, v131, v184
	v_fmac_f32_e32 v1, v131, v12
	v_add_f32_e32 v153, v153, v156
	v_add_f32_e32 v154, v154, v158
	s_waitcnt vmcnt(26)
	v_mul_f32_e32 v169, v132, v10
	v_mul_f32_e32 v10, v133, v10
	v_add_f32_e32 v153, v153, v160
	v_fma_f32 v12, v130, v12, -v155
	v_add_f32_e32 v154, v154, v157
	s_waitcnt vmcnt(25) lgkmcnt(5)
	v_mul_f32_e32 v158, v2, v167
	s_waitcnt vmcnt(24)
	v_mul_f32_e32 v156, v4, v168
	v_add_f32_e32 v153, v153, v166
	s_waitcnt vmcnt(23) lgkmcnt(4)
	v_mul_f32_e32 v172, v134, v185
	v_add_f32_e32 v154, v154, v170
	s_waitcnt vmcnt(22)
	v_mul_f32_e32 v157, v136, v164
	s_waitcnt vmcnt(21) lgkmcnt(3)
	v_mul_f32_e32 v160, v126, v189
	v_add_f32_e32 v153, v153, v171
	s_waitcnt vmcnt(20)
	v_mul_f32_e32 v173, v128, v190
	v_add_f32_e32 v11, v154, v11
	s_waitcnt vmcnt(12)
	v_fmac_f32_e32 v156, v5, v195
	s_waitcnt vmcnt(11)
	v_fmac_f32_e32 v158, v3, v196
	v_add_f32_e32 v131, v153, v159
	s_waitcnt vmcnt(10)
	v_fma_f32 v10, v132, v197, -v10
	v_add_f32_e32 v11, v11, v150
	v_mul_f32_e32 v150, v3, v167
	v_fmac_f32_e32 v169, v133, v197
	v_add_f32_e32 v1, v131, v1
	v_fmac_f32_e32 v172, v135, v162
	v_add_f32_e32 v11, v11, v12
	v_mul_f32_e32 v12, v5, v168
	v_fma_f32 v2, v2, v196, -v150
	v_add_f32_e32 v1, v1, v169
	s_waitcnt lgkmcnt(2)
	v_mul_f32_e32 v170, v138, v191
	v_add_f32_e32 v3, v11, v10
	v_mul_f32_e32 v10, v135, v185
	v_fma_f32 v4, v4, v195, -v12
	v_add_f32_e32 v1, v1, v158
	s_waitcnt vmcnt(7)
	v_fmac_f32_e32 v160, v127, v198
	v_add_f32_e32 v2, v3, v2
	v_mul_f32_e32 v3, v137, v164
	v_fma_f32 v5, v134, v162, -v10
	v_add_f32_e32 v1, v1, v156
	s_waitcnt vmcnt(6)
	v_fmac_f32_e32 v157, v137, v199
	v_add_f32_e32 v2, v2, v4
	v_mul_f32_e32 v4, v127, v189
	v_fma_f32 v3, v136, v199, -v3
	v_add_f32_e32 v1, v1, v172
	v_fmac_f32_e32 v173, v129, v174
	v_add_f32_e32 v2, v2, v5
	v_mul_f32_e32 v5, v129, v190
	v_fma_f32 v4, v126, v198, -v4
	v_add_f32_e32 v1, v1, v157
	v_mul_f32_e32 v166, v140, v175
	v_add_f32_e32 v2, v2, v3
	v_mul_f32_e32 v3, v139, v191
	v_fma_f32 v5, v128, v174, -v5
	v_add_f32_e32 v1, v1, v160
	v_fmac_f32_e32 v170, v139, v165
	v_add_f32_e32 v2, v2, v4
	v_mul_f32_e32 v4, v141, v175
	v_fma_f32 v3, v138, v165, -v3
	v_add_f32_e32 v1, v1, v173
	s_waitcnt lgkmcnt(1)
	v_mul_f32_e32 v176, v6, v192
	v_add_f32_e32 v2, v2, v5
	v_mul_f32_e32 v5, v7, v192
	s_waitcnt vmcnt(2)
	v_fma_f32 v4, v140, v152, -v4
	v_fmac_f32_e32 v166, v141, v152
	v_add_f32_e32 v1, v1, v170
	v_add_f32_e32 v2, v2, v3
	v_mul_f32_e32 v3, v9, v193
	v_fma_f32 v5, v6, v148, -v5
	v_mul_f32_e32 v154, v8, v193
	v_fmac_f32_e32 v176, v7, v148
	v_add_f32_e32 v2, v2, v4
	v_add_f32_e32 v1, v1, v166
	s_waitcnt lgkmcnt(0)
	v_mul_f32_e32 v4, v143, v194
	v_fma_f32 v3, v8, v147, -v3
	v_mul_f32_e32 v171, v142, v194
	v_add_f32_e32 v2, v2, v5
	v_fmac_f32_e32 v154, v9, v147
	v_add_f32_e32 v1, v1, v176
	v_mul_f32_e32 v5, v145, v163
	v_fma_f32 v4, v142, v146, -v4
	v_add_f32_e32 v2, v2, v3
	v_mul_f32_e32 v130, v144, v163
	v_fmac_f32_e32 v171, v143, v146
	v_add_f32_e32 v1, v1, v154
	s_waitcnt vmcnt(1)
	v_fma_f32 v3, v144, v151, -v5
	v_add_f32_e32 v2, v2, v4
	v_fmac_f32_e32 v130, v145, v151
	v_add_f32_e32 v1, v1, v171
	v_add_f32_e32 v2, v2, v3
	;; [unrolled: 1-line block ×3, first 2 shown]
	s_waitcnt vmcnt(0)
	v_sub_f32_e32 v2, v149, v2
	v_sub_f32_e32 v1, v161, v1
	buffer_store_dword v2, off, s[0:3], 0 offset:24
	buffer_store_dword v1, off, s[0:3], 0 offset:28
	v_cmpx_lt_u32_e32 2, v0
	s_cbranch_execz .LBB55_345
; %bb.344:
	s_clause 0x1
	buffer_load_dword v1, off, s[0:3], 0 offset:16
	buffer_load_dword v2, off, s[0:3], 0 offset:20
	v_mov_b32_e32 v3, 0
	buffer_store_dword v3, off, s[0:3], 0 offset:16
	buffer_store_dword v3, off, s[0:3], 0 offset:20
	s_waitcnt vmcnt(0)
	ds_write_b64 v125, v[1:2]
.LBB55_345:
	s_or_b32 exec_lo, exec_lo, s4
	s_waitcnt lgkmcnt(0)
	s_waitcnt_vscnt null, 0x0
	s_barrier
	buffer_gl0_inv
	s_clause 0x3b
	buffer_load_dword v161, off, s[0:3], 0 offset:28
	buffer_load_dword v2, off, s[0:3], 0 offset:40
	;; [unrolled: 1-line block ×60, first 2 shown]
	v_mov_b32_e32 v1, 0
	ds_read2_b64 v[175:178], v1 offset0:59 offset1:60
	ds_read2_b64 v[179:182], v1 offset0:61 offset1:62
	;; [unrolled: 1-line block ×3, first 2 shown]
	s_mov_b32 s4, exec_lo
	s_waitcnt vmcnt(59) lgkmcnt(2)
	v_mul_f32_e32 v187, v175, v161
	v_mul_f32_e32 v188, v176, v161
	buffer_load_dword v161, off, s[0:3], 0 offset:20
	s_waitcnt vmcnt(56)
	v_mul_f32_e32 v189, v177, v6
	v_mul_f32_e32 v6, v178, v6
	v_fmac_f32_e32 v187, v176, v7
	v_fma_f32 v188, v175, v7, -v188
	s_waitcnt vmcnt(55) lgkmcnt(1)
	v_mul_f32_e32 v191, v179, v5
	v_fmac_f32_e32 v189, v178, v4
	v_fma_f32 v190, v177, v4, -v6
	v_mul_f32_e32 v175, v180, v5
	ds_read2_b64 v[4:7], v1 offset0:65 offset1:66
	v_fmac_f32_e32 v191, v180, v2
	s_waitcnt vmcnt(49) lgkmcnt(1)
	v_mul_f32_e32 v195, v183, v127
	v_mul_f32_e32 v193, v181, v3
	v_fma_f32 v192, v179, v2, -v175
	v_mul_f32_e32 v2, v182, v3
	ds_read2_b64 v[175:178], v1 offset0:67 offset1:68
	v_fmac_f32_e32 v195, v184, v12
	v_fmac_f32_e32 v193, v182, v128
	v_fma_f32 v194, v181, v128, -v2
	v_mul_f32_e32 v2, v184, v127
	ds_read2_b64 v[179:182], v1 offset0:69 offset1:70
	v_fma_f32 v12, v183, v12, -v2
	s_waitcnt vmcnt(48)
	v_mul_f32_e32 v183, v185, v126
	v_mul_f32_e32 v2, v186, v126
	s_waitcnt vmcnt(47) lgkmcnt(2)
	v_mul_f32_e32 v184, v4, v11
	v_fmac_f32_e32 v183, v186, v10
	v_fma_f32 v10, v185, v10, -v2
	v_mul_f32_e32 v2, v5, v11
	s_waitcnt vmcnt(46)
	v_mul_f32_e32 v185, v6, v9
	v_fmac_f32_e32 v184, v5, v8
	s_waitcnt vmcnt(41) lgkmcnt(1)
	v_mul_f32_e32 v186, v175, v135
	v_fma_f32 v11, v4, v8, -v2
	v_mul_f32_e32 v2, v7, v9
	v_fmac_f32_e32 v185, v7, v136
	v_fmac_f32_e32 v186, v176, v133
	s_waitcnt vmcnt(39) lgkmcnt(0)
	v_mul_f32_e32 v126, v180, v132
	v_fma_f32 v136, v6, v136, -v2
	v_mul_f32_e32 v6, v176, v135
	ds_read2_b64 v[2:5], v1 offset0:71 offset1:72
	v_mul_f32_e32 v135, v177, v134
	v_fma_f32 v133, v175, v133, -v6
	v_mul_f32_e32 v6, v178, v134
	v_fmac_f32_e32 v135, v178, v131
	v_mul_f32_e32 v134, v179, v132
	v_fma_f32 v132, v179, v129, -v126
	s_waitcnt vmcnt(38)
	v_mul_f32_e32 v175, v181, v130
	v_fma_f32 v131, v177, v131, -v6
	ds_read2_b64 v[6:9], v1 offset0:73 offset1:74
	v_mul_f32_e32 v126, v182, v130
	v_fmac_f32_e32 v134, v180, v129
	s_waitcnt vmcnt(34)
	v_fmac_f32_e32 v175, v182, v143
	v_fma_f32 v130, v181, v143, -v126
	ds_read2_b64 v[126:129], v1 offset0:75 offset1:76
	s_waitcnt vmcnt(33) lgkmcnt(2)
	v_mul_f32_e32 v143, v2, v142
	v_mul_f32_e32 v142, v3, v142
	v_fmac_f32_e32 v143, v3, v140
	v_fma_f32 v140, v2, v140, -v142
	s_waitcnt vmcnt(32)
	v_mul_f32_e32 v142, v4, v141
	v_mul_f32_e32 v2, v5, v141
	s_waitcnt vmcnt(31) lgkmcnt(1)
	v_mul_f32_e32 v141, v6, v139
	v_fmac_f32_e32 v142, v5, v138
	v_fma_f32 v138, v4, v138, -v2
	v_mul_f32_e32 v2, v7, v139
	s_waitcnt vmcnt(30)
	v_mul_f32_e32 v139, v8, v144
	v_mul_f32_e32 v144, v9, v144
	v_fmac_f32_e32 v141, v7, v137
	v_fma_f32 v137, v6, v137, -v2
	ds_read2_b64 v[2:5], v1 offset0:77 offset1:78
	s_waitcnt vmcnt(26)
	v_fmac_f32_e32 v139, v9, v152
	v_fma_f32 v144, v8, v152, -v144
	ds_read2_b64 v[6:9], v1 offset0:79 offset1:80
	s_waitcnt vmcnt(25) lgkmcnt(2)
	v_mul_f32_e32 v152, v126, v150
	v_mul_f32_e32 v150, v127, v150
	v_fmac_f32_e32 v152, v127, v148
	v_fma_f32 v126, v126, v148, -v150
	s_waitcnt vmcnt(24)
	v_mul_f32_e32 v127, v128, v149
	v_mul_f32_e32 v148, v129, v149
	buffer_load_dword v150, off, s[0:3], 0 offset:268
	v_fmac_f32_e32 v127, v129, v146
	v_fma_f32 v128, v128, v146, -v148
	buffer_load_dword v129, off, s[0:3], 0 offset:260
	s_waitcnt vmcnt(25) lgkmcnt(1)
	v_mul_f32_e32 v146, v2, v147
	v_mul_f32_e32 v147, v3, v147
	s_waitcnt vmcnt(24)
	v_mul_f32_e32 v148, v4, v151
	v_mul_f32_e32 v149, v5, v151
	v_fmac_f32_e32 v146, v3, v145
	v_fma_f32 v145, v2, v145, -v147
	s_waitcnt vmcnt(20)
	v_fmac_f32_e32 v148, v5, v160
	v_fma_f32 v147, v4, v160, -v149
	ds_read2_b64 v[2:5], v1 offset0:81 offset1:82
	s_waitcnt vmcnt(19) lgkmcnt(1)
	v_mul_f32_e32 v149, v6, v159
	v_mul_f32_e32 v151, v7, v159
	s_waitcnt vmcnt(18)
	v_mul_f32_e32 v159, v8, v158
	v_mul_f32_e32 v158, v9, v158
	buffer_load_dword v160, off, s[0:3], 0 offset:276
	v_fmac_f32_e32 v149, v7, v157
	v_fma_f32 v151, v6, v157, -v151
	v_add_f32_e32 v6, 0, v187
	v_add_f32_e32 v7, 0, v188
	v_fmac_f32_e32 v159, v9, v156
	v_fma_f32 v156, v8, v156, -v158
	s_clause 0x3
	buffer_load_dword v157, off, s[0:3], 0 offset:296
	buffer_load_dword v158, off, s[0:3], 0 offset:288
	;; [unrolled: 1-line block ×4, first 2 shown]
	v_add_f32_e32 v6, v6, v189
	v_add_f32_e32 v7, v7, v190
	s_clause 0x3
	buffer_load_dword v178, off, s[0:3], 0 offset:284
	buffer_load_dword v179, off, s[0:3], 0 offset:292
	;; [unrolled: 1-line block ×4, first 2 shown]
	v_add_f32_e32 v6, v6, v191
	v_add_f32_e32 v7, v7, v192
	s_waitcnt vmcnt(26) lgkmcnt(0)
	v_mul_f32_e32 v182, v2, v154
	v_mul_f32_e32 v8, v3, v154
	s_waitcnt vmcnt(25)
	v_mul_f32_e32 v154, v4, v155
	v_add_f32_e32 v6, v6, v193
	v_add_f32_e32 v7, v7, v194
	v_mul_f32_e32 v9, v5, v155
	v_fmac_f32_e32 v182, v3, v153
	v_fma_f32 v153, v2, v153, -v8
	v_add_f32_e32 v6, v6, v195
	v_add_f32_e32 v7, v7, v12
	s_waitcnt vmcnt(20)
	v_fmac_f32_e32 v154, v5, v169
	v_fma_f32 v155, v4, v169, -v9
	ds_read2_b64 v[2:5], v1 offset0:83 offset1:84
	v_add_f32_e32 v6, v6, v183
	v_add_f32_e32 v7, v7, v10
	s_clause 0x3
	buffer_load_dword v12, off, s[0:3], 0 offset:328
	buffer_load_dword v169, off, s[0:3], 0 offset:320
	;; [unrolled: 1-line block ×4, first 2 shown]
	v_add_f32_e32 v6, v6, v184
	v_add_f32_e32 v10, v7, v11
	s_clause 0x2
	buffer_load_dword v11, off, s[0:3], 0 offset:316
	buffer_load_dword v183, off, s[0:3], 0 offset:324
	;; [unrolled: 1-line block ×3, first 2 shown]
	v_add_f32_e32 v185, v6, v185
	v_add_f32_e32 v10, v10, v136
	ds_read2_b64 v[6:9], v1 offset0:85 offset1:86
	v_add_f32_e32 v185, v185, v186
	s_waitcnt vmcnt(26) lgkmcnt(1)
	v_mul_f32_e32 v136, v2, v167
	v_mul_f32_e32 v167, v3, v167
	s_waitcnt vmcnt(25)
	v_mul_f32_e32 v186, v4, v166
	v_mul_f32_e32 v166, v5, v166
	v_fmac_f32_e32 v136, v3, v165
	v_add_f32_e32 v3, v10, v133
	v_add_f32_e32 v10, v185, v135
	v_fma_f32 v133, v2, v165, -v167
	v_fmac_f32_e32 v186, v5, v164
	v_fma_f32 v135, v4, v164, -v166
	v_add_f32_e32 v2, v3, v131
	v_add_f32_e32 v3, v10, v134
	s_clause 0x7
	buffer_load_dword v164, off, s[0:3], 0 offset:340
	buffer_load_dword v165, off, s[0:3], 0 offset:348
	;; [unrolled: 1-line block ×8, first 2 shown]
	s_waitcnt lgkmcnt(0)
	v_mul_f32_e32 v4, v7, v163
	v_mul_f32_e32 v10, v6, v163
	v_add_f32_e32 v2, v2, v132
	v_add_f32_e32 v3, v3, v175
	s_clause 0x1
	buffer_load_dword v175, off, s[0:3], 0 offset:372
	buffer_load_dword v192, off, s[0:3], 0 offset:380
	v_fma_f32 v134, v6, v162, -v4
	s_clause 0x1
	buffer_load_dword v163, off, s[0:3], 0 offset:388
	buffer_load_dword v193, off, s[0:3], 0 offset:396
	v_add_f32_e32 v2, v2, v130
	v_add_f32_e32 v3, v3, v143
	v_fmac_f32_e32 v10, v7, v162
	s_clause 0x4
	buffer_load_dword v162, off, s[0:3], 0 offset:404
	buffer_load_dword v194, off, s[0:3], 0 offset:412
	;; [unrolled: 1-line block ×5, first 2 shown]
	v_add_f32_e32 v2, v2, v140
	v_add_f32_e32 v3, v3, v142
	;; [unrolled: 1-line block ×4, first 2 shown]
	s_waitcnt vmcnt(41)
	v_mul_f32_e32 v3, v9, v168
	v_mul_f32_e32 v138, v8, v168
	buffer_load_dword v168, off, s[0:3], 0 offset:444
	v_add_f32_e32 v7, v2, v137
	v_add_f32_e32 v6, v6, v139
	s_waitcnt vmcnt(38)
	v_fma_f32 v137, v8, v174, -v3
	ds_read2_b64 v[2:5], v1 offset0:87 offset1:88
	v_fmac_f32_e32 v138, v9, v174
	v_add_f32_e32 v7, v7, v144
	v_add_f32_e32 v6, v6, v152
	s_clause 0x3
	buffer_load_dword v152, off, s[0:3], 0 offset:392
	buffer_load_dword v174, off, s[0:3], 0 offset:384
	;; [unrolled: 1-line block ×4, first 2 shown]
	v_add_f32_e32 v7, v7, v126
	v_add_f32_e32 v6, v6, v127
	;; [unrolled: 1-line block ×4, first 2 shown]
	ds_read2_b64 v[6:9], v1 offset0:89 offset1:90
	v_add_f32_e32 v126, v126, v145
	v_add_f32_e32 v127, v127, v148
	s_waitcnt vmcnt(41) lgkmcnt(1)
	v_mul_f32_e32 v139, v2, v173
	v_mul_f32_e32 v128, v3, v173
	v_fmac_f32_e32 v139, v3, v172
	v_fma_f32 v140, v2, v172, -v128
	v_add_f32_e32 v2, v126, v147
	v_add_f32_e32 v3, v127, v149
	s_clause 0x3
	buffer_load_dword v146, off, s[0:3], 0 offset:424
	buffer_load_dword v147, off, s[0:3], 0 offset:416
	;; [unrolled: 1-line block ×4, first 2 shown]
	v_add_f32_e32 v2, v2, v151
	v_add_f32_e32 v3, v3, v159
	s_clause 0x1
	buffer_load_dword v151, off, s[0:3], 0 offset:440
	buffer_load_dword v159, off, s[0:3], 0 offset:432
	v_add_f32_e32 v2, v2, v156
	buffer_load_dword v156, off, s[0:3], 0 offset:16
	v_add_f32_e32 v3, v3, v182
	v_add_f32_e32 v127, v2, v153
	;; [unrolled: 1-line block ×14, first 2 shown]
	s_waitcnt vmcnt(46) lgkmcnt(0)
	v_mul_f32_e32 v143, v6, v150
	v_mul_f32_e32 v132, v7, v150
	s_waitcnt vmcnt(45)
	v_mul_f32_e32 v141, v4, v129
	v_mul_f32_e32 v126, v5, v129
	v_fmac_f32_e32 v143, v7, v170
	v_fma_f32 v145, v6, v170, -v132
	v_fmac_f32_e32 v141, v5, v171
	v_fma_f32 v142, v4, v171, -v126
	ds_read2_b64 v[2:5], v1 offset0:91 offset1:92
	ds_read2_b64 v[126:129], v1 offset0:93 offset1:94
	v_add_f32_e32 v10, v10, v141
	v_add_f32_e32 v142, v139, v142
	;; [unrolled: 1-line block ×3, first 2 shown]
	s_waitcnt vmcnt(44)
	v_mul_f32_e32 v144, v8, v160
	v_mul_f32_e32 v133, v9, v160
	v_add_f32_e32 v142, v142, v145
	s_waitcnt vmcnt(40)
	v_fmac_f32_e32 v144, v9, v177
	v_fma_f32 v150, v8, v177, -v133
	ds_read2_b64 v[6:9], v1 offset0:95 offset1:96
	ds_read2_b64 v[130:133], v1 offset0:97 offset1:98
	s_waitcnt vmcnt(39) lgkmcnt(3)
	v_mul_f32_e32 v136, v3, v178
	v_mul_f32_e32 v153, v2, v178
	s_waitcnt vmcnt(38)
	v_mul_f32_e32 v154, v4, v179
	v_mul_f32_e32 v135, v5, v179
	s_waitcnt vmcnt(37) lgkmcnt(2)
	v_mul_f32_e32 v155, v126, v180
	v_fma_f32 v170, v2, v176, -v136
	v_fmac_f32_e32 v153, v3, v176
	v_mul_f32_e32 v138, v127, v180
	v_fmac_f32_e32 v154, v5, v158
	v_fma_f32 v158, v4, v158, -v135
	s_waitcnt vmcnt(36)
	v_mul_f32_e32 v140, v129, v181
	v_fmac_f32_e32 v155, v127, v157
	v_fma_f32 v157, v126, v157, -v138
	v_mul_f32_e32 v160, v128, v181
	ds_read2_b64 v[2:5], v1 offset0:99 offset1:100
	ds_read2_b64 v[134:137], v1 offset0:101 offset1:102
	s_waitcnt vmcnt(32)
	v_fma_f32 v171, v128, v188, -v140
	v_fmac_f32_e32 v160, v129, v188
	ds_read2_b64 v[126:129], v1 offset0:103 offset1:104
	ds_read2_b64 v[138:141], v1 offset0:105 offset1:106
	s_waitcnt vmcnt(31) lgkmcnt(5)
	v_mul_f32_e32 v172, v6, v11
	v_mul_f32_e32 v11, v7, v11
	s_waitcnt vmcnt(30)
	v_mul_f32_e32 v173, v8, v183
	v_mul_f32_e32 v143, v9, v183
	s_waitcnt vmcnt(29) lgkmcnt(4)
	v_mul_f32_e32 v176, v131, v184
	v_fmac_f32_e32 v172, v7, v187
	v_add_f32_e32 v7, v10, v144
	v_add_f32_e32 v10, v142, v150
	v_fma_f32 v150, v6, v187, -v11
	v_fmac_f32_e32 v173, v9, v169
	v_fma_f32 v169, v8, v169, -v143
	v_add_f32_e32 v153, v7, v153
	v_add_f32_e32 v170, v10, v170
	ds_read2_b64 v[6:9], v1 offset0:107 offset1:108
	ds_read2_b64 v[142:145], v1 offset0:109 offset1:110
	ds_read_b64 v[10:11], v1 offset:888
	v_add_f32_e32 v153, v153, v154
	v_add_f32_e32 v158, v170, v158
	v_mul_f32_e32 v154, v130, v184
	s_waitcnt vmcnt(28)
	v_mul_f32_e32 v170, v132, v164
	v_add_f32_e32 v153, v153, v155
	v_add_f32_e32 v157, v158, v157
	v_fmac_f32_e32 v154, v131, v12
	v_mul_f32_e32 v164, v133, v164
	v_fma_f32 v12, v130, v12, -v176
	v_add_f32_e32 v131, v153, v160
	v_add_f32_e32 v157, v157, v171
	s_waitcnt vmcnt(27) lgkmcnt(6)
	v_mul_f32_e32 v155, v2, v165
	v_mul_f32_e32 v165, v3, v165
	s_waitcnt vmcnt(21)
	v_fma_f32 v132, v132, v191, -v164
	v_add_f32_e32 v131, v131, v172
	v_add_f32_e32 v150, v157, v150
	v_fmac_f32_e32 v170, v133, v191
	v_mul_f32_e32 v158, v4, v166
	v_mul_f32_e32 v166, v5, v166
	v_add_f32_e32 v131, v131, v173
	v_add_f32_e32 v150, v150, v169
	v_fmac_f32_e32 v155, v3, v190
	v_fma_f32 v2, v2, v190, -v165
	v_fma_f32 v4, v4, v189, -v166
	v_add_f32_e32 v131, v131, v154
	v_add_f32_e32 v12, v150, v12
	s_waitcnt lgkmcnt(5)
	v_mul_f32_e32 v130, v134, v167
	v_fmac_f32_e32 v158, v5, v189
	s_waitcnt vmcnt(20)
	v_mul_f32_e32 v5, v137, v175
	v_mul_f32_e32 v153, v136, v175
	v_add_f32_e32 v3, v12, v132
	v_add_f32_e32 v12, v131, v170
	v_mul_f32_e32 v131, v135, v167
	v_fmac_f32_e32 v130, v135, v185
	s_waitcnt vmcnt(19) lgkmcnt(4)
	v_mul_f32_e32 v160, v126, v192
	v_add_f32_e32 v2, v3, v2
	v_add_f32_e32 v3, v12, v155
	v_fma_f32 v12, v134, v185, -v131
	s_waitcnt vmcnt(18)
	v_mul_f32_e32 v133, v128, v163
	s_waitcnt vmcnt(8)
	v_fmac_f32_e32 v160, v127, v198
	v_add_f32_e32 v2, v2, v4
	v_add_f32_e32 v3, v3, v158
	v_mul_f32_e32 v4, v127, v192
	s_waitcnt vmcnt(7)
	v_fma_f32 v5, v136, v199, -v5
	v_fmac_f32_e32 v153, v137, v199
	v_add_f32_e32 v2, v2, v12
	v_add_f32_e32 v3, v3, v130
	v_mul_f32_e32 v12, v129, v163
	v_fma_f32 v4, v126, v198, -v4
	s_waitcnt lgkmcnt(3)
	v_mul_f32_e32 v164, v138, v193
	v_add_f32_e32 v2, v2, v5
	v_add_f32_e32 v3, v3, v153
	v_mul_f32_e32 v5, v139, v193
	v_fma_f32 v12, v128, v174, -v12
	v_fmac_f32_e32 v133, v129, v174
	v_add_f32_e32 v2, v2, v4
	v_add_f32_e32 v3, v3, v160
	v_mul_f32_e32 v4, v141, v162
	v_fma_f32 v5, v138, v152, -v5
	v_mul_f32_e32 v157, v140, v162
	v_add_f32_e32 v2, v2, v12
	v_fmac_f32_e32 v164, v139, v152
	v_add_f32_e32 v3, v3, v133
	s_waitcnt lgkmcnt(2)
	v_mul_f32_e32 v12, v7, v194
	v_mul_f32_e32 v171, v6, v194
	s_waitcnt vmcnt(3)
	v_fma_f32 v4, v140, v149, -v4
	v_add_f32_e32 v2, v2, v5
	v_fmac_f32_e32 v157, v141, v149
	v_add_f32_e32 v3, v3, v164
	v_mul_f32_e32 v5, v9, v195
	v_fma_f32 v6, v6, v148, -v12
	v_add_f32_e32 v2, v2, v4
	v_mul_f32_e32 v172, v8, v195
	v_fmac_f32_e32 v171, v7, v148
	v_add_f32_e32 v3, v3, v157
	s_waitcnt lgkmcnt(1)
	v_mul_f32_e32 v4, v143, v196
	v_fma_f32 v5, v8, v147, -v5
	v_add_f32_e32 v2, v2, v6
	v_mul_f32_e32 v169, v142, v196
	v_fmac_f32_e32 v172, v9, v147
	v_add_f32_e32 v3, v3, v171
	v_mul_f32_e32 v6, v145, v197
	v_fma_f32 v4, v142, v146, -v4
	v_add_f32_e32 v2, v2, v5
	v_mul_f32_e32 v173, v144, v197
	v_fmac_f32_e32 v169, v143, v146
	v_add_f32_e32 v3, v3, v172
	s_waitcnt lgkmcnt(0)
	v_mul_f32_e32 v5, v11, v168
	s_waitcnt vmcnt(1)
	v_fma_f32 v6, v144, v159, -v6
	v_add_f32_e32 v2, v2, v4
	v_mul_f32_e32 v150, v10, v168
	v_fmac_f32_e32 v173, v145, v159
	v_add_f32_e32 v3, v3, v169
	v_fma_f32 v4, v10, v151, -v5
	v_add_f32_e32 v2, v2, v6
	v_fmac_f32_e32 v150, v11, v151
	v_add_f32_e32 v3, v3, v173
	v_add_f32_e32 v2, v2, v4
	;; [unrolled: 1-line block ×3, first 2 shown]
	s_waitcnt vmcnt(0)
	v_sub_f32_e32 v2, v156, v2
	v_sub_f32_e32 v3, v161, v3
	buffer_store_dword v2, off, s[0:3], 0 offset:16
	buffer_store_dword v3, off, s[0:3], 0 offset:20
	v_cmpx_lt_u32_e32 1, v0
	s_cbranch_execz .LBB55_347
; %bb.346:
	s_clause 0x1
	buffer_load_dword v2, off, s[0:3], 0 offset:8
	buffer_load_dword v3, off, s[0:3], 0 offset:12
	buffer_store_dword v1, off, s[0:3], 0 offset:8
	buffer_store_dword v1, off, s[0:3], 0 offset:12
	s_waitcnt vmcnt(0)
	ds_write_b64 v125, v[2:3]
.LBB55_347:
	s_or_b32 exec_lo, exec_lo, s4
	s_waitcnt lgkmcnt(0)
	s_waitcnt_vscnt null, 0x0
	s_barrier
	buffer_gl0_inv
	s_clause 0x3c
	buffer_load_dword v160, off, s[0:3], 0 offset:20
	buffer_load_dword v161, off, s[0:3], 0 offset:28
	;; [unrolled: 1-line block ×61, first 2 shown]
	ds_read_b128 v[171:174], v1 offset:464
	ds_read_b128 v[175:178], v1 offset:480
	s_mov_b32 s4, exec_lo
	s_waitcnt vmcnt(60) lgkmcnt(1)
	v_mul_f32_e32 v184, v171, v160
	s_waitcnt vmcnt(59)
	v_mul_f32_e32 v185, v173, v161
	v_mul_f32_e32 v186, v172, v160
	;; [unrolled: 1-line block ×3, first 2 shown]
	buffer_load_dword v160, off, s[0:3], 0 offset:12
	s_waitcnt vmcnt(57)
	v_fmac_f32_e32 v184, v172, v6
	v_fmac_f32_e32 v185, v174, v5
	v_fma_f32 v186, v171, v6, -v186
	v_fma_f32 v161, v173, v5, -v161
	ds_read_b128 v[171:174], v1 offset:496
	s_waitcnt vmcnt(56) lgkmcnt(1)
	v_mul_f32_e32 v187, v175, v4
	v_mul_f32_e32 v4, v176, v4
	s_waitcnt vmcnt(55)
	v_mul_f32_e32 v188, v177, v3
	v_mul_f32_e32 v3, v178, v3
	v_fmac_f32_e32 v187, v176, v2
	v_fma_f32 v175, v175, v2, -v4
	s_waitcnt vmcnt(51)
	v_fmac_f32_e32 v188, v178, v127
	v_fma_f32 v127, v177, v127, -v3
	ds_read_b128 v[2:5], v1 offset:512
	s_waitcnt vmcnt(50) lgkmcnt(1)
	v_mul_f32_e32 v176, v171, v12
	s_waitcnt vmcnt(49)
	v_mul_f32_e32 v177, v173, v126
	v_mul_f32_e32 v6, v172, v12
	;; [unrolled: 1-line block ×3, first 2 shown]
	v_fmac_f32_e32 v176, v172, v11
	v_fmac_f32_e32 v177, v174, v8
	v_fma_f32 v11, v171, v11, -v6
	v_fma_f32 v12, v173, v8, -v12
	ds_read_b128 v[171:174], v1 offset:528
	s_waitcnt vmcnt(48) lgkmcnt(1)
	v_mul_f32_e32 v126, v2, v9
	s_waitcnt vmcnt(47)
	v_mul_f32_e32 v178, v4, v10
	v_mul_f32_e32 v6, v3, v9
	v_mul_f32_e32 v8, v5, v10
	v_fmac_f32_e32 v126, v3, v7
	s_waitcnt vmcnt(43)
	v_fmac_f32_e32 v178, v5, v135
	v_fma_f32 v10, v2, v7, -v6
	v_fma_f32 v135, v4, v135, -v8
	ds_read_b128 v[2:5], v1 offset:544
	s_waitcnt vmcnt(42) lgkmcnt(1)
	v_mul_f32_e32 v189, v171, v134
	v_mul_f32_e32 v6, v172, v134
	s_waitcnt vmcnt(41)
	v_mul_f32_e32 v134, v173, v133
	v_mul_f32_e32 v7, v174, v133
	v_fmac_f32_e32 v189, v172, v132
	v_fma_f32 v132, v171, v132, -v6
	v_fmac_f32_e32 v134, v174, v129
	v_fma_f32 v129, v173, v129, -v7
	ds_read_b128 v[6:9], v1 offset:560
	s_waitcnt vmcnt(40) lgkmcnt(1)
	v_mul_f32_e32 v133, v2, v130
	s_waitcnt vmcnt(39)
	v_mul_f32_e32 v171, v4, v131
	v_mul_f32_e32 v130, v3, v130
	;; [unrolled: 1-line block ×3, first 2 shown]
	v_fmac_f32_e32 v133, v3, v128
	s_waitcnt vmcnt(35)
	v_fmac_f32_e32 v171, v5, v143
	v_fma_f32 v128, v2, v128, -v130
	v_fma_f32 v130, v4, v143, -v131
	ds_read_b128 v[2:5], v1 offset:576
	s_waitcnt vmcnt(34) lgkmcnt(1)
	v_mul_f32_e32 v131, v6, v141
	v_mul_f32_e32 v141, v7, v141
	s_waitcnt vmcnt(33)
	v_mul_f32_e32 v143, v8, v140
	v_mul_f32_e32 v140, v9, v140
	v_fmac_f32_e32 v131, v7, v139
	v_fma_f32 v139, v6, v139, -v141
	v_fmac_f32_e32 v143, v9, v137
	v_fma_f32 v137, v8, v137, -v140
	ds_read_b128 v[6:9], v1 offset:592
	s_waitcnt vmcnt(32) lgkmcnt(1)
	v_mul_f32_e32 v140, v2, v138
	v_mul_f32_e32 v138, v3, v138
	s_waitcnt vmcnt(31)
	v_mul_f32_e32 v141, v4, v142
	v_mul_f32_e32 v142, v5, v142
	v_fmac_f32_e32 v140, v3, v136
	v_fma_f32 v136, v2, v136, -v138
	s_waitcnt vmcnt(27)
	v_fmac_f32_e32 v141, v5, v151
	v_fma_f32 v138, v4, v151, -v142
	ds_read_b128 v[2:5], v1 offset:608
	s_waitcnt vmcnt(26) lgkmcnt(1)
	v_mul_f32_e32 v142, v6, v149
	v_mul_f32_e32 v149, v7, v149
	s_waitcnt vmcnt(25)
	v_mul_f32_e32 v151, v8, v148
	v_mul_f32_e32 v148, v9, v148
	v_fmac_f32_e32 v142, v7, v147
	v_fma_f32 v147, v6, v147, -v149
	v_fmac_f32_e32 v151, v9, v145
	v_fma_f32 v145, v8, v145, -v148
	ds_read_b128 v[6:9], v1 offset:624
	s_waitcnt vmcnt(24) lgkmcnt(1)
	v_mul_f32_e32 v148, v2, v146
	v_mul_f32_e32 v146, v3, v146
	s_waitcnt vmcnt(23)
	v_mul_f32_e32 v149, v4, v150
	v_mul_f32_e32 v150, v5, v150
	v_fmac_f32_e32 v148, v3, v144
	v_fma_f32 v144, v2, v144, -v146
	s_waitcnt vmcnt(19)
	v_fmac_f32_e32 v149, v5, v159
	;; [unrolled: 23-line block ×3, first 2 shown]
	v_fma_f32 v154, v4, v169, -v158
	ds_read_b128 v[2:5], v1 offset:672
	s_waitcnt vmcnt(9) lgkmcnt(1)
	v_mul_f32_e32 v158, v6, v168
	v_mul_f32_e32 v168, v7, v168
	s_waitcnt vmcnt(8)
	v_mul_f32_e32 v169, v8, v167
	v_mul_f32_e32 v167, v9, v167
	v_fmac_f32_e32 v158, v7, v165
	v_fma_f32 v165, v6, v165, -v168
	v_fmac_f32_e32 v169, v9, v164
	v_fma_f32 v164, v8, v164, -v167
	ds_read_b128 v[6:9], v1 offset:688
	buffer_load_dword v167, off, s[0:3], 0 offset:260
	s_waitcnt lgkmcnt(1)
	v_mul_f32_e32 v168, v2, v163
	v_mul_f32_e32 v163, v3, v163
	s_waitcnt vmcnt(8)
	v_mul_f32_e32 v172, v4, v170
	v_mul_f32_e32 v170, v5, v170
	v_fmac_f32_e32 v168, v3, v162
	v_fma_f32 v162, v2, v162, -v163
	s_waitcnt vmcnt(4)
	v_fmac_f32_e32 v172, v5, v181
	v_fma_f32 v163, v4, v181, -v170
	ds_read_b128 v[2:5], v1 offset:704
	s_waitcnt vmcnt(3) lgkmcnt(1)
	v_mul_f32_e32 v170, v6, v182
	v_mul_f32_e32 v173, v7, v182
	buffer_load_dword v182, off, s[0:3], 0 offset:268
	s_waitcnt vmcnt(3)
	v_mul_f32_e32 v174, v8, v183
	v_mul_f32_e32 v181, v9, v183
	v_fmac_f32_e32 v170, v7, v180
	v_fma_f32 v173, v6, v180, -v173
	v_add_f32_e32 v7, 0, v186
	v_fmac_f32_e32 v174, v9, v179
	v_fma_f32 v179, v8, v179, -v181
	s_clause 0x4
	buffer_load_dword v180, off, s[0:3], 0 offset:288
	buffer_load_dword v181, off, s[0:3], 0 offset:280
	;; [unrolled: 1-line block ×5, first 2 shown]
	v_add_f32_e32 v6, 0, v184
	v_add_f32_e32 v7, v7, v161
	;; [unrolled: 1-line block ×3, first 2 shown]
	s_clause 0x1
	buffer_load_dword v184, off, s[0:3], 0 offset:284
	buffer_load_dword v185, off, s[0:3], 0 offset:292
	v_add_f32_e32 v7, v7, v175
	s_clause 0x1
	buffer_load_dword v161, off, s[0:3], 0 offset:300
	buffer_load_dword v186, off, s[0:3], 0 offset:308
	v_add_f32_e32 v6, v6, v187
	v_add_f32_e32 v7, v7, v127
	;; [unrolled: 1-line block ×5, first 2 shown]
	s_clause 0x3
	buffer_load_dword v175, off, s[0:3], 0 offset:320
	buffer_load_dword v176, off, s[0:3], 0 offset:312
	;; [unrolled: 1-line block ×4, first 2 shown]
	v_add_f32_e32 v7, v7, v12
	buffer_load_dword v11, off, s[0:3], 0 offset:316
	v_add_f32_e32 v6, v6, v177
	s_clause 0x1
	buffer_load_dword v12, off, s[0:3], 0 offset:324
	buffer_load_dword v177, off, s[0:3], 0 offset:332
	v_add_f32_e32 v7, v7, v10
	v_add_f32_e32 v6, v6, v126
	;; [unrolled: 1-line block ×6, first 2 shown]
	s_clause 0x3
	buffer_load_dword v10, off, s[0:3], 0 offset:352
	buffer_load_dword v178, off, s[0:3], 0 offset:344
	buffer_load_dword v189, off, s[0:3], 0 offset:336
	buffer_load_dword v192, off, s[0:3], 0 offset:328
	v_add_f32_e32 v7, v7, v129
	s_clause 0x2
	buffer_load_dword v193, off, s[0:3], 0 offset:340
	buffer_load_dword v194, off, s[0:3], 0 offset:348
	buffer_load_dword v195, off, s[0:3], 0 offset:356
	v_add_f32_e32 v6, v6, v134
	v_add_f32_e32 v7, v7, v128
	;; [unrolled: 1-line block ×6, first 2 shown]
	s_clause 0x4
	buffer_load_dword v171, off, s[0:3], 0 offset:364
	buffer_load_dword v196, off, s[0:3], 0 offset:372
	;; [unrolled: 1-line block ×5, first 2 shown]
	v_add_f32_e32 v6, v6, v131
	v_add_f32_e32 v7, v7, v137
	s_clause 0x5
	buffer_load_dword v200, off, s[0:3], 0 offset:404
	buffer_load_dword v201, off, s[0:3], 0 offset:412
	;; [unrolled: 1-line block ×6, first 2 shown]
	v_add_f32_e32 v7, v7, v136
	v_add_f32_e32 v6, v6, v143
	;; [unrolled: 1-line block ×5, first 2 shown]
	s_clause 0x3
	buffer_load_dword v147, off, s[0:3], 0 offset:384
	buffer_load_dword v206, off, s[0:3], 0 offset:376
	;; [unrolled: 1-line block ×4, first 2 shown]
	v_add_f32_e32 v6, v6, v141
	v_add_f32_e32 v7, v7, v145
	;; [unrolled: 1-line block ×7, first 2 shown]
	s_clause 0x3
	buffer_load_dword v148, off, s[0:3], 0 offset:416
	buffer_load_dword v151, off, s[0:3], 0 offset:408
	;; [unrolled: 1-line block ×4, first 2 shown]
	v_add_f32_e32 v7, v7, v155
	v_add_f32_e32 v6, v6, v149
	;; [unrolled: 1-line block ×4, first 2 shown]
	s_clause 0x3
	buffer_load_dword v146, off, s[0:3], 0 offset:440
	buffer_load_dword v149, off, s[0:3], 0 offset:432
	;; [unrolled: 1-line block ×4, first 2 shown]
	v_add_f32_e32 v6, v6, v159
	s_waitcnt vmcnt(47) lgkmcnt(0)
	v_mul_f32_e32 v138, v2, v167
	v_mul_f32_e32 v8, v3, v167
	v_fmac_f32_e32 v138, v3, v166
	v_fma_f32 v139, v2, v166, -v8
	v_add_f32_e32 v2, v7, v152
	v_add_f32_e32 v3, v6, v156
	ds_read_b128 v[6:9], v1 offset:720
	v_add_f32_e32 v126, v2, v154
	v_add_f32_e32 v127, v3, v157
	;; [unrolled: 1-line block ×4, first 2 shown]
	ds_read_b128 v[126:129], v1 offset:752
	s_waitcnt vmcnt(46)
	v_mul_f32_e32 v142, v4, v182
	v_mul_f32_e32 v2, v5, v182
	v_add_f32_e32 v130, v130, v164
	v_add_f32_e32 v131, v131, v169
	s_waitcnt vmcnt(42)
	v_fmac_f32_e32 v142, v5, v190
	v_fma_f32 v143, v4, v190, -v2
	ds_read_b128 v[2:5], v1 offset:736
	s_waitcnt vmcnt(41) lgkmcnt(2)
	v_mul_f32_e32 v132, v7, v191
	v_mul_f32_e32 v144, v6, v191
	v_add_f32_e32 v134, v130, v162
	s_waitcnt vmcnt(40)
	v_mul_f32_e32 v152, v8, v184
	v_fma_f32 v145, v6, v183, -v132
	v_add_f32_e32 v6, v131, v168
	v_fmac_f32_e32 v144, v7, v183
	v_add_f32_e32 v7, v134, v163
	ds_read_b128 v[130:133], v1 offset:768
	s_waitcnt vmcnt(37) lgkmcnt(2)
	v_mul_f32_e32 v156, v126, v186
	v_add_f32_e32 v6, v6, v172
	v_mul_f32_e32 v141, v127, v186
	v_add_f32_e32 v7, v7, v173
	v_mul_f32_e32 v134, v9, v184
	v_fmac_f32_e32 v152, v9, v181
	v_add_f32_e32 v6, v6, v170
	s_waitcnt lgkmcnt(1)
	v_mul_f32_e32 v135, v3, v185
	v_mul_f32_e32 v153, v2, v185
	s_waitcnt vmcnt(34)
	v_fmac_f32_e32 v156, v127, v187
	v_mul_f32_e32 v154, v4, v161
	v_mul_f32_e32 v140, v5, v161
	v_fma_f32 v158, v2, v180, -v135
	v_add_f32_e32 v2, v7, v179
	v_fmac_f32_e32 v153, v3, v180
	v_add_f32_e32 v3, v6, v174
	v_fma_f32 v161, v126, v187, -v141
	s_waitcnt vmcnt(31) lgkmcnt(0)
	v_mul_f32_e32 v163, v130, v12
	v_add_f32_e32 v127, v2, v139
	v_mul_f32_e32 v12, v131, v12
	v_add_f32_e32 v126, v3, v138
	v_fma_f32 v157, v8, v181, -v134
	v_fma_f32 v159, v4, v188, -v140
	v_add_f32_e32 v127, v127, v143
	v_fma_f32 v12, v130, v175, -v12
	v_add_f32_e32 v126, v126, v142
	ds_read_b128 v[6:9], v1 offset:784
	ds_read_b128 v[134:137], v1 offset:800
	v_fmac_f32_e32 v154, v5, v188
	v_add_f32_e32 v127, v127, v145
	v_mul_f32_e32 v162, v128, v11
	v_add_f32_e32 v130, v126, v144
	v_mul_f32_e32 v11, v129, v11
	s_waitcnt vmcnt(30)
	v_mul_f32_e32 v165, v133, v177
	v_add_f32_e32 v157, v127, v157
	v_fmac_f32_e32 v162, v129, v176
	v_add_f32_e32 v152, v130, v152
	v_fma_f32 v11, v128, v176, -v11
	v_mul_f32_e32 v164, v132, v177
	v_add_f32_e32 v157, v157, v158
	v_fmac_f32_e32 v163, v131, v175
	v_add_f32_e32 v152, v152, v153
	s_waitcnt vmcnt(26)
	v_fma_f32 v165, v132, v192, -v165
	ds_read_b128 v[2:5], v1 offset:816
	ds_read_b128 v[138:141], v1 offset:832
	v_add_f32_e32 v157, v157, v159
	ds_read_b128 v[126:129], v1 offset:848
	ds_read_b128 v[142:145], v1 offset:864
	v_add_f32_e32 v152, v152, v154
	s_waitcnt vmcnt(25) lgkmcnt(5)
	v_mul_f32_e32 v158, v7, v193
	v_fmac_f32_e32 v164, v133, v192
	v_add_f32_e32 v157, v157, v161
	ds_read_b128 v[130:133], v1 offset:880
	v_add_f32_e32 v152, v152, v156
	v_mul_f32_e32 v1, v6, v193
	s_waitcnt vmcnt(24)
	v_mul_f32_e32 v166, v9, v194
	v_add_f32_e32 v11, v157, v11
	v_fma_f32 v6, v6, v189, -v158
	v_add_f32_e32 v152, v152, v162
	v_mul_f32_e32 v153, v8, v194
	v_fmac_f32_e32 v1, v7, v189
	v_add_f32_e32 v11, v11, v12
	s_waitcnt vmcnt(23) lgkmcnt(5)
	v_mul_f32_e32 v159, v134, v195
	v_add_f32_e32 v152, v152, v163
	v_mul_f32_e32 v158, v135, v195
	v_fma_f32 v8, v8, v178, -v166
	v_add_f32_e32 v11, v11, v165
	v_fmac_f32_e32 v153, v9, v178
	v_add_f32_e32 v152, v152, v164
	s_waitcnt vmcnt(22)
	v_mul_f32_e32 v9, v137, v171
	v_fmac_f32_e32 v159, v135, v10
	v_add_f32_e32 v6, v11, v6
	v_fma_f32 v10, v134, v10, -v158
	v_add_f32_e32 v1, v152, v1
	v_mul_f32_e32 v154, v136, v171
	s_waitcnt vmcnt(21) lgkmcnt(4)
	v_mul_f32_e32 v167, v2, v196
	v_add_f32_e32 v6, v6, v8
	v_mul_f32_e32 v8, v3, v196
	v_add_f32_e32 v1, v1, v153
	s_waitcnt vmcnt(8)
	v_fma_f32 v9, v136, v208, -v9
	v_fmac_f32_e32 v154, v137, v208
	v_add_f32_e32 v6, v6, v10
	v_mul_f32_e32 v10, v5, v197
	v_add_f32_e32 v1, v1, v159
	v_fmac_f32_e32 v167, v3, v207
	v_fma_f32 v2, v2, v207, -v8
	v_add_f32_e32 v3, v6, v9
	v_mul_f32_e32 v161, v4, v197
	v_add_f32_e32 v1, v1, v154
	s_waitcnt lgkmcnt(3)
	v_mul_f32_e32 v6, v139, v198
	v_fma_f32 v4, v4, v206, -v10
	v_add_f32_e32 v2, v3, v2
	v_mul_f32_e32 v156, v138, v198
	v_fmac_f32_e32 v161, v5, v206
	v_add_f32_e32 v1, v1, v167
	v_mul_f32_e32 v3, v141, v199
	v_fma_f32 v5, v138, v147, -v6
	v_add_f32_e32 v2, v2, v4
	v_mul_f32_e32 v168, v140, v199
	v_fmac_f32_e32 v156, v139, v147
	v_add_f32_e32 v1, v1, v161
	s_waitcnt lgkmcnt(2)
	v_mul_f32_e32 v4, v127, v200
	s_waitcnt vmcnt(4)
	v_fma_f32 v3, v140, v210, -v3
	v_add_f32_e32 v2, v2, v5
	v_mul_f32_e32 v157, v126, v200
	v_fmac_f32_e32 v168, v141, v210
	v_add_f32_e32 v1, v1, v156
	v_mul_f32_e32 v5, v129, v201
	v_fma_f32 v4, v126, v209, -v4
	v_add_f32_e32 v2, v2, v3
	v_mul_f32_e32 v162, v128, v201
	v_fmac_f32_e32 v157, v127, v209
	v_add_f32_e32 v1, v1, v168
	s_waitcnt lgkmcnt(1)
	v_mul_f32_e32 v3, v143, v202
	v_fma_f32 v5, v128, v151, -v5
	v_add_f32_e32 v2, v2, v4
	v_mul_f32_e32 v169, v142, v202
	v_fmac_f32_e32 v162, v129, v151
	v_add_f32_e32 v1, v1, v157
	v_mul_f32_e32 v4, v145, v203
	v_fma_f32 v3, v142, v148, -v3
	v_add_f32_e32 v2, v2, v5
	v_mul_f32_e32 v12, v144, v203
	v_fmac_f32_e32 v169, v143, v148
	v_add_f32_e32 v1, v1, v162
	s_waitcnt lgkmcnt(0)
	v_mul_f32_e32 v5, v131, v204
	s_waitcnt vmcnt(1)
	v_fma_f32 v4, v144, v150, -v4
	v_add_f32_e32 v2, v2, v3
	v_mul_f32_e32 v163, v130, v204
	v_fmac_f32_e32 v12, v145, v150
	v_add_f32_e32 v1, v1, v169
	v_mul_f32_e32 v3, v133, v205
	v_fma_f32 v5, v130, v149, -v5
	v_add_f32_e32 v2, v2, v4
	v_mul_f32_e32 v7, v132, v205
	v_fmac_f32_e32 v163, v131, v149
	v_add_f32_e32 v1, v1, v12
	v_fma_f32 v3, v132, v146, -v3
	v_add_f32_e32 v2, v2, v5
	v_fmac_f32_e32 v7, v133, v146
	v_add_f32_e32 v1, v1, v163
	v_add_f32_e32 v2, v2, v3
	;; [unrolled: 1-line block ×3, first 2 shown]
	s_waitcnt vmcnt(0)
	v_sub_f32_e32 v2, v155, v2
	v_sub_f32_e32 v1, v160, v1
	buffer_store_dword v2, off, s[0:3], 0 offset:8
	buffer_store_dword v1, off, s[0:3], 0 offset:12
	v_cmpx_ne_u32_e32 0, v0
	s_cbranch_execz .LBB55_349
; %bb.348:
	s_clause 0x1
	buffer_load_dword v0, off, s[0:3], 0
	buffer_load_dword v1, off, s[0:3], 0 offset:4
	v_mov_b32_e32 v2, 0
	buffer_store_dword v2, off, s[0:3], 0
	buffer_store_dword v2, off, s[0:3], 0 offset:4
	s_waitcnt vmcnt(0)
	ds_write_b64 v125, v[0:1]
.LBB55_349:
	s_or_b32 exec_lo, exec_lo, s4
	s_waitcnt lgkmcnt(0)
	s_waitcnt_vscnt null, 0x0
	s_barrier
	buffer_gl0_inv
	s_clause 0x3c
	buffer_load_dword v8, off, s[0:3], 0 offset:12
	buffer_load_dword v1, off, s[0:3], 0 offset:24
	;; [unrolled: 1-line block ×61, first 2 shown]
	v_mov_b32_e32 v0, 0
	ds_read2_b64 v[169:172], v0 offset0:57 offset1:58
	ds_read2_b64 v[173:176], v0 offset0:59 offset1:60
	;; [unrolled: 1-line block ×3, first 2 shown]
	buffer_load_dword v187, off, s[0:3], 0 offset:4
	s_and_b32 vcc_lo, exec_lo, s22
	s_waitcnt vmcnt(61) lgkmcnt(2)
	v_mul_f32_e32 v186, v169, v8
	v_mul_f32_e32 v8, v170, v8
	s_waitcnt vmcnt(57)
	v_mul_f32_e32 v189, v171, v5
	v_mul_f32_e32 v5, v172, v5
	v_fmac_f32_e32 v186, v170, v6
	v_fma_f32 v188, v169, v6, -v8
	s_waitcnt vmcnt(56) lgkmcnt(1)
	v_mul_f32_e32 v191, v173, v4
	v_fmac_f32_e32 v189, v172, v3
	v_fma_f32 v190, v171, v3, -v5
	v_mul_f32_e32 v8, v174, v4
	ds_read2_b64 v[3:6], v0 offset0:63 offset1:64
	v_fmac_f32_e32 v191, v174, v1
	s_waitcnt vmcnt(55)
	v_mul_f32_e32 v193, v175, v2
	ds_read2_b64 v[169:172], v0 offset0:65 offset1:66
	v_fma_f32 v192, v173, v1, -v8
	v_mul_f32_e32 v1, v176, v2
	s_waitcnt vmcnt(50) lgkmcnt(2)
	v_mul_f32_e32 v194, v177, v158
	v_fmac_f32_e32 v193, v176, v159
	v_fma_f32 v159, v175, v159, -v1
	v_mul_f32_e32 v1, v178, v158
	ds_read2_b64 v[173:176], v0 offset0:67 offset1:68
	v_fmac_f32_e32 v194, v178, v154
	v_fma_f32 v158, v177, v154, -v1
	s_waitcnt vmcnt(49)
	v_mul_f32_e32 v177, v179, v155
	v_mul_f32_e32 v1, v180, v155
	s_waitcnt vmcnt(48) lgkmcnt(2)
	v_mul_f32_e32 v178, v3, v150
	v_fmac_f32_e32 v177, v180, v146
	v_fma_f32 v146, v179, v146, -v1
	v_mul_f32_e32 v1, v4, v150
	v_fmac_f32_e32 v178, v4, v134
	s_waitcnt vmcnt(47)
	v_mul_f32_e32 v180, v5, v143
	s_waitcnt vmcnt(42) lgkmcnt(1)
	v_mul_f32_e32 v196, v169, v156
	v_fma_f32 v179, v3, v134, -v1
	v_mul_f32_e32 v1, v6, v143
	v_fmac_f32_e32 v180, v6, v157
	v_fmac_f32_e32 v196, v170, v149
	v_fma_f32 v195, v5, v157, -v1
	v_mul_f32_e32 v5, v170, v156
	ds_read2_b64 v[1:4], v0 offset0:69 offset1:70
	ds_read2_b64 v[154:157], v0 offset0:71 offset1:72
	s_waitcnt vmcnt(41)
	v_mul_f32_e32 v170, v171, v151
	v_fma_f32 v169, v169, v149, -v5
	v_mul_f32_e32 v5, v172, v151
	v_fmac_f32_e32 v170, v172, v141
	s_waitcnt vmcnt(40) lgkmcnt(2)
	v_mul_f32_e32 v172, v173, v147
	v_fma_f32 v171, v171, v141, -v5
	v_mul_f32_e32 v5, v174, v147
	s_waitcnt vmcnt(39)
	v_mul_f32_e32 v147, v175, v138
	v_fmac_f32_e32 v172, v174, v128
	v_fma_f32 v128, v173, v128, -v5
	v_mul_f32_e32 v5, v176, v138
	s_waitcnt vmcnt(35)
	v_fmac_f32_e32 v147, v176, v153
	s_waitcnt vmcnt(33) lgkmcnt(1)
	v_mul_f32_e32 v174, v3, v144
	s_waitcnt vmcnt(32) lgkmcnt(0)
	v_mul_f32_e32 v176, v154, v139
	v_fma_f32 v138, v175, v153, -v5
	v_mul_f32_e32 v153, v1, v152
	v_mul_f32_e32 v5, v2, v152
	ds_read2_b64 v[149:152], v0 offset0:73 offset1:74
	v_fmac_f32_e32 v174, v4, v133
	v_fmac_f32_e32 v176, v155, v12
	;; [unrolled: 1-line block ×3, first 2 shown]
	v_fma_f32 v173, v1, v142, -v5
	v_mul_f32_e32 v1, v4, v144
	v_mul_f32_e32 v5, v155, v139
	s_waitcnt vmcnt(31)
	v_mul_f32_e32 v139, v156, v131
	ds_read2_b64 v[141:144], v0 offset0:77 offset1:78
	v_fma_f32 v175, v3, v133, -v1
	ds_read2_b64 v[1:4], v0 offset0:75 offset1:76
	v_fma_f32 v12, v154, v12, -v5
	v_mul_f32_e32 v5, v157, v131
	s_waitcnt vmcnt(27)
	v_fmac_f32_e32 v139, v157, v148
	v_fma_f32 v148, v156, v148, -v5
	s_waitcnt vmcnt(26) lgkmcnt(2)
	v_mul_f32_e32 v154, v149, v145
	v_mul_f32_e32 v5, v150, v145
	s_waitcnt vmcnt(25)
	v_mul_f32_e32 v145, v151, v136
	v_fmac_f32_e32 v154, v150, v135
	v_fma_f32 v135, v149, v135, -v5
	v_mul_f32_e32 v5, v152, v136
	v_fmac_f32_e32 v145, v152, v126
	s_waitcnt vmcnt(24) lgkmcnt(0)
	v_mul_f32_e32 v136, v1, v132
	v_fma_f32 v126, v151, v126, -v5
	v_mul_f32_e32 v5, v2, v132
	s_waitcnt vmcnt(23)
	v_mul_f32_e32 v149, v3, v129
	v_mul_f32_e32 v6, v4, v129
	ds_read2_b64 v[131:134], v0 offset0:79 offset1:80
	v_fmac_f32_e32 v136, v2, v9
	v_fma_f32 v9, v1, v9, -v5
	s_waitcnt vmcnt(19)
	v_fmac_f32_e32 v149, v4, v140
	v_fma_f32 v129, v3, v140, -v6
	s_waitcnt vmcnt(18)
	v_mul_f32_e32 v140, v141, v137
	v_mul_f32_e32 v5, v142, v137
	ds_read2_b64 v[1:4], v0 offset0:81 offset1:82
	s_waitcnt vmcnt(17)
	v_mul_f32_e32 v137, v143, v130
	v_fmac_f32_e32 v140, v142, v127
	v_fma_f32 v127, v141, v127, -v5
	v_mul_f32_e32 v5, v144, v130
	buffer_load_dword v130, off, s[0:3], 0 offset:252
	v_fmac_f32_e32 v137, v144, v10
	v_fma_f32 v10, v143, v10, -v5
	buffer_load_dword v143, off, s[0:3], 0 offset:260
	s_waitcnt vmcnt(18) lgkmcnt(1)
	v_mul_f32_e32 v141, v131, v125
	v_mul_f32_e32 v5, v132, v125
	s_waitcnt vmcnt(17)
	v_mul_f32_e32 v6, v134, v11
	v_mul_f32_e32 v125, v133, v11
	v_fmac_f32_e32 v141, v132, v7
	v_fma_f32 v11, v131, v7, -v5
	s_waitcnt vmcnt(13)
	v_fma_f32 v131, v133, v168, -v6
	ds_read2_b64 v[5:8], v0 offset0:83 offset1:84
	s_clause 0x4
	buffer_load_dword v144, off, s[0:3], 0 offset:280
	buffer_load_dword v150, off, s[0:3], 0 offset:272
	;; [unrolled: 1-line block ×5, first 2 shown]
	s_waitcnt vmcnt(17) lgkmcnt(1)
	v_mul_f32_e32 v132, v1, v167
	v_mul_f32_e32 v133, v2, v167
	v_fmac_f32_e32 v125, v134, v168
	s_waitcnt vmcnt(16)
	v_mul_f32_e32 v134, v3, v166
	v_mul_f32_e32 v142, v4, v166
	v_fmac_f32_e32 v132, v2, v164
	v_fma_f32 v133, v1, v164, -v133
	v_add_f32_e32 v1, 0, v186
	v_add_f32_e32 v2, 0, v188
	v_fmac_f32_e32 v134, v4, v163
	v_fma_f32 v142, v3, v163, -v142
	s_clause 0x1
	buffer_load_dword v156, off, s[0:3], 0 offset:276
	buffer_load_dword v157, off, s[0:3], 0 offset:284
	v_add_f32_e32 v1, v1, v189
	v_add_f32_e32 v2, v2, v190
	;; [unrolled: 1-line block ×3, first 2 shown]
	s_waitcnt vmcnt(17) lgkmcnt(0)
	v_mul_f32_e32 v163, v5, v162
	v_mul_f32_e32 v3, v6, v162
	s_waitcnt vmcnt(16)
	v_mul_f32_e32 v4, v8, v161
	v_add_f32_e32 v2, v2, v192
	v_mul_f32_e32 v162, v7, v161
	s_clause 0x1
	buffer_load_dword v161, off, s[0:3], 0 offset:292
	buffer_load_dword v164, off, s[0:3], 0 offset:300
	v_fmac_f32_e32 v163, v6, v160
	v_fma_f32 v160, v5, v160, -v3
	s_waitcnt vmcnt(14)
	v_fma_f32 v166, v7, v183, -v4
	v_add_f32_e32 v5, v1, v193
	v_add_f32_e32 v6, v2, v159
	ds_read2_b64 v[1:4], v0 offset0:85 offset1:86
	v_fmac_f32_e32 v162, v8, v183
	v_add_f32_e32 v5, v5, v194
	v_add_f32_e32 v6, v6, v158
	s_clause 0x3
	buffer_load_dword v158, off, s[0:3], 0 offset:312
	buffer_load_dword v159, off, s[0:3], 0 offset:304
	;; [unrolled: 1-line block ×4, first 2 shown]
	v_add_f32_e32 v5, v5, v177
	v_add_f32_e32 v6, v6, v146
	;; [unrolled: 1-line block ×4, first 2 shown]
	s_clause 0x1
	buffer_load_dword v177, off, s[0:3], 0 offset:308
	buffer_load_dword v179, off, s[0:3], 0 offset:316
	ds_read2_b64 v[5:8], v0 offset0:87 offset1:88
	v_add_f32_e32 v178, v178, v180
	v_add_f32_e32 v146, v146, v195
	s_waitcnt vmcnt(19) lgkmcnt(1)
	v_mul_f32_e32 v183, v1, v184
	v_mul_f32_e32 v184, v2, v184
	buffer_load_dword v180, off, s[0:3], 0 offset:324
	v_add_f32_e32 v146, v146, v169
	v_fmac_f32_e32 v183, v2, v182
	v_fma_f32 v169, v1, v182, -v184
	v_add_f32_e32 v1, v178, v196
	s_waitcnt vmcnt(19)
	v_mul_f32_e32 v184, v3, v185
	v_add_f32_e32 v2, v146, v171
	s_clause 0x3
	buffer_load_dword v146, off, s[0:3], 0 offset:344
	buffer_load_dword v171, off, s[0:3], 0 offset:336
	;; [unrolled: 1-line block ×4, first 2 shown]
	v_add_f32_e32 v1, v1, v170
	buffer_load_dword v170, off, s[0:3], 0 offset:332
	v_add_f32_e32 v2, v2, v128
	v_mul_f32_e32 v128, v4, v185
	v_fmac_f32_e32 v184, v4, v181
	v_add_f32_e32 v1, v1, v172
	buffer_load_dword v172, off, s[0:3], 0 offset:340
	v_add_f32_e32 v2, v2, v138
	s_clause 0x1
	buffer_load_dword v185, off, s[0:3], 0 offset:348
	buffer_load_dword v186, off, s[0:3], 0 offset:356
	v_fma_f32 v181, v3, v181, -v128
	v_add_f32_e32 v1, v1, v147
	s_clause 0x2
	buffer_load_dword v147, off, s[0:3], 0 offset:364
	buffer_load_dword v188, off, s[0:3], 0 offset:372
	;; [unrolled: 1-line block ×3, first 2 shown]
	v_add_f32_e32 v2, v2, v173
	v_add_f32_e32 v1, v1, v153
	s_clause 0x1
	buffer_load_dword v153, off, s[0:3], 0 offset:388
	buffer_load_dword v173, off, s[0:3], 0 offset:396
	v_add_f32_e32 v2, v2, v175
	v_add_f32_e32 v1, v1, v174
	s_clause 0x1
	buffer_load_dword v174, off, s[0:3], 0 offset:404
	buffer_load_dword v175, off, s[0:3], 0 offset:412
	;; [unrolled: 5-line block ×3, first 2 shown]
	buffer_load_dword v191, off, s[0:3], 0 offset:436
	v_add_f32_e32 v2, v2, v148
	buffer_load_dword v148, off, s[0:3], 0 offset:444
	v_add_f32_e32 v1, v1, v139
	v_add_f32_e32 v2, v2, v135
	;; [unrolled: 1-line block ×3, first 2 shown]
	s_clause 0x3
	buffer_load_dword v154, off, s[0:3], 0 offset:376
	buffer_load_dword v192, off, s[0:3], 0 offset:368
	;; [unrolled: 1-line block ×4, first 2 shown]
	v_add_f32_e32 v2, v2, v126
	v_add_f32_e32 v1, v1, v145
	s_clause 0x3
	buffer_load_dword v145, off, s[0:3], 0 offset:408
	buffer_load_dword v195, off, s[0:3], 0 offset:400
	;; [unrolled: 1-line block ×4, first 2 shown]
	v_add_f32_e32 v2, v2, v9
	v_add_f32_e32 v1, v1, v136
	;; [unrolled: 1-line block ×4, first 2 shown]
	s_clause 0x4
	buffer_load_dword v149, off, s[0:3], 0 offset:440
	buffer_load_dword v198, off, s[0:3], 0 offset:432
	;; [unrolled: 1-line block ×4, first 2 shown]
	buffer_load_dword v201, off, s[0:3], 0
	v_add_f32_e32 v2, v2, v127
	v_add_f32_e32 v1, v1, v140
	;; [unrolled: 1-line block ×5, first 2 shown]
	s_waitcnt vmcnt(49) lgkmcnt(0)
	v_mul_f32_e32 v135, v5, v130
	v_mul_f32_e32 v3, v6, v130
	v_fmac_f32_e32 v135, v6, v165
	v_fma_f32 v129, v5, v165, -v3
	v_add_f32_e32 v5, v1, v141
	v_add_f32_e32 v6, v2, v131
	ds_read2_b64 v[1:4], v0 offset0:89 offset1:90
	s_waitcnt vmcnt(48)
	v_mul_f32_e32 v137, v7, v143
	v_add_f32_e32 v9, v5, v125
	v_mul_f32_e32 v5, v8, v143
	v_add_f32_e32 v10, v6, v133
	s_waitcnt vmcnt(44)
	v_fmac_f32_e32 v137, v8, v152
	v_add_f32_e32 v125, v9, v132
	v_fma_f32 v136, v7, v152, -v5
	ds_read2_b64 v[5:8], v0 offset0:91 offset1:92
	v_add_f32_e32 v126, v10, v142
	ds_read2_b64 v[9:12], v0 offset0:93 offset1:94
	v_add_f32_e32 v125, v125, v134
	v_add_f32_e32 v126, v126, v160
	;; [unrolled: 1-line block ×3, first 2 shown]
	s_waitcnt vmcnt(43) lgkmcnt(2)
	v_mul_f32_e32 v127, v2, v155
	v_mul_f32_e32 v138, v1, v155
	s_waitcnt vmcnt(42)
	v_mul_f32_e32 v140, v3, v156
	v_fma_f32 v139, v1, v151, -v127
	v_add_f32_e32 v1, v126, v166
	v_fmac_f32_e32 v138, v2, v151
	v_add_f32_e32 v2, v130, v162
	ds_read2_b64 v[125:128], v0 offset0:95 offset1:96
	s_waitcnt vmcnt(41) lgkmcnt(2)
	v_mul_f32_e32 v131, v6, v157
	v_add_f32_e32 v1, v1, v169
	v_mul_f32_e32 v143, v5, v157
	v_add_f32_e32 v2, v2, v183
	s_waitcnt vmcnt(39) lgkmcnt(1)
	v_mul_f32_e32 v152, v9, v164
	v_fma_f32 v142, v5, v144, -v131
	v_add_f32_e32 v1, v1, v181
	v_mul_f32_e32 v130, v4, v156
	v_add_f32_e32 v5, v2, v184
	v_fmac_f32_e32 v143, v6, v144
	v_mul_f32_e32 v134, v10, v164
	v_add_f32_e32 v6, v1, v129
	s_waitcnt vmcnt(36)
	v_fmac_f32_e32 v152, v10, v167
	v_add_f32_e32 v10, v5, v135
	v_fmac_f32_e32 v140, v4, v150
	v_fma_f32 v141, v3, v150, -v130
	v_fma_f32 v150, v9, v167, -v134
	v_add_f32_e32 v9, v6, v136
	v_add_f32_e32 v10, v10, v137
	v_mul_f32_e32 v133, v8, v161
	v_mul_f32_e32 v151, v7, v161
	ds_read2_b64 v[1:4], v0 offset0:97 offset1:98
	ds_read2_b64 v[129:132], v0 offset0:99 offset1:100
	v_add_f32_e32 v9, v9, v139
	s_waitcnt vmcnt(33) lgkmcnt(2)
	v_mul_f32_e32 v156, v125, v179
	v_mul_f32_e32 v139, v126, v179
	v_add_f32_e32 v10, v10, v138
	v_fma_f32 v144, v7, v168, -v133
	v_fmac_f32_e32 v151, v8, v168
	v_fmac_f32_e32 v156, v126, v158
	v_fma_f32 v158, v125, v158, -v139
	v_add_f32_e32 v125, v9, v141
	v_add_f32_e32 v161, v10, v140
	v_mul_f32_e32 v155, v11, v177
	v_mul_f32_e32 v137, v12, v177
	s_waitcnt vmcnt(32)
	v_mul_f32_e32 v160, v128, v180
	v_add_f32_e32 v162, v125, v142
	v_add_f32_e32 v143, v161, v143
	v_fmac_f32_e32 v155, v12, v159
	v_fma_f32 v159, v11, v159, -v137
	v_mul_f32_e32 v157, v127, v180
	v_add_f32_e32 v144, v162, v144
	v_add_f32_e32 v143, v143, v151
	s_waitcnt vmcnt(28)
	v_fma_f32 v160, v127, v182, -v160
	s_waitcnt vmcnt(27) lgkmcnt(1)
	v_mul_f32_e32 v163, v2, v170
	ds_read2_b64 v[5:8], v0 offset0:101 offset1:102
	ds_read2_b64 v[133:136], v0 offset0:103 offset1:104
	v_add_f32_e32 v144, v144, v150
	v_add_f32_e32 v143, v143, v152
	v_fmac_f32_e32 v157, v128, v182
	v_mul_f32_e32 v161, v1, v170
	s_waitcnt vmcnt(26)
	v_mul_f32_e32 v151, v4, v172
	v_add_f32_e32 v144, v144, v159
	v_add_f32_e32 v143, v143, v155
	v_fma_f32 v1, v1, v178, -v163
	v_mul_f32_e32 v162, v3, v172
	v_fmac_f32_e32 v161, v2, v178
	v_add_f32_e32 v144, v144, v158
	v_add_f32_e32 v143, v143, v156
	s_waitcnt vmcnt(25) lgkmcnt(2)
	v_mul_f32_e32 v163, v130, v185
	v_fma_f32 v3, v3, v171, -v151
	v_mul_f32_e32 v150, v129, v185
	v_add_f32_e32 v144, v144, v160
	v_add_f32_e32 v143, v143, v157
	v_fmac_f32_e32 v162, v4, v171
	s_waitcnt vmcnt(24)
	v_mul_f32_e32 v165, v132, v186
	v_fma_f32 v129, v129, v146, -v163
	v_add_f32_e32 v1, v144, v1
	v_add_f32_e32 v143, v143, v161
	v_mul_f32_e32 v164, v131, v186
	v_fmac_f32_e32 v150, v130, v146
	s_waitcnt vmcnt(23) lgkmcnt(1)
	v_mul_f32_e32 v130, v6, v147
	v_add_f32_e32 v1, v1, v3
	v_add_f32_e32 v3, v143, v162
	ds_read2_b64 v[9:12], v0 offset0:105 offset1:106
	ds_read2_b64 v[137:140], v0 offset0:107 offset1:108
	v_mul_f32_e32 v152, v5, v147
	s_waitcnt vmcnt(10)
	v_fma_f32 v5, v5, v193, -v130
	s_waitcnt vmcnt(9)
	v_fma_f32 v131, v131, v194, -v165
	v_add_f32_e32 v1, v1, v129
	v_fmac_f32_e32 v164, v132, v194
	v_add_f32_e32 v3, v3, v150
	v_mul_f32_e32 v129, v8, v188
	v_mul_f32_e32 v159, v7, v188
	v_add_f32_e32 v1, v1, v131
	v_fmac_f32_e32 v152, v6, v193
	v_add_f32_e32 v3, v3, v164
	s_waitcnt lgkmcnt(2)
	v_mul_f32_e32 v6, v134, v189
	v_fma_f32 v7, v7, v192, -v129
	v_add_f32_e32 v1, v1, v5
	v_mul_f32_e32 v2, v133, v189
	v_fmac_f32_e32 v159, v8, v192
	v_add_f32_e32 v3, v3, v152
	v_mul_f32_e32 v5, v136, v153
	v_fma_f32 v6, v133, v154, -v6
	v_add_f32_e32 v1, v1, v7
	v_mul_f32_e32 v155, v135, v153
	v_fmac_f32_e32 v2, v134, v154
	v_add_f32_e32 v3, v3, v159
	s_waitcnt lgkmcnt(1)
	v_mul_f32_e32 v7, v10, v173
	s_waitcnt vmcnt(5)
	v_fma_f32 v5, v135, v197, -v5
	v_add_f32_e32 v1, v1, v6
	ds_read2_b64 v[125:128], v0 offset0:109 offset1:110
	ds_read_b64 v[141:142], v0 offset:888
	v_mul_f32_e32 v158, v9, v173
	v_fmac_f32_e32 v155, v136, v197
	v_add_f32_e32 v2, v3, v2
	v_mul_f32_e32 v3, v12, v174
	v_fma_f32 v6, v9, v196, -v7
	v_add_f32_e32 v1, v1, v5
	v_mul_f32_e32 v156, v11, v174
	v_fmac_f32_e32 v158, v10, v196
	v_add_f32_e32 v2, v2, v155
	s_waitcnt lgkmcnt(2)
	v_mul_f32_e32 v5, v138, v175
	v_fma_f32 v3, v11, v195, -v3
	v_add_f32_e32 v1, v1, v6
	v_mul_f32_e32 v4, v137, v175
	v_fmac_f32_e32 v156, v12, v195
	v_add_f32_e32 v2, v2, v158
	v_mul_f32_e32 v6, v140, v176
	v_fma_f32 v5, v137, v145, -v5
	v_add_f32_e32 v1, v1, v3
	v_mul_f32_e32 v151, v139, v176
	v_fmac_f32_e32 v4, v138, v145
	v_add_f32_e32 v2, v2, v156
	s_waitcnt lgkmcnt(1)
	v_mul_f32_e32 v3, v126, v190
	s_waitcnt vmcnt(1)
	v_fma_f32 v6, v139, v200, -v6
	v_add_f32_e32 v1, v1, v5
	v_mul_f32_e32 v157, v125, v190
	v_fmac_f32_e32 v151, v140, v200
	v_add_f32_e32 v2, v2, v4
	v_mul_f32_e32 v4, v128, v191
	v_fma_f32 v3, v125, v199, -v3
	v_add_f32_e32 v1, v1, v6
	v_mul_f32_e32 v160, v127, v191
	v_fmac_f32_e32 v157, v126, v199
	v_add_f32_e32 v2, v2, v151
	s_waitcnt lgkmcnt(0)
	v_mul_f32_e32 v5, v142, v148
	v_fma_f32 v4, v127, v198, -v4
	v_add_f32_e32 v1, v1, v3
	v_mul_f32_e32 v144, v141, v148
	v_fmac_f32_e32 v160, v128, v198
	v_add_f32_e32 v2, v2, v157
	v_fma_f32 v3, v141, v149, -v5
	v_add_f32_e32 v1, v1, v4
	v_fmac_f32_e32 v144, v142, v149
	v_add_f32_e32 v2, v2, v160
	v_add_f32_e32 v1, v1, v3
	;; [unrolled: 1-line block ×3, first 2 shown]
	s_waitcnt vmcnt(0)
	v_sub_f32_e32 v1, v201, v1
	v_sub_f32_e32 v2, v187, v2
	buffer_store_dword v1, off, s[0:3], 0
	buffer_store_dword v2, off, s[0:3], 0 offset:4
	s_cbranch_vccz .LBB55_460
; %bb.350:
	global_load_dword v0, v0, s[20:21] offset:216
	s_waitcnt vmcnt(0)
	v_add_nc_u32_e32 v0, -1, v0
	v_cmp_ne_u32_e32 vcc_lo, 54, v0
	s_cbranch_vccz .LBB55_352
; %bb.351:
	v_lshlrev_b32_e32 v0, 3, v0
	s_clause 0x3
	buffer_load_dword v1, v0, s[0:3], 0 offen
	buffer_load_dword v2, v0, s[0:3], 0 offen offset:4
	buffer_load_dword v3, off, s[0:3], 0 offset:436
	buffer_load_dword v4, off, s[0:3], 0 offset:432
	s_waitcnt vmcnt(3)
	buffer_store_dword v1, off, s[0:3], 0 offset:432
	s_waitcnt vmcnt(2)
	buffer_store_dword v2, off, s[0:3], 0 offset:436
	s_waitcnt vmcnt(1)
	buffer_store_dword v3, v0, s[0:3], 0 offen offset:4
	s_waitcnt vmcnt(0)
	buffer_store_dword v4, v0, s[0:3], 0 offen
.LBB55_352:
	v_mov_b32_e32 v0, 0
	global_load_dword v1, v0, s[20:21] offset:212
	s_waitcnt vmcnt(0)
	v_add_nc_u32_e32 v1, -1, v1
	v_cmp_eq_u32_e32 vcc_lo, 53, v1
	s_cbranch_vccnz .LBB55_354
; %bb.353:
	v_lshlrev_b32_e32 v1, 3, v1
	s_clause 0x3
	buffer_load_dword v2, v1, s[0:3], 0 offen
	buffer_load_dword v3, v1, s[0:3], 0 offen offset:4
	buffer_load_dword v4, off, s[0:3], 0 offset:424
	buffer_load_dword v5, off, s[0:3], 0 offset:428
	s_waitcnt vmcnt(3)
	buffer_store_dword v2, off, s[0:3], 0 offset:424
	s_waitcnt vmcnt(2)
	buffer_store_dword v3, off, s[0:3], 0 offset:428
	s_waitcnt vmcnt(1)
	buffer_store_dword v4, v1, s[0:3], 0 offen
	s_waitcnt vmcnt(0)
	buffer_store_dword v5, v1, s[0:3], 0 offen offset:4
.LBB55_354:
	global_load_dword v0, v0, s[20:21] offset:208
	s_waitcnt vmcnt(0)
	v_add_nc_u32_e32 v0, -1, v0
	v_cmp_eq_u32_e32 vcc_lo, 52, v0
	s_cbranch_vccnz .LBB55_356
; %bb.355:
	v_lshlrev_b32_e32 v0, 3, v0
	s_clause 0x3
	buffer_load_dword v1, v0, s[0:3], 0 offen
	buffer_load_dword v2, v0, s[0:3], 0 offen offset:4
	buffer_load_dword v3, off, s[0:3], 0 offset:420
	buffer_load_dword v4, off, s[0:3], 0 offset:416
	s_waitcnt vmcnt(3)
	buffer_store_dword v1, off, s[0:3], 0 offset:416
	s_waitcnt vmcnt(2)
	buffer_store_dword v2, off, s[0:3], 0 offset:420
	s_waitcnt vmcnt(1)
	buffer_store_dword v3, v0, s[0:3], 0 offen offset:4
	s_waitcnt vmcnt(0)
	buffer_store_dword v4, v0, s[0:3], 0 offen
.LBB55_356:
	v_mov_b32_e32 v0, 0
	global_load_dword v1, v0, s[20:21] offset:204
	s_waitcnt vmcnt(0)
	v_add_nc_u32_e32 v1, -1, v1
	v_cmp_eq_u32_e32 vcc_lo, 51, v1
	s_cbranch_vccnz .LBB55_358
; %bb.357:
	v_lshlrev_b32_e32 v1, 3, v1
	s_clause 0x3
	buffer_load_dword v2, v1, s[0:3], 0 offen
	buffer_load_dword v3, v1, s[0:3], 0 offen offset:4
	buffer_load_dword v4, off, s[0:3], 0 offset:408
	buffer_load_dword v5, off, s[0:3], 0 offset:412
	s_waitcnt vmcnt(3)
	buffer_store_dword v2, off, s[0:3], 0 offset:408
	s_waitcnt vmcnt(2)
	buffer_store_dword v3, off, s[0:3], 0 offset:412
	s_waitcnt vmcnt(1)
	buffer_store_dword v4, v1, s[0:3], 0 offen
	s_waitcnt vmcnt(0)
	buffer_store_dword v5, v1, s[0:3], 0 offen offset:4
.LBB55_358:
	global_load_dword v0, v0, s[20:21] offset:200
	s_waitcnt vmcnt(0)
	v_add_nc_u32_e32 v0, -1, v0
	v_cmp_eq_u32_e32 vcc_lo, 50, v0
	s_cbranch_vccnz .LBB55_360
; %bb.359:
	v_lshlrev_b32_e32 v0, 3, v0
	s_clause 0x3
	buffer_load_dword v1, v0, s[0:3], 0 offen
	buffer_load_dword v2, v0, s[0:3], 0 offen offset:4
	buffer_load_dword v3, off, s[0:3], 0 offset:404
	buffer_load_dword v4, off, s[0:3], 0 offset:400
	s_waitcnt vmcnt(3)
	buffer_store_dword v1, off, s[0:3], 0 offset:400
	s_waitcnt vmcnt(2)
	buffer_store_dword v2, off, s[0:3], 0 offset:404
	s_waitcnt vmcnt(1)
	buffer_store_dword v3, v0, s[0:3], 0 offen offset:4
	s_waitcnt vmcnt(0)
	buffer_store_dword v4, v0, s[0:3], 0 offen
.LBB55_360:
	;; [unrolled: 43-line block ×26, first 2 shown]
	v_mov_b32_e32 v0, 0
	global_load_dword v1, v0, s[20:21] offset:4
	s_waitcnt vmcnt(0)
	v_add_nc_u32_e32 v1, -1, v1
	v_cmp_eq_u32_e32 vcc_lo, 1, v1
	s_cbranch_vccnz .LBB55_458
; %bb.457:
	v_lshlrev_b32_e32 v1, 3, v1
	s_clause 0x3
	buffer_load_dword v2, v1, s[0:3], 0 offen
	buffer_load_dword v3, v1, s[0:3], 0 offen offset:4
	buffer_load_dword v4, off, s[0:3], 0 offset:8
	buffer_load_dword v5, off, s[0:3], 0 offset:12
	s_waitcnt vmcnt(3)
	buffer_store_dword v2, off, s[0:3], 0 offset:8
	s_waitcnt vmcnt(2)
	buffer_store_dword v3, off, s[0:3], 0 offset:12
	s_waitcnt vmcnt(1)
	buffer_store_dword v4, v1, s[0:3], 0 offen
	s_waitcnt vmcnt(0)
	buffer_store_dword v5, v1, s[0:3], 0 offen offset:4
.LBB55_458:
	global_load_dword v0, v0, s[20:21]
	s_waitcnt vmcnt(0)
	v_add_nc_u32_e32 v0, -1, v0
	v_cmp_eq_u32_e32 vcc_lo, 0, v0
	s_cbranch_vccnz .LBB55_460
; %bb.459:
	v_lshlrev_b32_e32 v0, 3, v0
	s_clause 0x3
	buffer_load_dword v1, v0, s[0:3], 0 offen
	buffer_load_dword v2, v0, s[0:3], 0 offen offset:4
	buffer_load_dword v3, off, s[0:3], 0 offset:4
	buffer_load_dword v4, off, s[0:3], 0
	s_waitcnt vmcnt(3)
	buffer_store_dword v1, off, s[0:3], 0
	s_waitcnt vmcnt(2)
	buffer_store_dword v2, off, s[0:3], 0 offset:4
	s_waitcnt vmcnt(1)
	buffer_store_dword v3, v0, s[0:3], 0 offen offset:4
	s_waitcnt vmcnt(0)
	buffer_store_dword v4, v0, s[0:3], 0 offen
.LBB55_460:
	s_clause 0x3e
	buffer_load_dword v0, off, s[0:3], 0
	buffer_load_dword v1, off, s[0:3], 0 offset:4
	buffer_load_dword v2, off, s[0:3], 0 offset:8
	;; [unrolled: 1-line block ×62, first 2 shown]
	s_clause 0x30
	buffer_load_dword v176, off, s[0:3], 0 offset:252
	buffer_load_dword v177, off, s[0:3], 0 offset:256
	;; [unrolled: 1-line block ×49, first 2 shown]
	s_waitcnt vmcnt(62)
	global_store_dwordx2 v[105:106], v[0:1], off
	global_store_dwordx2 v[107:108], v[2:3], off
	;; [unrolled: 1-line block ×25, first 2 shown]
	s_waitcnt vmcnt(60)
	global_store_dwordx2 v[59:60], v[163:164], off
	s_waitcnt vmcnt(58)
	global_store_dwordx2 v[61:62], v[165:166], off
	;; [unrolled: 2-line block ×31, first 2 shown]
	s_endpgm
	.section	.rodata,"a",@progbits
	.p2align	6, 0x0
	.amdhsa_kernel _ZN9rocsolver6v33100L18getri_kernel_smallILi56E19rocblas_complex_numIfEPS3_EEvT1_iilPiilS6_bb
		.amdhsa_group_segment_fixed_size 900
		.amdhsa_private_segment_fixed_size 464
		.amdhsa_kernarg_size 60
		.amdhsa_user_sgpr_count 6
		.amdhsa_user_sgpr_private_segment_buffer 1
		.amdhsa_user_sgpr_dispatch_ptr 0
		.amdhsa_user_sgpr_queue_ptr 0
		.amdhsa_user_sgpr_kernarg_segment_ptr 1
		.amdhsa_user_sgpr_dispatch_id 0
		.amdhsa_user_sgpr_flat_scratch_init 0
		.amdhsa_user_sgpr_private_segment_size 0
		.amdhsa_wavefront_size32 1
		.amdhsa_uses_dynamic_stack 0
		.amdhsa_system_sgpr_private_segment_wavefront_offset 1
		.amdhsa_system_sgpr_workgroup_id_x 1
		.amdhsa_system_sgpr_workgroup_id_y 0
		.amdhsa_system_sgpr_workgroup_id_z 0
		.amdhsa_system_sgpr_workgroup_info 0
		.amdhsa_system_vgpr_workitem_id 0
		.amdhsa_next_free_vgpr 252
		.amdhsa_next_free_sgpr 23
		.amdhsa_reserve_vcc 1
		.amdhsa_reserve_flat_scratch 0
		.amdhsa_float_round_mode_32 0
		.amdhsa_float_round_mode_16_64 0
		.amdhsa_float_denorm_mode_32 3
		.amdhsa_float_denorm_mode_16_64 3
		.amdhsa_dx10_clamp 1
		.amdhsa_ieee_mode 1
		.amdhsa_fp16_overflow 0
		.amdhsa_workgroup_processor_mode 1
		.amdhsa_memory_ordered 1
		.amdhsa_forward_progress 1
		.amdhsa_shared_vgpr_count 0
		.amdhsa_exception_fp_ieee_invalid_op 0
		.amdhsa_exception_fp_denorm_src 0
		.amdhsa_exception_fp_ieee_div_zero 0
		.amdhsa_exception_fp_ieee_overflow 0
		.amdhsa_exception_fp_ieee_underflow 0
		.amdhsa_exception_fp_ieee_inexact 0
		.amdhsa_exception_int_div_zero 0
	.end_amdhsa_kernel
	.section	.text._ZN9rocsolver6v33100L18getri_kernel_smallILi56E19rocblas_complex_numIfEPS3_EEvT1_iilPiilS6_bb,"axG",@progbits,_ZN9rocsolver6v33100L18getri_kernel_smallILi56E19rocblas_complex_numIfEPS3_EEvT1_iilPiilS6_bb,comdat
.Lfunc_end55:
	.size	_ZN9rocsolver6v33100L18getri_kernel_smallILi56E19rocblas_complex_numIfEPS3_EEvT1_iilPiilS6_bb, .Lfunc_end55-_ZN9rocsolver6v33100L18getri_kernel_smallILi56E19rocblas_complex_numIfEPS3_EEvT1_iilPiilS6_bb
                                        ; -- End function
	.set _ZN9rocsolver6v33100L18getri_kernel_smallILi56E19rocblas_complex_numIfEPS3_EEvT1_iilPiilS6_bb.num_vgpr, 252
	.set _ZN9rocsolver6v33100L18getri_kernel_smallILi56E19rocblas_complex_numIfEPS3_EEvT1_iilPiilS6_bb.num_agpr, 0
	.set _ZN9rocsolver6v33100L18getri_kernel_smallILi56E19rocblas_complex_numIfEPS3_EEvT1_iilPiilS6_bb.numbered_sgpr, 23
	.set _ZN9rocsolver6v33100L18getri_kernel_smallILi56E19rocblas_complex_numIfEPS3_EEvT1_iilPiilS6_bb.num_named_barrier, 0
	.set _ZN9rocsolver6v33100L18getri_kernel_smallILi56E19rocblas_complex_numIfEPS3_EEvT1_iilPiilS6_bb.private_seg_size, 464
	.set _ZN9rocsolver6v33100L18getri_kernel_smallILi56E19rocblas_complex_numIfEPS3_EEvT1_iilPiilS6_bb.uses_vcc, 1
	.set _ZN9rocsolver6v33100L18getri_kernel_smallILi56E19rocblas_complex_numIfEPS3_EEvT1_iilPiilS6_bb.uses_flat_scratch, 0
	.set _ZN9rocsolver6v33100L18getri_kernel_smallILi56E19rocblas_complex_numIfEPS3_EEvT1_iilPiilS6_bb.has_dyn_sized_stack, 0
	.set _ZN9rocsolver6v33100L18getri_kernel_smallILi56E19rocblas_complex_numIfEPS3_EEvT1_iilPiilS6_bb.has_recursion, 0
	.set _ZN9rocsolver6v33100L18getri_kernel_smallILi56E19rocblas_complex_numIfEPS3_EEvT1_iilPiilS6_bb.has_indirect_call, 0
	.section	.AMDGPU.csdata,"",@progbits
; Kernel info:
; codeLenInByte = 116932
; TotalNumSgprs: 25
; NumVgprs: 252
; ScratchSize: 464
; MemoryBound: 0
; FloatMode: 240
; IeeeMode: 1
; LDSByteSize: 900 bytes/workgroup (compile time only)
; SGPRBlocks: 0
; VGPRBlocks: 31
; NumSGPRsForWavesPerEU: 25
; NumVGPRsForWavesPerEU: 252
; Occupancy: 4
; WaveLimiterHint : 1
; COMPUTE_PGM_RSRC2:SCRATCH_EN: 1
; COMPUTE_PGM_RSRC2:USER_SGPR: 6
; COMPUTE_PGM_RSRC2:TRAP_HANDLER: 0
; COMPUTE_PGM_RSRC2:TGID_X_EN: 1
; COMPUTE_PGM_RSRC2:TGID_Y_EN: 0
; COMPUTE_PGM_RSRC2:TGID_Z_EN: 0
; COMPUTE_PGM_RSRC2:TIDIG_COMP_CNT: 0
	.section	.text._ZN9rocsolver6v33100L18getri_kernel_smallILi57E19rocblas_complex_numIfEPS3_EEvT1_iilPiilS6_bb,"axG",@progbits,_ZN9rocsolver6v33100L18getri_kernel_smallILi57E19rocblas_complex_numIfEPS3_EEvT1_iilPiilS6_bb,comdat
	.globl	_ZN9rocsolver6v33100L18getri_kernel_smallILi57E19rocblas_complex_numIfEPS3_EEvT1_iilPiilS6_bb ; -- Begin function _ZN9rocsolver6v33100L18getri_kernel_smallILi57E19rocblas_complex_numIfEPS3_EEvT1_iilPiilS6_bb
	.p2align	8
	.type	_ZN9rocsolver6v33100L18getri_kernel_smallILi57E19rocblas_complex_numIfEPS3_EEvT1_iilPiilS6_bb,@function
_ZN9rocsolver6v33100L18getri_kernel_smallILi57E19rocblas_complex_numIfEPS3_EEvT1_iilPiilS6_bb: ; @_ZN9rocsolver6v33100L18getri_kernel_smallILi57E19rocblas_complex_numIfEPS3_EEvT1_iilPiilS6_bb
; %bb.0:
	s_add_u32 s0, s0, s7
	s_addc_u32 s1, s1, 0
	s_mov_b32 s7, exec_lo
	v_cmpx_gt_u32_e32 57, v0
	s_cbranch_execz .LBB56_242
; %bb.1:
	s_clause 0x2
	s_load_dword s7, s[4:5], 0x38
	s_load_dwordx4 s[16:19], s[4:5], 0x10
	s_load_dwordx4 s[8:11], s[4:5], 0x28
                                        ; implicit-def: $sgpr20_sgpr21
	s_waitcnt lgkmcnt(0)
	s_bitcmp1_b32 s7, 8
	s_cselect_b32 s22, -1, 0
	s_bfe_u32 s12, s7, 0x10008
	s_ashr_i32 s7, s6, 31
	s_cmp_eq_u32 s12, 0
	s_cbranch_scc1 .LBB56_3
; %bb.2:
	s_load_dword s12, s[4:5], 0x20
	s_mul_i32 s13, s8, s7
	s_mul_hi_u32 s14, s8, s6
	s_mul_i32 s9, s9, s6
	s_add_i32 s13, s14, s13
	s_mul_i32 s8, s8, s6
	s_add_i32 s9, s13, s9
	s_lshl_b64 s[8:9], s[8:9], 2
	s_waitcnt lgkmcnt(0)
	s_ashr_i32 s13, s12, 31
	s_add_u32 s14, s18, s8
	s_addc_u32 s15, s19, s9
	s_lshl_b64 s[8:9], s[12:13], 2
	s_add_u32 s20, s14, s8
	s_addc_u32 s21, s15, s9
.LBB56_3:
	s_clause 0x1
	s_load_dwordx4 s[12:15], s[4:5], 0x0
	s_load_dword s8, s[4:5], 0x38
	s_mul_i32 s4, s16, s7
	s_mul_hi_u32 s5, s16, s6
	s_mul_i32 s9, s17, s6
	s_add_i32 s5, s5, s4
	s_mul_i32 s4, s16, s6
	s_add_i32 s5, s5, s9
	s_lshl_b64 s[4:5], s[4:5], 3
	s_waitcnt lgkmcnt(0)
	v_add3_u32 v1, s15, s15, v0
	s_ashr_i32 s17, s14, 31
	s_mov_b32 s16, s14
	s_add_u32 s9, s12, s4
	s_addc_u32 s12, s13, s5
	v_add_nc_u32_e32 v3, s15, v1
	v_ashrrev_i32_e32 v2, 31, v1
	s_lshl_b64 s[4:5], s[16:17], 3
	s_add_u32 s4, s9, s4
	v_add_nc_u32_e32 v5, s15, v3
	v_ashrrev_i32_e32 v4, 31, v3
	v_lshlrev_b64 v[1:2], 3, v[1:2]
	s_addc_u32 s5, s12, s5
	s_ashr_i32 s13, s15, 31
	v_ashrrev_i32_e32 v6, 31, v5
	v_add_nc_u32_e32 v7, s15, v5
	v_lshlrev_b64 v[3:4], 3, v[3:4]
	v_add_co_u32 v13, vcc_lo, s4, v1
	v_add_co_ci_u32_e64 v14, null, s5, v2, vcc_lo
	v_lshlrev_b64 v[1:2], 3, v[5:6]
	v_ashrrev_i32_e32 v8, 31, v7
	v_add_nc_u32_e32 v5, s15, v7
	v_add_co_u32 v15, vcc_lo, s4, v3
	v_add_co_ci_u32_e64 v16, null, s5, v4, vcc_lo
	v_lshlrev_b64 v[3:4], 3, v[7:8]
	v_ashrrev_i32_e32 v6, 31, v5
	v_add_nc_u32_e32 v7, s15, v5
	;; [unrolled: 5-line block ×41, first 2 shown]
	v_add_co_u32 v95, vcc_lo, s4, v3
	v_add_co_ci_u32_e64 v96, null, s5, v4, vcc_lo
	v_lshlrev_b64 v[3:4], 3, v[7:8]
	v_add_nc_u32_e32 v7, s15, v5
	v_ashrrev_i32_e32 v6, 31, v5
	v_add_co_u32 v97, vcc_lo, s4, v1
	v_add_co_ci_u32_e64 v98, null, s5, v2, vcc_lo
	v_ashrrev_i32_e32 v8, 31, v7
	v_lshlrev_b64 v[1:2], 3, v[5:6]
	v_add_co_u32 v99, vcc_lo, s4, v3
	v_add_nc_u32_e32 v6, s15, v7
	v_add_co_ci_u32_e64 v100, null, s5, v4, vcc_lo
	v_lshlrev_b64 v[4:5], 3, v[7:8]
	v_add_co_u32 v101, vcc_lo, s4, v1
	v_ashrrev_i32_e32 v7, 31, v6
	v_add_co_ci_u32_e64 v102, null, s5, v2, vcc_lo
	v_add_co_u32 v103, vcc_lo, s4, v4
	v_add_co_ci_u32_e64 v104, null, s5, v5, vcc_lo
	v_lshlrev_b64 v[4:5], 3, v[6:7]
	v_add_nc_u32_e32 v6, s15, v6
	v_lshlrev_b32_e32 v3, 3, v0
	s_mov_b32 s12, s15
	s_lshl_b64 s[12:13], s[12:13], 3
	v_ashrrev_i32_e32 v7, 31, v6
	v_add_co_u32 v107, s9, s4, v3
	v_add_co_ci_u32_e64 v108, null, s5, 0, s9
	v_lshlrev_b64 v[7:8], 3, v[6:7]
	v_add_co_u32 v111, vcc_lo, v107, s12
	v_add_nc_u32_e32 v9, s15, v6
	v_add_co_ci_u32_e64 v112, null, s13, v108, vcc_lo
	v_add_co_u32 v105, vcc_lo, s4, v4
	v_add_co_ci_u32_e64 v106, null, s5, v5, vcc_lo
	v_add_co_u32 v109, vcc_lo, s4, v7
	v_add_co_ci_u32_e64 v110, null, s5, v8, vcc_lo
	v_add_nc_u32_e32 v8, s15, v9
	v_ashrrev_i32_e32 v10, 31, v9
	s_clause 0x6
	global_load_dwordx2 v[1:2], v3, s[4:5]
	global_load_dwordx2 v[4:5], v[111:112], off
	global_load_dwordx2 v[11:12], v[13:14], off
	;; [unrolled: 1-line block ×6, first 2 shown]
	v_add_nc_u32_e32 v117, s15, v8
	v_lshlrev_b64 v[113:114], 3, v[9:10]
	v_ashrrev_i32_e32 v9, 31, v8
	s_clause 0x5
	global_load_dwordx2 v[6:7], v[23:24], off
	global_load_dwordx2 v[135:136], v[25:26], off
	;; [unrolled: 1-line block ×6, first 2 shown]
	v_add_nc_u32_e32 v119, s15, v117
	v_ashrrev_i32_e32 v118, 31, v117
	v_lshlrev_b64 v[8:9], 3, v[8:9]
	v_add_co_u32 v113, vcc_lo, s4, v113
	v_add_nc_u32_e32 v121, s15, v119
	v_ashrrev_i32_e32 v120, 31, v119
	v_lshlrev_b64 v[117:118], 3, v[117:118]
	v_add_co_ci_u32_e64 v114, null, s5, v114, vcc_lo
	v_add_nc_u32_e32 v123, s15, v121
	v_ashrrev_i32_e32 v122, 31, v121
	v_lshlrev_b64 v[119:120], 3, v[119:120]
	v_add_co_u32 v115, vcc_lo, s4, v8
	v_add_nc_u32_e32 v125, s15, v123
	v_ashrrev_i32_e32 v124, 31, v123
	v_lshlrev_b64 v[121:122], 3, v[121:122]
	v_add_co_ci_u32_e64 v116, null, s5, v9, vcc_lo
	v_ashrrev_i32_e32 v126, 31, v125
	v_add_co_u32 v117, vcc_lo, s4, v117
	v_lshlrev_b64 v[123:124], 3, v[123:124]
	v_add_co_ci_u32_e64 v118, null, s5, v118, vcc_lo
	v_add_co_u32 v119, vcc_lo, s4, v119
	v_lshlrev_b64 v[125:126], 3, v[125:126]
	v_add_co_ci_u32_e64 v120, null, s5, v120, vcc_lo
	v_add_co_u32 v121, vcc_lo, s4, v121
	v_add_co_ci_u32_e64 v122, null, s5, v122, vcc_lo
	v_add_co_u32 v123, vcc_lo, s4, v123
	;; [unrolled: 2-line block ×3, first 2 shown]
	v_add_co_ci_u32_e64 v126, null, s5, v126, vcc_lo
	s_clause 0x2b
	global_load_dwordx2 v[145:146], v[35:36], off
	global_load_dwordx2 v[147:148], v[37:38], off
	;; [unrolled: 1-line block ×44, first 2 shown]
	s_mov_b32 s5, -1
	s_bitcmp0_b32 s8, 0
	s_waitcnt vmcnt(56)
	buffer_store_dword v2, off, s[0:3], 0 offset:4
	buffer_store_dword v1, off, s[0:3], 0
	s_waitcnt vmcnt(55)
	buffer_store_dword v5, off, s[0:3], 0 offset:12
	buffer_store_dword v4, off, s[0:3], 0 offset:8
	s_waitcnt vmcnt(54)
	buffer_store_dword v12, off, s[0:3], 0 offset:20
	buffer_store_dword v11, off, s[0:3], 0 offset:16
	;; [unrolled: 3-line block ×56, first 2 shown]
	s_cbranch_scc1 .LBB56_240
; %bb.4:
	v_cmp_eq_u32_e64 s4, 0, v0
	s_and_saveexec_b32 s5, s4
; %bb.5:
	v_mov_b32_e32 v1, 0
	ds_write_b32 v1, v1 offset:456
; %bb.6:
	s_or_b32 exec_lo, exec_lo, s5
	v_lshl_add_u32 v5, v0, 3, 0
	s_waitcnt lgkmcnt(0)
	s_waitcnt_vscnt null, 0x0
	s_barrier
	buffer_gl0_inv
	s_clause 0x1
	buffer_load_dword v1, v5, s[0:3], 0 offen
	buffer_load_dword v2, v5, s[0:3], 0 offen offset:4
	s_waitcnt vmcnt(1)
	v_cmp_eq_f32_e32 vcc_lo, 0, v1
	s_waitcnt vmcnt(0)
	v_cmp_eq_f32_e64 s5, 0, v2
	s_and_b32 s5, vcc_lo, s5
	s_and_saveexec_b32 s8, s5
	s_cbranch_execz .LBB56_10
; %bb.7:
	v_mov_b32_e32 v1, 0
	s_mov_b32 s9, 0
	ds_read_b32 v2, v1 offset:456
	s_waitcnt lgkmcnt(0)
	v_readfirstlane_b32 s5, v2
	v_add_nc_u32_e32 v2, 1, v0
	s_cmp_eq_u32 s5, 0
	v_cmp_gt_i32_e32 vcc_lo, s5, v2
	s_cselect_b32 s12, -1, 0
	s_or_b32 s12, s12, vcc_lo
	s_and_b32 exec_lo, exec_lo, s12
	s_cbranch_execz .LBB56_10
; %bb.8:
	v_mov_b32_e32 v4, s5
.LBB56_9:                               ; =>This Inner Loop Header: Depth=1
	ds_cmpst_rtn_b32 v4, v1, v4, v2 offset:456
	s_waitcnt lgkmcnt(0)
	v_cmp_ne_u32_e32 vcc_lo, 0, v4
	v_cmp_le_i32_e64 s5, v4, v2
	s_and_b32 s5, vcc_lo, s5
	s_and_b32 s5, exec_lo, s5
	s_or_b32 s9, s5, s9
	s_andn2_b32 exec_lo, exec_lo, s9
	s_cbranch_execnz .LBB56_9
.LBB56_10:
	s_or_b32 exec_lo, exec_lo, s8
	v_mov_b32_e32 v1, 0
	s_barrier
	buffer_gl0_inv
	ds_read_b32 v2, v1 offset:456
	s_and_saveexec_b32 s5, s4
	s_cbranch_execz .LBB56_12
; %bb.11:
	s_lshl_b64 s[8:9], s[6:7], 2
	s_add_u32 s8, s10, s8
	s_addc_u32 s9, s11, s9
	s_waitcnt lgkmcnt(0)
	global_store_dword v1, v2, s[8:9]
.LBB56_12:
	s_or_b32 exec_lo, exec_lo, s5
	s_waitcnt lgkmcnt(0)
	v_cmp_ne_u32_e32 vcc_lo, 0, v2
	s_mov_b32 s5, 0
	s_cbranch_vccnz .LBB56_240
; %bb.13:
	s_clause 0x1
	buffer_load_dword v2, v5, s[0:3], 0 offen
	buffer_load_dword v4, v5, s[0:3], 0 offen offset:4
                                        ; implicit-def: $vgpr7
                                        ; implicit-def: $vgpr6
                                        ; implicit-def: $vgpr1
	s_waitcnt vmcnt(0)
	v_cmp_ngt_f32_e64 s5, |v2|, |v4|
	s_and_saveexec_b32 s8, s5
	s_xor_b32 s5, exec_lo, s8
	s_cbranch_execz .LBB56_15
; %bb.14:
	v_div_scale_f32 v1, null, v4, v4, v2
	v_div_scale_f32 v8, vcc_lo, v2, v4, v2
	v_rcp_f32_e32 v6, v1
	v_fma_f32 v7, -v1, v6, 1.0
	v_fmac_f32_e32 v6, v7, v6
	v_mul_f32_e32 v7, v8, v6
	v_fma_f32 v9, -v1, v7, v8
	v_fmac_f32_e32 v7, v9, v6
	v_fma_f32 v1, -v1, v7, v8
	v_div_fmas_f32 v1, v1, v6, v7
	v_div_fixup_f32 v1, v1, v4, v2
	v_fmac_f32_e32 v4, v2, v1
	v_div_scale_f32 v2, null, v4, v4, 1.0
	v_rcp_f32_e32 v6, v2
	v_fma_f32 v7, -v2, v6, 1.0
	v_fmac_f32_e32 v6, v7, v6
	v_div_scale_f32 v7, vcc_lo, 1.0, v4, 1.0
	v_mul_f32_e32 v8, v7, v6
	v_fma_f32 v9, -v2, v8, v7
	v_fmac_f32_e32 v8, v9, v6
	v_fma_f32 v2, -v2, v8, v7
	v_div_fmas_f32 v2, v2, v6, v8
	v_div_fixup_f32 v2, v2, v4, 1.0
                                        ; implicit-def: $vgpr4
	v_mul_f32_e32 v7, v1, v2
	v_xor_b32_e32 v6, 0x80000000, v2
                                        ; implicit-def: $vgpr2
	v_xor_b32_e32 v1, 0x80000000, v7
.LBB56_15:
	s_andn2_saveexec_b32 s5, s5
	s_cbranch_execz .LBB56_17
; %bb.16:
	v_div_scale_f32 v1, null, v2, v2, v4
	v_div_scale_f32 v8, vcc_lo, v4, v2, v4
	v_rcp_f32_e32 v6, v1
	v_fma_f32 v7, -v1, v6, 1.0
	v_fmac_f32_e32 v6, v7, v6
	v_mul_f32_e32 v7, v8, v6
	v_fma_f32 v9, -v1, v7, v8
	v_fmac_f32_e32 v7, v9, v6
	v_fma_f32 v1, -v1, v7, v8
	v_div_fmas_f32 v1, v1, v6, v7
	v_div_fixup_f32 v6, v1, v2, v4
	v_fmac_f32_e32 v2, v4, v6
	v_div_scale_f32 v1, null, v2, v2, 1.0
	v_div_scale_f32 v8, vcc_lo, 1.0, v2, 1.0
	v_rcp_f32_e32 v4, v1
	v_fma_f32 v7, -v1, v4, 1.0
	v_fmac_f32_e32 v4, v7, v4
	v_mul_f32_e32 v7, v8, v4
	v_fma_f32 v9, -v1, v7, v8
	v_fmac_f32_e32 v7, v9, v4
	v_fma_f32 v1, -v1, v7, v8
	v_div_fmas_f32 v1, v1, v4, v7
	v_div_fixup_f32 v7, v1, v2, 1.0
	v_xor_b32_e32 v1, 0x80000000, v7
	v_mul_f32_e64 v6, v6, -v7
.LBB56_17:
	s_or_b32 exec_lo, exec_lo, s5
	buffer_store_dword v7, v5, s[0:3], 0 offen
	buffer_store_dword v6, v5, s[0:3], 0 offen offset:4
	s_clause 0x1
	buffer_load_dword v8, off, s[0:3], 0 offset:12
	buffer_load_dword v7, off, s[0:3], 0 offset:8
	v_xor_b32_e32 v2, 0x80000000, v6
	v_add_nc_u32_e32 v4, 0x1d0, v3
	s_waitcnt vmcnt(0)
	ds_write2_b64 v3, v[1:2], v[7:8] offset1:58
	s_waitcnt lgkmcnt(0)
	s_waitcnt_vscnt null, 0x0
	s_barrier
	buffer_gl0_inv
	s_and_saveexec_b32 s5, s4
	s_cbranch_execz .LBB56_19
; %bb.18:
	s_clause 0x1
	buffer_load_dword v8, v5, s[0:3], 0 offen offset:4
	buffer_load_dword v9, v5, s[0:3], 0 offen
	ds_read_b64 v[1:2], v4
	v_mov_b32_e32 v6, 0
	ds_read_b64 v[6:7], v6 offset:8
	s_waitcnt vmcnt(1) lgkmcnt(1)
	v_mul_f32_e32 v10, v1, v8
	v_mul_f32_e32 v8, v2, v8
	s_waitcnt vmcnt(0)
	v_fmac_f32_e32 v10, v2, v9
	v_fma_f32 v1, v1, v9, -v8
	v_add_f32_e32 v2, 0, v10
	v_add_f32_e32 v1, 0, v1
	s_waitcnt lgkmcnt(0)
	v_mul_f32_e32 v8, v2, v7
	v_mul_f32_e32 v7, v1, v7
	v_fma_f32 v1, v1, v6, -v8
	v_fmac_f32_e32 v7, v2, v6
	buffer_store_dword v1, off, s[0:3], 0 offset:8
	buffer_store_dword v7, off, s[0:3], 0 offset:12
.LBB56_19:
	s_or_b32 exec_lo, exec_lo, s5
	s_waitcnt_vscnt null, 0x0
	s_barrier
	buffer_gl0_inv
	s_clause 0x1
	buffer_load_dword v1, off, s[0:3], 0 offset:16
	buffer_load_dword v2, off, s[0:3], 0 offset:20
	s_mov_b32 s5, exec_lo
	s_waitcnt vmcnt(0)
	ds_write_b64 v4, v[1:2]
	s_waitcnt lgkmcnt(0)
	s_barrier
	buffer_gl0_inv
	v_cmpx_gt_u32_e32 2, v0
	s_cbranch_execz .LBB56_23
; %bb.20:
	s_clause 0x1
	buffer_load_dword v6, v5, s[0:3], 0 offen offset:4
	buffer_load_dword v5, v5, s[0:3], 0 offen
	ds_read_b64 v[1:2], v4
	s_waitcnt vmcnt(1) lgkmcnt(0)
	v_mul_f32_e32 v7, v2, v6
	v_mul_f32_e32 v6, v1, v6
	s_waitcnt vmcnt(0)
	v_fma_f32 v1, v1, v5, -v7
	v_fmac_f32_e32 v6, v2, v5
	v_add_f32_e32 v2, 0, v1
	v_add_f32_e32 v1, 0, v6
	s_and_saveexec_b32 s8, s4
	s_cbranch_execz .LBB56_22
; %bb.21:
	s_clause 0x1
	buffer_load_dword v7, off, s[0:3], 0 offset:12
	buffer_load_dword v8, off, s[0:3], 0 offset:8
	v_mov_b32_e32 v5, 0
	ds_read_b64 v[5:6], v5 offset:472
	s_waitcnt vmcnt(1) lgkmcnt(0)
	v_mul_f32_e32 v9, v5, v7
	v_mul_f32_e32 v7, v6, v7
	s_waitcnt vmcnt(0)
	v_fmac_f32_e32 v9, v6, v8
	v_fma_f32 v5, v5, v8, -v7
	v_add_f32_e32 v1, v1, v9
	v_add_f32_e32 v2, v2, v5
.LBB56_22:
	s_or_b32 exec_lo, exec_lo, s8
	v_mov_b32_e32 v5, 0
	ds_read_b64 v[5:6], v5 offset:16
	s_waitcnt lgkmcnt(0)
	v_mul_f32_e32 v7, v1, v6
	v_mul_f32_e32 v6, v2, v6
	v_fma_f32 v2, v2, v5, -v7
	v_fmac_f32_e32 v6, v1, v5
	buffer_store_dword v2, off, s[0:3], 0 offset:16
	buffer_store_dword v6, off, s[0:3], 0 offset:20
.LBB56_23:
	s_or_b32 exec_lo, exec_lo, s5
	s_waitcnt_vscnt null, 0x0
	s_barrier
	buffer_gl0_inv
	s_clause 0x1
	buffer_load_dword v5, off, s[0:3], 0 offset:24
	buffer_load_dword v6, off, s[0:3], 0 offset:28
	v_add_nc_u32_e32 v1, -1, v0
	s_mov_b32 s4, exec_lo
	s_waitcnt vmcnt(0)
	ds_write_b64 v4, v[5:6]
	s_waitcnt lgkmcnt(0)
	s_barrier
	buffer_gl0_inv
	v_cmpx_gt_u32_e32 3, v0
	s_cbranch_execz .LBB56_27
; %bb.24:
	v_add_nc_u32_e32 v5, -1, v0
	v_add_nc_u32_e32 v6, 0x1d0, v3
	v_mov_b32_e32 v7, v3
	v_mov_b32_e32 v2, 0
	;; [unrolled: 1-line block ×3, first 2 shown]
	s_mov_b32 s5, 0
	.p2align	6
.LBB56_25:                              ; =>This Inner Loop Header: Depth=1
	s_clause 0x1
	buffer_load_dword v11, v7, s[0:3], 0 offen offset:4
	buffer_load_dword v12, v7, s[0:3], 0 offen
	ds_read_b64 v[9:10], v6
	v_add_nc_u32_e32 v5, 1, v5
	v_add_nc_u32_e32 v6, 8, v6
	;; [unrolled: 1-line block ×3, first 2 shown]
	v_cmp_lt_u32_e32 vcc_lo, 1, v5
	s_or_b32 s5, vcc_lo, s5
	s_waitcnt vmcnt(1) lgkmcnt(0)
	v_mul_f32_e32 v127, v10, v11
	v_mul_f32_e32 v11, v9, v11
	s_waitcnt vmcnt(0)
	v_fma_f32 v9, v9, v12, -v127
	v_fmac_f32_e32 v11, v10, v12
	v_add_f32_e32 v8, v8, v9
	v_add_f32_e32 v2, v2, v11
	s_andn2_b32 exec_lo, exec_lo, s5
	s_cbranch_execnz .LBB56_25
; %bb.26:
	s_or_b32 exec_lo, exec_lo, s5
	v_mov_b32_e32 v5, 0
	ds_read_b64 v[5:6], v5 offset:24
	s_waitcnt lgkmcnt(0)
	v_mul_f32_e32 v7, v2, v6
	v_mul_f32_e32 v6, v8, v6
	v_fma_f32 v7, v8, v5, -v7
	v_fmac_f32_e32 v6, v2, v5
	buffer_store_dword v7, off, s[0:3], 0 offset:24
	buffer_store_dword v6, off, s[0:3], 0 offset:28
.LBB56_27:
	s_or_b32 exec_lo, exec_lo, s4
	s_waitcnt_vscnt null, 0x0
	s_barrier
	buffer_gl0_inv
	s_clause 0x1
	buffer_load_dword v5, off, s[0:3], 0 offset:32
	buffer_load_dword v6, off, s[0:3], 0 offset:36
	s_mov_b32 s4, exec_lo
	s_waitcnt vmcnt(0)
	ds_write_b64 v4, v[5:6]
	s_waitcnt lgkmcnt(0)
	s_barrier
	buffer_gl0_inv
	v_cmpx_gt_u32_e32 4, v0
	s_cbranch_execz .LBB56_31
; %bb.28:
	v_add_nc_u32_e32 v5, -1, v0
	v_add_nc_u32_e32 v6, 0x1d0, v3
	v_mov_b32_e32 v7, v3
	v_mov_b32_e32 v2, 0
	;; [unrolled: 1-line block ×3, first 2 shown]
	s_mov_b32 s5, 0
	.p2align	6
.LBB56_29:                              ; =>This Inner Loop Header: Depth=1
	s_clause 0x1
	buffer_load_dword v11, v7, s[0:3], 0 offen offset:4
	buffer_load_dword v12, v7, s[0:3], 0 offen
	ds_read_b64 v[9:10], v6
	v_add_nc_u32_e32 v5, 1, v5
	v_add_nc_u32_e32 v6, 8, v6
	;; [unrolled: 1-line block ×3, first 2 shown]
	v_cmp_lt_u32_e32 vcc_lo, 2, v5
	s_or_b32 s5, vcc_lo, s5
	s_waitcnt vmcnt(1) lgkmcnt(0)
	v_mul_f32_e32 v127, v10, v11
	v_mul_f32_e32 v11, v9, v11
	s_waitcnt vmcnt(0)
	v_fma_f32 v9, v9, v12, -v127
	v_fmac_f32_e32 v11, v10, v12
	v_add_f32_e32 v8, v8, v9
	v_add_f32_e32 v2, v2, v11
	s_andn2_b32 exec_lo, exec_lo, s5
	s_cbranch_execnz .LBB56_29
; %bb.30:
	s_or_b32 exec_lo, exec_lo, s5
	v_mov_b32_e32 v5, 0
	ds_read_b64 v[5:6], v5 offset:32
	s_waitcnt lgkmcnt(0)
	v_mul_f32_e32 v7, v2, v6
	v_mul_f32_e32 v6, v8, v6
	v_fma_f32 v7, v8, v5, -v7
	v_fmac_f32_e32 v6, v2, v5
	buffer_store_dword v7, off, s[0:3], 0 offset:32
	buffer_store_dword v6, off, s[0:3], 0 offset:36
.LBB56_31:
	s_or_b32 exec_lo, exec_lo, s4
	s_waitcnt_vscnt null, 0x0
	s_barrier
	buffer_gl0_inv
	s_clause 0x1
	buffer_load_dword v5, off, s[0:3], 0 offset:40
	buffer_load_dword v6, off, s[0:3], 0 offset:44
	s_mov_b32 s4, exec_lo
	s_waitcnt vmcnt(0)
	ds_write_b64 v4, v[5:6]
	s_waitcnt lgkmcnt(0)
	s_barrier
	buffer_gl0_inv
	v_cmpx_gt_u32_e32 5, v0
	s_cbranch_execz .LBB56_35
; %bb.32:
	v_add_nc_u32_e32 v5, -1, v0
	v_add_nc_u32_e32 v6, 0x1d0, v3
	v_mov_b32_e32 v7, v3
	v_mov_b32_e32 v2, 0
	v_mov_b32_e32 v8, 0
	s_mov_b32 s5, 0
	.p2align	6
.LBB56_33:                              ; =>This Inner Loop Header: Depth=1
	s_clause 0x1
	buffer_load_dword v11, v7, s[0:3], 0 offen offset:4
	buffer_load_dword v12, v7, s[0:3], 0 offen
	ds_read_b64 v[9:10], v6
	v_add_nc_u32_e32 v5, 1, v5
	v_add_nc_u32_e32 v6, 8, v6
	;; [unrolled: 1-line block ×3, first 2 shown]
	v_cmp_lt_u32_e32 vcc_lo, 3, v5
	s_or_b32 s5, vcc_lo, s5
	s_waitcnt vmcnt(1) lgkmcnt(0)
	v_mul_f32_e32 v127, v10, v11
	v_mul_f32_e32 v11, v9, v11
	s_waitcnt vmcnt(0)
	v_fma_f32 v9, v9, v12, -v127
	v_fmac_f32_e32 v11, v10, v12
	v_add_f32_e32 v8, v8, v9
	v_add_f32_e32 v2, v2, v11
	s_andn2_b32 exec_lo, exec_lo, s5
	s_cbranch_execnz .LBB56_33
; %bb.34:
	s_or_b32 exec_lo, exec_lo, s5
	v_mov_b32_e32 v5, 0
	ds_read_b64 v[5:6], v5 offset:40
	s_waitcnt lgkmcnt(0)
	v_mul_f32_e32 v7, v2, v6
	v_mul_f32_e32 v6, v8, v6
	v_fma_f32 v7, v8, v5, -v7
	v_fmac_f32_e32 v6, v2, v5
	buffer_store_dword v7, off, s[0:3], 0 offset:40
	buffer_store_dword v6, off, s[0:3], 0 offset:44
.LBB56_35:
	s_or_b32 exec_lo, exec_lo, s4
	s_waitcnt_vscnt null, 0x0
	s_barrier
	buffer_gl0_inv
	s_clause 0x1
	buffer_load_dword v5, off, s[0:3], 0 offset:48
	buffer_load_dword v6, off, s[0:3], 0 offset:52
	s_mov_b32 s4, exec_lo
	s_waitcnt vmcnt(0)
	ds_write_b64 v4, v[5:6]
	s_waitcnt lgkmcnt(0)
	s_barrier
	buffer_gl0_inv
	v_cmpx_gt_u32_e32 6, v0
	s_cbranch_execz .LBB56_39
; %bb.36:
	v_add_nc_u32_e32 v5, -1, v0
	v_add_nc_u32_e32 v6, 0x1d0, v3
	v_mov_b32_e32 v7, v3
	v_mov_b32_e32 v2, 0
	;; [unrolled: 1-line block ×3, first 2 shown]
	s_mov_b32 s5, 0
	.p2align	6
.LBB56_37:                              ; =>This Inner Loop Header: Depth=1
	s_clause 0x1
	buffer_load_dword v11, v7, s[0:3], 0 offen offset:4
	buffer_load_dword v12, v7, s[0:3], 0 offen
	ds_read_b64 v[9:10], v6
	v_add_nc_u32_e32 v5, 1, v5
	v_add_nc_u32_e32 v6, 8, v6
	;; [unrolled: 1-line block ×3, first 2 shown]
	v_cmp_lt_u32_e32 vcc_lo, 4, v5
	s_or_b32 s5, vcc_lo, s5
	s_waitcnt vmcnt(1) lgkmcnt(0)
	v_mul_f32_e32 v127, v10, v11
	v_mul_f32_e32 v11, v9, v11
	s_waitcnt vmcnt(0)
	v_fma_f32 v9, v9, v12, -v127
	v_fmac_f32_e32 v11, v10, v12
	v_add_f32_e32 v8, v8, v9
	v_add_f32_e32 v2, v2, v11
	s_andn2_b32 exec_lo, exec_lo, s5
	s_cbranch_execnz .LBB56_37
; %bb.38:
	s_or_b32 exec_lo, exec_lo, s5
	v_mov_b32_e32 v5, 0
	ds_read_b64 v[5:6], v5 offset:48
	s_waitcnt lgkmcnt(0)
	v_mul_f32_e32 v7, v2, v6
	v_mul_f32_e32 v6, v8, v6
	v_fma_f32 v7, v8, v5, -v7
	v_fmac_f32_e32 v6, v2, v5
	buffer_store_dword v7, off, s[0:3], 0 offset:48
	buffer_store_dword v6, off, s[0:3], 0 offset:52
.LBB56_39:
	s_or_b32 exec_lo, exec_lo, s4
	s_waitcnt_vscnt null, 0x0
	s_barrier
	buffer_gl0_inv
	s_clause 0x1
	buffer_load_dword v5, off, s[0:3], 0 offset:56
	buffer_load_dword v6, off, s[0:3], 0 offset:60
	s_mov_b32 s4, exec_lo
	s_waitcnt vmcnt(0)
	ds_write_b64 v4, v[5:6]
	s_waitcnt lgkmcnt(0)
	s_barrier
	buffer_gl0_inv
	v_cmpx_gt_u32_e32 7, v0
	s_cbranch_execz .LBB56_43
; %bb.40:
	v_add_nc_u32_e32 v5, -1, v0
	v_add_nc_u32_e32 v6, 0x1d0, v3
	v_mov_b32_e32 v7, v3
	v_mov_b32_e32 v2, 0
	;; [unrolled: 1-line block ×3, first 2 shown]
	s_mov_b32 s5, 0
	.p2align	6
.LBB56_41:                              ; =>This Inner Loop Header: Depth=1
	s_clause 0x1
	buffer_load_dword v11, v7, s[0:3], 0 offen offset:4
	buffer_load_dword v12, v7, s[0:3], 0 offen
	ds_read_b64 v[9:10], v6
	v_add_nc_u32_e32 v5, 1, v5
	v_add_nc_u32_e32 v6, 8, v6
	;; [unrolled: 1-line block ×3, first 2 shown]
	v_cmp_lt_u32_e32 vcc_lo, 5, v5
	s_or_b32 s5, vcc_lo, s5
	s_waitcnt vmcnt(1) lgkmcnt(0)
	v_mul_f32_e32 v127, v10, v11
	v_mul_f32_e32 v11, v9, v11
	s_waitcnt vmcnt(0)
	v_fma_f32 v9, v9, v12, -v127
	v_fmac_f32_e32 v11, v10, v12
	v_add_f32_e32 v8, v8, v9
	v_add_f32_e32 v2, v2, v11
	s_andn2_b32 exec_lo, exec_lo, s5
	s_cbranch_execnz .LBB56_41
; %bb.42:
	s_or_b32 exec_lo, exec_lo, s5
	v_mov_b32_e32 v5, 0
	ds_read_b64 v[5:6], v5 offset:56
	s_waitcnt lgkmcnt(0)
	v_mul_f32_e32 v7, v2, v6
	v_mul_f32_e32 v6, v8, v6
	v_fma_f32 v7, v8, v5, -v7
	v_fmac_f32_e32 v6, v2, v5
	buffer_store_dword v7, off, s[0:3], 0 offset:56
	buffer_store_dword v6, off, s[0:3], 0 offset:60
.LBB56_43:
	s_or_b32 exec_lo, exec_lo, s4
	s_waitcnt_vscnt null, 0x0
	s_barrier
	buffer_gl0_inv
	s_clause 0x1
	buffer_load_dword v5, off, s[0:3], 0 offset:64
	buffer_load_dword v6, off, s[0:3], 0 offset:68
	s_mov_b32 s4, exec_lo
	s_waitcnt vmcnt(0)
	ds_write_b64 v4, v[5:6]
	s_waitcnt lgkmcnt(0)
	s_barrier
	buffer_gl0_inv
	v_cmpx_gt_u32_e32 8, v0
	s_cbranch_execz .LBB56_47
; %bb.44:
	v_add_nc_u32_e32 v5, -1, v0
	v_add_nc_u32_e32 v6, 0x1d0, v3
	v_mov_b32_e32 v7, v3
	v_mov_b32_e32 v2, 0
	;; [unrolled: 1-line block ×3, first 2 shown]
	s_mov_b32 s5, 0
	.p2align	6
.LBB56_45:                              ; =>This Inner Loop Header: Depth=1
	s_clause 0x1
	buffer_load_dword v11, v7, s[0:3], 0 offen offset:4
	buffer_load_dword v12, v7, s[0:3], 0 offen
	ds_read_b64 v[9:10], v6
	v_add_nc_u32_e32 v5, 1, v5
	v_add_nc_u32_e32 v6, 8, v6
	;; [unrolled: 1-line block ×3, first 2 shown]
	v_cmp_lt_u32_e32 vcc_lo, 6, v5
	s_or_b32 s5, vcc_lo, s5
	s_waitcnt vmcnt(1) lgkmcnt(0)
	v_mul_f32_e32 v127, v10, v11
	v_mul_f32_e32 v11, v9, v11
	s_waitcnt vmcnt(0)
	v_fma_f32 v9, v9, v12, -v127
	v_fmac_f32_e32 v11, v10, v12
	v_add_f32_e32 v8, v8, v9
	v_add_f32_e32 v2, v2, v11
	s_andn2_b32 exec_lo, exec_lo, s5
	s_cbranch_execnz .LBB56_45
; %bb.46:
	s_or_b32 exec_lo, exec_lo, s5
	v_mov_b32_e32 v5, 0
	ds_read_b64 v[5:6], v5 offset:64
	s_waitcnt lgkmcnt(0)
	v_mul_f32_e32 v7, v2, v6
	v_mul_f32_e32 v6, v8, v6
	v_fma_f32 v7, v8, v5, -v7
	v_fmac_f32_e32 v6, v2, v5
	buffer_store_dword v7, off, s[0:3], 0 offset:64
	buffer_store_dword v6, off, s[0:3], 0 offset:68
.LBB56_47:
	s_or_b32 exec_lo, exec_lo, s4
	s_waitcnt_vscnt null, 0x0
	s_barrier
	buffer_gl0_inv
	s_clause 0x1
	buffer_load_dword v5, off, s[0:3], 0 offset:72
	buffer_load_dword v6, off, s[0:3], 0 offset:76
	s_mov_b32 s4, exec_lo
	s_waitcnt vmcnt(0)
	ds_write_b64 v4, v[5:6]
	s_waitcnt lgkmcnt(0)
	s_barrier
	buffer_gl0_inv
	v_cmpx_gt_u32_e32 9, v0
	s_cbranch_execz .LBB56_51
; %bb.48:
	v_add_nc_u32_e32 v5, -1, v0
	v_add_nc_u32_e32 v6, 0x1d0, v3
	v_mov_b32_e32 v7, v3
	v_mov_b32_e32 v2, 0
	;; [unrolled: 1-line block ×3, first 2 shown]
	s_mov_b32 s5, 0
	.p2align	6
.LBB56_49:                              ; =>This Inner Loop Header: Depth=1
	s_clause 0x1
	buffer_load_dword v11, v7, s[0:3], 0 offen offset:4
	buffer_load_dword v12, v7, s[0:3], 0 offen
	ds_read_b64 v[9:10], v6
	v_add_nc_u32_e32 v5, 1, v5
	v_add_nc_u32_e32 v6, 8, v6
	;; [unrolled: 1-line block ×3, first 2 shown]
	v_cmp_lt_u32_e32 vcc_lo, 7, v5
	s_or_b32 s5, vcc_lo, s5
	s_waitcnt vmcnt(1) lgkmcnt(0)
	v_mul_f32_e32 v127, v10, v11
	v_mul_f32_e32 v11, v9, v11
	s_waitcnt vmcnt(0)
	v_fma_f32 v9, v9, v12, -v127
	v_fmac_f32_e32 v11, v10, v12
	v_add_f32_e32 v8, v8, v9
	v_add_f32_e32 v2, v2, v11
	s_andn2_b32 exec_lo, exec_lo, s5
	s_cbranch_execnz .LBB56_49
; %bb.50:
	s_or_b32 exec_lo, exec_lo, s5
	v_mov_b32_e32 v5, 0
	ds_read_b64 v[5:6], v5 offset:72
	s_waitcnt lgkmcnt(0)
	v_mul_f32_e32 v7, v2, v6
	v_mul_f32_e32 v6, v8, v6
	v_fma_f32 v7, v8, v5, -v7
	v_fmac_f32_e32 v6, v2, v5
	buffer_store_dword v7, off, s[0:3], 0 offset:72
	buffer_store_dword v6, off, s[0:3], 0 offset:76
.LBB56_51:
	s_or_b32 exec_lo, exec_lo, s4
	s_waitcnt_vscnt null, 0x0
	s_barrier
	buffer_gl0_inv
	s_clause 0x1
	buffer_load_dword v5, off, s[0:3], 0 offset:80
	buffer_load_dword v6, off, s[0:3], 0 offset:84
	s_mov_b32 s4, exec_lo
	s_waitcnt vmcnt(0)
	ds_write_b64 v4, v[5:6]
	s_waitcnt lgkmcnt(0)
	s_barrier
	buffer_gl0_inv
	v_cmpx_gt_u32_e32 10, v0
	s_cbranch_execz .LBB56_55
; %bb.52:
	v_add_nc_u32_e32 v5, -1, v0
	v_add_nc_u32_e32 v6, 0x1d0, v3
	v_mov_b32_e32 v7, v3
	v_mov_b32_e32 v2, 0
	;; [unrolled: 1-line block ×3, first 2 shown]
	s_mov_b32 s5, 0
	.p2align	6
.LBB56_53:                              ; =>This Inner Loop Header: Depth=1
	s_clause 0x1
	buffer_load_dword v11, v7, s[0:3], 0 offen offset:4
	buffer_load_dword v12, v7, s[0:3], 0 offen
	ds_read_b64 v[9:10], v6
	v_add_nc_u32_e32 v5, 1, v5
	v_add_nc_u32_e32 v6, 8, v6
	;; [unrolled: 1-line block ×3, first 2 shown]
	v_cmp_lt_u32_e32 vcc_lo, 8, v5
	s_or_b32 s5, vcc_lo, s5
	s_waitcnt vmcnt(1) lgkmcnt(0)
	v_mul_f32_e32 v127, v10, v11
	v_mul_f32_e32 v11, v9, v11
	s_waitcnt vmcnt(0)
	v_fma_f32 v9, v9, v12, -v127
	v_fmac_f32_e32 v11, v10, v12
	v_add_f32_e32 v8, v8, v9
	v_add_f32_e32 v2, v2, v11
	s_andn2_b32 exec_lo, exec_lo, s5
	s_cbranch_execnz .LBB56_53
; %bb.54:
	s_or_b32 exec_lo, exec_lo, s5
	v_mov_b32_e32 v5, 0
	ds_read_b64 v[5:6], v5 offset:80
	s_waitcnt lgkmcnt(0)
	v_mul_f32_e32 v7, v2, v6
	v_mul_f32_e32 v6, v8, v6
	v_fma_f32 v7, v8, v5, -v7
	v_fmac_f32_e32 v6, v2, v5
	buffer_store_dword v7, off, s[0:3], 0 offset:80
	buffer_store_dword v6, off, s[0:3], 0 offset:84
.LBB56_55:
	s_or_b32 exec_lo, exec_lo, s4
	s_waitcnt_vscnt null, 0x0
	s_barrier
	buffer_gl0_inv
	s_clause 0x1
	buffer_load_dword v5, off, s[0:3], 0 offset:88
	buffer_load_dword v6, off, s[0:3], 0 offset:92
	s_mov_b32 s4, exec_lo
	s_waitcnt vmcnt(0)
	ds_write_b64 v4, v[5:6]
	s_waitcnt lgkmcnt(0)
	s_barrier
	buffer_gl0_inv
	v_cmpx_gt_u32_e32 11, v0
	s_cbranch_execz .LBB56_59
; %bb.56:
	v_add_nc_u32_e32 v5, -1, v0
	v_add_nc_u32_e32 v6, 0x1d0, v3
	v_mov_b32_e32 v7, v3
	v_mov_b32_e32 v2, 0
	;; [unrolled: 1-line block ×3, first 2 shown]
	s_mov_b32 s5, 0
	.p2align	6
.LBB56_57:                              ; =>This Inner Loop Header: Depth=1
	s_clause 0x1
	buffer_load_dword v11, v7, s[0:3], 0 offen offset:4
	buffer_load_dword v12, v7, s[0:3], 0 offen
	ds_read_b64 v[9:10], v6
	v_add_nc_u32_e32 v5, 1, v5
	v_add_nc_u32_e32 v6, 8, v6
	;; [unrolled: 1-line block ×3, first 2 shown]
	v_cmp_lt_u32_e32 vcc_lo, 9, v5
	s_or_b32 s5, vcc_lo, s5
	s_waitcnt vmcnt(1) lgkmcnt(0)
	v_mul_f32_e32 v127, v10, v11
	v_mul_f32_e32 v11, v9, v11
	s_waitcnt vmcnt(0)
	v_fma_f32 v9, v9, v12, -v127
	v_fmac_f32_e32 v11, v10, v12
	v_add_f32_e32 v8, v8, v9
	v_add_f32_e32 v2, v2, v11
	s_andn2_b32 exec_lo, exec_lo, s5
	s_cbranch_execnz .LBB56_57
; %bb.58:
	s_or_b32 exec_lo, exec_lo, s5
	v_mov_b32_e32 v5, 0
	ds_read_b64 v[5:6], v5 offset:88
	s_waitcnt lgkmcnt(0)
	v_mul_f32_e32 v7, v2, v6
	v_mul_f32_e32 v6, v8, v6
	v_fma_f32 v7, v8, v5, -v7
	v_fmac_f32_e32 v6, v2, v5
	buffer_store_dword v7, off, s[0:3], 0 offset:88
	buffer_store_dword v6, off, s[0:3], 0 offset:92
.LBB56_59:
	s_or_b32 exec_lo, exec_lo, s4
	s_waitcnt_vscnt null, 0x0
	s_barrier
	buffer_gl0_inv
	s_clause 0x1
	buffer_load_dword v5, off, s[0:3], 0 offset:96
	buffer_load_dword v6, off, s[0:3], 0 offset:100
	s_mov_b32 s4, exec_lo
	s_waitcnt vmcnt(0)
	ds_write_b64 v4, v[5:6]
	s_waitcnt lgkmcnt(0)
	s_barrier
	buffer_gl0_inv
	v_cmpx_gt_u32_e32 12, v0
	s_cbranch_execz .LBB56_63
; %bb.60:
	v_add_nc_u32_e32 v5, -1, v0
	v_add_nc_u32_e32 v6, 0x1d0, v3
	v_mov_b32_e32 v7, v3
	v_mov_b32_e32 v2, 0
	;; [unrolled: 1-line block ×3, first 2 shown]
	s_mov_b32 s5, 0
	.p2align	6
.LBB56_61:                              ; =>This Inner Loop Header: Depth=1
	s_clause 0x1
	buffer_load_dword v11, v7, s[0:3], 0 offen offset:4
	buffer_load_dword v12, v7, s[0:3], 0 offen
	ds_read_b64 v[9:10], v6
	v_add_nc_u32_e32 v5, 1, v5
	v_add_nc_u32_e32 v6, 8, v6
	;; [unrolled: 1-line block ×3, first 2 shown]
	v_cmp_lt_u32_e32 vcc_lo, 10, v5
	s_or_b32 s5, vcc_lo, s5
	s_waitcnt vmcnt(1) lgkmcnt(0)
	v_mul_f32_e32 v127, v10, v11
	v_mul_f32_e32 v11, v9, v11
	s_waitcnt vmcnt(0)
	v_fma_f32 v9, v9, v12, -v127
	v_fmac_f32_e32 v11, v10, v12
	v_add_f32_e32 v8, v8, v9
	v_add_f32_e32 v2, v2, v11
	s_andn2_b32 exec_lo, exec_lo, s5
	s_cbranch_execnz .LBB56_61
; %bb.62:
	s_or_b32 exec_lo, exec_lo, s5
	v_mov_b32_e32 v5, 0
	ds_read_b64 v[5:6], v5 offset:96
	s_waitcnt lgkmcnt(0)
	v_mul_f32_e32 v7, v2, v6
	v_mul_f32_e32 v6, v8, v6
	v_fma_f32 v7, v8, v5, -v7
	v_fmac_f32_e32 v6, v2, v5
	buffer_store_dword v7, off, s[0:3], 0 offset:96
	buffer_store_dword v6, off, s[0:3], 0 offset:100
.LBB56_63:
	s_or_b32 exec_lo, exec_lo, s4
	s_waitcnt_vscnt null, 0x0
	s_barrier
	buffer_gl0_inv
	s_clause 0x1
	buffer_load_dword v5, off, s[0:3], 0 offset:104
	buffer_load_dword v6, off, s[0:3], 0 offset:108
	s_mov_b32 s4, exec_lo
	s_waitcnt vmcnt(0)
	ds_write_b64 v4, v[5:6]
	s_waitcnt lgkmcnt(0)
	s_barrier
	buffer_gl0_inv
	v_cmpx_gt_u32_e32 13, v0
	s_cbranch_execz .LBB56_67
; %bb.64:
	v_add_nc_u32_e32 v5, -1, v0
	v_add_nc_u32_e32 v6, 0x1d0, v3
	v_mov_b32_e32 v7, v3
	v_mov_b32_e32 v2, 0
	;; [unrolled: 1-line block ×3, first 2 shown]
	s_mov_b32 s5, 0
	.p2align	6
.LBB56_65:                              ; =>This Inner Loop Header: Depth=1
	s_clause 0x1
	buffer_load_dword v11, v7, s[0:3], 0 offen offset:4
	buffer_load_dword v12, v7, s[0:3], 0 offen
	ds_read_b64 v[9:10], v6
	v_add_nc_u32_e32 v5, 1, v5
	v_add_nc_u32_e32 v6, 8, v6
	;; [unrolled: 1-line block ×3, first 2 shown]
	v_cmp_lt_u32_e32 vcc_lo, 11, v5
	s_or_b32 s5, vcc_lo, s5
	s_waitcnt vmcnt(1) lgkmcnt(0)
	v_mul_f32_e32 v127, v10, v11
	v_mul_f32_e32 v11, v9, v11
	s_waitcnt vmcnt(0)
	v_fma_f32 v9, v9, v12, -v127
	v_fmac_f32_e32 v11, v10, v12
	v_add_f32_e32 v8, v8, v9
	v_add_f32_e32 v2, v2, v11
	s_andn2_b32 exec_lo, exec_lo, s5
	s_cbranch_execnz .LBB56_65
; %bb.66:
	s_or_b32 exec_lo, exec_lo, s5
	v_mov_b32_e32 v5, 0
	ds_read_b64 v[5:6], v5 offset:104
	s_waitcnt lgkmcnt(0)
	v_mul_f32_e32 v7, v2, v6
	v_mul_f32_e32 v6, v8, v6
	v_fma_f32 v7, v8, v5, -v7
	v_fmac_f32_e32 v6, v2, v5
	buffer_store_dword v7, off, s[0:3], 0 offset:104
	buffer_store_dword v6, off, s[0:3], 0 offset:108
.LBB56_67:
	s_or_b32 exec_lo, exec_lo, s4
	s_waitcnt_vscnt null, 0x0
	s_barrier
	buffer_gl0_inv
	s_clause 0x1
	buffer_load_dword v5, off, s[0:3], 0 offset:112
	buffer_load_dword v6, off, s[0:3], 0 offset:116
	s_mov_b32 s4, exec_lo
	s_waitcnt vmcnt(0)
	ds_write_b64 v4, v[5:6]
	s_waitcnt lgkmcnt(0)
	s_barrier
	buffer_gl0_inv
	v_cmpx_gt_u32_e32 14, v0
	s_cbranch_execz .LBB56_71
; %bb.68:
	v_add_nc_u32_e32 v5, -1, v0
	v_add_nc_u32_e32 v6, 0x1d0, v3
	v_mov_b32_e32 v7, v3
	v_mov_b32_e32 v2, 0
	;; [unrolled: 1-line block ×3, first 2 shown]
	s_mov_b32 s5, 0
	.p2align	6
.LBB56_69:                              ; =>This Inner Loop Header: Depth=1
	s_clause 0x1
	buffer_load_dword v11, v7, s[0:3], 0 offen offset:4
	buffer_load_dword v12, v7, s[0:3], 0 offen
	ds_read_b64 v[9:10], v6
	v_add_nc_u32_e32 v5, 1, v5
	v_add_nc_u32_e32 v6, 8, v6
	;; [unrolled: 1-line block ×3, first 2 shown]
	v_cmp_lt_u32_e32 vcc_lo, 12, v5
	s_or_b32 s5, vcc_lo, s5
	s_waitcnt vmcnt(1) lgkmcnt(0)
	v_mul_f32_e32 v127, v10, v11
	v_mul_f32_e32 v11, v9, v11
	s_waitcnt vmcnt(0)
	v_fma_f32 v9, v9, v12, -v127
	v_fmac_f32_e32 v11, v10, v12
	v_add_f32_e32 v8, v8, v9
	v_add_f32_e32 v2, v2, v11
	s_andn2_b32 exec_lo, exec_lo, s5
	s_cbranch_execnz .LBB56_69
; %bb.70:
	s_or_b32 exec_lo, exec_lo, s5
	v_mov_b32_e32 v5, 0
	ds_read_b64 v[5:6], v5 offset:112
	s_waitcnt lgkmcnt(0)
	v_mul_f32_e32 v7, v2, v6
	v_mul_f32_e32 v6, v8, v6
	v_fma_f32 v7, v8, v5, -v7
	v_fmac_f32_e32 v6, v2, v5
	buffer_store_dword v7, off, s[0:3], 0 offset:112
	buffer_store_dword v6, off, s[0:3], 0 offset:116
.LBB56_71:
	s_or_b32 exec_lo, exec_lo, s4
	s_waitcnt_vscnt null, 0x0
	s_barrier
	buffer_gl0_inv
	s_clause 0x1
	buffer_load_dword v5, off, s[0:3], 0 offset:120
	buffer_load_dword v6, off, s[0:3], 0 offset:124
	s_mov_b32 s4, exec_lo
	s_waitcnt vmcnt(0)
	ds_write_b64 v4, v[5:6]
	s_waitcnt lgkmcnt(0)
	s_barrier
	buffer_gl0_inv
	v_cmpx_gt_u32_e32 15, v0
	s_cbranch_execz .LBB56_75
; %bb.72:
	v_add_nc_u32_e32 v5, -1, v0
	v_add_nc_u32_e32 v6, 0x1d0, v3
	v_mov_b32_e32 v7, v3
	v_mov_b32_e32 v2, 0
	;; [unrolled: 1-line block ×3, first 2 shown]
	s_mov_b32 s5, 0
	.p2align	6
.LBB56_73:                              ; =>This Inner Loop Header: Depth=1
	s_clause 0x1
	buffer_load_dword v11, v7, s[0:3], 0 offen offset:4
	buffer_load_dword v12, v7, s[0:3], 0 offen
	ds_read_b64 v[9:10], v6
	v_add_nc_u32_e32 v5, 1, v5
	v_add_nc_u32_e32 v6, 8, v6
	;; [unrolled: 1-line block ×3, first 2 shown]
	v_cmp_lt_u32_e32 vcc_lo, 13, v5
	s_or_b32 s5, vcc_lo, s5
	s_waitcnt vmcnt(1) lgkmcnt(0)
	v_mul_f32_e32 v127, v10, v11
	v_mul_f32_e32 v11, v9, v11
	s_waitcnt vmcnt(0)
	v_fma_f32 v9, v9, v12, -v127
	v_fmac_f32_e32 v11, v10, v12
	v_add_f32_e32 v8, v8, v9
	v_add_f32_e32 v2, v2, v11
	s_andn2_b32 exec_lo, exec_lo, s5
	s_cbranch_execnz .LBB56_73
; %bb.74:
	s_or_b32 exec_lo, exec_lo, s5
	v_mov_b32_e32 v5, 0
	ds_read_b64 v[5:6], v5 offset:120
	s_waitcnt lgkmcnt(0)
	v_mul_f32_e32 v7, v2, v6
	v_mul_f32_e32 v6, v8, v6
	v_fma_f32 v7, v8, v5, -v7
	v_fmac_f32_e32 v6, v2, v5
	buffer_store_dword v7, off, s[0:3], 0 offset:120
	buffer_store_dword v6, off, s[0:3], 0 offset:124
.LBB56_75:
	s_or_b32 exec_lo, exec_lo, s4
	s_waitcnt_vscnt null, 0x0
	s_barrier
	buffer_gl0_inv
	s_clause 0x1
	buffer_load_dword v5, off, s[0:3], 0 offset:128
	buffer_load_dword v6, off, s[0:3], 0 offset:132
	s_mov_b32 s4, exec_lo
	s_waitcnt vmcnt(0)
	ds_write_b64 v4, v[5:6]
	s_waitcnt lgkmcnt(0)
	s_barrier
	buffer_gl0_inv
	v_cmpx_gt_u32_e32 16, v0
	s_cbranch_execz .LBB56_79
; %bb.76:
	v_add_nc_u32_e32 v5, -1, v0
	v_add_nc_u32_e32 v6, 0x1d0, v3
	v_mov_b32_e32 v7, v3
	v_mov_b32_e32 v2, 0
	;; [unrolled: 1-line block ×3, first 2 shown]
	s_mov_b32 s5, 0
	.p2align	6
.LBB56_77:                              ; =>This Inner Loop Header: Depth=1
	s_clause 0x1
	buffer_load_dword v11, v7, s[0:3], 0 offen offset:4
	buffer_load_dword v12, v7, s[0:3], 0 offen
	ds_read_b64 v[9:10], v6
	v_add_nc_u32_e32 v5, 1, v5
	v_add_nc_u32_e32 v6, 8, v6
	;; [unrolled: 1-line block ×3, first 2 shown]
	v_cmp_lt_u32_e32 vcc_lo, 14, v5
	s_or_b32 s5, vcc_lo, s5
	s_waitcnt vmcnt(1) lgkmcnt(0)
	v_mul_f32_e32 v127, v10, v11
	v_mul_f32_e32 v11, v9, v11
	s_waitcnt vmcnt(0)
	v_fma_f32 v9, v9, v12, -v127
	v_fmac_f32_e32 v11, v10, v12
	v_add_f32_e32 v8, v8, v9
	v_add_f32_e32 v2, v2, v11
	s_andn2_b32 exec_lo, exec_lo, s5
	s_cbranch_execnz .LBB56_77
; %bb.78:
	s_or_b32 exec_lo, exec_lo, s5
	v_mov_b32_e32 v5, 0
	ds_read_b64 v[5:6], v5 offset:128
	s_waitcnt lgkmcnt(0)
	v_mul_f32_e32 v7, v2, v6
	v_mul_f32_e32 v6, v8, v6
	v_fma_f32 v7, v8, v5, -v7
	v_fmac_f32_e32 v6, v2, v5
	buffer_store_dword v7, off, s[0:3], 0 offset:128
	buffer_store_dword v6, off, s[0:3], 0 offset:132
.LBB56_79:
	s_or_b32 exec_lo, exec_lo, s4
	s_waitcnt_vscnt null, 0x0
	s_barrier
	buffer_gl0_inv
	s_clause 0x1
	buffer_load_dword v5, off, s[0:3], 0 offset:136
	buffer_load_dword v6, off, s[0:3], 0 offset:140
	s_mov_b32 s4, exec_lo
	s_waitcnt vmcnt(0)
	ds_write_b64 v4, v[5:6]
	s_waitcnt lgkmcnt(0)
	s_barrier
	buffer_gl0_inv
	v_cmpx_gt_u32_e32 17, v0
	s_cbranch_execz .LBB56_83
; %bb.80:
	v_add_nc_u32_e32 v5, -1, v0
	v_add_nc_u32_e32 v6, 0x1d0, v3
	v_mov_b32_e32 v7, v3
	v_mov_b32_e32 v2, 0
	;; [unrolled: 1-line block ×3, first 2 shown]
	s_mov_b32 s5, 0
	.p2align	6
.LBB56_81:                              ; =>This Inner Loop Header: Depth=1
	s_clause 0x1
	buffer_load_dword v11, v7, s[0:3], 0 offen offset:4
	buffer_load_dword v12, v7, s[0:3], 0 offen
	ds_read_b64 v[9:10], v6
	v_add_nc_u32_e32 v5, 1, v5
	v_add_nc_u32_e32 v6, 8, v6
	;; [unrolled: 1-line block ×3, first 2 shown]
	v_cmp_lt_u32_e32 vcc_lo, 15, v5
	s_or_b32 s5, vcc_lo, s5
	s_waitcnt vmcnt(1) lgkmcnt(0)
	v_mul_f32_e32 v127, v10, v11
	v_mul_f32_e32 v11, v9, v11
	s_waitcnt vmcnt(0)
	v_fma_f32 v9, v9, v12, -v127
	v_fmac_f32_e32 v11, v10, v12
	v_add_f32_e32 v8, v8, v9
	v_add_f32_e32 v2, v2, v11
	s_andn2_b32 exec_lo, exec_lo, s5
	s_cbranch_execnz .LBB56_81
; %bb.82:
	s_or_b32 exec_lo, exec_lo, s5
	v_mov_b32_e32 v5, 0
	ds_read_b64 v[5:6], v5 offset:136
	s_waitcnt lgkmcnt(0)
	v_mul_f32_e32 v7, v2, v6
	v_mul_f32_e32 v6, v8, v6
	v_fma_f32 v7, v8, v5, -v7
	v_fmac_f32_e32 v6, v2, v5
	buffer_store_dword v7, off, s[0:3], 0 offset:136
	buffer_store_dword v6, off, s[0:3], 0 offset:140
.LBB56_83:
	s_or_b32 exec_lo, exec_lo, s4
	s_waitcnt_vscnt null, 0x0
	s_barrier
	buffer_gl0_inv
	s_clause 0x1
	buffer_load_dword v5, off, s[0:3], 0 offset:144
	buffer_load_dword v6, off, s[0:3], 0 offset:148
	s_mov_b32 s4, exec_lo
	s_waitcnt vmcnt(0)
	ds_write_b64 v4, v[5:6]
	s_waitcnt lgkmcnt(0)
	s_barrier
	buffer_gl0_inv
	v_cmpx_gt_u32_e32 18, v0
	s_cbranch_execz .LBB56_87
; %bb.84:
	v_add_nc_u32_e32 v5, -1, v0
	v_add_nc_u32_e32 v6, 0x1d0, v3
	v_mov_b32_e32 v7, v3
	v_mov_b32_e32 v2, 0
	;; [unrolled: 1-line block ×3, first 2 shown]
	s_mov_b32 s5, 0
	.p2align	6
.LBB56_85:                              ; =>This Inner Loop Header: Depth=1
	s_clause 0x1
	buffer_load_dword v11, v7, s[0:3], 0 offen offset:4
	buffer_load_dword v12, v7, s[0:3], 0 offen
	ds_read_b64 v[9:10], v6
	v_add_nc_u32_e32 v5, 1, v5
	v_add_nc_u32_e32 v6, 8, v6
	;; [unrolled: 1-line block ×3, first 2 shown]
	v_cmp_lt_u32_e32 vcc_lo, 16, v5
	s_or_b32 s5, vcc_lo, s5
	s_waitcnt vmcnt(1) lgkmcnt(0)
	v_mul_f32_e32 v127, v10, v11
	v_mul_f32_e32 v11, v9, v11
	s_waitcnt vmcnt(0)
	v_fma_f32 v9, v9, v12, -v127
	v_fmac_f32_e32 v11, v10, v12
	v_add_f32_e32 v8, v8, v9
	v_add_f32_e32 v2, v2, v11
	s_andn2_b32 exec_lo, exec_lo, s5
	s_cbranch_execnz .LBB56_85
; %bb.86:
	s_or_b32 exec_lo, exec_lo, s5
	v_mov_b32_e32 v5, 0
	ds_read_b64 v[5:6], v5 offset:144
	s_waitcnt lgkmcnt(0)
	v_mul_f32_e32 v7, v2, v6
	v_mul_f32_e32 v6, v8, v6
	v_fma_f32 v7, v8, v5, -v7
	v_fmac_f32_e32 v6, v2, v5
	buffer_store_dword v7, off, s[0:3], 0 offset:144
	buffer_store_dword v6, off, s[0:3], 0 offset:148
.LBB56_87:
	s_or_b32 exec_lo, exec_lo, s4
	s_waitcnt_vscnt null, 0x0
	s_barrier
	buffer_gl0_inv
	s_clause 0x1
	buffer_load_dword v5, off, s[0:3], 0 offset:152
	buffer_load_dword v6, off, s[0:3], 0 offset:156
	s_mov_b32 s4, exec_lo
	s_waitcnt vmcnt(0)
	ds_write_b64 v4, v[5:6]
	s_waitcnt lgkmcnt(0)
	s_barrier
	buffer_gl0_inv
	v_cmpx_gt_u32_e32 19, v0
	s_cbranch_execz .LBB56_91
; %bb.88:
	v_add_nc_u32_e32 v5, -1, v0
	v_add_nc_u32_e32 v6, 0x1d0, v3
	v_mov_b32_e32 v7, v3
	v_mov_b32_e32 v2, 0
	;; [unrolled: 1-line block ×3, first 2 shown]
	s_mov_b32 s5, 0
	.p2align	6
.LBB56_89:                              ; =>This Inner Loop Header: Depth=1
	s_clause 0x1
	buffer_load_dword v11, v7, s[0:3], 0 offen offset:4
	buffer_load_dword v12, v7, s[0:3], 0 offen
	ds_read_b64 v[9:10], v6
	v_add_nc_u32_e32 v5, 1, v5
	v_add_nc_u32_e32 v6, 8, v6
	;; [unrolled: 1-line block ×3, first 2 shown]
	v_cmp_lt_u32_e32 vcc_lo, 17, v5
	s_or_b32 s5, vcc_lo, s5
	s_waitcnt vmcnt(1) lgkmcnt(0)
	v_mul_f32_e32 v127, v10, v11
	v_mul_f32_e32 v11, v9, v11
	s_waitcnt vmcnt(0)
	v_fma_f32 v9, v9, v12, -v127
	v_fmac_f32_e32 v11, v10, v12
	v_add_f32_e32 v8, v8, v9
	v_add_f32_e32 v2, v2, v11
	s_andn2_b32 exec_lo, exec_lo, s5
	s_cbranch_execnz .LBB56_89
; %bb.90:
	s_or_b32 exec_lo, exec_lo, s5
	v_mov_b32_e32 v5, 0
	ds_read_b64 v[5:6], v5 offset:152
	s_waitcnt lgkmcnt(0)
	v_mul_f32_e32 v7, v2, v6
	v_mul_f32_e32 v6, v8, v6
	v_fma_f32 v7, v8, v5, -v7
	v_fmac_f32_e32 v6, v2, v5
	buffer_store_dword v7, off, s[0:3], 0 offset:152
	buffer_store_dword v6, off, s[0:3], 0 offset:156
.LBB56_91:
	s_or_b32 exec_lo, exec_lo, s4
	s_waitcnt_vscnt null, 0x0
	s_barrier
	buffer_gl0_inv
	s_clause 0x1
	buffer_load_dword v5, off, s[0:3], 0 offset:160
	buffer_load_dword v6, off, s[0:3], 0 offset:164
	s_mov_b32 s4, exec_lo
	s_waitcnt vmcnt(0)
	ds_write_b64 v4, v[5:6]
	s_waitcnt lgkmcnt(0)
	s_barrier
	buffer_gl0_inv
	v_cmpx_gt_u32_e32 20, v0
	s_cbranch_execz .LBB56_95
; %bb.92:
	v_add_nc_u32_e32 v5, -1, v0
	v_add_nc_u32_e32 v6, 0x1d0, v3
	v_mov_b32_e32 v7, v3
	v_mov_b32_e32 v2, 0
	;; [unrolled: 1-line block ×3, first 2 shown]
	s_mov_b32 s5, 0
	.p2align	6
.LBB56_93:                              ; =>This Inner Loop Header: Depth=1
	s_clause 0x1
	buffer_load_dword v11, v7, s[0:3], 0 offen offset:4
	buffer_load_dword v12, v7, s[0:3], 0 offen
	ds_read_b64 v[9:10], v6
	v_add_nc_u32_e32 v5, 1, v5
	v_add_nc_u32_e32 v6, 8, v6
	;; [unrolled: 1-line block ×3, first 2 shown]
	v_cmp_lt_u32_e32 vcc_lo, 18, v5
	s_or_b32 s5, vcc_lo, s5
	s_waitcnt vmcnt(1) lgkmcnt(0)
	v_mul_f32_e32 v127, v10, v11
	v_mul_f32_e32 v11, v9, v11
	s_waitcnt vmcnt(0)
	v_fma_f32 v9, v9, v12, -v127
	v_fmac_f32_e32 v11, v10, v12
	v_add_f32_e32 v8, v8, v9
	v_add_f32_e32 v2, v2, v11
	s_andn2_b32 exec_lo, exec_lo, s5
	s_cbranch_execnz .LBB56_93
; %bb.94:
	s_or_b32 exec_lo, exec_lo, s5
	v_mov_b32_e32 v5, 0
	ds_read_b64 v[5:6], v5 offset:160
	s_waitcnt lgkmcnt(0)
	v_mul_f32_e32 v7, v2, v6
	v_mul_f32_e32 v6, v8, v6
	v_fma_f32 v7, v8, v5, -v7
	v_fmac_f32_e32 v6, v2, v5
	buffer_store_dword v7, off, s[0:3], 0 offset:160
	buffer_store_dword v6, off, s[0:3], 0 offset:164
.LBB56_95:
	s_or_b32 exec_lo, exec_lo, s4
	s_waitcnt_vscnt null, 0x0
	s_barrier
	buffer_gl0_inv
	s_clause 0x1
	buffer_load_dword v5, off, s[0:3], 0 offset:168
	buffer_load_dword v6, off, s[0:3], 0 offset:172
	s_mov_b32 s4, exec_lo
	s_waitcnt vmcnt(0)
	ds_write_b64 v4, v[5:6]
	s_waitcnt lgkmcnt(0)
	s_barrier
	buffer_gl0_inv
	v_cmpx_gt_u32_e32 21, v0
	s_cbranch_execz .LBB56_99
; %bb.96:
	v_add_nc_u32_e32 v5, -1, v0
	v_add_nc_u32_e32 v6, 0x1d0, v3
	v_mov_b32_e32 v7, v3
	v_mov_b32_e32 v2, 0
	;; [unrolled: 1-line block ×3, first 2 shown]
	s_mov_b32 s5, 0
	.p2align	6
.LBB56_97:                              ; =>This Inner Loop Header: Depth=1
	s_clause 0x1
	buffer_load_dword v11, v7, s[0:3], 0 offen offset:4
	buffer_load_dword v12, v7, s[0:3], 0 offen
	ds_read_b64 v[9:10], v6
	v_add_nc_u32_e32 v5, 1, v5
	v_add_nc_u32_e32 v6, 8, v6
	;; [unrolled: 1-line block ×3, first 2 shown]
	v_cmp_lt_u32_e32 vcc_lo, 19, v5
	s_or_b32 s5, vcc_lo, s5
	s_waitcnt vmcnt(1) lgkmcnt(0)
	v_mul_f32_e32 v127, v10, v11
	v_mul_f32_e32 v11, v9, v11
	s_waitcnt vmcnt(0)
	v_fma_f32 v9, v9, v12, -v127
	v_fmac_f32_e32 v11, v10, v12
	v_add_f32_e32 v8, v8, v9
	v_add_f32_e32 v2, v2, v11
	s_andn2_b32 exec_lo, exec_lo, s5
	s_cbranch_execnz .LBB56_97
; %bb.98:
	s_or_b32 exec_lo, exec_lo, s5
	v_mov_b32_e32 v5, 0
	ds_read_b64 v[5:6], v5 offset:168
	s_waitcnt lgkmcnt(0)
	v_mul_f32_e32 v7, v2, v6
	v_mul_f32_e32 v6, v8, v6
	v_fma_f32 v7, v8, v5, -v7
	v_fmac_f32_e32 v6, v2, v5
	buffer_store_dword v7, off, s[0:3], 0 offset:168
	buffer_store_dword v6, off, s[0:3], 0 offset:172
.LBB56_99:
	s_or_b32 exec_lo, exec_lo, s4
	s_waitcnt_vscnt null, 0x0
	s_barrier
	buffer_gl0_inv
	s_clause 0x1
	buffer_load_dword v5, off, s[0:3], 0 offset:176
	buffer_load_dword v6, off, s[0:3], 0 offset:180
	s_mov_b32 s4, exec_lo
	s_waitcnt vmcnt(0)
	ds_write_b64 v4, v[5:6]
	s_waitcnt lgkmcnt(0)
	s_barrier
	buffer_gl0_inv
	v_cmpx_gt_u32_e32 22, v0
	s_cbranch_execz .LBB56_103
; %bb.100:
	v_add_nc_u32_e32 v5, -1, v0
	v_add_nc_u32_e32 v6, 0x1d0, v3
	v_mov_b32_e32 v7, v3
	v_mov_b32_e32 v2, 0
	;; [unrolled: 1-line block ×3, first 2 shown]
	s_mov_b32 s5, 0
	.p2align	6
.LBB56_101:                             ; =>This Inner Loop Header: Depth=1
	s_clause 0x1
	buffer_load_dword v11, v7, s[0:3], 0 offen offset:4
	buffer_load_dword v12, v7, s[0:3], 0 offen
	ds_read_b64 v[9:10], v6
	v_add_nc_u32_e32 v5, 1, v5
	v_add_nc_u32_e32 v6, 8, v6
	;; [unrolled: 1-line block ×3, first 2 shown]
	v_cmp_lt_u32_e32 vcc_lo, 20, v5
	s_or_b32 s5, vcc_lo, s5
	s_waitcnt vmcnt(1) lgkmcnt(0)
	v_mul_f32_e32 v127, v10, v11
	v_mul_f32_e32 v11, v9, v11
	s_waitcnt vmcnt(0)
	v_fma_f32 v9, v9, v12, -v127
	v_fmac_f32_e32 v11, v10, v12
	v_add_f32_e32 v8, v8, v9
	v_add_f32_e32 v2, v2, v11
	s_andn2_b32 exec_lo, exec_lo, s5
	s_cbranch_execnz .LBB56_101
; %bb.102:
	s_or_b32 exec_lo, exec_lo, s5
	v_mov_b32_e32 v5, 0
	ds_read_b64 v[5:6], v5 offset:176
	s_waitcnt lgkmcnt(0)
	v_mul_f32_e32 v7, v2, v6
	v_mul_f32_e32 v6, v8, v6
	v_fma_f32 v7, v8, v5, -v7
	v_fmac_f32_e32 v6, v2, v5
	buffer_store_dword v7, off, s[0:3], 0 offset:176
	buffer_store_dword v6, off, s[0:3], 0 offset:180
.LBB56_103:
	s_or_b32 exec_lo, exec_lo, s4
	s_waitcnt_vscnt null, 0x0
	s_barrier
	buffer_gl0_inv
	s_clause 0x1
	buffer_load_dword v5, off, s[0:3], 0 offset:184
	buffer_load_dword v6, off, s[0:3], 0 offset:188
	s_mov_b32 s4, exec_lo
	s_waitcnt vmcnt(0)
	ds_write_b64 v4, v[5:6]
	s_waitcnt lgkmcnt(0)
	s_barrier
	buffer_gl0_inv
	v_cmpx_gt_u32_e32 23, v0
	s_cbranch_execz .LBB56_107
; %bb.104:
	v_add_nc_u32_e32 v5, -1, v0
	v_add_nc_u32_e32 v6, 0x1d0, v3
	v_mov_b32_e32 v7, v3
	v_mov_b32_e32 v2, 0
	;; [unrolled: 1-line block ×3, first 2 shown]
	s_mov_b32 s5, 0
	.p2align	6
.LBB56_105:                             ; =>This Inner Loop Header: Depth=1
	s_clause 0x1
	buffer_load_dword v11, v7, s[0:3], 0 offen offset:4
	buffer_load_dword v12, v7, s[0:3], 0 offen
	ds_read_b64 v[9:10], v6
	v_add_nc_u32_e32 v5, 1, v5
	v_add_nc_u32_e32 v6, 8, v6
	;; [unrolled: 1-line block ×3, first 2 shown]
	v_cmp_lt_u32_e32 vcc_lo, 21, v5
	s_or_b32 s5, vcc_lo, s5
	s_waitcnt vmcnt(1) lgkmcnt(0)
	v_mul_f32_e32 v127, v10, v11
	v_mul_f32_e32 v11, v9, v11
	s_waitcnt vmcnt(0)
	v_fma_f32 v9, v9, v12, -v127
	v_fmac_f32_e32 v11, v10, v12
	v_add_f32_e32 v8, v8, v9
	v_add_f32_e32 v2, v2, v11
	s_andn2_b32 exec_lo, exec_lo, s5
	s_cbranch_execnz .LBB56_105
; %bb.106:
	s_or_b32 exec_lo, exec_lo, s5
	v_mov_b32_e32 v5, 0
	ds_read_b64 v[5:6], v5 offset:184
	s_waitcnt lgkmcnt(0)
	v_mul_f32_e32 v7, v2, v6
	v_mul_f32_e32 v6, v8, v6
	v_fma_f32 v7, v8, v5, -v7
	v_fmac_f32_e32 v6, v2, v5
	buffer_store_dword v7, off, s[0:3], 0 offset:184
	buffer_store_dword v6, off, s[0:3], 0 offset:188
.LBB56_107:
	s_or_b32 exec_lo, exec_lo, s4
	s_waitcnt_vscnt null, 0x0
	s_barrier
	buffer_gl0_inv
	s_clause 0x1
	buffer_load_dword v5, off, s[0:3], 0 offset:192
	buffer_load_dword v6, off, s[0:3], 0 offset:196
	s_mov_b32 s4, exec_lo
	s_waitcnt vmcnt(0)
	ds_write_b64 v4, v[5:6]
	s_waitcnt lgkmcnt(0)
	s_barrier
	buffer_gl0_inv
	v_cmpx_gt_u32_e32 24, v0
	s_cbranch_execz .LBB56_111
; %bb.108:
	v_add_nc_u32_e32 v5, -1, v0
	v_add_nc_u32_e32 v6, 0x1d0, v3
	v_mov_b32_e32 v7, v3
	v_mov_b32_e32 v2, 0
	;; [unrolled: 1-line block ×3, first 2 shown]
	s_mov_b32 s5, 0
	.p2align	6
.LBB56_109:                             ; =>This Inner Loop Header: Depth=1
	s_clause 0x1
	buffer_load_dword v11, v7, s[0:3], 0 offen offset:4
	buffer_load_dword v12, v7, s[0:3], 0 offen
	ds_read_b64 v[9:10], v6
	v_add_nc_u32_e32 v5, 1, v5
	v_add_nc_u32_e32 v6, 8, v6
	;; [unrolled: 1-line block ×3, first 2 shown]
	v_cmp_lt_u32_e32 vcc_lo, 22, v5
	s_or_b32 s5, vcc_lo, s5
	s_waitcnt vmcnt(1) lgkmcnt(0)
	v_mul_f32_e32 v127, v10, v11
	v_mul_f32_e32 v11, v9, v11
	s_waitcnt vmcnt(0)
	v_fma_f32 v9, v9, v12, -v127
	v_fmac_f32_e32 v11, v10, v12
	v_add_f32_e32 v8, v8, v9
	v_add_f32_e32 v2, v2, v11
	s_andn2_b32 exec_lo, exec_lo, s5
	s_cbranch_execnz .LBB56_109
; %bb.110:
	s_or_b32 exec_lo, exec_lo, s5
	v_mov_b32_e32 v5, 0
	ds_read_b64 v[5:6], v5 offset:192
	s_waitcnt lgkmcnt(0)
	v_mul_f32_e32 v7, v2, v6
	v_mul_f32_e32 v6, v8, v6
	v_fma_f32 v7, v8, v5, -v7
	v_fmac_f32_e32 v6, v2, v5
	buffer_store_dword v7, off, s[0:3], 0 offset:192
	buffer_store_dword v6, off, s[0:3], 0 offset:196
.LBB56_111:
	s_or_b32 exec_lo, exec_lo, s4
	s_waitcnt_vscnt null, 0x0
	s_barrier
	buffer_gl0_inv
	s_clause 0x1
	buffer_load_dword v5, off, s[0:3], 0 offset:200
	buffer_load_dword v6, off, s[0:3], 0 offset:204
	s_mov_b32 s4, exec_lo
	s_waitcnt vmcnt(0)
	ds_write_b64 v4, v[5:6]
	s_waitcnt lgkmcnt(0)
	s_barrier
	buffer_gl0_inv
	v_cmpx_gt_u32_e32 25, v0
	s_cbranch_execz .LBB56_115
; %bb.112:
	v_add_nc_u32_e32 v5, -1, v0
	v_add_nc_u32_e32 v6, 0x1d0, v3
	v_mov_b32_e32 v7, v3
	v_mov_b32_e32 v2, 0
	;; [unrolled: 1-line block ×3, first 2 shown]
	s_mov_b32 s5, 0
	.p2align	6
.LBB56_113:                             ; =>This Inner Loop Header: Depth=1
	s_clause 0x1
	buffer_load_dword v11, v7, s[0:3], 0 offen offset:4
	buffer_load_dword v12, v7, s[0:3], 0 offen
	ds_read_b64 v[9:10], v6
	v_add_nc_u32_e32 v5, 1, v5
	v_add_nc_u32_e32 v6, 8, v6
	;; [unrolled: 1-line block ×3, first 2 shown]
	v_cmp_lt_u32_e32 vcc_lo, 23, v5
	s_or_b32 s5, vcc_lo, s5
	s_waitcnt vmcnt(1) lgkmcnt(0)
	v_mul_f32_e32 v127, v10, v11
	v_mul_f32_e32 v11, v9, v11
	s_waitcnt vmcnt(0)
	v_fma_f32 v9, v9, v12, -v127
	v_fmac_f32_e32 v11, v10, v12
	v_add_f32_e32 v8, v8, v9
	v_add_f32_e32 v2, v2, v11
	s_andn2_b32 exec_lo, exec_lo, s5
	s_cbranch_execnz .LBB56_113
; %bb.114:
	s_or_b32 exec_lo, exec_lo, s5
	v_mov_b32_e32 v5, 0
	ds_read_b64 v[5:6], v5 offset:200
	s_waitcnt lgkmcnt(0)
	v_mul_f32_e32 v7, v2, v6
	v_mul_f32_e32 v6, v8, v6
	v_fma_f32 v7, v8, v5, -v7
	v_fmac_f32_e32 v6, v2, v5
	buffer_store_dword v7, off, s[0:3], 0 offset:200
	buffer_store_dword v6, off, s[0:3], 0 offset:204
.LBB56_115:
	s_or_b32 exec_lo, exec_lo, s4
	s_waitcnt_vscnt null, 0x0
	s_barrier
	buffer_gl0_inv
	s_clause 0x1
	buffer_load_dword v5, off, s[0:3], 0 offset:208
	buffer_load_dword v6, off, s[0:3], 0 offset:212
	s_mov_b32 s4, exec_lo
	s_waitcnt vmcnt(0)
	ds_write_b64 v4, v[5:6]
	s_waitcnt lgkmcnt(0)
	s_barrier
	buffer_gl0_inv
	v_cmpx_gt_u32_e32 26, v0
	s_cbranch_execz .LBB56_119
; %bb.116:
	v_add_nc_u32_e32 v5, -1, v0
	v_add_nc_u32_e32 v6, 0x1d0, v3
	v_mov_b32_e32 v7, v3
	v_mov_b32_e32 v2, 0
	;; [unrolled: 1-line block ×3, first 2 shown]
	s_mov_b32 s5, 0
	.p2align	6
.LBB56_117:                             ; =>This Inner Loop Header: Depth=1
	s_clause 0x1
	buffer_load_dword v11, v7, s[0:3], 0 offen offset:4
	buffer_load_dword v12, v7, s[0:3], 0 offen
	ds_read_b64 v[9:10], v6
	v_add_nc_u32_e32 v5, 1, v5
	v_add_nc_u32_e32 v6, 8, v6
	;; [unrolled: 1-line block ×3, first 2 shown]
	v_cmp_lt_u32_e32 vcc_lo, 24, v5
	s_or_b32 s5, vcc_lo, s5
	s_waitcnt vmcnt(1) lgkmcnt(0)
	v_mul_f32_e32 v127, v10, v11
	v_mul_f32_e32 v11, v9, v11
	s_waitcnt vmcnt(0)
	v_fma_f32 v9, v9, v12, -v127
	v_fmac_f32_e32 v11, v10, v12
	v_add_f32_e32 v8, v8, v9
	v_add_f32_e32 v2, v2, v11
	s_andn2_b32 exec_lo, exec_lo, s5
	s_cbranch_execnz .LBB56_117
; %bb.118:
	s_or_b32 exec_lo, exec_lo, s5
	v_mov_b32_e32 v5, 0
	ds_read_b64 v[5:6], v5 offset:208
	s_waitcnt lgkmcnt(0)
	v_mul_f32_e32 v7, v2, v6
	v_mul_f32_e32 v6, v8, v6
	v_fma_f32 v7, v8, v5, -v7
	v_fmac_f32_e32 v6, v2, v5
	buffer_store_dword v7, off, s[0:3], 0 offset:208
	buffer_store_dword v6, off, s[0:3], 0 offset:212
.LBB56_119:
	s_or_b32 exec_lo, exec_lo, s4
	s_waitcnt_vscnt null, 0x0
	s_barrier
	buffer_gl0_inv
	s_clause 0x1
	buffer_load_dword v5, off, s[0:3], 0 offset:216
	buffer_load_dword v6, off, s[0:3], 0 offset:220
	s_mov_b32 s4, exec_lo
	s_waitcnt vmcnt(0)
	ds_write_b64 v4, v[5:6]
	s_waitcnt lgkmcnt(0)
	s_barrier
	buffer_gl0_inv
	v_cmpx_gt_u32_e32 27, v0
	s_cbranch_execz .LBB56_123
; %bb.120:
	v_add_nc_u32_e32 v5, -1, v0
	v_add_nc_u32_e32 v6, 0x1d0, v3
	v_mov_b32_e32 v7, v3
	v_mov_b32_e32 v2, 0
	;; [unrolled: 1-line block ×3, first 2 shown]
	s_mov_b32 s5, 0
	.p2align	6
.LBB56_121:                             ; =>This Inner Loop Header: Depth=1
	s_clause 0x1
	buffer_load_dword v11, v7, s[0:3], 0 offen offset:4
	buffer_load_dword v12, v7, s[0:3], 0 offen
	ds_read_b64 v[9:10], v6
	v_add_nc_u32_e32 v5, 1, v5
	v_add_nc_u32_e32 v6, 8, v6
	;; [unrolled: 1-line block ×3, first 2 shown]
	v_cmp_lt_u32_e32 vcc_lo, 25, v5
	s_or_b32 s5, vcc_lo, s5
	s_waitcnt vmcnt(1) lgkmcnt(0)
	v_mul_f32_e32 v127, v10, v11
	v_mul_f32_e32 v11, v9, v11
	s_waitcnt vmcnt(0)
	v_fma_f32 v9, v9, v12, -v127
	v_fmac_f32_e32 v11, v10, v12
	v_add_f32_e32 v8, v8, v9
	v_add_f32_e32 v2, v2, v11
	s_andn2_b32 exec_lo, exec_lo, s5
	s_cbranch_execnz .LBB56_121
; %bb.122:
	s_or_b32 exec_lo, exec_lo, s5
	v_mov_b32_e32 v5, 0
	ds_read_b64 v[5:6], v5 offset:216
	s_waitcnt lgkmcnt(0)
	v_mul_f32_e32 v7, v2, v6
	v_mul_f32_e32 v6, v8, v6
	v_fma_f32 v7, v8, v5, -v7
	v_fmac_f32_e32 v6, v2, v5
	buffer_store_dword v7, off, s[0:3], 0 offset:216
	buffer_store_dword v6, off, s[0:3], 0 offset:220
.LBB56_123:
	s_or_b32 exec_lo, exec_lo, s4
	s_waitcnt_vscnt null, 0x0
	s_barrier
	buffer_gl0_inv
	s_clause 0x1
	buffer_load_dword v5, off, s[0:3], 0 offset:224
	buffer_load_dword v6, off, s[0:3], 0 offset:228
	s_mov_b32 s4, exec_lo
	s_waitcnt vmcnt(0)
	ds_write_b64 v4, v[5:6]
	s_waitcnt lgkmcnt(0)
	s_barrier
	buffer_gl0_inv
	v_cmpx_gt_u32_e32 28, v0
	s_cbranch_execz .LBB56_127
; %bb.124:
	v_add_nc_u32_e32 v5, -1, v0
	v_add_nc_u32_e32 v6, 0x1d0, v3
	v_mov_b32_e32 v7, v3
	v_mov_b32_e32 v2, 0
	;; [unrolled: 1-line block ×3, first 2 shown]
	s_mov_b32 s5, 0
	.p2align	6
.LBB56_125:                             ; =>This Inner Loop Header: Depth=1
	s_clause 0x1
	buffer_load_dword v11, v7, s[0:3], 0 offen offset:4
	buffer_load_dword v12, v7, s[0:3], 0 offen
	ds_read_b64 v[9:10], v6
	v_add_nc_u32_e32 v5, 1, v5
	v_add_nc_u32_e32 v6, 8, v6
	;; [unrolled: 1-line block ×3, first 2 shown]
	v_cmp_lt_u32_e32 vcc_lo, 26, v5
	s_or_b32 s5, vcc_lo, s5
	s_waitcnt vmcnt(1) lgkmcnt(0)
	v_mul_f32_e32 v127, v10, v11
	v_mul_f32_e32 v11, v9, v11
	s_waitcnt vmcnt(0)
	v_fma_f32 v9, v9, v12, -v127
	v_fmac_f32_e32 v11, v10, v12
	v_add_f32_e32 v8, v8, v9
	v_add_f32_e32 v2, v2, v11
	s_andn2_b32 exec_lo, exec_lo, s5
	s_cbranch_execnz .LBB56_125
; %bb.126:
	s_or_b32 exec_lo, exec_lo, s5
	v_mov_b32_e32 v5, 0
	ds_read_b64 v[5:6], v5 offset:224
	s_waitcnt lgkmcnt(0)
	v_mul_f32_e32 v7, v2, v6
	v_mul_f32_e32 v6, v8, v6
	v_fma_f32 v7, v8, v5, -v7
	v_fmac_f32_e32 v6, v2, v5
	buffer_store_dword v7, off, s[0:3], 0 offset:224
	buffer_store_dword v6, off, s[0:3], 0 offset:228
.LBB56_127:
	s_or_b32 exec_lo, exec_lo, s4
	s_waitcnt_vscnt null, 0x0
	s_barrier
	buffer_gl0_inv
	s_clause 0x1
	buffer_load_dword v5, off, s[0:3], 0 offset:232
	buffer_load_dword v6, off, s[0:3], 0 offset:236
	s_mov_b32 s4, exec_lo
	s_waitcnt vmcnt(0)
	ds_write_b64 v4, v[5:6]
	s_waitcnt lgkmcnt(0)
	s_barrier
	buffer_gl0_inv
	v_cmpx_gt_u32_e32 29, v0
	s_cbranch_execz .LBB56_131
; %bb.128:
	v_add_nc_u32_e32 v5, -1, v0
	v_add_nc_u32_e32 v6, 0x1d0, v3
	v_mov_b32_e32 v7, v3
	v_mov_b32_e32 v2, 0
	;; [unrolled: 1-line block ×3, first 2 shown]
	s_mov_b32 s5, 0
	.p2align	6
.LBB56_129:                             ; =>This Inner Loop Header: Depth=1
	s_clause 0x1
	buffer_load_dword v11, v7, s[0:3], 0 offen offset:4
	buffer_load_dword v12, v7, s[0:3], 0 offen
	ds_read_b64 v[9:10], v6
	v_add_nc_u32_e32 v5, 1, v5
	v_add_nc_u32_e32 v6, 8, v6
	;; [unrolled: 1-line block ×3, first 2 shown]
	v_cmp_lt_u32_e32 vcc_lo, 27, v5
	s_or_b32 s5, vcc_lo, s5
	s_waitcnt vmcnt(1) lgkmcnt(0)
	v_mul_f32_e32 v127, v10, v11
	v_mul_f32_e32 v11, v9, v11
	s_waitcnt vmcnt(0)
	v_fma_f32 v9, v9, v12, -v127
	v_fmac_f32_e32 v11, v10, v12
	v_add_f32_e32 v8, v8, v9
	v_add_f32_e32 v2, v2, v11
	s_andn2_b32 exec_lo, exec_lo, s5
	s_cbranch_execnz .LBB56_129
; %bb.130:
	s_or_b32 exec_lo, exec_lo, s5
	v_mov_b32_e32 v5, 0
	ds_read_b64 v[5:6], v5 offset:232
	s_waitcnt lgkmcnt(0)
	v_mul_f32_e32 v7, v2, v6
	v_mul_f32_e32 v6, v8, v6
	v_fma_f32 v7, v8, v5, -v7
	v_fmac_f32_e32 v6, v2, v5
	buffer_store_dword v7, off, s[0:3], 0 offset:232
	buffer_store_dword v6, off, s[0:3], 0 offset:236
.LBB56_131:
	s_or_b32 exec_lo, exec_lo, s4
	s_waitcnt_vscnt null, 0x0
	s_barrier
	buffer_gl0_inv
	s_clause 0x1
	buffer_load_dword v5, off, s[0:3], 0 offset:240
	buffer_load_dword v6, off, s[0:3], 0 offset:244
	s_mov_b32 s4, exec_lo
	s_waitcnt vmcnt(0)
	ds_write_b64 v4, v[5:6]
	s_waitcnt lgkmcnt(0)
	s_barrier
	buffer_gl0_inv
	v_cmpx_gt_u32_e32 30, v0
	s_cbranch_execz .LBB56_135
; %bb.132:
	v_add_nc_u32_e32 v5, -1, v0
	v_add_nc_u32_e32 v6, 0x1d0, v3
	v_mov_b32_e32 v7, v3
	v_mov_b32_e32 v2, 0
	;; [unrolled: 1-line block ×3, first 2 shown]
	s_mov_b32 s5, 0
	.p2align	6
.LBB56_133:                             ; =>This Inner Loop Header: Depth=1
	s_clause 0x1
	buffer_load_dword v11, v7, s[0:3], 0 offen offset:4
	buffer_load_dword v12, v7, s[0:3], 0 offen
	ds_read_b64 v[9:10], v6
	v_add_nc_u32_e32 v5, 1, v5
	v_add_nc_u32_e32 v6, 8, v6
	;; [unrolled: 1-line block ×3, first 2 shown]
	v_cmp_lt_u32_e32 vcc_lo, 28, v5
	s_or_b32 s5, vcc_lo, s5
	s_waitcnt vmcnt(1) lgkmcnt(0)
	v_mul_f32_e32 v127, v10, v11
	v_mul_f32_e32 v11, v9, v11
	s_waitcnt vmcnt(0)
	v_fma_f32 v9, v9, v12, -v127
	v_fmac_f32_e32 v11, v10, v12
	v_add_f32_e32 v8, v8, v9
	v_add_f32_e32 v2, v2, v11
	s_andn2_b32 exec_lo, exec_lo, s5
	s_cbranch_execnz .LBB56_133
; %bb.134:
	s_or_b32 exec_lo, exec_lo, s5
	v_mov_b32_e32 v5, 0
	ds_read_b64 v[5:6], v5 offset:240
	s_waitcnt lgkmcnt(0)
	v_mul_f32_e32 v7, v2, v6
	v_mul_f32_e32 v6, v8, v6
	v_fma_f32 v7, v8, v5, -v7
	v_fmac_f32_e32 v6, v2, v5
	buffer_store_dword v7, off, s[0:3], 0 offset:240
	buffer_store_dword v6, off, s[0:3], 0 offset:244
.LBB56_135:
	s_or_b32 exec_lo, exec_lo, s4
	s_waitcnt_vscnt null, 0x0
	s_barrier
	buffer_gl0_inv
	s_clause 0x1
	buffer_load_dword v5, off, s[0:3], 0 offset:248
	buffer_load_dword v6, off, s[0:3], 0 offset:252
	s_mov_b32 s4, exec_lo
	s_waitcnt vmcnt(0)
	ds_write_b64 v4, v[5:6]
	s_waitcnt lgkmcnt(0)
	s_barrier
	buffer_gl0_inv
	v_cmpx_gt_u32_e32 31, v0
	s_cbranch_execz .LBB56_139
; %bb.136:
	v_add_nc_u32_e32 v5, -1, v0
	v_add_nc_u32_e32 v6, 0x1d0, v3
	v_mov_b32_e32 v7, v3
	v_mov_b32_e32 v2, 0
	;; [unrolled: 1-line block ×3, first 2 shown]
	s_mov_b32 s5, 0
	.p2align	6
.LBB56_137:                             ; =>This Inner Loop Header: Depth=1
	s_clause 0x1
	buffer_load_dword v11, v7, s[0:3], 0 offen offset:4
	buffer_load_dword v12, v7, s[0:3], 0 offen
	ds_read_b64 v[9:10], v6
	v_add_nc_u32_e32 v5, 1, v5
	v_add_nc_u32_e32 v6, 8, v6
	;; [unrolled: 1-line block ×3, first 2 shown]
	v_cmp_lt_u32_e32 vcc_lo, 29, v5
	s_or_b32 s5, vcc_lo, s5
	s_waitcnt vmcnt(1) lgkmcnt(0)
	v_mul_f32_e32 v127, v10, v11
	v_mul_f32_e32 v11, v9, v11
	s_waitcnt vmcnt(0)
	v_fma_f32 v9, v9, v12, -v127
	v_fmac_f32_e32 v11, v10, v12
	v_add_f32_e32 v8, v8, v9
	v_add_f32_e32 v2, v2, v11
	s_andn2_b32 exec_lo, exec_lo, s5
	s_cbranch_execnz .LBB56_137
; %bb.138:
	s_or_b32 exec_lo, exec_lo, s5
	v_mov_b32_e32 v5, 0
	ds_read_b64 v[5:6], v5 offset:248
	s_waitcnt lgkmcnt(0)
	v_mul_f32_e32 v7, v2, v6
	v_mul_f32_e32 v6, v8, v6
	v_fma_f32 v7, v8, v5, -v7
	v_fmac_f32_e32 v6, v2, v5
	buffer_store_dword v7, off, s[0:3], 0 offset:248
	buffer_store_dword v6, off, s[0:3], 0 offset:252
.LBB56_139:
	s_or_b32 exec_lo, exec_lo, s4
	s_waitcnt_vscnt null, 0x0
	s_barrier
	buffer_gl0_inv
	s_clause 0x1
	buffer_load_dword v5, off, s[0:3], 0 offset:256
	buffer_load_dword v6, off, s[0:3], 0 offset:260
	s_mov_b32 s4, exec_lo
	s_waitcnt vmcnt(0)
	ds_write_b64 v4, v[5:6]
	s_waitcnt lgkmcnt(0)
	s_barrier
	buffer_gl0_inv
	v_cmpx_gt_u32_e32 32, v0
	s_cbranch_execz .LBB56_143
; %bb.140:
	v_add_nc_u32_e32 v5, -1, v0
	v_add_nc_u32_e32 v6, 0x1d0, v3
	v_mov_b32_e32 v7, v3
	v_mov_b32_e32 v2, 0
	;; [unrolled: 1-line block ×3, first 2 shown]
	s_mov_b32 s5, 0
	.p2align	6
.LBB56_141:                             ; =>This Inner Loop Header: Depth=1
	s_clause 0x1
	buffer_load_dword v11, v7, s[0:3], 0 offen offset:4
	buffer_load_dword v12, v7, s[0:3], 0 offen
	ds_read_b64 v[9:10], v6
	v_add_nc_u32_e32 v5, 1, v5
	v_add_nc_u32_e32 v6, 8, v6
	;; [unrolled: 1-line block ×3, first 2 shown]
	v_cmp_lt_u32_e32 vcc_lo, 30, v5
	s_or_b32 s5, vcc_lo, s5
	s_waitcnt vmcnt(1) lgkmcnt(0)
	v_mul_f32_e32 v127, v10, v11
	v_mul_f32_e32 v11, v9, v11
	s_waitcnt vmcnt(0)
	v_fma_f32 v9, v9, v12, -v127
	v_fmac_f32_e32 v11, v10, v12
	v_add_f32_e32 v8, v8, v9
	v_add_f32_e32 v2, v2, v11
	s_andn2_b32 exec_lo, exec_lo, s5
	s_cbranch_execnz .LBB56_141
; %bb.142:
	s_or_b32 exec_lo, exec_lo, s5
	v_mov_b32_e32 v5, 0
	ds_read_b64 v[5:6], v5 offset:256
	s_waitcnt lgkmcnt(0)
	v_mul_f32_e32 v7, v2, v6
	v_mul_f32_e32 v6, v8, v6
	v_fma_f32 v7, v8, v5, -v7
	v_fmac_f32_e32 v6, v2, v5
	buffer_store_dword v7, off, s[0:3], 0 offset:256
	buffer_store_dword v6, off, s[0:3], 0 offset:260
.LBB56_143:
	s_or_b32 exec_lo, exec_lo, s4
	s_waitcnt_vscnt null, 0x0
	s_barrier
	buffer_gl0_inv
	s_clause 0x1
	buffer_load_dword v5, off, s[0:3], 0 offset:264
	buffer_load_dword v6, off, s[0:3], 0 offset:268
	s_mov_b32 s4, exec_lo
	s_waitcnt vmcnt(0)
	ds_write_b64 v4, v[5:6]
	s_waitcnt lgkmcnt(0)
	s_barrier
	buffer_gl0_inv
	v_cmpx_gt_u32_e32 33, v0
	s_cbranch_execz .LBB56_147
; %bb.144:
	v_add_nc_u32_e32 v5, -1, v0
	v_add_nc_u32_e32 v6, 0x1d0, v3
	v_mov_b32_e32 v7, v3
	v_mov_b32_e32 v2, 0
	;; [unrolled: 1-line block ×3, first 2 shown]
	s_mov_b32 s5, 0
	.p2align	6
.LBB56_145:                             ; =>This Inner Loop Header: Depth=1
	s_clause 0x1
	buffer_load_dword v11, v7, s[0:3], 0 offen offset:4
	buffer_load_dword v12, v7, s[0:3], 0 offen
	ds_read_b64 v[9:10], v6
	v_add_nc_u32_e32 v5, 1, v5
	v_add_nc_u32_e32 v6, 8, v6
	;; [unrolled: 1-line block ×3, first 2 shown]
	v_cmp_lt_u32_e32 vcc_lo, 31, v5
	s_or_b32 s5, vcc_lo, s5
	s_waitcnt vmcnt(1) lgkmcnt(0)
	v_mul_f32_e32 v127, v10, v11
	v_mul_f32_e32 v11, v9, v11
	s_waitcnt vmcnt(0)
	v_fma_f32 v9, v9, v12, -v127
	v_fmac_f32_e32 v11, v10, v12
	v_add_f32_e32 v8, v8, v9
	v_add_f32_e32 v2, v2, v11
	s_andn2_b32 exec_lo, exec_lo, s5
	s_cbranch_execnz .LBB56_145
; %bb.146:
	s_or_b32 exec_lo, exec_lo, s5
	v_mov_b32_e32 v5, 0
	ds_read_b64 v[5:6], v5 offset:264
	s_waitcnt lgkmcnt(0)
	v_mul_f32_e32 v7, v2, v6
	v_mul_f32_e32 v6, v8, v6
	v_fma_f32 v7, v8, v5, -v7
	v_fmac_f32_e32 v6, v2, v5
	buffer_store_dword v7, off, s[0:3], 0 offset:264
	buffer_store_dword v6, off, s[0:3], 0 offset:268
.LBB56_147:
	s_or_b32 exec_lo, exec_lo, s4
	s_waitcnt_vscnt null, 0x0
	s_barrier
	buffer_gl0_inv
	s_clause 0x1
	buffer_load_dword v5, off, s[0:3], 0 offset:272
	buffer_load_dword v6, off, s[0:3], 0 offset:276
	s_mov_b32 s4, exec_lo
	s_waitcnt vmcnt(0)
	ds_write_b64 v4, v[5:6]
	s_waitcnt lgkmcnt(0)
	s_barrier
	buffer_gl0_inv
	v_cmpx_gt_u32_e32 34, v0
	s_cbranch_execz .LBB56_151
; %bb.148:
	v_add_nc_u32_e32 v5, -1, v0
	v_add_nc_u32_e32 v6, 0x1d0, v3
	v_mov_b32_e32 v7, v3
	v_mov_b32_e32 v2, 0
	;; [unrolled: 1-line block ×3, first 2 shown]
	s_mov_b32 s5, 0
	.p2align	6
.LBB56_149:                             ; =>This Inner Loop Header: Depth=1
	s_clause 0x1
	buffer_load_dword v11, v7, s[0:3], 0 offen offset:4
	buffer_load_dword v12, v7, s[0:3], 0 offen
	ds_read_b64 v[9:10], v6
	v_add_nc_u32_e32 v5, 1, v5
	v_add_nc_u32_e32 v6, 8, v6
	;; [unrolled: 1-line block ×3, first 2 shown]
	v_cmp_lt_u32_e32 vcc_lo, 32, v5
	s_or_b32 s5, vcc_lo, s5
	s_waitcnt vmcnt(1) lgkmcnt(0)
	v_mul_f32_e32 v127, v10, v11
	v_mul_f32_e32 v11, v9, v11
	s_waitcnt vmcnt(0)
	v_fma_f32 v9, v9, v12, -v127
	v_fmac_f32_e32 v11, v10, v12
	v_add_f32_e32 v8, v8, v9
	v_add_f32_e32 v2, v2, v11
	s_andn2_b32 exec_lo, exec_lo, s5
	s_cbranch_execnz .LBB56_149
; %bb.150:
	s_or_b32 exec_lo, exec_lo, s5
	v_mov_b32_e32 v5, 0
	ds_read_b64 v[5:6], v5 offset:272
	s_waitcnt lgkmcnt(0)
	v_mul_f32_e32 v7, v2, v6
	v_mul_f32_e32 v6, v8, v6
	v_fma_f32 v7, v8, v5, -v7
	v_fmac_f32_e32 v6, v2, v5
	buffer_store_dword v7, off, s[0:3], 0 offset:272
	buffer_store_dword v6, off, s[0:3], 0 offset:276
.LBB56_151:
	s_or_b32 exec_lo, exec_lo, s4
	s_waitcnt_vscnt null, 0x0
	s_barrier
	buffer_gl0_inv
	s_clause 0x1
	buffer_load_dword v5, off, s[0:3], 0 offset:280
	buffer_load_dword v6, off, s[0:3], 0 offset:284
	s_mov_b32 s4, exec_lo
	s_waitcnt vmcnt(0)
	ds_write_b64 v4, v[5:6]
	s_waitcnt lgkmcnt(0)
	s_barrier
	buffer_gl0_inv
	v_cmpx_gt_u32_e32 35, v0
	s_cbranch_execz .LBB56_155
; %bb.152:
	v_add_nc_u32_e32 v5, -1, v0
	v_add_nc_u32_e32 v6, 0x1d0, v3
	v_mov_b32_e32 v7, v3
	v_mov_b32_e32 v2, 0
	v_mov_b32_e32 v8, 0
	s_mov_b32 s5, 0
	.p2align	6
.LBB56_153:                             ; =>This Inner Loop Header: Depth=1
	s_clause 0x1
	buffer_load_dword v11, v7, s[0:3], 0 offen offset:4
	buffer_load_dword v12, v7, s[0:3], 0 offen
	ds_read_b64 v[9:10], v6
	v_add_nc_u32_e32 v5, 1, v5
	v_add_nc_u32_e32 v6, 8, v6
	;; [unrolled: 1-line block ×3, first 2 shown]
	v_cmp_lt_u32_e32 vcc_lo, 33, v5
	s_or_b32 s5, vcc_lo, s5
	s_waitcnt vmcnt(1) lgkmcnt(0)
	v_mul_f32_e32 v127, v10, v11
	v_mul_f32_e32 v11, v9, v11
	s_waitcnt vmcnt(0)
	v_fma_f32 v9, v9, v12, -v127
	v_fmac_f32_e32 v11, v10, v12
	v_add_f32_e32 v8, v8, v9
	v_add_f32_e32 v2, v2, v11
	s_andn2_b32 exec_lo, exec_lo, s5
	s_cbranch_execnz .LBB56_153
; %bb.154:
	s_or_b32 exec_lo, exec_lo, s5
	v_mov_b32_e32 v5, 0
	ds_read_b64 v[5:6], v5 offset:280
	s_waitcnt lgkmcnt(0)
	v_mul_f32_e32 v7, v2, v6
	v_mul_f32_e32 v6, v8, v6
	v_fma_f32 v7, v8, v5, -v7
	v_fmac_f32_e32 v6, v2, v5
	buffer_store_dword v7, off, s[0:3], 0 offset:280
	buffer_store_dword v6, off, s[0:3], 0 offset:284
.LBB56_155:
	s_or_b32 exec_lo, exec_lo, s4
	s_waitcnt_vscnt null, 0x0
	s_barrier
	buffer_gl0_inv
	s_clause 0x1
	buffer_load_dword v5, off, s[0:3], 0 offset:288
	buffer_load_dword v6, off, s[0:3], 0 offset:292
	s_mov_b32 s4, exec_lo
	s_waitcnt vmcnt(0)
	ds_write_b64 v4, v[5:6]
	s_waitcnt lgkmcnt(0)
	s_barrier
	buffer_gl0_inv
	v_cmpx_gt_u32_e32 36, v0
	s_cbranch_execz .LBB56_159
; %bb.156:
	v_add_nc_u32_e32 v5, -1, v0
	v_add_nc_u32_e32 v6, 0x1d0, v3
	v_mov_b32_e32 v7, v3
	v_mov_b32_e32 v2, 0
	;; [unrolled: 1-line block ×3, first 2 shown]
	s_mov_b32 s5, 0
	.p2align	6
.LBB56_157:                             ; =>This Inner Loop Header: Depth=1
	s_clause 0x1
	buffer_load_dword v11, v7, s[0:3], 0 offen offset:4
	buffer_load_dword v12, v7, s[0:3], 0 offen
	ds_read_b64 v[9:10], v6
	v_add_nc_u32_e32 v5, 1, v5
	v_add_nc_u32_e32 v6, 8, v6
	v_add_nc_u32_e32 v7, 8, v7
	v_cmp_lt_u32_e32 vcc_lo, 34, v5
	s_or_b32 s5, vcc_lo, s5
	s_waitcnt vmcnt(1) lgkmcnt(0)
	v_mul_f32_e32 v127, v10, v11
	v_mul_f32_e32 v11, v9, v11
	s_waitcnt vmcnt(0)
	v_fma_f32 v9, v9, v12, -v127
	v_fmac_f32_e32 v11, v10, v12
	v_add_f32_e32 v8, v8, v9
	v_add_f32_e32 v2, v2, v11
	s_andn2_b32 exec_lo, exec_lo, s5
	s_cbranch_execnz .LBB56_157
; %bb.158:
	s_or_b32 exec_lo, exec_lo, s5
	v_mov_b32_e32 v5, 0
	ds_read_b64 v[5:6], v5 offset:288
	s_waitcnt lgkmcnt(0)
	v_mul_f32_e32 v7, v2, v6
	v_mul_f32_e32 v6, v8, v6
	v_fma_f32 v7, v8, v5, -v7
	v_fmac_f32_e32 v6, v2, v5
	buffer_store_dword v7, off, s[0:3], 0 offset:288
	buffer_store_dword v6, off, s[0:3], 0 offset:292
.LBB56_159:
	s_or_b32 exec_lo, exec_lo, s4
	s_waitcnt_vscnt null, 0x0
	s_barrier
	buffer_gl0_inv
	s_clause 0x1
	buffer_load_dword v5, off, s[0:3], 0 offset:296
	buffer_load_dword v6, off, s[0:3], 0 offset:300
	s_mov_b32 s4, exec_lo
	s_waitcnt vmcnt(0)
	ds_write_b64 v4, v[5:6]
	s_waitcnt lgkmcnt(0)
	s_barrier
	buffer_gl0_inv
	v_cmpx_gt_u32_e32 37, v0
	s_cbranch_execz .LBB56_163
; %bb.160:
	v_add_nc_u32_e32 v5, -1, v0
	v_add_nc_u32_e32 v6, 0x1d0, v3
	v_mov_b32_e32 v7, v3
	v_mov_b32_e32 v2, 0
	v_mov_b32_e32 v8, 0
	s_mov_b32 s5, 0
	.p2align	6
.LBB56_161:                             ; =>This Inner Loop Header: Depth=1
	s_clause 0x1
	buffer_load_dword v11, v7, s[0:3], 0 offen offset:4
	buffer_load_dword v12, v7, s[0:3], 0 offen
	ds_read_b64 v[9:10], v6
	v_add_nc_u32_e32 v5, 1, v5
	v_add_nc_u32_e32 v6, 8, v6
	;; [unrolled: 1-line block ×3, first 2 shown]
	v_cmp_lt_u32_e32 vcc_lo, 35, v5
	s_or_b32 s5, vcc_lo, s5
	s_waitcnt vmcnt(1) lgkmcnt(0)
	v_mul_f32_e32 v127, v10, v11
	v_mul_f32_e32 v11, v9, v11
	s_waitcnt vmcnt(0)
	v_fma_f32 v9, v9, v12, -v127
	v_fmac_f32_e32 v11, v10, v12
	v_add_f32_e32 v8, v8, v9
	v_add_f32_e32 v2, v2, v11
	s_andn2_b32 exec_lo, exec_lo, s5
	s_cbranch_execnz .LBB56_161
; %bb.162:
	s_or_b32 exec_lo, exec_lo, s5
	v_mov_b32_e32 v5, 0
	ds_read_b64 v[5:6], v5 offset:296
	s_waitcnt lgkmcnt(0)
	v_mul_f32_e32 v7, v2, v6
	v_mul_f32_e32 v6, v8, v6
	v_fma_f32 v7, v8, v5, -v7
	v_fmac_f32_e32 v6, v2, v5
	buffer_store_dword v7, off, s[0:3], 0 offset:296
	buffer_store_dword v6, off, s[0:3], 0 offset:300
.LBB56_163:
	s_or_b32 exec_lo, exec_lo, s4
	s_waitcnt_vscnt null, 0x0
	s_barrier
	buffer_gl0_inv
	s_clause 0x1
	buffer_load_dword v5, off, s[0:3], 0 offset:304
	buffer_load_dword v6, off, s[0:3], 0 offset:308
	s_mov_b32 s4, exec_lo
	s_waitcnt vmcnt(0)
	ds_write_b64 v4, v[5:6]
	s_waitcnt lgkmcnt(0)
	s_barrier
	buffer_gl0_inv
	v_cmpx_gt_u32_e32 38, v0
	s_cbranch_execz .LBB56_167
; %bb.164:
	v_add_nc_u32_e32 v5, -1, v0
	v_add_nc_u32_e32 v6, 0x1d0, v3
	v_mov_b32_e32 v7, v3
	v_mov_b32_e32 v2, 0
	;; [unrolled: 1-line block ×3, first 2 shown]
	s_mov_b32 s5, 0
	.p2align	6
.LBB56_165:                             ; =>This Inner Loop Header: Depth=1
	s_clause 0x1
	buffer_load_dword v11, v7, s[0:3], 0 offen offset:4
	buffer_load_dword v12, v7, s[0:3], 0 offen
	ds_read_b64 v[9:10], v6
	v_add_nc_u32_e32 v5, 1, v5
	v_add_nc_u32_e32 v6, 8, v6
	;; [unrolled: 1-line block ×3, first 2 shown]
	v_cmp_lt_u32_e32 vcc_lo, 36, v5
	s_or_b32 s5, vcc_lo, s5
	s_waitcnt vmcnt(1) lgkmcnt(0)
	v_mul_f32_e32 v127, v10, v11
	v_mul_f32_e32 v11, v9, v11
	s_waitcnt vmcnt(0)
	v_fma_f32 v9, v9, v12, -v127
	v_fmac_f32_e32 v11, v10, v12
	v_add_f32_e32 v8, v8, v9
	v_add_f32_e32 v2, v2, v11
	s_andn2_b32 exec_lo, exec_lo, s5
	s_cbranch_execnz .LBB56_165
; %bb.166:
	s_or_b32 exec_lo, exec_lo, s5
	v_mov_b32_e32 v5, 0
	ds_read_b64 v[5:6], v5 offset:304
	s_waitcnt lgkmcnt(0)
	v_mul_f32_e32 v7, v2, v6
	v_mul_f32_e32 v6, v8, v6
	v_fma_f32 v7, v8, v5, -v7
	v_fmac_f32_e32 v6, v2, v5
	buffer_store_dword v7, off, s[0:3], 0 offset:304
	buffer_store_dword v6, off, s[0:3], 0 offset:308
.LBB56_167:
	s_or_b32 exec_lo, exec_lo, s4
	s_waitcnt_vscnt null, 0x0
	s_barrier
	buffer_gl0_inv
	s_clause 0x1
	buffer_load_dword v5, off, s[0:3], 0 offset:312
	buffer_load_dword v6, off, s[0:3], 0 offset:316
	s_mov_b32 s4, exec_lo
	s_waitcnt vmcnt(0)
	ds_write_b64 v4, v[5:6]
	s_waitcnt lgkmcnt(0)
	s_barrier
	buffer_gl0_inv
	v_cmpx_gt_u32_e32 39, v0
	s_cbranch_execz .LBB56_171
; %bb.168:
	v_add_nc_u32_e32 v5, -1, v0
	v_add_nc_u32_e32 v6, 0x1d0, v3
	v_mov_b32_e32 v7, v3
	v_mov_b32_e32 v2, 0
	;; [unrolled: 1-line block ×3, first 2 shown]
	s_mov_b32 s5, 0
	.p2align	6
.LBB56_169:                             ; =>This Inner Loop Header: Depth=1
	s_clause 0x1
	buffer_load_dword v11, v7, s[0:3], 0 offen offset:4
	buffer_load_dword v12, v7, s[0:3], 0 offen
	ds_read_b64 v[9:10], v6
	v_add_nc_u32_e32 v5, 1, v5
	v_add_nc_u32_e32 v6, 8, v6
	;; [unrolled: 1-line block ×3, first 2 shown]
	v_cmp_lt_u32_e32 vcc_lo, 37, v5
	s_or_b32 s5, vcc_lo, s5
	s_waitcnt vmcnt(1) lgkmcnt(0)
	v_mul_f32_e32 v127, v10, v11
	v_mul_f32_e32 v11, v9, v11
	s_waitcnt vmcnt(0)
	v_fma_f32 v9, v9, v12, -v127
	v_fmac_f32_e32 v11, v10, v12
	v_add_f32_e32 v8, v8, v9
	v_add_f32_e32 v2, v2, v11
	s_andn2_b32 exec_lo, exec_lo, s5
	s_cbranch_execnz .LBB56_169
; %bb.170:
	s_or_b32 exec_lo, exec_lo, s5
	v_mov_b32_e32 v5, 0
	ds_read_b64 v[5:6], v5 offset:312
	s_waitcnt lgkmcnt(0)
	v_mul_f32_e32 v7, v2, v6
	v_mul_f32_e32 v6, v8, v6
	v_fma_f32 v7, v8, v5, -v7
	v_fmac_f32_e32 v6, v2, v5
	buffer_store_dword v7, off, s[0:3], 0 offset:312
	buffer_store_dword v6, off, s[0:3], 0 offset:316
.LBB56_171:
	s_or_b32 exec_lo, exec_lo, s4
	s_waitcnt_vscnt null, 0x0
	s_barrier
	buffer_gl0_inv
	s_clause 0x1
	buffer_load_dword v5, off, s[0:3], 0 offset:320
	buffer_load_dword v6, off, s[0:3], 0 offset:324
	s_mov_b32 s4, exec_lo
	s_waitcnt vmcnt(0)
	ds_write_b64 v4, v[5:6]
	s_waitcnt lgkmcnt(0)
	s_barrier
	buffer_gl0_inv
	v_cmpx_gt_u32_e32 40, v0
	s_cbranch_execz .LBB56_175
; %bb.172:
	v_add_nc_u32_e32 v5, -1, v0
	v_add_nc_u32_e32 v6, 0x1d0, v3
	v_mov_b32_e32 v7, v3
	v_mov_b32_e32 v2, 0
	;; [unrolled: 1-line block ×3, first 2 shown]
	s_mov_b32 s5, 0
	.p2align	6
.LBB56_173:                             ; =>This Inner Loop Header: Depth=1
	s_clause 0x1
	buffer_load_dword v11, v7, s[0:3], 0 offen offset:4
	buffer_load_dword v12, v7, s[0:3], 0 offen
	ds_read_b64 v[9:10], v6
	v_add_nc_u32_e32 v5, 1, v5
	v_add_nc_u32_e32 v6, 8, v6
	;; [unrolled: 1-line block ×3, first 2 shown]
	v_cmp_lt_u32_e32 vcc_lo, 38, v5
	s_or_b32 s5, vcc_lo, s5
	s_waitcnt vmcnt(1) lgkmcnt(0)
	v_mul_f32_e32 v127, v10, v11
	v_mul_f32_e32 v11, v9, v11
	s_waitcnt vmcnt(0)
	v_fma_f32 v9, v9, v12, -v127
	v_fmac_f32_e32 v11, v10, v12
	v_add_f32_e32 v8, v8, v9
	v_add_f32_e32 v2, v2, v11
	s_andn2_b32 exec_lo, exec_lo, s5
	s_cbranch_execnz .LBB56_173
; %bb.174:
	s_or_b32 exec_lo, exec_lo, s5
	v_mov_b32_e32 v5, 0
	ds_read_b64 v[5:6], v5 offset:320
	s_waitcnt lgkmcnt(0)
	v_mul_f32_e32 v7, v2, v6
	v_mul_f32_e32 v6, v8, v6
	v_fma_f32 v7, v8, v5, -v7
	v_fmac_f32_e32 v6, v2, v5
	buffer_store_dword v7, off, s[0:3], 0 offset:320
	buffer_store_dword v6, off, s[0:3], 0 offset:324
.LBB56_175:
	s_or_b32 exec_lo, exec_lo, s4
	s_waitcnt_vscnt null, 0x0
	s_barrier
	buffer_gl0_inv
	s_clause 0x1
	buffer_load_dword v5, off, s[0:3], 0 offset:328
	buffer_load_dword v6, off, s[0:3], 0 offset:332
	s_mov_b32 s4, exec_lo
	s_waitcnt vmcnt(0)
	ds_write_b64 v4, v[5:6]
	s_waitcnt lgkmcnt(0)
	s_barrier
	buffer_gl0_inv
	v_cmpx_gt_u32_e32 41, v0
	s_cbranch_execz .LBB56_179
; %bb.176:
	v_add_nc_u32_e32 v5, -1, v0
	v_add_nc_u32_e32 v6, 0x1d0, v3
	v_mov_b32_e32 v7, v3
	v_mov_b32_e32 v2, 0
	;; [unrolled: 1-line block ×3, first 2 shown]
	s_mov_b32 s5, 0
	.p2align	6
.LBB56_177:                             ; =>This Inner Loop Header: Depth=1
	s_clause 0x1
	buffer_load_dword v11, v7, s[0:3], 0 offen offset:4
	buffer_load_dword v12, v7, s[0:3], 0 offen
	ds_read_b64 v[9:10], v6
	v_add_nc_u32_e32 v5, 1, v5
	v_add_nc_u32_e32 v6, 8, v6
	;; [unrolled: 1-line block ×3, first 2 shown]
	v_cmp_lt_u32_e32 vcc_lo, 39, v5
	s_or_b32 s5, vcc_lo, s5
	s_waitcnt vmcnt(1) lgkmcnt(0)
	v_mul_f32_e32 v127, v10, v11
	v_mul_f32_e32 v11, v9, v11
	s_waitcnt vmcnt(0)
	v_fma_f32 v9, v9, v12, -v127
	v_fmac_f32_e32 v11, v10, v12
	v_add_f32_e32 v8, v8, v9
	v_add_f32_e32 v2, v2, v11
	s_andn2_b32 exec_lo, exec_lo, s5
	s_cbranch_execnz .LBB56_177
; %bb.178:
	s_or_b32 exec_lo, exec_lo, s5
	v_mov_b32_e32 v5, 0
	ds_read_b64 v[5:6], v5 offset:328
	s_waitcnt lgkmcnt(0)
	v_mul_f32_e32 v7, v2, v6
	v_mul_f32_e32 v6, v8, v6
	v_fma_f32 v7, v8, v5, -v7
	v_fmac_f32_e32 v6, v2, v5
	buffer_store_dword v7, off, s[0:3], 0 offset:328
	buffer_store_dword v6, off, s[0:3], 0 offset:332
.LBB56_179:
	s_or_b32 exec_lo, exec_lo, s4
	s_waitcnt_vscnt null, 0x0
	s_barrier
	buffer_gl0_inv
	s_clause 0x1
	buffer_load_dword v5, off, s[0:3], 0 offset:336
	buffer_load_dword v6, off, s[0:3], 0 offset:340
	s_mov_b32 s4, exec_lo
	s_waitcnt vmcnt(0)
	ds_write_b64 v4, v[5:6]
	s_waitcnt lgkmcnt(0)
	s_barrier
	buffer_gl0_inv
	v_cmpx_gt_u32_e32 42, v0
	s_cbranch_execz .LBB56_183
; %bb.180:
	v_add_nc_u32_e32 v5, -1, v0
	v_add_nc_u32_e32 v6, 0x1d0, v3
	v_mov_b32_e32 v7, v3
	v_mov_b32_e32 v2, 0
	;; [unrolled: 1-line block ×3, first 2 shown]
	s_mov_b32 s5, 0
	.p2align	6
.LBB56_181:                             ; =>This Inner Loop Header: Depth=1
	s_clause 0x1
	buffer_load_dword v11, v7, s[0:3], 0 offen offset:4
	buffer_load_dword v12, v7, s[0:3], 0 offen
	ds_read_b64 v[9:10], v6
	v_add_nc_u32_e32 v5, 1, v5
	v_add_nc_u32_e32 v6, 8, v6
	;; [unrolled: 1-line block ×3, first 2 shown]
	v_cmp_lt_u32_e32 vcc_lo, 40, v5
	s_or_b32 s5, vcc_lo, s5
	s_waitcnt vmcnt(1) lgkmcnt(0)
	v_mul_f32_e32 v127, v10, v11
	v_mul_f32_e32 v11, v9, v11
	s_waitcnt vmcnt(0)
	v_fma_f32 v9, v9, v12, -v127
	v_fmac_f32_e32 v11, v10, v12
	v_add_f32_e32 v8, v8, v9
	v_add_f32_e32 v2, v2, v11
	s_andn2_b32 exec_lo, exec_lo, s5
	s_cbranch_execnz .LBB56_181
; %bb.182:
	s_or_b32 exec_lo, exec_lo, s5
	v_mov_b32_e32 v5, 0
	ds_read_b64 v[5:6], v5 offset:336
	s_waitcnt lgkmcnt(0)
	v_mul_f32_e32 v7, v2, v6
	v_mul_f32_e32 v6, v8, v6
	v_fma_f32 v7, v8, v5, -v7
	v_fmac_f32_e32 v6, v2, v5
	buffer_store_dword v7, off, s[0:3], 0 offset:336
	buffer_store_dword v6, off, s[0:3], 0 offset:340
.LBB56_183:
	s_or_b32 exec_lo, exec_lo, s4
	s_waitcnt_vscnt null, 0x0
	s_barrier
	buffer_gl0_inv
	s_clause 0x1
	buffer_load_dword v5, off, s[0:3], 0 offset:344
	buffer_load_dword v6, off, s[0:3], 0 offset:348
	s_mov_b32 s4, exec_lo
	s_waitcnt vmcnt(0)
	ds_write_b64 v4, v[5:6]
	s_waitcnt lgkmcnt(0)
	s_barrier
	buffer_gl0_inv
	v_cmpx_gt_u32_e32 43, v0
	s_cbranch_execz .LBB56_187
; %bb.184:
	v_add_nc_u32_e32 v5, -1, v0
	v_add_nc_u32_e32 v6, 0x1d0, v3
	v_mov_b32_e32 v7, v3
	v_mov_b32_e32 v2, 0
	;; [unrolled: 1-line block ×3, first 2 shown]
	s_mov_b32 s5, 0
	.p2align	6
.LBB56_185:                             ; =>This Inner Loop Header: Depth=1
	s_clause 0x1
	buffer_load_dword v11, v7, s[0:3], 0 offen offset:4
	buffer_load_dword v12, v7, s[0:3], 0 offen
	ds_read_b64 v[9:10], v6
	v_add_nc_u32_e32 v5, 1, v5
	v_add_nc_u32_e32 v6, 8, v6
	;; [unrolled: 1-line block ×3, first 2 shown]
	v_cmp_lt_u32_e32 vcc_lo, 41, v5
	s_or_b32 s5, vcc_lo, s5
	s_waitcnt vmcnt(1) lgkmcnt(0)
	v_mul_f32_e32 v127, v10, v11
	v_mul_f32_e32 v11, v9, v11
	s_waitcnt vmcnt(0)
	v_fma_f32 v9, v9, v12, -v127
	v_fmac_f32_e32 v11, v10, v12
	v_add_f32_e32 v8, v8, v9
	v_add_f32_e32 v2, v2, v11
	s_andn2_b32 exec_lo, exec_lo, s5
	s_cbranch_execnz .LBB56_185
; %bb.186:
	s_or_b32 exec_lo, exec_lo, s5
	v_mov_b32_e32 v5, 0
	ds_read_b64 v[5:6], v5 offset:344
	s_waitcnt lgkmcnt(0)
	v_mul_f32_e32 v7, v2, v6
	v_mul_f32_e32 v6, v8, v6
	v_fma_f32 v7, v8, v5, -v7
	v_fmac_f32_e32 v6, v2, v5
	buffer_store_dword v7, off, s[0:3], 0 offset:344
	buffer_store_dword v6, off, s[0:3], 0 offset:348
.LBB56_187:
	s_or_b32 exec_lo, exec_lo, s4
	s_waitcnt_vscnt null, 0x0
	s_barrier
	buffer_gl0_inv
	s_clause 0x1
	buffer_load_dword v5, off, s[0:3], 0 offset:352
	buffer_load_dword v6, off, s[0:3], 0 offset:356
	s_mov_b32 s4, exec_lo
	s_waitcnt vmcnt(0)
	ds_write_b64 v4, v[5:6]
	s_waitcnt lgkmcnt(0)
	s_barrier
	buffer_gl0_inv
	v_cmpx_gt_u32_e32 44, v0
	s_cbranch_execz .LBB56_191
; %bb.188:
	v_add_nc_u32_e32 v5, -1, v0
	v_add_nc_u32_e32 v6, 0x1d0, v3
	v_mov_b32_e32 v7, v3
	v_mov_b32_e32 v2, 0
	;; [unrolled: 1-line block ×3, first 2 shown]
	s_mov_b32 s5, 0
	.p2align	6
.LBB56_189:                             ; =>This Inner Loop Header: Depth=1
	s_clause 0x1
	buffer_load_dword v11, v7, s[0:3], 0 offen offset:4
	buffer_load_dword v12, v7, s[0:3], 0 offen
	ds_read_b64 v[9:10], v6
	v_add_nc_u32_e32 v5, 1, v5
	v_add_nc_u32_e32 v6, 8, v6
	;; [unrolled: 1-line block ×3, first 2 shown]
	v_cmp_lt_u32_e32 vcc_lo, 42, v5
	s_or_b32 s5, vcc_lo, s5
	s_waitcnt vmcnt(1) lgkmcnt(0)
	v_mul_f32_e32 v127, v10, v11
	v_mul_f32_e32 v11, v9, v11
	s_waitcnt vmcnt(0)
	v_fma_f32 v9, v9, v12, -v127
	v_fmac_f32_e32 v11, v10, v12
	v_add_f32_e32 v8, v8, v9
	v_add_f32_e32 v2, v2, v11
	s_andn2_b32 exec_lo, exec_lo, s5
	s_cbranch_execnz .LBB56_189
; %bb.190:
	s_or_b32 exec_lo, exec_lo, s5
	v_mov_b32_e32 v5, 0
	ds_read_b64 v[5:6], v5 offset:352
	s_waitcnt lgkmcnt(0)
	v_mul_f32_e32 v7, v2, v6
	v_mul_f32_e32 v6, v8, v6
	v_fma_f32 v7, v8, v5, -v7
	v_fmac_f32_e32 v6, v2, v5
	buffer_store_dword v7, off, s[0:3], 0 offset:352
	buffer_store_dword v6, off, s[0:3], 0 offset:356
.LBB56_191:
	s_or_b32 exec_lo, exec_lo, s4
	s_waitcnt_vscnt null, 0x0
	s_barrier
	buffer_gl0_inv
	s_clause 0x1
	buffer_load_dword v5, off, s[0:3], 0 offset:360
	buffer_load_dword v6, off, s[0:3], 0 offset:364
	s_mov_b32 s4, exec_lo
	s_waitcnt vmcnt(0)
	ds_write_b64 v4, v[5:6]
	s_waitcnt lgkmcnt(0)
	s_barrier
	buffer_gl0_inv
	v_cmpx_gt_u32_e32 45, v0
	s_cbranch_execz .LBB56_195
; %bb.192:
	v_add_nc_u32_e32 v5, -1, v0
	v_add_nc_u32_e32 v6, 0x1d0, v3
	v_mov_b32_e32 v7, v3
	v_mov_b32_e32 v2, 0
	;; [unrolled: 1-line block ×3, first 2 shown]
	s_mov_b32 s5, 0
	.p2align	6
.LBB56_193:                             ; =>This Inner Loop Header: Depth=1
	s_clause 0x1
	buffer_load_dword v11, v7, s[0:3], 0 offen offset:4
	buffer_load_dword v12, v7, s[0:3], 0 offen
	ds_read_b64 v[9:10], v6
	v_add_nc_u32_e32 v5, 1, v5
	v_add_nc_u32_e32 v6, 8, v6
	;; [unrolled: 1-line block ×3, first 2 shown]
	v_cmp_lt_u32_e32 vcc_lo, 43, v5
	s_or_b32 s5, vcc_lo, s5
	s_waitcnt vmcnt(1) lgkmcnt(0)
	v_mul_f32_e32 v127, v10, v11
	v_mul_f32_e32 v11, v9, v11
	s_waitcnt vmcnt(0)
	v_fma_f32 v9, v9, v12, -v127
	v_fmac_f32_e32 v11, v10, v12
	v_add_f32_e32 v8, v8, v9
	v_add_f32_e32 v2, v2, v11
	s_andn2_b32 exec_lo, exec_lo, s5
	s_cbranch_execnz .LBB56_193
; %bb.194:
	s_or_b32 exec_lo, exec_lo, s5
	v_mov_b32_e32 v5, 0
	ds_read_b64 v[5:6], v5 offset:360
	s_waitcnt lgkmcnt(0)
	v_mul_f32_e32 v7, v2, v6
	v_mul_f32_e32 v6, v8, v6
	v_fma_f32 v7, v8, v5, -v7
	v_fmac_f32_e32 v6, v2, v5
	buffer_store_dword v7, off, s[0:3], 0 offset:360
	buffer_store_dword v6, off, s[0:3], 0 offset:364
.LBB56_195:
	s_or_b32 exec_lo, exec_lo, s4
	s_waitcnt_vscnt null, 0x0
	s_barrier
	buffer_gl0_inv
	s_clause 0x1
	buffer_load_dword v5, off, s[0:3], 0 offset:368
	buffer_load_dword v6, off, s[0:3], 0 offset:372
	s_mov_b32 s4, exec_lo
	s_waitcnt vmcnt(0)
	ds_write_b64 v4, v[5:6]
	s_waitcnt lgkmcnt(0)
	s_barrier
	buffer_gl0_inv
	v_cmpx_gt_u32_e32 46, v0
	s_cbranch_execz .LBB56_199
; %bb.196:
	v_add_nc_u32_e32 v5, -1, v0
	v_add_nc_u32_e32 v6, 0x1d0, v3
	v_mov_b32_e32 v7, v3
	v_mov_b32_e32 v2, 0
	;; [unrolled: 1-line block ×3, first 2 shown]
	s_mov_b32 s5, 0
	.p2align	6
.LBB56_197:                             ; =>This Inner Loop Header: Depth=1
	s_clause 0x1
	buffer_load_dword v11, v7, s[0:3], 0 offen offset:4
	buffer_load_dword v12, v7, s[0:3], 0 offen
	ds_read_b64 v[9:10], v6
	v_add_nc_u32_e32 v5, 1, v5
	v_add_nc_u32_e32 v6, 8, v6
	;; [unrolled: 1-line block ×3, first 2 shown]
	v_cmp_lt_u32_e32 vcc_lo, 44, v5
	s_or_b32 s5, vcc_lo, s5
	s_waitcnt vmcnt(1) lgkmcnt(0)
	v_mul_f32_e32 v127, v10, v11
	v_mul_f32_e32 v11, v9, v11
	s_waitcnt vmcnt(0)
	v_fma_f32 v9, v9, v12, -v127
	v_fmac_f32_e32 v11, v10, v12
	v_add_f32_e32 v8, v8, v9
	v_add_f32_e32 v2, v2, v11
	s_andn2_b32 exec_lo, exec_lo, s5
	s_cbranch_execnz .LBB56_197
; %bb.198:
	s_or_b32 exec_lo, exec_lo, s5
	v_mov_b32_e32 v5, 0
	ds_read_b64 v[5:6], v5 offset:368
	s_waitcnt lgkmcnt(0)
	v_mul_f32_e32 v7, v2, v6
	v_mul_f32_e32 v6, v8, v6
	v_fma_f32 v7, v8, v5, -v7
	v_fmac_f32_e32 v6, v2, v5
	buffer_store_dword v7, off, s[0:3], 0 offset:368
	buffer_store_dword v6, off, s[0:3], 0 offset:372
.LBB56_199:
	s_or_b32 exec_lo, exec_lo, s4
	s_waitcnt_vscnt null, 0x0
	s_barrier
	buffer_gl0_inv
	s_clause 0x1
	buffer_load_dword v5, off, s[0:3], 0 offset:376
	buffer_load_dword v6, off, s[0:3], 0 offset:380
	s_mov_b32 s4, exec_lo
	s_waitcnt vmcnt(0)
	ds_write_b64 v4, v[5:6]
	s_waitcnt lgkmcnt(0)
	s_barrier
	buffer_gl0_inv
	v_cmpx_gt_u32_e32 47, v0
	s_cbranch_execz .LBB56_203
; %bb.200:
	v_add_nc_u32_e32 v5, -1, v0
	v_add_nc_u32_e32 v6, 0x1d0, v3
	v_mov_b32_e32 v7, v3
	v_mov_b32_e32 v2, 0
	v_mov_b32_e32 v8, 0
	s_mov_b32 s5, 0
	.p2align	6
.LBB56_201:                             ; =>This Inner Loop Header: Depth=1
	s_clause 0x1
	buffer_load_dword v11, v7, s[0:3], 0 offen offset:4
	buffer_load_dword v12, v7, s[0:3], 0 offen
	ds_read_b64 v[9:10], v6
	v_add_nc_u32_e32 v5, 1, v5
	v_add_nc_u32_e32 v6, 8, v6
	;; [unrolled: 1-line block ×3, first 2 shown]
	v_cmp_lt_u32_e32 vcc_lo, 45, v5
	s_or_b32 s5, vcc_lo, s5
	s_waitcnt vmcnt(1) lgkmcnt(0)
	v_mul_f32_e32 v127, v10, v11
	v_mul_f32_e32 v11, v9, v11
	s_waitcnt vmcnt(0)
	v_fma_f32 v9, v9, v12, -v127
	v_fmac_f32_e32 v11, v10, v12
	v_add_f32_e32 v8, v8, v9
	v_add_f32_e32 v2, v2, v11
	s_andn2_b32 exec_lo, exec_lo, s5
	s_cbranch_execnz .LBB56_201
; %bb.202:
	s_or_b32 exec_lo, exec_lo, s5
	v_mov_b32_e32 v5, 0
	ds_read_b64 v[5:6], v5 offset:376
	s_waitcnt lgkmcnt(0)
	v_mul_f32_e32 v7, v2, v6
	v_mul_f32_e32 v6, v8, v6
	v_fma_f32 v7, v8, v5, -v7
	v_fmac_f32_e32 v6, v2, v5
	buffer_store_dword v7, off, s[0:3], 0 offset:376
	buffer_store_dword v6, off, s[0:3], 0 offset:380
.LBB56_203:
	s_or_b32 exec_lo, exec_lo, s4
	s_waitcnt_vscnt null, 0x0
	s_barrier
	buffer_gl0_inv
	s_clause 0x1
	buffer_load_dword v5, off, s[0:3], 0 offset:384
	buffer_load_dword v6, off, s[0:3], 0 offset:388
	s_mov_b32 s4, exec_lo
	s_waitcnt vmcnt(0)
	ds_write_b64 v4, v[5:6]
	s_waitcnt lgkmcnt(0)
	s_barrier
	buffer_gl0_inv
	v_cmpx_gt_u32_e32 48, v0
	s_cbranch_execz .LBB56_207
; %bb.204:
	v_add_nc_u32_e32 v5, -1, v0
	v_add_nc_u32_e32 v6, 0x1d0, v3
	v_mov_b32_e32 v7, v3
	v_mov_b32_e32 v2, 0
	;; [unrolled: 1-line block ×3, first 2 shown]
	s_mov_b32 s5, 0
	.p2align	6
.LBB56_205:                             ; =>This Inner Loop Header: Depth=1
	s_clause 0x1
	buffer_load_dword v11, v7, s[0:3], 0 offen offset:4
	buffer_load_dword v12, v7, s[0:3], 0 offen
	ds_read_b64 v[9:10], v6
	v_add_nc_u32_e32 v5, 1, v5
	v_add_nc_u32_e32 v6, 8, v6
	;; [unrolled: 1-line block ×3, first 2 shown]
	v_cmp_lt_u32_e32 vcc_lo, 46, v5
	s_or_b32 s5, vcc_lo, s5
	s_waitcnt vmcnt(1) lgkmcnt(0)
	v_mul_f32_e32 v127, v10, v11
	v_mul_f32_e32 v11, v9, v11
	s_waitcnt vmcnt(0)
	v_fma_f32 v9, v9, v12, -v127
	v_fmac_f32_e32 v11, v10, v12
	v_add_f32_e32 v8, v8, v9
	v_add_f32_e32 v2, v2, v11
	s_andn2_b32 exec_lo, exec_lo, s5
	s_cbranch_execnz .LBB56_205
; %bb.206:
	s_or_b32 exec_lo, exec_lo, s5
	v_mov_b32_e32 v5, 0
	ds_read_b64 v[5:6], v5 offset:384
	s_waitcnt lgkmcnt(0)
	v_mul_f32_e32 v7, v2, v6
	v_mul_f32_e32 v6, v8, v6
	v_fma_f32 v7, v8, v5, -v7
	v_fmac_f32_e32 v6, v2, v5
	buffer_store_dword v7, off, s[0:3], 0 offset:384
	buffer_store_dword v6, off, s[0:3], 0 offset:388
.LBB56_207:
	s_or_b32 exec_lo, exec_lo, s4
	s_waitcnt_vscnt null, 0x0
	s_barrier
	buffer_gl0_inv
	s_clause 0x1
	buffer_load_dword v5, off, s[0:3], 0 offset:392
	buffer_load_dword v6, off, s[0:3], 0 offset:396
	s_mov_b32 s4, exec_lo
	s_waitcnt vmcnt(0)
	ds_write_b64 v4, v[5:6]
	s_waitcnt lgkmcnt(0)
	s_barrier
	buffer_gl0_inv
	v_cmpx_gt_u32_e32 49, v0
	s_cbranch_execz .LBB56_211
; %bb.208:
	v_add_nc_u32_e32 v5, -1, v0
	v_add_nc_u32_e32 v6, 0x1d0, v3
	v_mov_b32_e32 v7, v3
	v_mov_b32_e32 v2, 0
	;; [unrolled: 1-line block ×3, first 2 shown]
	s_mov_b32 s5, 0
	.p2align	6
.LBB56_209:                             ; =>This Inner Loop Header: Depth=1
	s_clause 0x1
	buffer_load_dword v11, v7, s[0:3], 0 offen offset:4
	buffer_load_dword v12, v7, s[0:3], 0 offen
	ds_read_b64 v[9:10], v6
	v_add_nc_u32_e32 v5, 1, v5
	v_add_nc_u32_e32 v6, 8, v6
	;; [unrolled: 1-line block ×3, first 2 shown]
	v_cmp_lt_u32_e32 vcc_lo, 47, v5
	s_or_b32 s5, vcc_lo, s5
	s_waitcnt vmcnt(1) lgkmcnt(0)
	v_mul_f32_e32 v127, v10, v11
	v_mul_f32_e32 v11, v9, v11
	s_waitcnt vmcnt(0)
	v_fma_f32 v9, v9, v12, -v127
	v_fmac_f32_e32 v11, v10, v12
	v_add_f32_e32 v8, v8, v9
	v_add_f32_e32 v2, v2, v11
	s_andn2_b32 exec_lo, exec_lo, s5
	s_cbranch_execnz .LBB56_209
; %bb.210:
	s_or_b32 exec_lo, exec_lo, s5
	v_mov_b32_e32 v5, 0
	ds_read_b64 v[5:6], v5 offset:392
	s_waitcnt lgkmcnt(0)
	v_mul_f32_e32 v7, v2, v6
	v_mul_f32_e32 v6, v8, v6
	v_fma_f32 v7, v8, v5, -v7
	v_fmac_f32_e32 v6, v2, v5
	buffer_store_dword v7, off, s[0:3], 0 offset:392
	buffer_store_dword v6, off, s[0:3], 0 offset:396
.LBB56_211:
	s_or_b32 exec_lo, exec_lo, s4
	s_waitcnt_vscnt null, 0x0
	s_barrier
	buffer_gl0_inv
	s_clause 0x1
	buffer_load_dword v5, off, s[0:3], 0 offset:400
	buffer_load_dword v6, off, s[0:3], 0 offset:404
	s_mov_b32 s4, exec_lo
	s_waitcnt vmcnt(0)
	ds_write_b64 v4, v[5:6]
	s_waitcnt lgkmcnt(0)
	s_barrier
	buffer_gl0_inv
	v_cmpx_gt_u32_e32 50, v0
	s_cbranch_execz .LBB56_215
; %bb.212:
	v_add_nc_u32_e32 v5, -1, v0
	v_add_nc_u32_e32 v6, 0x1d0, v3
	v_mov_b32_e32 v7, v3
	v_mov_b32_e32 v2, 0
	;; [unrolled: 1-line block ×3, first 2 shown]
	s_mov_b32 s5, 0
	.p2align	6
.LBB56_213:                             ; =>This Inner Loop Header: Depth=1
	s_clause 0x1
	buffer_load_dword v11, v7, s[0:3], 0 offen offset:4
	buffer_load_dword v12, v7, s[0:3], 0 offen
	ds_read_b64 v[9:10], v6
	v_add_nc_u32_e32 v5, 1, v5
	v_add_nc_u32_e32 v6, 8, v6
	;; [unrolled: 1-line block ×3, first 2 shown]
	v_cmp_lt_u32_e32 vcc_lo, 48, v5
	s_or_b32 s5, vcc_lo, s5
	s_waitcnt vmcnt(1) lgkmcnt(0)
	v_mul_f32_e32 v127, v10, v11
	v_mul_f32_e32 v11, v9, v11
	s_waitcnt vmcnt(0)
	v_fma_f32 v9, v9, v12, -v127
	v_fmac_f32_e32 v11, v10, v12
	v_add_f32_e32 v8, v8, v9
	v_add_f32_e32 v2, v2, v11
	s_andn2_b32 exec_lo, exec_lo, s5
	s_cbranch_execnz .LBB56_213
; %bb.214:
	s_or_b32 exec_lo, exec_lo, s5
	v_mov_b32_e32 v5, 0
	ds_read_b64 v[5:6], v5 offset:400
	s_waitcnt lgkmcnt(0)
	v_mul_f32_e32 v7, v2, v6
	v_mul_f32_e32 v6, v8, v6
	v_fma_f32 v7, v8, v5, -v7
	v_fmac_f32_e32 v6, v2, v5
	buffer_store_dword v7, off, s[0:3], 0 offset:400
	buffer_store_dword v6, off, s[0:3], 0 offset:404
.LBB56_215:
	s_or_b32 exec_lo, exec_lo, s4
	s_waitcnt_vscnt null, 0x0
	s_barrier
	buffer_gl0_inv
	s_clause 0x1
	buffer_load_dword v5, off, s[0:3], 0 offset:408
	buffer_load_dword v6, off, s[0:3], 0 offset:412
	s_mov_b32 s4, exec_lo
	s_waitcnt vmcnt(0)
	ds_write_b64 v4, v[5:6]
	s_waitcnt lgkmcnt(0)
	s_barrier
	buffer_gl0_inv
	v_cmpx_gt_u32_e32 51, v0
	s_cbranch_execz .LBB56_219
; %bb.216:
	v_add_nc_u32_e32 v5, -1, v0
	v_add_nc_u32_e32 v6, 0x1d0, v3
	v_mov_b32_e32 v7, v3
	v_mov_b32_e32 v2, 0
	;; [unrolled: 1-line block ×3, first 2 shown]
	s_mov_b32 s5, 0
	.p2align	6
.LBB56_217:                             ; =>This Inner Loop Header: Depth=1
	s_clause 0x1
	buffer_load_dword v11, v7, s[0:3], 0 offen offset:4
	buffer_load_dword v12, v7, s[0:3], 0 offen
	ds_read_b64 v[9:10], v6
	v_add_nc_u32_e32 v5, 1, v5
	v_add_nc_u32_e32 v6, 8, v6
	;; [unrolled: 1-line block ×3, first 2 shown]
	v_cmp_lt_u32_e32 vcc_lo, 49, v5
	s_or_b32 s5, vcc_lo, s5
	s_waitcnt vmcnt(1) lgkmcnt(0)
	v_mul_f32_e32 v127, v10, v11
	v_mul_f32_e32 v11, v9, v11
	s_waitcnt vmcnt(0)
	v_fma_f32 v9, v9, v12, -v127
	v_fmac_f32_e32 v11, v10, v12
	v_add_f32_e32 v8, v8, v9
	v_add_f32_e32 v2, v2, v11
	s_andn2_b32 exec_lo, exec_lo, s5
	s_cbranch_execnz .LBB56_217
; %bb.218:
	s_or_b32 exec_lo, exec_lo, s5
	v_mov_b32_e32 v5, 0
	ds_read_b64 v[5:6], v5 offset:408
	s_waitcnt lgkmcnt(0)
	v_mul_f32_e32 v7, v2, v6
	v_mul_f32_e32 v6, v8, v6
	v_fma_f32 v7, v8, v5, -v7
	v_fmac_f32_e32 v6, v2, v5
	buffer_store_dword v7, off, s[0:3], 0 offset:408
	buffer_store_dword v6, off, s[0:3], 0 offset:412
.LBB56_219:
	s_or_b32 exec_lo, exec_lo, s4
	s_waitcnt_vscnt null, 0x0
	s_barrier
	buffer_gl0_inv
	s_clause 0x1
	buffer_load_dword v5, off, s[0:3], 0 offset:416
	buffer_load_dword v6, off, s[0:3], 0 offset:420
	s_mov_b32 s4, exec_lo
	s_waitcnt vmcnt(0)
	ds_write_b64 v4, v[5:6]
	s_waitcnt lgkmcnt(0)
	s_barrier
	buffer_gl0_inv
	v_cmpx_gt_u32_e32 52, v0
	s_cbranch_execz .LBB56_223
; %bb.220:
	v_add_nc_u32_e32 v5, -1, v0
	v_add_nc_u32_e32 v6, 0x1d0, v3
	v_mov_b32_e32 v7, v3
	v_mov_b32_e32 v2, 0
	;; [unrolled: 1-line block ×3, first 2 shown]
	s_mov_b32 s5, 0
	.p2align	6
.LBB56_221:                             ; =>This Inner Loop Header: Depth=1
	s_clause 0x1
	buffer_load_dword v11, v7, s[0:3], 0 offen offset:4
	buffer_load_dword v12, v7, s[0:3], 0 offen
	ds_read_b64 v[9:10], v6
	v_add_nc_u32_e32 v5, 1, v5
	v_add_nc_u32_e32 v6, 8, v6
	;; [unrolled: 1-line block ×3, first 2 shown]
	v_cmp_lt_u32_e32 vcc_lo, 50, v5
	s_or_b32 s5, vcc_lo, s5
	s_waitcnt vmcnt(1) lgkmcnt(0)
	v_mul_f32_e32 v127, v10, v11
	v_mul_f32_e32 v11, v9, v11
	s_waitcnt vmcnt(0)
	v_fma_f32 v9, v9, v12, -v127
	v_fmac_f32_e32 v11, v10, v12
	v_add_f32_e32 v8, v8, v9
	v_add_f32_e32 v2, v2, v11
	s_andn2_b32 exec_lo, exec_lo, s5
	s_cbranch_execnz .LBB56_221
; %bb.222:
	s_or_b32 exec_lo, exec_lo, s5
	v_mov_b32_e32 v5, 0
	ds_read_b64 v[5:6], v5 offset:416
	s_waitcnt lgkmcnt(0)
	v_mul_f32_e32 v7, v2, v6
	v_mul_f32_e32 v6, v8, v6
	v_fma_f32 v7, v8, v5, -v7
	v_fmac_f32_e32 v6, v2, v5
	buffer_store_dword v7, off, s[0:3], 0 offset:416
	buffer_store_dword v6, off, s[0:3], 0 offset:420
.LBB56_223:
	s_or_b32 exec_lo, exec_lo, s4
	s_waitcnt_vscnt null, 0x0
	s_barrier
	buffer_gl0_inv
	s_clause 0x1
	buffer_load_dword v5, off, s[0:3], 0 offset:424
	buffer_load_dword v6, off, s[0:3], 0 offset:428
	s_mov_b32 s4, exec_lo
	s_waitcnt vmcnt(0)
	ds_write_b64 v4, v[5:6]
	s_waitcnt lgkmcnt(0)
	s_barrier
	buffer_gl0_inv
	v_cmpx_gt_u32_e32 53, v0
	s_cbranch_execz .LBB56_227
; %bb.224:
	v_add_nc_u32_e32 v5, -1, v0
	v_add_nc_u32_e32 v6, 0x1d0, v3
	v_mov_b32_e32 v7, v3
	v_mov_b32_e32 v2, 0
	;; [unrolled: 1-line block ×3, first 2 shown]
	s_mov_b32 s5, 0
	.p2align	6
.LBB56_225:                             ; =>This Inner Loop Header: Depth=1
	s_clause 0x1
	buffer_load_dword v11, v7, s[0:3], 0 offen offset:4
	buffer_load_dword v12, v7, s[0:3], 0 offen
	ds_read_b64 v[9:10], v6
	v_add_nc_u32_e32 v5, 1, v5
	v_add_nc_u32_e32 v6, 8, v6
	;; [unrolled: 1-line block ×3, first 2 shown]
	v_cmp_lt_u32_e32 vcc_lo, 51, v5
	s_or_b32 s5, vcc_lo, s5
	s_waitcnt vmcnt(1) lgkmcnt(0)
	v_mul_f32_e32 v127, v10, v11
	v_mul_f32_e32 v11, v9, v11
	s_waitcnt vmcnt(0)
	v_fma_f32 v9, v9, v12, -v127
	v_fmac_f32_e32 v11, v10, v12
	v_add_f32_e32 v8, v8, v9
	v_add_f32_e32 v2, v2, v11
	s_andn2_b32 exec_lo, exec_lo, s5
	s_cbranch_execnz .LBB56_225
; %bb.226:
	s_or_b32 exec_lo, exec_lo, s5
	v_mov_b32_e32 v5, 0
	ds_read_b64 v[5:6], v5 offset:424
	s_waitcnt lgkmcnt(0)
	v_mul_f32_e32 v7, v2, v6
	v_mul_f32_e32 v6, v8, v6
	v_fma_f32 v7, v8, v5, -v7
	v_fmac_f32_e32 v6, v2, v5
	buffer_store_dword v7, off, s[0:3], 0 offset:424
	buffer_store_dword v6, off, s[0:3], 0 offset:428
.LBB56_227:
	s_or_b32 exec_lo, exec_lo, s4
	s_waitcnt_vscnt null, 0x0
	s_barrier
	buffer_gl0_inv
	s_clause 0x1
	buffer_load_dword v5, off, s[0:3], 0 offset:432
	buffer_load_dword v6, off, s[0:3], 0 offset:436
	s_mov_b32 s4, exec_lo
	s_waitcnt vmcnt(0)
	ds_write_b64 v4, v[5:6]
	s_waitcnt lgkmcnt(0)
	s_barrier
	buffer_gl0_inv
	v_cmpx_gt_u32_e32 54, v0
	s_cbranch_execz .LBB56_231
; %bb.228:
	v_add_nc_u32_e32 v5, -1, v0
	v_add_nc_u32_e32 v6, 0x1d0, v3
	v_mov_b32_e32 v7, v3
	v_mov_b32_e32 v2, 0
	;; [unrolled: 1-line block ×3, first 2 shown]
	s_mov_b32 s5, 0
	.p2align	6
.LBB56_229:                             ; =>This Inner Loop Header: Depth=1
	s_clause 0x1
	buffer_load_dword v11, v7, s[0:3], 0 offen offset:4
	buffer_load_dword v12, v7, s[0:3], 0 offen
	ds_read_b64 v[9:10], v6
	v_add_nc_u32_e32 v5, 1, v5
	v_add_nc_u32_e32 v6, 8, v6
	;; [unrolled: 1-line block ×3, first 2 shown]
	v_cmp_lt_u32_e32 vcc_lo, 52, v5
	s_or_b32 s5, vcc_lo, s5
	s_waitcnt vmcnt(1) lgkmcnt(0)
	v_mul_f32_e32 v127, v10, v11
	v_mul_f32_e32 v11, v9, v11
	s_waitcnt vmcnt(0)
	v_fma_f32 v9, v9, v12, -v127
	v_fmac_f32_e32 v11, v10, v12
	v_add_f32_e32 v8, v8, v9
	v_add_f32_e32 v2, v2, v11
	s_andn2_b32 exec_lo, exec_lo, s5
	s_cbranch_execnz .LBB56_229
; %bb.230:
	s_or_b32 exec_lo, exec_lo, s5
	v_mov_b32_e32 v5, 0
	ds_read_b64 v[5:6], v5 offset:432
	s_waitcnt lgkmcnt(0)
	v_mul_f32_e32 v7, v2, v6
	v_mul_f32_e32 v6, v8, v6
	v_fma_f32 v7, v8, v5, -v7
	v_fmac_f32_e32 v6, v2, v5
	buffer_store_dword v7, off, s[0:3], 0 offset:432
	buffer_store_dword v6, off, s[0:3], 0 offset:436
.LBB56_231:
	s_or_b32 exec_lo, exec_lo, s4
	s_waitcnt_vscnt null, 0x0
	s_barrier
	buffer_gl0_inv
	s_clause 0x1
	buffer_load_dword v5, off, s[0:3], 0 offset:440
	buffer_load_dword v6, off, s[0:3], 0 offset:444
	s_mov_b32 s4, exec_lo
	s_waitcnt vmcnt(0)
	ds_write_b64 v4, v[5:6]
	s_waitcnt lgkmcnt(0)
	s_barrier
	buffer_gl0_inv
	v_cmpx_gt_u32_e32 55, v0
	s_cbranch_execz .LBB56_235
; %bb.232:
	v_add_nc_u32_e32 v5, -1, v0
	v_add_nc_u32_e32 v6, 0x1d0, v3
	v_mov_b32_e32 v7, v3
	v_mov_b32_e32 v2, 0
	v_mov_b32_e32 v8, 0
	s_mov_b32 s5, 0
	.p2align	6
.LBB56_233:                             ; =>This Inner Loop Header: Depth=1
	s_clause 0x1
	buffer_load_dword v11, v7, s[0:3], 0 offen offset:4
	buffer_load_dword v12, v7, s[0:3], 0 offen
	ds_read_b64 v[9:10], v6
	v_add_nc_u32_e32 v5, 1, v5
	v_add_nc_u32_e32 v6, 8, v6
	;; [unrolled: 1-line block ×3, first 2 shown]
	v_cmp_lt_u32_e32 vcc_lo, 53, v5
	s_or_b32 s5, vcc_lo, s5
	s_waitcnt vmcnt(1) lgkmcnt(0)
	v_mul_f32_e32 v127, v10, v11
	v_mul_f32_e32 v11, v9, v11
	s_waitcnt vmcnt(0)
	v_fma_f32 v9, v9, v12, -v127
	v_fmac_f32_e32 v11, v10, v12
	v_add_f32_e32 v8, v8, v9
	v_add_f32_e32 v2, v2, v11
	s_andn2_b32 exec_lo, exec_lo, s5
	s_cbranch_execnz .LBB56_233
; %bb.234:
	s_or_b32 exec_lo, exec_lo, s5
	v_mov_b32_e32 v5, 0
	ds_read_b64 v[5:6], v5 offset:440
	s_waitcnt lgkmcnt(0)
	v_mul_f32_e32 v7, v2, v6
	v_mul_f32_e32 v6, v8, v6
	v_fma_f32 v7, v8, v5, -v7
	v_fmac_f32_e32 v6, v2, v5
	buffer_store_dword v7, off, s[0:3], 0 offset:440
	buffer_store_dword v6, off, s[0:3], 0 offset:444
.LBB56_235:
	s_or_b32 exec_lo, exec_lo, s4
	s_waitcnt_vscnt null, 0x0
	s_barrier
	buffer_gl0_inv
	s_clause 0x1
	buffer_load_dword v5, off, s[0:3], 0 offset:448
	buffer_load_dword v6, off, s[0:3], 0 offset:452
	s_mov_b32 s4, exec_lo
	s_waitcnt vmcnt(0)
	ds_write_b64 v4, v[5:6]
	s_waitcnt lgkmcnt(0)
	s_barrier
	buffer_gl0_inv
	v_cmpx_ne_u32_e32 56, v0
	s_cbranch_execz .LBB56_239
; %bb.236:
	v_mov_b32_e32 v2, 0
	v_mov_b32_e32 v5, 0
	s_mov_b32 s5, 0
	.p2align	6
.LBB56_237:                             ; =>This Inner Loop Header: Depth=1
	s_clause 0x1
	buffer_load_dword v8, v3, s[0:3], 0 offen offset:4
	buffer_load_dword v9, v3, s[0:3], 0 offen
	ds_read_b64 v[6:7], v4
	v_add_nc_u32_e32 v1, 1, v1
	v_add_nc_u32_e32 v4, 8, v4
	;; [unrolled: 1-line block ×3, first 2 shown]
	v_cmp_lt_u32_e32 vcc_lo, 54, v1
	s_or_b32 s5, vcc_lo, s5
	s_waitcnt vmcnt(1) lgkmcnt(0)
	v_mul_f32_e32 v10, v7, v8
	v_mul_f32_e32 v8, v6, v8
	s_waitcnt vmcnt(0)
	v_fma_f32 v6, v6, v9, -v10
	v_fmac_f32_e32 v8, v7, v9
	v_add_f32_e32 v5, v5, v6
	v_add_f32_e32 v2, v2, v8
	s_andn2_b32 exec_lo, exec_lo, s5
	s_cbranch_execnz .LBB56_237
; %bb.238:
	s_or_b32 exec_lo, exec_lo, s5
	v_mov_b32_e32 v1, 0
	ds_read_b64 v[3:4], v1 offset:448
	s_waitcnt lgkmcnt(0)
	v_mul_f32_e32 v1, v2, v4
	v_mul_f32_e32 v4, v5, v4
	v_fma_f32 v1, v5, v3, -v1
	v_fmac_f32_e32 v4, v2, v3
	buffer_store_dword v1, off, s[0:3], 0 offset:448
	buffer_store_dword v4, off, s[0:3], 0 offset:452
.LBB56_239:
	s_or_b32 exec_lo, exec_lo, s4
	s_mov_b32 s5, -1
	s_waitcnt_vscnt null, 0x0
	s_barrier
	buffer_gl0_inv
.LBB56_240:
	s_and_b32 vcc_lo, exec_lo, s5
	s_cbranch_vccz .LBB56_242
; %bb.241:
	s_lshl_b64 s[4:5], s[6:7], 2
	v_mov_b32_e32 v1, 0
	s_add_u32 s4, s10, s4
	s_addc_u32 s5, s11, s5
	global_load_dword v1, v1, s[4:5]
	s_waitcnt vmcnt(0)
	v_cmp_ne_u32_e32 vcc_lo, 0, v1
	s_cbranch_vccz .LBB56_243
.LBB56_242:
	s_endpgm
.LBB56_243:
	v_lshl_add_u32 v127, v0, 3, 0x1d0
	s_mov_b32 s4, exec_lo
	v_cmpx_eq_u32_e32 56, v0
	s_cbranch_execz .LBB56_245
; %bb.244:
	s_clause 0x1
	buffer_load_dword v1, off, s[0:3], 0 offset:440
	buffer_load_dword v2, off, s[0:3], 0 offset:444
	v_mov_b32_e32 v3, 0
	buffer_store_dword v3, off, s[0:3], 0 offset:440
	buffer_store_dword v3, off, s[0:3], 0 offset:444
	s_waitcnt vmcnt(0)
	ds_write_b64 v127, v[1:2]
.LBB56_245:
	s_or_b32 exec_lo, exec_lo, s4
	s_waitcnt lgkmcnt(0)
	s_waitcnt_vscnt null, 0x0
	s_barrier
	buffer_gl0_inv
	s_clause 0x3
	buffer_load_dword v4, off, s[0:3], 0 offset:452
	buffer_load_dword v5, off, s[0:3], 0 offset:448
	;; [unrolled: 1-line block ×4, first 2 shown]
	v_mov_b32_e32 v1, 0
	s_mov_b32 s4, exec_lo
	ds_read_b64 v[2:3], v1 offset:912
	s_waitcnt vmcnt(3) lgkmcnt(0)
	v_mul_f32_e32 v8, v3, v4
	v_mul_f32_e32 v4, v2, v4
	s_waitcnt vmcnt(2)
	v_fma_f32 v2, v2, v5, -v8
	v_fmac_f32_e32 v4, v3, v5
	v_add_f32_e32 v2, 0, v2
	v_add_f32_e32 v3, 0, v4
	s_waitcnt vmcnt(1)
	v_sub_f32_e32 v2, v6, v2
	s_waitcnt vmcnt(0)
	v_sub_f32_e32 v3, v7, v3
	buffer_store_dword v2, off, s[0:3], 0 offset:440
	buffer_store_dword v3, off, s[0:3], 0 offset:444
	v_cmpx_lt_u32_e32 54, v0
	s_cbranch_execz .LBB56_247
; %bb.246:
	s_clause 0x1
	buffer_load_dword v2, off, s[0:3], 0 offset:432
	buffer_load_dword v3, off, s[0:3], 0 offset:436
	buffer_store_dword v1, off, s[0:3], 0 offset:432
	buffer_store_dword v1, off, s[0:3], 0 offset:436
	s_waitcnt vmcnt(0)
	ds_write_b64 v127, v[2:3]
.LBB56_247:
	s_or_b32 exec_lo, exec_lo, s4
	s_waitcnt lgkmcnt(0)
	s_waitcnt_vscnt null, 0x0
	s_barrier
	buffer_gl0_inv
	s_clause 0x5
	buffer_load_dword v5, off, s[0:3], 0 offset:444
	buffer_load_dword v6, off, s[0:3], 0 offset:452
	;; [unrolled: 1-line block ×6, first 2 shown]
	ds_read2_b64 v[1:4], v1 offset0:113 offset1:114
	s_mov_b32 s4, exec_lo
	s_waitcnt vmcnt(5) lgkmcnt(0)
	v_mul_f32_e32 v11, v2, v5
	v_mul_f32_e32 v5, v1, v5
	s_waitcnt vmcnt(4)
	v_mul_f32_e32 v12, v3, v6
	v_mul_f32_e32 v6, v4, v6
	s_waitcnt vmcnt(3)
	v_fma_f32 v1, v1, v7, -v11
	v_fmac_f32_e32 v5, v2, v7
	s_waitcnt vmcnt(2)
	v_fmac_f32_e32 v12, v4, v8
	v_fma_f32 v2, v3, v8, -v6
	v_add_f32_e32 v1, 0, v1
	v_add_f32_e32 v3, 0, v5
	;; [unrolled: 1-line block ×4, first 2 shown]
	s_waitcnt vmcnt(1)
	v_sub_f32_e32 v1, v9, v1
	s_waitcnt vmcnt(0)
	v_sub_f32_e32 v2, v10, v2
	buffer_store_dword v1, off, s[0:3], 0 offset:432
	buffer_store_dword v2, off, s[0:3], 0 offset:436
	v_cmpx_lt_u32_e32 53, v0
	s_cbranch_execz .LBB56_249
; %bb.248:
	s_clause 0x1
	buffer_load_dword v1, off, s[0:3], 0 offset:424
	buffer_load_dword v2, off, s[0:3], 0 offset:428
	v_mov_b32_e32 v3, 0
	buffer_store_dword v3, off, s[0:3], 0 offset:424
	buffer_store_dword v3, off, s[0:3], 0 offset:428
	s_waitcnt vmcnt(0)
	ds_write_b64 v127, v[1:2]
.LBB56_249:
	s_or_b32 exec_lo, exec_lo, s4
	s_waitcnt lgkmcnt(0)
	s_waitcnt_vscnt null, 0x0
	s_barrier
	buffer_gl0_inv
	s_clause 0x7
	buffer_load_dword v8, off, s[0:3], 0 offset:436
	buffer_load_dword v9, off, s[0:3], 0 offset:444
	;; [unrolled: 1-line block ×8, first 2 shown]
	v_mov_b32_e32 v1, 0
	ds_read_b128 v[2:5], v1 offset:896
	ds_read_b64 v[6:7], v1 offset:912
	s_mov_b32 s4, exec_lo
	s_waitcnt vmcnt(7) lgkmcnt(1)
	v_mul_f32_e32 v131, v3, v8
	v_mul_f32_e32 v8, v2, v8
	s_waitcnt vmcnt(6)
	v_mul_f32_e32 v132, v4, v9
	v_mul_f32_e32 v9, v5, v9
	s_waitcnt vmcnt(5) lgkmcnt(0)
	v_mul_f32_e32 v133, v6, v10
	s_waitcnt vmcnt(4)
	v_fma_f32 v2, v2, v11, -v131
	v_fmac_f32_e32 v8, v3, v11
	v_mul_f32_e32 v3, v7, v10
	s_waitcnt vmcnt(3)
	v_fma_f32 v4, v4, v12, -v9
	v_fmac_f32_e32 v132, v5, v12
	v_add_f32_e32 v2, 0, v2
	v_add_f32_e32 v5, 0, v8
	s_waitcnt vmcnt(2)
	v_fma_f32 v3, v6, v128, -v3
	v_fmac_f32_e32 v133, v7, v128
	v_add_f32_e32 v2, v2, v4
	v_add_f32_e32 v4, v5, v132
	;; [unrolled: 1-line block ×4, first 2 shown]
	s_waitcnt vmcnt(1)
	v_sub_f32_e32 v2, v129, v2
	s_waitcnt vmcnt(0)
	v_sub_f32_e32 v3, v130, v3
	buffer_store_dword v2, off, s[0:3], 0 offset:424
	buffer_store_dword v3, off, s[0:3], 0 offset:428
	v_cmpx_lt_u32_e32 52, v0
	s_cbranch_execz .LBB56_251
; %bb.250:
	s_clause 0x1
	buffer_load_dword v2, off, s[0:3], 0 offset:416
	buffer_load_dword v3, off, s[0:3], 0 offset:420
	buffer_store_dword v1, off, s[0:3], 0 offset:416
	buffer_store_dword v1, off, s[0:3], 0 offset:420
	s_waitcnt vmcnt(0)
	ds_write_b64 v127, v[2:3]
.LBB56_251:
	s_or_b32 exec_lo, exec_lo, s4
	s_waitcnt lgkmcnt(0)
	s_waitcnt_vscnt null, 0x0
	s_barrier
	buffer_gl0_inv
	s_clause 0x9
	buffer_load_dword v10, off, s[0:3], 0 offset:428
	buffer_load_dword v11, off, s[0:3], 0 offset:436
	;; [unrolled: 1-line block ×10, first 2 shown]
	ds_read2_b64 v[2:5], v1 offset0:111 offset1:112
	ds_read2_b64 v[6:9], v1 offset0:113 offset1:114
	s_mov_b32 s4, exec_lo
	s_waitcnt vmcnt(9) lgkmcnt(1)
	v_mul_f32_e32 v1, v2, v10
	v_mul_f32_e32 v10, v3, v10
	s_waitcnt vmcnt(8)
	v_mul_f32_e32 v135, v4, v11
	v_mul_f32_e32 v11, v5, v11
	s_waitcnt vmcnt(7) lgkmcnt(0)
	v_mul_f32_e32 v136, v6, v12
	s_waitcnt vmcnt(5)
	v_fmac_f32_e32 v1, v3, v129
	v_fma_f32 v2, v2, v129, -v10
	v_mul_f32_e32 v3, v7, v12
	s_waitcnt vmcnt(4)
	v_fma_f32 v4, v4, v130, -v11
	v_fmac_f32_e32 v135, v5, v130
	v_add_f32_e32 v1, 0, v1
	v_add_f32_e32 v2, 0, v2
	v_mul_f32_e32 v5, v9, v128
	s_waitcnt vmcnt(3)
	v_fma_f32 v3, v6, v131, -v3
	v_mul_f32_e32 v137, v8, v128
	v_fmac_f32_e32 v136, v7, v131
	v_add_f32_e32 v2, v2, v4
	v_add_f32_e32 v1, v1, v135
	s_waitcnt vmcnt(2)
	v_fma_f32 v4, v8, v132, -v5
	v_fmac_f32_e32 v137, v9, v132
	v_add_f32_e32 v2, v2, v3
	v_add_f32_e32 v1, v1, v136
	;; [unrolled: 1-line block ×4, first 2 shown]
	s_waitcnt vmcnt(1)
	v_sub_f32_e32 v2, v133, v2
	s_waitcnt vmcnt(0)
	v_sub_f32_e32 v1, v134, v1
	buffer_store_dword v2, off, s[0:3], 0 offset:416
	buffer_store_dword v1, off, s[0:3], 0 offset:420
	v_cmpx_lt_u32_e32 51, v0
	s_cbranch_execz .LBB56_253
; %bb.252:
	s_clause 0x1
	buffer_load_dword v1, off, s[0:3], 0 offset:408
	buffer_load_dword v2, off, s[0:3], 0 offset:412
	v_mov_b32_e32 v3, 0
	buffer_store_dword v3, off, s[0:3], 0 offset:408
	buffer_store_dword v3, off, s[0:3], 0 offset:412
	s_waitcnt vmcnt(0)
	ds_write_b64 v127, v[1:2]
.LBB56_253:
	s_or_b32 exec_lo, exec_lo, s4
	s_waitcnt lgkmcnt(0)
	s_waitcnt_vscnt null, 0x0
	s_barrier
	buffer_gl0_inv
	s_clause 0xb
	buffer_load_dword v12, off, s[0:3], 0 offset:420
	buffer_load_dword v128, off, s[0:3], 0 offset:428
	;; [unrolled: 1-line block ×12, first 2 shown]
	v_mov_b32_e32 v1, 0
	ds_read_b128 v[2:5], v1 offset:880
	ds_read_b128 v[6:9], v1 offset:896
	ds_read_b64 v[10:11], v1 offset:912
	s_mov_b32 s4, exec_lo
	s_waitcnt vmcnt(11) lgkmcnt(2)
	v_mul_f32_e32 v139, v2, v12
	v_mul_f32_e32 v12, v3, v12
	s_waitcnt vmcnt(10)
	v_mul_f32_e32 v140, v4, v128
	v_mul_f32_e32 v128, v5, v128
	s_waitcnt vmcnt(9) lgkmcnt(1)
	v_mul_f32_e32 v141, v6, v129
	s_waitcnt vmcnt(6)
	v_fmac_f32_e32 v139, v3, v132
	v_fma_f32 v2, v2, v132, -v12
	v_mul_f32_e32 v3, v7, v129
	s_waitcnt vmcnt(5)
	v_fma_f32 v4, v4, v133, -v128
	v_fmac_f32_e32 v140, v5, v133
	v_add_f32_e32 v5, 0, v139
	v_add_f32_e32 v2, 0, v2
	v_mul_f32_e32 v12, v9, v130
	s_waitcnt vmcnt(4)
	v_fma_f32 v3, v6, v134, -v3
	v_mul_f32_e32 v142, v8, v130
	v_fmac_f32_e32 v141, v7, v134
	v_add_f32_e32 v2, v2, v4
	v_add_f32_e32 v4, v5, v140
	s_waitcnt lgkmcnt(0)
	v_mul_f32_e32 v5, v11, v131
	s_waitcnt vmcnt(3)
	v_fma_f32 v6, v8, v135, -v12
	v_mul_f32_e32 v143, v10, v131
	v_add_f32_e32 v2, v2, v3
	v_fmac_f32_e32 v142, v9, v135
	v_add_f32_e32 v3, v4, v141
	s_waitcnt vmcnt(2)
	v_fma_f32 v4, v10, v136, -v5
	v_fmac_f32_e32 v143, v11, v136
	v_add_f32_e32 v2, v2, v6
	v_add_f32_e32 v3, v3, v142
	;; [unrolled: 1-line block ×4, first 2 shown]
	s_waitcnt vmcnt(1)
	v_sub_f32_e32 v2, v137, v2
	s_waitcnt vmcnt(0)
	v_sub_f32_e32 v3, v138, v3
	buffer_store_dword v2, off, s[0:3], 0 offset:408
	buffer_store_dword v3, off, s[0:3], 0 offset:412
	v_cmpx_lt_u32_e32 50, v0
	s_cbranch_execz .LBB56_255
; %bb.254:
	s_clause 0x1
	buffer_load_dword v2, off, s[0:3], 0 offset:400
	buffer_load_dword v3, off, s[0:3], 0 offset:404
	buffer_store_dword v1, off, s[0:3], 0 offset:400
	buffer_store_dword v1, off, s[0:3], 0 offset:404
	s_waitcnt vmcnt(0)
	ds_write_b64 v127, v[2:3]
.LBB56_255:
	s_or_b32 exec_lo, exec_lo, s4
	s_waitcnt lgkmcnt(0)
	s_waitcnt_vscnt null, 0x0
	s_barrier
	buffer_gl0_inv
	s_clause 0xd
	buffer_load_dword v10, off, s[0:3], 0 offset:412
	buffer_load_dword v11, off, s[0:3], 0 offset:420
	;; [unrolled: 1-line block ×14, first 2 shown]
	ds_read2_b64 v[2:5], v1 offset0:109 offset1:110
	ds_read2_b64 v[6:9], v1 offset0:111 offset1:112
	ds_read2_b64 v[128:131], v1 offset0:113 offset1:114
	s_mov_b32 s4, exec_lo
	s_waitcnt vmcnt(13) lgkmcnt(2)
	v_mul_f32_e32 v1, v2, v10
	v_mul_f32_e32 v10, v3, v10
	s_waitcnt vmcnt(12)
	v_mul_f32_e32 v143, v4, v11
	v_mul_f32_e32 v11, v5, v11
	s_waitcnt vmcnt(11) lgkmcnt(1)
	v_mul_f32_e32 v144, v6, v12
	s_waitcnt vmcnt(10)
	v_mul_f32_e32 v145, v8, v132
	s_waitcnt vmcnt(7)
	v_fma_f32 v2, v2, v135, -v10
	v_fmac_f32_e32 v1, v3, v135
	v_mul_f32_e32 v3, v7, v12
	s_waitcnt vmcnt(6)
	v_fma_f32 v4, v4, v136, -v11
	v_fmac_f32_e32 v143, v5, v136
	v_add_f32_e32 v2, 0, v2
	v_add_f32_e32 v1, 0, v1
	v_mul_f32_e32 v5, v9, v132
	s_waitcnt vmcnt(5)
	v_fma_f32 v3, v6, v137, -v3
	v_fmac_f32_e32 v144, v7, v137
	v_add_f32_e32 v2, v2, v4
	v_add_f32_e32 v1, v1, v143
	s_waitcnt lgkmcnt(0)
	v_mul_f32_e32 v4, v129, v133
	s_waitcnt vmcnt(4)
	v_fma_f32 v5, v8, v138, -v5
	v_mul_f32_e32 v146, v128, v133
	v_add_f32_e32 v2, v2, v3
	v_fmac_f32_e32 v145, v9, v138
	v_add_f32_e32 v1, v1, v144
	v_mul_f32_e32 v3, v131, v134
	s_waitcnt vmcnt(3)
	v_fma_f32 v4, v128, v139, -v4
	v_add_f32_e32 v2, v2, v5
	v_mul_f32_e32 v147, v130, v134
	v_fmac_f32_e32 v146, v129, v139
	v_add_f32_e32 v1, v1, v145
	s_waitcnt vmcnt(2)
	v_fma_f32 v3, v130, v140, -v3
	v_add_f32_e32 v2, v2, v4
	v_fmac_f32_e32 v147, v131, v140
	v_add_f32_e32 v1, v1, v146
	v_add_f32_e32 v2, v2, v3
	v_add_f32_e32 v1, v1, v147
	s_waitcnt vmcnt(1)
	v_sub_f32_e32 v2, v141, v2
	s_waitcnt vmcnt(0)
	v_sub_f32_e32 v1, v142, v1
	buffer_store_dword v2, off, s[0:3], 0 offset:400
	buffer_store_dword v1, off, s[0:3], 0 offset:404
	v_cmpx_lt_u32_e32 49, v0
	s_cbranch_execz .LBB56_257
; %bb.256:
	s_clause 0x1
	buffer_load_dword v1, off, s[0:3], 0 offset:392
	buffer_load_dword v2, off, s[0:3], 0 offset:396
	v_mov_b32_e32 v3, 0
	buffer_store_dword v3, off, s[0:3], 0 offset:392
	buffer_store_dword v3, off, s[0:3], 0 offset:396
	s_waitcnt vmcnt(0)
	ds_write_b64 v127, v[1:2]
.LBB56_257:
	s_or_b32 exec_lo, exec_lo, s4
	s_waitcnt lgkmcnt(0)
	s_waitcnt_vscnt null, 0x0
	s_barrier
	buffer_gl0_inv
	s_clause 0xf
	buffer_load_dword v12, off, s[0:3], 0 offset:404
	buffer_load_dword v132, off, s[0:3], 0 offset:412
	;; [unrolled: 1-line block ×16, first 2 shown]
	v_mov_b32_e32 v1, 0
	ds_read_b128 v[2:5], v1 offset:864
	ds_read_b128 v[6:9], v1 offset:880
	;; [unrolled: 1-line block ×3, first 2 shown]
	ds_read_b64 v[10:11], v1 offset:912
	s_mov_b32 s4, exec_lo
	s_waitcnt vmcnt(15) lgkmcnt(3)
	v_mul_f32_e32 v147, v2, v12
	v_mul_f32_e32 v12, v3, v12
	s_waitcnt vmcnt(14)
	v_mul_f32_e32 v148, v4, v132
	v_mul_f32_e32 v132, v5, v132
	s_waitcnt vmcnt(13) lgkmcnt(2)
	v_mul_f32_e32 v149, v6, v133
	s_waitcnt vmcnt(12)
	v_mul_f32_e32 v150, v8, v134
	s_waitcnt vmcnt(11) lgkmcnt(1)
	v_mul_f32_e32 v151, v128, v135
	s_waitcnt vmcnt(8)
	v_fma_f32 v2, v2, v138, -v12
	v_fmac_f32_e32 v147, v3, v138
	v_mul_f32_e32 v3, v7, v133
	s_waitcnt vmcnt(7)
	v_fma_f32 v4, v4, v139, -v132
	v_fmac_f32_e32 v148, v5, v139
	v_add_f32_e32 v2, 0, v2
	v_add_f32_e32 v5, 0, v147
	v_mul_f32_e32 v12, v9, v134
	s_waitcnt vmcnt(6)
	v_fma_f32 v3, v6, v140, -v3
	v_fmac_f32_e32 v149, v7, v140
	v_add_f32_e32 v2, v2, v4
	v_add_f32_e32 v4, v5, v148
	;; [unrolled: 6-line block ×3, first 2 shown]
	v_mul_f32_e32 v4, v131, v136
	s_waitcnt vmcnt(4)
	v_fma_f32 v5, v128, v142, -v5
	v_mul_f32_e32 v152, v130, v136
	v_add_f32_e32 v2, v2, v6
	v_fmac_f32_e32 v151, v129, v142
	v_add_f32_e32 v3, v3, v150
	s_waitcnt lgkmcnt(0)
	v_mul_f32_e32 v6, v11, v137
	s_waitcnt vmcnt(3)
	v_fma_f32 v4, v130, v143, -v4
	v_add_f32_e32 v2, v2, v5
	v_mul_f32_e32 v153, v10, v137
	v_fmac_f32_e32 v152, v131, v143
	v_add_f32_e32 v3, v3, v151
	s_waitcnt vmcnt(2)
	v_fma_f32 v5, v10, v144, -v6
	v_add_f32_e32 v2, v2, v4
	v_fmac_f32_e32 v153, v11, v144
	v_add_f32_e32 v3, v3, v152
	v_add_f32_e32 v2, v2, v5
	;; [unrolled: 1-line block ×3, first 2 shown]
	s_waitcnt vmcnt(1)
	v_sub_f32_e32 v2, v145, v2
	s_waitcnt vmcnt(0)
	v_sub_f32_e32 v3, v146, v3
	buffer_store_dword v2, off, s[0:3], 0 offset:392
	buffer_store_dword v3, off, s[0:3], 0 offset:396
	v_cmpx_lt_u32_e32 48, v0
	s_cbranch_execz .LBB56_259
; %bb.258:
	s_clause 0x1
	buffer_load_dword v2, off, s[0:3], 0 offset:384
	buffer_load_dword v3, off, s[0:3], 0 offset:388
	buffer_store_dword v1, off, s[0:3], 0 offset:384
	buffer_store_dword v1, off, s[0:3], 0 offset:388
	s_waitcnt vmcnt(0)
	ds_write_b64 v127, v[2:3]
.LBB56_259:
	s_or_b32 exec_lo, exec_lo, s4
	s_waitcnt lgkmcnt(0)
	s_waitcnt_vscnt null, 0x0
	s_barrier
	buffer_gl0_inv
	s_clause 0x11
	buffer_load_dword v10, off, s[0:3], 0 offset:396
	buffer_load_dword v11, off, s[0:3], 0 offset:404
	;; [unrolled: 1-line block ×18, first 2 shown]
	ds_read2_b64 v[2:5], v1 offset0:107 offset1:108
	ds_read2_b64 v[6:9], v1 offset0:109 offset1:110
	;; [unrolled: 1-line block ×4, first 2 shown]
	s_mov_b32 s4, exec_lo
	s_waitcnt vmcnt(17) lgkmcnt(3)
	v_mul_f32_e32 v1, v2, v10
	v_mul_f32_e32 v10, v3, v10
	s_waitcnt vmcnt(16)
	v_mul_f32_e32 v151, v4, v11
	v_mul_f32_e32 v11, v5, v11
	s_waitcnt vmcnt(15) lgkmcnt(2)
	v_mul_f32_e32 v152, v6, v12
	s_waitcnt vmcnt(14)
	v_mul_f32_e32 v153, v8, v136
	s_waitcnt vmcnt(13) lgkmcnt(1)
	v_mul_f32_e32 v154, v128, v137
	s_waitcnt vmcnt(12)
	v_mul_f32_e32 v155, v130, v138
	s_waitcnt vmcnt(9)
	v_fma_f32 v2, v2, v141, -v10
	v_fmac_f32_e32 v1, v3, v141
	v_mul_f32_e32 v3, v7, v12
	s_waitcnt vmcnt(8)
	v_fma_f32 v4, v4, v142, -v11
	v_fmac_f32_e32 v151, v5, v142
	v_add_f32_e32 v2, 0, v2
	v_add_f32_e32 v1, 0, v1
	v_mul_f32_e32 v5, v9, v136
	s_waitcnt vmcnt(7)
	v_fma_f32 v3, v6, v143, -v3
	v_fmac_f32_e32 v152, v7, v143
	v_add_f32_e32 v2, v2, v4
	v_add_f32_e32 v1, v1, v151
	v_mul_f32_e32 v4, v129, v137
	s_waitcnt vmcnt(6)
	v_fma_f32 v5, v8, v144, -v5
	v_fmac_f32_e32 v153, v9, v144
	v_add_f32_e32 v2, v2, v3
	v_add_f32_e32 v1, v1, v152
	v_mul_f32_e32 v3, v131, v138
	s_waitcnt vmcnt(5)
	v_fma_f32 v4, v128, v145, -v4
	v_fmac_f32_e32 v154, v129, v145
	v_add_f32_e32 v2, v2, v5
	v_add_f32_e32 v1, v1, v153
	s_waitcnt lgkmcnt(0)
	v_mul_f32_e32 v5, v133, v139
	s_waitcnt vmcnt(4)
	v_fma_f32 v3, v130, v146, -v3
	v_mul_f32_e32 v156, v132, v139
	v_add_f32_e32 v2, v2, v4
	v_fmac_f32_e32 v155, v131, v146
	v_add_f32_e32 v1, v1, v154
	v_mul_f32_e32 v4, v135, v140
	s_waitcnt vmcnt(3)
	v_fma_f32 v5, v132, v147, -v5
	v_add_f32_e32 v2, v2, v3
	v_mul_f32_e32 v157, v134, v140
	v_fmac_f32_e32 v156, v133, v147
	v_add_f32_e32 v1, v1, v155
	s_waitcnt vmcnt(2)
	v_fma_f32 v3, v134, v148, -v4
	v_add_f32_e32 v2, v2, v5
	v_fmac_f32_e32 v157, v135, v148
	v_add_f32_e32 v1, v1, v156
	v_add_f32_e32 v2, v2, v3
	v_add_f32_e32 v1, v1, v157
	s_waitcnt vmcnt(1)
	v_sub_f32_e32 v2, v149, v2
	s_waitcnt vmcnt(0)
	v_sub_f32_e32 v1, v150, v1
	buffer_store_dword v2, off, s[0:3], 0 offset:384
	buffer_store_dword v1, off, s[0:3], 0 offset:388
	v_cmpx_lt_u32_e32 47, v0
	s_cbranch_execz .LBB56_261
; %bb.260:
	s_clause 0x1
	buffer_load_dword v1, off, s[0:3], 0 offset:376
	buffer_load_dword v2, off, s[0:3], 0 offset:380
	v_mov_b32_e32 v3, 0
	buffer_store_dword v3, off, s[0:3], 0 offset:376
	buffer_store_dword v3, off, s[0:3], 0 offset:380
	s_waitcnt vmcnt(0)
	ds_write_b64 v127, v[1:2]
.LBB56_261:
	s_or_b32 exec_lo, exec_lo, s4
	s_waitcnt lgkmcnt(0)
	s_waitcnt_vscnt null, 0x0
	s_barrier
	buffer_gl0_inv
	s_clause 0x13
	buffer_load_dword v12, off, s[0:3], 0 offset:388
	buffer_load_dword v136, off, s[0:3], 0 offset:396
	;; [unrolled: 1-line block ×20, first 2 shown]
	v_mov_b32_e32 v1, 0
	ds_read_b128 v[2:5], v1 offset:848
	ds_read_b128 v[6:9], v1 offset:864
	;; [unrolled: 1-line block ×4, first 2 shown]
	ds_read_b64 v[10:11], v1 offset:912
	s_mov_b32 s4, exec_lo
	s_waitcnt vmcnt(19) lgkmcnt(4)
	v_mul_f32_e32 v155, v2, v12
	v_mul_f32_e32 v12, v3, v12
	s_waitcnt vmcnt(18)
	v_mul_f32_e32 v156, v4, v136
	v_mul_f32_e32 v136, v5, v136
	s_waitcnt vmcnt(17) lgkmcnt(3)
	v_mul_f32_e32 v157, v6, v137
	s_waitcnt vmcnt(16)
	v_mul_f32_e32 v158, v8, v138
	s_waitcnt vmcnt(15) lgkmcnt(2)
	v_mul_f32_e32 v159, v128, v139
	s_waitcnt vmcnt(14)
	;; [unrolled: 4-line block ×3, first 2 shown]
	v_fma_f32 v2, v2, v144, -v12
	v_fmac_f32_e32 v155, v3, v144
	v_mul_f32_e32 v3, v7, v137
	s_waitcnt vmcnt(9)
	v_fma_f32 v4, v4, v145, -v136
	v_fmac_f32_e32 v156, v5, v145
	v_add_f32_e32 v2, 0, v2
	v_add_f32_e32 v5, 0, v155
	v_mul_f32_e32 v12, v9, v138
	s_waitcnt vmcnt(8)
	v_fma_f32 v3, v6, v146, -v3
	v_fmac_f32_e32 v157, v7, v146
	v_add_f32_e32 v2, v2, v4
	v_add_f32_e32 v4, v5, v156
	;; [unrolled: 6-line block ×5, first 2 shown]
	v_mul_f32_e32 v5, v135, v142
	s_waitcnt vmcnt(4)
	v_fma_f32 v6, v132, v150, -v6
	v_mul_f32_e32 v162, v134, v142
	v_add_f32_e32 v2, v2, v4
	v_fmac_f32_e32 v161, v133, v150
	v_add_f32_e32 v3, v3, v160
	s_waitcnt lgkmcnt(0)
	v_mul_f32_e32 v4, v11, v143
	s_waitcnt vmcnt(3)
	v_fma_f32 v5, v134, v151, -v5
	v_add_f32_e32 v2, v2, v6
	v_mul_f32_e32 v163, v10, v143
	v_fmac_f32_e32 v162, v135, v151
	v_add_f32_e32 v3, v3, v161
	s_waitcnt vmcnt(2)
	v_fma_f32 v4, v10, v152, -v4
	v_add_f32_e32 v2, v2, v5
	v_fmac_f32_e32 v163, v11, v152
	v_add_f32_e32 v3, v3, v162
	v_add_f32_e32 v2, v2, v4
	v_add_f32_e32 v3, v3, v163
	s_waitcnt vmcnt(1)
	v_sub_f32_e32 v2, v153, v2
	s_waitcnt vmcnt(0)
	v_sub_f32_e32 v3, v154, v3
	buffer_store_dword v2, off, s[0:3], 0 offset:376
	buffer_store_dword v3, off, s[0:3], 0 offset:380
	v_cmpx_lt_u32_e32 46, v0
	s_cbranch_execz .LBB56_263
; %bb.262:
	s_clause 0x1
	buffer_load_dword v2, off, s[0:3], 0 offset:368
	buffer_load_dword v3, off, s[0:3], 0 offset:372
	buffer_store_dword v1, off, s[0:3], 0 offset:368
	buffer_store_dword v1, off, s[0:3], 0 offset:372
	s_waitcnt vmcnt(0)
	ds_write_b64 v127, v[2:3]
.LBB56_263:
	s_or_b32 exec_lo, exec_lo, s4
	s_waitcnt lgkmcnt(0)
	s_waitcnt_vscnt null, 0x0
	s_barrier
	buffer_gl0_inv
	s_clause 0x15
	buffer_load_dword v10, off, s[0:3], 0 offset:380
	buffer_load_dword v11, off, s[0:3], 0 offset:388
	buffer_load_dword v12, off, s[0:3], 0 offset:396
	buffer_load_dword v140, off, s[0:3], 0 offset:404
	buffer_load_dword v141, off, s[0:3], 0 offset:412
	buffer_load_dword v142, off, s[0:3], 0 offset:420
	buffer_load_dword v143, off, s[0:3], 0 offset:428
	buffer_load_dword v144, off, s[0:3], 0 offset:436
	buffer_load_dword v145, off, s[0:3], 0 offset:444
	buffer_load_dword v146, off, s[0:3], 0 offset:452
	buffer_load_dword v147, off, s[0:3], 0 offset:376
	buffer_load_dword v148, off, s[0:3], 0 offset:384
	buffer_load_dword v149, off, s[0:3], 0 offset:392
	buffer_load_dword v150, off, s[0:3], 0 offset:400
	buffer_load_dword v151, off, s[0:3], 0 offset:408
	buffer_load_dword v152, off, s[0:3], 0 offset:416
	buffer_load_dword v153, off, s[0:3], 0 offset:424
	buffer_load_dword v154, off, s[0:3], 0 offset:432
	buffer_load_dword v155, off, s[0:3], 0 offset:440
	buffer_load_dword v156, off, s[0:3], 0 offset:448
	buffer_load_dword v157, off, s[0:3], 0 offset:368
	buffer_load_dword v158, off, s[0:3], 0 offset:372
	ds_read2_b64 v[2:5], v1 offset0:105 offset1:106
	ds_read2_b64 v[6:9], v1 offset0:107 offset1:108
	;; [unrolled: 1-line block ×5, first 2 shown]
	s_mov_b32 s4, exec_lo
	s_waitcnt vmcnt(21) lgkmcnt(4)
	v_mul_f32_e32 v1, v2, v10
	v_mul_f32_e32 v10, v3, v10
	s_waitcnt vmcnt(20)
	v_mul_f32_e32 v159, v4, v11
	v_mul_f32_e32 v11, v5, v11
	s_waitcnt vmcnt(19) lgkmcnt(3)
	v_mul_f32_e32 v160, v6, v12
	s_waitcnt vmcnt(18)
	v_mul_f32_e32 v161, v8, v140
	s_waitcnt vmcnt(17) lgkmcnt(2)
	v_mul_f32_e32 v162, v128, v141
	s_waitcnt vmcnt(16)
	;; [unrolled: 4-line block ×3, first 2 shown]
	v_mul_f32_e32 v165, v134, v144
	s_waitcnt vmcnt(11)
	v_fma_f32 v2, v2, v147, -v10
	v_fmac_f32_e32 v1, v3, v147
	v_mul_f32_e32 v3, v7, v12
	s_waitcnt vmcnt(10)
	v_fma_f32 v4, v4, v148, -v11
	v_fmac_f32_e32 v159, v5, v148
	v_add_f32_e32 v2, 0, v2
	v_add_f32_e32 v1, 0, v1
	v_mul_f32_e32 v5, v9, v140
	s_waitcnt vmcnt(9)
	v_fma_f32 v3, v6, v149, -v3
	v_fmac_f32_e32 v160, v7, v149
	v_add_f32_e32 v2, v2, v4
	v_add_f32_e32 v1, v1, v159
	;; [unrolled: 6-line block ×6, first 2 shown]
	s_waitcnt lgkmcnt(0)
	v_mul_f32_e32 v3, v137, v145
	s_waitcnt vmcnt(4)
	v_fma_f32 v4, v134, v154, -v4
	v_mul_f32_e32 v166, v136, v145
	v_add_f32_e32 v2, v2, v5
	v_fmac_f32_e32 v165, v135, v154
	v_add_f32_e32 v1, v1, v164
	v_mul_f32_e32 v5, v139, v146
	s_waitcnt vmcnt(3)
	v_fma_f32 v3, v136, v155, -v3
	v_add_f32_e32 v2, v2, v4
	v_mul_f32_e32 v167, v138, v146
	v_fmac_f32_e32 v166, v137, v155
	v_add_f32_e32 v1, v1, v165
	s_waitcnt vmcnt(2)
	v_fma_f32 v4, v138, v156, -v5
	v_add_f32_e32 v2, v2, v3
	v_fmac_f32_e32 v167, v139, v156
	v_add_f32_e32 v1, v1, v166
	v_add_f32_e32 v2, v2, v4
	;; [unrolled: 1-line block ×3, first 2 shown]
	s_waitcnt vmcnt(1)
	v_sub_f32_e32 v2, v157, v2
	s_waitcnt vmcnt(0)
	v_sub_f32_e32 v1, v158, v1
	buffer_store_dword v2, off, s[0:3], 0 offset:368
	buffer_store_dword v1, off, s[0:3], 0 offset:372
	v_cmpx_lt_u32_e32 45, v0
	s_cbranch_execz .LBB56_265
; %bb.264:
	s_clause 0x1
	buffer_load_dword v1, off, s[0:3], 0 offset:360
	buffer_load_dword v2, off, s[0:3], 0 offset:364
	v_mov_b32_e32 v3, 0
	buffer_store_dword v3, off, s[0:3], 0 offset:360
	buffer_store_dword v3, off, s[0:3], 0 offset:364
	s_waitcnt vmcnt(0)
	ds_write_b64 v127, v[1:2]
.LBB56_265:
	s_or_b32 exec_lo, exec_lo, s4
	s_waitcnt lgkmcnt(0)
	s_waitcnt_vscnt null, 0x0
	s_barrier
	buffer_gl0_inv
	s_clause 0x17
	buffer_load_dword v12, off, s[0:3], 0 offset:372
	buffer_load_dword v140, off, s[0:3], 0 offset:380
	;; [unrolled: 1-line block ×24, first 2 shown]
	v_mov_b32_e32 v1, 0
	ds_read_b128 v[2:5], v1 offset:832
	ds_read_b128 v[6:9], v1 offset:848
	ds_read_b128 v[128:131], v1 offset:864
	ds_read_b128 v[132:135], v1 offset:880
	ds_read_b128 v[136:139], v1 offset:896
	ds_read_b64 v[10:11], v1 offset:912
	s_mov_b32 s4, exec_lo
	s_waitcnt vmcnt(23) lgkmcnt(5)
	v_mul_f32_e32 v163, v2, v12
	v_mul_f32_e32 v12, v3, v12
	s_waitcnt vmcnt(22)
	v_mul_f32_e32 v164, v4, v140
	v_mul_f32_e32 v140, v5, v140
	s_waitcnt vmcnt(21) lgkmcnt(4)
	v_mul_f32_e32 v165, v6, v141
	s_waitcnt vmcnt(20)
	v_mul_f32_e32 v166, v8, v142
	s_waitcnt vmcnt(19) lgkmcnt(3)
	v_mul_f32_e32 v167, v128, v143
	s_waitcnt vmcnt(18)
	;; [unrolled: 4-line block ×4, first 2 shown]
	v_fma_f32 v2, v2, v150, -v12
	v_fmac_f32_e32 v163, v3, v150
	v_mul_f32_e32 v3, v7, v141
	s_waitcnt vmcnt(11)
	v_fma_f32 v4, v4, v151, -v140
	v_fmac_f32_e32 v164, v5, v151
	v_add_f32_e32 v2, 0, v2
	v_add_f32_e32 v5, 0, v163
	v_mul_f32_e32 v12, v9, v142
	s_waitcnt vmcnt(10)
	v_fma_f32 v3, v6, v152, -v3
	v_fmac_f32_e32 v165, v7, v152
	v_add_f32_e32 v2, v2, v4
	v_add_f32_e32 v4, v5, v164
	v_mul_f32_e32 v5, v129, v143
	s_waitcnt vmcnt(9)
	v_fma_f32 v6, v8, v153, -v12
	v_fmac_f32_e32 v166, v9, v153
	v_add_f32_e32 v2, v2, v3
	v_add_f32_e32 v3, v4, v165
	v_mul_f32_e32 v4, v131, v144
	s_waitcnt vmcnt(8)
	v_fma_f32 v5, v128, v154, -v5
	v_fmac_f32_e32 v167, v129, v154
	v_add_f32_e32 v2, v2, v6
	v_add_f32_e32 v3, v3, v166
	v_mul_f32_e32 v6, v133, v145
	s_waitcnt vmcnt(7)
	v_fma_f32 v4, v130, v155, -v4
	v_fmac_f32_e32 v168, v131, v155
	v_add_f32_e32 v2, v2, v5
	v_add_f32_e32 v3, v3, v167
	v_mul_f32_e32 v5, v135, v146
	s_waitcnt vmcnt(6)
	v_fma_f32 v6, v132, v156, -v6
	v_fmac_f32_e32 v169, v133, v156
	v_add_f32_e32 v2, v2, v4
	v_add_f32_e32 v3, v3, v168
	v_mul_f32_e32 v4, v137, v147
	s_waitcnt vmcnt(5)
	v_fma_f32 v5, v134, v157, -v5
	v_fmac_f32_e32 v170, v135, v157
	v_add_f32_e32 v2, v2, v6
	v_add_f32_e32 v3, v3, v169
	v_mul_f32_e32 v6, v139, v148
	s_waitcnt vmcnt(4)
	v_fma_f32 v4, v136, v158, -v4
	v_mul_f32_e32 v172, v138, v148
	v_add_f32_e32 v2, v2, v5
	v_fmac_f32_e32 v171, v137, v158
	v_add_f32_e32 v3, v3, v170
	s_waitcnt lgkmcnt(0)
	v_mul_f32_e32 v5, v11, v149
	s_waitcnt vmcnt(3)
	v_fma_f32 v6, v138, v159, -v6
	v_add_f32_e32 v2, v2, v4
	v_mul_f32_e32 v173, v10, v149
	v_fmac_f32_e32 v172, v139, v159
	v_add_f32_e32 v3, v3, v171
	s_waitcnt vmcnt(2)
	v_fma_f32 v4, v10, v160, -v5
	v_add_f32_e32 v2, v2, v6
	v_fmac_f32_e32 v173, v11, v160
	v_add_f32_e32 v3, v3, v172
	v_add_f32_e32 v2, v2, v4
	;; [unrolled: 1-line block ×3, first 2 shown]
	s_waitcnt vmcnt(1)
	v_sub_f32_e32 v2, v161, v2
	s_waitcnt vmcnt(0)
	v_sub_f32_e32 v3, v162, v3
	buffer_store_dword v2, off, s[0:3], 0 offset:360
	buffer_store_dword v3, off, s[0:3], 0 offset:364
	v_cmpx_lt_u32_e32 44, v0
	s_cbranch_execz .LBB56_267
; %bb.266:
	s_clause 0x1
	buffer_load_dword v2, off, s[0:3], 0 offset:352
	buffer_load_dword v3, off, s[0:3], 0 offset:356
	buffer_store_dword v1, off, s[0:3], 0 offset:352
	buffer_store_dword v1, off, s[0:3], 0 offset:356
	s_waitcnt vmcnt(0)
	ds_write_b64 v127, v[2:3]
.LBB56_267:
	s_or_b32 exec_lo, exec_lo, s4
	s_waitcnt lgkmcnt(0)
	s_waitcnt_vscnt null, 0x0
	s_barrier
	buffer_gl0_inv
	s_clause 0x19
	buffer_load_dword v10, off, s[0:3], 0 offset:364
	buffer_load_dword v11, off, s[0:3], 0 offset:372
	buffer_load_dword v12, off, s[0:3], 0 offset:380
	buffer_load_dword v144, off, s[0:3], 0 offset:388
	buffer_load_dword v145, off, s[0:3], 0 offset:396
	buffer_load_dword v146, off, s[0:3], 0 offset:404
	buffer_load_dword v147, off, s[0:3], 0 offset:412
	buffer_load_dword v148, off, s[0:3], 0 offset:420
	buffer_load_dword v149, off, s[0:3], 0 offset:428
	buffer_load_dword v150, off, s[0:3], 0 offset:436
	buffer_load_dword v151, off, s[0:3], 0 offset:444
	buffer_load_dword v152, off, s[0:3], 0 offset:452
	buffer_load_dword v153, off, s[0:3], 0 offset:360
	buffer_load_dword v154, off, s[0:3], 0 offset:368
	buffer_load_dword v155, off, s[0:3], 0 offset:376
	buffer_load_dword v156, off, s[0:3], 0 offset:384
	buffer_load_dword v157, off, s[0:3], 0 offset:392
	buffer_load_dword v158, off, s[0:3], 0 offset:400
	buffer_load_dword v159, off, s[0:3], 0 offset:408
	buffer_load_dword v160, off, s[0:3], 0 offset:416
	buffer_load_dword v161, off, s[0:3], 0 offset:424
	buffer_load_dword v162, off, s[0:3], 0 offset:432
	buffer_load_dword v163, off, s[0:3], 0 offset:440
	buffer_load_dword v164, off, s[0:3], 0 offset:448
	buffer_load_dword v165, off, s[0:3], 0 offset:352
	buffer_load_dword v166, off, s[0:3], 0 offset:356
	ds_read2_b64 v[2:5], v1 offset0:103 offset1:104
	ds_read2_b64 v[6:9], v1 offset0:105 offset1:106
	;; [unrolled: 1-line block ×6, first 2 shown]
	s_mov_b32 s4, exec_lo
	s_waitcnt vmcnt(25) lgkmcnt(5)
	v_mul_f32_e32 v1, v2, v10
	v_mul_f32_e32 v10, v3, v10
	s_waitcnt vmcnt(24)
	v_mul_f32_e32 v167, v4, v11
	v_mul_f32_e32 v11, v5, v11
	s_waitcnt vmcnt(23) lgkmcnt(4)
	v_mul_f32_e32 v168, v6, v12
	s_waitcnt vmcnt(22)
	v_mul_f32_e32 v169, v8, v144
	s_waitcnt vmcnt(21) lgkmcnt(3)
	v_mul_f32_e32 v170, v128, v145
	s_waitcnt vmcnt(20)
	;; [unrolled: 4-line block ×4, first 2 shown]
	v_mul_f32_e32 v175, v138, v150
	s_waitcnt vmcnt(13)
	v_fma_f32 v2, v2, v153, -v10
	v_fmac_f32_e32 v1, v3, v153
	v_mul_f32_e32 v3, v7, v12
	s_waitcnt vmcnt(12)
	v_fma_f32 v4, v4, v154, -v11
	v_fmac_f32_e32 v167, v5, v154
	v_add_f32_e32 v2, 0, v2
	v_add_f32_e32 v1, 0, v1
	v_mul_f32_e32 v5, v9, v144
	s_waitcnt vmcnt(11)
	v_fma_f32 v3, v6, v155, -v3
	v_fmac_f32_e32 v168, v7, v155
	v_add_f32_e32 v2, v2, v4
	v_add_f32_e32 v1, v1, v167
	;; [unrolled: 6-line block ×8, first 2 shown]
	s_waitcnt lgkmcnt(0)
	v_mul_f32_e32 v4, v141, v151
	s_waitcnt vmcnt(4)
	v_fma_f32 v5, v138, v162, -v5
	v_mul_f32_e32 v176, v140, v151
	v_add_f32_e32 v2, v2, v3
	v_fmac_f32_e32 v175, v139, v162
	v_add_f32_e32 v1, v1, v174
	v_mul_f32_e32 v3, v143, v152
	s_waitcnt vmcnt(3)
	v_fma_f32 v4, v140, v163, -v4
	v_add_f32_e32 v2, v2, v5
	v_mul_f32_e32 v177, v142, v152
	v_fmac_f32_e32 v176, v141, v163
	v_add_f32_e32 v1, v1, v175
	s_waitcnt vmcnt(2)
	v_fma_f32 v3, v142, v164, -v3
	v_add_f32_e32 v2, v2, v4
	v_fmac_f32_e32 v177, v143, v164
	v_add_f32_e32 v1, v1, v176
	v_add_f32_e32 v2, v2, v3
	;; [unrolled: 1-line block ×3, first 2 shown]
	s_waitcnt vmcnt(1)
	v_sub_f32_e32 v2, v165, v2
	s_waitcnt vmcnt(0)
	v_sub_f32_e32 v1, v166, v1
	buffer_store_dword v2, off, s[0:3], 0 offset:352
	buffer_store_dword v1, off, s[0:3], 0 offset:356
	v_cmpx_lt_u32_e32 43, v0
	s_cbranch_execz .LBB56_269
; %bb.268:
	s_clause 0x1
	buffer_load_dword v1, off, s[0:3], 0 offset:344
	buffer_load_dword v2, off, s[0:3], 0 offset:348
	v_mov_b32_e32 v3, 0
	buffer_store_dword v3, off, s[0:3], 0 offset:344
	buffer_store_dword v3, off, s[0:3], 0 offset:348
	s_waitcnt vmcnt(0)
	ds_write_b64 v127, v[1:2]
.LBB56_269:
	s_or_b32 exec_lo, exec_lo, s4
	s_waitcnt lgkmcnt(0)
	s_waitcnt_vscnt null, 0x0
	s_barrier
	buffer_gl0_inv
	s_clause 0x1b
	buffer_load_dword v12, off, s[0:3], 0 offset:356
	buffer_load_dword v144, off, s[0:3], 0 offset:364
	;; [unrolled: 1-line block ×28, first 2 shown]
	v_mov_b32_e32 v1, 0
	ds_read_b128 v[2:5], v1 offset:816
	ds_read_b128 v[6:9], v1 offset:832
	;; [unrolled: 1-line block ×6, first 2 shown]
	ds_read_b64 v[10:11], v1 offset:912
	s_mov_b32 s4, exec_lo
	s_waitcnt vmcnt(27) lgkmcnt(6)
	v_mul_f32_e32 v171, v2, v12
	v_mul_f32_e32 v12, v3, v12
	s_waitcnt vmcnt(26)
	v_mul_f32_e32 v172, v4, v144
	v_mul_f32_e32 v144, v5, v144
	s_waitcnt vmcnt(25) lgkmcnt(5)
	v_mul_f32_e32 v173, v6, v145
	s_waitcnt vmcnt(24)
	v_mul_f32_e32 v174, v8, v146
	s_waitcnt vmcnt(23) lgkmcnt(4)
	v_mul_f32_e32 v175, v128, v147
	s_waitcnt vmcnt(22)
	;; [unrolled: 4-line block ×5, first 2 shown]
	v_fma_f32 v2, v2, v156, -v12
	v_fmac_f32_e32 v171, v3, v156
	v_mul_f32_e32 v3, v7, v145
	s_waitcnt vmcnt(13)
	v_fma_f32 v4, v4, v157, -v144
	v_fmac_f32_e32 v172, v5, v157
	v_add_f32_e32 v2, 0, v2
	v_add_f32_e32 v5, 0, v171
	v_mul_f32_e32 v12, v9, v146
	s_waitcnt vmcnt(12)
	v_fma_f32 v3, v6, v158, -v3
	v_fmac_f32_e32 v173, v7, v158
	v_add_f32_e32 v2, v2, v4
	v_add_f32_e32 v4, v5, v172
	;; [unrolled: 6-line block ×9, first 2 shown]
	v_mul_f32_e32 v4, v143, v154
	s_waitcnt vmcnt(4)
	v_fma_f32 v5, v140, v166, -v5
	v_mul_f32_e32 v182, v142, v154
	v_add_f32_e32 v2, v2, v6
	v_fmac_f32_e32 v181, v141, v166
	v_add_f32_e32 v3, v3, v180
	s_waitcnt lgkmcnt(0)
	v_mul_f32_e32 v6, v11, v155
	s_waitcnt vmcnt(3)
	v_fma_f32 v4, v142, v167, -v4
	v_add_f32_e32 v2, v2, v5
	v_mul_f32_e32 v183, v10, v155
	v_fmac_f32_e32 v182, v143, v167
	v_add_f32_e32 v3, v3, v181
	s_waitcnt vmcnt(2)
	v_fma_f32 v5, v10, v168, -v6
	v_add_f32_e32 v2, v2, v4
	v_fmac_f32_e32 v183, v11, v168
	v_add_f32_e32 v3, v3, v182
	v_add_f32_e32 v2, v2, v5
	;; [unrolled: 1-line block ×3, first 2 shown]
	s_waitcnt vmcnt(1)
	v_sub_f32_e32 v2, v169, v2
	s_waitcnt vmcnt(0)
	v_sub_f32_e32 v3, v170, v3
	buffer_store_dword v2, off, s[0:3], 0 offset:344
	buffer_store_dword v3, off, s[0:3], 0 offset:348
	v_cmpx_lt_u32_e32 42, v0
	s_cbranch_execz .LBB56_271
; %bb.270:
	s_clause 0x1
	buffer_load_dword v2, off, s[0:3], 0 offset:336
	buffer_load_dword v3, off, s[0:3], 0 offset:340
	buffer_store_dword v1, off, s[0:3], 0 offset:336
	buffer_store_dword v1, off, s[0:3], 0 offset:340
	s_waitcnt vmcnt(0)
	ds_write_b64 v127, v[2:3]
.LBB56_271:
	s_or_b32 exec_lo, exec_lo, s4
	s_waitcnt lgkmcnt(0)
	s_waitcnt_vscnt null, 0x0
	s_barrier
	buffer_gl0_inv
	s_clause 0x1d
	buffer_load_dword v10, off, s[0:3], 0 offset:348
	buffer_load_dword v11, off, s[0:3], 0 offset:356
	;; [unrolled: 1-line block ×30, first 2 shown]
	ds_read2_b64 v[2:5], v1 offset0:101 offset1:102
	ds_read2_b64 v[6:9], v1 offset0:103 offset1:104
	;; [unrolled: 1-line block ×7, first 2 shown]
	s_mov_b32 s4, exec_lo
	s_waitcnt vmcnt(29) lgkmcnt(6)
	v_mul_f32_e32 v1, v2, v10
	v_mul_f32_e32 v10, v3, v10
	s_waitcnt vmcnt(28)
	v_mul_f32_e32 v175, v4, v11
	v_mul_f32_e32 v11, v5, v11
	s_waitcnt vmcnt(27) lgkmcnt(5)
	v_mul_f32_e32 v176, v6, v12
	s_waitcnt vmcnt(26)
	v_mul_f32_e32 v177, v8, v148
	s_waitcnt vmcnt(25) lgkmcnt(4)
	v_mul_f32_e32 v178, v128, v149
	s_waitcnt vmcnt(24)
	;; [unrolled: 4-line block ×5, first 2 shown]
	v_mul_f32_e32 v185, v142, v156
	s_waitcnt vmcnt(15)
	v_fma_f32 v2, v2, v159, -v10
	v_fmac_f32_e32 v1, v3, v159
	v_mul_f32_e32 v3, v7, v12
	s_waitcnt vmcnt(14)
	v_fma_f32 v4, v4, v160, -v11
	v_fmac_f32_e32 v175, v5, v160
	v_add_f32_e32 v2, 0, v2
	v_add_f32_e32 v1, 0, v1
	v_mul_f32_e32 v5, v9, v148
	s_waitcnt vmcnt(13)
	v_fma_f32 v3, v6, v161, -v3
	v_fmac_f32_e32 v176, v7, v161
	v_add_f32_e32 v2, v2, v4
	v_add_f32_e32 v1, v1, v175
	;; [unrolled: 6-line block ×10, first 2 shown]
	s_waitcnt lgkmcnt(0)
	v_mul_f32_e32 v5, v145, v157
	s_waitcnt vmcnt(4)
	v_fma_f32 v3, v142, v170, -v3
	v_mul_f32_e32 v186, v144, v157
	v_add_f32_e32 v2, v2, v4
	v_fmac_f32_e32 v185, v143, v170
	v_add_f32_e32 v1, v1, v184
	v_mul_f32_e32 v4, v147, v158
	s_waitcnt vmcnt(3)
	v_fma_f32 v5, v144, v171, -v5
	v_add_f32_e32 v2, v2, v3
	v_mul_f32_e32 v187, v146, v158
	v_fmac_f32_e32 v186, v145, v171
	v_add_f32_e32 v1, v1, v185
	s_waitcnt vmcnt(2)
	v_fma_f32 v3, v146, v172, -v4
	v_add_f32_e32 v2, v2, v5
	v_fmac_f32_e32 v187, v147, v172
	v_add_f32_e32 v1, v1, v186
	v_add_f32_e32 v2, v2, v3
	;; [unrolled: 1-line block ×3, first 2 shown]
	s_waitcnt vmcnt(1)
	v_sub_f32_e32 v2, v173, v2
	s_waitcnt vmcnt(0)
	v_sub_f32_e32 v1, v174, v1
	buffer_store_dword v2, off, s[0:3], 0 offset:336
	buffer_store_dword v1, off, s[0:3], 0 offset:340
	v_cmpx_lt_u32_e32 41, v0
	s_cbranch_execz .LBB56_273
; %bb.272:
	s_clause 0x1
	buffer_load_dword v1, off, s[0:3], 0 offset:328
	buffer_load_dword v2, off, s[0:3], 0 offset:332
	v_mov_b32_e32 v3, 0
	buffer_store_dword v3, off, s[0:3], 0 offset:328
	buffer_store_dword v3, off, s[0:3], 0 offset:332
	s_waitcnt vmcnt(0)
	ds_write_b64 v127, v[1:2]
.LBB56_273:
	s_or_b32 exec_lo, exec_lo, s4
	s_waitcnt lgkmcnt(0)
	s_waitcnt_vscnt null, 0x0
	s_barrier
	buffer_gl0_inv
	s_clause 0x1f
	buffer_load_dword v12, off, s[0:3], 0 offset:340
	buffer_load_dword v148, off, s[0:3], 0 offset:348
	buffer_load_dword v149, off, s[0:3], 0 offset:356
	buffer_load_dword v150, off, s[0:3], 0 offset:364
	buffer_load_dword v151, off, s[0:3], 0 offset:372
	buffer_load_dword v152, off, s[0:3], 0 offset:380
	buffer_load_dword v153, off, s[0:3], 0 offset:388
	buffer_load_dword v154, off, s[0:3], 0 offset:396
	buffer_load_dword v155, off, s[0:3], 0 offset:404
	buffer_load_dword v156, off, s[0:3], 0 offset:412
	buffer_load_dword v157, off, s[0:3], 0 offset:420
	buffer_load_dword v158, off, s[0:3], 0 offset:428
	buffer_load_dword v159, off, s[0:3], 0 offset:436
	buffer_load_dword v160, off, s[0:3], 0 offset:444
	buffer_load_dword v161, off, s[0:3], 0 offset:452
	buffer_load_dword v162, off, s[0:3], 0 offset:336
	buffer_load_dword v163, off, s[0:3], 0 offset:344
	buffer_load_dword v164, off, s[0:3], 0 offset:352
	buffer_load_dword v165, off, s[0:3], 0 offset:360
	buffer_load_dword v166, off, s[0:3], 0 offset:368
	buffer_load_dword v167, off, s[0:3], 0 offset:376
	buffer_load_dword v168, off, s[0:3], 0 offset:384
	buffer_load_dword v169, off, s[0:3], 0 offset:392
	buffer_load_dword v170, off, s[0:3], 0 offset:400
	buffer_load_dword v171, off, s[0:3], 0 offset:408
	buffer_load_dword v172, off, s[0:3], 0 offset:416
	buffer_load_dword v173, off, s[0:3], 0 offset:424
	buffer_load_dword v174, off, s[0:3], 0 offset:432
	buffer_load_dword v175, off, s[0:3], 0 offset:440
	buffer_load_dword v176, off, s[0:3], 0 offset:448
	buffer_load_dword v177, off, s[0:3], 0 offset:328
	buffer_load_dword v178, off, s[0:3], 0 offset:332
	v_mov_b32_e32 v1, 0
	ds_read_b128 v[2:5], v1 offset:800
	ds_read_b128 v[6:9], v1 offset:816
	;; [unrolled: 1-line block ×7, first 2 shown]
	ds_read_b64 v[10:11], v1 offset:912
	s_mov_b32 s4, exec_lo
	s_waitcnt vmcnt(31) lgkmcnt(7)
	v_mul_f32_e32 v179, v2, v12
	v_mul_f32_e32 v12, v3, v12
	s_waitcnt vmcnt(30)
	v_mul_f32_e32 v180, v4, v148
	v_mul_f32_e32 v148, v5, v148
	s_waitcnt vmcnt(29) lgkmcnt(6)
	v_mul_f32_e32 v181, v6, v149
	s_waitcnt vmcnt(28)
	v_mul_f32_e32 v182, v8, v150
	s_waitcnt vmcnt(27) lgkmcnt(5)
	v_mul_f32_e32 v183, v128, v151
	s_waitcnt vmcnt(26)
	;; [unrolled: 4-line block ×6, first 2 shown]
	v_fma_f32 v2, v2, v162, -v12
	v_fmac_f32_e32 v179, v3, v162
	v_mul_f32_e32 v3, v7, v149
	s_waitcnt vmcnt(15)
	v_fma_f32 v4, v4, v163, -v148
	v_fmac_f32_e32 v180, v5, v163
	v_add_f32_e32 v2, 0, v2
	v_add_f32_e32 v5, 0, v179
	v_mul_f32_e32 v12, v9, v150
	s_waitcnt vmcnt(14)
	v_fma_f32 v3, v6, v164, -v3
	v_fmac_f32_e32 v181, v7, v164
	v_add_f32_e32 v2, v2, v4
	v_add_f32_e32 v4, v5, v180
	;; [unrolled: 6-line block ×11, first 2 shown]
	v_mul_f32_e32 v5, v147, v160
	s_waitcnt vmcnt(4)
	v_fma_f32 v6, v144, v174, -v6
	v_mul_f32_e32 v192, v146, v160
	v_add_f32_e32 v2, v2, v4
	v_fmac_f32_e32 v191, v145, v174
	v_add_f32_e32 v3, v3, v190
	s_waitcnt lgkmcnt(0)
	v_mul_f32_e32 v4, v11, v161
	s_waitcnt vmcnt(3)
	v_fma_f32 v5, v146, v175, -v5
	v_add_f32_e32 v2, v2, v6
	v_mul_f32_e32 v193, v10, v161
	v_fmac_f32_e32 v192, v147, v175
	v_add_f32_e32 v3, v3, v191
	s_waitcnt vmcnt(2)
	v_fma_f32 v4, v10, v176, -v4
	v_add_f32_e32 v2, v2, v5
	v_fmac_f32_e32 v193, v11, v176
	v_add_f32_e32 v3, v3, v192
	v_add_f32_e32 v2, v2, v4
	;; [unrolled: 1-line block ×3, first 2 shown]
	s_waitcnt vmcnt(1)
	v_sub_f32_e32 v2, v177, v2
	s_waitcnt vmcnt(0)
	v_sub_f32_e32 v3, v178, v3
	buffer_store_dword v2, off, s[0:3], 0 offset:328
	buffer_store_dword v3, off, s[0:3], 0 offset:332
	v_cmpx_lt_u32_e32 40, v0
	s_cbranch_execz .LBB56_275
; %bb.274:
	s_clause 0x1
	buffer_load_dword v2, off, s[0:3], 0 offset:320
	buffer_load_dword v3, off, s[0:3], 0 offset:324
	buffer_store_dword v1, off, s[0:3], 0 offset:320
	buffer_store_dword v1, off, s[0:3], 0 offset:324
	s_waitcnt vmcnt(0)
	ds_write_b64 v127, v[2:3]
.LBB56_275:
	s_or_b32 exec_lo, exec_lo, s4
	s_waitcnt lgkmcnt(0)
	s_waitcnt_vscnt null, 0x0
	s_barrier
	buffer_gl0_inv
	s_clause 0x21
	buffer_load_dword v10, off, s[0:3], 0 offset:332
	buffer_load_dword v11, off, s[0:3], 0 offset:340
	;; [unrolled: 1-line block ×34, first 2 shown]
	ds_read2_b64 v[2:5], v1 offset0:99 offset1:100
	ds_read2_b64 v[6:9], v1 offset0:101 offset1:102
	;; [unrolled: 1-line block ×8, first 2 shown]
	s_mov_b32 s4, exec_lo
	s_waitcnt vmcnt(33) lgkmcnt(7)
	v_mul_f32_e32 v1, v2, v10
	v_mul_f32_e32 v10, v3, v10
	s_waitcnt vmcnt(32)
	v_mul_f32_e32 v183, v4, v11
	v_mul_f32_e32 v11, v5, v11
	s_waitcnt vmcnt(31) lgkmcnt(6)
	v_mul_f32_e32 v184, v6, v12
	s_waitcnt vmcnt(30)
	v_mul_f32_e32 v185, v8, v152
	s_waitcnt vmcnt(29) lgkmcnt(5)
	v_mul_f32_e32 v186, v128, v153
	s_waitcnt vmcnt(28)
	;; [unrolled: 4-line block ×6, first 2 shown]
	v_mul_f32_e32 v195, v146, v162
	s_waitcnt vmcnt(17)
	v_fma_f32 v2, v2, v165, -v10
	v_fmac_f32_e32 v1, v3, v165
	v_mul_f32_e32 v3, v7, v12
	s_waitcnt vmcnt(16)
	v_fma_f32 v4, v4, v166, -v11
	v_fmac_f32_e32 v183, v5, v166
	v_add_f32_e32 v2, 0, v2
	v_add_f32_e32 v1, 0, v1
	v_mul_f32_e32 v5, v9, v152
	s_waitcnt vmcnt(15)
	v_fma_f32 v3, v6, v167, -v3
	v_fmac_f32_e32 v184, v7, v167
	v_add_f32_e32 v2, v2, v4
	v_add_f32_e32 v1, v1, v183
	;; [unrolled: 6-line block ×12, first 2 shown]
	s_waitcnt lgkmcnt(0)
	v_mul_f32_e32 v3, v149, v163
	s_waitcnt vmcnt(4)
	v_fma_f32 v4, v146, v178, -v4
	v_mul_f32_e32 v196, v148, v163
	v_add_f32_e32 v2, v2, v5
	v_fmac_f32_e32 v195, v147, v178
	v_add_f32_e32 v1, v1, v194
	v_mul_f32_e32 v5, v151, v164
	s_waitcnt vmcnt(3)
	v_fma_f32 v3, v148, v179, -v3
	v_add_f32_e32 v2, v2, v4
	v_mul_f32_e32 v197, v150, v164
	v_fmac_f32_e32 v196, v149, v179
	v_add_f32_e32 v1, v1, v195
	s_waitcnt vmcnt(2)
	v_fma_f32 v4, v150, v180, -v5
	v_add_f32_e32 v2, v2, v3
	v_fmac_f32_e32 v197, v151, v180
	v_add_f32_e32 v1, v1, v196
	v_add_f32_e32 v2, v2, v4
	;; [unrolled: 1-line block ×3, first 2 shown]
	s_waitcnt vmcnt(1)
	v_sub_f32_e32 v2, v181, v2
	s_waitcnt vmcnt(0)
	v_sub_f32_e32 v1, v182, v1
	buffer_store_dword v2, off, s[0:3], 0 offset:320
	buffer_store_dword v1, off, s[0:3], 0 offset:324
	v_cmpx_lt_u32_e32 39, v0
	s_cbranch_execz .LBB56_277
; %bb.276:
	s_clause 0x1
	buffer_load_dword v1, off, s[0:3], 0 offset:312
	buffer_load_dword v2, off, s[0:3], 0 offset:316
	v_mov_b32_e32 v3, 0
	buffer_store_dword v3, off, s[0:3], 0 offset:312
	buffer_store_dword v3, off, s[0:3], 0 offset:316
	s_waitcnt vmcnt(0)
	ds_write_b64 v127, v[1:2]
.LBB56_277:
	s_or_b32 exec_lo, exec_lo, s4
	s_waitcnt lgkmcnt(0)
	s_waitcnt_vscnt null, 0x0
	s_barrier
	buffer_gl0_inv
	s_clause 0x23
	buffer_load_dword v12, off, s[0:3], 0 offset:324
	buffer_load_dword v152, off, s[0:3], 0 offset:332
	;; [unrolled: 1-line block ×36, first 2 shown]
	v_mov_b32_e32 v1, 0
	ds_read_b128 v[2:5], v1 offset:784
	ds_read_b128 v[6:9], v1 offset:800
	;; [unrolled: 1-line block ×8, first 2 shown]
	ds_read_b64 v[10:11], v1 offset:912
	s_mov_b32 s4, exec_lo
	s_waitcnt vmcnt(35) lgkmcnt(8)
	v_mul_f32_e32 v187, v2, v12
	v_mul_f32_e32 v12, v3, v12
	s_waitcnt vmcnt(34)
	v_mul_f32_e32 v188, v4, v152
	v_mul_f32_e32 v152, v5, v152
	s_waitcnt vmcnt(33) lgkmcnt(7)
	v_mul_f32_e32 v189, v6, v153
	s_waitcnt vmcnt(32)
	v_mul_f32_e32 v190, v8, v154
	s_waitcnt vmcnt(31) lgkmcnt(6)
	v_mul_f32_e32 v191, v128, v155
	s_waitcnt vmcnt(30)
	;; [unrolled: 4-line block ×7, first 2 shown]
	v_fma_f32 v2, v2, v168, -v12
	v_fmac_f32_e32 v187, v3, v168
	v_mul_f32_e32 v3, v7, v153
	s_waitcnt vmcnt(17)
	v_fma_f32 v4, v4, v169, -v152
	v_fmac_f32_e32 v188, v5, v169
	v_add_f32_e32 v2, 0, v2
	v_add_f32_e32 v5, 0, v187
	v_mul_f32_e32 v12, v9, v154
	s_waitcnt vmcnt(16)
	v_fma_f32 v3, v6, v170, -v3
	v_fmac_f32_e32 v189, v7, v170
	v_add_f32_e32 v2, v2, v4
	v_add_f32_e32 v4, v5, v188
	;; [unrolled: 6-line block ×13, first 2 shown]
	v_mul_f32_e32 v6, v151, v166
	s_waitcnt vmcnt(4)
	v_fma_f32 v4, v148, v182, -v4
	v_mul_f32_e32 v202, v150, v166
	v_add_f32_e32 v2, v2, v5
	v_fmac_f32_e32 v201, v149, v182
	v_add_f32_e32 v3, v3, v200
	s_waitcnt lgkmcnt(0)
	v_mul_f32_e32 v5, v11, v167
	s_waitcnt vmcnt(3)
	v_fma_f32 v6, v150, v183, -v6
	v_add_f32_e32 v2, v2, v4
	v_mul_f32_e32 v203, v10, v167
	v_fmac_f32_e32 v202, v151, v183
	v_add_f32_e32 v3, v3, v201
	s_waitcnt vmcnt(2)
	v_fma_f32 v4, v10, v184, -v5
	v_add_f32_e32 v2, v2, v6
	v_fmac_f32_e32 v203, v11, v184
	v_add_f32_e32 v3, v3, v202
	v_add_f32_e32 v2, v2, v4
	;; [unrolled: 1-line block ×3, first 2 shown]
	s_waitcnt vmcnt(1)
	v_sub_f32_e32 v2, v185, v2
	s_waitcnt vmcnt(0)
	v_sub_f32_e32 v3, v186, v3
	buffer_store_dword v2, off, s[0:3], 0 offset:312
	buffer_store_dword v3, off, s[0:3], 0 offset:316
	v_cmpx_lt_u32_e32 38, v0
	s_cbranch_execz .LBB56_279
; %bb.278:
	s_clause 0x1
	buffer_load_dword v2, off, s[0:3], 0 offset:304
	buffer_load_dword v3, off, s[0:3], 0 offset:308
	buffer_store_dword v1, off, s[0:3], 0 offset:304
	buffer_store_dword v1, off, s[0:3], 0 offset:308
	s_waitcnt vmcnt(0)
	ds_write_b64 v127, v[2:3]
.LBB56_279:
	s_or_b32 exec_lo, exec_lo, s4
	s_waitcnt lgkmcnt(0)
	s_waitcnt_vscnt null, 0x0
	s_barrier
	buffer_gl0_inv
	s_clause 0x25
	buffer_load_dword v10, off, s[0:3], 0 offset:316
	buffer_load_dword v11, off, s[0:3], 0 offset:324
	;; [unrolled: 1-line block ×38, first 2 shown]
	ds_read2_b64 v[2:5], v1 offset0:97 offset1:98
	ds_read2_b64 v[6:9], v1 offset0:99 offset1:100
	;; [unrolled: 1-line block ×9, first 2 shown]
	s_mov_b32 s4, exec_lo
	s_waitcnt vmcnt(37) lgkmcnt(8)
	v_mul_f32_e32 v1, v2, v10
	v_mul_f32_e32 v10, v3, v10
	s_waitcnt vmcnt(36)
	v_mul_f32_e32 v191, v4, v11
	v_mul_f32_e32 v11, v5, v11
	s_waitcnt vmcnt(35) lgkmcnt(7)
	v_mul_f32_e32 v192, v6, v12
	s_waitcnt vmcnt(34)
	v_mul_f32_e32 v193, v8, v156
	s_waitcnt vmcnt(33) lgkmcnt(6)
	v_mul_f32_e32 v194, v128, v157
	s_waitcnt vmcnt(32)
	;; [unrolled: 4-line block ×7, first 2 shown]
	v_mul_f32_e32 v205, v150, v168
	s_waitcnt vmcnt(19)
	v_fma_f32 v2, v2, v171, -v10
	v_fmac_f32_e32 v1, v3, v171
	v_mul_f32_e32 v3, v7, v12
	s_waitcnt vmcnt(18)
	v_fma_f32 v4, v4, v172, -v11
	v_fmac_f32_e32 v191, v5, v172
	v_add_f32_e32 v2, 0, v2
	v_add_f32_e32 v1, 0, v1
	v_mul_f32_e32 v5, v9, v156
	s_waitcnt vmcnt(17)
	v_fma_f32 v3, v6, v173, -v3
	v_fmac_f32_e32 v192, v7, v173
	v_add_f32_e32 v2, v2, v4
	v_add_f32_e32 v1, v1, v191
	;; [unrolled: 6-line block ×14, first 2 shown]
	s_waitcnt lgkmcnt(0)
	v_mul_f32_e32 v4, v153, v169
	s_waitcnt vmcnt(4)
	v_fma_f32 v5, v150, v186, -v5
	v_mul_f32_e32 v206, v152, v169
	v_add_f32_e32 v2, v2, v3
	v_fmac_f32_e32 v205, v151, v186
	v_add_f32_e32 v1, v1, v204
	v_mul_f32_e32 v3, v155, v170
	s_waitcnt vmcnt(3)
	v_fma_f32 v4, v152, v187, -v4
	v_add_f32_e32 v2, v2, v5
	v_mul_f32_e32 v207, v154, v170
	v_fmac_f32_e32 v206, v153, v187
	v_add_f32_e32 v1, v1, v205
	s_waitcnt vmcnt(2)
	v_fma_f32 v3, v154, v188, -v3
	v_add_f32_e32 v2, v2, v4
	v_fmac_f32_e32 v207, v155, v188
	v_add_f32_e32 v1, v1, v206
	v_add_f32_e32 v2, v2, v3
	v_add_f32_e32 v1, v1, v207
	s_waitcnt vmcnt(1)
	v_sub_f32_e32 v2, v189, v2
	s_waitcnt vmcnt(0)
	v_sub_f32_e32 v1, v190, v1
	buffer_store_dword v2, off, s[0:3], 0 offset:304
	buffer_store_dword v1, off, s[0:3], 0 offset:308
	v_cmpx_lt_u32_e32 37, v0
	s_cbranch_execz .LBB56_281
; %bb.280:
	s_clause 0x1
	buffer_load_dword v1, off, s[0:3], 0 offset:296
	buffer_load_dword v2, off, s[0:3], 0 offset:300
	v_mov_b32_e32 v3, 0
	buffer_store_dword v3, off, s[0:3], 0 offset:296
	buffer_store_dword v3, off, s[0:3], 0 offset:300
	s_waitcnt vmcnt(0)
	ds_write_b64 v127, v[1:2]
.LBB56_281:
	s_or_b32 exec_lo, exec_lo, s4
	s_waitcnt lgkmcnt(0)
	s_waitcnt_vscnt null, 0x0
	s_barrier
	buffer_gl0_inv
	s_clause 0x27
	buffer_load_dword v12, off, s[0:3], 0 offset:308
	buffer_load_dword v156, off, s[0:3], 0 offset:316
	;; [unrolled: 1-line block ×40, first 2 shown]
	v_mov_b32_e32 v1, 0
	ds_read_b128 v[2:5], v1 offset:768
	ds_read_b128 v[6:9], v1 offset:784
	;; [unrolled: 1-line block ×9, first 2 shown]
	ds_read_b64 v[10:11], v1 offset:912
	s_mov_b32 s4, exec_lo
	s_waitcnt vmcnt(39) lgkmcnt(9)
	v_mul_f32_e32 v195, v2, v12
	v_mul_f32_e32 v12, v3, v12
	s_waitcnt vmcnt(38)
	v_mul_f32_e32 v196, v4, v156
	v_mul_f32_e32 v156, v5, v156
	s_waitcnt vmcnt(37) lgkmcnt(8)
	v_mul_f32_e32 v197, v6, v157
	s_waitcnt vmcnt(36)
	v_mul_f32_e32 v198, v8, v158
	s_waitcnt vmcnt(35) lgkmcnt(7)
	v_mul_f32_e32 v199, v128, v159
	s_waitcnt vmcnt(34)
	;; [unrolled: 4-line block ×8, first 2 shown]
	v_fma_f32 v2, v2, v174, -v12
	v_fmac_f32_e32 v195, v3, v174
	v_mul_f32_e32 v3, v7, v157
	s_waitcnt vmcnt(19)
	v_fma_f32 v4, v4, v175, -v156
	v_fmac_f32_e32 v196, v5, v175
	v_add_f32_e32 v2, 0, v2
	v_add_f32_e32 v5, 0, v195
	v_mul_f32_e32 v12, v9, v158
	s_waitcnt vmcnt(18)
	v_fma_f32 v3, v6, v176, -v3
	v_fmac_f32_e32 v197, v7, v176
	v_add_f32_e32 v2, v2, v4
	v_add_f32_e32 v4, v5, v196
	;; [unrolled: 6-line block ×15, first 2 shown]
	v_mul_f32_e32 v4, v155, v172
	s_waitcnt vmcnt(4)
	v_fma_f32 v5, v152, v190, -v5
	v_mul_f32_e32 v212, v154, v172
	v_add_f32_e32 v2, v2, v6
	v_fmac_f32_e32 v211, v153, v190
	v_add_f32_e32 v3, v3, v210
	s_waitcnt lgkmcnt(0)
	v_mul_f32_e32 v6, v11, v173
	s_waitcnt vmcnt(3)
	v_fma_f32 v4, v154, v191, -v4
	v_add_f32_e32 v2, v2, v5
	v_mul_f32_e32 v213, v10, v173
	v_fmac_f32_e32 v212, v155, v191
	v_add_f32_e32 v3, v3, v211
	s_waitcnt vmcnt(2)
	v_fma_f32 v5, v10, v192, -v6
	v_add_f32_e32 v2, v2, v4
	v_fmac_f32_e32 v213, v11, v192
	v_add_f32_e32 v3, v3, v212
	v_add_f32_e32 v2, v2, v5
	;; [unrolled: 1-line block ×3, first 2 shown]
	s_waitcnt vmcnt(1)
	v_sub_f32_e32 v2, v193, v2
	s_waitcnt vmcnt(0)
	v_sub_f32_e32 v3, v194, v3
	buffer_store_dword v2, off, s[0:3], 0 offset:296
	buffer_store_dword v3, off, s[0:3], 0 offset:300
	v_cmpx_lt_u32_e32 36, v0
	s_cbranch_execz .LBB56_283
; %bb.282:
	s_clause 0x1
	buffer_load_dword v2, off, s[0:3], 0 offset:288
	buffer_load_dword v3, off, s[0:3], 0 offset:292
	buffer_store_dword v1, off, s[0:3], 0 offset:288
	buffer_store_dword v1, off, s[0:3], 0 offset:292
	s_waitcnt vmcnt(0)
	ds_write_b64 v127, v[2:3]
.LBB56_283:
	s_or_b32 exec_lo, exec_lo, s4
	s_waitcnt lgkmcnt(0)
	s_waitcnt_vscnt null, 0x0
	s_barrier
	buffer_gl0_inv
	s_clause 0x29
	buffer_load_dword v10, off, s[0:3], 0 offset:300
	buffer_load_dword v11, off, s[0:3], 0 offset:308
	;; [unrolled: 1-line block ×42, first 2 shown]
	ds_read2_b64 v[2:5], v1 offset0:95 offset1:96
	ds_read2_b64 v[6:9], v1 offset0:97 offset1:98
	ds_read2_b64 v[128:131], v1 offset0:99 offset1:100
	ds_read2_b64 v[132:135], v1 offset0:101 offset1:102
	ds_read2_b64 v[136:139], v1 offset0:103 offset1:104
	ds_read2_b64 v[140:143], v1 offset0:105 offset1:106
	ds_read2_b64 v[144:147], v1 offset0:107 offset1:108
	ds_read2_b64 v[148:151], v1 offset0:109 offset1:110
	ds_read2_b64 v[152:155], v1 offset0:111 offset1:112
	ds_read2_b64 v[156:159], v1 offset0:113 offset1:114
	s_mov_b32 s4, exec_lo
	s_waitcnt vmcnt(41) lgkmcnt(9)
	v_mul_f32_e32 v1, v2, v10
	v_mul_f32_e32 v10, v3, v10
	s_waitcnt vmcnt(40)
	v_mul_f32_e32 v199, v4, v11
	v_mul_f32_e32 v11, v5, v11
	s_waitcnt vmcnt(39) lgkmcnt(8)
	v_mul_f32_e32 v200, v6, v12
	s_waitcnt vmcnt(38)
	v_mul_f32_e32 v201, v8, v160
	s_waitcnt vmcnt(37) lgkmcnt(7)
	v_mul_f32_e32 v202, v128, v161
	s_waitcnt vmcnt(36)
	;; [unrolled: 4-line block ×8, first 2 shown]
	v_mul_f32_e32 v215, v154, v174
	s_waitcnt vmcnt(21)
	v_fma_f32 v2, v2, v177, -v10
	v_fmac_f32_e32 v1, v3, v177
	v_mul_f32_e32 v3, v7, v12
	s_waitcnt vmcnt(20)
	v_fma_f32 v4, v4, v178, -v11
	v_fmac_f32_e32 v199, v5, v178
	v_add_f32_e32 v2, 0, v2
	v_add_f32_e32 v1, 0, v1
	v_mul_f32_e32 v5, v9, v160
	s_waitcnt vmcnt(19)
	v_fma_f32 v3, v6, v179, -v3
	v_fmac_f32_e32 v200, v7, v179
	v_add_f32_e32 v2, v2, v4
	v_add_f32_e32 v1, v1, v199
	;; [unrolled: 6-line block ×16, first 2 shown]
	s_waitcnt lgkmcnt(0)
	v_mul_f32_e32 v5, v157, v175
	s_waitcnt vmcnt(4)
	v_fma_f32 v3, v154, v194, -v3
	v_mul_f32_e32 v216, v156, v175
	v_add_f32_e32 v2, v2, v4
	v_fmac_f32_e32 v215, v155, v194
	v_add_f32_e32 v1, v1, v214
	v_mul_f32_e32 v4, v159, v176
	s_waitcnt vmcnt(3)
	v_fma_f32 v5, v156, v195, -v5
	v_add_f32_e32 v2, v2, v3
	v_mul_f32_e32 v217, v158, v176
	v_fmac_f32_e32 v216, v157, v195
	v_add_f32_e32 v1, v1, v215
	s_waitcnt vmcnt(2)
	v_fma_f32 v3, v158, v196, -v4
	v_add_f32_e32 v2, v2, v5
	v_fmac_f32_e32 v217, v159, v196
	v_add_f32_e32 v1, v1, v216
	v_add_f32_e32 v2, v2, v3
	;; [unrolled: 1-line block ×3, first 2 shown]
	s_waitcnt vmcnt(1)
	v_sub_f32_e32 v2, v197, v2
	s_waitcnt vmcnt(0)
	v_sub_f32_e32 v1, v198, v1
	buffer_store_dword v2, off, s[0:3], 0 offset:288
	buffer_store_dword v1, off, s[0:3], 0 offset:292
	v_cmpx_lt_u32_e32 35, v0
	s_cbranch_execz .LBB56_285
; %bb.284:
	s_clause 0x1
	buffer_load_dword v1, off, s[0:3], 0 offset:280
	buffer_load_dword v2, off, s[0:3], 0 offset:284
	v_mov_b32_e32 v3, 0
	buffer_store_dword v3, off, s[0:3], 0 offset:280
	buffer_store_dword v3, off, s[0:3], 0 offset:284
	s_waitcnt vmcnt(0)
	ds_write_b64 v127, v[1:2]
.LBB56_285:
	s_or_b32 exec_lo, exec_lo, s4
	s_waitcnt lgkmcnt(0)
	s_waitcnt_vscnt null, 0x0
	s_barrier
	buffer_gl0_inv
	s_clause 0x2b
	buffer_load_dword v12, off, s[0:3], 0 offset:292
	buffer_load_dword v160, off, s[0:3], 0 offset:300
	;; [unrolled: 1-line block ×44, first 2 shown]
	v_mov_b32_e32 v1, 0
	ds_read_b128 v[2:5], v1 offset:752
	ds_read_b128 v[6:9], v1 offset:768
	;; [unrolled: 1-line block ×10, first 2 shown]
	ds_read_b64 v[10:11], v1 offset:912
	s_mov_b32 s4, exec_lo
	s_waitcnt vmcnt(43) lgkmcnt(10)
	v_mul_f32_e32 v203, v2, v12
	v_mul_f32_e32 v12, v3, v12
	s_waitcnt vmcnt(42)
	v_mul_f32_e32 v204, v4, v160
	v_mul_f32_e32 v160, v5, v160
	s_waitcnt vmcnt(41) lgkmcnt(9)
	v_mul_f32_e32 v205, v6, v161
	s_waitcnt vmcnt(40)
	v_mul_f32_e32 v206, v8, v162
	s_waitcnt vmcnt(39) lgkmcnt(8)
	v_mul_f32_e32 v207, v128, v163
	s_waitcnt vmcnt(38)
	;; [unrolled: 4-line block ×9, first 2 shown]
	v_fma_f32 v2, v2, v180, -v12
	v_fmac_f32_e32 v203, v3, v180
	v_mul_f32_e32 v3, v7, v161
	s_waitcnt vmcnt(21)
	v_fma_f32 v4, v4, v181, -v160
	v_fmac_f32_e32 v204, v5, v181
	v_add_f32_e32 v2, 0, v2
	v_add_f32_e32 v5, 0, v203
	v_mul_f32_e32 v12, v9, v162
	s_waitcnt vmcnt(20)
	v_fma_f32 v3, v6, v182, -v3
	v_fmac_f32_e32 v205, v7, v182
	v_add_f32_e32 v2, v2, v4
	v_add_f32_e32 v4, v5, v204
	v_mul_f32_e32 v5, v129, v163
	s_waitcnt vmcnt(19)
	v_fma_f32 v6, v8, v183, -v12
	v_fmac_f32_e32 v206, v9, v183
	v_add_f32_e32 v2, v2, v3
	v_add_f32_e32 v3, v4, v205
	v_mul_f32_e32 v4, v131, v164
	s_waitcnt vmcnt(18)
	v_fma_f32 v5, v128, v184, -v5
	v_fmac_f32_e32 v207, v129, v184
	v_add_f32_e32 v2, v2, v6
	v_add_f32_e32 v3, v3, v206
	v_mul_f32_e32 v6, v133, v165
	s_waitcnt vmcnt(17)
	v_fma_f32 v4, v130, v185, -v4
	v_fmac_f32_e32 v208, v131, v185
	v_add_f32_e32 v2, v2, v5
	v_add_f32_e32 v3, v3, v207
	v_mul_f32_e32 v5, v135, v166
	s_waitcnt vmcnt(16)
	v_fma_f32 v6, v132, v186, -v6
	v_fmac_f32_e32 v209, v133, v186
	v_add_f32_e32 v2, v2, v4
	v_add_f32_e32 v3, v3, v208
	v_mul_f32_e32 v4, v137, v167
	s_waitcnt vmcnt(15)
	v_fma_f32 v5, v134, v187, -v5
	v_fmac_f32_e32 v210, v135, v187
	v_add_f32_e32 v2, v2, v6
	v_add_f32_e32 v3, v3, v209
	v_mul_f32_e32 v6, v139, v168
	s_waitcnt vmcnt(14)
	v_fma_f32 v4, v136, v188, -v4
	v_fmac_f32_e32 v211, v137, v188
	v_add_f32_e32 v2, v2, v5
	v_add_f32_e32 v3, v3, v210
	v_mul_f32_e32 v5, v141, v169
	s_waitcnt vmcnt(13)
	v_fma_f32 v6, v138, v189, -v6
	v_fmac_f32_e32 v212, v139, v189
	v_add_f32_e32 v2, v2, v4
	v_add_f32_e32 v3, v3, v211
	v_mul_f32_e32 v4, v143, v170
	s_waitcnt vmcnt(12)
	v_fma_f32 v5, v140, v190, -v5
	v_fmac_f32_e32 v213, v141, v190
	v_add_f32_e32 v2, v2, v6
	v_add_f32_e32 v3, v3, v212
	v_mul_f32_e32 v6, v145, v171
	s_waitcnt vmcnt(11)
	v_fma_f32 v4, v142, v191, -v4
	v_fmac_f32_e32 v214, v143, v191
	v_add_f32_e32 v2, v2, v5
	v_add_f32_e32 v3, v3, v213
	v_mul_f32_e32 v5, v147, v172
	s_waitcnt vmcnt(10)
	v_fma_f32 v6, v144, v192, -v6
	v_fmac_f32_e32 v215, v145, v192
	v_add_f32_e32 v2, v2, v4
	v_add_f32_e32 v3, v3, v214
	v_mul_f32_e32 v4, v149, v173
	s_waitcnt vmcnt(9)
	v_fma_f32 v5, v146, v193, -v5
	v_fmac_f32_e32 v216, v147, v193
	v_add_f32_e32 v2, v2, v6
	v_add_f32_e32 v3, v3, v215
	v_mul_f32_e32 v6, v151, v174
	s_waitcnt vmcnt(8)
	v_fma_f32 v4, v148, v194, -v4
	v_fmac_f32_e32 v217, v149, v194
	v_add_f32_e32 v2, v2, v5
	v_add_f32_e32 v3, v3, v216
	v_mul_f32_e32 v5, v153, v175
	s_waitcnt vmcnt(7)
	v_fma_f32 v6, v150, v195, -v6
	v_fmac_f32_e32 v218, v151, v195
	v_add_f32_e32 v2, v2, v4
	v_add_f32_e32 v3, v3, v217
	v_mul_f32_e32 v4, v155, v176
	s_waitcnt vmcnt(6)
	v_fma_f32 v5, v152, v196, -v5
	v_fmac_f32_e32 v219, v153, v196
	v_add_f32_e32 v2, v2, v6
	v_add_f32_e32 v3, v3, v218
	v_mul_f32_e32 v6, v157, v177
	s_waitcnt vmcnt(5)
	v_fma_f32 v4, v154, v197, -v4
	v_fmac_f32_e32 v220, v155, v197
	v_add_f32_e32 v2, v2, v5
	v_add_f32_e32 v3, v3, v219
	v_mul_f32_e32 v5, v159, v178
	s_waitcnt vmcnt(4)
	v_fma_f32 v6, v156, v198, -v6
	v_mul_f32_e32 v222, v158, v178
	v_add_f32_e32 v2, v2, v4
	v_fmac_f32_e32 v221, v157, v198
	v_add_f32_e32 v3, v3, v220
	s_waitcnt lgkmcnt(0)
	v_mul_f32_e32 v4, v11, v179
	s_waitcnt vmcnt(3)
	v_fma_f32 v5, v158, v199, -v5
	v_add_f32_e32 v2, v2, v6
	v_mul_f32_e32 v223, v10, v179
	v_fmac_f32_e32 v222, v159, v199
	v_add_f32_e32 v3, v3, v221
	s_waitcnt vmcnt(2)
	v_fma_f32 v4, v10, v200, -v4
	v_add_f32_e32 v2, v2, v5
	v_fmac_f32_e32 v223, v11, v200
	v_add_f32_e32 v3, v3, v222
	v_add_f32_e32 v2, v2, v4
	;; [unrolled: 1-line block ×3, first 2 shown]
	s_waitcnt vmcnt(1)
	v_sub_f32_e32 v2, v201, v2
	s_waitcnt vmcnt(0)
	v_sub_f32_e32 v3, v202, v3
	buffer_store_dword v2, off, s[0:3], 0 offset:280
	buffer_store_dword v3, off, s[0:3], 0 offset:284
	v_cmpx_lt_u32_e32 34, v0
	s_cbranch_execz .LBB56_287
; %bb.286:
	s_clause 0x1
	buffer_load_dword v2, off, s[0:3], 0 offset:272
	buffer_load_dword v3, off, s[0:3], 0 offset:276
	buffer_store_dword v1, off, s[0:3], 0 offset:272
	buffer_store_dword v1, off, s[0:3], 0 offset:276
	s_waitcnt vmcnt(0)
	ds_write_b64 v127, v[2:3]
.LBB56_287:
	s_or_b32 exec_lo, exec_lo, s4
	s_waitcnt lgkmcnt(0)
	s_waitcnt_vscnt null, 0x0
	s_barrier
	buffer_gl0_inv
	s_clause 0x2d
	buffer_load_dword v10, off, s[0:3], 0 offset:284
	buffer_load_dword v11, off, s[0:3], 0 offset:292
	;; [unrolled: 1-line block ×46, first 2 shown]
	ds_read2_b64 v[2:5], v1 offset0:93 offset1:94
	ds_read2_b64 v[6:9], v1 offset0:95 offset1:96
	;; [unrolled: 1-line block ×11, first 2 shown]
	s_mov_b32 s4, exec_lo
	s_waitcnt vmcnt(45) lgkmcnt(10)
	v_mul_f32_e32 v1, v2, v10
	v_mul_f32_e32 v10, v3, v10
	s_waitcnt vmcnt(44)
	v_mul_f32_e32 v207, v4, v11
	v_mul_f32_e32 v11, v5, v11
	s_waitcnt vmcnt(43) lgkmcnt(9)
	v_mul_f32_e32 v208, v6, v12
	s_waitcnt vmcnt(42)
	v_mul_f32_e32 v209, v8, v164
	s_waitcnt vmcnt(41) lgkmcnt(8)
	v_mul_f32_e32 v210, v128, v165
	s_waitcnt vmcnt(40)
	;; [unrolled: 4-line block ×9, first 2 shown]
	v_mul_f32_e32 v225, v158, v180
	s_waitcnt vmcnt(23)
	v_fma_f32 v2, v2, v183, -v10
	v_fmac_f32_e32 v1, v3, v183
	v_mul_f32_e32 v3, v7, v12
	s_waitcnt vmcnt(22)
	v_fma_f32 v4, v4, v184, -v11
	v_fmac_f32_e32 v207, v5, v184
	v_add_f32_e32 v2, 0, v2
	v_add_f32_e32 v1, 0, v1
	v_mul_f32_e32 v5, v9, v164
	s_waitcnt vmcnt(21)
	v_fma_f32 v3, v6, v185, -v3
	v_fmac_f32_e32 v208, v7, v185
	v_add_f32_e32 v2, v2, v4
	v_add_f32_e32 v1, v1, v207
	;; [unrolled: 6-line block ×18, first 2 shown]
	s_waitcnt lgkmcnt(0)
	v_mul_f32_e32 v3, v161, v181
	s_waitcnt vmcnt(4)
	v_fma_f32 v4, v158, v202, -v4
	v_mul_f32_e32 v226, v160, v181
	v_add_f32_e32 v2, v2, v5
	v_fmac_f32_e32 v225, v159, v202
	v_add_f32_e32 v1, v1, v224
	v_mul_f32_e32 v5, v163, v182
	s_waitcnt vmcnt(3)
	v_fma_f32 v3, v160, v203, -v3
	v_add_f32_e32 v2, v2, v4
	v_mul_f32_e32 v227, v162, v182
	v_fmac_f32_e32 v226, v161, v203
	v_add_f32_e32 v1, v1, v225
	s_waitcnt vmcnt(2)
	v_fma_f32 v4, v162, v204, -v5
	v_add_f32_e32 v2, v2, v3
	v_fmac_f32_e32 v227, v163, v204
	v_add_f32_e32 v1, v1, v226
	v_add_f32_e32 v2, v2, v4
	;; [unrolled: 1-line block ×3, first 2 shown]
	s_waitcnt vmcnt(1)
	v_sub_f32_e32 v2, v205, v2
	s_waitcnt vmcnt(0)
	v_sub_f32_e32 v1, v206, v1
	buffer_store_dword v2, off, s[0:3], 0 offset:272
	buffer_store_dword v1, off, s[0:3], 0 offset:276
	v_cmpx_lt_u32_e32 33, v0
	s_cbranch_execz .LBB56_289
; %bb.288:
	s_clause 0x1
	buffer_load_dword v1, off, s[0:3], 0 offset:264
	buffer_load_dword v2, off, s[0:3], 0 offset:268
	v_mov_b32_e32 v3, 0
	buffer_store_dword v3, off, s[0:3], 0 offset:264
	buffer_store_dword v3, off, s[0:3], 0 offset:268
	s_waitcnt vmcnt(0)
	ds_write_b64 v127, v[1:2]
.LBB56_289:
	s_or_b32 exec_lo, exec_lo, s4
	s_waitcnt lgkmcnt(0)
	s_waitcnt_vscnt null, 0x0
	s_barrier
	buffer_gl0_inv
	s_clause 0x2f
	buffer_load_dword v12, off, s[0:3], 0 offset:276
	buffer_load_dword v164, off, s[0:3], 0 offset:284
	;; [unrolled: 1-line block ×48, first 2 shown]
	v_mov_b32_e32 v1, 0
	ds_read_b128 v[2:5], v1 offset:736
	ds_read_b128 v[6:9], v1 offset:752
	;; [unrolled: 1-line block ×11, first 2 shown]
	ds_read_b64 v[10:11], v1 offset:912
	s_mov_b32 s4, exec_lo
	s_waitcnt vmcnt(47) lgkmcnt(11)
	v_mul_f32_e32 v211, v2, v12
	v_mul_f32_e32 v12, v3, v12
	s_waitcnt vmcnt(46)
	v_mul_f32_e32 v212, v4, v164
	v_mul_f32_e32 v164, v5, v164
	s_waitcnt vmcnt(45) lgkmcnt(10)
	v_mul_f32_e32 v213, v6, v165
	s_waitcnt vmcnt(44)
	v_mul_f32_e32 v214, v8, v166
	s_waitcnt vmcnt(43) lgkmcnt(9)
	v_mul_f32_e32 v215, v128, v167
	s_waitcnt vmcnt(42)
	v_mul_f32_e32 v216, v130, v168
	s_waitcnt vmcnt(41) lgkmcnt(8)
	v_mul_f32_e32 v217, v132, v169
	s_waitcnt vmcnt(40)
	v_mul_f32_e32 v218, v134, v170
	s_waitcnt vmcnt(39) lgkmcnt(7)
	v_mul_f32_e32 v219, v136, v171
	s_waitcnt vmcnt(38)
	v_mul_f32_e32 v220, v138, v172
	s_waitcnt vmcnt(37) lgkmcnt(6)
	v_mul_f32_e32 v221, v140, v173
	s_waitcnt vmcnt(36)
	v_mul_f32_e32 v222, v142, v174
	s_waitcnt vmcnt(35) lgkmcnt(5)
	v_mul_f32_e32 v223, v144, v175
	s_waitcnt vmcnt(34)
	v_mul_f32_e32 v224, v146, v176
	s_waitcnt vmcnt(33) lgkmcnt(4)
	v_mul_f32_e32 v225, v148, v177
	s_waitcnt vmcnt(32)
	v_mul_f32_e32 v226, v150, v178
	s_waitcnt vmcnt(31) lgkmcnt(3)
	v_mul_f32_e32 v227, v152, v179
	s_waitcnt vmcnt(30)
	v_mul_f32_e32 v228, v154, v180
	s_waitcnt vmcnt(29) lgkmcnt(2)
	v_mul_f32_e32 v229, v156, v181
	s_waitcnt vmcnt(28)
	v_mul_f32_e32 v230, v158, v182
	s_waitcnt vmcnt(27) lgkmcnt(1)
	v_mul_f32_e32 v231, v160, v183
	s_waitcnt vmcnt(24)
	v_fma_f32 v2, v2, v186, -v12
	v_fmac_f32_e32 v211, v3, v186
	v_mul_f32_e32 v3, v7, v165
	s_waitcnt vmcnt(23)
	v_fma_f32 v4, v4, v187, -v164
	v_fmac_f32_e32 v212, v5, v187
	v_add_f32_e32 v2, 0, v2
	v_add_f32_e32 v5, 0, v211
	v_mul_f32_e32 v12, v9, v166
	s_waitcnt vmcnt(22)
	v_fma_f32 v3, v6, v188, -v3
	v_fmac_f32_e32 v213, v7, v188
	v_add_f32_e32 v2, v2, v4
	v_add_f32_e32 v4, v5, v212
	;; [unrolled: 6-line block ×19, first 2 shown]
	v_mul_f32_e32 v6, v163, v184
	s_waitcnt vmcnt(4)
	v_fma_f32 v4, v160, v206, -v4
	v_mul_f32_e32 v232, v162, v184
	v_add_f32_e32 v2, v2, v5
	v_fmac_f32_e32 v231, v161, v206
	v_add_f32_e32 v3, v3, v230
	s_waitcnt lgkmcnt(0)
	v_mul_f32_e32 v5, v11, v185
	s_waitcnt vmcnt(3)
	v_fma_f32 v6, v162, v207, -v6
	v_add_f32_e32 v2, v2, v4
	v_mul_f32_e32 v233, v10, v185
	v_fmac_f32_e32 v232, v163, v207
	v_add_f32_e32 v3, v3, v231
	s_waitcnt vmcnt(2)
	v_fma_f32 v4, v10, v208, -v5
	v_add_f32_e32 v2, v2, v6
	v_fmac_f32_e32 v233, v11, v208
	v_add_f32_e32 v3, v3, v232
	v_add_f32_e32 v2, v2, v4
	;; [unrolled: 1-line block ×3, first 2 shown]
	s_waitcnt vmcnt(1)
	v_sub_f32_e32 v2, v209, v2
	s_waitcnt vmcnt(0)
	v_sub_f32_e32 v3, v210, v3
	buffer_store_dword v2, off, s[0:3], 0 offset:264
	buffer_store_dword v3, off, s[0:3], 0 offset:268
	v_cmpx_lt_u32_e32 32, v0
	s_cbranch_execz .LBB56_291
; %bb.290:
	s_clause 0x1
	buffer_load_dword v2, off, s[0:3], 0 offset:256
	buffer_load_dword v3, off, s[0:3], 0 offset:260
	buffer_store_dword v1, off, s[0:3], 0 offset:256
	buffer_store_dword v1, off, s[0:3], 0 offset:260
	s_waitcnt vmcnt(0)
	ds_write_b64 v127, v[2:3]
.LBB56_291:
	s_or_b32 exec_lo, exec_lo, s4
	s_waitcnt lgkmcnt(0)
	s_waitcnt_vscnt null, 0x0
	s_barrier
	buffer_gl0_inv
	s_clause 0x31
	buffer_load_dword v10, off, s[0:3], 0 offset:268
	buffer_load_dword v11, off, s[0:3], 0 offset:276
	;; [unrolled: 1-line block ×50, first 2 shown]
	ds_read2_b64 v[2:5], v1 offset0:91 offset1:92
	ds_read2_b64 v[6:9], v1 offset0:93 offset1:94
	;; [unrolled: 1-line block ×12, first 2 shown]
	s_mov_b32 s4, exec_lo
	s_waitcnt vmcnt(49) lgkmcnt(11)
	v_mul_f32_e32 v1, v2, v10
	v_mul_f32_e32 v10, v3, v10
	s_waitcnt vmcnt(48)
	v_mul_f32_e32 v215, v4, v11
	v_mul_f32_e32 v11, v5, v11
	s_waitcnt vmcnt(47) lgkmcnt(10)
	v_mul_f32_e32 v216, v6, v12
	s_waitcnt vmcnt(46)
	v_mul_f32_e32 v217, v8, v168
	s_waitcnt vmcnt(45) lgkmcnt(9)
	v_mul_f32_e32 v218, v128, v169
	s_waitcnt vmcnt(44)
	;; [unrolled: 4-line block ×10, first 2 shown]
	v_mul_f32_e32 v235, v162, v186
	s_waitcnt vmcnt(25)
	v_fma_f32 v2, v2, v189, -v10
	v_fmac_f32_e32 v1, v3, v189
	v_mul_f32_e32 v3, v7, v12
	s_waitcnt vmcnt(24)
	v_fma_f32 v4, v4, v190, -v11
	v_fmac_f32_e32 v215, v5, v190
	v_add_f32_e32 v2, 0, v2
	v_add_f32_e32 v1, 0, v1
	v_mul_f32_e32 v5, v9, v168
	s_waitcnt vmcnt(23)
	v_fma_f32 v3, v6, v191, -v3
	v_fmac_f32_e32 v216, v7, v191
	v_add_f32_e32 v2, v2, v4
	v_add_f32_e32 v1, v1, v215
	;; [unrolled: 6-line block ×20, first 2 shown]
	s_waitcnt lgkmcnt(0)
	v_mul_f32_e32 v4, v165, v187
	s_waitcnt vmcnt(4)
	v_fma_f32 v5, v162, v210, -v5
	v_mul_f32_e32 v236, v164, v187
	v_add_f32_e32 v2, v2, v3
	v_fmac_f32_e32 v235, v163, v210
	v_add_f32_e32 v1, v1, v234
	v_mul_f32_e32 v3, v167, v188
	s_waitcnt vmcnt(3)
	v_fma_f32 v4, v164, v211, -v4
	v_add_f32_e32 v2, v2, v5
	v_mul_f32_e32 v237, v166, v188
	v_fmac_f32_e32 v236, v165, v211
	v_add_f32_e32 v1, v1, v235
	s_waitcnt vmcnt(2)
	v_fma_f32 v3, v166, v212, -v3
	v_add_f32_e32 v2, v2, v4
	v_fmac_f32_e32 v237, v167, v212
	v_add_f32_e32 v1, v1, v236
	v_add_f32_e32 v2, v2, v3
	;; [unrolled: 1-line block ×3, first 2 shown]
	s_waitcnt vmcnt(1)
	v_sub_f32_e32 v2, v213, v2
	s_waitcnt vmcnt(0)
	v_sub_f32_e32 v1, v214, v1
	buffer_store_dword v2, off, s[0:3], 0 offset:256
	buffer_store_dword v1, off, s[0:3], 0 offset:260
	v_cmpx_lt_u32_e32 31, v0
	s_cbranch_execz .LBB56_293
; %bb.292:
	s_clause 0x1
	buffer_load_dword v1, off, s[0:3], 0 offset:248
	buffer_load_dword v2, off, s[0:3], 0 offset:252
	v_mov_b32_e32 v3, 0
	buffer_store_dword v3, off, s[0:3], 0 offset:248
	buffer_store_dword v3, off, s[0:3], 0 offset:252
	s_waitcnt vmcnt(0)
	ds_write_b64 v127, v[1:2]
.LBB56_293:
	s_or_b32 exec_lo, exec_lo, s4
	s_waitcnt lgkmcnt(0)
	s_waitcnt_vscnt null, 0x0
	s_barrier
	buffer_gl0_inv
	s_clause 0x33
	buffer_load_dword v12, off, s[0:3], 0 offset:260
	buffer_load_dword v168, off, s[0:3], 0 offset:268
	;; [unrolled: 1-line block ×52, first 2 shown]
	v_mov_b32_e32 v1, 0
	ds_read_b128 v[2:5], v1 offset:720
	ds_read_b128 v[6:9], v1 offset:736
	ds_read_b128 v[128:131], v1 offset:752
	ds_read_b128 v[132:135], v1 offset:768
	ds_read_b128 v[136:139], v1 offset:784
	ds_read_b128 v[140:143], v1 offset:800
	ds_read_b128 v[144:147], v1 offset:816
	ds_read_b128 v[148:151], v1 offset:832
	ds_read_b128 v[152:155], v1 offset:848
	ds_read_b128 v[156:159], v1 offset:864
	ds_read_b128 v[160:163], v1 offset:880
	ds_read_b128 v[164:167], v1 offset:896
	ds_read_b64 v[10:11], v1 offset:912
	s_mov_b32 s4, exec_lo
	s_waitcnt vmcnt(51) lgkmcnt(12)
	v_mul_f32_e32 v219, v2, v12
	v_mul_f32_e32 v12, v3, v12
	s_waitcnt vmcnt(50)
	v_mul_f32_e32 v220, v4, v168
	v_mul_f32_e32 v168, v5, v168
	s_waitcnt vmcnt(49) lgkmcnt(11)
	v_mul_f32_e32 v221, v6, v169
	s_waitcnt vmcnt(48)
	v_mul_f32_e32 v222, v8, v170
	s_waitcnt vmcnt(47) lgkmcnt(10)
	v_mul_f32_e32 v223, v128, v171
	s_waitcnt vmcnt(46)
	;; [unrolled: 4-line block ×11, first 2 shown]
	v_fma_f32 v2, v2, v192, -v12
	v_fmac_f32_e32 v219, v3, v192
	v_mul_f32_e32 v3, v7, v169
	s_waitcnt vmcnt(25)
	v_fma_f32 v4, v4, v193, -v168
	v_fmac_f32_e32 v220, v5, v193
	v_add_f32_e32 v2, 0, v2
	v_add_f32_e32 v5, 0, v219
	v_mul_f32_e32 v12, v9, v170
	s_waitcnt vmcnt(24)
	v_fma_f32 v3, v6, v194, -v3
	v_fmac_f32_e32 v221, v7, v194
	v_add_f32_e32 v2, v2, v4
	v_add_f32_e32 v4, v5, v220
	;; [unrolled: 6-line block ×21, first 2 shown]
	v_mul_f32_e32 v4, v167, v190
	s_waitcnt vmcnt(4)
	v_fma_f32 v5, v164, v214, -v5
	v_mul_f32_e32 v242, v166, v190
	v_add_f32_e32 v2, v2, v6
	v_fmac_f32_e32 v241, v165, v214
	v_add_f32_e32 v3, v3, v240
	s_waitcnt lgkmcnt(0)
	v_mul_f32_e32 v6, v11, v191
	s_waitcnt vmcnt(3)
	v_fma_f32 v4, v166, v215, -v4
	v_add_f32_e32 v2, v2, v5
	v_mul_f32_e32 v243, v10, v191
	v_fmac_f32_e32 v242, v167, v215
	v_add_f32_e32 v3, v3, v241
	s_waitcnt vmcnt(2)
	v_fma_f32 v5, v10, v216, -v6
	v_add_f32_e32 v2, v2, v4
	v_fmac_f32_e32 v243, v11, v216
	v_add_f32_e32 v3, v3, v242
	v_add_f32_e32 v2, v2, v5
	;; [unrolled: 1-line block ×3, first 2 shown]
	s_waitcnt vmcnt(1)
	v_sub_f32_e32 v2, v217, v2
	s_waitcnt vmcnt(0)
	v_sub_f32_e32 v3, v218, v3
	buffer_store_dword v2, off, s[0:3], 0 offset:248
	buffer_store_dword v3, off, s[0:3], 0 offset:252
	v_cmpx_lt_u32_e32 30, v0
	s_cbranch_execz .LBB56_295
; %bb.294:
	s_clause 0x1
	buffer_load_dword v2, off, s[0:3], 0 offset:240
	buffer_load_dword v3, off, s[0:3], 0 offset:244
	buffer_store_dword v1, off, s[0:3], 0 offset:240
	buffer_store_dword v1, off, s[0:3], 0 offset:244
	s_waitcnt vmcnt(0)
	ds_write_b64 v127, v[2:3]
.LBB56_295:
	s_or_b32 exec_lo, exec_lo, s4
	s_waitcnt lgkmcnt(0)
	s_waitcnt_vscnt null, 0x0
	s_barrier
	buffer_gl0_inv
	s_clause 0x35
	buffer_load_dword v10, off, s[0:3], 0 offset:252
	buffer_load_dword v11, off, s[0:3], 0 offset:260
	;; [unrolled: 1-line block ×54, first 2 shown]
	ds_read2_b64 v[2:5], v1 offset0:89 offset1:90
	ds_read2_b64 v[6:9], v1 offset0:91 offset1:92
	;; [unrolled: 1-line block ×13, first 2 shown]
	s_mov_b32 s4, exec_lo
	s_waitcnt vmcnt(53) lgkmcnt(12)
	v_mul_f32_e32 v1, v2, v10
	v_mul_f32_e32 v10, v3, v10
	s_waitcnt vmcnt(52)
	v_mul_f32_e32 v223, v4, v11
	v_mul_f32_e32 v11, v5, v11
	s_waitcnt vmcnt(51) lgkmcnt(11)
	v_mul_f32_e32 v224, v6, v12
	s_waitcnt vmcnt(50)
	v_mul_f32_e32 v225, v8, v172
	s_waitcnt vmcnt(49) lgkmcnt(10)
	v_mul_f32_e32 v226, v128, v173
	s_waitcnt vmcnt(48)
	;; [unrolled: 4-line block ×11, first 2 shown]
	v_mul_f32_e32 v245, v166, v192
	s_waitcnt vmcnt(27)
	v_fma_f32 v2, v2, v195, -v10
	v_fmac_f32_e32 v1, v3, v195
	v_mul_f32_e32 v3, v7, v12
	s_waitcnt vmcnt(26)
	v_fma_f32 v4, v4, v196, -v11
	v_fmac_f32_e32 v223, v5, v196
	v_add_f32_e32 v2, 0, v2
	v_add_f32_e32 v1, 0, v1
	v_mul_f32_e32 v5, v9, v172
	s_waitcnt vmcnt(25)
	v_fma_f32 v3, v6, v197, -v3
	v_fmac_f32_e32 v224, v7, v197
	v_add_f32_e32 v2, v2, v4
	v_add_f32_e32 v1, v1, v223
	;; [unrolled: 6-line block ×22, first 2 shown]
	s_waitcnt lgkmcnt(0)
	v_mul_f32_e32 v5, v169, v193
	s_waitcnt vmcnt(4)
	v_fma_f32 v3, v166, v218, -v3
	v_mul_f32_e32 v246, v168, v193
	v_add_f32_e32 v2, v2, v4
	v_fmac_f32_e32 v245, v167, v218
	v_add_f32_e32 v1, v1, v244
	v_mul_f32_e32 v4, v171, v194
	s_waitcnt vmcnt(3)
	v_fma_f32 v5, v168, v219, -v5
	v_add_f32_e32 v2, v2, v3
	v_mul_f32_e32 v247, v170, v194
	v_fmac_f32_e32 v246, v169, v219
	v_add_f32_e32 v1, v1, v245
	s_waitcnt vmcnt(2)
	v_fma_f32 v3, v170, v220, -v4
	v_add_f32_e32 v2, v2, v5
	v_fmac_f32_e32 v247, v171, v220
	v_add_f32_e32 v1, v1, v246
	v_add_f32_e32 v2, v2, v3
	v_add_f32_e32 v1, v1, v247
	s_waitcnt vmcnt(1)
	v_sub_f32_e32 v2, v221, v2
	s_waitcnt vmcnt(0)
	v_sub_f32_e32 v1, v222, v1
	buffer_store_dword v2, off, s[0:3], 0 offset:240
	buffer_store_dword v1, off, s[0:3], 0 offset:244
	v_cmpx_lt_u32_e32 29, v0
	s_cbranch_execz .LBB56_297
; %bb.296:
	s_clause 0x1
	buffer_load_dword v1, off, s[0:3], 0 offset:232
	buffer_load_dword v2, off, s[0:3], 0 offset:236
	v_mov_b32_e32 v3, 0
	buffer_store_dword v3, off, s[0:3], 0 offset:232
	buffer_store_dword v3, off, s[0:3], 0 offset:236
	s_waitcnt vmcnt(0)
	ds_write_b64 v127, v[1:2]
.LBB56_297:
	s_or_b32 exec_lo, exec_lo, s4
	s_waitcnt lgkmcnt(0)
	s_waitcnt_vscnt null, 0x0
	s_barrier
	buffer_gl0_inv
	s_clause 0x37
	buffer_load_dword v12, off, s[0:3], 0 offset:244
	buffer_load_dword v172, off, s[0:3], 0 offset:252
	;; [unrolled: 1-line block ×56, first 2 shown]
	v_mov_b32_e32 v1, 0
	ds_read_b128 v[2:5], v1 offset:704
	ds_read_b128 v[6:9], v1 offset:720
	;; [unrolled: 1-line block ×13, first 2 shown]
	ds_read_b64 v[10:11], v1 offset:912
	s_mov_b32 s4, exec_lo
	s_waitcnt vmcnt(55) lgkmcnt(13)
	v_mul_f32_e32 v227, v2, v12
	v_mul_f32_e32 v12, v3, v12
	s_waitcnt vmcnt(54)
	v_mul_f32_e32 v228, v4, v172
	v_mul_f32_e32 v172, v5, v172
	s_waitcnt vmcnt(53) lgkmcnt(12)
	v_mul_f32_e32 v229, v6, v173
	s_waitcnt vmcnt(52)
	v_mul_f32_e32 v230, v8, v174
	s_waitcnt vmcnt(51) lgkmcnt(11)
	v_mul_f32_e32 v231, v128, v175
	s_waitcnt vmcnt(50)
	;; [unrolled: 4-line block ×12, first 2 shown]
	v_fma_f32 v2, v2, v198, -v12
	v_fmac_f32_e32 v227, v3, v198
	v_mul_f32_e32 v3, v7, v173
	s_waitcnt vmcnt(27)
	v_fma_f32 v4, v4, v199, -v172
	v_fmac_f32_e32 v228, v5, v199
	v_add_f32_e32 v2, 0, v2
	v_add_f32_e32 v5, 0, v227
	v_mul_f32_e32 v12, v9, v174
	s_waitcnt vmcnt(26)
	v_fma_f32 v3, v6, v200, -v3
	v_fmac_f32_e32 v229, v7, v200
	v_add_f32_e32 v2, v2, v4
	v_add_f32_e32 v4, v5, v228
	;; [unrolled: 6-line block ×23, first 2 shown]
	v_mul_f32_e32 v5, v171, v196
	s_waitcnt vmcnt(4)
	v_fma_f32 v6, v168, v222, -v6
	v_mul_f32_e32 v252, v170, v196
	v_add_f32_e32 v2, v2, v4
	v_fmac_f32_e32 v251, v169, v222
	v_add_f32_e32 v3, v3, v250
	s_waitcnt lgkmcnt(0)
	v_mul_f32_e32 v4, v11, v197
	s_waitcnt vmcnt(3)
	v_fma_f32 v5, v170, v223, -v5
	v_add_f32_e32 v2, v2, v6
	v_mul_f32_e32 v253, v10, v197
	v_fmac_f32_e32 v252, v171, v223
	v_add_f32_e32 v3, v3, v251
	s_waitcnt vmcnt(2)
	v_fma_f32 v4, v10, v224, -v4
	v_add_f32_e32 v2, v2, v5
	v_fmac_f32_e32 v253, v11, v224
	v_add_f32_e32 v3, v3, v252
	v_add_f32_e32 v2, v2, v4
	;; [unrolled: 1-line block ×3, first 2 shown]
	s_waitcnt vmcnt(1)
	v_sub_f32_e32 v2, v225, v2
	s_waitcnt vmcnt(0)
	v_sub_f32_e32 v3, v226, v3
	buffer_store_dword v2, off, s[0:3], 0 offset:232
	buffer_store_dword v3, off, s[0:3], 0 offset:236
	v_cmpx_lt_u32_e32 28, v0
	s_cbranch_execz .LBB56_299
; %bb.298:
	s_clause 0x1
	buffer_load_dword v2, off, s[0:3], 0 offset:224
	buffer_load_dword v3, off, s[0:3], 0 offset:228
	buffer_store_dword v1, off, s[0:3], 0 offset:224
	buffer_store_dword v1, off, s[0:3], 0 offset:228
	s_waitcnt vmcnt(0)
	ds_write_b64 v127, v[2:3]
.LBB56_299:
	s_or_b32 exec_lo, exec_lo, s4
	s_waitcnt lgkmcnt(0)
	s_waitcnt_vscnt null, 0x0
	s_barrier
	buffer_gl0_inv
	s_clause 0x39
	buffer_load_dword v148, off, s[0:3], 0 offset:236
	buffer_load_dword v149, off, s[0:3], 0 offset:244
	;; [unrolled: 1-line block ×58, first 2 shown]
	ds_read2_b64 v[136:139], v1 offset0:87 offset1:88
	ds_read2_b64 v[140:143], v1 offset0:89 offset1:90
	ds_read2_b64 v[144:147], v1 offset0:91 offset1:92
	s_mov_b32 s4, exec_lo
	s_waitcnt vmcnt(57) lgkmcnt(2)
	v_mul_f32_e32 v187, v136, v148
	v_mul_f32_e32 v148, v137, v148
	s_waitcnt vmcnt(56)
	v_mul_f32_e32 v188, v138, v149
	v_mul_f32_e32 v149, v139, v149
	s_waitcnt vmcnt(53)
	v_fmac_f32_e32 v187, v137, v152
	v_fma_f32 v148, v136, v152, -v148
	v_fmac_f32_e32 v188, v139, v151
	v_fma_f32 v152, v138, v151, -v149
	ds_read2_b64 v[136:139], v1 offset0:93 offset1:94
	s_waitcnt vmcnt(52) lgkmcnt(2)
	v_mul_f32_e32 v189, v140, v153
	v_mul_f32_e32 v149, v141, v153
	s_waitcnt vmcnt(51)
	v_mul_f32_e32 v153, v142, v154
	v_mul_f32_e32 v151, v143, v154
	s_waitcnt vmcnt(50) lgkmcnt(1)
	v_mul_f32_e32 v190, v144, v155
	v_mul_f32_e32 v154, v145, v155
	s_waitcnt vmcnt(49)
	v_mul_f32_e32 v191, v146, v156
	v_mul_f32_e32 v155, v147, v156
	v_fmac_f32_e32 v189, v141, v150
	v_fma_f32 v156, v140, v150, -v149
	s_waitcnt vmcnt(45)
	v_fmac_f32_e32 v153, v143, v159
	v_fma_f32 v159, v142, v159, -v151
	ds_read2_b64 v[140:143], v1 offset0:95 offset1:96
	v_fmac_f32_e32 v190, v145, v158
	v_fma_f32 v158, v144, v158, -v154
	v_fmac_f32_e32 v191, v147, v157
	v_fma_f32 v192, v146, v157, -v155
	ds_read2_b64 v[144:147], v1 offset0:97 offset1:98
	v_add_f32_e32 v154, 0, v187
	s_waitcnt vmcnt(44) lgkmcnt(2)
	v_mul_f32_e32 v193, v136, v160
	v_mul_f32_e32 v149, v137, v160
	s_waitcnt vmcnt(43)
	v_mul_f32_e32 v160, v138, v161
	v_mul_f32_e32 v150, v139, v161
	v_add_f32_e32 v154, v154, v188
	v_fmac_f32_e32 v193, v137, v135
	v_fma_f32 v161, v136, v135, -v149
	s_waitcnt vmcnt(39)
	v_fmac_f32_e32 v160, v139, v165
	v_add_f32_e32 v139, 0, v148
	v_fma_f32 v165, v138, v165, -v150
	ds_read2_b64 v[135:138], v1 offset0:99 offset1:100
	ds_read2_b64 v[148:151], v1 offset0:101 offset1:102
	v_add_f32_e32 v154, v154, v189
	v_add_f32_e32 v139, v139, v152
	s_waitcnt vmcnt(38) lgkmcnt(3)
	v_mul_f32_e32 v187, v140, v166
	v_mul_f32_e32 v152, v141, v166
	s_waitcnt vmcnt(37)
	v_mul_f32_e32 v166, v142, v167
	v_mul_f32_e32 v155, v143, v167
	v_add_f32_e32 v139, v139, v156
	s_waitcnt vmcnt(36) lgkmcnt(2)
	v_mul_f32_e32 v167, v144, v168
	s_waitcnt vmcnt(35)
	v_mul_f32_e32 v188, v146, v169
	v_mul_f32_e32 v156, v145, v168
	v_fmac_f32_e32 v166, v143, v163
	v_add_f32_e32 v143, v139, v159
	v_add_f32_e32 v157, v154, v153
	v_mul_f32_e32 v159, v147, v169
	v_fmac_f32_e32 v167, v145, v162
	s_waitcnt vmcnt(31)
	v_fmac_f32_e32 v188, v147, v172
	v_fma_f32 v147, v144, v162, -v156
	v_add_f32_e32 v162, v143, v158
	v_fma_f32 v168, v142, v163, -v155
	v_add_f32_e32 v163, v157, v190
	v_fma_f32 v169, v146, v172, -v159
	s_waitcnt vmcnt(30) lgkmcnt(1)
	v_mul_f32_e32 v172, v135, v173
	v_add_f32_e32 v162, v162, v192
	v_mul_f32_e32 v173, v136, v173
	v_add_f32_e32 v163, v163, v191
	v_fmac_f32_e32 v187, v141, v164
	v_fmac_f32_e32 v172, v136, v171
	v_add_f32_e32 v136, v162, v161
	v_fma_f32 v164, v140, v164, -v152
	v_add_f32_e32 v161, v163, v193
	v_fma_f32 v171, v135, v171, -v173
	ds_read2_b64 v[139:142], v1 offset0:103 offset1:104
	ds_read2_b64 v[152:155], v1 offset0:105 offset1:106
	v_add_f32_e32 v165, v136, v165
	s_waitcnt vmcnt(29)
	v_mul_f32_e32 v189, v137, v174
	v_add_f32_e32 v173, v161, v160
	v_mul_f32_e32 v174, v138, v174
	ds_read2_b64 v[143:146], v1 offset0:107 offset1:108
	ds_read2_b64 v[156:159], v1 offset0:109 offset1:110
	v_add_f32_e32 v164, v165, v164
	v_fmac_f32_e32 v189, v138, v170
	v_add_f32_e32 v173, v173, v187
	v_fma_f32 v170, v137, v170, -v174
	ds_read2_b64 v[135:138], v1 offset0:111 offset1:112
	ds_read2_b64 v[160:163], v1 offset0:113 offset1:114
	v_add_f32_e32 v164, v164, v168
	s_waitcnt vmcnt(28) lgkmcnt(6)
	v_mul_f32_e32 v1, v148, v175
	v_add_f32_e32 v166, v173, v166
	v_mul_f32_e32 v165, v149, v175
	s_waitcnt vmcnt(27)
	v_mul_f32_e32 v175, v151, v176
	v_add_f32_e32 v147, v164, v147
	v_fmac_f32_e32 v1, v149, v12
	v_add_f32_e32 v166, v166, v167
	v_fma_f32 v12, v148, v12, -v165
	v_mul_f32_e32 v174, v150, v176
	v_add_f32_e32 v147, v147, v169
	s_waitcnt vmcnt(26) lgkmcnt(5)
	v_mul_f32_e32 v168, v139, v133
	v_add_f32_e32 v166, v166, v188
	v_mul_f32_e32 v133, v140, v133
	s_waitcnt vmcnt(11)
	v_fma_f32 v150, v150, v180, -v175
	v_add_f32_e32 v147, v147, v171
	v_fmac_f32_e32 v174, v151, v180
	v_add_f32_e32 v166, v166, v172
	v_mul_f32_e32 v173, v141, v132
	v_mul_f32_e32 v132, v142, v132
	v_add_f32_e32 v147, v147, v170
	v_fma_f32 v133, v139, v179, -v133
	v_add_f32_e32 v149, v166, v189
	v_fmac_f32_e32 v168, v140, v179
	s_waitcnt lgkmcnt(4)
	v_mul_f32_e32 v176, v152, v131
	v_add_f32_e32 v12, v147, v12
	v_mul_f32_e32 v131, v153, v131
	v_add_f32_e32 v1, v149, v1
	v_fma_f32 v132, v141, v178, -v132
	v_fmac_f32_e32 v173, v142, v178
	v_add_f32_e32 v12, v12, v150
	v_mul_f32_e32 v164, v154, v130
	v_add_f32_e32 v1, v1, v174
	v_mul_f32_e32 v130, v155, v130
	v_fma_f32 v131, v152, v177, -v131
	v_add_f32_e32 v12, v12, v133
	v_fmac_f32_e32 v176, v153, v177
	v_add_f32_e32 v1, v1, v168
	s_waitcnt lgkmcnt(3)
	v_mul_f32_e32 v167, v143, v128
	v_mul_f32_e32 v128, v144, v128
	v_add_f32_e32 v12, v12, v132
	s_waitcnt vmcnt(7)
	v_fma_f32 v130, v154, v184, -v130
	v_add_f32_e32 v1, v1, v173
	v_fmac_f32_e32 v164, v155, v184
	v_mul_f32_e32 v187, v145, v11
	v_add_f32_e32 v12, v12, v131
	v_mul_f32_e32 v11, v146, v11
	v_add_f32_e32 v1, v1, v176
	v_fma_f32 v128, v143, v183, -v128
	v_fmac_f32_e32 v167, v144, v183
	v_add_f32_e32 v12, v12, v130
	s_waitcnt lgkmcnt(2)
	v_mul_f32_e32 v169, v156, v10
	v_add_f32_e32 v1, v1, v164
	v_mul_f32_e32 v10, v157, v10
	v_fma_f32 v11, v145, v182, -v11
	v_add_f32_e32 v12, v12, v128
	v_fmac_f32_e32 v187, v146, v182
	v_add_f32_e32 v1, v1, v167
	v_mul_f32_e32 v188, v158, v8
	v_mul_f32_e32 v8, v159, v8
	v_fma_f32 v10, v156, v181, -v10
	v_add_f32_e32 v11, v12, v11
	v_fmac_f32_e32 v169, v157, v181
	v_add_f32_e32 v1, v1, v187
	s_waitcnt lgkmcnt(1)
	v_mul_f32_e32 v190, v135, v7
	v_mul_f32_e32 v7, v136, v7
	s_waitcnt vmcnt(3)
	v_fma_f32 v8, v158, v186, -v8
	v_add_f32_e32 v10, v11, v10
	v_fmac_f32_e32 v188, v159, v186
	v_add_f32_e32 v1, v1, v169
	v_mul_f32_e32 v171, v137, v6
	v_mul_f32_e32 v6, v138, v6
	v_fma_f32 v7, v135, v185, -v7
	v_add_f32_e32 v8, v10, v8
	v_fmac_f32_e32 v190, v136, v185
	v_add_f32_e32 v1, v1, v188
	s_waitcnt lgkmcnt(0)
	v_mul_f32_e32 v172, v160, v5
	v_mul_f32_e32 v5, v161, v5
	v_fma_f32 v6, v137, v134, -v6
	v_add_f32_e32 v7, v8, v7
	v_fmac_f32_e32 v171, v138, v134
	v_add_f32_e32 v1, v1, v190
	v_mul_f32_e32 v148, v162, v2
	v_mul_f32_e32 v2, v163, v2
	v_fma_f32 v5, v160, v129, -v5
	v_add_f32_e32 v6, v7, v6
	v_fmac_f32_e32 v172, v161, v129
	v_add_f32_e32 v1, v1, v171
	s_waitcnt vmcnt(2)
	v_fma_f32 v2, v162, v9, -v2
	v_fmac_f32_e32 v148, v163, v9
	v_add_f32_e32 v5, v6, v5
	v_add_f32_e32 v1, v1, v172
	;; [unrolled: 1-line block ×4, first 2 shown]
	s_waitcnt vmcnt(1)
	v_sub_f32_e32 v2, v3, v2
	s_waitcnt vmcnt(0)
	v_sub_f32_e32 v1, v4, v1
	buffer_store_dword v2, off, s[0:3], 0 offset:224
	buffer_store_dword v1, off, s[0:3], 0 offset:228
	v_cmpx_lt_u32_e32 27, v0
	s_cbranch_execz .LBB56_301
; %bb.300:
	s_clause 0x1
	buffer_load_dword v1, off, s[0:3], 0 offset:216
	buffer_load_dword v2, off, s[0:3], 0 offset:220
	v_mov_b32_e32 v3, 0
	buffer_store_dword v3, off, s[0:3], 0 offset:216
	buffer_store_dword v3, off, s[0:3], 0 offset:220
	s_waitcnt vmcnt(0)
	ds_write_b64 v127, v[1:2]
.LBB56_301:
	s_or_b32 exec_lo, exec_lo, s4
	s_waitcnt lgkmcnt(0)
	s_waitcnt_vscnt null, 0x0
	s_barrier
	buffer_gl0_inv
	s_clause 0x3b
	buffer_load_dword v159, off, s[0:3], 0 offset:228
	buffer_load_dword v160, off, s[0:3], 0 offset:236
	buffer_load_dword v140, off, s[0:3], 0 offset:240
	buffer_load_dword v161, off, s[0:3], 0 offset:232
	buffer_load_dword v162, off, s[0:3], 0 offset:224
	buffer_load_dword v146, off, s[0:3], 0 offset:244
	buffer_load_dword v145, off, s[0:3], 0 offset:252
	buffer_load_dword v143, off, s[0:3], 0 offset:260
	buffer_load_dword v142, off, s[0:3], 0 offset:272
	buffer_load_dword v163, off, s[0:3], 0 offset:264
	buffer_load_dword v164, off, s[0:3], 0 offset:256
	buffer_load_dword v165, off, s[0:3], 0 offset:248
	buffer_load_dword v166, off, s[0:3], 0 offset:268
	buffer_load_dword v167, off, s[0:3], 0 offset:276
	buffer_load_dword v168, off, s[0:3], 0 offset:284
	buffer_load_dword v135, off, s[0:3], 0 offset:304
	buffer_load_dword v169, off, s[0:3], 0 offset:296
	buffer_load_dword v170, off, s[0:3], 0 offset:288
	buffer_load_dword v171, off, s[0:3], 0 offset:280
	buffer_load_dword v172, off, s[0:3], 0 offset:292
	buffer_load_dword v173, off, s[0:3], 0 offset:300
	buffer_load_dword v174, off, s[0:3], 0 offset:308
	buffer_load_dword v138, off, s[0:3], 0 offset:316
	buffer_load_dword v129, off, s[0:3], 0 offset:336
	buffer_load_dword v175, off, s[0:3], 0 offset:328
	buffer_load_dword v176, off, s[0:3], 0 offset:320
	buffer_load_dword v177, off, s[0:3], 0 offset:312
	buffer_load_dword v178, off, s[0:3], 0 offset:324
	buffer_load_dword v179, off, s[0:3], 0 offset:332
	buffer_load_dword v133, off, s[0:3], 0 offset:340
	buffer_load_dword v134, off, s[0:3], 0 offset:348
	buffer_load_dword v130, off, s[0:3], 0 offset:356
	buffer_load_dword v10, off, s[0:3], 0 offset:364
	buffer_load_dword v8, off, s[0:3], 0 offset:372
	buffer_load_dword v6, off, s[0:3], 0 offset:380
	buffer_load_dword v5, off, s[0:3], 0 offset:388
	buffer_load_dword v180, off, s[0:3], 0 offset:368
	buffer_load_dword v181, off, s[0:3], 0 offset:360
	buffer_load_dword v182, off, s[0:3], 0 offset:352
	buffer_load_dword v183, off, s[0:3], 0 offset:344
	buffer_load_dword v184, off, s[0:3], 0 offset:396
	buffer_load_dword v185, off, s[0:3], 0 offset:404
	buffer_load_dword v139, off, s[0:3], 0 offset:412
	buffer_load_dword v136, off, s[0:3], 0 offset:420
	buffer_load_dword v132, off, s[0:3], 0 offset:428
	buffer_load_dword v128, off, s[0:3], 0 offset:436
	buffer_load_dword v9, off, s[0:3], 0 offset:444
	buffer_load_dword v4, off, s[0:3], 0 offset:452
	buffer_load_dword v144, off, s[0:3], 0 offset:400
	buffer_load_dword v186, off, s[0:3], 0 offset:392
	buffer_load_dword v187, off, s[0:3], 0 offset:384
	buffer_load_dword v188, off, s[0:3], 0 offset:376
	buffer_load_dword v12, off, s[0:3], 0 offset:432
	buffer_load_dword v131, off, s[0:3], 0 offset:424
	buffer_load_dword v137, off, s[0:3], 0 offset:416
	buffer_load_dword v141, off, s[0:3], 0 offset:408
	buffer_load_dword v7, off, s[0:3], 0 offset:448
	buffer_load_dword v11, off, s[0:3], 0 offset:440
	buffer_load_dword v2, off, s[0:3], 0 offset:216
	buffer_load_dword v3, off, s[0:3], 0 offset:220
	v_mov_b32_e32 v1, 0
	ds_read_b128 v[147:150], v1 offset:688
	ds_read_b128 v[151:154], v1 offset:704
	;; [unrolled: 1-line block ×3, first 2 shown]
	s_mov_b32 s4, exec_lo
	s_waitcnt vmcnt(59) lgkmcnt(2)
	v_mul_f32_e32 v189, v147, v159
	s_waitcnt vmcnt(58)
	v_mul_f32_e32 v190, v149, v160
	v_mul_f32_e32 v159, v148, v159
	;; [unrolled: 1-line block ×3, first 2 shown]
	s_waitcnt vmcnt(55)
	v_fmac_f32_e32 v189, v148, v162
	v_fmac_f32_e32 v190, v150, v161
	v_fma_f32 v159, v147, v162, -v159
	v_fma_f32 v160, v149, v161, -v160
	ds_read_b128 v[147:150], v1 offset:736
	s_waitcnt vmcnt(54) lgkmcnt(2)
	v_mul_f32_e32 v191, v151, v146
	v_mul_f32_e32 v146, v152, v146
	s_waitcnt vmcnt(53)
	v_mul_f32_e32 v192, v153, v145
	v_mul_f32_e32 v145, v154, v145
	v_add_f32_e32 v161, 0, v189
	v_fmac_f32_e32 v191, v152, v140
	v_fma_f32 v140, v151, v140, -v146
	s_waitcnt vmcnt(48)
	v_fmac_f32_e32 v192, v154, v165
	v_fma_f32 v165, v153, v165, -v145
	s_waitcnt vmcnt(47) lgkmcnt(1)
	v_mul_f32_e32 v145, v158, v166
	ds_read_b128 v[151:154], v1 offset:752
	v_mul_f32_e32 v193, v155, v143
	v_mul_f32_e32 v143, v156, v143
	;; [unrolled: 1-line block ×3, first 2 shown]
	v_fma_f32 v195, v157, v163, -v145
	v_fmac_f32_e32 v193, v156, v164
	v_fma_f32 v143, v155, v164, -v143
	v_fmac_f32_e32 v194, v158, v163
	s_waitcnt vmcnt(46) lgkmcnt(1)
	v_mul_f32_e32 v196, v147, v167
	s_waitcnt vmcnt(45)
	v_mul_f32_e32 v197, v149, v168
	v_mul_f32_e32 v145, v148, v167
	;; [unrolled: 1-line block ×3, first 2 shown]
	ds_read_b128 v[155:158], v1 offset:768
	v_fmac_f32_e32 v196, v148, v142
	v_add_f32_e32 v148, 0, v159
	s_waitcnt vmcnt(41)
	v_fmac_f32_e32 v197, v150, v171
	v_fma_f32 v171, v149, v171, -v146
	v_add_f32_e32 v150, v161, v190
	v_fma_f32 v142, v147, v142, -v145
	v_add_f32_e32 v149, v148, v160
	s_waitcnt vmcnt(39) lgkmcnt(1)
	v_mul_f32_e32 v163, v154, v173
	v_mul_f32_e32 v190, v153, v173
	v_add_f32_e32 v150, v150, v191
	ds_read_b128 v[145:148], v1 offset:784
	ds_read_b128 v[159:162], v1 offset:800
	v_add_f32_e32 v140, v149, v140
	v_fma_f32 v198, v153, v169, -v163
	v_mul_f32_e32 v149, v152, v172
	v_add_f32_e32 v150, v150, v192
	v_mul_f32_e32 v189, v151, v172
	v_add_f32_e32 v140, v140, v165
	v_fmac_f32_e32 v190, v154, v169
	v_fma_f32 v172, v151, v170, -v149
	v_add_f32_e32 v153, v150, v193
	s_waitcnt vmcnt(37) lgkmcnt(2)
	v_mul_f32_e32 v192, v157, v138
	v_add_f32_e32 v140, v140, v143
	v_fmac_f32_e32 v189, v152, v170
	v_mul_f32_e32 v138, v158, v138
	v_add_f32_e32 v143, v153, v194
	v_mul_f32_e32 v191, v155, v174
	v_add_f32_e32 v140, v140, v195
	v_mul_f32_e32 v167, v156, v174
	s_waitcnt vmcnt(33)
	v_fmac_f32_e32 v192, v158, v177
	v_add_f32_e32 v143, v143, v196
	v_fma_f32 v138, v157, v177, -v138
	v_add_f32_e32 v140, v140, v142
	v_fmac_f32_e32 v191, v156, v135
	v_fma_f32 v135, v155, v135, -v167
	v_add_f32_e32 v143, v143, v197
	s_waitcnt vmcnt(32) lgkmcnt(1)
	v_mul_f32_e32 v157, v145, v178
	v_add_f32_e32 v140, v140, v171
	v_mul_f32_e32 v142, v146, v178
	ds_read_b128 v[149:152], v1 offset:816
	ds_read_b128 v[163:166], v1 offset:832
	v_add_f32_e32 v177, v143, v189
	s_waitcnt vmcnt(30) lgkmcnt(2)
	v_mul_f32_e32 v178, v159, v133
	v_add_f32_e32 v140, v140, v172
	v_mul_f32_e32 v133, v160, v133
	v_mul_f32_e32 v158, v147, v179
	v_add_f32_e32 v177, v177, v190
	v_mul_f32_e32 v173, v148, v179
	v_add_f32_e32 v140, v140, v198
	v_fmac_f32_e32 v157, v146, v176
	v_fma_f32 v176, v145, v176, -v142
	v_add_f32_e32 v177, v177, v191
	v_fmac_f32_e32 v178, v160, v129
	v_add_f32_e32 v135, v140, v135
	v_fma_f32 v129, v159, v129, -v133
	v_fmac_f32_e32 v158, v148, v175
	v_add_f32_e32 v159, v177, v192
	v_fma_f32 v175, v147, v175, -v173
	v_add_f32_e32 v135, v135, v138
	s_waitcnt vmcnt(29)
	v_mul_f32_e32 v179, v161, v134
	v_mul_f32_e32 v134, v162, v134
	v_add_f32_e32 v157, v159, v157
	s_waitcnt vmcnt(28) lgkmcnt(1)
	v_mul_f32_e32 v189, v149, v130
	v_add_f32_e32 v135, v135, v176
	v_mul_f32_e32 v130, v150, v130
	s_waitcnt vmcnt(20)
	v_fma_f32 v134, v161, v183, -v134
	v_add_f32_e32 v157, v157, v158
	ds_read_b128 v[153:156], v1 offset:848
	ds_read_b128 v[167:170], v1 offset:864
	v_add_f32_e32 v135, v135, v175
	v_fmac_f32_e32 v179, v162, v183
	v_mul_f32_e32 v140, v151, v10
	v_mul_f32_e32 v10, v152, v10
	v_fma_f32 v130, v149, v182, -v130
	v_add_f32_e32 v129, v135, v129
	v_add_f32_e32 v135, v157, v178
	v_fmac_f32_e32 v189, v150, v182
	s_waitcnt lgkmcnt(2)
	v_mul_f32_e32 v133, v163, v8
	v_mul_f32_e32 v8, v164, v8
	v_add_f32_e32 v129, v129, v134
	v_add_f32_e32 v134, v135, v179
	v_fma_f32 v10, v151, v181, -v10
	v_fmac_f32_e32 v140, v152, v181
	v_mul_f32_e32 v160, v165, v6
	v_add_f32_e32 v129, v129, v130
	v_add_f32_e32 v130, v134, v189
	v_mul_f32_e32 v6, v166, v6
	v_fma_f32 v8, v163, v180, -v8
	v_fmac_f32_e32 v133, v164, v180
	v_add_f32_e32 v10, v129, v10
	v_add_f32_e32 v129, v130, v140
	s_waitcnt lgkmcnt(1)
	v_mul_f32_e32 v138, v153, v5
	v_mul_f32_e32 v5, v154, v5
	s_waitcnt vmcnt(8)
	v_fma_f32 v6, v165, v188, -v6
	v_add_f32_e32 v8, v10, v8
	v_fmac_f32_e32 v160, v166, v188
	v_add_f32_e32 v10, v129, v133
	ds_read_b128 v[145:148], v1 offset:880
	ds_read_b128 v[171:174], v1 offset:896
	ds_read_b64 v[142:143], v1 offset:912
	v_mul_f32_e32 v129, v156, v184
	v_fma_f32 v5, v153, v187, -v5
	v_add_f32_e32 v6, v8, v6
	v_mul_f32_e32 v161, v155, v184
	v_fmac_f32_e32 v138, v154, v187
	v_add_f32_e32 v8, v10, v160
	s_waitcnt lgkmcnt(3)
	v_mul_f32_e32 v10, v168, v185
	v_fma_f32 v129, v155, v186, -v129
	v_add_f32_e32 v5, v6, v5
	v_mul_f32_e32 v162, v167, v185
	v_fmac_f32_e32 v161, v156, v186
	v_add_f32_e32 v6, v8, v138
	v_mul_f32_e32 v8, v170, v139
	v_fma_f32 v10, v167, v144, -v10
	v_add_f32_e32 v5, v5, v129
	v_mul_f32_e32 v159, v169, v139
	v_fmac_f32_e32 v162, v168, v144
	v_add_f32_e32 v6, v6, v161
	s_waitcnt lgkmcnt(2)
	v_mul_f32_e32 v129, v146, v136
	s_waitcnt vmcnt(4)
	v_fma_f32 v8, v169, v141, -v8
	v_add_f32_e32 v5, v5, v10
	v_mul_f32_e32 v176, v145, v136
	v_fmac_f32_e32 v159, v170, v141
	v_add_f32_e32 v6, v6, v162
	v_mul_f32_e32 v10, v148, v132
	v_fma_f32 v129, v145, v137, -v129
	v_add_f32_e32 v5, v5, v8
	v_mul_f32_e32 v177, v147, v132
	v_fmac_f32_e32 v176, v146, v137
	v_add_f32_e32 v6, v6, v159
	s_waitcnt lgkmcnt(1)
	v_mul_f32_e32 v8, v172, v128
	v_fma_f32 v10, v147, v131, -v10
	v_add_f32_e32 v5, v5, v129
	v_mul_f32_e32 v158, v171, v128
	v_fmac_f32_e32 v177, v148, v131
	v_add_f32_e32 v6, v6, v176
	v_mul_f32_e32 v175, v173, v9
	v_mul_f32_e32 v9, v174, v9
	v_fma_f32 v8, v171, v12, -v8
	v_add_f32_e32 v5, v5, v10
	v_fmac_f32_e32 v158, v172, v12
	v_add_f32_e32 v6, v6, v177
	s_waitcnt lgkmcnt(0)
	v_mul_f32_e32 v157, v142, v4
	v_mul_f32_e32 v4, v143, v4
	s_waitcnt vmcnt(2)
	v_fma_f32 v9, v173, v11, -v9
	v_add_f32_e32 v5, v5, v8
	v_fmac_f32_e32 v175, v174, v11
	v_add_f32_e32 v6, v6, v158
	v_fma_f32 v4, v142, v7, -v4
	v_fmac_f32_e32 v157, v143, v7
	v_add_f32_e32 v5, v5, v9
	v_add_f32_e32 v6, v6, v175
	;; [unrolled: 1-line block ×4, first 2 shown]
	s_waitcnt vmcnt(1)
	v_sub_f32_e32 v2, v2, v4
	s_waitcnt vmcnt(0)
	v_sub_f32_e32 v3, v3, v5
	buffer_store_dword v2, off, s[0:3], 0 offset:216
	buffer_store_dword v3, off, s[0:3], 0 offset:220
	v_cmpx_lt_u32_e32 26, v0
	s_cbranch_execz .LBB56_303
; %bb.302:
	s_clause 0x1
	buffer_load_dword v2, off, s[0:3], 0 offset:208
	buffer_load_dword v3, off, s[0:3], 0 offset:212
	buffer_store_dword v1, off, s[0:3], 0 offset:208
	buffer_store_dword v1, off, s[0:3], 0 offset:212
	s_waitcnt vmcnt(0)
	ds_write_b64 v127, v[2:3]
.LBB56_303:
	s_or_b32 exec_lo, exec_lo, s4
	s_waitcnt lgkmcnt(0)
	s_waitcnt_vscnt null, 0x0
	s_barrier
	buffer_gl0_inv
	s_clause 0x3d
	buffer_load_dword v159, off, s[0:3], 0 offset:220
	buffer_load_dword v160, off, s[0:3], 0 offset:228
	;; [unrolled: 1-line block ×62, first 2 shown]
	ds_read2_b64 v[151:154], v1 offset0:85 offset1:86
	ds_read2_b64 v[155:158], v1 offset0:87 offset1:88
	s_mov_b32 s4, exec_lo
	s_waitcnt vmcnt(61) lgkmcnt(1)
	v_mul_f32_e32 v187, v151, v159
	s_waitcnt vmcnt(60)
	v_mul_f32_e32 v188, v153, v160
	v_mul_f32_e32 v159, v152, v159
	;; [unrolled: 1-line block ×3, first 2 shown]
	s_waitcnt vmcnt(57)
	v_fmac_f32_e32 v187, v152, v162
	v_fmac_f32_e32 v188, v154, v161
	v_fma_f32 v159, v151, v162, -v159
	v_fma_f32 v189, v153, v161, -v160
	ds_read2_b64 v[151:154], v1 offset0:89 offset1:90
	s_waitcnt vmcnt(56) lgkmcnt(1)
	v_mul_f32_e32 v190, v155, v148
	v_mul_f32_e32 v148, v156, v148
	s_waitcnt vmcnt(55)
	v_mul_f32_e32 v191, v157, v149
	v_mul_f32_e32 v149, v158, v149
	v_fmac_f32_e32 v190, v156, v142
	v_fma_f32 v142, v155, v142, -v148
	s_waitcnt vmcnt(51)
	v_fmac_f32_e32 v191, v158, v163
	v_fma_f32 v163, v157, v163, -v149
	ds_read2_b64 v[155:158], v1 offset0:91 offset1:92
	v_add_f32_e32 v149, 0, v187
	v_add_f32_e32 v149, v149, v188
	s_waitcnt vmcnt(50) lgkmcnt(1)
	v_mul_f32_e32 v192, v151, v139
	v_mul_f32_e32 v139, v152, v139
	s_waitcnt vmcnt(49)
	v_mul_f32_e32 v193, v153, v138
	v_mul_f32_e32 v138, v154, v138
	v_fmac_f32_e32 v192, v152, v136
	v_fma_f32 v136, v151, v136, -v139
	v_fmac_f32_e32 v193, v154, v135
	v_fma_f32 v135, v153, v135, -v138
	ds_read2_b64 v[151:154], v1 offset0:93 offset1:94
	s_waitcnt vmcnt(48) lgkmcnt(1)
	v_mul_f32_e32 v138, v155, v9
	v_mul_f32_e32 v9, v156, v9
	s_waitcnt vmcnt(47)
	v_mul_f32_e32 v139, v157, v164
	v_mul_f32_e32 v148, v158, v164
	v_fmac_f32_e32 v138, v156, v5
	v_fma_f32 v5, v155, v5, -v9
	s_waitcnt vmcnt(43)
	v_fmac_f32_e32 v139, v158, v165
	v_fma_f32 v9, v157, v165, -v148
	ds_read2_b64 v[155:158], v1 offset0:95 offset1:96
	v_add_f32_e32 v148, 0, v159
	ds_read2_b64 v[159:162], v1 offset0:97 offset1:98
	v_add_f32_e32 v148, v148, v189
	s_waitcnt vmcnt(42) lgkmcnt(2)
	v_mul_f32_e32 v187, v151, v150
	v_mul_f32_e32 v150, v152, v150
	v_add_f32_e32 v142, v148, v142
	s_waitcnt vmcnt(41)
	v_mul_f32_e32 v189, v153, v143
	v_mul_f32_e32 v143, v154, v143
	v_fmac_f32_e32 v187, v152, v144
	v_fma_f32 v188, v151, v144, -v150
	v_add_f32_e32 v144, v149, v190
	v_add_f32_e32 v142, v142, v163
	ds_read2_b64 v[148:151], v1 offset0:99 offset1:100
	s_waitcnt vmcnt(40) lgkmcnt(2)
	v_mul_f32_e32 v190, v155, v140
	v_mul_f32_e32 v140, v156, v140
	v_add_f32_e32 v144, v144, v191
	v_add_f32_e32 v136, v142, v136
	s_waitcnt vmcnt(39)
	v_mul_f32_e32 v191, v157, v145
	v_fmac_f32_e32 v190, v156, v8
	v_fma_f32 v140, v155, v8, -v140
	v_add_f32_e32 v142, v144, v192
	v_add_f32_e32 v8, v136, v135
	v_mul_f32_e32 v163, v158, v145
	v_fmac_f32_e32 v189, v154, v10
	v_fma_f32 v10, v153, v10, -v143
	v_add_f32_e32 v135, v142, v193
	v_add_f32_e32 v5, v8, v5
	s_waitcnt vmcnt(34)
	v_fmac_f32_e32 v191, v158, v167
	v_fma_f32 v136, v157, v167, -v163
	s_waitcnt lgkmcnt(1)
	v_mul_f32_e32 v192, v159, v132
	v_add_f32_e32 v8, v135, v138
	v_add_f32_e32 v5, v5, v9
	s_waitcnt vmcnt(33)
	v_mul_f32_e32 v135, v161, v133
	v_mul_f32_e32 v9, v162, v133
	s_waitcnt vmcnt(32) lgkmcnt(0)
	v_mul_f32_e32 v138, v148, v130
	v_add_f32_e32 v8, v8, v139
	v_mul_f32_e32 v130, v149, v130
	v_add_f32_e32 v5, v5, v188
	s_waitcnt vmcnt(31)
	v_mul_f32_e32 v167, v151, v131
	v_fmac_f32_e32 v135, v162, v12
	v_fma_f32 v12, v161, v12, -v9
	v_fma_f32 v161, v148, v11, -v130
	v_add_f32_e32 v148, v8, v187
	v_add_f32_e32 v5, v5, v10
	s_waitcnt vmcnt(27)
	v_fma_f32 v162, v150, v171, -v167
	v_mul_f32_e32 v132, v160, v132
	ds_read2_b64 v[142:145], v1 offset0:101 offset1:102
	ds_read2_b64 v[152:155], v1 offset0:103 offset1:104
	v_add_f32_e32 v167, v148, v189
	v_add_f32_e32 v5, v5, v140
	v_fmac_f32_e32 v192, v160, v166
	v_fma_f32 v160, v159, v166, -v132
	v_mul_f32_e32 v139, v150, v131
	v_add_f32_e32 v167, v167, v190
	v_add_f32_e32 v5, v5, v136
	v_fmac_f32_e32 v138, v149, v11
	ds_read2_b64 v[156:159], v1 offset0:105 offset1:106
	ds_read2_b64 v[163:166], v1 offset0:107 offset1:108
	;; [unrolled: 1-line block ×4, first 2 shown]
	v_add_f32_e32 v167, v167, v191
	v_add_f32_e32 v5, v5, v160
	v_fmac_f32_e32 v139, v151, v171
	ds_read2_b64 v[148:151], v1 offset0:113 offset1:114
	v_add_f32_e32 v167, v167, v192
	v_add_f32_e32 v5, v5, v12
	s_waitcnt vmcnt(26) lgkmcnt(6)
	v_mul_f32_e32 v140, v143, v172
	v_mul_f32_e32 v1, v142, v172
	v_add_f32_e32 v135, v167, v135
	v_add_f32_e32 v5, v5, v161
	s_waitcnt vmcnt(25)
	v_mul_f32_e32 v172, v145, v173
	v_fma_f32 v140, v142, v170, -v140
	v_mul_f32_e32 v171, v144, v173
	v_add_f32_e32 v135, v135, v138
	v_add_f32_e32 v5, v5, v162
	v_fmac_f32_e32 v1, v143, v170
	v_fma_f32 v143, v144, v169, -v172
	s_waitcnt vmcnt(24) lgkmcnt(5)
	v_mul_f32_e32 v136, v152, v174
	v_add_f32_e32 v135, v135, v139
	v_mul_f32_e32 v139, v153, v174
	v_add_f32_e32 v5, v5, v140
	v_fmac_f32_e32 v171, v145, v169
	s_waitcnt vmcnt(23)
	v_mul_f32_e32 v173, v154, v175
	v_add_f32_e32 v1, v135, v1
	v_mul_f32_e32 v135, v155, v175
	v_fma_f32 v139, v152, v168, -v139
	v_add_f32_e32 v5, v5, v143
	v_fmac_f32_e32 v136, v153, v168
	v_add_f32_e32 v1, v1, v171
	s_waitcnt vmcnt(22) lgkmcnt(4)
	v_mul_f32_e32 v140, v157, v176
	s_waitcnt vmcnt(9)
	v_fma_f32 v135, v154, v181, -v135
	v_add_f32_e32 v5, v5, v139
	v_mul_f32_e32 v187, v156, v176
	v_fmac_f32_e32 v173, v155, v181
	v_add_f32_e32 v1, v1, v136
	v_mul_f32_e32 v136, v159, v177
	v_fma_f32 v139, v156, v180, -v140
	v_add_f32_e32 v5, v5, v135
	v_mul_f32_e32 v160, v158, v177
	v_fmac_f32_e32 v187, v157, v180
	v_add_f32_e32 v1, v1, v173
	s_waitcnt lgkmcnt(3)
	v_mul_f32_e32 v135, v164, v178
	v_fma_f32 v136, v158, v179, -v136
	v_add_f32_e32 v5, v5, v139
	v_mul_f32_e32 v188, v163, v178
	v_fmac_f32_e32 v160, v159, v179
	v_add_f32_e32 v1, v1, v187
	v_mul_f32_e32 v139, v166, v141
	v_fma_f32 v135, v163, v147, -v135
	v_add_f32_e32 v5, v5, v136
	v_mul_f32_e32 v189, v165, v141
	v_fmac_f32_e32 v188, v164, v147
	v_add_f32_e32 v1, v1, v160
	s_waitcnt lgkmcnt(2)
	v_mul_f32_e32 v12, v8, v134
	v_mul_f32_e32 v134, v9, v134
	s_waitcnt vmcnt(5)
	v_fma_f32 v136, v165, v146, -v139
	v_add_f32_e32 v5, v5, v135
	v_fmac_f32_e32 v189, v166, v146
	v_add_f32_e32 v1, v1, v188
	v_mul_f32_e32 v167, v10, v128
	v_mul_f32_e32 v128, v11, v128
	v_fma_f32 v8, v8, v137, -v134
	v_add_f32_e32 v5, v5, v136
	v_fmac_f32_e32 v12, v9, v137
	v_add_f32_e32 v1, v1, v189
	s_waitcnt lgkmcnt(1)
	v_mul_f32_e32 v190, v130, v7
	v_mul_f32_e32 v7, v131, v7
	v_fma_f32 v9, v10, v129, -v128
	v_add_f32_e32 v5, v5, v8
	v_fmac_f32_e32 v167, v11, v129
	v_add_f32_e32 v1, v1, v12
	v_mul_f32_e32 v161, v132, v4
	v_mul_f32_e32 v4, v133, v4
	v_fmac_f32_e32 v190, v131, v6
	v_fma_f32 v6, v130, v6, -v7
	v_add_f32_e32 v5, v5, v9
	v_add_f32_e32 v1, v1, v167
	s_waitcnt lgkmcnt(0)
	v_mul_f32_e32 v138, v148, v3
	v_mul_f32_e32 v3, v149, v3
	s_waitcnt vmcnt(2)
	v_fma_f32 v4, v132, v184, -v4
	v_add_f32_e32 v5, v5, v6
	v_fmac_f32_e32 v161, v133, v184
	v_add_f32_e32 v1, v1, v190
	v_mul_f32_e32 v142, v150, v2
	v_mul_f32_e32 v2, v151, v2
	v_fma_f32 v3, v148, v183, -v3
	v_add_f32_e32 v4, v5, v4
	v_fmac_f32_e32 v138, v149, v183
	v_add_f32_e32 v1, v1, v161
	v_fma_f32 v2, v150, v182, -v2
	v_fmac_f32_e32 v142, v151, v182
	v_add_f32_e32 v3, v4, v3
	v_add_f32_e32 v1, v1, v138
	;; [unrolled: 1-line block ×4, first 2 shown]
	s_waitcnt vmcnt(1)
	v_sub_f32_e32 v2, v185, v2
	s_waitcnt vmcnt(0)
	v_sub_f32_e32 v1, v186, v1
	buffer_store_dword v2, off, s[0:3], 0 offset:208
	buffer_store_dword v1, off, s[0:3], 0 offset:212
	v_cmpx_lt_u32_e32 25, v0
	s_cbranch_execz .LBB56_305
; %bb.304:
	s_clause 0x1
	buffer_load_dword v1, off, s[0:3], 0 offset:200
	buffer_load_dword v2, off, s[0:3], 0 offset:204
	v_mov_b32_e32 v3, 0
	buffer_store_dword v3, off, s[0:3], 0 offset:200
	buffer_store_dword v3, off, s[0:3], 0 offset:204
	s_waitcnt vmcnt(0)
	ds_write_b64 v127, v[1:2]
.LBB56_305:
	s_or_b32 exec_lo, exec_lo, s4
	s_waitcnt lgkmcnt(0)
	s_waitcnt_vscnt null, 0x0
	s_barrier
	buffer_gl0_inv
	s_clause 0x3e
	buffer_load_dword v9, off, s[0:3], 0 offset:212
	buffer_load_dword v12, off, s[0:3], 0 offset:220
	;; [unrolled: 1-line block ×64, first 2 shown]
	v_mov_b32_e32 v1, 0
	ds_read_b128 v[167:170], v1 offset:672
	ds_read_b128 v[171:174], v1 offset:688
	s_mov_b32 s4, exec_lo
	ds_read_b128 v[179:182], v1 offset:784
	s_waitcnt vmcnt(62) lgkmcnt(2)
	v_mul_f32_e32 v175, v167, v9
	v_mul_f32_e32 v176, v169, v12
	;; [unrolled: 1-line block ×4, first 2 shown]
	s_waitcnt vmcnt(59)
	v_fmac_f32_e32 v175, v168, v134
	v_fmac_f32_e32 v176, v170, v133
	v_fma_f32 v9, v167, v134, -v9
	v_fma_f32 v12, v169, v133, -v12
	ds_read_b128 v[167:170], v1 offset:704
	s_waitcnt vmcnt(58) lgkmcnt(2)
	v_mul_f32_e32 v133, v171, v130
	s_waitcnt vmcnt(57)
	v_mul_f32_e32 v134, v173, v131
	v_mul_f32_e32 v130, v172, v130
	;; [unrolled: 1-line block ×3, first 2 shown]
	v_add_f32_e32 v9, 0, v9
	v_fmac_f32_e32 v133, v172, v8
	s_waitcnt vmcnt(53)
	v_fmac_f32_e32 v134, v174, v157
	v_fma_f32 v8, v171, v8, -v130
	v_fma_f32 v130, v173, v157, -v131
	ds_read_b128 v[171:174], v1 offset:720
	v_add_f32_e32 v9, v9, v12
	v_add_f32_e32 v8, v9, v8
	s_waitcnt vmcnt(51) lgkmcnt(1)
	v_mul_f32_e32 v157, v169, v155
	v_mul_f32_e32 v155, v170, v155
	;; [unrolled: 1-line block ×4, first 2 shown]
	v_add_f32_e32 v8, v8, v130
	v_fmac_f32_e32 v157, v170, v148
	v_fma_f32 v148, v169, v148, -v155
	v_fmac_f32_e32 v131, v168, v152
	v_fma_f32 v152, v167, v152, -v156
	ds_read_b128 v[167:170], v1 offset:736
	s_waitcnt vmcnt(50) lgkmcnt(1)
	v_mul_f32_e32 v155, v171, v151
	v_mul_f32_e32 v151, v172, v151
	s_waitcnt vmcnt(49)
	v_mul_f32_e32 v197, v173, v149
	v_mul_f32_e32 v149, v174, v149
	v_add_f32_e32 v8, v8, v152
	v_fmac_f32_e32 v155, v172, v142
	v_fma_f32 v142, v171, v142, -v151
	v_add_f32_e32 v151, 0, v175
	s_waitcnt vmcnt(45)
	v_fmac_f32_e32 v197, v174, v165
	v_fma_f32 v149, v173, v165, -v149
	ds_read_b128 v[171:174], v1 offset:752
	v_add_f32_e32 v8, v8, v148
	v_add_f32_e32 v151, v151, v176
	ds_read_b128 v[175:178], v1 offset:768
	v_add_f32_e32 v8, v8, v142
	v_add_f32_e32 v12, v151, v133
	s_waitcnt vmcnt(34)
	v_mul_f32_e32 v142, v180, v146
	s_waitcnt lgkmcnt(2)
	v_mul_f32_e32 v151, v168, v163
	v_mul_f32_e32 v133, v167, v163
	v_add_f32_e32 v8, v8, v149
	v_add_f32_e32 v9, v12, v134
	v_mul_f32_e32 v130, v169, v159
	v_fma_f32 v12, v167, v160, -v151
	v_fmac_f32_e32 v133, v168, v160
	v_add_f32_e32 v9, v9, v131
	v_mul_f32_e32 v131, v170, v159
	v_add_f32_e32 v8, v8, v12
	s_waitcnt lgkmcnt(1)
	v_mul_f32_e32 v134, v171, v158
	v_mul_f32_e32 v151, v172, v158
	v_add_f32_e32 v9, v9, v157
	v_fma_f32 v131, v169, v140, -v131
	v_fmac_f32_e32 v130, v170, v140
	v_mul_f32_e32 v159, v174, v161
	v_fmac_f32_e32 v134, v172, v138
	v_add_f32_e32 v9, v9, v155
	v_fma_f32 v138, v171, v138, -v151
	v_add_f32_e32 v8, v8, v131
	v_mul_f32_e32 v152, v173, v161
	s_waitcnt lgkmcnt(0)
	v_mul_f32_e32 v140, v176, v150
	v_add_f32_e32 v9, v9, v197
	v_fma_f32 v159, v173, v166, -v159
	v_add_f32_e32 v138, v8, v138
	v_mul_f32_e32 v160, v175, v150
	ds_read_b128 v[155:158], v1 offset:800
	ds_read_b128 v[167:170], v1 offset:816
	v_add_f32_e32 v9, v9, v133
	v_fmac_f32_e32 v152, v174, v166
	v_fma_f32 v161, v175, v164, -v140
	v_mul_f32_e32 v140, v178, v153
	v_add_f32_e32 v138, v138, v159
	v_add_f32_e32 v9, v9, v130
	v_fmac_f32_e32 v160, v176, v164
	v_mul_f32_e32 v133, v177, v153
	v_mul_f32_e32 v12, v179, v146
	s_waitcnt vmcnt(33)
	v_mul_f32_e32 v130, v181, v147
	v_add_f32_e32 v131, v9, v134
	v_mul_f32_e32 v146, v182, v147
	v_fma_f32 v147, v177, v143, -v140
	v_add_f32_e32 v138, v138, v161
	v_fmac_f32_e32 v133, v178, v143
	v_add_f32_e32 v131, v131, v152
	v_fma_f32 v153, v179, v141, -v142
	v_fmac_f32_e32 v12, v180, v141
	v_add_f32_e32 v138, v138, v147
	s_waitcnt vmcnt(28)
	v_fma_f32 v134, v181, v154, -v146
	v_add_f32_e32 v131, v131, v160
	s_waitcnt vmcnt(27) lgkmcnt(1)
	v_mul_f32_e32 v146, v155, v144
	v_mul_f32_e32 v144, v156, v144
	v_add_f32_e32 v138, v138, v153
	ds_read_b128 v[148:151], v1 offset:832
	ds_read_b128 v[163:166], v1 offset:848
	v_add_f32_e32 v131, v131, v133
	v_fmac_f32_e32 v130, v182, v154
	s_waitcnt vmcnt(26)
	v_mul_f32_e32 v152, v157, v145
	v_mul_f32_e32 v145, v158, v145
	v_fmac_f32_e32 v146, v156, v139
	v_add_f32_e32 v12, v131, v12
	v_fma_f32 v139, v155, v139, -v144
	v_add_f32_e32 v134, v138, v134
	s_waitcnt lgkmcnt(2)
	v_mul_f32_e32 v154, v167, v137
	v_mul_f32_e32 v137, v168, v137
	v_add_f32_e32 v12, v12, v130
	v_fmac_f32_e32 v152, v158, v136
	v_fma_f32 v136, v157, v136, -v145
	v_add_f32_e32 v134, v134, v139
	s_waitcnt vmcnt(25)
	v_mul_f32_e32 v130, v170, v135
	v_add_f32_e32 v12, v12, v146
	v_fmac_f32_e32 v154, v168, v2
	v_fma_f32 v2, v167, v2, -v137
	v_add_f32_e32 v134, v134, v136
	v_mul_f32_e32 v159, v169, v135
	v_add_f32_e32 v12, v12, v152
	s_waitcnt vmcnt(24) lgkmcnt(1)
	v_mul_f32_e32 v144, v148, v132
	v_mul_f32_e32 v132, v149, v132
	s_waitcnt vmcnt(13)
	v_fma_f32 v130, v169, v183, -v130
	v_add_f32_e32 v2, v134, v2
	ds_read_b128 v[140:143], v1 offset:864
	ds_read_b128 v[171:174], v1 offset:880
	v_fmac_f32_e32 v159, v170, v183
	v_add_f32_e32 v12, v12, v154
	v_mul_f32_e32 v133, v150, v128
	v_mul_f32_e32 v128, v151, v128
	s_waitcnt vmcnt(10)
	v_fma_f32 v132, v148, v186, -v132
	v_add_f32_e32 v2, v2, v130
	v_fmac_f32_e32 v144, v149, v186
	v_add_f32_e32 v12, v12, v159
	s_waitcnt lgkmcnt(2)
	v_mul_f32_e32 v147, v163, v129
	v_mul_f32_e32 v129, v164, v129
	v_fma_f32 v128, v150, v185, -v128
	v_add_f32_e32 v2, v2, v132
	v_fmac_f32_e32 v133, v151, v185
	v_add_f32_e32 v12, v12, v144
	v_mul_f32_e32 v145, v165, v11
	v_mul_f32_e32 v11, v166, v11
	v_fma_f32 v129, v163, v184, -v129
	v_add_f32_e32 v2, v2, v128
	v_fmac_f32_e32 v147, v164, v184
	v_add_f32_e32 v12, v12, v133
	s_waitcnt lgkmcnt(1)
	v_mul_f32_e32 v155, v140, v10
	v_mul_f32_e32 v10, v141, v10
	s_waitcnt vmcnt(6)
	v_fma_f32 v11, v165, v190, -v11
	v_add_f32_e32 v2, v2, v129
	ds_read_b128 v[175:178], v1 offset:896
	ds_read_b64 v[8:9], v1 offset:912
	v_fmac_f32_e32 v145, v166, v190
	v_add_f32_e32 v12, v12, v147
	v_mul_f32_e32 v131, v142, v7
	v_mul_f32_e32 v7, v143, v7
	v_fma_f32 v10, v140, v189, -v10
	v_add_f32_e32 v2, v2, v11
	v_fmac_f32_e32 v155, v141, v189
	v_add_f32_e32 v11, v12, v145
	s_waitcnt lgkmcnt(2)
	v_mul_f32_e32 v153, v171, v6
	v_mul_f32_e32 v6, v172, v6
	v_fma_f32 v7, v142, v188, -v7
	v_add_f32_e32 v2, v2, v10
	v_fmac_f32_e32 v131, v143, v188
	v_add_f32_e32 v10, v11, v155
	v_mul_f32_e32 v156, v173, v5
	v_mul_f32_e32 v5, v174, v5
	v_fma_f32 v6, v171, v187, -v6
	v_add_f32_e32 v2, v2, v7
	v_fmac_f32_e32 v153, v172, v187
	v_add_f32_e32 v7, v10, v131
	s_waitcnt lgkmcnt(1)
	v_mul_f32_e32 v135, v175, v4
	v_mul_f32_e32 v4, v176, v4
	s_waitcnt vmcnt(2)
	v_fma_f32 v5, v173, v194, -v5
	v_add_f32_e32 v2, v2, v6
	v_fmac_f32_e32 v156, v174, v194
	v_add_f32_e32 v6, v7, v153
	v_mul_f32_e32 v138, v177, v3
	v_mul_f32_e32 v3, v178, v3
	v_fma_f32 v4, v175, v193, -v4
	v_add_f32_e32 v2, v2, v5
	v_fmac_f32_e32 v135, v176, v193
	v_add_f32_e32 v5, v6, v156
	s_waitcnt lgkmcnt(0)
	v_mul_f32_e32 v6, v9, v162
	v_fma_f32 v3, v177, v192, -v3
	v_add_f32_e32 v2, v2, v4
	v_mul_f32_e32 v139, v8, v162
	v_fmac_f32_e32 v138, v178, v192
	v_add_f32_e32 v4, v5, v135
	v_fma_f32 v5, v8, v191, -v6
	v_add_f32_e32 v2, v2, v3
	v_fmac_f32_e32 v139, v9, v191
	v_add_f32_e32 v3, v4, v138
	v_add_f32_e32 v2, v2, v5
	;; [unrolled: 1-line block ×3, first 2 shown]
	s_waitcnt vmcnt(1)
	v_sub_f32_e32 v2, v195, v2
	s_waitcnt vmcnt(0)
	v_sub_f32_e32 v3, v196, v3
	buffer_store_dword v2, off, s[0:3], 0 offset:200
	buffer_store_dword v3, off, s[0:3], 0 offset:204
	v_cmpx_lt_u32_e32 24, v0
	s_cbranch_execz .LBB56_307
; %bb.306:
	s_clause 0x1
	buffer_load_dword v2, off, s[0:3], 0 offset:192
	buffer_load_dword v3, off, s[0:3], 0 offset:196
	buffer_store_dword v1, off, s[0:3], 0 offset:192
	buffer_store_dword v1, off, s[0:3], 0 offset:196
	s_waitcnt vmcnt(0)
	ds_write_b64 v127, v[2:3]
.LBB56_307:
	s_or_b32 exec_lo, exec_lo, s4
	s_waitcnt lgkmcnt(0)
	s_waitcnt_vscnt null, 0x0
	s_barrier
	buffer_gl0_inv
	s_clause 0x31
	buffer_load_dword v129, off, s[0:3], 0 offset:204
	buffer_load_dword v3, off, s[0:3], 0 offset:212
	;; [unrolled: 1-line block ×50, first 2 shown]
	ds_read2_b64 v[161:164], v1 offset0:83 offset1:84
	s_clause 0x1
	buffer_load_dword v179, off, s[0:3], 0 offset:452
	buffer_load_dword v180, off, s[0:3], 0 offset:352
	ds_read2_b64 v[165:168], v1 offset0:85 offset1:86
	s_clause 0x2
	buffer_load_dword v181, off, s[0:3], 0 offset:376
	buffer_load_dword v182, off, s[0:3], 0 offset:368
	;; [unrolled: 1-line block ×3, first 2 shown]
	ds_read2_b64 v[169:172], v1 offset0:87 offset1:88
	s_clause 0x4
	buffer_load_dword v184, off, s[0:3], 0 offset:408
	buffer_load_dword v185, off, s[0:3], 0 offset:400
	;; [unrolled: 1-line block ×5, first 2 shown]
	s_mov_b32 s4, exec_lo
	s_waitcnt vmcnt(59) lgkmcnt(2)
	v_mul_f32_e32 v188, v161, v129
	v_mul_f32_e32 v129, v162, v129
	s_waitcnt vmcnt(58)
	v_mul_f32_e32 v190, v163, v3
	v_mul_f32_e32 v3, v164, v3
	s_waitcnt vmcnt(55)
	v_fmac_f32_e32 v188, v162, v9
	v_fma_f32 v129, v161, v9, -v129
	v_fmac_f32_e32 v190, v164, v6
	v_fma_f32 v3, v163, v6, -v3
	ds_read2_b64 v[161:164], v1 offset0:89 offset1:90
	s_clause 0x3
	buffer_load_dword v194, off, s[0:3], 0 offset:440
	buffer_load_dword v195, off, s[0:3], 0 offset:432
	buffer_load_dword v196, off, s[0:3], 0 offset:424
	buffer_load_dword v197, off, s[0:3], 0 offset:416
	s_waitcnt vmcnt(57) lgkmcnt(2)
	v_mul_f32_e32 v192, v167, v7
	v_mul_f32_e32 v6, v168, v7
	s_waitcnt vmcnt(51) lgkmcnt(1)
	v_mul_f32_e32 v193, v171, v139
	buffer_load_dword v198, off, s[0:3], 0 offset:192
	v_mul_f32_e32 v191, v165, v8
	v_fmac_f32_e32 v192, v168, v140
	v_fma_f32 v140, v167, v140, -v6
	v_mul_f32_e32 v6, v172, v139
	v_mul_f32_e32 v8, v166, v8
	v_fmac_f32_e32 v191, v166, v2
	v_fmac_f32_e32 v193, v172, v134
	v_fma_f32 v139, v171, v134, -v6
	buffer_load_dword v171, off, s[0:3], 0 offset:448
	v_fma_f32 v2, v165, v2, -v8
	ds_read2_b64 v[6:9], v1 offset0:91 offset1:92
	v_mul_f32_e32 v165, v169, v4
	v_mul_f32_e32 v4, v170, v4
	s_waitcnt vmcnt(52) lgkmcnt(1)
	v_mul_f32_e32 v134, v162, v136
	v_fmac_f32_e32 v165, v170, v137
	v_fma_f32 v4, v169, v137, -v4
	v_mul_f32_e32 v169, v161, v136
	s_waitcnt vmcnt(51)
	v_mul_f32_e32 v170, v163, v135
	v_mul_f32_e32 v135, v164, v135
	v_fmac_f32_e32 v169, v162, v131
	v_fma_f32 v131, v161, v131, -v134
	s_waitcnt vmcnt(47)
	v_fmac_f32_e32 v170, v164, v157
	v_fma_f32 v157, v163, v157, -v135
	ds_read2_b64 v[134:137], v1 offset0:93 offset1:94
	ds_read2_b64 v[161:164], v1 offset0:97 offset1:98
	s_waitcnt vmcnt(46) lgkmcnt(2)
	v_mul_f32_e32 v172, v6, v156
	v_mul_f32_e32 v156, v7, v156
	v_fmac_f32_e32 v172, v7, v154
	v_fma_f32 v154, v6, v154, -v156
	v_add_f32_e32 v6, 0, v129
	s_waitcnt vmcnt(45)
	v_mul_f32_e32 v129, v8, v152
	v_mul_f32_e32 v7, v9, v152
	v_add_f32_e32 v3, v6, v3
	v_add_f32_e32 v6, 0, v188
	v_fmac_f32_e32 v129, v9, v150
	v_fma_f32 v188, v8, v150, -v7
	v_add_f32_e32 v2, v3, v2
	v_add_f32_e32 v152, v6, v190
	ds_read2_b64 v[6:9], v1 offset0:95 offset1:96
	s_waitcnt vmcnt(44) lgkmcnt(2)
	v_mul_f32_e32 v190, v134, v146
	v_add_f32_e32 v2, v2, v140
	v_add_f32_e32 v3, v152, v191
	v_mul_f32_e32 v140, v135, v146
	s_waitcnt vmcnt(43)
	v_mul_f32_e32 v146, v136, v144
	v_mul_f32_e32 v144, v137, v144
	v_add_f32_e32 v2, v2, v4
	v_add_f32_e32 v3, v3, v192
	v_fmac_f32_e32 v190, v135, v141
	v_fma_f32 v191, v134, v141, -v140
	s_waitcnt vmcnt(39)
	v_fmac_f32_e32 v146, v137, v159
	v_add_f32_e32 v2, v2, v139
	v_add_f32_e32 v3, v3, v165
	v_fma_f32 v4, v136, v159, -v144
	ds_read2_b64 v[134:137], v1 offset0:99 offset1:100
	ds_read2_b64 v[165:168], v1 offset0:101 offset1:102
	s_waitcnt vmcnt(36) lgkmcnt(3)
	v_mul_f32_e32 v141, v162, v151
	v_add_f32_e32 v2, v2, v131
	v_add_f32_e32 v3, v3, v193
	v_mul_f32_e32 v131, v161, v151
	s_waitcnt lgkmcnt(2)
	v_mul_f32_e32 v139, v7, v155
	v_mul_f32_e32 v144, v6, v155
	v_add_f32_e32 v2, v2, v157
	v_add_f32_e32 v3, v3, v169
	v_fmac_f32_e32 v131, v162, v133
	v_fma_f32 v157, v161, v133, -v141
	v_mul_f32_e32 v159, v8, v153
	v_add_f32_e32 v2, v2, v154
	v_add_f32_e32 v3, v3, v170
	v_mul_f32_e32 v140, v9, v153
	v_fma_f32 v192, v6, v149, -v139
	v_fmac_f32_e32 v144, v7, v149
	v_add_f32_e32 v2, v2, v188
	v_add_f32_e32 v3, v3, v172
	s_waitcnt vmcnt(29) lgkmcnt(1)
	v_mul_f32_e32 v161, v134, v147
	v_mul_f32_e32 v133, v135, v147
	s_waitcnt vmcnt(28)
	v_mul_f32_e32 v147, v137, v148
	v_add_f32_e32 v2, v2, v191
	v_add_f32_e32 v3, v3, v129
	v_mul_f32_e32 v129, v136, v148
	v_fmac_f32_e32 v161, v135, v143
	v_fmac_f32_e32 v159, v9, v145
	v_fma_f32 v145, v8, v145, -v140
	v_add_f32_e32 v3, v3, v190
	v_fmac_f32_e32 v129, v137, v142
	v_fma_f32 v137, v134, v143, -v133
	v_add_f32_e32 v143, v2, v4
	v_mul_f32_e32 v169, v163, v138
	v_add_f32_e32 v146, v3, v146
	v_mul_f32_e32 v138, v164, v138
	ds_read2_b64 v[6:9], v1 offset0:103 offset1:104
	ds_read2_b64 v[149:152], v1 offset0:105 offset1:106
	v_add_f32_e32 v143, v143, v192
	v_fmac_f32_e32 v169, v164, v158
	v_add_f32_e32 v144, v146, v144
	v_fma_f32 v158, v163, v158, -v138
	v_fma_f32 v142, v136, v142, -v147
	v_add_f32_e32 v143, v143, v145
	s_waitcnt lgkmcnt(2)
	v_mul_f32_e32 v147, v165, v130
	v_add_f32_e32 v144, v144, v159
	v_mul_f32_e32 v130, v166, v130
	s_waitcnt vmcnt(27)
	v_mul_f32_e32 v146, v167, v132
	v_add_f32_e32 v143, v143, v157
	v_mul_f32_e32 v132, v168, v132
	v_add_f32_e32 v131, v144, v131
	v_fmac_f32_e32 v147, v166, v5
	v_fma_f32 v5, v165, v5, -v130
	v_add_f32_e32 v143, v143, v158
	ds_read2_b64 v[138:141], v1 offset0:107 offset1:108
	ds_read2_b64 v[153:156], v1 offset0:109 offset1:110
	v_add_f32_e32 v131, v131, v169
	s_waitcnt vmcnt(26) lgkmcnt(3)
	v_mul_f32_e32 v145, v6, v128
	v_mul_f32_e32 v128, v7, v128
	v_add_f32_e32 v137, v143, v137
	s_waitcnt vmcnt(14)
	v_fmac_f32_e32 v146, v168, v180
	v_add_f32_e32 v131, v131, v161
	v_mul_f32_e32 v148, v8, v12
	v_mul_f32_e32 v12, v9, v12
	v_add_f32_e32 v137, v137, v142
	s_waitcnt vmcnt(11)
	v_fma_f32 v6, v6, v183, -v128
	v_add_f32_e32 v129, v131, v129
	v_fma_f32 v131, v167, v180, -v132
	v_fmac_f32_e32 v145, v7, v183
	v_add_f32_e32 v5, v137, v5
	s_waitcnt lgkmcnt(2)
	v_mul_f32_e32 v159, v149, v11
	v_add_f32_e32 v129, v129, v147
	v_mul_f32_e32 v11, v150, v11
	v_fma_f32 v8, v8, v182, -v12
	v_add_f32_e32 v5, v5, v131
	v_fmac_f32_e32 v148, v9, v182
	v_add_f32_e32 v7, v129, v146
	v_fma_f32 v9, v149, v181, -v11
	v_mul_f32_e32 v157, v151, v10
	v_add_f32_e32 v5, v5, v6
	v_fmac_f32_e32 v159, v150, v181
	v_add_f32_e32 v6, v7, v145
	v_mul_f32_e32 v7, v152, v10
	ds_read2_b64 v[133:136], v1 offset0:111 offset1:112
	ds_read2_b64 v[1:4], v1 offset0:113 offset1:114
	v_add_f32_e32 v5, v5, v8
	s_waitcnt lgkmcnt(3)
	v_mul_f32_e32 v8, v139, v173
	v_add_f32_e32 v6, v6, v148
	s_waitcnt vmcnt(7)
	v_fma_f32 v7, v151, v187, -v7
	v_mul_f32_e32 v144, v138, v173
	v_add_f32_e32 v5, v5, v9
	v_fmac_f32_e32 v157, v152, v187
	v_add_f32_e32 v6, v6, v159
	v_mul_f32_e32 v9, v141, v174
	v_fma_f32 v8, v138, v186, -v8
	v_add_f32_e32 v5, v5, v7
	v_mul_f32_e32 v162, v140, v174
	v_fmac_f32_e32 v144, v139, v186
	v_add_f32_e32 v6, v6, v157
	s_waitcnt lgkmcnt(2)
	v_mul_f32_e32 v7, v154, v175
	v_fma_f32 v9, v140, v185, -v9
	v_add_f32_e32 v5, v5, v8
	v_mul_f32_e32 v158, v153, v175
	v_fmac_f32_e32 v162, v141, v185
	v_add_f32_e32 v6, v6, v144
	v_mul_f32_e32 v8, v156, v176
	v_fma_f32 v7, v153, v184, -v7
	v_add_f32_e32 v5, v5, v9
	v_mul_f32_e32 v163, v155, v176
	v_fmac_f32_e32 v158, v154, v184
	v_add_f32_e32 v6, v6, v162
	s_waitcnt lgkmcnt(1)
	v_mul_f32_e32 v9, v134, v177
	v_add_f32_e32 v5, v5, v7
	v_mul_f32_e32 v164, v133, v177
	v_mul_f32_e32 v7, v136, v178
	v_add_f32_e32 v6, v6, v158
	v_mul_f32_e32 v143, v135, v178
	s_waitcnt lgkmcnt(0)
	v_mul_f32_e32 v161, v1, v160
	v_mul_f32_e32 v130, v3, v179
	s_waitcnt vmcnt(5)
	v_fmac_f32_e32 v161, v2, v194
	s_waitcnt vmcnt(4)
	v_fma_f32 v7, v135, v195, -v7
	s_waitcnt vmcnt(3)
	v_fma_f32 v9, v133, v196, -v9
	;; [unrolled: 2-line block ×3, first 2 shown]
	v_fmac_f32_e32 v163, v156, v197
	v_fmac_f32_e32 v164, v134, v196
	;; [unrolled: 1-line block ×3, first 2 shown]
	v_add_f32_e32 v5, v5, v8
	v_add_f32_e32 v6, v6, v163
	v_mul_f32_e32 v8, v2, v160
	v_add_f32_e32 v5, v5, v9
	v_add_f32_e32 v6, v6, v164
	v_mul_f32_e32 v9, v4, v179
	v_fma_f32 v1, v1, v194, -v8
	s_waitcnt vmcnt(0)
	v_fmac_f32_e32 v130, v4, v171
	v_add_f32_e32 v2, v5, v7
	v_add_f32_e32 v5, v6, v143
	v_fma_f32 v3, v3, v171, -v9
	v_add_f32_e32 v1, v2, v1
	v_add_f32_e32 v2, v5, v161
	;; [unrolled: 1-line block ×4, first 2 shown]
	v_sub_f32_e32 v1, v198, v1
	v_sub_f32_e32 v2, v189, v2
	buffer_store_dword v1, off, s[0:3], 0 offset:192
	buffer_store_dword v2, off, s[0:3], 0 offset:196
	v_cmpx_lt_u32_e32 23, v0
	s_cbranch_execz .LBB56_309
; %bb.308:
	s_clause 0x1
	buffer_load_dword v1, off, s[0:3], 0 offset:184
	buffer_load_dword v2, off, s[0:3], 0 offset:188
	v_mov_b32_e32 v3, 0
	buffer_store_dword v3, off, s[0:3], 0 offset:184
	buffer_store_dword v3, off, s[0:3], 0 offset:188
	s_waitcnt vmcnt(0)
	ds_write_b64 v127, v[1:2]
.LBB56_309:
	s_or_b32 exec_lo, exec_lo, s4
	s_waitcnt lgkmcnt(0)
	s_waitcnt_vscnt null, 0x0
	s_barrier
	buffer_gl0_inv
	s_clause 0x26
	buffer_load_dword v6, off, s[0:3], 0 offset:196
	buffer_load_dword v8, off, s[0:3], 0 offset:204
	;; [unrolled: 1-line block ×39, first 2 shown]
	v_mov_b32_e32 v1, 0
	s_clause 0x2
	buffer_load_dword v132, off, s[0:3], 0 offset:356
	buffer_load_dword v130, off, s[0:3], 0 offset:364
	buffer_load_dword v9, off, s[0:3], 0 offset:372
	s_mov_b32 s4, exec_lo
	ds_read_b128 v[165:168], v1 offset:656
	s_clause 0x1
	buffer_load_dword v7, off, s[0:3], 0 offset:380
	buffer_load_dword v5, off, s[0:3], 0 offset:388
	ds_read_b128 v[169:172], v1 offset:672
	s_clause 0xc
	buffer_load_dword v149, off, s[0:3], 0 offset:344
	buffer_load_dword v3, off, s[0:3], 0 offset:396
	buffer_load_dword v2, off, s[0:3], 0 offset:404
	buffer_load_dword v164, off, s[0:3], 0 offset:412
	buffer_load_dword v177, off, s[0:3], 0 offset:420
	buffer_load_dword v178, off, s[0:3], 0 offset:428
	buffer_load_dword v179, off, s[0:3], 0 offset:436
	buffer_load_dword v180, off, s[0:3], 0 offset:444
	buffer_load_dword v181, off, s[0:3], 0 offset:452
	buffer_load_dword v182, off, s[0:3], 0 offset:352
	buffer_load_dword v183, off, s[0:3], 0 offset:360
	buffer_load_dword v184, off, s[0:3], 0 offset:368
	buffer_load_dword v185, off, s[0:3], 0 offset:188
	ds_read_b128 v[173:176], v1 offset:688
	s_waitcnt vmcnt(56) lgkmcnt(2)
	v_mul_f32_e32 v186, v165, v6
	v_mul_f32_e32 v6, v166, v6
	s_waitcnt vmcnt(55)
	v_mul_f32_e32 v187, v167, v8
	v_mul_f32_e32 v8, v168, v8
	s_waitcnt vmcnt(54) lgkmcnt(1)
	v_mul_f32_e32 v188, v169, v10
	s_waitcnt vmcnt(51)
	v_fmac_f32_e32 v186, v166, v129
	v_fma_f32 v6, v165, v129, -v6
	v_fmac_f32_e32 v187, v168, v12
	v_fma_f32 v8, v167, v12, -v8
	ds_read_b128 v[165:168], v1 offset:704
	s_clause 0x3
	buffer_load_dword v129, off, s[0:3], 0 offset:400
	buffer_load_dword v189, off, s[0:3], 0 offset:392
	;; [unrolled: 1-line block ×4, first 2 shown]
	v_mul_f32_e32 v10, v170, v10
	s_waitcnt vmcnt(54)
	v_mul_f32_e32 v12, v171, v11
	v_mul_f32_e32 v11, v172, v11
	v_fmac_f32_e32 v188, v170, v4
	v_add_f32_e32 v6, 0, v6
	v_fma_f32 v4, v169, v4, -v10
	s_waitcnt vmcnt(50)
	v_fmac_f32_e32 v12, v172, v146
	v_fma_f32 v10, v171, v146, -v11
	s_waitcnt vmcnt(49) lgkmcnt(1)
	v_mul_f32_e32 v11, v173, v145
	s_waitcnt vmcnt(48)
	v_mul_f32_e32 v146, v175, v144
	v_mul_f32_e32 v144, v176, v144
	ds_read_b128 v[169:172], v1 offset:720
	v_mul_f32_e32 v145, v174, v145
	v_fmac_f32_e32 v11, v174, v141
	v_fmac_f32_e32 v146, v176, v139
	v_fma_f32 v144, v175, v139, -v144
	s_clause 0x3
	buffer_load_dword v174, off, s[0:3], 0 offset:432
	buffer_load_dword v175, off, s[0:3], 0 offset:424
	;; [unrolled: 1-line block ×4, first 2 shown]
	v_fma_f32 v145, v173, v141, -v145
	s_waitcnt vmcnt(51) lgkmcnt(1)
	v_mul_f32_e32 v173, v165, v140
	v_mul_f32_e32 v139, v166, v140
	s_waitcnt vmcnt(50)
	v_mul_f32_e32 v193, v167, v138
	v_mul_f32_e32 v138, v168, v138
	v_add_f32_e32 v6, v6, v8
	v_fmac_f32_e32 v173, v166, v135
	v_fma_f32 v135, v165, v135, -v139
	v_add_f32_e32 v165, 0, v186
	s_waitcnt vmcnt(46)
	v_fmac_f32_e32 v193, v168, v162
	v_fma_f32 v162, v167, v162, -v138
	ds_read_b128 v[138:141], v1 offset:736
	v_add_f32_e32 v4, v6, v4
	s_waitcnt vmcnt(45) lgkmcnt(1)
	v_mul_f32_e32 v194, v169, v161
	v_mul_f32_e32 v161, v170, v161
	v_add_f32_e32 v4, v4, v10
	v_fmac_f32_e32 v194, v170, v159
	v_fma_f32 v159, v169, v159, -v161
	v_add_f32_e32 v161, v165, v187
	s_clause 0x2
	buffer_load_dword v186, off, s[0:3], 0 offset:448
	buffer_load_dword v187, off, s[0:3], 0 offset:440
	;; [unrolled: 1-line block ×3, first 2 shown]
	v_add_f32_e32 v4, v4, v145
	ds_read_b128 v[165:168], v1 offset:752
	v_add_f32_e32 v161, v161, v188
	s_waitcnt vmcnt(47)
	v_mul_f32_e32 v188, v171, v156
	v_mul_f32_e32 v156, v172, v156
	v_add_f32_e32 v4, v4, v144
	v_add_f32_e32 v12, v161, v12
	v_fmac_f32_e32 v188, v172, v153
	v_fma_f32 v6, v171, v153, -v156
	v_add_f32_e32 v4, v4, v135
	ds_read_b128 v[169:172], v1 offset:768
	v_add_f32_e32 v10, v12, v11
	s_waitcnt vmcnt(46) lgkmcnt(2)
	v_mul_f32_e32 v12, v139, v151
	v_mul_f32_e32 v11, v138, v151
	v_add_f32_e32 v4, v4, v162
	s_waitcnt vmcnt(45)
	v_mul_f32_e32 v195, v140, v150
	v_add_f32_e32 v10, v10, v146
	v_mul_f32_e32 v145, v141, v150
	v_fma_f32 v12, v138, v147, -v12
	v_add_f32_e32 v4, v4, v159
	v_fmac_f32_e32 v11, v139, v147
	v_add_f32_e32 v10, v10, v173
	s_waitcnt vmcnt(41)
	v_fmac_f32_e32 v195, v141, v163
	v_fma_f32 v163, v140, v163, -v145
	v_add_f32_e32 v4, v4, v6
	s_waitcnt vmcnt(40) lgkmcnt(1)
	v_mul_f32_e32 v150, v166, v158
	v_add_f32_e32 v10, v10, v193
	ds_read_b128 v[138:141], v1 offset:784
	ds_read_b128 v[144:147], v1 offset:800
	v_mul_f32_e32 v173, v165, v158
	v_add_f32_e32 v4, v4, v12
	s_waitcnt vmcnt(39)
	v_mul_f32_e32 v135, v168, v157
	v_add_f32_e32 v10, v10, v194
	v_fma_f32 v197, v165, v154, -v150
	v_mul_f32_e32 v196, v167, v157
	v_add_f32_e32 v4, v4, v163
	v_fmac_f32_e32 v173, v166, v154
	v_add_f32_e32 v10, v10, v188
	s_waitcnt vmcnt(38) lgkmcnt(2)
	v_mul_f32_e32 v158, v170, v155
	v_fma_f32 v198, v167, v152, -v135
	v_add_f32_e32 v4, v4, v197
	v_mul_f32_e32 v193, v169, v155
	v_add_f32_e32 v6, v10, v11
	v_fmac_f32_e32 v196, v168, v152
	s_waitcnt vmcnt(37)
	v_mul_f32_e32 v135, v172, v142
	v_fma_f32 v169, v169, v137, -v158
	v_add_f32_e32 v4, v4, v198
	v_add_f32_e32 v6, v6, v195
	v_mul_f32_e32 v162, v171, v142
	v_fmac_f32_e32 v193, v170, v137
	s_waitcnt vmcnt(31)
	v_fma_f32 v170, v171, v160, -v135
	s_waitcnt lgkmcnt(1)
	v_mul_f32_e32 v171, v138, v136
	v_add_f32_e32 v6, v6, v173
	v_mul_f32_e32 v10, v139, v136
	v_add_f32_e32 v4, v4, v169
	ds_read_b128 v[150:153], v1 offset:816
	ds_read_b128 v[154:157], v1 offset:832
	v_fmac_f32_e32 v162, v172, v160
	v_add_f32_e32 v6, v6, v196
	s_waitcnt vmcnt(30)
	v_mul_f32_e32 v12, v140, v148
	v_mul_f32_e32 v11, v141, v148
	v_fmac_f32_e32 v171, v139, v133
	v_fma_f32 v133, v138, v133, -v10
	v_add_f32_e32 v6, v6, v193
	v_add_f32_e32 v4, v4, v170
	v_fmac_f32_e32 v12, v141, v143
	v_fma_f32 v143, v140, v143, -v11
	s_waitcnt lgkmcnt(2)
	v_mul_f32_e32 v148, v144, v131
	v_add_f32_e32 v6, v6, v162
	v_mul_f32_e32 v131, v145, v131
	v_add_f32_e32 v4, v4, v133
	s_waitcnt vmcnt(29)
	v_mul_f32_e32 v163, v146, v134
	v_mul_f32_e32 v134, v147, v134
	v_add_f32_e32 v6, v6, v171
	v_fmac_f32_e32 v148, v145, v128
	v_fma_f32 v128, v144, v128, -v131
	v_add_f32_e32 v4, v4, v143
	s_waitcnt vmcnt(28) lgkmcnt(1)
	v_mul_f32_e32 v172, v150, v132
	v_add_f32_e32 v6, v6, v12
	v_mul_f32_e32 v132, v151, v132
	s_waitcnt vmcnt(23)
	v_fma_f32 v134, v146, v149, -v134
	v_add_f32_e32 v4, v4, v128
	ds_read_b128 v[158:161], v1 offset:848
	ds_read_b128 v[165:168], v1 offset:864
	v_fmac_f32_e32 v163, v147, v149
	v_add_f32_e32 v6, v6, v148
	v_mul_f32_e32 v12, v153, v130
	s_waitcnt vmcnt(14)
	v_fma_f32 v132, v150, v182, -v132
	v_add_f32_e32 v4, v4, v134
	v_mul_f32_e32 v169, v152, v130
	v_fmac_f32_e32 v172, v151, v182
	v_add_f32_e32 v6, v6, v163
	s_waitcnt lgkmcnt(2)
	v_mul_f32_e32 v131, v154, v9
	v_mul_f32_e32 v9, v155, v9
	s_waitcnt vmcnt(13)
	v_fma_f32 v12, v152, v183, -v12
	v_add_f32_e32 v4, v4, v132
	v_fmac_f32_e32 v169, v153, v183
	v_add_f32_e32 v6, v6, v172
	v_mul_f32_e32 v144, v156, v7
	v_mul_f32_e32 v7, v157, v7
	s_waitcnt vmcnt(12)
	v_fma_f32 v9, v154, v184, -v9
	v_add_f32_e32 v4, v4, v12
	v_fmac_f32_e32 v131, v155, v184
	v_add_f32_e32 v6, v6, v169
	s_waitcnt lgkmcnt(1)
	v_mul_f32_e32 v145, v158, v5
	v_mul_f32_e32 v5, v159, v5
	v_add_f32_e32 v4, v4, v9
	ds_read_b128 v[135:138], v1 offset:880
	ds_read_b128 v[139:142], v1 offset:896
	ds_read_b64 v[10:11], v1 offset:912
	v_add_f32_e32 v6, v6, v131
	v_mul_f32_e32 v146, v160, v3
	v_mul_f32_e32 v3, v161, v3
	s_waitcnt lgkmcnt(3)
	v_mul_f32_e32 v147, v165, v2
	v_mul_f32_e32 v2, v166, v2
	;; [unrolled: 1-line block ×3, first 2 shown]
	s_waitcnt lgkmcnt(2)
	v_mul_f32_e32 v149, v135, v177
	v_mul_f32_e32 v162, v137, v178
	s_waitcnt lgkmcnt(1)
	v_mul_f32_e32 v130, v139, v179
	v_mul_f32_e32 v143, v141, v180
	s_waitcnt lgkmcnt(0)
	v_mul_f32_e32 v128, v10, v181
	s_waitcnt vmcnt(10)
	v_fma_f32 v2, v165, v129, -v2
	s_waitcnt vmcnt(9)
	v_fma_f32 v3, v160, v189, -v3
	;; [unrolled: 2-line block ×4, first 2 shown]
	v_fmac_f32_e32 v144, v157, v191
	v_fmac_f32_e32 v145, v159, v190
	;; [unrolled: 1-line block ×4, first 2 shown]
	v_add_f32_e32 v4, v4, v7
	v_add_f32_e32 v6, v6, v144
	;; [unrolled: 1-line block ×4, first 2 shown]
	v_mul_f32_e32 v6, v168, v164
	s_waitcnt vmcnt(6)
	v_fmac_f32_e32 v130, v140, v174
	v_add_f32_e32 v3, v4, v3
	v_add_f32_e32 v4, v5, v146
	v_mul_f32_e32 v5, v136, v177
	s_waitcnt vmcnt(3)
	v_fma_f32 v6, v167, v192, -v6
	v_fmac_f32_e32 v133, v168, v192
	v_add_f32_e32 v2, v3, v2
	v_add_f32_e32 v3, v4, v147
	v_mul_f32_e32 v4, v138, v178
	v_fma_f32 v5, v135, v176, -v5
	v_fmac_f32_e32 v149, v136, v176
	v_add_f32_e32 v2, v2, v6
	v_add_f32_e32 v3, v3, v133
	v_mul_f32_e32 v6, v140, v179
	;; [unrolled: 5-line block ×3, first 2 shown]
	v_fma_f32 v6, v139, v174, -v6
	v_add_f32_e32 v2, v2, v4
	v_add_f32_e32 v3, v3, v162
	v_mul_f32_e32 v4, v11, v181
	s_waitcnt vmcnt(2)
	v_fmac_f32_e32 v128, v11, v186
	s_waitcnt vmcnt(1)
	v_fma_f32 v5, v141, v187, -v5
	v_add_f32_e32 v2, v2, v6
	v_fmac_f32_e32 v143, v142, v187
	v_add_f32_e32 v3, v3, v130
	v_fma_f32 v4, v10, v186, -v4
	v_add_f32_e32 v2, v2, v5
	v_add_f32_e32 v3, v3, v143
	;; [unrolled: 1-line block ×4, first 2 shown]
	s_waitcnt vmcnt(0)
	v_sub_f32_e32 v2, v8, v2
	v_sub_f32_e32 v3, v185, v3
	buffer_store_dword v2, off, s[0:3], 0 offset:184
	buffer_store_dword v3, off, s[0:3], 0 offset:188
	v_cmpx_lt_u32_e32 22, v0
	s_cbranch_execz .LBB56_311
; %bb.310:
	s_clause 0x1
	buffer_load_dword v2, off, s[0:3], 0 offset:176
	buffer_load_dword v3, off, s[0:3], 0 offset:180
	buffer_store_dword v1, off, s[0:3], 0 offset:176
	buffer_store_dword v1, off, s[0:3], 0 offset:180
	s_waitcnt vmcnt(0)
	ds_write_b64 v127, v[2:3]
.LBB56_311:
	s_or_b32 exec_lo, exec_lo, s4
	s_waitcnt lgkmcnt(0)
	s_waitcnt_vscnt null, 0x0
	s_barrier
	buffer_gl0_inv
	s_clause 0x24
	buffer_load_dword v10, off, s[0:3], 0 offset:188
	buffer_load_dword v11, off, s[0:3], 0 offset:196
	;; [unrolled: 1-line block ×37, first 2 shown]
	ds_read2_b64 v[2:5], v1 offset0:81 offset1:82
	s_clause 0x1
	buffer_load_dword v174, off, s[0:3], 0 offset:332
	buffer_load_dword v175, off, s[0:3], 0 offset:340
	ds_read2_b64 v[6:9], v1 offset0:83 offset1:84
	s_clause 0xa
	buffer_load_dword v176, off, s[0:3], 0 offset:348
	buffer_load_dword v177, off, s[0:3], 0 offset:356
	;; [unrolled: 1-line block ×11, first 2 shown]
	ds_read2_b64 v[128:131], v1 offset0:85 offset1:86
	ds_read2_b64 v[132:135], v1 offset0:87 offset1:88
	;; [unrolled: 1-line block ×3, first 2 shown]
	s_clause 0x7
	buffer_load_dword v189, off, s[0:3], 0 offset:180
	buffer_load_dword v190, off, s[0:3], 0 offset:404
	;; [unrolled: 1-line block ×8, first 2 shown]
	s_mov_b32 s4, exec_lo
	s_waitcnt vmcnt(57) lgkmcnt(4)
	v_mul_f32_e32 v187, v3, v10
	v_mul_f32_e32 v10, v2, v10
	s_waitcnt vmcnt(56)
	v_mul_f32_e32 v188, v4, v11
	v_mul_f32_e32 v11, v5, v11
	s_waitcnt vmcnt(53)
	v_fma_f32 v187, v2, v141, -v187
	v_fmac_f32_e32 v10, v3, v141
	v_fmac_f32_e32 v188, v5, v140
	v_fma_f32 v11, v4, v140, -v11
	s_waitcnt vmcnt(52) lgkmcnt(3)
	v_mul_f32_e32 v140, v6, v142
	v_mul_f32_e32 v2, v7, v142
	s_waitcnt vmcnt(51)
	v_mul_f32_e32 v3, v9, v143
	v_mul_f32_e32 v141, v8, v143
	s_waitcnt vmcnt(46) lgkmcnt(2)
	v_mul_f32_e32 v142, v128, v148
	v_fmac_f32_e32 v140, v7, v12
	v_fma_f32 v6, v6, v12, -v2
	v_fma_f32 v12, v8, v147, -v3
	v_mul_f32_e32 v2, v129, v148
	s_waitcnt vmcnt(45)
	v_mul_f32_e32 v143, v130, v149
	v_mul_f32_e32 v3, v131, v149
	s_clause 0x3
	buffer_load_dword v148, off, s[0:3], 0 offset:392
	buffer_load_dword v149, off, s[0:3], 0 offset:384
	;; [unrolled: 1-line block ×4, first 2 shown]
	v_fmac_f32_e32 v141, v9, v147
	v_fmac_f32_e32 v142, v129, v146
	v_fma_f32 v128, v128, v146, -v2
	v_fmac_f32_e32 v143, v131, v145
	v_fma_f32 v145, v130, v145, -v3
	s_waitcnt vmcnt(48) lgkmcnt(1)
	v_mul_f32_e32 v146, v132, v150
	v_mul_f32_e32 v2, v133, v150
	s_waitcnt vmcnt(47)
	v_mul_f32_e32 v147, v134, v151
	v_mul_f32_e32 v3, v135, v151
	s_waitcnt vmcnt(42) lgkmcnt(0)
	v_mul_f32_e32 v150, v136, v156
	v_mul_f32_e32 v7, v137, v156
	s_waitcnt vmcnt(41)
	v_mul_f32_e32 v151, v138, v157
	v_mul_f32_e32 v8, v139, v157
	v_fmac_f32_e32 v146, v133, v144
	v_fma_f32 v132, v132, v144, -v2
	v_fmac_f32_e32 v147, v135, v155
	v_fma_f32 v144, v134, v155, -v3
	ds_read2_b64 v[2:5], v1 offset0:91 offset1:92
	v_fmac_f32_e32 v150, v137, v154
	v_fma_f32 v136, v136, v154, -v7
	v_fmac_f32_e32 v151, v139, v153
	v_fma_f32 v137, v138, v153, -v8
	s_clause 0x7
	buffer_load_dword v153, off, s[0:3], 0 offset:424
	buffer_load_dword v154, off, s[0:3], 0 offset:416
	;; [unrolled: 1-line block ×8, first 2 shown]
	v_add_f32_e32 v7, 0, v187
	v_add_f32_e32 v8, 0, v10
	;; [unrolled: 1-line block ×4, first 2 shown]
	s_waitcnt vmcnt(48) lgkmcnt(0)
	v_mul_f32_e32 v10, v2, v158
	v_mul_f32_e32 v9, v3, v158
	v_fmac_f32_e32 v10, v3, v152
	v_fma_f32 v11, v2, v152, -v9
	v_add_f32_e32 v2, v7, v6
	v_add_f32_e32 v3, v8, v140
	ds_read2_b64 v[6:9], v1 offset0:93 offset1:94
	s_waitcnt vmcnt(47)
	v_mul_f32_e32 v152, v4, v159
	v_add_f32_e32 v12, v2, v12
	v_mul_f32_e32 v2, v5, v159
	v_add_f32_e32 v129, v3, v141
	s_waitcnt vmcnt(43)
	v_fmac_f32_e32 v152, v5, v163
	v_add_f32_e32 v12, v12, v128
	v_fma_f32 v158, v4, v163, -v2
	ds_read2_b64 v[2:5], v1 offset0:95 offset1:96
	v_add_f32_e32 v133, v129, v142
	ds_read2_b64 v[128:131], v1 offset0:97 offset1:98
	v_add_f32_e32 v12, v12, v145
	v_add_f32_e32 v133, v133, v143
	;; [unrolled: 1-line block ×3, first 2 shown]
	s_waitcnt vmcnt(42) lgkmcnt(2)
	v_mul_f32_e32 v134, v7, v164
	v_mul_f32_e32 v145, v6, v164
	s_waitcnt vmcnt(41)
	v_mul_f32_e32 v138, v9, v165
	v_fma_f32 v159, v6, v162, -v134
	v_add_f32_e32 v6, v133, v146
	v_fmac_f32_e32 v145, v7, v162
	v_add_f32_e32 v7, v12, v144
	v_mul_f32_e32 v12, v8, v165
	s_waitcnt vmcnt(40) lgkmcnt(1)
	v_mul_f32_e32 v162, v2, v166
	v_add_f32_e32 v6, v6, v147
	v_mul_f32_e32 v139, v3, v166
	v_add_f32_e32 v7, v7, v136
	ds_read2_b64 v[132:135], v1 offset0:99 offset1:100
	v_fmac_f32_e32 v162, v3, v160
	v_add_f32_e32 v6, v6, v150
	v_fma_f32 v160, v2, v160, -v139
	v_add_f32_e32 v2, v7, v137
	v_fma_f32 v144, v8, v161, -v138
	v_fmac_f32_e32 v12, v9, v161
	v_add_f32_e32 v3, v6, v151
	s_waitcnt vmcnt(39)
	v_mul_f32_e32 v140, v5, v167
	v_add_f32_e32 v11, v2, v11
	v_mul_f32_e32 v163, v4, v167
	s_waitcnt vmcnt(38) lgkmcnt(1)
	v_mul_f32_e32 v141, v129, v168
	v_add_f32_e32 v10, v3, v10
	s_waitcnt vmcnt(34)
	v_fma_f32 v151, v4, v172, -v140
	v_add_f32_e32 v11, v11, v158
	v_mul_f32_e32 v150, v128, v168
	ds_read2_b64 v[6:9], v1 offset0:101 offset1:102
	ds_read2_b64 v[136:139], v1 offset0:103 offset1:104
	v_add_f32_e32 v10, v10, v152
	v_fmac_f32_e32 v163, v5, v172
	v_add_f32_e32 v11, v11, v159
	v_fma_f32 v161, v128, v171, -v141
	s_waitcnt vmcnt(33)
	v_mul_f32_e32 v128, v131, v173
	v_add_f32_e32 v10, v10, v145
	v_fmac_f32_e32 v150, v129, v171
	v_add_f32_e32 v11, v11, v144
	v_mul_f32_e32 v158, v130, v173
	s_waitcnt vmcnt(32) lgkmcnt(2)
	v_mul_f32_e32 v129, v133, v174
	v_add_f32_e32 v10, v10, v12
	v_fma_f32 v165, v130, v170, -v128
	v_add_f32_e32 v11, v11, v160
	v_mul_f32_e32 v152, v132, v174
	v_fmac_f32_e32 v158, v131, v170
	v_add_f32_e32 v10, v10, v162
	s_waitcnt vmcnt(31)
	v_mul_f32_e32 v164, v135, v175
	v_add_f32_e32 v11, v11, v151
	v_fma_f32 v166, v132, v169, -v129
	v_mul_f32_e32 v159, v134, v175
	v_add_f32_e32 v10, v10, v163
	v_fmac_f32_e32 v152, v133, v169
	v_add_f32_e32 v11, v11, v161
	s_waitcnt vmcnt(24)
	v_fma_f32 v164, v134, v182, -v164
	s_waitcnt lgkmcnt(1)
	v_mul_f32_e32 v12, v7, v176
	v_add_f32_e32 v10, v10, v150
	ds_read2_b64 v[2:5], v1 offset0:105 offset1:106
	ds_read2_b64 v[140:143], v1 offset0:107 offset1:108
	v_add_f32_e32 v11, v11, v165
	ds_read2_b64 v[128:131], v1 offset0:109 offset1:110
	ds_read2_b64 v[144:147], v1 offset0:111 offset1:112
	v_fmac_f32_e32 v159, v135, v182
	v_add_f32_e32 v10, v10, v158
	ds_read2_b64 v[132:135], v1 offset0:113 offset1:114
	v_add_f32_e32 v11, v11, v166
	v_mul_f32_e32 v1, v6, v176
	v_mul_f32_e32 v162, v9, v177
	v_add_f32_e32 v10, v10, v152
	v_fma_f32 v6, v6, v181, -v12
	v_add_f32_e32 v11, v11, v164
	v_mul_f32_e32 v160, v8, v177
	v_fmac_f32_e32 v1, v7, v181
	v_add_f32_e32 v10, v10, v159
	s_waitcnt lgkmcnt(5)
	v_mul_f32_e32 v12, v137, v178
	v_fma_f32 v8, v8, v180, -v162
	v_add_f32_e32 v6, v11, v6
	v_mul_f32_e32 v151, v136, v178
	v_fmac_f32_e32 v160, v9, v180
	v_add_f32_e32 v1, v10, v1
	s_waitcnt vmcnt(23)
	v_mul_f32_e32 v9, v139, v183
	v_fma_f32 v10, v136, v179, -v12
	v_add_f32_e32 v6, v6, v8
	v_mul_f32_e32 v163, v138, v183
	v_fmac_f32_e32 v151, v137, v179
	v_add_f32_e32 v1, v1, v160
	s_waitcnt vmcnt(22) lgkmcnt(4)
	v_mul_f32_e32 v167, v2, v184
	v_mul_f32_e32 v8, v3, v184
	v_add_f32_e32 v6, v6, v10
	s_waitcnt vmcnt(21)
	v_mul_f32_e32 v10, v5, v185
	v_add_f32_e32 v1, v1, v151
	v_mul_f32_e32 v161, v4, v185
	s_waitcnt vmcnt(20) lgkmcnt(3)
	v_mul_f32_e32 v150, v140, v186
	s_waitcnt vmcnt(18)
	v_mul_f32_e32 v168, v142, v190
	s_waitcnt vmcnt(17) lgkmcnt(2)
	v_mul_f32_e32 v165, v128, v191
	s_waitcnt vmcnt(16)
	;; [unrolled: 4-line block ×4, first 2 shown]
	v_mul_f32_e32 v7, v134, v196
	s_waitcnt vmcnt(11)
	v_fmac_f32_e32 v150, v141, v148
	s_waitcnt vmcnt(10)
	v_fma_f32 v4, v4, v149, -v10
	s_waitcnt vmcnt(9)
	v_fmac_f32_e32 v167, v3, v197
	s_waitcnt vmcnt(8)
	v_fma_f32 v9, v138, v198, -v9
	v_fmac_f32_e32 v163, v139, v198
	v_fma_f32 v2, v2, v197, -v8
	v_fmac_f32_e32 v161, v5, v149
	v_add_f32_e32 v3, v6, v9
	v_add_f32_e32 v1, v1, v163
	v_mul_f32_e32 v6, v141, v186
	v_add_f32_e32 v2, v3, v2
	v_add_f32_e32 v1, v1, v167
	v_mul_f32_e32 v3, v143, v190
	v_fma_f32 v5, v140, v148, -v6
	v_add_f32_e32 v2, v2, v4
	v_add_f32_e32 v1, v1, v161
	v_mul_f32_e32 v4, v129, v191
	s_waitcnt vmcnt(5)
	v_fmac_f32_e32 v165, v129, v155
	s_waitcnt vmcnt(4)
	v_fma_f32 v3, v142, v156, -v3
	v_add_f32_e32 v2, v2, v5
	v_fmac_f32_e32 v168, v143, v156
	v_add_f32_e32 v1, v1, v150
	v_mul_f32_e32 v5, v131, v192
	v_fma_f32 v4, v128, v155, -v4
	v_add_f32_e32 v2, v2, v3
	v_mul_f32_e32 v3, v145, v193
	v_add_f32_e32 v1, v1, v168
	v_fma_f32 v5, v130, v154, -v5
	v_fmac_f32_e32 v158, v131, v154
	v_add_f32_e32 v2, v2, v4
	v_mul_f32_e32 v4, v147, v194
	v_add_f32_e32 v1, v1, v165
	v_fma_f32 v3, v144, v153, -v3
	v_fmac_f32_e32 v169, v145, v153
	v_add_f32_e32 v2, v2, v5
	v_mul_f32_e32 v5, v133, v195
	v_add_f32_e32 v1, v1, v158
	s_waitcnt vmcnt(1)
	v_fma_f32 v4, v146, v200, -v4
	v_fmac_f32_e32 v166, v147, v200
	v_add_f32_e32 v2, v2, v3
	v_mul_f32_e32 v3, v135, v196
	v_add_f32_e32 v1, v1, v169
	v_fma_f32 v5, v132, v199, -v5
	v_fmac_f32_e32 v152, v133, v199
	v_add_f32_e32 v2, v2, v4
	v_fma_f32 v3, v134, v157, -v3
	v_add_f32_e32 v1, v1, v166
	v_fmac_f32_e32 v7, v135, v157
	v_add_f32_e32 v2, v2, v5
	v_add_f32_e32 v1, v1, v152
	;; [unrolled: 1-line block ×4, first 2 shown]
	s_waitcnt vmcnt(0)
	v_sub_f32_e32 v2, v201, v2
	v_sub_f32_e32 v1, v189, v1
	buffer_store_dword v2, off, s[0:3], 0 offset:176
	buffer_store_dword v1, off, s[0:3], 0 offset:180
	v_cmpx_lt_u32_e32 21, v0
	s_cbranch_execz .LBB56_313
; %bb.312:
	s_clause 0x1
	buffer_load_dword v1, off, s[0:3], 0 offset:168
	buffer_load_dword v2, off, s[0:3], 0 offset:172
	v_mov_b32_e32 v3, 0
	buffer_store_dword v3, off, s[0:3], 0 offset:168
	buffer_store_dword v3, off, s[0:3], 0 offset:172
	s_waitcnt vmcnt(0)
	ds_write_b64 v127, v[1:2]
.LBB56_313:
	s_or_b32 exec_lo, exec_lo, s4
	s_waitcnt lgkmcnt(0)
	s_waitcnt_vscnt null, 0x0
	s_barrier
	buffer_gl0_inv
	s_clause 0x23
	buffer_load_dword v2, off, s[0:3], 0 offset:180
	buffer_load_dword v3, off, s[0:3], 0 offset:188
	;; [unrolled: 1-line block ×36, first 2 shown]
	v_mov_b32_e32 v1, 0
	s_clause 0x1
	buffer_load_dword v169, off, s[0:3], 0 offset:316
	buffer_load_dword v170, off, s[0:3], 0 offset:324
	s_mov_b32 s4, exec_lo
	ds_read_b128 v[4:7], v1 offset:640
	s_clause 0x7
	buffer_load_dword v171, off, s[0:3], 0 offset:332
	buffer_load_dword v172, off, s[0:3], 0 offset:340
	;; [unrolled: 1-line block ×8, first 2 shown]
	ds_read_b128 v[8:11], v1 offset:656
	s_clause 0x3
	buffer_load_dword v179, off, s[0:3], 0 offset:364
	buffer_load_dword v180, off, s[0:3], 0 offset:372
	;; [unrolled: 1-line block ×4, first 2 shown]
	ds_read_b128 v[128:131], v1 offset:672
	s_clause 0x4
	buffer_load_dword v183, off, s[0:3], 0 offset:396
	buffer_load_dword v184, off, s[0:3], 0 offset:404
	;; [unrolled: 1-line block ×5, first 2 shown]
	ds_read_b128 v[132:135], v1 offset:688
	s_waitcnt vmcnt(54) lgkmcnt(3)
	v_mul_f32_e32 v188, v5, v2
	v_mul_f32_e32 v189, v4, v2
	s_waitcnt vmcnt(53)
	v_mul_f32_e32 v190, v6, v3
	v_mul_f32_e32 v2, v7, v3
	s_waitcnt vmcnt(50)
	v_fma_f32 v188, v4, v137, -v188
	v_fmac_f32_e32 v189, v5, v137
	v_fmac_f32_e32 v190, v7, v136
	v_fma_f32 v136, v6, v136, -v2
	ds_read_b128 v[2:5], v1 offset:704
	s_waitcnt vmcnt(49) lgkmcnt(3)
	v_mul_f32_e32 v137, v8, v138
	v_mul_f32_e32 v6, v9, v138
	s_clause 0x7
	buffer_load_dword v192, off, s[0:3], 0 offset:428
	buffer_load_dword v193, off, s[0:3], 0 offset:436
	;; [unrolled: 1-line block ×8, first 2 shown]
	s_waitcnt vmcnt(56)
	v_mul_f32_e32 v138, v10, v139
	v_mul_f32_e32 v7, v11, v139
	s_waitcnt vmcnt(55) lgkmcnt(2)
	v_mul_f32_e32 v139, v128, v140
	v_mul_f32_e32 v140, v129, v140
	v_fmac_f32_e32 v137, v9, v12
	v_fma_f32 v12, v8, v12, -v6
	s_waitcnt vmcnt(54)
	v_mul_f32_e32 v6, v131, v141
	v_mul_f32_e32 v191, v130, v141
	s_waitcnt vmcnt(50)
	v_fmac_f32_e32 v138, v11, v145
	v_fma_f32 v11, v128, v144, -v140
	s_waitcnt vmcnt(49) lgkmcnt(1)
	v_mul_f32_e32 v140, v132, v146
	v_fma_f32 v128, v130, v143, -v6
	v_mul_f32_e32 v6, v133, v146
	v_fma_f32 v10, v10, v145, -v7
	v_fmac_f32_e32 v139, v129, v144
	v_fmac_f32_e32 v191, v131, v143
	s_waitcnt vmcnt(48)
	v_mul_f32_e32 v141, v134, v147
	v_mul_f32_e32 v7, v135, v147
	v_fmac_f32_e32 v140, v133, v142
	v_fma_f32 v132, v132, v142, -v6
	s_waitcnt vmcnt(43) lgkmcnt(0)
	v_mul_f32_e32 v142, v2, v152
	v_mul_f32_e32 v129, v3, v152
	s_waitcnt vmcnt(42)
	v_mul_f32_e32 v143, v4, v153
	v_mul_f32_e32 v130, v5, v153
	v_fmac_f32_e32 v141, v135, v151
	v_fma_f32 v133, v134, v151, -v7
	ds_read_b128 v[6:9], v1 offset:720
	v_fmac_f32_e32 v142, v3, v150
	v_fma_f32 v144, v2, v150, -v129
	v_fmac_f32_e32 v143, v5, v149
	v_fma_f32 v145, v4, v149, -v130
	s_clause 0x3
	buffer_load_dword v149, off, s[0:3], 0 offset:416
	buffer_load_dword v150, off, s[0:3], 0 offset:408
	buffer_load_dword v151, off, s[0:3], 0 offset:400
	buffer_load_dword v152, off, s[0:3], 0 offset:392
	v_add_f32_e32 v2, 0, v188
	s_clause 0x3
	buffer_load_dword v153, off, s[0:3], 0 offset:448
	buffer_load_dword v188, off, s[0:3], 0 offset:440
	;; [unrolled: 1-line block ×4, first 2 shown]
	v_add_f32_e32 v3, 0, v189
	buffer_load_dword v189, off, s[0:3], 0 offset:168
	v_add_f32_e32 v2, v2, v136
	v_add_f32_e32 v3, v3, v190
	v_add_f32_e32 v2, v2, v12
	v_add_f32_e32 v3, v3, v137
	s_waitcnt vmcnt(50) lgkmcnt(0)
	v_mul_f32_e32 v12, v6, v154
	v_mul_f32_e32 v4, v7, v154
	v_fmac_f32_e32 v12, v7, v148
	v_fma_f32 v136, v6, v148, -v4
	v_add_f32_e32 v6, v2, v10
	v_add_f32_e32 v7, v3, v138
	ds_read_b128 v[2:5], v1 offset:736
	v_add_f32_e32 v10, v6, v11
	s_waitcnt vmcnt(49)
	v_mul_f32_e32 v11, v8, v155
	v_mul_f32_e32 v6, v9, v155
	v_add_f32_e32 v129, v7, v139
	v_add_f32_e32 v10, v10, v128
	s_waitcnt vmcnt(45)
	v_fmac_f32_e32 v11, v9, v159
	v_fma_f32 v146, v8, v159, -v6
	ds_read_b128 v[6:9], v1 offset:752
	v_add_f32_e32 v134, v129, v191
	ds_read_b128 v[128:131], v1 offset:768
	v_add_f32_e32 v10, v10, v132
	v_add_f32_e32 v134, v134, v140
	;; [unrolled: 1-line block ×3, first 2 shown]
	s_waitcnt vmcnt(44) lgkmcnt(2)
	v_mul_f32_e32 v132, v3, v160
	v_mul_f32_e32 v147, v2, v160
	s_waitcnt vmcnt(43)
	v_mul_f32_e32 v137, v5, v161
	v_fma_f32 v148, v2, v158, -v132
	v_add_f32_e32 v2, v134, v141
	v_fmac_f32_e32 v147, v3, v158
	v_add_f32_e32 v3, v10, v144
	ds_read_b128 v[132:135], v1 offset:784
	v_mul_f32_e32 v10, v4, v161
	v_add_f32_e32 v2, v2, v142
	s_waitcnt vmcnt(42) lgkmcnt(2)
	v_mul_f32_e32 v138, v7, v162
	v_add_f32_e32 v3, v3, v145
	v_mul_f32_e32 v154, v6, v162
	s_waitcnt vmcnt(40) lgkmcnt(1)
	v_mul_f32_e32 v158, v128, v164
	v_add_f32_e32 v2, v2, v143
	v_fma_f32 v145, v6, v156, -v138
	v_add_f32_e32 v6, v3, v136
	v_fmac_f32_e32 v154, v7, v156
	s_waitcnt vmcnt(37)
	v_fmac_f32_e32 v158, v129, v167
	v_add_f32_e32 v7, v2, v12
	v_mul_f32_e32 v12, v129, v164
	v_add_f32_e32 v129, v6, v146
	v_fma_f32 v144, v4, v157, -v137
	v_fmac_f32_e32 v10, v5, v157
	v_add_f32_e32 v11, v7, v11
	v_fma_f32 v12, v128, v167, -v12
	v_add_f32_e32 v128, v129, v148
	v_mul_f32_e32 v140, v9, v163
	v_mul_f32_e32 v155, v8, v163
	v_add_f32_e32 v11, v11, v147
	ds_read_b128 v[2:5], v1 offset:800
	ds_read_b128 v[136:139], v1 offset:816
	v_add_f32_e32 v128, v128, v144
	s_waitcnt vmcnt(36)
	v_fma_f32 v156, v8, v168, -v140
	v_fmac_f32_e32 v155, v9, v168
	v_add_f32_e32 v10, v11, v10
	s_waitcnt vmcnt(35)
	v_mul_f32_e32 v129, v131, v169
	v_add_f32_e32 v163, v128, v145
	v_mul_f32_e32 v148, v130, v169
	s_waitcnt vmcnt(34) lgkmcnt(2)
	v_mul_f32_e32 v144, v133, v170
	v_add_f32_e32 v154, v10, v154
	v_fma_f32 v161, v130, v166, -v129
	v_add_f32_e32 v156, v163, v156
	v_mul_f32_e32 v157, v132, v170
	v_fmac_f32_e32 v148, v131, v166
	v_add_f32_e32 v154, v154, v155
	s_waitcnt vmcnt(33)
	v_mul_f32_e32 v160, v135, v171
	v_add_f32_e32 v12, v156, v12
	v_fma_f32 v162, v132, v165, -v144
	v_mul_f32_e32 v159, v134, v171
	v_add_f32_e32 v154, v154, v158
	v_fmac_f32_e32 v157, v133, v165
	v_add_f32_e32 v12, v12, v161
	s_waitcnt vmcnt(26)
	v_fma_f32 v160, v134, v178, -v160
	s_waitcnt lgkmcnt(1)
	v_mul_f32_e32 v164, v3, v172
	v_add_f32_e32 v148, v154, v148
	ds_read_b128 v[6:9], v1 offset:832
	ds_read_b128 v[140:143], v1 offset:848
	v_add_f32_e32 v12, v12, v162
	v_fmac_f32_e32 v159, v135, v178
	v_mul_f32_e32 v163, v2, v172
	v_add_f32_e32 v148, v148, v157
	v_mul_f32_e32 v165, v5, v173
	v_fma_f32 v2, v2, v177, -v164
	v_add_f32_e32 v12, v12, v160
	v_mul_f32_e32 v155, v4, v173
	v_fmac_f32_e32 v163, v3, v177
	v_add_f32_e32 v148, v148, v159
	s_waitcnt lgkmcnt(2)
	v_mul_f32_e32 v164, v137, v174
	v_fma_f32 v4, v4, v176, -v165
	v_add_f32_e32 v2, v12, v2
	v_mul_f32_e32 v156, v136, v174
	v_fmac_f32_e32 v155, v5, v176
	v_add_f32_e32 v12, v148, v163
	s_waitcnt vmcnt(25)
	v_mul_f32_e32 v159, v139, v179
	v_fma_f32 v136, v136, v175, -v164
	v_add_f32_e32 v2, v2, v4
	v_mul_f32_e32 v158, v138, v179
	v_fmac_f32_e32 v156, v137, v175
	v_add_f32_e32 v4, v12, v155
	s_waitcnt vmcnt(24) lgkmcnt(1)
	v_mul_f32_e32 v12, v7, v180
	v_add_f32_e32 v2, v2, v136
	ds_read_b128 v[128:131], v1 offset:864
	ds_read_b128 v[144:147], v1 offset:880
	v_mul_f32_e32 v3, v6, v180
	v_add_f32_e32 v4, v4, v156
	s_waitcnt vmcnt(23)
	v_mul_f32_e32 v136, v9, v181
	v_mul_f32_e32 v161, v8, v181
	s_waitcnt vmcnt(22) lgkmcnt(2)
	v_mul_f32_e32 v154, v140, v182
	s_waitcnt vmcnt(21)
	v_mul_f32_e32 v5, v142, v183
	ds_read_b128 v[132:135], v1 offset:896
	ds_read_b64 v[10:11], v1 offset:912
	s_waitcnt vmcnt(20) lgkmcnt(3)
	v_mul_f32_e32 v165, v128, v184
	s_waitcnt vmcnt(19)
	v_mul_f32_e32 v157, v130, v185
	s_waitcnt vmcnt(18) lgkmcnt(2)
	v_mul_f32_e32 v162, v144, v186
	s_waitcnt vmcnt(16)
	v_mul_f32_e32 v166, v146, v192
	s_waitcnt vmcnt(12)
	v_fmac_f32_e32 v154, v141, v196
	s_waitcnt vmcnt(11)
	v_fma_f32 v8, v8, v197, -v136
	s_waitcnt vmcnt(10)
	v_fma_f32 v6, v6, v198, -v12
	;; [unrolled: 2-line block ×3, first 2 shown]
	v_fmac_f32_e32 v158, v139, v199
	v_fmac_f32_e32 v3, v7, v198
	v_mul_f32_e32 v7, v141, v182
	v_fmac_f32_e32 v161, v9, v197
	v_add_f32_e32 v2, v2, v137
	v_add_f32_e32 v4, v4, v158
	s_waitcnt lgkmcnt(1)
	v_mul_f32_e32 v160, v132, v193
	v_mul_f32_e32 v167, v134, v194
	s_waitcnt lgkmcnt(0)
	v_mul_f32_e32 v148, v10, v195
	v_add_f32_e32 v2, v2, v6
	v_add_f32_e32 v3, v4, v3
	v_mul_f32_e32 v4, v143, v183
	v_fma_f32 v6, v140, v196, -v7
	v_mul_f32_e32 v7, v129, v184
	v_add_f32_e32 v2, v2, v8
	v_add_f32_e32 v3, v3, v161
	;; [unrolled: 1-line block ×4, first 2 shown]
	v_mul_f32_e32 v6, v131, v185
	s_waitcnt vmcnt(8)
	v_fmac_f32_e32 v162, v145, v149
	s_waitcnt vmcnt(7)
	v_fmac_f32_e32 v157, v131, v150
	s_waitcnt vmcnt(6)
	v_fma_f32 v7, v128, v151, -v7
	s_waitcnt vmcnt(5)
	v_fma_f32 v4, v142, v152, -v4
	v_fmac_f32_e32 v5, v143, v152
	v_fmac_f32_e32 v165, v129, v151
	s_waitcnt vmcnt(1)
	v_fmac_f32_e32 v166, v147, v201
	v_fmac_f32_e32 v160, v133, v200
	v_add_f32_e32 v2, v2, v4
	v_add_f32_e32 v3, v3, v5
	v_mul_f32_e32 v4, v145, v186
	v_fma_f32 v5, v130, v150, -v6
	v_mul_f32_e32 v6, v147, v192
	v_add_f32_e32 v2, v2, v7
	v_add_f32_e32 v3, v3, v165
	v_fma_f32 v4, v144, v149, -v4
	v_fmac_f32_e32 v167, v135, v188
	v_fma_f32 v6, v146, v201, -v6
	v_add_f32_e32 v2, v2, v5
	v_add_f32_e32 v3, v3, v157
	v_mul_f32_e32 v5, v133, v193
	v_fmac_f32_e32 v148, v11, v153
	v_add_f32_e32 v2, v2, v4
	v_add_f32_e32 v3, v3, v162
	v_mul_f32_e32 v4, v135, v194
	v_fma_f32 v5, v132, v200, -v5
	v_add_f32_e32 v2, v2, v6
	v_add_f32_e32 v3, v3, v166
	v_mul_f32_e32 v6, v11, v195
	v_fma_f32 v4, v134, v188, -v4
	v_add_f32_e32 v2, v2, v5
	v_add_f32_e32 v3, v3, v160
	v_fma_f32 v5, v10, v153, -v6
	v_add_f32_e32 v2, v2, v4
	v_add_f32_e32 v3, v3, v167
	;; [unrolled: 1-line block ×4, first 2 shown]
	s_waitcnt vmcnt(0)
	v_sub_f32_e32 v2, v189, v2
	v_sub_f32_e32 v3, v187, v3
	buffer_store_dword v2, off, s[0:3], 0 offset:168
	buffer_store_dword v3, off, s[0:3], 0 offset:172
	v_cmpx_lt_u32_e32 20, v0
	s_cbranch_execz .LBB56_315
; %bb.314:
	s_clause 0x1
	buffer_load_dword v2, off, s[0:3], 0 offset:160
	buffer_load_dword v3, off, s[0:3], 0 offset:164
	buffer_store_dword v1, off, s[0:3], 0 offset:160
	buffer_store_dword v1, off, s[0:3], 0 offset:164
	s_waitcnt vmcnt(0)
	ds_write_b64 v127, v[2:3]
.LBB56_315:
	s_or_b32 exec_lo, exec_lo, s4
	s_waitcnt lgkmcnt(0)
	s_waitcnt_vscnt null, 0x0
	s_barrier
	buffer_gl0_inv
	s_clause 0x23
	buffer_load_dword v136, off, s[0:3], 0 offset:172
	buffer_load_dword v137, off, s[0:3], 0 offset:180
	;; [unrolled: 1-line block ×36, first 2 shown]
	ds_read2_b64 v[5:8], v1 offset0:79 offset1:80
	s_clause 0x2
	buffer_load_dword v172, off, s[0:3], 0 offset:308
	buffer_load_dword v173, off, s[0:3], 0 offset:316
	;; [unrolled: 1-line block ×3, first 2 shown]
	ds_read2_b64 v[9:12], v1 offset0:81 offset1:82
	s_clause 0x3
	buffer_load_dword v175, off, s[0:3], 0 offset:356
	buffer_load_dword v4, off, s[0:3], 0 offset:364
	;; [unrolled: 1-line block ×4, first 2 shown]
	ds_read2_b64 v[128:131], v1 offset0:83 offset1:84
	s_clause 0x6
	buffer_load_dword v176, off, s[0:3], 0 offset:332
	buffer_load_dword v177, off, s[0:3], 0 offset:340
	;; [unrolled: 1-line block ×7, first 2 shown]
	ds_read2_b64 v[132:135], v1 offset0:85 offset1:86
	buffer_load_dword v186, off, s[0:3], 0 offset:164
	s_mov_b32 s4, exec_lo
	s_waitcnt vmcnt(50) lgkmcnt(3)
	v_mul_f32_e32 v183, v6, v136
	v_mul_f32_e32 v184, v5, v136
	s_waitcnt vmcnt(49)
	v_mul_f32_e32 v185, v7, v137
	v_mul_f32_e32 v136, v8, v137
	s_waitcnt vmcnt(46)
	v_fma_f32 v183, v5, v139, -v183
	v_fmac_f32_e32 v184, v6, v139
	v_fmac_f32_e32 v185, v8, v138
	v_fma_f32 v187, v7, v138, -v136
	ds_read2_b64 v[5:8], v1 offset0:87 offset1:88
	ds_read2_b64 v[136:139], v1 offset0:89 offset1:90
	s_waitcnt vmcnt(45) lgkmcnt(4)
	v_mul_f32_e32 v188, v9, v141
	v_mul_f32_e32 v141, v10, v141
	s_waitcnt vmcnt(43) lgkmcnt(3)
	v_mul_f32_e32 v190, v128, v143
	v_mul_f32_e32 v143, v129, v143
	;; [unrolled: 1-line block ×3, first 2 shown]
	v_fmac_f32_e32 v188, v10, v140
	v_fma_f32 v140, v9, v140, -v141
	s_waitcnt vmcnt(42)
	v_mul_f32_e32 v9, v131, v144
	v_mul_f32_e32 v142, v12, v142
	;; [unrolled: 1-line block ×3, first 2 shown]
	s_waitcnt vmcnt(39)
	v_fmac_f32_e32 v190, v129, v147
	v_fma_f32 v128, v128, v147, -v143
	v_fma_f32 v129, v130, v146, -v9
	s_waitcnt vmcnt(37) lgkmcnt(2)
	v_mul_f32_e32 v130, v132, v149
	v_mul_f32_e32 v9, v133, v149
	s_waitcnt vmcnt(36)
	v_mul_f32_e32 v143, v134, v150
	v_mul_f32_e32 v10, v135, v150
	v_fmac_f32_e32 v189, v12, v148
	v_fma_f32 v142, v11, v148, -v142
	s_clause 0x3
	buffer_load_dword v148, off, s[0:3], 0 offset:388
	buffer_load_dword v191, off, s[0:3], 0 offset:396
	;; [unrolled: 1-line block ×4, first 2 shown]
	v_fmac_f32_e32 v141, v131, v146
	s_clause 0x4
	buffer_load_dword v194, off, s[0:3], 0 offset:420
	buffer_load_dword v195, off, s[0:3], 0 offset:428
	;; [unrolled: 1-line block ×5, first 2 shown]
	v_fmac_f32_e32 v130, v133, v145
	v_fma_f32 v131, v132, v145, -v9
	s_waitcnt vmcnt(44) lgkmcnt(1)
	v_mul_f32_e32 v132, v5, v151
	v_mul_f32_e32 v9, v6, v151
	s_waitcnt vmcnt(40)
	v_fmac_f32_e32 v143, v135, v155
	v_fma_f32 v133, v134, v155, -v10
	s_waitcnt vmcnt(39)
	v_mul_f32_e32 v144, v7, v156
	v_mul_f32_e32 v10, v8, v156
	s_clause 0x3
	buffer_load_dword v150, off, s[0:3], 0 offset:376
	buffer_load_dword v151, off, s[0:3], 0 offset:368
	buffer_load_dword v155, off, s[0:3], 0 offset:360
	buffer_load_dword v156, off, s[0:3], 0 offset:352
	v_fmac_f32_e32 v132, v6, v154
	v_fma_f32 v134, v5, v154, -v9
	v_fmac_f32_e32 v144, v8, v153
	v_fma_f32 v145, v7, v153, -v10
	ds_read2_b64 v[5:8], v1 offset0:91 offset1:92
	s_waitcnt vmcnt(42) lgkmcnt(1)
	v_mul_f32_e32 v146, v136, v157
	v_mul_f32_e32 v9, v137, v157
	s_waitcnt vmcnt(41)
	v_mul_f32_e32 v147, v138, v158
	v_mul_f32_e32 v10, v139, v158
	v_fmac_f32_e32 v146, v137, v152
	v_fma_f32 v136, v136, v152, -v9
	s_clause 0x3
	buffer_load_dword v152, off, s[0:3], 0 offset:408
	buffer_load_dword v153, off, s[0:3], 0 offset:400
	;; [unrolled: 1-line block ×4, first 2 shown]
	v_add_f32_e32 v9, 0, v183
	s_waitcnt vmcnt(41)
	v_fmac_f32_e32 v147, v139, v162
	v_fma_f32 v137, v138, v162, -v10
	v_add_f32_e32 v10, 0, v184
	v_add_f32_e32 v135, v9, v187
	;; [unrolled: 1-line block ×3, first 2 shown]
	ds_read2_b64 v[9:12], v1 offset0:93 offset1:94
	v_add_f32_e32 v135, v135, v140
	s_waitcnt vmcnt(40) lgkmcnt(1)
	v_mul_f32_e32 v140, v5, v163
	v_mul_f32_e32 v139, v6, v163
	v_add_f32_e32 v138, v138, v188
	s_waitcnt vmcnt(39)
	v_mul_f32_e32 v187, v7, v164
	v_fmac_f32_e32 v140, v6, v161
	v_fma_f32 v158, v5, v161, -v139
	s_clause 0x5
	buffer_load_dword v161, off, s[0:3], 0 offset:440
	buffer_load_dword v162, off, s[0:3], 0 offset:432
	;; [unrolled: 1-line block ×6, first 2 shown]
	v_add_f32_e32 v5, v135, v142
	v_add_f32_e32 v6, v138, v189
	v_fmac_f32_e32 v187, v8, v160
	v_add_f32_e32 v5, v5, v128
	v_add_f32_e32 v6, v6, v190
	v_mul_f32_e32 v128, v8, v164
	s_waitcnt vmcnt(43) lgkmcnt(0)
	v_mul_f32_e32 v139, v12, v166
	v_mul_f32_e32 v164, v9, v165
	v_add_f32_e32 v5, v5, v129
	v_add_f32_e32 v129, v6, v141
	v_fma_f32 v160, v7, v160, -v128
	v_fmac_f32_e32 v164, v10, v159
	v_add_f32_e32 v135, v5, v131
	ds_read2_b64 v[5:8], v1 offset0:95 offset1:96
	v_add_f32_e32 v138, v129, v130
	ds_read2_b64 v[128:131], v1 offset0:97 offset1:98
	v_add_f32_e32 v133, v135, v133
	v_mul_f32_e32 v135, v10, v165
	v_add_f32_e32 v138, v138, v143
	v_mul_f32_e32 v165, v11, v166
	s_waitcnt vmcnt(39)
	v_fma_f32 v166, v11, v170, -v139
	v_add_f32_e32 v141, v133, v134
	v_fma_f32 v159, v9, v159, -v135
	v_add_f32_e32 v138, v138, v132
	v_fmac_f32_e32 v165, v12, v170
	ds_read2_b64 v[9:12], v1 offset0:99 offset1:100
	ds_read2_b64 v[132:135], v1 offset0:101 offset1:102
	v_add_f32_e32 v139, v141, v145
	v_add_f32_e32 v138, v138, v144
	;; [unrolled: 1-line block ×3, first 2 shown]
	s_waitcnt vmcnt(38) lgkmcnt(3)
	v_mul_f32_e32 v170, v5, v171
	v_mul_f32_e32 v141, v6, v171
	s_waitcnt vmcnt(37)
	v_mul_f32_e32 v171, v7, v172
	v_mul_f32_e32 v142, v8, v172
	v_add_f32_e32 v138, v138, v146
	v_fmac_f32_e32 v170, v6, v169
	v_fma_f32 v169, v5, v169, -v141
	v_add_f32_e32 v141, v136, v137
	v_fmac_f32_e32 v171, v8, v168
	v_fma_f32 v168, v7, v168, -v142
	v_add_f32_e32 v142, v138, v147
	s_waitcnt vmcnt(35) lgkmcnt(2)
	v_mul_f32_e32 v144, v131, v174
	v_add_f32_e32 v145, v141, v158
	s_waitcnt vmcnt(30) lgkmcnt(1)
	v_mul_f32_e32 v146, v10, v176
	v_mul_f32_e32 v172, v128, v173
	v_mul_f32_e32 v143, v129, v173
	s_waitcnt vmcnt(24)
	v_fma_f32 v158, v130, v182, -v144
	v_add_f32_e32 v144, v142, v140
	v_add_f32_e32 v145, v145, v160
	v_mul_f32_e32 v160, v9, v176
	v_fmac_f32_e32 v172, v129, v167
	v_fma_f32 v167, v128, v167, -v143
	v_add_f32_e32 v144, v144, v187
	v_mul_f32_e32 v173, v130, v174
	v_fmac_f32_e32 v160, v10, v181
	v_add_f32_e32 v10, v145, v159
	ds_read2_b64 v[5:8], v1 offset0:103 offset1:104
	ds_read2_b64 v[136:139], v1 offset0:105 offset1:106
	v_add_f32_e32 v144, v144, v164
	v_fmac_f32_e32 v173, v131, v182
	v_mul_f32_e32 v147, v12, v177
	v_add_f32_e32 v166, v10, v166
	v_fma_f32 v159, v9, v181, -v146
	v_add_f32_e32 v165, v144, v165
	v_mul_f32_e32 v174, v11, v177
	v_fma_f32 v164, v11, v180, -v147
	v_add_f32_e32 v166, v166, v169
	s_waitcnt lgkmcnt(2)
	v_mul_f32_e32 v169, v133, v178
	v_add_f32_e32 v165, v165, v170
	ds_read2_b64 v[128:131], v1 offset0:107 offset1:108
	ds_read2_b64 v[140:143], v1 offset0:109 offset1:110
	v_fmac_f32_e32 v174, v12, v180
	v_add_f32_e32 v166, v166, v168
	ds_read2_b64 v[9:12], v1 offset0:111 offset1:112
	ds_read2_b64 v[144:147], v1 offset0:113 offset1:114
	v_add_f32_e32 v165, v165, v171
	v_mul_f32_e32 v1, v132, v178
	v_mul_f32_e32 v170, v134, v175
	v_add_f32_e32 v166, v166, v167
	v_mul_f32_e32 v175, v135, v175
	v_add_f32_e32 v165, v165, v172
	v_fma_f32 v132, v132, v179, -v169
	v_fmac_f32_e32 v1, v133, v179
	v_add_f32_e32 v158, v166, v158
	s_waitcnt lgkmcnt(5)
	v_mul_f32_e32 v168, v5, v4
	v_add_f32_e32 v165, v165, v173
	v_mul_f32_e32 v4, v6, v4
	v_mul_f32_e32 v171, v7, v3
	v_add_f32_e32 v158, v158, v159
	v_mul_f32_e32 v3, v8, v3
	v_add_f32_e32 v160, v165, v160
	s_waitcnt lgkmcnt(4)
	v_mul_f32_e32 v176, v136, v2
	v_mul_f32_e32 v2, v137, v2
	v_add_f32_e32 v158, v158, v164
	v_add_f32_e32 v160, v160, v174
	;; [unrolled: 1-line block ×4, first 2 shown]
	s_waitcnt vmcnt(22)
	v_mul_f32_e32 v167, v138, v148
	s_waitcnt vmcnt(21) lgkmcnt(3)
	v_mul_f32_e32 v172, v128, v191
	s_waitcnt vmcnt(20)
	v_mul_f32_e32 v177, v130, v192
	s_waitcnt vmcnt(19) lgkmcnt(2)
	v_mul_f32_e32 v166, v140, v193
	s_waitcnt vmcnt(18)
	v_mul_f32_e32 v173, v142, v194
	s_waitcnt vmcnt(17) lgkmcnt(1)
	v_mul_f32_e32 v178, v9, v195
	s_waitcnt vmcnt(16)
	v_mul_f32_e32 v159, v11, v196
	s_waitcnt vmcnt(15) lgkmcnt(0)
	v_mul_f32_e32 v165, v144, v197
	s_waitcnt vmcnt(14)
	v_mul_f32_e32 v133, v146, v149
	s_waitcnt vmcnt(13)
	v_fma_f32 v2, v136, v150, -v2
	s_waitcnt vmcnt(12)
	v_fma_f32 v3, v7, v151, -v3
	;; [unrolled: 2-line block ×4, first 2 shown]
	v_fmac_f32_e32 v170, v135, v156
	v_fmac_f32_e32 v168, v6, v155
	;; [unrolled: 1-line block ×4, first 2 shown]
	v_add_f32_e32 v5, v132, v134
	v_add_f32_e32 v1, v1, v170
	;; [unrolled: 1-line block ×4, first 2 shown]
	v_mul_f32_e32 v5, v139, v148
	s_waitcnt vmcnt(6)
	v_fmac_f32_e32 v167, v139, v157
	v_fmac_f32_e32 v172, v129, v154
	v_add_f32_e32 v3, v4, v3
	v_add_f32_e32 v1, v1, v171
	v_mul_f32_e32 v4, v129, v191
	v_fma_f32 v5, v138, v157, -v5
	v_fmac_f32_e32 v177, v131, v153
	v_add_f32_e32 v2, v3, v2
	v_add_f32_e32 v1, v1, v176
	v_mul_f32_e32 v3, v131, v192
	v_fma_f32 v4, v128, v154, -v4
	;; [unrolled: 5-line block ×3, first 2 shown]
	s_waitcnt vmcnt(5)
	v_fmac_f32_e32 v165, v145, v161
	v_add_f32_e32 v2, v2, v4
	v_add_f32_e32 v1, v1, v172
	v_mul_f32_e32 v4, v143, v194
	v_fma_f32 v5, v140, v152, -v5
	s_waitcnt vmcnt(2)
	v_fmac_f32_e32 v173, v143, v183
	v_add_f32_e32 v2, v2, v3
	v_add_f32_e32 v1, v1, v177
	v_mul_f32_e32 v3, v10, v195
	v_fma_f32 v4, v142, v183, -v4
	v_fmac_f32_e32 v178, v10, v163
	v_add_f32_e32 v2, v2, v5
	v_add_f32_e32 v1, v1, v166
	v_mul_f32_e32 v5, v12, v196
	v_fma_f32 v3, v9, v163, -v3
	;; [unrolled: 5-line block ×3, first 2 shown]
	s_waitcnt vmcnt(1)
	v_fmac_f32_e32 v133, v147, v184
	v_add_f32_e32 v2, v2, v3
	v_add_f32_e32 v1, v1, v178
	v_mul_f32_e32 v3, v147, v149
	v_fma_f32 v4, v144, v161, -v4
	v_add_f32_e32 v2, v2, v5
	v_add_f32_e32 v1, v1, v159
	v_fma_f32 v3, v146, v184, -v3
	v_add_f32_e32 v2, v2, v4
	v_add_f32_e32 v1, v1, v165
	;; [unrolled: 1-line block ×4, first 2 shown]
	s_waitcnt vmcnt(0)
	v_sub_f32_e32 v2, v185, v2
	v_sub_f32_e32 v1, v186, v1
	buffer_store_dword v2, off, s[0:3], 0 offset:160
	buffer_store_dword v1, off, s[0:3], 0 offset:164
	v_cmpx_lt_u32_e32 19, v0
	s_cbranch_execz .LBB56_317
; %bb.316:
	s_clause 0x1
	buffer_load_dword v1, off, s[0:3], 0 offset:152
	buffer_load_dword v2, off, s[0:3], 0 offset:156
	v_mov_b32_e32 v3, 0
	buffer_store_dword v3, off, s[0:3], 0 offset:152
	buffer_store_dword v3, off, s[0:3], 0 offset:156
	s_waitcnt vmcnt(0)
	ds_write_b64 v127, v[1:2]
.LBB56_317:
	s_or_b32 exec_lo, exec_lo, s4
	s_waitcnt lgkmcnt(0)
	s_waitcnt_vscnt null, 0x0
	s_barrier
	buffer_gl0_inv
	s_clause 0x25
	buffer_load_dword v2, off, s[0:3], 0 offset:164
	buffer_load_dword v3, off, s[0:3], 0 offset:172
	;; [unrolled: 1-line block ×38, first 2 shown]
	v_mov_b32_e32 v1, 0
	ds_read_b128 v[4:7], v1 offset:624
	ds_read_b128 v[8:11], v1 offset:640
	s_clause 0x10
	buffer_load_dword v171, off, s[0:3], 0 offset:316
	buffer_load_dword v172, off, s[0:3], 0 offset:324
	;; [unrolled: 1-line block ×17, first 2 shown]
	ds_read_b128 v[128:131], v1 offset:656
	ds_read_b128 v[132:135], v1 offset:672
	s_mov_b32 s4, exec_lo
	s_waitcnt vmcnt(54) lgkmcnt(3)
	v_mul_f32_e32 v188, v5, v2
	v_mul_f32_e32 v189, v4, v2
	s_waitcnt vmcnt(53)
	v_mul_f32_e32 v190, v6, v3
	v_mul_f32_e32 v2, v7, v3
	s_waitcnt vmcnt(52) lgkmcnt(2)
	v_mul_f32_e32 v191, v8, v12
	v_mul_f32_e32 v3, v9, v12
	s_waitcnt vmcnt(49)
	v_fma_f32 v12, v4, v138, -v188
	s_waitcnt vmcnt(48)
	v_mul_f32_e32 v4, v11, v139
	v_fmac_f32_e32 v189, v5, v138
	v_mul_f32_e32 v138, v10, v139
	v_fmac_f32_e32 v190, v7, v137
	v_fma_f32 v137, v6, v137, -v2
	v_fmac_f32_e32 v191, v9, v136
	v_fma_f32 v136, v8, v136, -v3
	s_waitcnt vmcnt(44)
	v_fma_f32 v10, v10, v143, -v4
	ds_read_b128 v[2:5], v1 offset:688
	ds_read_b128 v[6:9], v1 offset:704
	v_fmac_f32_e32 v138, v11, v143
	s_waitcnt vmcnt(43) lgkmcnt(3)
	v_mul_f32_e32 v11, v128, v144
	v_mul_f32_e32 v139, v129, v144
	s_waitcnt vmcnt(42)
	v_mul_f32_e32 v143, v130, v145
	v_mul_f32_e32 v144, v131, v145
	s_waitcnt vmcnt(41) lgkmcnt(2)
	v_mul_f32_e32 v145, v132, v146
	v_mul_f32_e32 v146, v133, v146
	v_fmac_f32_e32 v11, v129, v142
	v_fma_f32 v128, v128, v142, -v139
	s_waitcnt vmcnt(40)
	v_mul_f32_e32 v129, v134, v147
	v_mul_f32_e32 v139, v135, v147
	v_fmac_f32_e32 v143, v131, v141
	v_fma_f32 v130, v130, v141, -v144
	v_fmac_f32_e32 v145, v133, v140
	v_fma_f32 v131, v132, v140, -v146
	s_waitcnt vmcnt(36)
	v_fmac_f32_e32 v129, v135, v151
	v_fma_f32 v132, v134, v151, -v139
	s_clause 0x3
	buffer_load_dword v188, off, s[0:3], 0 offset:380
	buffer_load_dword v192, off, s[0:3], 0 offset:388
	;; [unrolled: 1-line block ×4, first 2 shown]
	s_waitcnt vmcnt(39) lgkmcnt(1)
	v_mul_f32_e32 v133, v2, v152
	v_mul_f32_e32 v134, v3, v152
	s_waitcnt vmcnt(38)
	v_mul_f32_e32 v135, v4, v153
	v_mul_f32_e32 v139, v5, v153
	s_waitcnt vmcnt(37) lgkmcnt(0)
	v_mul_f32_e32 v141, v7, v154
	s_clause 0x3
	buffer_load_dword v151, off, s[0:3], 0 offset:412
	buffer_load_dword v195, off, s[0:3], 0 offset:420
	;; [unrolled: 1-line block ×4, first 2 shown]
	v_fmac_f32_e32 v133, v3, v150
	v_fma_f32 v134, v2, v150, -v134
	v_mul_f32_e32 v140, v6, v154
	v_fmac_f32_e32 v135, v5, v149
	v_fma_f32 v139, v4, v149, -v139
	ds_read_b128 v[2:5], v1 offset:720
	v_fma_f32 v141, v6, v148, -v141
	s_waitcnt vmcnt(40)
	v_mul_f32_e32 v6, v9, v155
	s_clause 0x1
	buffer_load_dword v152, off, s[0:3], 0 offset:444
	buffer_load_dword v149, off, s[0:3], 0 offset:452
	v_fmac_f32_e32 v140, v7, v148
	v_mul_f32_e32 v142, v8, v155
	s_waitcnt vmcnt(38)
	v_fma_f32 v144, v8, v159, -v6
	v_add_f32_e32 v6, 0, v12
	s_clause 0x3
	buffer_load_dword v12, off, s[0:3], 0 offset:400
	buffer_load_dword v148, off, s[0:3], 0 offset:392
	;; [unrolled: 1-line block ×4, first 2 shown]
	v_add_f32_e32 v7, 0, v189
	v_fmac_f32_e32 v142, v9, v159
	v_add_f32_e32 v6, v6, v137
	v_add_f32_e32 v137, v7, v190
	;; [unrolled: 1-line block ×3, first 2 shown]
	ds_read_b128 v[6:9], v1 offset:736
	s_waitcnt vmcnt(41) lgkmcnt(1)
	v_mul_f32_e32 v146, v2, v160
	v_mul_f32_e32 v147, v3, v160
	v_add_f32_e32 v137, v137, v191
	v_add_f32_e32 v10, v136, v10
	v_fmac_f32_e32 v146, v3, v158
	v_fma_f32 v136, v2, v158, -v147
	s_clause 0x6
	buffer_load_dword v154, off, s[0:3], 0 offset:432
	buffer_load_dword v155, off, s[0:3], 0 offset:424
	;; [unrolled: 1-line block ×7, first 2 shown]
	v_add_f32_e32 v2, v137, v138
	v_add_f32_e32 v3, v10, v128
	s_waitcnt vmcnt(47)
	v_mul_f32_e32 v10, v4, v161
	v_add_f32_e32 v2, v2, v11
	v_add_f32_e32 v3, v3, v130
	v_mul_f32_e32 v11, v5, v161
	v_fmac_f32_e32 v10, v5, v157
	s_waitcnt vmcnt(45) lgkmcnt(0)
	v_mul_f32_e32 v147, v8, v163
	v_add_f32_e32 v2, v2, v143
	v_add_f32_e32 v3, v3, v131
	v_fma_f32 v11, v4, v157, -v11
	s_waitcnt vmcnt(41)
	v_fmac_f32_e32 v147, v9, v167
	v_add_f32_e32 v128, v2, v145
	v_add_f32_e32 v132, v3, v132
	ds_read_b128 v[2:5], v1 offset:752
	v_mul_f32_e32 v145, v6, v162
	v_add_f32_e32 v137, v128, v129
	v_add_f32_e32 v132, v132, v134
	v_mul_f32_e32 v134, v7, v162
	ds_read_b128 v[128:131], v1 offset:768
	v_fmac_f32_e32 v145, v7, v156
	v_add_f32_e32 v133, v137, v133
	v_mul_f32_e32 v137, v9, v163
	v_add_f32_e32 v138, v132, v139
	v_fma_f32 v156, v6, v156, -v134
	v_fma_f32 v157, v8, v167, -v137
	v_add_f32_e32 v137, v133, v135
	v_add_f32_e32 v138, v138, v141
	ds_read_b128 v[6:9], v1 offset:784
	ds_read_b128 v[132:135], v1 offset:800
	v_add_f32_e32 v137, v137, v140
	s_waitcnt vmcnt(39) lgkmcnt(3)
	v_mul_f32_e32 v162, v4, v169
	v_mul_f32_e32 v140, v5, v169
	v_add_f32_e32 v138, v138, v144
	v_mul_f32_e32 v139, v3, v168
	v_add_f32_e32 v137, v137, v142
	v_fmac_f32_e32 v162, v5, v165
	v_fma_f32 v165, v4, v165, -v140
	v_add_f32_e32 v140, v138, v136
	v_mul_f32_e32 v161, v2, v168
	v_add_f32_e32 v142, v137, v146
	v_fma_f32 v144, v2, v166, -v139
	s_waitcnt vmcnt(38) lgkmcnt(2)
	v_mul_f32_e32 v163, v128, v170
	v_add_f32_e32 v11, v140, v11
	v_fmac_f32_e32 v161, v3, v166
	v_add_f32_e32 v10, v142, v10
	v_mul_f32_e32 v141, v129, v170
	s_waitcnt vmcnt(37)
	v_mul_f32_e32 v143, v131, v171
	v_add_f32_e32 v11, v11, v156
	s_waitcnt vmcnt(36) lgkmcnt(1)
	v_mul_f32_e32 v156, v6, v172
	v_add_f32_e32 v10, v10, v145
	v_mul_f32_e32 v145, v7, v172
	v_fmac_f32_e32 v163, v129, v164
	v_fma_f32 v164, v128, v164, -v141
	s_waitcnt vmcnt(31)
	v_fmac_f32_e32 v156, v7, v177
	v_add_f32_e32 v7, v11, v157
	v_add_f32_e32 v10, v10, v147
	v_mul_f32_e32 v167, v130, v171
	s_waitcnt vmcnt(30)
	v_fma_f32 v166, v130, v178, -v143
	ds_read_b128 v[2:5], v1 offset:816
	ds_read_b128 v[136:139], v1 offset:832
	v_add_f32_e32 v170, v7, v144
	v_add_f32_e32 v161, v10, v161
	v_fmac_f32_e32 v167, v131, v178
	v_mul_f32_e32 v146, v9, v173
	v_fma_f32 v157, v6, v177, -v145
	v_add_f32_e32 v165, v170, v165
	v_add_f32_e32 v161, v161, v162
	v_mul_f32_e32 v168, v8, v173
	v_fma_f32 v169, v8, v176, -v146
	s_waitcnt lgkmcnt(2)
	v_mul_f32_e32 v171, v133, v174
	v_add_f32_e32 v164, v165, v164
	v_add_f32_e32 v161, v161, v163
	v_fmac_f32_e32 v168, v9, v176
	v_mul_f32_e32 v170, v132, v174
	s_waitcnt vmcnt(29)
	v_mul_f32_e32 v172, v135, v179
	v_add_f32_e32 v164, v164, v166
	v_add_f32_e32 v161, v161, v167
	v_fma_f32 v132, v132, v175, -v171
	v_mul_f32_e32 v162, v134, v179
	v_fmac_f32_e32 v170, v133, v175
	v_add_f32_e32 v157, v164, v157
	v_add_f32_e32 v156, v161, v156
	s_waitcnt vmcnt(28) lgkmcnt(1)
	v_mul_f32_e32 v165, v2, v180
	v_mul_f32_e32 v171, v3, v180
	s_waitcnt vmcnt(22)
	v_fma_f32 v134, v134, v186, -v172
	v_add_f32_e32 v157, v157, v169
	v_add_f32_e32 v156, v156, v168
	ds_read_b128 v[128:131], v1 offset:848
	ds_read_b128 v[140:143], v1 offset:864
	v_fmac_f32_e32 v162, v135, v186
	v_mul_f32_e32 v168, v5, v181
	v_add_f32_e32 v132, v157, v132
	v_add_f32_e32 v156, v156, v170
	v_fmac_f32_e32 v165, v3, v185
	v_fma_f32 v2, v2, v185, -v171
	v_mul_f32_e32 v163, v4, v181
	v_add_f32_e32 v3, v132, v134
	v_add_f32_e32 v132, v156, v162
	s_waitcnt lgkmcnt(2)
	v_mul_f32_e32 v134, v137, v182
	v_fma_f32 v4, v4, v184, -v168
	v_mul_f32_e32 v133, v136, v182
	v_add_f32_e32 v2, v3, v2
	v_fmac_f32_e32 v163, v5, v184
	v_add_f32_e32 v3, v132, v165
	v_fma_f32 v132, v136, v183, -v134
	v_fmac_f32_e32 v133, v137, v183
	v_add_f32_e32 v2, v2, v4
	ds_read_b128 v[6:9], v1 offset:880
	ds_read_b128 v[144:147], v1 offset:896
	ds_read_b64 v[10:11], v1 offset:912
	v_add_f32_e32 v3, v3, v163
	v_add_f32_e32 v2, v2, v132
	;; [unrolled: 1-line block ×3, first 2 shown]
	s_waitcnt vmcnt(20)
	v_mul_f32_e32 v5, v139, v188
	v_mul_f32_e32 v166, v138, v188
	s_waitcnt vmcnt(19) lgkmcnt(4)
	v_mul_f32_e32 v4, v129, v192
	v_mul_f32_e32 v167, v128, v192
	s_waitcnt vmcnt(18)
	v_mul_f32_e32 v132, v131, v193
	v_mul_f32_e32 v135, v130, v193
	s_waitcnt vmcnt(17) lgkmcnt(3)
	v_mul_f32_e32 v172, v140, v194
	s_waitcnt vmcnt(16)
	v_mul_f32_e32 v161, v142, v151
	s_waitcnt vmcnt(15) lgkmcnt(2)
	v_mul_f32_e32 v164, v6, v195
	s_waitcnt vmcnt(14)
	;; [unrolled: 4-line block ×4, first 2 shown]
	v_fmac_f32_e32 v172, v141, v12
	s_waitcnt vmcnt(9)
	v_fmac_f32_e32 v135, v131, v148
	s_waitcnt vmcnt(8)
	v_fma_f32 v4, v128, v150, -v4
	s_waitcnt vmcnt(7)
	v_fma_f32 v5, v138, v153, -v5
	v_fmac_f32_e32 v166, v139, v153
	v_fmac_f32_e32 v167, v129, v150
	v_fma_f32 v128, v130, v148, -v132
	v_add_f32_e32 v2, v2, v5
	v_add_f32_e32 v3, v3, v166
	v_mul_f32_e32 v5, v141, v194
	v_add_f32_e32 v2, v2, v4
	v_add_f32_e32 v3, v3, v167
	v_mul_f32_e32 v4, v143, v151
	v_fma_f32 v5, v140, v12, -v5
	v_mul_f32_e32 v12, v7, v195
	v_add_f32_e32 v2, v2, v128
	v_add_f32_e32 v3, v3, v135
	s_waitcnt vmcnt(4)
	v_fmac_f32_e32 v164, v7, v158
	s_waitcnt vmcnt(3)
	v_fma_f32 v4, v142, v159, -v4
	v_fmac_f32_e32 v161, v143, v159
	v_add_f32_e32 v2, v2, v5
	v_add_f32_e32 v3, v3, v172
	v_mul_f32_e32 v5, v9, v196
	v_fma_f32 v6, v6, v158, -v12
	v_fmac_f32_e32 v173, v9, v155
	v_add_f32_e32 v2, v2, v4
	v_add_f32_e32 v3, v3, v161
	v_mul_f32_e32 v4, v145, v197
	;; [unrolled: 5-line block ×3, first 2 shown]
	v_fma_f32 v4, v144, v154, -v4
	s_waitcnt vmcnt(1)
	v_fmac_f32_e32 v174, v147, v189
	v_add_f32_e32 v2, v2, v5
	v_add_f32_e32 v3, v3, v173
	v_mul_f32_e32 v5, v11, v149
	v_fma_f32 v6, v146, v189, -v6
	v_fmac_f32_e32 v157, v11, v160
	v_add_f32_e32 v2, v2, v4
	v_add_f32_e32 v3, v3, v169
	v_fma_f32 v4, v10, v160, -v5
	v_add_f32_e32 v2, v2, v6
	v_add_f32_e32 v3, v3, v174
	;; [unrolled: 1-line block ×4, first 2 shown]
	s_waitcnt vmcnt(0)
	v_sub_f32_e32 v2, v190, v2
	v_sub_f32_e32 v3, v187, v3
	buffer_store_dword v2, off, s[0:3], 0 offset:152
	buffer_store_dword v3, off, s[0:3], 0 offset:156
	v_cmpx_lt_u32_e32 18, v0
	s_cbranch_execz .LBB56_319
; %bb.318:
	s_clause 0x1
	buffer_load_dword v2, off, s[0:3], 0 offset:144
	buffer_load_dword v3, off, s[0:3], 0 offset:148
	buffer_store_dword v1, off, s[0:3], 0 offset:144
	buffer_store_dword v1, off, s[0:3], 0 offset:148
	s_waitcnt vmcnt(0)
	ds_write_b64 v127, v[2:3]
.LBB56_319:
	s_or_b32 exec_lo, exec_lo, s4
	s_waitcnt lgkmcnt(0)
	s_waitcnt_vscnt null, 0x0
	s_barrier
	buffer_gl0_inv
	s_clause 0x1e
	buffer_load_dword v2, off, s[0:3], 0 offset:156
	buffer_load_dword v3, off, s[0:3], 0 offset:164
	;; [unrolled: 1-line block ×31, first 2 shown]
	ds_read2_b64 v[4:7], v1 offset0:77 offset1:78
	s_clause 0x3
	buffer_load_dword v172, off, s[0:3], 0 offset:296
	buffer_load_dword v173, off, s[0:3], 0 offset:288
	;; [unrolled: 1-line block ×4, first 2 shown]
	ds_read2_b64 v[8:11], v1 offset0:79 offset1:80
	s_clause 0xa
	buffer_load_dword v176, off, s[0:3], 0 offset:284
	buffer_load_dword v177, off, s[0:3], 0 offset:292
	;; [unrolled: 1-line block ×11, first 2 shown]
	ds_read2_b64 v[128:131], v1 offset0:81 offset1:82
	ds_read2_b64 v[132:135], v1 offset0:83 offset1:84
	;; [unrolled: 1-line block ×4, first 2 shown]
	buffer_load_dword v187, off, s[0:3], 0 offset:148
	s_mov_b32 s4, exec_lo
	s_waitcnt vmcnt(46) lgkmcnt(5)
	v_mul_f32_e32 v188, v5, v2
	v_mul_f32_e32 v189, v4, v2
	s_waitcnt vmcnt(45)
	v_mul_f32_e32 v190, v6, v3
	v_mul_f32_e32 v2, v7, v3
	s_waitcnt vmcnt(44) lgkmcnt(4)
	v_mul_f32_e32 v191, v8, v12
	v_mul_f32_e32 v3, v9, v12
	s_waitcnt vmcnt(41)
	v_fma_f32 v12, v4, v146, -v188
	v_fmac_f32_e32 v189, v5, v146
	s_waitcnt vmcnt(40)
	v_mul_f32_e32 v146, v10, v147
	v_mul_f32_e32 v4, v11, v147
	v_fmac_f32_e32 v190, v7, v145
	s_waitcnt vmcnt(35) lgkmcnt(3)
	v_mul_f32_e32 v147, v129, v152
	v_fma_f32 v145, v6, v145, -v2
	v_fmac_f32_e32 v146, v11, v151
	v_mul_f32_e32 v11, v128, v152
	v_fma_f32 v10, v10, v151, -v4
	s_waitcnt vmcnt(34)
	v_mul_f32_e32 v151, v130, v153
	v_mul_f32_e32 v152, v131, v153
	s_waitcnt vmcnt(33) lgkmcnt(2)
	v_mul_f32_e32 v153, v132, v154
	v_mul_f32_e32 v154, v133, v154
	v_fmac_f32_e32 v11, v129, v150
	v_fma_f32 v128, v128, v150, -v147
	s_waitcnt vmcnt(32)
	v_mul_f32_e32 v129, v134, v155
	v_mul_f32_e32 v147, v135, v155
	v_fmac_f32_e32 v191, v9, v144
	v_fma_f32 v144, v8, v144, -v3
	ds_read2_b64 v[2:5], v1 offset0:89 offset1:90
	ds_read2_b64 v[6:9], v1 offset0:91 offset1:92
	v_fmac_f32_e32 v151, v131, v149
	v_fma_f32 v130, v130, v149, -v152
	v_fmac_f32_e32 v153, v133, v148
	v_fma_f32 v131, v132, v148, -v154
	s_waitcnt vmcnt(28)
	v_fmac_f32_e32 v129, v135, v159
	v_fma_f32 v132, v134, v159, -v147
	s_clause 0x7
	buffer_load_dword v147, off, s[0:3], 0 offset:340
	buffer_load_dword v148, off, s[0:3], 0 offset:348
	;; [unrolled: 1-line block ×8, first 2 shown]
	s_waitcnt vmcnt(35) lgkmcnt(3)
	v_mul_f32_e32 v133, v136, v160
	v_mul_f32_e32 v134, v137, v160
	s_waitcnt vmcnt(34)
	v_mul_f32_e32 v135, v138, v161
	v_mul_f32_e32 v160, v139, v161
	s_waitcnt vmcnt(33) lgkmcnt(2)
	v_mul_f32_e32 v161, v140, v162
	v_mul_f32_e32 v162, v141, v162
	v_fmac_f32_e32 v133, v137, v158
	v_fma_f32 v134, v136, v158, -v134
	s_waitcnt vmcnt(32)
	v_mul_f32_e32 v136, v142, v163
	v_mul_f32_e32 v137, v143, v163
	v_fmac_f32_e32 v135, v139, v157
	v_fmac_f32_e32 v161, v141, v156
	v_fma_f32 v139, v140, v156, -v162
	s_waitcnt vmcnt(28)
	v_fmac_f32_e32 v136, v143, v167
	v_fma_f32 v137, v142, v167, -v137
	s_waitcnt vmcnt(27) lgkmcnt(1)
	v_mul_f32_e32 v140, v2, v168
	v_mul_f32_e32 v141, v3, v168
	s_waitcnt vmcnt(26)
	v_mul_f32_e32 v142, v4, v169
	v_mul_f32_e32 v143, v5, v169
	v_fma_f32 v138, v138, v157, -v160
	s_clause 0x8
	buffer_load_dword v157, off, s[0:3], 0 offset:372
	buffer_load_dword v158, off, s[0:3], 0 offset:380
	;; [unrolled: 1-line block ×9, first 2 shown]
	v_fmac_f32_e32 v140, v3, v166
	v_fma_f32 v141, v2, v166, -v141
	buffer_load_dword v166, off, s[0:3], 0 offset:444
	v_fmac_f32_e32 v142, v5, v165
	v_fma_f32 v143, v4, v165, -v143
	s_clause 0x4
	buffer_load_dword v165, off, s[0:3], 0 offset:452
	buffer_load_dword v169, off, s[0:3], 0 offset:392
	;; [unrolled: 1-line block ×5, first 2 shown]
	v_add_f32_e32 v3, 0, v189
	v_add_f32_e32 v2, 0, v12
	s_waitcnt vmcnt(40) lgkmcnt(0)
	v_mul_f32_e32 v4, v7, v170
	v_add_f32_e32 v3, v3, v190
	v_add_f32_e32 v2, v2, v145
	v_fma_f32 v145, v6, v164, -v4
	v_add_f32_e32 v3, v3, v191
	s_clause 0x3
	buffer_load_dword v12, off, s[0:3], 0 offset:424
	buffer_load_dword v189, off, s[0:3], 0 offset:416
	;; [unrolled: 1-line block ×4, first 2 shown]
	v_add_f32_e32 v2, v2, v144
	v_mul_f32_e32 v144, v6, v170
	v_add_f32_e32 v3, v3, v146
	s_waitcnt vmcnt(43)
	v_mul_f32_e32 v146, v8, v171
	v_add_f32_e32 v2, v2, v10
	s_clause 0x2
	buffer_load_dword v10, off, s[0:3], 0 offset:448
	buffer_load_dword v195, off, s[0:3], 0 offset:440
	;; [unrolled: 1-line block ×3, first 2 shown]
	v_fmac_f32_e32 v144, v7, v164
	v_add_f32_e32 v3, v3, v11
	buffer_load_dword v11, off, s[0:3], 0 offset:144
	v_add_f32_e32 v2, v2, v128
	s_waitcnt vmcnt(43)
	v_fmac_f32_e32 v146, v9, v175
	v_add_f32_e32 v3, v3, v151
	v_add_f32_e32 v2, v2, v130
	;; [unrolled: 1-line block ×4, first 2 shown]
	ds_read2_b64 v[2:5], v1 offset0:93 offset1:94
	v_add_f32_e32 v129, v7, v129
	v_add_f32_e32 v128, v6, v132
	v_mul_f32_e32 v6, v9, v171
	v_add_f32_e32 v133, v129, v133
	v_add_f32_e32 v132, v128, v134
	v_fma_f32 v151, v8, v175, -v6
	ds_read2_b64 v[6:9], v1 offset0:95 offset1:96
	ds_read2_b64 v[128:131], v1 offset0:97 offset1:98
	v_add_f32_e32 v133, v133, v135
	v_add_f32_e32 v132, v132, v138
	v_add_f32_e32 v138, v132, v139
	s_waitcnt vmcnt(42) lgkmcnt(2)
	v_mul_f32_e32 v134, v3, v176
	v_mul_f32_e32 v153, v2, v176
	v_fma_f32 v164, v2, v174, -v134
	v_add_f32_e32 v2, v133, v161
	v_fmac_f32_e32 v153, v3, v174
	v_add_f32_e32 v3, v138, v137
	ds_read2_b64 v[132:135], v1 offset0:99 offset1:100
	s_waitcnt vmcnt(41)
	v_mul_f32_e32 v161, v4, v177
	v_add_f32_e32 v2, v2, v136
	s_waitcnt vmcnt(40) lgkmcnt(2)
	v_mul_f32_e32 v170, v6, v178
	v_mul_f32_e32 v136, v7, v178
	v_add_f32_e32 v3, v3, v141
	s_waitcnt vmcnt(38) lgkmcnt(1)
	v_mul_f32_e32 v174, v128, v180
	v_add_f32_e32 v2, v2, v140
	v_fmac_f32_e32 v170, v7, v172
	v_fma_f32 v172, v6, v172, -v136
	v_add_f32_e32 v6, v3, v143
	v_mul_f32_e32 v140, v129, v180
	v_add_f32_e32 v7, v2, v142
	s_waitcnt vmcnt(33)
	v_fmac_f32_e32 v174, v129, v185
	v_mul_f32_e32 v137, v5, v177
	v_add_f32_e32 v129, v6, v145
	v_fma_f32 v176, v128, v185, -v140
	v_add_f32_e32 v128, v7, v144
	v_fmac_f32_e32 v161, v5, v173
	v_fma_f32 v173, v4, v173, -v137
	v_add_f32_e32 v129, v129, v151
	s_waitcnt lgkmcnt(0)
	v_mul_f32_e32 v145, v133, v182
	v_add_f32_e32 v128, v128, v146
	v_mul_f32_e32 v177, v132, v182
	v_mul_f32_e32 v141, v9, v179
	v_add_f32_e32 v129, v129, v164
	v_fma_f32 v180, v132, v183, -v145
	v_add_f32_e32 v132, v128, v153
	v_mul_f32_e32 v171, v8, v179
	s_waitcnt vmcnt(32)
	v_fma_f32 v175, v8, v186, -v141
	v_add_f32_e32 v153, v129, v173
	ds_read2_b64 v[2:5], v1 offset0:101 offset1:102
	ds_read2_b64 v[136:139], v1 offset0:103 offset1:104
	v_add_f32_e32 v161, v132, v161
	v_fmac_f32_e32 v171, v9, v186
	v_mul_f32_e32 v144, v131, v181
	v_add_f32_e32 v153, v153, v172
	v_mul_f32_e32 v151, v130, v181
	v_add_f32_e32 v161, v161, v170
	v_fmac_f32_e32 v177, v133, v183
	v_fma_f32 v179, v130, v184, -v144
	v_add_f32_e32 v153, v153, v175
	v_fmac_f32_e32 v151, v131, v184
	v_add_f32_e32 v161, v161, v171
	ds_read2_b64 v[6:9], v1 offset0:105 offset1:106
	ds_read2_b64 v[140:143], v1 offset0:107 offset1:108
	v_add_f32_e32 v153, v153, v176
	v_add_f32_e32 v161, v161, v174
	;; [unrolled: 1-line block ×6, first 2 shown]
	s_waitcnt vmcnt(30)
	v_mul_f32_e32 v164, v134, v147
	v_mul_f32_e32 v178, v135, v147
	ds_read2_b64 v[128:131], v1 offset0:109 offset1:110
	ds_read2_b64 v[144:147], v1 offset0:111 offset1:112
	s_waitcnt vmcnt(28) lgkmcnt(5)
	v_mul_f32_e32 v170, v4, v149
	v_mul_f32_e32 v149, v5, v149
	s_waitcnt vmcnt(27) lgkmcnt(4)
	v_mul_f32_e32 v172, v136, v150
	v_mul_f32_e32 v150, v137, v150
	s_waitcnt vmcnt(23)
	v_fmac_f32_e32 v164, v135, v159
	v_fma_f32 v159, v134, v159, -v178
	ds_read2_b64 v[132:135], v1 offset0:113 offset1:114
	v_mul_f32_e32 v1, v2, v148
	v_mul_f32_e32 v148, v3, v148
	v_add_f32_e32 v151, v151, v164
	v_fma_f32 v4, v4, v154, -v149
	v_fmac_f32_e32 v170, v5, v154
	v_fmac_f32_e32 v1, v3, v155
	v_fma_f32 v2, v2, v155, -v148
	v_add_f32_e32 v148, v153, v159
	v_fma_f32 v136, v136, v152, -v150
	v_fmac_f32_e32 v172, v137, v152
	v_add_f32_e32 v1, v151, v1
	v_add_f32_e32 v2, v148, v2
	s_waitcnt vmcnt(22)
	v_mul_f32_e32 v5, v139, v157
	v_mul_f32_e32 v171, v138, v157
	v_add_f32_e32 v2, v2, v4
	v_add_f32_e32 v1, v1, v170
	s_waitcnt vmcnt(21) lgkmcnt(4)
	v_mul_f32_e32 v4, v7, v158
	v_mul_f32_e32 v173, v6, v158
	s_waitcnt vmcnt(20)
	v_mul_f32_e32 v175, v8, v160
	v_add_f32_e32 v2, v2, v136
	v_add_f32_e32 v1, v1, v172
	v_mul_f32_e32 v136, v9, v160
	s_waitcnt vmcnt(9)
	v_fma_f32 v4, v6, v193, -v4
	s_waitcnt vmcnt(8)
	v_fma_f32 v5, v138, v194, -v5
	v_fmac_f32_e32 v171, v139, v194
	v_fmac_f32_e32 v173, v7, v193
	v_fma_f32 v6, v8, v192, -v136
	s_waitcnt lgkmcnt(3)
	v_mul_f32_e32 v174, v140, v163
	v_add_f32_e32 v2, v2, v5
	v_add_f32_e32 v1, v1, v171
	v_mul_f32_e32 v5, v141, v163
	v_fmac_f32_e32 v175, v9, v192
	v_mul_f32_e32 v176, v142, v156
	v_add_f32_e32 v2, v2, v4
	v_add_f32_e32 v1, v1, v173
	v_mul_f32_e32 v4, v143, v156
	v_fma_f32 v5, v140, v169, -v5
	v_fmac_f32_e32 v174, v141, v169
	v_add_f32_e32 v2, v2, v6
	v_add_f32_e32 v1, v1, v175
	s_waitcnt lgkmcnt(2)
	v_mul_f32_e32 v6, v129, v162
	s_waitcnt vmcnt(4)
	v_fma_f32 v4, v142, v191, -v4
	v_mul_f32_e32 v178, v128, v162
	v_add_f32_e32 v2, v2, v5
	v_fmac_f32_e32 v176, v143, v191
	v_add_f32_e32 v1, v1, v174
	v_mul_f32_e32 v5, v131, v167
	v_fma_f32 v6, v128, v190, -v6
	v_add_f32_e32 v2, v2, v4
	v_mul_f32_e32 v161, v130, v167
	v_fmac_f32_e32 v178, v129, v190
	v_add_f32_e32 v1, v1, v176
	s_waitcnt lgkmcnt(1)
	v_mul_f32_e32 v4, v145, v188
	v_fma_f32 v5, v130, v189, -v5
	v_add_f32_e32 v2, v2, v6
	v_mul_f32_e32 v179, v144, v188
	v_fmac_f32_e32 v161, v131, v189
	v_add_f32_e32 v1, v1, v178
	v_mul_f32_e32 v6, v147, v168
	v_fma_f32 v4, v144, v12, -v4
	v_add_f32_e32 v2, v2, v5
	v_mul_f32_e32 v180, v146, v168
	v_fmac_f32_e32 v179, v145, v12
	v_add_f32_e32 v1, v1, v161
	s_waitcnt lgkmcnt(0)
	v_mul_f32_e32 v5, v133, v166
	s_waitcnt vmcnt(1)
	v_fma_f32 v6, v146, v196, -v6
	v_add_f32_e32 v2, v2, v4
	v_mul_f32_e32 v177, v132, v166
	v_fmac_f32_e32 v180, v147, v196
	v_add_f32_e32 v1, v1, v179
	v_mul_f32_e32 v4, v135, v165
	v_fma_f32 v5, v132, v195, -v5
	v_add_f32_e32 v2, v2, v6
	v_mul_f32_e32 v3, v134, v165
	v_fmac_f32_e32 v177, v133, v195
	v_add_f32_e32 v1, v1, v180
	v_fma_f32 v4, v134, v10, -v4
	v_add_f32_e32 v2, v2, v5
	v_fmac_f32_e32 v3, v135, v10
	v_add_f32_e32 v1, v1, v177
	v_add_f32_e32 v2, v2, v4
	;; [unrolled: 1-line block ×3, first 2 shown]
	s_waitcnt vmcnt(0)
	v_sub_f32_e32 v2, v11, v2
	v_sub_f32_e32 v1, v187, v1
	buffer_store_dword v2, off, s[0:3], 0 offset:144
	buffer_store_dword v1, off, s[0:3], 0 offset:148
	v_cmpx_lt_u32_e32 17, v0
	s_cbranch_execz .LBB56_321
; %bb.320:
	s_clause 0x1
	buffer_load_dword v1, off, s[0:3], 0 offset:136
	buffer_load_dword v2, off, s[0:3], 0 offset:140
	v_mov_b32_e32 v3, 0
	buffer_store_dword v3, off, s[0:3], 0 offset:136
	buffer_store_dword v3, off, s[0:3], 0 offset:140
	s_waitcnt vmcnt(0)
	ds_write_b64 v127, v[1:2]
.LBB56_321:
	s_or_b32 exec_lo, exec_lo, s4
	s_waitcnt lgkmcnt(0)
	s_waitcnt_vscnt null, 0x0
	s_barrier
	buffer_gl0_inv
	s_clause 0x25
	buffer_load_dword v2, off, s[0:3], 0 offset:148
	buffer_load_dword v3, off, s[0:3], 0 offset:156
	;; [unrolled: 1-line block ×38, first 2 shown]
	v_mov_b32_e32 v1, 0
	ds_read_b128 v[4:7], v1 offset:608
	ds_read_b128 v[8:11], v1 offset:624
	s_clause 0x10
	buffer_load_dword v171, off, s[0:3], 0 offset:300
	buffer_load_dword v172, off, s[0:3], 0 offset:308
	;; [unrolled: 1-line block ×17, first 2 shown]
	ds_read_b128 v[128:131], v1 offset:640
	ds_read_b128 v[132:135], v1 offset:656
	s_mov_b32 s4, exec_lo
	s_waitcnt vmcnt(54) lgkmcnt(3)
	v_mul_f32_e32 v188, v5, v2
	v_mul_f32_e32 v189, v4, v2
	s_waitcnt vmcnt(53)
	v_mul_f32_e32 v190, v6, v3
	v_mul_f32_e32 v2, v7, v3
	s_waitcnt vmcnt(52) lgkmcnt(2)
	v_mul_f32_e32 v191, v8, v12
	v_mul_f32_e32 v3, v9, v12
	s_waitcnt vmcnt(49)
	v_fma_f32 v12, v4, v138, -v188
	v_fmac_f32_e32 v189, v5, v138
	s_waitcnt vmcnt(48)
	v_mul_f32_e32 v138, v10, v139
	v_mul_f32_e32 v4, v11, v139
	v_fmac_f32_e32 v190, v7, v137
	s_waitcnt vmcnt(43) lgkmcnt(1)
	v_mul_f32_e32 v139, v129, v144
	v_fma_f32 v137, v6, v137, -v2
	v_fmac_f32_e32 v191, v9, v136
	v_fma_f32 v136, v8, v136, -v3
	v_fmac_f32_e32 v138, v11, v143
	v_fma_f32 v10, v10, v143, -v4
	ds_read_b128 v[2:5], v1 offset:672
	ds_read_b128 v[6:9], v1 offset:688
	v_mul_f32_e32 v11, v128, v144
	s_waitcnt vmcnt(42)
	v_mul_f32_e32 v143, v130, v145
	v_mul_f32_e32 v144, v131, v145
	s_waitcnt vmcnt(41) lgkmcnt(2)
	v_mul_f32_e32 v145, v132, v146
	v_fma_f32 v139, v128, v142, -v139
	s_waitcnt vmcnt(40)
	v_mul_f32_e32 v128, v135, v147
	v_mul_f32_e32 v146, v133, v146
	v_fmac_f32_e32 v11, v129, v142
	v_fmac_f32_e32 v143, v131, v141
	v_fma_f32 v141, v130, v141, -v144
	s_clause 0x3
	buffer_load_dword v188, off, s[0:3], 0 offset:364
	buffer_load_dword v192, off, s[0:3], 0 offset:372
	;; [unrolled: 1-line block ×4, first 2 shown]
	v_fmac_f32_e32 v145, v133, v140
	s_waitcnt vmcnt(40)
	v_fma_f32 v133, v134, v151, -v128
	ds_read_b128 v[128:131], v1 offset:704
	v_mul_f32_e32 v142, v134, v147
	v_fma_f32 v132, v132, v140, -v146
	s_waitcnt vmcnt(39) lgkmcnt(2)
	v_mul_f32_e32 v134, v2, v152
	v_fmac_f32_e32 v142, v135, v151
	v_mul_f32_e32 v135, v3, v152
	s_waitcnt vmcnt(37) lgkmcnt(1)
	v_mul_f32_e32 v147, v7, v154
	v_mul_f32_e32 v140, v4, v153
	;; [unrolled: 1-line block ×4, first 2 shown]
	v_fmac_f32_e32 v134, v3, v150
	v_fma_f32 v135, v2, v150, -v135
	s_waitcnt vmcnt(36)
	v_mul_f32_e32 v150, v8, v155
	v_mul_f32_e32 v2, v9, v155
	v_fma_f32 v147, v6, v148, -v147
	v_fmac_f32_e32 v140, v5, v149
	v_fma_f32 v144, v4, v149, -v144
	s_clause 0x3
	buffer_load_dword v149, off, s[0:3], 0 offset:396
	buffer_load_dword v151, off, s[0:3], 0 offset:404
	;; [unrolled: 1-line block ×4, first 2 shown]
	s_waitcnt vmcnt(35) lgkmcnt(0)
	v_mul_f32_e32 v154, v128, v160
	v_mul_f32_e32 v6, v129, v160
	v_fmac_f32_e32 v146, v7, v148
	v_fmac_f32_e32 v150, v9, v159
	v_fma_f32 v148, v8, v159, -v2
	ds_read_b128 v[2:5], v1 offset:720
	s_waitcnt vmcnt(34)
	v_mul_f32_e32 v155, v130, v161
	v_mul_f32_e32 v7, v131, v161
	buffer_load_dword v159, off, s[0:3], 0 offset:428
	v_fmac_f32_e32 v154, v129, v158
	v_fma_f32 v158, v128, v158, -v6
	v_add_f32_e32 v6, 0, v12
	s_clause 0x6
	buffer_load_dword v12, off, s[0:3], 0 offset:436
	buffer_load_dword v160, off, s[0:3], 0 offset:444
	;; [unrolled: 1-line block ×7, first 2 shown]
	v_fmac_f32_e32 v155, v131, v157
	v_fma_f32 v157, v130, v157, -v7
	v_add_f32_e32 v7, 0, v189
	v_add_f32_e32 v6, v6, v137
	v_add_f32_e32 v7, v7, v190
	v_add_f32_e32 v6, v6, v136
	s_waitcnt vmcnt(41) lgkmcnt(0)
	v_mul_f32_e32 v8, v3, v162
	v_add_f32_e32 v7, v7, v191
	s_clause 0x8
	buffer_load_dword v189, off, s[0:3], 0 offset:416
	buffer_load_dword v190, off, s[0:3], 0 offset:408
	;; [unrolled: 1-line block ×9, first 2 shown]
	v_add_f32_e32 v6, v6, v10
	v_add_f32_e32 v7, v7, v138
	v_mul_f32_e32 v10, v2, v162
	v_add_f32_e32 v6, v6, v139
	v_add_f32_e32 v7, v7, v11
	v_fmac_f32_e32 v10, v3, v156
	v_fma_f32 v11, v2, v156, -v8
	v_add_f32_e32 v6, v6, v141
	v_add_f32_e32 v7, v7, v143
	s_waitcnt vmcnt(49)
	v_mul_f32_e32 v141, v4, v163
	v_add_f32_e32 v6, v6, v132
	v_add_f32_e32 v7, v7, v145
	s_waitcnt vmcnt(45)
	v_fmac_f32_e32 v141, v5, v167
	v_add_f32_e32 v2, v6, v133
	v_add_f32_e32 v3, v7, v142
	ds_read_b128 v[6:9], v1 offset:736
	v_add_f32_e32 v128, v2, v135
	v_mul_f32_e32 v2, v5, v163
	v_add_f32_e32 v129, v3, v134
	v_add_f32_e32 v132, v128, v144
	v_fma_f32 v142, v4, v167, -v2
	ds_read_b128 v[2:5], v1 offset:752
	v_add_f32_e32 v133, v129, v140
	ds_read_b128 v[128:131], v1 offset:768
	v_add_f32_e32 v132, v132, v147
	v_add_f32_e32 v133, v133, v146
	;; [unrolled: 1-line block ×3, first 2 shown]
	s_waitcnt vmcnt(44) lgkmcnt(2)
	v_mul_f32_e32 v134, v7, v168
	v_mul_f32_e32 v144, v6, v168
	s_waitcnt vmcnt(43)
	v_mul_f32_e32 v146, v8, v169
	v_fma_f32 v145, v6, v166, -v134
	v_add_f32_e32 v6, v133, v150
	v_fmac_f32_e32 v144, v7, v166
	v_add_f32_e32 v7, v136, v158
	ds_read_b128 v[132:135], v1 offset:784
	s_waitcnt vmcnt(42) lgkmcnt(2)
	v_mul_f32_e32 v137, v3, v170
	v_add_f32_e32 v6, v6, v154
	v_mul_f32_e32 v148, v2, v170
	v_add_f32_e32 v7, v7, v157
	v_mul_f32_e32 v136, v9, v169
	v_fmac_f32_e32 v146, v9, v165
	v_add_f32_e32 v6, v6, v155
	v_fma_f32 v155, v2, v164, -v137
	v_add_f32_e32 v2, v7, v11
	v_fmac_f32_e32 v148, v3, v164
	v_fma_f32 v147, v8, v165, -v136
	v_add_f32_e32 v3, v6, v10
	s_waitcnt vmcnt(40) lgkmcnt(1)
	v_mul_f32_e32 v10, v129, v172
	v_add_f32_e32 v11, v2, v142
	v_mul_f32_e32 v140, v5, v171
	v_mul_f32_e32 v150, v4, v171
	;; [unrolled: 1-line block ×3, first 2 shown]
	s_waitcnt vmcnt(35)
	v_fma_f32 v157, v128, v177, -v10
	v_add_f32_e32 v10, v3, v141
	v_add_f32_e32 v11, v11, v145
	s_waitcnt vmcnt(34)
	v_fma_f32 v156, v4, v178, -v140
	ds_read_b128 v[6:9], v1 offset:800
	ds_read_b128 v[136:139], v1 offset:816
	v_fmac_f32_e32 v150, v5, v178
	v_add_f32_e32 v10, v10, v144
	v_add_f32_e32 v11, v11, v147
	v_mul_f32_e32 v128, v131, v173
	v_fmac_f32_e32 v154, v129, v177
	v_mul_f32_e32 v158, v130, v173
	v_add_f32_e32 v10, v10, v146
	v_add_f32_e32 v155, v11, v155
	s_waitcnt lgkmcnt(2)
	v_mul_f32_e32 v129, v133, v174
	v_fma_f32 v165, v130, v176, -v128
	v_mul_f32_e32 v162, v132, v174
	v_add_f32_e32 v148, v10, v148
	v_add_f32_e32 v155, v155, v156
	v_fmac_f32_e32 v158, v131, v176
	s_waitcnt vmcnt(33)
	v_mul_f32_e32 v164, v135, v179
	v_fma_f32 v166, v132, v175, -v129
	v_add_f32_e32 v148, v148, v150
	v_add_f32_e32 v155, v155, v157
	v_mul_f32_e32 v163, v134, v179
	v_fmac_f32_e32 v162, v133, v175
	s_waitcnt vmcnt(26)
	v_fma_f32 v164, v134, v186, -v164
	v_add_f32_e32 v148, v148, v154
	v_add_f32_e32 v155, v155, v165
	s_waitcnt lgkmcnt(1)
	v_mul_f32_e32 v167, v7, v180
	ds_read_b128 v[2:5], v1 offset:832
	ds_read_b128 v[140:143], v1 offset:848
	v_fmac_f32_e32 v163, v135, v186
	v_add_f32_e32 v148, v148, v158
	v_add_f32_e32 v155, v155, v166
	v_mul_f32_e32 v156, v6, v180
	v_mul_f32_e32 v168, v9, v181
	v_fma_f32 v6, v6, v185, -v167
	v_add_f32_e32 v148, v148, v162
	v_add_f32_e32 v155, v155, v164
	v_mul_f32_e32 v150, v8, v181
	v_fmac_f32_e32 v156, v7, v185
	s_waitcnt lgkmcnt(2)
	v_mul_f32_e32 v167, v137, v182
	v_add_f32_e32 v148, v148, v163
	v_fma_f32 v8, v8, v184, -v168
	v_add_f32_e32 v6, v155, v6
	v_mul_f32_e32 v157, v136, v182
	v_fmac_f32_e32 v150, v9, v184
	v_add_f32_e32 v148, v148, v156
	v_fma_f32 v136, v136, v183, -v167
	v_add_f32_e32 v6, v6, v8
	v_fmac_f32_e32 v157, v137, v183
	ds_read_b128 v[128:131], v1 offset:864
	ds_read_b128 v[144:147], v1 offset:880
	v_add_f32_e32 v8, v148, v150
	ds_read_b128 v[132:135], v1 offset:896
	ds_read_b64 v[10:11], v1 offset:912
	v_add_f32_e32 v6, v6, v136
	v_add_f32_e32 v8, v8, v157
	s_waitcnt vmcnt(24)
	v_mul_f32_e32 v163, v139, v188
	v_mul_f32_e32 v154, v138, v188
	s_waitcnt vmcnt(23) lgkmcnt(5)
	v_mul_f32_e32 v7, v2, v192
	v_mul_f32_e32 v137, v3, v192
	s_waitcnt vmcnt(22)
	v_mul_f32_e32 v136, v5, v193
	v_mul_f32_e32 v165, v4, v193
	s_waitcnt vmcnt(21) lgkmcnt(4)
	v_mul_f32_e32 v158, v140, v194
	s_waitcnt vmcnt(20)
	v_mul_f32_e32 v9, v142, v149
	s_waitcnt vmcnt(19) lgkmcnt(3)
	v_mul_f32_e32 v168, v128, v151
	s_waitcnt vmcnt(18)
	;; [unrolled: 4-line block ×3, first 2 shown]
	v_mul_f32_e32 v169, v146, v159
	s_waitcnt vmcnt(12)
	v_fmac_f32_e32 v158, v141, v195
	s_waitcnt vmcnt(11)
	v_fma_f32 v4, v4, v196, -v136
	s_waitcnt vmcnt(10)
	v_fmac_f32_e32 v7, v3, v197
	s_waitcnt vmcnt(9)
	v_fma_f32 v138, v138, v198, -v163
	v_fmac_f32_e32 v154, v139, v198
	v_fma_f32 v2, v2, v197, -v137
	v_fmac_f32_e32 v165, v5, v196
	v_mul_f32_e32 v5, v143, v149
	v_add_f32_e32 v3, v6, v138
	v_add_f32_e32 v6, v8, v154
	v_mul_f32_e32 v8, v141, v194
	s_waitcnt lgkmcnt(1)
	v_mul_f32_e32 v164, v132, v12
	v_mul_f32_e32 v170, v134, v160
	v_add_f32_e32 v2, v3, v2
	v_add_f32_e32 v3, v6, v7
	v_fma_f32 v6, v140, v195, -v8
	s_waitcnt vmcnt(6)
	v_fmac_f32_e32 v168, v129, v191
	s_waitcnt vmcnt(5)
	v_fma_f32 v5, v142, v199, -v5
	v_add_f32_e32 v2, v2, v4
	v_add_f32_e32 v3, v3, v165
	v_mul_f32_e32 v4, v129, v151
	v_fmac_f32_e32 v9, v143, v199
	v_fmac_f32_e32 v162, v131, v190
	v_add_f32_e32 v2, v2, v6
	v_add_f32_e32 v3, v3, v158
	v_mul_f32_e32 v6, v131, v152
	v_fma_f32 v4, v128, v191, -v4
	v_fmac_f32_e32 v166, v145, v189
	v_add_f32_e32 v2, v2, v5
	v_add_f32_e32 v3, v3, v9
	v_mul_f32_e32 v5, v145, v153
	v_fma_f32 v6, v130, v190, -v6
	s_waitcnt vmcnt(1)
	v_fmac_f32_e32 v169, v147, v203
	v_add_f32_e32 v2, v2, v4
	v_add_f32_e32 v3, v3, v168
	v_mul_f32_e32 v4, v147, v159
	v_fma_f32 v5, v144, v189, -v5
	v_fmac_f32_e32 v164, v133, v202
	v_add_f32_e32 v2, v2, v6
	v_add_f32_e32 v3, v3, v162
	v_mul_f32_e32 v6, v133, v12
	v_fma_f32 v4, v146, v203, -v4
	s_waitcnt lgkmcnt(0)
	v_mul_f32_e32 v155, v10, v161
	v_add_f32_e32 v2, v2, v5
	v_add_f32_e32 v3, v3, v166
	v_mul_f32_e32 v5, v135, v160
	v_fma_f32 v6, v132, v202, -v6
	v_fmac_f32_e32 v170, v135, v201
	v_add_f32_e32 v2, v2, v4
	v_add_f32_e32 v3, v3, v169
	v_mul_f32_e32 v4, v11, v161
	v_fma_f32 v5, v134, v201, -v5
	v_fmac_f32_e32 v155, v11, v200
	v_add_f32_e32 v2, v2, v6
	v_add_f32_e32 v3, v3, v164
	v_fma_f32 v4, v10, v200, -v4
	v_add_f32_e32 v2, v2, v5
	v_add_f32_e32 v3, v3, v170
	;; [unrolled: 1-line block ×4, first 2 shown]
	s_waitcnt vmcnt(0)
	v_sub_f32_e32 v2, v204, v2
	v_sub_f32_e32 v3, v187, v3
	buffer_store_dword v2, off, s[0:3], 0 offset:136
	buffer_store_dword v3, off, s[0:3], 0 offset:140
	v_cmpx_lt_u32_e32 16, v0
	s_cbranch_execz .LBB56_323
; %bb.322:
	s_clause 0x1
	buffer_load_dword v2, off, s[0:3], 0 offset:128
	buffer_load_dword v3, off, s[0:3], 0 offset:132
	buffer_store_dword v1, off, s[0:3], 0 offset:128
	buffer_store_dword v1, off, s[0:3], 0 offset:132
	s_waitcnt vmcnt(0)
	ds_write_b64 v127, v[2:3]
.LBB56_323:
	s_or_b32 exec_lo, exec_lo, s4
	s_waitcnt lgkmcnt(0)
	s_waitcnt_vscnt null, 0x0
	s_barrier
	buffer_gl0_inv
	s_clause 0x23
	buffer_load_dword v10, off, s[0:3], 0 offset:140
	buffer_load_dword v11, off, s[0:3], 0 offset:148
	;; [unrolled: 1-line block ×36, first 2 shown]
	ds_read2_b64 v[2:5], v1 offset0:75 offset1:76
	s_clause 0x1
	buffer_load_dword v177, off, s[0:3], 0 offset:276
	buffer_load_dword v178, off, s[0:3], 0 offset:284
	ds_read2_b64 v[6:9], v1 offset0:77 offset1:78
	ds_read2_b64 v[128:131], v1 offset0:79 offset1:80
	s_clause 0x7
	buffer_load_dword v179, off, s[0:3], 0 offset:292
	buffer_load_dword v180, off, s[0:3], 0 offset:300
	;; [unrolled: 1-line block ×8, first 2 shown]
	ds_read2_b64 v[132:135], v1 offset0:81 offset1:82
	ds_read2_b64 v[136:139], v1 offset0:83 offset1:84
	;; [unrolled: 1-line block ×3, first 2 shown]
	buffer_load_dword v189, off, s[0:3], 0 offset:132
	s_mov_b32 s4, exec_lo
	s_waitcnt vmcnt(46) lgkmcnt(5)
	v_mul_f32_e32 v187, v3, v10
	v_mul_f32_e32 v10, v2, v10
	s_waitcnt vmcnt(45)
	v_mul_f32_e32 v188, v4, v11
	v_mul_f32_e32 v11, v5, v11
	s_waitcnt vmcnt(42)
	v_fma_f32 v187, v2, v145, -v187
	v_fmac_f32_e32 v10, v3, v145
	v_fmac_f32_e32 v188, v5, v144
	v_fma_f32 v11, v4, v144, -v11
	s_waitcnt vmcnt(41) lgkmcnt(4)
	v_mul_f32_e32 v144, v6, v146
	v_mul_f32_e32 v145, v7, v146
	s_waitcnt vmcnt(40)
	v_mul_f32_e32 v146, v8, v147
	v_mul_f32_e32 v147, v9, v147
	s_waitcnt vmcnt(39) lgkmcnt(3)
	v_mul_f32_e32 v190, v128, v148
	v_mul_f32_e32 v148, v129, v148
	v_fmac_f32_e32 v144, v7, v12
	v_fma_f32 v12, v6, v12, -v145
	s_waitcnt vmcnt(38)
	v_mul_f32_e32 v145, v130, v149
	v_mul_f32_e32 v6, v131, v149
	ds_read2_b64 v[2:5], v1 offset0:87 offset1:88
	s_waitcnt vmcnt(34)
	v_fmac_f32_e32 v146, v9, v153
	v_fma_f32 v147, v8, v153, -v147
	v_fmac_f32_e32 v190, v129, v152
	v_fma_f32 v128, v128, v152, -v148
	;; [unrolled: 2-line block ×3, first 2 shown]
	s_clause 0x7
	buffer_load_dword v148, off, s[0:3], 0 offset:324
	buffer_load_dword v149, off, s[0:3], 0 offset:332
	;; [unrolled: 1-line block ×8, first 2 shown]
	s_waitcnt vmcnt(41) lgkmcnt(3)
	v_mul_f32_e32 v6, v133, v154
	s_waitcnt vmcnt(40)
	v_mul_f32_e32 v7, v135, v155
	v_mul_f32_e32 v130, v132, v154
	;; [unrolled: 1-line block ×3, first 2 shown]
	s_waitcnt vmcnt(39) lgkmcnt(2)
	v_mul_f32_e32 v154, v136, v156
	v_fma_f32 v132, v132, v150, -v6
	s_waitcnt vmcnt(34)
	v_fma_f32 v134, v134, v161, -v7
	ds_read2_b64 v[6:9], v1 offset0:89 offset1:90
	v_mul_f32_e32 v155, v137, v156
	v_fmac_f32_e32 v130, v133, v150
	v_mul_f32_e32 v133, v138, v157
	v_mul_f32_e32 v150, v139, v157
	v_fmac_f32_e32 v131, v135, v161
	v_fmac_f32_e32 v154, v137, v160
	v_fma_f32 v135, v136, v160, -v155
	v_fmac_f32_e32 v133, v139, v159
	v_fma_f32 v136, v138, v159, -v150
	s_waitcnt vmcnt(33) lgkmcnt(2)
	v_mul_f32_e32 v137, v140, v162
	v_mul_f32_e32 v138, v141, v162
	s_waitcnt vmcnt(32)
	v_mul_f32_e32 v139, v142, v163
	s_waitcnt vmcnt(31) lgkmcnt(1)
	v_mul_f32_e32 v160, v2, v164
	v_mul_f32_e32 v161, v3, v164
	;; [unrolled: 1-line block ×3, first 2 shown]
	v_fmac_f32_e32 v137, v141, v158
	v_fma_f32 v138, v140, v158, -v138
	s_waitcnt vmcnt(30)
	v_mul_f32_e32 v140, v4, v165
	v_mul_f32_e32 v141, v5, v165
	s_waitcnt vmcnt(26)
	v_fmac_f32_e32 v139, v143, v169
	v_fmac_f32_e32 v160, v3, v168
	v_fma_f32 v143, v2, v168, -v161
	s_waitcnt vmcnt(25) lgkmcnt(0)
	v_mul_f32_e32 v168, v6, v170
	v_mul_f32_e32 v2, v7, v170
	v_add_f32_e32 v3, 0, v187
	s_clause 0x3
	buffer_load_dword v150, off, s[0:3], 0 offset:356
	buffer_load_dword v155, off, s[0:3], 0 offset:364
	;; [unrolled: 1-line block ×4, first 2 shown]
	v_fma_f32 v142, v142, v169, -v159
	s_clause 0x3
	buffer_load_dword v158, off, s[0:3], 0 offset:388
	buffer_load_dword v159, off, s[0:3], 0 offset:396
	;; [unrolled: 1-line block ×4, first 2 shown]
	v_fmac_f32_e32 v140, v5, v167
	v_fma_f32 v141, v4, v167, -v141
	s_clause 0x3
	buffer_load_dword v161, off, s[0:3], 0 offset:420
	buffer_load_dword v164, off, s[0:3], 0 offset:428
	;; [unrolled: 1-line block ×4, first 2 shown]
	v_add_f32_e32 v4, 0, v10
	buffer_load_dword v10, off, s[0:3], 0 offset:452
	v_fmac_f32_e32 v168, v7, v166
	v_fma_f32 v166, v6, v166, -v2
	v_add_f32_e32 v2, v3, v11
	s_clause 0x3
	buffer_load_dword v11, off, s[0:3], 0 offset:376
	buffer_load_dword v169, off, s[0:3], 0 offset:368
	;; [unrolled: 1-line block ×4, first 2 shown]
	v_add_f32_e32 v6, v4, v188
	v_add_f32_e32 v7, v2, v12
	s_waitcnt vmcnt(41)
	v_mul_f32_e32 v2, v9, v171
	v_mul_f32_e32 v12, v8, v171
	v_add_f32_e32 v6, v6, v144
	v_add_f32_e32 v7, v7, v147
	s_waitcnt vmcnt(37)
	v_fma_f32 v171, v8, v175, -v2
	ds_read2_b64 v[2:5], v1 offset0:91 offset1:92
	v_fmac_f32_e32 v12, v9, v175
	s_clause 0x3
	buffer_load_dword v175, off, s[0:3], 0 offset:408
	buffer_load_dword v188, off, s[0:3], 0 offset:400
	;; [unrolled: 1-line block ×4, first 2 shown]
	v_add_f32_e32 v7, v7, v128
	v_add_f32_e32 v6, v6, v146
	;; [unrolled: 1-line block ×6, first 2 shown]
	ds_read2_b64 v[6:9], v1 offset0:93 offset1:94
	v_add_f32_e32 v129, v129, v130
	s_waitcnt vmcnt(40) lgkmcnt(1)
	v_mul_f32_e32 v144, v2, v176
	v_mul_f32_e32 v132, v3, v176
	s_waitcnt vmcnt(39)
	v_mul_f32_e32 v146, v4, v177
	v_fmac_f32_e32 v144, v3, v174
	v_fma_f32 v145, v2, v174, -v132
	s_clause 0x4
	buffer_load_dword v174, off, s[0:3], 0 offset:440
	buffer_load_dword v176, off, s[0:3], 0 offset:432
	;; [unrolled: 1-line block ×5, first 2 shown]
	v_add_f32_e32 v3, v129, v131
	v_add_f32_e32 v2, v128, v134
	v_mul_f32_e32 v128, v5, v177
	v_fmac_f32_e32 v146, v5, v173
	v_add_f32_e32 v3, v3, v154
	buffer_load_dword v154, off, s[0:3], 0 offset:128
	v_add_f32_e32 v2, v2, v135
	v_fma_f32 v147, v4, v173, -v128
	s_waitcnt vmcnt(44) lgkmcnt(0)
	v_mul_f32_e32 v173, v6, v178
	v_add_f32_e32 v129, v3, v133
	v_mul_f32_e32 v134, v7, v178
	v_add_f32_e32 v2, v2, v136
	s_waitcnt vmcnt(43)
	v_mul_f32_e32 v177, v8, v179
	v_mul_f32_e32 v135, v9, v179
	v_add_f32_e32 v133, v129, v137
	ds_read2_b64 v[128:131], v1 offset0:97 offset1:98
	v_add_f32_e32 v132, v2, v138
	ds_read2_b64 v[2:5], v1 offset0:95 offset1:96
	v_fmac_f32_e32 v173, v7, v172
	v_add_f32_e32 v133, v133, v139
	v_fma_f32 v172, v6, v172, -v134
	v_add_f32_e32 v132, v132, v142
	s_waitcnt vmcnt(36)
	v_fmac_f32_e32 v177, v9, v186
	v_fma_f32 v178, v8, v186, -v135
	v_add_f32_e32 v137, v133, v160
	v_add_f32_e32 v136, v132, v143
	ds_read2_b64 v[6:9], v1 offset0:99 offset1:100
	ds_read2_b64 v[132:135], v1 offset0:101 offset1:102
	v_add_f32_e32 v137, v137, v140
	v_add_f32_e32 v136, v136, v141
	;; [unrolled: 1-line block ×3, first 2 shown]
	s_waitcnt lgkmcnt(3)
	v_mul_f32_e32 v140, v129, v182
	v_add_f32_e32 v136, v136, v166
	v_mul_f32_e32 v166, v128, v182
	s_waitcnt lgkmcnt(2)
	v_mul_f32_e32 v138, v3, v180
	v_add_f32_e32 v12, v137, v12
	v_mul_f32_e32 v160, v2, v180
	v_add_f32_e32 v141, v136, v171
	v_mul_f32_e32 v139, v5, v181
	v_fma_f32 v180, v2, v185, -v138
	v_add_f32_e32 v12, v12, v144
	v_mul_f32_e32 v179, v4, v181
	v_add_f32_e32 v145, v141, v145
	v_fmac_f32_e32 v160, v3, v185
	v_fma_f32 v181, v4, v184, -v139
	v_add_f32_e32 v12, v12, v146
	v_fmac_f32_e32 v179, v5, v184
	v_add_f32_e32 v144, v145, v147
	v_fmac_f32_e32 v166, v129, v183
	ds_read2_b64 v[2:5], v1 offset0:103 offset1:104
	ds_read2_b64 v[136:139], v1 offset0:105 offset1:106
	v_add_f32_e32 v12, v12, v173
	v_add_f32_e32 v12, v12, v177
	;; [unrolled: 1-line block ×5, first 2 shown]
	s_waitcnt vmcnt(34)
	v_mul_f32_e32 v168, v130, v148
	s_waitcnt vmcnt(33) lgkmcnt(3)
	v_mul_f32_e32 v182, v6, v149
	v_mul_f32_e32 v145, v7, v149
	;; [unrolled: 1-line block ×3, first 2 shown]
	v_fma_f32 v148, v128, v183, -v140
	s_waitcnt vmcnt(32)
	v_mul_f32_e32 v183, v8, v151
	s_waitcnt vmcnt(28)
	v_fmac_f32_e32 v182, v7, v192
	v_add_f32_e32 v7, v144, v172
	s_waitcnt vmcnt(27)
	v_fma_f32 v171, v130, v193, -v142
	v_fmac_f32_e32 v168, v131, v193
	v_mul_f32_e32 v146, v9, v151
	v_fma_f32 v149, v6, v192, -v145
	v_add_f32_e32 v172, v7, v178
	ds_read2_b64 v[128:131], v1 offset0:107 offset1:108
	ds_read2_b64 v[140:143], v1 offset0:109 offset1:110
	v_add_f32_e32 v12, v12, v168
	v_fmac_f32_e32 v183, v9, v191
	v_fma_f32 v151, v8, v191, -v146
	v_add_f32_e32 v172, v172, v180
	ds_read2_b64 v[6:9], v1 offset0:111 offset1:112
	ds_read2_b64 v[144:147], v1 offset0:113 offset1:114
	s_waitcnt lgkmcnt(6)
	v_mul_f32_e32 v1, v132, v152
	v_mul_f32_e32 v152, v133, v152
	v_add_f32_e32 v12, v12, v182
	v_add_f32_e32 v172, v172, v181
	v_fmac_f32_e32 v1, v133, v153
	v_fma_f32 v132, v132, v153, -v152
	v_add_f32_e32 v12, v12, v183
	v_add_f32_e32 v148, v172, v148
	;; [unrolled: 1-line block ×5, first 2 shown]
	s_waitcnt vmcnt(26)
	v_mul_f32_e32 v160, v134, v150
	v_mul_f32_e32 v150, v135, v150
	s_waitcnt vmcnt(25) lgkmcnt(5)
	v_mul_f32_e32 v173, v2, v155
	s_waitcnt vmcnt(24)
	v_mul_f32_e32 v12, v5, v156
	v_add_f32_e32 v148, v148, v151
	v_mul_f32_e32 v151, v3, v155
	v_mul_f32_e32 v177, v4, v156
	s_waitcnt vmcnt(23) lgkmcnt(4)
	v_mul_f32_e32 v178, v136, v157
	s_waitcnt vmcnt(22)
	v_mul_f32_e32 v172, v138, v158
	v_add_f32_e32 v132, v148, v132
	s_waitcnt vmcnt(21) lgkmcnt(3)
	v_mul_f32_e32 v166, v128, v159
	s_waitcnt vmcnt(20)
	v_mul_f32_e32 v179, v130, v162
	s_waitcnt vmcnt(12)
	v_fma_f32 v4, v4, v169, -v12
	s_waitcnt vmcnt(11)
	v_fmac_f32_e32 v173, v3, v170
	s_waitcnt vmcnt(10)
	v_fma_f32 v134, v134, v187, -v150
	v_fmac_f32_e32 v160, v135, v187
	v_fma_f32 v2, v2, v170, -v151
	v_fmac_f32_e32 v177, v5, v169
	v_fmac_f32_e32 v178, v137, v11
	v_add_f32_e32 v3, v132, v134
	v_add_f32_e32 v1, v1, v160
	v_mul_f32_e32 v132, v137, v157
	s_waitcnt lgkmcnt(2)
	v_mul_f32_e32 v171, v140, v163
	v_mul_f32_e32 v168, v142, v161
	v_add_f32_e32 v2, v3, v2
	v_add_f32_e32 v1, v1, v173
	v_mul_f32_e32 v3, v139, v158
	v_fma_f32 v5, v136, v11, -v132
	s_waitcnt vmcnt(6)
	v_fmac_f32_e32 v172, v139, v195
	v_add_f32_e32 v2, v2, v4
	v_add_f32_e32 v1, v1, v177
	v_mul_f32_e32 v4, v129, v159
	v_fma_f32 v3, v138, v195, -v3
	v_fmac_f32_e32 v166, v129, v194
	v_add_f32_e32 v2, v2, v5
	v_add_f32_e32 v1, v1, v178
	v_mul_f32_e32 v5, v131, v162
	v_fma_f32 v4, v128, v194, -v4
	;; [unrolled: 5-line block ×4, first 2 shown]
	s_waitcnt lgkmcnt(1)
	v_mul_f32_e32 v180, v6, v164
	v_add_f32_e32 v2, v2, v5
	v_add_f32_e32 v1, v1, v179
	v_mul_f32_e32 v5, v7, v164
	s_waitcnt vmcnt(2)
	v_fma_f32 v4, v142, v196, -v4
	v_fmac_f32_e32 v168, v143, v196
	v_add_f32_e32 v2, v2, v3
	v_add_f32_e32 v1, v1, v171
	v_mul_f32_e32 v3, v9, v165
	v_fma_f32 v5, v6, v190, -v5
	v_mul_f32_e32 v149, v8, v165
	v_add_f32_e32 v2, v2, v4
	v_fmac_f32_e32 v180, v7, v190
	v_add_f32_e32 v1, v1, v168
	s_waitcnt lgkmcnt(0)
	v_mul_f32_e32 v4, v145, v167
	v_fma_f32 v3, v8, v176, -v3
	v_add_f32_e32 v2, v2, v5
	v_mul_f32_e32 v181, v144, v167
	v_fmac_f32_e32 v149, v9, v176
	v_add_f32_e32 v1, v1, v180
	v_mul_f32_e32 v5, v147, v10
	v_fma_f32 v4, v144, v174, -v4
	v_add_f32_e32 v2, v2, v3
	v_mul_f32_e32 v133, v146, v10
	v_fmac_f32_e32 v181, v145, v174
	v_add_f32_e32 v1, v1, v149
	s_waitcnt vmcnt(1)
	v_fma_f32 v3, v146, v197, -v5
	v_add_f32_e32 v2, v2, v4
	v_fmac_f32_e32 v133, v147, v197
	v_add_f32_e32 v1, v1, v181
	v_add_f32_e32 v2, v2, v3
	;; [unrolled: 1-line block ×3, first 2 shown]
	s_waitcnt vmcnt(0)
	v_sub_f32_e32 v2, v154, v2
	v_sub_f32_e32 v1, v189, v1
	buffer_store_dword v2, off, s[0:3], 0 offset:128
	buffer_store_dword v1, off, s[0:3], 0 offset:132
	v_cmpx_lt_u32_e32 15, v0
	s_cbranch_execz .LBB56_325
; %bb.324:
	s_clause 0x1
	buffer_load_dword v1, off, s[0:3], 0 offset:120
	buffer_load_dword v2, off, s[0:3], 0 offset:124
	v_mov_b32_e32 v3, 0
	buffer_store_dword v3, off, s[0:3], 0 offset:120
	buffer_store_dword v3, off, s[0:3], 0 offset:124
	s_waitcnt vmcnt(0)
	ds_write_b64 v127, v[1:2]
.LBB56_325:
	s_or_b32 exec_lo, exec_lo, s4
	s_waitcnt lgkmcnt(0)
	s_waitcnt_vscnt null, 0x0
	s_barrier
	buffer_gl0_inv
	s_clause 0x23
	buffer_load_dword v3, off, s[0:3], 0 offset:132
	buffer_load_dword v2, off, s[0:3], 0 offset:140
	;; [unrolled: 1-line block ×36, first 2 shown]
	v_mov_b32_e32 v1, 0
	s_mov_b32 s4, exec_lo
	ds_read_b128 v[4:7], v1 offset:592
	s_clause 0x1
	buffer_load_dword v177, off, s[0:3], 0 offset:268
	buffer_load_dword v178, off, s[0:3], 0 offset:276
	ds_read_b128 v[8:11], v1 offset:608
	s_clause 0x8
	buffer_load_dword v179, off, s[0:3], 0 offset:284
	buffer_load_dword v180, off, s[0:3], 0 offset:292
	;; [unrolled: 1-line block ×9, first 2 shown]
	ds_read_b128 v[128:131], v1 offset:624
	ds_read_b128 v[132:135], v1 offset:640
	buffer_load_dword v188, off, s[0:3], 0 offset:124
	ds_read_b128 v[136:139], v1 offset:656
	ds_read_b128 v[140:143], v1 offset:672
	s_waitcnt vmcnt(47) lgkmcnt(5)
	v_mul_f32_e32 v189, v5, v3
	v_mul_f32_e32 v190, v4, v3
	s_waitcnt vmcnt(46)
	v_mul_f32_e32 v191, v6, v2
	v_mul_f32_e32 v2, v7, v2
	s_waitcnt vmcnt(43)
	v_fma_f32 v189, v4, v145, -v189
	v_fmac_f32_e32 v190, v5, v145
	s_waitcnt vmcnt(42) lgkmcnt(4)
	v_mul_f32_e32 v145, v8, v146
	v_mul_f32_e32 v146, v9, v146
	v_fmac_f32_e32 v191, v7, v144
	v_fma_f32 v144, v6, v144, -v2
	s_waitcnt vmcnt(41)
	v_mul_f32_e32 v192, v10, v147
	v_mul_f32_e32 v6, v11, v147
	v_fmac_f32_e32 v145, v9, v12
	v_fma_f32 v12, v8, v12, -v146
	s_waitcnt vmcnt(40) lgkmcnt(3)
	v_mul_f32_e32 v146, v128, v148
	v_mul_f32_e32 v7, v129, v148
	s_waitcnt vmcnt(36)
	v_fmac_f32_e32 v192, v11, v152
	v_fma_f32 v10, v10, v152, -v6
	s_waitcnt vmcnt(35)
	v_mul_f32_e32 v11, v130, v153
	v_mul_f32_e32 v6, v131, v153
	ds_read_b128 v[2:5], v1 offset:688
	s_waitcnt vmcnt(34) lgkmcnt(3)
	v_mul_f32_e32 v147, v132, v154
	v_mul_f32_e32 v8, v133, v154
	s_waitcnt vmcnt(33)
	v_mul_f32_e32 v148, v134, v155
	v_mul_f32_e32 v9, v135, v155
	v_fmac_f32_e32 v146, v129, v151
	v_fma_f32 v128, v128, v151, -v7
	v_fmac_f32_e32 v11, v131, v150
	v_fma_f32 v129, v130, v150, -v6
	s_clause 0x6
	buffer_load_dword v150, off, s[0:3], 0 offset:324
	buffer_load_dword v151, off, s[0:3], 0 offset:332
	;; [unrolled: 1-line block ×7, first 2 shown]
	v_fma_f32 v130, v132, v149, -v8
	s_waitcnt vmcnt(36)
	v_fma_f32 v131, v134, v159, -v9
	ds_read_b128 v[6:9], v1 offset:704
	v_fmac_f32_e32 v147, v133, v149
	v_fmac_f32_e32 v148, v135, v159
	s_waitcnt vmcnt(35) lgkmcnt(3)
	v_mul_f32_e32 v133, v137, v160
	s_waitcnt vmcnt(34)
	v_mul_f32_e32 v134, v138, v161
	v_mul_f32_e32 v135, v139, v161
	v_mul_f32_e32 v132, v136, v160
	s_waitcnt vmcnt(33) lgkmcnt(2)
	v_mul_f32_e32 v149, v140, v162
	v_mul_f32_e32 v159, v141, v162
	v_fma_f32 v133, v136, v158, -v133
	s_waitcnt vmcnt(32)
	v_mul_f32_e32 v136, v142, v163
	v_fmac_f32_e32 v134, v139, v157
	v_fma_f32 v135, v138, v157, -v135
	s_waitcnt vmcnt(31) lgkmcnt(1)
	v_mul_f32_e32 v138, v2, v164
	v_mul_f32_e32 v139, v3, v164
	v_fmac_f32_e32 v132, v137, v158
	v_mul_f32_e32 v137, v143, v163
	v_fmac_f32_e32 v149, v141, v156
	v_fma_f32 v140, v140, v156, -v159
	s_waitcnt vmcnt(27)
	v_fmac_f32_e32 v136, v143, v168
	s_clause 0x7
	buffer_load_dword v156, off, s[0:3], 0 offset:348
	buffer_load_dword v157, off, s[0:3], 0 offset:356
	;; [unrolled: 1-line block ×8, first 2 shown]
	v_fmac_f32_e32 v138, v3, v167
	v_fma_f32 v139, v2, v167, -v139
	s_waitcnt vmcnt(33) lgkmcnt(0)
	v_mul_f32_e32 v143, v6, v170
	v_mul_f32_e32 v2, v7, v170
	v_add_f32_e32 v3, 0, v189
	v_fma_f32 v137, v142, v168, -v137
	v_mul_f32_e32 v141, v4, v169
	v_fmac_f32_e32 v143, v7, v165
	v_fma_f32 v165, v6, v165, -v2
	v_add_f32_e32 v2, 0, v190
	v_add_f32_e32 v3, v3, v144
	v_mul_f32_e32 v142, v5, v169
	s_clause 0x1
	buffer_load_dword v164, off, s[0:3], 0 offset:380
	buffer_load_dword v167, off, s[0:3], 0 offset:388
	v_fmac_f32_e32 v141, v5, v166
	v_add_f32_e32 v2, v2, v191
	v_add_f32_e32 v6, v3, v12
	s_waitcnt vmcnt(34)
	v_mul_f32_e32 v3, v9, v171
	v_fma_f32 v142, v4, v166, -v142
	s_clause 0x5
	buffer_load_dword v166, off, s[0:3], 0 offset:396
	buffer_load_dword v168, off, s[0:3], 0 offset:404
	;; [unrolled: 1-line block ×6, first 2 shown]
	v_mul_f32_e32 v12, v8, v171
	v_add_f32_e32 v7, v2, v145
	s_waitcnt vmcnt(36)
	v_fma_f32 v144, v8, v175, -v3
	ds_read_b128 v[2:5], v1 offset:720
	s_clause 0x1
	buffer_load_dword v191, off, s[0:3], 0 offset:444
	buffer_load_dword v171, off, s[0:3], 0 offset:452
	v_fmac_f32_e32 v12, v9, v175
	v_add_f32_e32 v7, v7, v192
	s_clause 0x3
	buffer_load_dword v175, off, s[0:3], 0 offset:400
	buffer_load_dword v192, off, s[0:3], 0 offset:392
	;; [unrolled: 1-line block ×4, first 2 shown]
	v_add_f32_e32 v6, v6, v10
	v_add_f32_e32 v7, v7, v146
	;; [unrolled: 1-line block ×6, first 2 shown]
	s_waitcnt vmcnt(41) lgkmcnt(0)
	v_mul_f32_e32 v145, v2, v176
	v_mul_f32_e32 v128, v3, v176
	v_add_f32_e32 v11, v6, v130
	ds_read_b128 v[6:9], v1 offset:736
	v_fmac_f32_e32 v145, v3, v174
	v_fma_f32 v146, v2, v174, -v128
	v_add_f32_e32 v2, v10, v148
	s_clause 0x6
	buffer_load_dword v148, off, s[0:3], 0 offset:432
	buffer_load_dword v174, off, s[0:3], 0 offset:424
	;; [unrolled: 1-line block ×7, first 2 shown]
	v_add_f32_e32 v11, v11, v131
	v_add_f32_e32 v2, v2, v132
	s_waitcnt vmcnt(47)
	v_mul_f32_e32 v10, v4, v177
	v_add_f32_e32 v3, v11, v133
	v_add_f32_e32 v2, v2, v134
	v_mul_f32_e32 v11, v5, v177
	v_fmac_f32_e32 v10, v5, v173
	v_add_f32_e32 v3, v3, v135
	v_add_f32_e32 v128, v2, v149
	s_waitcnt vmcnt(46) lgkmcnt(0)
	v_mul_f32_e32 v147, v6, v178
	v_mul_f32_e32 v134, v7, v178
	s_waitcnt vmcnt(45)
	v_mul_f32_e32 v149, v8, v179
	v_add_f32_e32 v3, v3, v140
	v_add_f32_e32 v133, v128, v136
	v_mul_f32_e32 v135, v9, v179
	v_fma_f32 v11, v4, v173, -v11
	ds_read_b128 v[128:131], v1 offset:768
	v_add_f32_e32 v132, v3, v137
	v_add_f32_e32 v133, v133, v138
	ds_read_b128 v[2:5], v1 offset:752
	v_fmac_f32_e32 v147, v7, v172
	v_fma_f32 v172, v6, v172, -v134
	v_add_f32_e32 v132, v132, v139
	v_add_f32_e32 v137, v133, v141
	s_waitcnt vmcnt(38)
	v_fmac_f32_e32 v149, v9, v186
	v_fma_f32 v173, v8, v186, -v135
	v_add_f32_e32 v136, v132, v142
	ds_read_b128 v[6:9], v1 offset:784
	ds_read_b128 v[132:135], v1 offset:800
	v_add_f32_e32 v137, v137, v143
	v_add_f32_e32 v136, v136, v165
	;; [unrolled: 1-line block ×3, first 2 shown]
	s_waitcnt lgkmcnt(3)
	v_mul_f32_e32 v140, v129, v182
	v_add_f32_e32 v136, v136, v144
	v_mul_f32_e32 v178, v128, v182
	v_add_f32_e32 v12, v12, v145
	s_waitcnt lgkmcnt(2)
	v_mul_f32_e32 v138, v3, v180
	v_mul_f32_e32 v165, v2, v180
	v_add_f32_e32 v141, v136, v146
	v_mul_f32_e32 v139, v5, v181
	v_add_f32_e32 v10, v12, v10
	v_fma_f32 v144, v2, v185, -v138
	v_mul_f32_e32 v177, v4, v181
	v_add_f32_e32 v11, v141, v11
	v_fmac_f32_e32 v165, v3, v185
	v_add_f32_e32 v10, v10, v147
	v_fma_f32 v180, v4, v184, -v139
	v_fmac_f32_e32 v177, v5, v184
	v_add_f32_e32 v11, v11, v172
	s_waitcnt vmcnt(37)
	v_mul_f32_e32 v142, v131, v187
	v_add_f32_e32 v10, v10, v149
	v_fma_f32 v181, v128, v183, -v140
	v_mul_f32_e32 v179, v130, v187
	v_fmac_f32_e32 v178, v129, v183
	ds_read_b128 v[2:5], v1 offset:816
	ds_read_b128 v[136:139], v1 offset:832
	s_waitcnt vmcnt(35) lgkmcnt(3)
	v_mul_f32_e32 v12, v6, v150
	v_mul_f32_e32 v145, v7, v150
	s_waitcnt vmcnt(34)
	v_mul_f32_e32 v172, v8, v151
	v_mul_f32_e32 v146, v9, v151
	s_waitcnt vmcnt(30)
	v_fmac_f32_e32 v12, v7, v155
	v_add_f32_e32 v7, v11, v173
	v_fmac_f32_e32 v172, v9, v154
	v_fma_f32 v150, v8, v154, -v146
	v_add_f32_e32 v154, v10, v165
	s_waitcnt vmcnt(29)
	v_fma_f32 v182, v130, v193, -v142
	v_add_f32_e32 v151, v7, v144
	v_fmac_f32_e32 v179, v131, v193
	v_fma_f32 v149, v6, v155, -v145
	v_add_f32_e32 v154, v154, v177
	s_waitcnt lgkmcnt(2)
	v_mul_f32_e32 v155, v132, v152
	v_add_f32_e32 v151, v151, v180
	v_mul_f32_e32 v152, v133, v152
	ds_read_b128 v[128:131], v1 offset:848
	ds_read_b128 v[140:143], v1 offset:864
	v_add_f32_e32 v154, v154, v178
	v_fmac_f32_e32 v155, v133, v153
	v_add_f32_e32 v151, v151, v181
	v_fma_f32 v132, v132, v153, -v152
	s_waitcnt vmcnt(28)
	v_mul_f32_e32 v165, v134, v156
	v_add_f32_e32 v153, v154, v179
	v_mul_f32_e32 v156, v135, v156
	v_add_f32_e32 v151, v151, v182
	s_waitcnt vmcnt(27) lgkmcnt(3)
	v_mul_f32_e32 v173, v2, v157
	v_mul_f32_e32 v157, v3, v157
	v_add_f32_e32 v12, v153, v12
	s_waitcnt vmcnt(21)
	v_fma_f32 v134, v134, v163, -v156
	v_add_f32_e32 v149, v151, v149
	v_fmac_f32_e32 v165, v135, v163
	v_fmac_f32_e32 v173, v3, v162
	v_add_f32_e32 v12, v12, v172
	v_fma_f32 v2, v2, v162, -v157
	v_add_f32_e32 v149, v149, v150
	v_mul_f32_e32 v150, v5, v158
	v_mul_f32_e32 v177, v4, v158
	v_add_f32_e32 v12, v12, v155
	s_waitcnt lgkmcnt(2)
	v_mul_f32_e32 v133, v136, v159
	v_add_f32_e32 v132, v149, v132
	v_fma_f32 v4, v4, v161, -v150
	v_fmac_f32_e32 v177, v5, v161
	v_add_f32_e32 v12, v12, v165
	s_waitcnt vmcnt(20)
	v_mul_f32_e32 v5, v139, v164
	v_add_f32_e32 v3, v132, v134
	v_mul_f32_e32 v132, v137, v159
	v_mul_f32_e32 v152, v138, v164
	v_fmac_f32_e32 v133, v137, v160
	s_waitcnt vmcnt(19) lgkmcnt(1)
	v_mul_f32_e32 v154, v128, v167
	v_add_f32_e32 v2, v3, v2
	v_add_f32_e32 v3, v12, v173
	v_fma_f32 v12, v136, v160, -v132
	ds_read_b128 v[6:9], v1 offset:880
	ds_read_b128 v[144:147], v1 offset:896
	ds_read_b64 v[10:11], v1 offset:912
	s_waitcnt vmcnt(18)
	v_mul_f32_e32 v135, v130, v166
	v_add_f32_e32 v2, v2, v4
	v_add_f32_e32 v3, v3, v177
	v_mul_f32_e32 v4, v129, v167
	s_waitcnt vmcnt(7)
	v_fma_f32 v5, v138, v195, -v5
	v_fmac_f32_e32 v152, v139, v195
	v_add_f32_e32 v2, v2, v12
	v_add_f32_e32 v3, v3, v133
	v_mul_f32_e32 v12, v131, v166
	v_fma_f32 v4, v128, v194, -v4
	v_fmac_f32_e32 v154, v129, v194
	v_add_f32_e32 v2, v2, v5
	v_add_f32_e32 v3, v3, v152
	s_waitcnt lgkmcnt(3)
	v_mul_f32_e32 v5, v141, v168
	v_fma_f32 v12, v130, v192, -v12
	v_mul_f32_e32 v156, v140, v168
	v_add_f32_e32 v2, v2, v4
	v_fmac_f32_e32 v135, v131, v192
	v_add_f32_e32 v3, v3, v154
	v_mul_f32_e32 v4, v143, v169
	v_fma_f32 v5, v140, v175, -v5
	v_add_f32_e32 v2, v2, v12
	v_mul_f32_e32 v151, v142, v169
	v_fmac_f32_e32 v156, v141, v175
	v_add_f32_e32 v3, v3, v135
	s_waitcnt lgkmcnt(2)
	v_mul_f32_e32 v12, v7, v170
	s_waitcnt vmcnt(3)
	v_fma_f32 v4, v142, v196, -v4
	v_add_f32_e32 v2, v2, v5
	v_mul_f32_e32 v153, v6, v170
	v_fmac_f32_e32 v151, v143, v196
	v_add_f32_e32 v3, v3, v156
	v_mul_f32_e32 v5, v9, v189
	v_fma_f32 v6, v6, v176, -v12
	v_add_f32_e32 v2, v2, v4
	v_mul_f32_e32 v163, v8, v189
	v_fmac_f32_e32 v153, v7, v176
	v_add_f32_e32 v3, v3, v151
	s_waitcnt lgkmcnt(1)
	v_mul_f32_e32 v4, v145, v190
	v_fma_f32 v5, v8, v174, -v5
	v_add_f32_e32 v2, v2, v6
	v_mul_f32_e32 v158, v144, v190
	v_fmac_f32_e32 v163, v9, v174
	v_add_f32_e32 v3, v3, v153
	v_mul_f32_e32 v6, v147, v191
	v_fma_f32 v4, v144, v148, -v4
	v_add_f32_e32 v2, v2, v5
	v_mul_f32_e32 v172, v146, v191
	v_fmac_f32_e32 v158, v145, v148
	v_add_f32_e32 v3, v3, v163
	s_waitcnt lgkmcnt(0)
	v_mul_f32_e32 v5, v11, v171
	s_waitcnt vmcnt(1)
	v_fma_f32 v6, v146, v198, -v6
	v_add_f32_e32 v2, v2, v4
	v_mul_f32_e32 v149, v10, v171
	v_fmac_f32_e32 v172, v147, v198
	v_add_f32_e32 v3, v3, v158
	v_fma_f32 v4, v10, v197, -v5
	v_add_f32_e32 v2, v2, v6
	v_fmac_f32_e32 v149, v11, v197
	v_add_f32_e32 v3, v3, v172
	v_add_f32_e32 v2, v2, v4
	;; [unrolled: 1-line block ×3, first 2 shown]
	s_waitcnt vmcnt(0)
	v_sub_f32_e32 v2, v199, v2
	v_sub_f32_e32 v3, v188, v3
	buffer_store_dword v2, off, s[0:3], 0 offset:120
	buffer_store_dword v3, off, s[0:3], 0 offset:124
	v_cmpx_lt_u32_e32 14, v0
	s_cbranch_execz .LBB56_327
; %bb.326:
	s_clause 0x1
	buffer_load_dword v2, off, s[0:3], 0 offset:112
	buffer_load_dword v3, off, s[0:3], 0 offset:116
	buffer_store_dword v1, off, s[0:3], 0 offset:112
	buffer_store_dword v1, off, s[0:3], 0 offset:116
	s_waitcnt vmcnt(0)
	ds_write_b64 v127, v[2:3]
.LBB56_327:
	s_or_b32 exec_lo, exec_lo, s4
	s_waitcnt lgkmcnt(0)
	s_waitcnt_vscnt null, 0x0
	s_barrier
	buffer_gl0_inv
	s_clause 0x24
	buffer_load_dword v2, off, s[0:3], 0 offset:124
	buffer_load_dword v3, off, s[0:3], 0 offset:132
	;; [unrolled: 1-line block ×37, first 2 shown]
	ds_read2_b64 v[6:9], v1 offset0:73 offset1:74
	ds_read2_b64 v[128:131], v1 offset0:75 offset1:76
	s_clause 0x8
	buffer_load_dword v180, off, s[0:3], 0 offset:268
	buffer_load_dword v181, off, s[0:3], 0 offset:276
	;; [unrolled: 1-line block ×9, first 2 shown]
	ds_read2_b64 v[132:135], v1 offset0:77 offset1:78
	ds_read2_b64 v[136:139], v1 offset0:79 offset1:80
	;; [unrolled: 1-line block ×4, first 2 shown]
	buffer_load_dword v187, off, s[0:3], 0 offset:116
	s_mov_b32 s4, exec_lo
	s_waitcnt vmcnt(46) lgkmcnt(5)
	v_mul_f32_e32 v188, v7, v2
	v_mul_f32_e32 v2, v6, v2
	s_waitcnt vmcnt(45)
	v_mul_f32_e32 v189, v8, v3
	v_mul_f32_e32 v3, v9, v3
	s_waitcnt vmcnt(44) lgkmcnt(4)
	v_mul_f32_e32 v190, v128, v10
	v_mul_f32_e32 v10, v129, v10
	s_waitcnt vmcnt(41)
	v_fma_f32 v188, v6, v148, -v188
	v_fmac_f32_e32 v2, v7, v148
	s_waitcnt vmcnt(40)
	v_mul_f32_e32 v148, v130, v149
	v_mul_f32_e32 v6, v131, v149
	v_fmac_f32_e32 v189, v9, v12
	v_fma_f32 v3, v8, v12, -v3
	s_waitcnt vmcnt(35) lgkmcnt(3)
	v_mul_f32_e32 v12, v132, v154
	v_mul_f32_e32 v149, v133, v154
	v_fmac_f32_e32 v190, v129, v11
	v_fma_f32 v10, v128, v11, -v10
	v_fmac_f32_e32 v148, v131, v153
	v_fma_f32 v11, v130, v153, -v6
	s_waitcnt vmcnt(34)
	v_mul_f32_e32 v153, v134, v155
	v_mul_f32_e32 v154, v135, v155
	s_waitcnt vmcnt(33) lgkmcnt(2)
	v_mul_f32_e32 v155, v136, v156
	v_mul_f32_e32 v156, v137, v156
	v_fmac_f32_e32 v12, v133, v152
	v_fma_f32 v149, v132, v152, -v149
	s_waitcnt vmcnt(32)
	v_mul_f32_e32 v152, v138, v157
	v_mul_f32_e32 v132, v139, v157
	ds_read2_b64 v[6:9], v1 offset0:85 offset1:86
	ds_read2_b64 v[128:131], v1 offset0:87 offset1:88
	v_fmac_f32_e32 v153, v135, v151
	v_fma_f32 v151, v134, v151, -v154
	s_waitcnt vmcnt(31) lgkmcnt(3)
	v_mul_f32_e32 v154, v140, v158
	v_mul_f32_e32 v133, v141, v158
	s_waitcnt vmcnt(30)
	v_mul_f32_e32 v157, v142, v159
	v_mul_f32_e32 v134, v143, v159
	v_fmac_f32_e32 v155, v137, v150
	v_fma_f32 v136, v136, v150, -v156
	s_waitcnt vmcnt(26)
	v_fmac_f32_e32 v152, v139, v163
	v_fma_f32 v137, v138, v163, -v132
	s_clause 0x7
	buffer_load_dword v150, off, s[0:3], 0 offset:308
	buffer_load_dword v156, off, s[0:3], 0 offset:316
	;; [unrolled: 1-line block ×8, first 2 shown]
	v_fmac_f32_e32 v154, v141, v162
	v_fma_f32 v138, v140, v162, -v133
	v_fmac_f32_e32 v157, v143, v161
	v_fma_f32 v139, v142, v161, -v134
	s_waitcnt vmcnt(33) lgkmcnt(2)
	v_mul_f32_e32 v140, v144, v164
	v_mul_f32_e32 v141, v145, v164
	s_waitcnt vmcnt(32)
	v_mul_f32_e32 v142, v146, v165
	v_mul_f32_e32 v143, v147, v165
	ds_read2_b64 v[132:135], v1 offset0:89 offset1:90
	buffer_load_dword v161, off, s[0:3], 0 offset:340
	v_fmac_f32_e32 v140, v145, v160
	v_fma_f32 v141, v144, v160, -v141
	s_waitcnt vmcnt(32) lgkmcnt(2)
	v_mul_f32_e32 v144, v6, v166
	v_mul_f32_e32 v145, v7, v166
	s_waitcnt vmcnt(28)
	v_fmac_f32_e32 v142, v147, v170
	v_fma_f32 v143, v146, v170, -v143
	s_waitcnt vmcnt(27)
	v_mul_f32_e32 v146, v8, v171
	v_mul_f32_e32 v147, v9, v171
	v_fmac_f32_e32 v144, v7, v169
	v_fma_f32 v145, v6, v169, -v145
	s_waitcnt vmcnt(26) lgkmcnt(1)
	v_mul_f32_e32 v160, v128, v172
	v_fmac_f32_e32 v146, v9, v168
	v_fma_f32 v147, v8, v168, -v147
	s_clause 0x4
	buffer_load_dword v164, off, s[0:3], 0 offset:348
	buffer_load_dword v165, off, s[0:3], 0 offset:360
	;; [unrolled: 1-line block ×5, first 2 shown]
	v_mul_f32_e32 v162, v129, v172
	s_waitcnt vmcnt(30)
	v_mul_f32_e32 v171, v131, v173
	v_fmac_f32_e32 v160, v129, v167
	v_add_f32_e32 v2, 0, v2
	v_mul_f32_e32 v170, v130, v173
	v_fma_f32 v162, v128, v167, -v162
	s_waitcnt vmcnt(26)
	v_fma_f32 v167, v130, v177, -v171
	s_waitcnt vmcnt(25) lgkmcnt(0)
	v_mul_f32_e32 v171, v132, v178
	v_mul_f32_e32 v128, v133, v178
	v_add_f32_e32 v2, v2, v189
	ds_read2_b64 v[6:9], v1 offset0:91 offset1:92
	s_clause 0x1
	buffer_load_dword v172, off, s[0:3], 0 offset:356
	buffer_load_dword v173, off, s[0:3], 0 offset:364
	v_fmac_f32_e32 v171, v133, v176
	v_fma_f32 v176, v132, v176, -v128
	v_add_f32_e32 v128, 0, v188
	v_add_f32_e32 v2, v2, v190
	v_fmac_f32_e32 v170, v131, v177
	s_waitcnt vmcnt(26)
	v_mul_f32_e32 v177, v134, v179
	v_mul_f32_e32 v129, v135, v179
	v_add_f32_e32 v3, v128, v3
	v_add_f32_e32 v2, v2, v148
	s_clause 0x4
	buffer_load_dword v178, off, s[0:3], 0 offset:372
	buffer_load_dword v179, off, s[0:3], 0 offset:380
	buffer_load_dword v194, off, s[0:3], 0 offset:388
	buffer_load_dword v188, off, s[0:3], 0 offset:396
	buffer_load_dword v195, off, s[0:3], 0 offset:404
	v_add_f32_e32 v3, v3, v10
	s_clause 0x5
	buffer_load_dword v196, off, s[0:3], 0 offset:412
	buffer_load_dword v197, off, s[0:3], 0 offset:420
	buffer_load_dword v198, off, s[0:3], 0 offset:428
	buffer_load_dword v189, off, s[0:3], 0 offset:436
	buffer_load_dword v10, off, s[0:3], 0 offset:444
	buffer_load_dword v190, off, s[0:3], 0 offset:452
	v_add_f32_e32 v3, v3, v11
	v_add_f32_e32 v2, v2, v12
	s_waitcnt vmcnt(36) lgkmcnt(0)
	v_mul_f32_e32 v202, v6, v180
	v_mul_f32_e32 v128, v7, v180
	v_fmac_f32_e32 v177, v135, v175
	v_add_f32_e32 v3, v3, v149
	s_clause 0x3
	buffer_load_dword v11, off, s[0:3], 0 offset:392
	buffer_load_dword v12, off, s[0:3], 0 offset:384
	;; [unrolled: 1-line block ×4, first 2 shown]
	v_add_f32_e32 v2, v2, v153
	v_fma_f32 v175, v134, v175, -v129
	v_fmac_f32_e32 v202, v7, v174
	v_add_f32_e32 v3, v3, v151
	v_add_f32_e32 v2, v2, v155
	s_clause 0x3
	buffer_load_dword v151, off, s[0:3], 0 offset:424
	buffer_load_dword v153, off, s[0:3], 0 offset:416
	;; [unrolled: 1-line block ×4, first 2 shown]
	v_add_f32_e32 v3, v3, v136
	v_add_f32_e32 v2, v2, v152
	s_clause 0x2
	buffer_load_dword v152, off, s[0:3], 0 offset:448
	buffer_load_dword v200, off, s[0:3], 0 offset:440
	;; [unrolled: 1-line block ×3, first 2 shown]
	ds_read2_b64 v[132:135], v1 offset0:97 offset1:98
	v_add_f32_e32 v3, v3, v137
	v_add_f32_e32 v2, v2, v154
	buffer_load_dword v154, off, s[0:3], 0 offset:112
	v_add_f32_e32 v3, v3, v138
	v_add_f32_e32 v2, v2, v157
	v_fma_f32 v157, v6, v174, -v128
	ds_read2_b64 v[128:131], v1 offset0:93 offset1:94
	v_add_f32_e32 v3, v3, v139
	s_waitcnt vmcnt(47)
	v_mul_f32_e32 v174, v8, v181
	v_add_f32_e32 v2, v2, v140
	v_mul_f32_e32 v6, v9, v181
	v_add_f32_e32 v3, v3, v141
	s_waitcnt vmcnt(40)
	v_fmac_f32_e32 v174, v9, v186
	v_add_f32_e32 v2, v2, v142
	v_fma_f32 v180, v8, v186, -v6
	ds_read2_b64 v[6:9], v1 offset0:95 offset1:96
	v_add_f32_e32 v3, v3, v143
	v_add_f32_e32 v2, v2, v144
	;; [unrolled: 1-line block ×4, first 2 shown]
	s_waitcnt lgkmcnt(1)
	v_mul_f32_e32 v144, v128, v182
	v_add_f32_e32 v3, v3, v147
	v_mul_f32_e32 v136, v129, v182
	v_add_f32_e32 v2, v2, v160
	v_mul_f32_e32 v160, v130, v183
	v_fmac_f32_e32 v144, v129, v185
	v_add_f32_e32 v3, v3, v162
	v_fma_f32 v145, v128, v185, -v136
	ds_read2_b64 v[136:139], v1 offset0:99 offset1:100
	v_add_f32_e32 v2, v2, v170
	s_waitcnt lgkmcnt(1)
	v_mul_f32_e32 v129, v7, v184
	v_add_f32_e32 v3, v3, v167
	v_mul_f32_e32 v162, v6, v184
	v_mul_f32_e32 v128, v131, v183
	v_add_f32_e32 v2, v2, v171
	v_fma_f32 v170, v6, v4, -v129
	v_add_f32_e32 v3, v3, v176
	v_fmac_f32_e32 v162, v7, v4
	v_fma_f32 v146, v130, v5, -v128
	v_add_f32_e32 v7, v2, v177
	v_fmac_f32_e32 v160, v131, v5
	v_add_f32_e32 v6, v3, v175
	ds_read2_b64 v[2:5], v1 offset0:101 offset1:102
	ds_read2_b64 v[128:131], v1 offset0:103 offset1:104
	s_waitcnt vmcnt(38)
	v_mul_f32_e32 v167, v8, v150
	v_mul_f32_e32 v140, v9, v150
	s_waitcnt vmcnt(37)
	v_mul_f32_e32 v150, v132, v156
	v_mul_f32_e32 v141, v133, v156
	;; [unrolled: 3-line block ×3, first 2 shown]
	s_waitcnt vmcnt(35) lgkmcnt(2)
	v_mul_f32_e32 v158, v136, v159
	s_waitcnt vmcnt(32)
	v_fmac_f32_e32 v150, v133, v192
	v_add_f32_e32 v133, v6, v157
	v_fma_f32 v157, v132, v192, -v141
	v_add_f32_e32 v132, v7, v202
	v_fmac_f32_e32 v158, v137, v163
	s_waitcnt vmcnt(31)
	v_fma_f32 v156, v8, v193, -v140
	v_add_f32_e32 v133, v133, v180
	v_fmac_f32_e32 v167, v9, v193
	v_add_f32_e32 v132, v132, v174
	v_fmac_f32_e32 v171, v135, v191
	s_waitcnt vmcnt(30)
	v_mul_f32_e32 v174, v138, v161
	v_add_f32_e32 v133, v133, v145
	v_mul_f32_e32 v145, v137, v159
	v_mul_f32_e32 v159, v139, v161
	v_fma_f32 v161, v134, v191, -v147
	ds_read2_b64 v[6:9], v1 offset0:105 offset1:106
	ds_read2_b64 v[140:143], v1 offset0:107 offset1:108
	v_add_f32_e32 v175, v133, v146
	v_fma_f32 v163, v136, v163, -v145
	v_add_f32_e32 v136, v132, v144
	ds_read2_b64 v[132:135], v1 offset0:109 offset1:110
	ds_read2_b64 v[144:147], v1 offset0:111 offset1:112
	v_add_f32_e32 v160, v136, v160
	s_waitcnt vmcnt(25)
	v_fmac_f32_e32 v174, v139, v169
	v_fma_f32 v159, v138, v169, -v159
	v_add_f32_e32 v169, v175, v170
	ds_read2_b64 v[136:139], v1 offset0:113 offset1:114
	v_add_f32_e32 v160, v160, v162
	s_waitcnt lgkmcnt(6)
	v_mul_f32_e32 v1, v2, v164
	v_mul_f32_e32 v164, v3, v164
	v_add_f32_e32 v156, v169, v156
	v_add_f32_e32 v160, v160, v167
	v_fmac_f32_e32 v1, v3, v168
	s_waitcnt vmcnt(24)
	v_mul_f32_e32 v170, v5, v172
	v_add_f32_e32 v156, v156, v157
	v_fma_f32 v2, v2, v168, -v164
	v_add_f32_e32 v150, v160, v150
	v_mul_f32_e32 v162, v4, v172
	v_fma_f32 v4, v4, v166, -v170
	v_add_f32_e32 v156, v156, v161
	s_waitcnt vmcnt(23) lgkmcnt(5)
	v_mul_f32_e32 v169, v128, v173
	v_add_f32_e32 v150, v150, v171
	v_fmac_f32_e32 v162, v5, v166
	s_waitcnt vmcnt(22)
	v_mul_f32_e32 v5, v131, v178
	v_add_f32_e32 v156, v156, v163
	v_mul_f32_e32 v167, v130, v178
	v_add_f32_e32 v150, v150, v158
	v_fmac_f32_e32 v169, v129, v165
	s_waitcnt vmcnt(21) lgkmcnt(4)
	v_mul_f32_e32 v172, v6, v179
	v_add_f32_e32 v156, v156, v159
	v_mul_f32_e32 v159, v129, v173
	v_add_f32_e32 v150, v150, v174
	s_waitcnt vmcnt(20)
	v_mul_f32_e32 v157, v8, v194
	s_waitcnt vmcnt(19) lgkmcnt(3)
	v_mul_f32_e32 v160, v140, v188
	v_add_f32_e32 v2, v156, v2
	v_fma_f32 v128, v128, v165, -v159
	v_add_f32_e32 v1, v150, v1
	s_waitcnt vmcnt(10)
	v_fmac_f32_e32 v157, v9, v12
	s_waitcnt vmcnt(9)
	v_fmac_f32_e32 v172, v7, v148
	v_add_f32_e32 v2, v2, v4
	v_mul_f32_e32 v4, v7, v179
	v_add_f32_e32 v1, v1, v162
	s_waitcnt vmcnt(8)
	v_fma_f32 v5, v130, v149, -v5
	v_fmac_f32_e32 v167, v131, v149
	v_add_f32_e32 v2, v2, v128
	v_mul_f32_e32 v128, v9, v194
	v_add_f32_e32 v1, v1, v169
	v_fma_f32 v4, v6, v148, -v4
	v_mul_f32_e32 v175, v142, v195
	v_add_f32_e32 v2, v2, v5
	v_mul_f32_e32 v5, v141, v188
	v_add_f32_e32 v1, v1, v167
	v_fma_f32 v6, v8, v12, -v128
	v_fmac_f32_e32 v160, v141, v11
	v_add_f32_e32 v2, v2, v4
	v_mul_f32_e32 v4, v143, v195
	v_add_f32_e32 v1, v1, v172
	v_fma_f32 v5, v140, v11, -v5
	s_waitcnt lgkmcnt(2)
	v_mul_f32_e32 v161, v132, v196
	v_add_f32_e32 v2, v2, v6
	v_mul_f32_e32 v6, v133, v196
	v_add_f32_e32 v1, v1, v157
	s_waitcnt vmcnt(4)
	v_fma_f32 v4, v142, v199, -v4
	v_fmac_f32_e32 v175, v143, v199
	v_add_f32_e32 v2, v2, v5
	v_mul_f32_e32 v5, v135, v197
	v_add_f32_e32 v1, v1, v160
	v_fma_f32 v6, v132, v155, -v6
	v_mul_f32_e32 v171, v134, v197
	v_add_f32_e32 v2, v2, v4
	v_fmac_f32_e32 v161, v133, v155
	v_add_f32_e32 v1, v1, v175
	s_waitcnt lgkmcnt(1)
	v_mul_f32_e32 v4, v145, v198
	v_fma_f32 v5, v134, v153, -v5
	v_add_f32_e32 v2, v2, v6
	v_mul_f32_e32 v176, v144, v198
	v_fmac_f32_e32 v171, v135, v153
	v_add_f32_e32 v1, v1, v161
	v_mul_f32_e32 v6, v147, v189
	v_fma_f32 v4, v144, v151, -v4
	v_add_f32_e32 v2, v2, v5
	v_mul_f32_e32 v163, v146, v189
	v_fmac_f32_e32 v176, v145, v151
	v_add_f32_e32 v1, v1, v171
	s_waitcnt lgkmcnt(0)
	v_mul_f32_e32 v5, v137, v10
	s_waitcnt vmcnt(1)
	v_fma_f32 v6, v146, v201, -v6
	v_add_f32_e32 v2, v2, v4
	v_mul_f32_e32 v158, v136, v10
	v_fmac_f32_e32 v163, v147, v201
	v_add_f32_e32 v1, v1, v176
	v_mul_f32_e32 v4, v139, v190
	v_fma_f32 v5, v136, v200, -v5
	v_add_f32_e32 v2, v2, v6
	v_mul_f32_e32 v3, v138, v190
	v_fmac_f32_e32 v158, v137, v200
	v_add_f32_e32 v1, v1, v163
	v_fma_f32 v4, v138, v152, -v4
	v_add_f32_e32 v2, v2, v5
	v_fmac_f32_e32 v3, v139, v152
	v_add_f32_e32 v1, v1, v158
	v_add_f32_e32 v2, v2, v4
	;; [unrolled: 1-line block ×3, first 2 shown]
	s_waitcnt vmcnt(0)
	v_sub_f32_e32 v2, v154, v2
	v_sub_f32_e32 v1, v187, v1
	buffer_store_dword v2, off, s[0:3], 0 offset:112
	buffer_store_dword v1, off, s[0:3], 0 offset:116
	v_cmpx_lt_u32_e32 13, v0
	s_cbranch_execz .LBB56_329
; %bb.328:
	s_clause 0x1
	buffer_load_dword v1, off, s[0:3], 0 offset:104
	buffer_load_dword v2, off, s[0:3], 0 offset:108
	v_mov_b32_e32 v3, 0
	buffer_store_dword v3, off, s[0:3], 0 offset:104
	buffer_store_dword v3, off, s[0:3], 0 offset:108
	s_waitcnt vmcnt(0)
	ds_write_b64 v127, v[1:2]
.LBB56_329:
	s_or_b32 exec_lo, exec_lo, s4
	s_waitcnt lgkmcnt(0)
	s_waitcnt_vscnt null, 0x0
	s_barrier
	buffer_gl0_inv
	s_clause 0x25
	buffer_load_dword v2, off, s[0:3], 0 offset:116
	buffer_load_dword v1, off, s[0:3], 0 offset:124
	;; [unrolled: 1-line block ×38, first 2 shown]
	v_mov_b32_e32 v128, 0
	ds_read_b128 v[8:11], v128 offset:576
	ds_read_b128 v[129:132], v128 offset:592
	s_clause 0x7
	buffer_load_dword v175, off, s[0:3], 0 offset:268
	buffer_load_dword v176, off, s[0:3], 0 offset:276
	buffer_load_dword v177, off, s[0:3], 0 offset:284
	buffer_load_dword v178, off, s[0:3], 0 offset:292
	buffer_load_dword v4, off, s[0:3], 0 offset:288
	buffer_load_dword v5, off, s[0:3], 0 offset:280
	buffer_load_dword v179, off, s[0:3], 0 offset:272
	buffer_load_dword v180, off, s[0:3], 0 offset:264
	ds_read_b128 v[133:136], v128 offset:608
	s_clause 0x9
	buffer_load_dword v7, off, s[0:3], 0 offset:300
	buffer_load_dword v3, off, s[0:3], 0 offset:308
	;; [unrolled: 1-line block ×10, first 2 shown]
	ds_read_b128 v[137:140], v128 offset:624
	s_mov_b32 s4, exec_lo
	s_waitcnt vmcnt(55) lgkmcnt(3)
	v_mul_f32_e32 v189, v9, v2
	v_mul_f32_e32 v2, v8, v2
	s_waitcnt vmcnt(54)
	v_mul_f32_e32 v190, v10, v1
	v_mul_f32_e32 v1, v11, v1
	s_waitcnt vmcnt(51)
	v_fma_f32 v189, v8, v142, -v189
	v_fmac_f32_e32 v2, v9, v142
	v_fmac_f32_e32 v190, v11, v141
	v_fma_f32 v1, v10, v141, -v1
	ds_read_b128 v[8:11], v128 offset:640
	s_waitcnt vmcnt(50) lgkmcnt(3)
	v_mul_f32_e32 v142, v129, v143
	v_mul_f32_e32 v143, v130, v143
	s_waitcnt vmcnt(49)
	v_mul_f32_e32 v141, v131, v144
	v_mul_f32_e32 v144, v132, v144
	v_add_f32_e32 v2, 0, v2
	v_fmac_f32_e32 v142, v130, v12
	v_fma_f32 v12, v129, v12, -v143
	s_waitcnt vmcnt(48) lgkmcnt(2)
	v_mul_f32_e32 v143, v133, v145
	v_mul_f32_e32 v145, v134, v145
	s_waitcnt vmcnt(44)
	v_fmac_f32_e32 v141, v132, v149
	v_fma_f32 v144, v131, v149, -v144
	ds_read_b128 v[129:132], v128 offset:656
	s_waitcnt vmcnt(43)
	v_mul_f32_e32 v149, v135, v150
	v_mul_f32_e32 v150, v136, v150
	v_fmac_f32_e32 v143, v134, v148
	v_fma_f32 v145, v133, v148, -v145
	s_waitcnt vmcnt(42) lgkmcnt(2)
	v_mul_f32_e32 v148, v137, v151
	v_mul_f32_e32 v151, v138, v151
	v_fmac_f32_e32 v149, v136, v147
	v_fma_f32 v147, v135, v147, -v150
	ds_read_b128 v[133:136], v128 offset:672
	s_waitcnt vmcnt(41)
	v_mul_f32_e32 v150, v139, v152
	v_mul_f32_e32 v152, v140, v152
	v_fmac_f32_e32 v148, v138, v146
	v_fma_f32 v146, v137, v146, -v151
	s_waitcnt vmcnt(40) lgkmcnt(2)
	v_mul_f32_e32 v151, v8, v153
	s_waitcnt vmcnt(36)
	v_fmac_f32_e32 v150, v140, v157
	v_fma_f32 v152, v139, v157, -v152
	ds_read_b128 v[137:140], v128 offset:688
	v_mul_f32_e32 v153, v9, v153
	s_waitcnt vmcnt(35)
	v_mul_f32_e32 v157, v10, v158
	v_mul_f32_e32 v158, v11, v158
	v_fmac_f32_e32 v151, v9, v156
	v_add_f32_e32 v2, v2, v190
	v_fma_f32 v153, v8, v156, -v153
	v_fmac_f32_e32 v157, v11, v155
	v_fma_f32 v155, v10, v155, -v158
	ds_read_b128 v[8:11], v128 offset:704
	s_waitcnt vmcnt(34) lgkmcnt(3)
	v_mul_f32_e32 v156, v129, v159
	v_mul_f32_e32 v159, v130, v159
	s_waitcnt vmcnt(33)
	v_mul_f32_e32 v158, v131, v160
	v_mul_f32_e32 v160, v132, v160
	v_add_f32_e32 v2, v2, v142
	v_fmac_f32_e32 v156, v130, v154
	v_fma_f32 v154, v129, v154, -v159
	s_waitcnt vmcnt(32) lgkmcnt(2)
	v_mul_f32_e32 v159, v133, v161
	v_mul_f32_e32 v129, v134, v161
	s_waitcnt vmcnt(27)
	v_mul_f32_e32 v161, v135, v166
	v_mul_f32_e32 v130, v136, v166
	v_fmac_f32_e32 v158, v132, v165
	v_fma_f32 v160, v131, v165, -v160
	s_waitcnt vmcnt(26) lgkmcnt(1)
	v_mul_f32_e32 v165, v137, v167
	v_mul_f32_e32 v131, v138, v167
	s_waitcnt vmcnt(25)
	v_mul_f32_e32 v166, v139, v168
	v_mul_f32_e32 v132, v140, v168
	v_fmac_f32_e32 v159, v134, v164
	v_fma_f32 v133, v133, v164, -v129
	v_fmac_f32_e32 v161, v136, v163
	v_fma_f32 v134, v135, v163, -v130
	s_clause 0x6
	buffer_load_dword v163, off, s[0:3], 0 offset:340
	buffer_load_dword v164, off, s[0:3], 0 offset:352
	buffer_load_dword v167, off, s[0:3], 0 offset:344
	buffer_load_dword v168, off, s[0:3], 0 offset:336
	buffer_load_dword v191, off, s[0:3], 0 offset:328
	buffer_load_dword v192, off, s[0:3], 0 offset:348
	buffer_load_dword v193, off, s[0:3], 0 offset:356
	v_add_f32_e32 v136, 0, v189
	v_fmac_f32_e32 v165, v138, v162
	v_fma_f32 v137, v137, v162, -v131
	s_waitcnt vmcnt(27) lgkmcnt(0)
	v_mul_f32_e32 v162, v8, v172
	v_mul_f32_e32 v135, v9, v172
	v_add_f32_e32 v1, v136, v1
	v_fmac_f32_e32 v166, v140, v171
	v_fma_f32 v138, v139, v171, -v132
	buffer_load_dword v171, off, s[0:3], 0 offset:364
	s_waitcnt vmcnt(27)
	v_mul_f32_e32 v172, v10, v173
	v_fmac_f32_e32 v162, v9, v170
	v_fma_f32 v170, v8, v170, -v135
	v_mul_f32_e32 v8, v11, v173
	v_add_f32_e32 v1, v1, v12
	ds_read_b128 v[129:132], v128 offset:720
	s_clause 0x2
	buffer_load_dword v189, off, s[0:3], 0 offset:372
	buffer_load_dword v194, off, s[0:3], 0 offset:380
	;; [unrolled: 1-line block ×3, first 2 shown]
	v_fmac_f32_e32 v172, v11, v169
	v_fma_f32 v12, v10, v169, -v8
	s_clause 0x1
	buffer_load_dword v169, off, s[0:3], 0 offset:396
	buffer_load_dword v190, off, s[0:3], 0 offset:404
	v_add_f32_e32 v1, v1, v144
	s_clause 0x9
	buffer_load_dword v195, off, s[0:3], 0 offset:412
	buffer_load_dword v196, off, s[0:3], 0 offset:420
	;; [unrolled: 1-line block ×10, first 2 shown]
	v_add_f32_e32 v2, v2, v141
	v_add_f32_e32 v1, v1, v145
	;; [unrolled: 1-line block ×6, first 2 shown]
	s_waitcnt vmcnt(41) lgkmcnt(0)
	v_mul_f32_e32 v141, v129, v174
	v_mul_f32_e32 v8, v130, v174
	s_waitcnt vmcnt(40)
	v_mul_f32_e32 v142, v131, v175
	v_add_f32_e32 v2, v2, v148
	v_add_f32_e32 v1, v1, v152
	s_clause 0x3
	buffer_load_dword v149, off, s[0:3], 0 offset:416
	buffer_load_dword v152, off, s[0:3], 0 offset:408
	;; [unrolled: 1-line block ×4, first 2 shown]
	v_fmac_f32_e32 v141, v130, v6
	v_fma_f32 v6, v129, v6, -v8
	v_add_f32_e32 v2, v2, v150
	v_add_f32_e32 v1, v1, v153
	v_mul_f32_e32 v129, v132, v175
	s_waitcnt vmcnt(37)
	v_fmac_f32_e32 v142, v132, v180
	v_add_f32_e32 v2, v2, v151
	v_add_f32_e32 v1, v1, v155
	s_clause 0x3
	buffer_load_dword v150, off, s[0:3], 0 offset:448
	buffer_load_dword v151, off, s[0:3], 0 offset:440
	;; [unrolled: 1-line block ×4, first 2 shown]
	ds_read_b128 v[8:11], v128 offset:736
	v_fma_f32 v143, v131, v180, -v129
	v_add_f32_e32 v2, v2, v157
	buffer_load_dword v157, off, s[0:3], 0 offset:104
	v_add_f32_e32 v1, v1, v154
	ds_read_b128 v[129:132], v128 offset:752
	v_add_f32_e32 v2, v2, v156
	v_add_f32_e32 v1, v1, v160
	v_add_f32_e32 v2, v2, v158
	v_add_f32_e32 v1, v1, v133
	v_add_f32_e32 v2, v2, v159
	v_add_f32_e32 v1, v1, v134
	ds_read_b128 v[133:136], v128 offset:768
	s_waitcnt lgkmcnt(2)
	v_mul_f32_e32 v145, v8, v176
	v_add_f32_e32 v2, v2, v161
	v_mul_f32_e32 v147, v10, v177
	v_add_f32_e32 v1, v1, v137
	v_mul_f32_e32 v137, v9, v176
	v_fmac_f32_e32 v145, v9, v179
	v_add_f32_e32 v2, v2, v165
	s_waitcnt lgkmcnt(1)
	v_mul_f32_e32 v9, v130, v178
	v_add_f32_e32 v1, v1, v138
	v_fma_f32 v146, v8, v179, -v137
	v_mul_f32_e32 v8, v11, v177
	v_add_f32_e32 v2, v2, v166
	ds_read_b128 v[137:140], v128 offset:784
	v_add_f32_e32 v1, v1, v170
	v_mul_f32_e32 v154, v129, v178
	v_fma_f32 v148, v10, v5, -v8
	v_add_f32_e32 v2, v2, v162
	v_fmac_f32_e32 v147, v11, v5
	v_add_f32_e32 v1, v1, v12
	s_waitcnt vmcnt(41)
	v_mul_f32_e32 v144, v132, v7
	v_fma_f32 v158, v129, v4, -v9
	v_add_f32_e32 v2, v2, v172
	v_mul_f32_e32 v12, v131, v7
	v_add_f32_e32 v1, v1, v6
	v_fmac_f32_e32 v154, v130, v4
	s_waitcnt vmcnt(40) lgkmcnt(1)
	v_mul_f32_e32 v156, v133, v3
	v_add_f32_e32 v2, v2, v141
	v_mul_f32_e32 v3, v134, v3
	v_add_f32_e32 v1, v1, v143
	s_waitcnt vmcnt(34)
	v_fma_f32 v159, v131, v186, -v144
	ds_read_b128 v[4:7], v128 offset:800
	ds_read_b128 v[8:11], v128 offset:816
	v_add_f32_e32 v2, v2, v142
	v_fmac_f32_e32 v12, v132, v186
	v_add_f32_e32 v1, v1, v146
	v_fma_f32 v3, v133, v185, -v3
	v_mul_f32_e32 v133, v136, v181
	v_add_f32_e32 v2, v2, v145
	v_fmac_f32_e32 v156, v134, v185
	v_add_f32_e32 v1, v1, v148
	v_mul_f32_e32 v160, v135, v181
	s_waitcnt lgkmcnt(2)
	v_mul_f32_e32 v134, v138, v182
	v_add_f32_e32 v2, v2, v147
	v_fma_f32 v166, v135, v184, -v133
	v_add_f32_e32 v158, v1, v158
	v_mul_f32_e32 v161, v137, v182
	v_fmac_f32_e32 v160, v136, v184
	v_add_f32_e32 v154, v2, v154
	s_waitcnt vmcnt(33)
	v_mul_f32_e32 v165, v140, v187
	v_add_f32_e32 v158, v158, v159
	v_fma_f32 v170, v137, v183, -v134
	v_mul_f32_e32 v162, v139, v187
	v_add_f32_e32 v12, v154, v12
	v_fmac_f32_e32 v161, v138, v183
	v_add_f32_e32 v3, v158, v3
	ds_read_b128 v[129:132], v128 offset:832
	ds_read_b128 v[141:144], v128 offset:848
	;; [unrolled: 1-line block ×4, first 2 shown]
	v_add_f32_e32 v12, v12, v156
	v_add_f32_e32 v3, v3, v166
	;; [unrolled: 1-line block ×5, first 2 shown]
	s_waitcnt vmcnt(31) lgkmcnt(5)
	v_mul_f32_e32 v159, v4, v163
	v_mul_f32_e32 v163, v5, v163
	s_waitcnt vmcnt(27)
	v_fma_f32 v165, v139, v191, -v165
	v_fmac_f32_e32 v162, v140, v191
	s_waitcnt vmcnt(26)
	v_mul_f32_e32 v172, v7, v192
	v_fma_f32 v4, v4, v168, -v163
	v_mul_f32_e32 v154, v6, v192
	v_add_f32_e32 v3, v3, v165
	v_fmac_f32_e32 v159, v5, v168
	v_add_f32_e32 v12, v12, v162
	s_waitcnt vmcnt(25) lgkmcnt(4)
	v_mul_f32_e32 v166, v9, v193
	v_fma_f32 v6, v6, v167, -v172
	v_add_f32_e32 v3, v3, v4
	v_mul_f32_e32 v158, v8, v193
	v_fmac_f32_e32 v154, v7, v167
	v_add_f32_e32 v4, v12, v159
	s_waitcnt vmcnt(24)
	v_mul_f32_e32 v162, v11, v171
	v_fma_f32 v8, v8, v164, -v166
	v_add_f32_e32 v3, v3, v6
	v_mul_f32_e32 v156, v10, v171
	v_fmac_f32_e32 v158, v9, v164
	v_add_f32_e32 v4, v4, v154
	s_waitcnt vmcnt(23) lgkmcnt(3)
	v_mul_f32_e32 v6, v130, v189
	v_add_f32_e32 v3, v3, v8
	v_mul_f32_e32 v5, v129, v189
	s_waitcnt vmcnt(22)
	v_mul_f32_e32 v8, v132, v194
	v_add_f32_e32 v4, v4, v158
	s_waitcnt vmcnt(10)
	v_fma_f32 v6, v129, v203, -v6
	s_waitcnt vmcnt(9)
	v_fma_f32 v9, v10, v204, -v162
	v_fmac_f32_e32 v156, v11, v204
	v_mul_f32_e32 v163, v131, v194
	v_fmac_f32_e32 v5, v130, v203
	v_fma_f32 v8, v131, v202, -v8
	v_add_f32_e32 v3, v3, v9
	v_add_f32_e32 v4, v4, v156
	s_waitcnt lgkmcnt(2)
	v_mul_f32_e32 v9, v142, v173
	v_mul_f32_e32 v160, v141, v173
	v_fmac_f32_e32 v163, v132, v202
	v_add_f32_e32 v3, v3, v6
	v_add_f32_e32 v4, v4, v5
	v_mul_f32_e32 v5, v144, v169
	v_fma_f32 v6, v141, v201, -v9
	v_mul_f32_e32 v7, v143, v169
	v_add_f32_e32 v3, v3, v8
	v_fmac_f32_e32 v160, v142, v201
	v_add_f32_e32 v4, v4, v163
	s_waitcnt lgkmcnt(1)
	v_mul_f32_e32 v8, v134, v190
	s_waitcnt vmcnt(5)
	v_fma_f32 v5, v143, v206, -v5
	v_add_f32_e32 v3, v3, v6
	ds_read_b128 v[137:140], v128 offset:896
	ds_read_b64 v[1:2], v128 offset:912
	v_mul_f32_e32 v167, v133, v190
	v_fmac_f32_e32 v7, v144, v206
	v_add_f32_e32 v4, v4, v160
	v_mul_f32_e32 v6, v136, v195
	v_fma_f32 v8, v133, v205, -v8
	v_add_f32_e32 v3, v3, v5
	v_mul_f32_e32 v161, v135, v195
	v_fmac_f32_e32 v167, v134, v205
	v_add_f32_e32 v4, v4, v7
	s_waitcnt lgkmcnt(2)
	v_mul_f32_e32 v5, v146, v196
	v_fma_f32 v6, v135, v152, -v6
	v_add_f32_e32 v3, v3, v8
	v_mul_f32_e32 v168, v145, v196
	v_fmac_f32_e32 v161, v136, v152
	v_add_f32_e32 v4, v4, v167
	v_mul_f32_e32 v7, v148, v197
	v_fma_f32 v5, v145, v149, -v5
	v_add_f32_e32 v3, v3, v6
	v_mul_f32_e32 v170, v147, v197
	v_fmac_f32_e32 v168, v146, v149
	v_add_f32_e32 v4, v4, v161
	s_waitcnt lgkmcnt(1)
	v_mul_f32_e32 v6, v138, v198
	s_waitcnt vmcnt(1)
	v_fma_f32 v7, v147, v155, -v7
	v_add_f32_e32 v3, v3, v5
	v_mul_f32_e32 v165, v137, v198
	v_fmac_f32_e32 v170, v148, v155
	v_add_f32_e32 v4, v4, v168
	v_mul_f32_e32 v5, v140, v199
	v_fma_f32 v6, v137, v153, -v6
	v_add_f32_e32 v3, v3, v7
	v_mul_f32_e32 v171, v139, v199
	v_fmac_f32_e32 v165, v138, v153
	v_add_f32_e32 v4, v4, v170
	s_waitcnt lgkmcnt(0)
	v_mul_f32_e32 v12, v1, v200
	v_mul_f32_e32 v7, v2, v200
	v_fma_f32 v5, v139, v151, -v5
	v_add_f32_e32 v3, v3, v6
	v_fmac_f32_e32 v171, v140, v151
	v_add_f32_e32 v4, v4, v165
	v_fmac_f32_e32 v12, v2, v150
	v_fma_f32 v1, v1, v150, -v7
	v_add_f32_e32 v2, v3, v5
	v_add_f32_e32 v3, v4, v171
	;; [unrolled: 1-line block ×4, first 2 shown]
	s_waitcnt vmcnt(0)
	v_sub_f32_e32 v1, v157, v1
	v_sub_f32_e32 v2, v188, v2
	buffer_store_dword v1, off, s[0:3], 0 offset:104
	buffer_store_dword v2, off, s[0:3], 0 offset:108
	v_cmpx_lt_u32_e32 12, v0
	s_cbranch_execz .LBB56_331
; %bb.330:
	s_clause 0x1
	buffer_load_dword v1, off, s[0:3], 0 offset:96
	buffer_load_dword v2, off, s[0:3], 0 offset:100
	buffer_store_dword v128, off, s[0:3], 0 offset:96
	buffer_store_dword v128, off, s[0:3], 0 offset:100
	s_waitcnt vmcnt(0)
	ds_write_b64 v127, v[1:2]
.LBB56_331:
	s_or_b32 exec_lo, exec_lo, s4
	s_waitcnt lgkmcnt(0)
	s_waitcnt_vscnt null, 0x0
	s_barrier
	buffer_gl0_inv
	s_clause 0x2b
	buffer_load_dword v149, off, s[0:3], 0 offset:108
	buffer_load_dword v150, off, s[0:3], 0 offset:116
	;; [unrolled: 1-line block ×44, first 2 shown]
	ds_read2_b64 v[9:12], v128 offset0:71 offset1:72
	s_clause 0x1
	buffer_load_dword v177, off, s[0:3], 0 offset:276
	buffer_load_dword v171, off, s[0:3], 0 offset:284
	ds_read2_b64 v[5:8], v128 offset0:73 offset1:74
	ds_read2_b64 v[1:4], v128 offset0:75 offset1:76
	s_clause 0x7
	buffer_load_dword v172, off, s[0:3], 0 offset:292
	buffer_load_dword v161, off, s[0:3], 0 offset:300
	;; [unrolled: 1-line block ×8, first 2 shown]
	ds_read2_b64 v[178:181], v128 offset0:77 offset1:78
	buffer_load_dword v189, off, s[0:3], 0 offset:100
	s_mov_b32 s4, exec_lo
	s_waitcnt vmcnt(54) lgkmcnt(3)
	v_mul_f32_e32 v187, v9, v149
	s_waitcnt vmcnt(53)
	v_mul_f32_e32 v188, v11, v150
	v_mul_f32_e32 v149, v10, v149
	;; [unrolled: 1-line block ×3, first 2 shown]
	s_waitcnt vmcnt(50)
	v_fmac_f32_e32 v187, v10, v135
	v_fmac_f32_e32 v188, v12, v134
	v_fma_f32 v135, v9, v135, -v149
	v_fma_f32 v134, v11, v134, -v150
	ds_read2_b64 v[9:12], v128 offset0:79 offset1:80
	s_waitcnt vmcnt(49) lgkmcnt(3)
	v_mul_f32_e32 v149, v5, v132
	v_mul_f32_e32 v132, v6, v132
	s_waitcnt vmcnt(48)
	v_mul_f32_e32 v150, v7, v131
	v_mul_f32_e32 v131, v8, v131
	s_waitcnt vmcnt(47) lgkmcnt(2)
	v_mul_f32_e32 v190, v1, v130
	v_fmac_f32_e32 v149, v6, v129
	v_fma_f32 v191, v5, v129, -v132
	s_waitcnt vmcnt(46)
	v_mul_f32_e32 v192, v3, v133
	v_mul_f32_e32 v129, v2, v130
	;; [unrolled: 1-line block ×3, first 2 shown]
	s_waitcnt vmcnt(42)
	v_fmac_f32_e32 v150, v8, v141
	v_fma_f32 v133, v7, v141, -v131
	ds_read2_b64 v[5:8], v128 offset0:81 offset1:82
	v_fmac_f32_e32 v190, v2, v140
	v_fmac_f32_e32 v192, v4, v138
	v_fma_f32 v140, v1, v140, -v129
	v_fma_f32 v138, v3, v138, -v130
	ds_read2_b64 v[1:4], v128 offset0:83 offset1:84
	s_waitcnt vmcnt(41) lgkmcnt(3)
	v_mul_f32_e32 v141, v178, v139
	v_mul_f32_e32 v129, v179, v139
	s_waitcnt vmcnt(40)
	v_mul_f32_e32 v139, v180, v137
	v_mul_f32_e32 v130, v181, v137
	s_waitcnt vmcnt(39) lgkmcnt(2)
	v_mul_f32_e32 v137, v9, v142
	v_fmac_f32_e32 v141, v179, v136
	v_fma_f32 v136, v178, v136, -v129
	s_waitcnt vmcnt(34)
	v_fmac_f32_e32 v139, v181, v151
	v_fma_f32 v151, v180, v151, -v130
	ds_read2_b64 v[129:132], v128 offset0:85 offset1:86
	v_mul_f32_e32 v178, v11, v143
	v_mul_f32_e32 v143, v12, v143
	;; [unrolled: 1-line block ×3, first 2 shown]
	v_fmac_f32_e32 v137, v10, v148
	s_waitcnt vmcnt(32) lgkmcnt(2)
	v_mul_f32_e32 v179, v7, v145
	v_fmac_f32_e32 v178, v12, v146
	v_fma_f32 v143, v11, v146, -v143
	v_mul_f32_e32 v146, v5, v147
	v_mul_f32_e32 v147, v6, v147
	;; [unrolled: 1-line block ×3, first 2 shown]
	v_fma_f32 v142, v9, v148, -v142
	ds_read2_b64 v[9:12], v128 offset0:87 offset1:88
	v_fmac_f32_e32 v146, v6, v144
	v_fma_f32 v144, v5, v144, -v147
	s_waitcnt vmcnt(31) lgkmcnt(2)
	v_mul_f32_e32 v147, v1, v152
	v_mul_f32_e32 v5, v2, v152
	buffer_load_dword v148, off, s[0:3], 0 offset:324
	s_waitcnt vmcnt(28)
	v_fmac_f32_e32 v179, v8, v165
	v_fma_f32 v145, v7, v165, -v145
	s_clause 0x3
	buffer_load_dword v152, off, s[0:3], 0 offset:344
	buffer_load_dword v165, off, s[0:3], 0 offset:336
	;; [unrolled: 1-line block ×4, first 2 shown]
	s_waitcnt vmcnt(31)
	v_mul_f32_e32 v193, v3, v164
	v_mul_f32_e32 v6, v4, v164
	v_fmac_f32_e32 v147, v2, v159
	v_fma_f32 v159, v1, v159, -v5
	s_waitcnt vmcnt(30) lgkmcnt(1)
	v_mul_f32_e32 v164, v129, v156
	s_waitcnt vmcnt(29)
	v_mul_f32_e32 v194, v131, v157
	v_mul_f32_e32 v1, v130, v156
	v_mul_f32_e32 v2, v132, v157
	s_clause 0x2
	buffer_load_dword v156, off, s[0:3], 0 offset:332
	buffer_load_dword v157, off, s[0:3], 0 offset:340
	buffer_load_dword v195, off, s[0:3], 0 offset:348
	v_fmac_f32_e32 v193, v4, v155
	v_fma_f32 v155, v3, v155, -v6
	v_fmac_f32_e32 v164, v130, v153
	v_fma_f32 v129, v129, v153, -v1
	s_waitcnt vmcnt(28)
	v_fma_f32 v130, v131, v176, -v2
	ds_read2_b64 v[1:4], v128 offset0:89 offset1:90
	s_waitcnt vmcnt(27) lgkmcnt(1)
	v_mul_f32_e32 v5, v10, v174
	v_add_f32_e32 v6, 0, v187
	v_fmac_f32_e32 v194, v132, v176
	v_add_f32_e32 v7, 0, v135
	v_mul_f32_e32 v131, v9, v174
	v_fma_f32 v132, v9, v170, -v5
	v_add_f32_e32 v5, v6, v188
	s_waitcnt vmcnt(26)
	v_mul_f32_e32 v153, v11, v173
	v_add_f32_e32 v6, v7, v134
	v_mul_f32_e32 v8, v12, v173
	v_fmac_f32_e32 v131, v10, v170
	v_add_f32_e32 v5, v5, v149
	s_clause 0x3
	buffer_load_dword v170, off, s[0:3], 0 offset:356
	buffer_load_dword v173, off, s[0:3], 0 offset:364
	;; [unrolled: 1-line block ×4, first 2 shown]
	v_add_f32_e32 v6, v6, v191
	v_fmac_f32_e32 v153, v12, v168
	v_fma_f32 v134, v11, v168, -v8
	v_add_f32_e32 v5, v5, v150
	s_clause 0x3
	buffer_load_dword v149, off, s[0:3], 0 offset:388
	buffer_load_dword v168, off, s[0:3], 0 offset:396
	buffer_load_dword v187, off, s[0:3], 0 offset:404
	buffer_load_dword v188, off, s[0:3], 0 offset:412
	v_add_f32_e32 v6, v6, v133
	s_waitcnt vmcnt(33) lgkmcnt(0)
	v_mul_f32_e32 v133, v1, v166
	v_mul_f32_e32 v7, v2, v166
	v_add_f32_e32 v5, v5, v190
	s_clause 0x3
	buffer_load_dword v150, off, s[0:3], 0 offset:420
	buffer_load_dword v191, off, s[0:3], 0 offset:428
	;; [unrolled: 1-line block ×4, first 2 shown]
	v_add_f32_e32 v6, v6, v140
	buffer_load_dword v166, off, s[0:3], 0 offset:452
	v_fmac_f32_e32 v133, v2, v162
	v_fma_f32 v135, v1, v162, -v7
	v_add_f32_e32 v5, v5, v192
	s_clause 0x3
	buffer_load_dword v162, off, s[0:3], 0 offset:376
	buffer_load_dword v190, off, s[0:3], 0 offset:368
	buffer_load_dword v192, off, s[0:3], 0 offset:360
	buffer_load_dword v198, off, s[0:3], 0 offset:352
	v_add_f32_e32 v1, v6, v138
	v_add_f32_e32 v5, v5, v141
	;; [unrolled: 1-line block ×3, first 2 shown]
	s_waitcnt vmcnt(41)
	v_mul_f32_e32 v136, v3, v160
	v_mul_f32_e32 v1, v4, v160
	v_add_f32_e32 v5, v5, v139
	v_add_f32_e32 v6, v6, v151
	s_waitcnt vmcnt(37)
	v_fmac_f32_e32 v136, v4, v175
	v_fma_f32 v138, v3, v175, -v1
	ds_read2_b64 v[1:4], v128 offset0:91 offset1:92
	s_clause 0x3
	buffer_load_dword v151, off, s[0:3], 0 offset:408
	buffer_load_dword v160, off, s[0:3], 0 offset:400
	;; [unrolled: 1-line block ×4, first 2 shown]
	v_add_f32_e32 v6, v6, v142
	v_add_f32_e32 v5, v5, v137
	;; [unrolled: 1-line block ×4, first 2 shown]
	ds_read2_b64 v[5:8], v128 offset0:93 offset1:94
	v_add_f32_e32 v9, v9, v144
	v_add_f32_e32 v10, v10, v146
	s_waitcnt vmcnt(40) lgkmcnt(1)
	v_mul_f32_e32 v137, v1, v169
	v_mul_f32_e32 v11, v2, v169
	s_waitcnt vmcnt(39)
	v_mul_f32_e32 v141, v3, v177
	v_fmac_f32_e32 v137, v2, v167
	v_fma_f32 v139, v1, v167, -v11
	v_add_f32_e32 v1, v9, v145
	s_clause 0x3
	buffer_load_dword v145, off, s[0:3], 0 offset:440
	buffer_load_dword v146, off, s[0:3], 0 offset:432
	;; [unrolled: 1-line block ×4, first 2 shown]
	v_add_f32_e32 v2, v10, v179
	v_mul_f32_e32 v9, v4, v177
	v_fmac_f32_e32 v141, v4, v163
	v_add_f32_e32 v1, v1, v159
	buffer_load_dword v159, off, s[0:3], 0 offset:448
	v_add_f32_e32 v2, v2, v147
	buffer_load_dword v147, off, s[0:3], 0 offset:96
	v_fma_f32 v142, v3, v163, -v9
	v_add_f32_e32 v1, v1, v155
	s_waitcnt vmcnt(44) lgkmcnt(0)
	v_mul_f32_e32 v143, v5, v171
	v_add_f32_e32 v10, v2, v193
	s_waitcnt vmcnt(43)
	v_mul_f32_e32 v144, v7, v172
	v_mul_f32_e32 v155, v8, v172
	v_add_f32_e32 v129, v1, v129
	ds_read2_b64 v[1:4], v128 offset0:95 offset1:96
	v_add_f32_e32 v140, v10, v164
	ds_read2_b64 v[9:12], v128 offset0:97 offset1:98
	v_fmac_f32_e32 v143, v6, v154
	v_add_f32_e32 v129, v129, v130
	v_mul_f32_e32 v130, v6, v171
	v_add_f32_e32 v140, v140, v194
	s_waitcnt vmcnt(36)
	v_fmac_f32_e32 v144, v8, v186
	v_fma_f32 v155, v7, v186, -v155
	v_add_f32_e32 v163, v129, v132
	v_fma_f32 v154, v5, v154, -v130
	v_add_f32_e32 v140, v140, v131
	ds_read2_b64 v[5:8], v128 offset0:99 offset1:100
	ds_read2_b64 v[129:132], v128 offset0:101 offset1:102
	v_add_f32_e32 v134, v163, v134
	v_add_f32_e32 v140, v140, v153
	;; [unrolled: 1-line block ×3, first 2 shown]
	s_waitcnt lgkmcnt(3)
	v_mul_f32_e32 v163, v1, v161
	v_add_f32_e32 v133, v140, v133
	v_mul_f32_e32 v161, v2, v161
	v_mul_f32_e32 v153, v3, v158
	v_add_f32_e32 v138, v134, v138
	v_mul_f32_e32 v158, v4, v158
	v_add_f32_e32 v172, v133, v136
	v_fma_f32 v161, v1, v185, -v161
	v_fmac_f32_e32 v163, v2, v185
	v_add_f32_e32 v178, v138, v139
	s_waitcnt lgkmcnt(2)
	v_mul_f32_e32 v140, v10, v182
	v_add_f32_e32 v172, v172, v137
	v_fma_f32 v158, v3, v184, -v158
	v_mul_f32_e32 v164, v9, v182
	v_add_f32_e32 v142, v178, v142
	v_fmac_f32_e32 v153, v4, v184
	v_add_f32_e32 v141, v172, v141
	v_fma_f32 v177, v9, v183, -v140
	v_fmac_f32_e32 v164, v10, v183
	ds_read2_b64 v[1:4], v128 offset0:103 offset1:104
	ds_read2_b64 v[133:136], v128 offset0:105 offset1:106
	v_add_f32_e32 v141, v141, v143
	s_waitcnt vmcnt(34)
	v_mul_f32_e32 v171, v11, v148
	v_mul_f32_e32 v148, v12, v148
	s_waitcnt vmcnt(30)
	v_fmac_f32_e32 v171, v12, v181
	v_fma_f32 v148, v11, v181, -v148
	ds_read2_b64 v[9:12], v128 offset0:107 offset1:108
	ds_read2_b64 v[137:140], v128 offset0:109 offset1:110
	s_waitcnt vmcnt(29) lgkmcnt(5)
	v_mul_f32_e32 v178, v5, v156
	v_mul_f32_e32 v156, v6, v156
	s_waitcnt vmcnt(28)
	v_mul_f32_e32 v172, v7, v157
	v_mul_f32_e32 v157, v8, v157
	v_fmac_f32_e32 v178, v6, v180
	v_add_f32_e32 v6, v142, v154
	v_fma_f32 v154, v5, v180, -v156
	v_fma_f32 v156, v7, v165, -v157
	v_add_f32_e32 v157, v141, v144
	v_fmac_f32_e32 v172, v8, v165
	v_add_f32_e32 v155, v6, v155
	ds_read2_b64 v[5:8], v128 offset0:111 offset1:112
	ds_read2_b64 v[141:144], v128 offset0:113 offset1:114
	s_waitcnt vmcnt(27) lgkmcnt(6)
	v_mul_f32_e32 v128, v129, v195
	v_add_f32_e32 v157, v157, v163
	v_add_f32_e32 v155, v155, v161
	v_mul_f32_e32 v161, v130, v195
	s_waitcnt vmcnt(26)
	v_mul_f32_e32 v165, v132, v170
	v_add_f32_e32 v153, v157, v153
	v_mul_f32_e32 v163, v131, v170
	v_add_f32_e32 v155, v155, v158
	v_fma_f32 v129, v129, v152, -v161
	v_fmac_f32_e32 v128, v130, v152
	v_add_f32_e32 v153, v153, v164
	s_waitcnt vmcnt(25) lgkmcnt(5)
	v_mul_f32_e32 v158, v1, v173
	v_add_f32_e32 v155, v155, v177
	s_waitcnt vmcnt(24)
	v_mul_f32_e32 v157, v3, v174
	s_waitcnt vmcnt(23) lgkmcnt(4)
	v_mul_f32_e32 v170, v133, v176
	v_add_f32_e32 v153, v153, v171
	s_waitcnt vmcnt(22)
	v_mul_f32_e32 v177, v135, v149
	v_add_f32_e32 v148, v155, v148
	s_waitcnt vmcnt(21) lgkmcnt(3)
	v_mul_f32_e32 v164, v9, v168
	s_waitcnt vmcnt(20)
	v_mul_f32_e32 v179, v11, v187
	v_add_f32_e32 v153, v153, v178
	s_waitcnt vmcnt(12)
	v_fmac_f32_e32 v157, v4, v190
	v_add_f32_e32 v148, v148, v154
	s_waitcnt vmcnt(10)
	v_fma_f32 v131, v131, v198, -v165
	v_fmac_f32_e32 v163, v132, v198
	v_add_f32_e32 v152, v153, v172
	v_mul_f32_e32 v153, v2, v173
	v_add_f32_e32 v148, v148, v156
	v_mul_f32_e32 v132, v4, v174
	v_fmac_f32_e32 v158, v2, v192
	v_add_f32_e32 v128, v152, v128
	v_fma_f32 v1, v1, v192, -v153
	v_add_f32_e32 v129, v148, v129
	v_fma_f32 v3, v3, v190, -v132
	v_mul_f32_e32 v4, v136, v149
	v_add_f32_e32 v128, v128, v163
	v_fmac_f32_e32 v170, v134, v162
	v_add_f32_e32 v2, v129, v131
	v_mul_f32_e32 v129, v134, v176
	s_waitcnt vmcnt(6)
	v_fma_f32 v4, v135, v199, -v4
	v_fmac_f32_e32 v177, v136, v199
	v_fmac_f32_e32 v164, v10, v175
	v_add_f32_e32 v1, v2, v1
	v_add_f32_e32 v2, v128, v158
	v_fma_f32 v128, v133, v162, -v129
	s_waitcnt lgkmcnt(2)
	v_mul_f32_e32 v155, v137, v188
	v_fmac_f32_e32 v179, v12, v160
	v_add_f32_e32 v1, v1, v3
	v_add_f32_e32 v2, v2, v157
	v_mul_f32_e32 v3, v10, v168
	v_mul_f32_e32 v171, v139, v150
	v_fmac_f32_e32 v155, v138, v151
	v_add_f32_e32 v1, v1, v128
	v_add_f32_e32 v2, v2, v170
	v_mul_f32_e32 v128, v12, v187
	v_fma_f32 v3, v9, v175, -v3
	s_waitcnt lgkmcnt(1)
	v_mul_f32_e32 v180, v5, v191
	v_add_f32_e32 v1, v1, v4
	v_add_f32_e32 v2, v2, v177
	v_mul_f32_e32 v4, v138, v188
	v_fma_f32 v9, v11, v160, -v128
	v_mul_f32_e32 v154, v7, v196
	v_add_f32_e32 v1, v1, v3
	v_add_f32_e32 v2, v2, v164
	v_mul_f32_e32 v3, v140, v150
	v_fma_f32 v4, v137, v151, -v4
	s_waitcnt vmcnt(2)
	v_fmac_f32_e32 v171, v140, v169
	v_add_f32_e32 v1, v1, v9
	v_add_f32_e32 v2, v2, v179
	v_mul_f32_e32 v9, v6, v191
	v_fma_f32 v3, v139, v169, -v3
	v_fmac_f32_e32 v180, v6, v167
	v_add_f32_e32 v1, v1, v4
	v_add_f32_e32 v2, v2, v155
	v_mul_f32_e32 v4, v8, v196
	v_fma_f32 v5, v5, v167, -v9
	s_waitcnt lgkmcnt(0)
	v_mul_f32_e32 v178, v141, v197
	v_add_f32_e32 v1, v1, v3
	v_add_f32_e32 v2, v2, v171
	v_mul_f32_e32 v3, v142, v197
	v_fma_f32 v4, v7, v146, -v4
	v_fmac_f32_e32 v154, v8, v146
	v_add_f32_e32 v1, v1, v5
	v_add_f32_e32 v2, v2, v180
	v_mul_f32_e32 v5, v144, v166
	v_fma_f32 v3, v141, v145, -v3
	v_mul_f32_e32 v130, v143, v166
	v_add_f32_e32 v1, v1, v4
	v_fmac_f32_e32 v178, v142, v145
	v_add_f32_e32 v2, v2, v154
	s_waitcnt vmcnt(1)
	v_fma_f32 v4, v143, v159, -v5
	v_fmac_f32_e32 v130, v144, v159
	v_add_f32_e32 v1, v1, v3
	v_add_f32_e32 v2, v2, v178
	;; [unrolled: 1-line block ×4, first 2 shown]
	s_waitcnt vmcnt(0)
	v_sub_f32_e32 v1, v147, v1
	v_sub_f32_e32 v2, v189, v2
	buffer_store_dword v1, off, s[0:3], 0 offset:96
	buffer_store_dword v2, off, s[0:3], 0 offset:100
	v_cmpx_lt_u32_e32 11, v0
	s_cbranch_execz .LBB56_333
; %bb.332:
	s_clause 0x1
	buffer_load_dword v1, off, s[0:3], 0 offset:88
	buffer_load_dword v2, off, s[0:3], 0 offset:92
	v_mov_b32_e32 v3, 0
	buffer_store_dword v3, off, s[0:3], 0 offset:88
	buffer_store_dword v3, off, s[0:3], 0 offset:92
	s_waitcnt vmcnt(0)
	ds_write_b64 v127, v[1:2]
.LBB56_333:
	s_or_b32 exec_lo, exec_lo, s4
	s_waitcnt lgkmcnt(0)
	s_waitcnt_vscnt null, 0x0
	s_barrier
	buffer_gl0_inv
	s_clause 0x2b
	buffer_load_dword v130, off, s[0:3], 0 offset:100
	buffer_load_dword v131, off, s[0:3], 0 offset:108
	;; [unrolled: 1-line block ×44, first 2 shown]
	v_mov_b32_e32 v128, 0
	ds_read_b128 v[9:12], v128 offset:560
	ds_read_b128 v[5:8], v128 offset:576
	s_clause 0x1
	buffer_load_dword v177, off, s[0:3], 0 offset:268
	buffer_load_dword v172, off, s[0:3], 0 offset:276
	ds_read_b128 v[1:4], v128 offset:592
	s_clause 0x9
	buffer_load_dword v171, off, s[0:3], 0 offset:284
	buffer_load_dword v159, off, s[0:3], 0 offset:292
	;; [unrolled: 1-line block ×10, first 2 shown]
	ds_read_b128 v[179:182], v128 offset:608
	s_mov_b32 s4, exec_lo
	s_waitcnt vmcnt(55) lgkmcnt(3)
	v_mul_f32_e32 v189, v9, v130
	v_mul_f32_e32 v130, v10, v130
	s_waitcnt vmcnt(54)
	v_mul_f32_e32 v190, v11, v131
	v_mul_f32_e32 v131, v12, v131
	s_waitcnt vmcnt(51)
	v_fmac_f32_e32 v189, v10, v136
	v_fma_f32 v136, v9, v136, -v130
	s_waitcnt vmcnt(50) lgkmcnt(2)
	v_mul_f32_e32 v191, v5, v135
	v_mul_f32_e32 v130, v6, v135
	v_fmac_f32_e32 v190, v12, v132
	v_fma_f32 v135, v11, v132, -v131
	ds_read_b128 v[9:12], v128 offset:624
	s_waitcnt vmcnt(49)
	v_mul_f32_e32 v192, v7, v133
	v_mul_f32_e32 v131, v8, v133
	v_fmac_f32_e32 v191, v6, v129
	v_fma_f32 v133, v5, v129, -v130
	s_waitcnt vmcnt(48) lgkmcnt(2)
	v_mul_f32_e32 v193, v1, v134
	v_mul_f32_e32 v129, v2, v134
	s_waitcnt vmcnt(44)
	v_fmac_f32_e32 v192, v8, v143
	v_fma_f32 v134, v7, v143, -v131
	ds_read_b128 v[5:8], v128 offset:640
	s_waitcnt vmcnt(43)
	v_mul_f32_e32 v143, v3, v142
	v_mul_f32_e32 v130, v4, v142
	v_fmac_f32_e32 v193, v2, v140
	v_fma_f32 v140, v1, v140, -v129
	s_waitcnt vmcnt(42) lgkmcnt(2)
	v_mul_f32_e32 v142, v179, v141
	v_mul_f32_e32 v129, v180, v141
	v_fmac_f32_e32 v143, v4, v138
	v_fma_f32 v138, v3, v138, -v130
	ds_read_b128 v[1:4], v128 offset:656
	s_waitcnt vmcnt(41)
	v_mul_f32_e32 v141, v181, v139
	v_mul_f32_e32 v130, v182, v139
	v_fmac_f32_e32 v142, v180, v137
	v_fma_f32 v137, v179, v137, -v129
	s_waitcnt vmcnt(40) lgkmcnt(2)
	v_mul_f32_e32 v139, v9, v144
	s_waitcnt vmcnt(36)
	v_fmac_f32_e32 v141, v182, v151
	v_fma_f32 v151, v181, v151, -v130
	ds_read_b128 v[129:132], v128 offset:672
	v_mul_f32_e32 v144, v10, v144
	s_waitcnt vmcnt(35)
	v_mul_f32_e32 v179, v11, v150
	v_mul_f32_e32 v150, v12, v150
	v_fmac_f32_e32 v139, v10, v148
	v_fma_f32 v144, v9, v148, -v144
	s_waitcnt vmcnt(34) lgkmcnt(2)
	v_mul_f32_e32 v148, v5, v149
	v_mul_f32_e32 v149, v6, v149
	v_fmac_f32_e32 v179, v12, v146
	v_fma_f32 v146, v11, v146, -v150
	s_waitcnt vmcnt(33)
	v_mul_f32_e32 v150, v7, v147
	v_mul_f32_e32 v147, v8, v147
	v_fmac_f32_e32 v148, v6, v145
	v_fma_f32 v145, v5, v145, -v149
	s_waitcnt vmcnt(32) lgkmcnt(1)
	v_mul_f32_e32 v149, v1, v152
	v_mul_f32_e32 v5, v2, v152
	ds_read_b128 v[9:12], v128 offset:688
	s_waitcnt vmcnt(28)
	v_fmac_f32_e32 v150, v8, v165
	v_fma_f32 v147, v7, v165, -v147
	s_clause 0x3
	buffer_load_dword v152, off, s[0:3], 0 offset:336
	buffer_load_dword v165, off, s[0:3], 0 offset:328
	;; [unrolled: 1-line block ×4, first 2 shown]
	s_waitcnt vmcnt(31)
	v_mul_f32_e32 v182, v3, v163
	v_mul_f32_e32 v6, v4, v163
	v_fmac_f32_e32 v149, v2, v161
	v_fma_f32 v161, v1, v161, -v5
	s_waitcnt vmcnt(30) lgkmcnt(1)
	v_mul_f32_e32 v163, v129, v157
	s_waitcnt vmcnt(29)
	v_mul_f32_e32 v194, v131, v158
	v_mul_f32_e32 v1, v130, v157
	;; [unrolled: 1-line block ×3, first 2 shown]
	s_clause 0x2
	buffer_load_dword v157, off, s[0:3], 0 offset:324
	buffer_load_dword v158, off, s[0:3], 0 offset:332
	;; [unrolled: 1-line block ×3, first 2 shown]
	v_fmac_f32_e32 v182, v4, v155
	v_fma_f32 v155, v3, v155, -v6
	v_fmac_f32_e32 v163, v130, v154
	v_fma_f32 v129, v129, v154, -v1
	s_waitcnt vmcnt(28)
	v_fma_f32 v130, v131, v176, -v2
	ds_read_b128 v[1:4], v128 offset:704
	v_add_f32_e32 v5, 0, v189
	s_waitcnt vmcnt(27) lgkmcnt(1)
	v_mul_f32_e32 v6, v10, v173
	v_add_f32_e32 v8, 0, v136
	v_fmac_f32_e32 v194, v132, v176
	v_mul_f32_e32 v131, v9, v173
	v_add_f32_e32 v5, v5, v190
	v_fma_f32 v136, v9, v170, -v6
	v_add_f32_e32 v6, v8, v135
	s_waitcnt vmcnt(26)
	v_mul_f32_e32 v132, v11, v174
	v_mul_f32_e32 v7, v12, v174
	v_add_f32_e32 v5, v5, v191
	v_fmac_f32_e32 v131, v10, v170
	v_add_f32_e32 v6, v6, v133
	v_fmac_f32_e32 v132, v12, v169
	v_fma_f32 v154, v11, v169, -v7
	v_add_f32_e32 v5, v5, v192
	s_clause 0x7
	buffer_load_dword v169, off, s[0:3], 0 offset:348
	buffer_load_dword v170, off, s[0:3], 0 offset:356
	;; [unrolled: 1-line block ×8, first 2 shown]
	v_add_f32_e32 v6, v6, v134
	s_clause 0x1
	buffer_load_dword v192, off, s[0:3], 0 offset:380
	buffer_load_dword v196, off, s[0:3], 0 offset:388
	s_waitcnt vmcnt(35) lgkmcnt(0)
	v_mul_f32_e32 v133, v1, v166
	v_mul_f32_e32 v7, v2, v166
	v_add_f32_e32 v5, v5, v193
	s_waitcnt vmcnt(34)
	v_mul_f32_e32 v135, v3, v162
	s_clause 0x1
	buffer_load_dword v166, off, s[0:3], 0 offset:396
	buffer_load_dword v193, off, s[0:3], 0 offset:404
	v_fmac_f32_e32 v133, v2, v164
	v_fma_f32 v134, v1, v164, -v7
	v_add_f32_e32 v1, v6, v140
	v_add_f32_e32 v2, v5, v143
	s_clause 0x3
	buffer_load_dword v164, off, s[0:3], 0 offset:412
	buffer_load_dword v197, off, s[0:3], 0 offset:420
	;; [unrolled: 1-line block ×4, first 2 shown]
	s_waitcnt vmcnt(36)
	v_fmac_f32_e32 v135, v4, v175
	buffer_load_dword v200, off, s[0:3], 0 offset:444
	v_add_f32_e32 v1, v1, v138
	v_add_f32_e32 v5, v2, v142
	v_mul_f32_e32 v2, v4, v162
	buffer_load_dword v162, off, s[0:3], 0 offset:452
	v_add_f32_e32 v6, v1, v137
	v_add_f32_e32 v5, v5, v141
	v_fma_f32 v137, v3, v175, -v2
	ds_read_b128 v[1:4], v128 offset:720
	v_add_f32_e32 v6, v6, v151
	v_add_f32_e32 v5, v5, v139
	s_clause 0x3
	buffer_load_dword v151, off, s[0:3], 0 offset:400
	buffer_load_dword v175, off, s[0:3], 0 offset:392
	;; [unrolled: 1-line block ×4, first 2 shown]
	v_add_f32_e32 v6, v6, v144
	v_add_f32_e32 v5, v5, v179
	;; [unrolled: 1-line block ×4, first 2 shown]
	ds_read_b128 v[5:8], v128 offset:736
	v_add_f32_e32 v9, v9, v145
	v_add_f32_e32 v10, v10, v150
	s_waitcnt vmcnt(41) lgkmcnt(1)
	v_mul_f32_e32 v138, v1, v168
	v_mul_f32_e32 v11, v2, v168
	s_waitcnt vmcnt(40)
	v_mul_f32_e32 v140, v3, v177
	v_fmac_f32_e32 v138, v2, v167
	v_fma_f32 v139, v1, v167, -v11
	v_add_f32_e32 v1, v9, v147
	v_add_f32_e32 v2, v10, v149
	s_clause 0x3
	buffer_load_dword v147, off, s[0:3], 0 offset:432
	buffer_load_dword v148, off, s[0:3], 0 offset:424
	;; [unrolled: 1-line block ×4, first 2 shown]
	v_mul_f32_e32 v9, v4, v177
	v_fmac_f32_e32 v140, v4, v160
	v_add_f32_e32 v1, v1, v161
	s_clause 0x1
	buffer_load_dword v161, off, s[0:3], 0 offset:448
	buffer_load_dword v167, off, s[0:3], 0 offset:440
	v_add_f32_e32 v2, v2, v182
	s_waitcnt vmcnt(45) lgkmcnt(0)
	v_mul_f32_e32 v142, v5, v172
	s_waitcnt vmcnt(44)
	v_mul_f32_e32 v143, v7, v171
	v_add_f32_e32 v1, v1, v155
	buffer_load_dword v155, off, s[0:3], 0 offset:88
	v_add_f32_e32 v2, v2, v163
	v_fma_f32 v141, v3, v160, -v9
	v_fmac_f32_e32 v142, v6, v153
	v_add_f32_e32 v10, v1, v129
	s_waitcnt vmcnt(38)
	v_fmac_f32_e32 v143, v8, v187
	v_add_f32_e32 v129, v2, v194
	ds_read_b128 v[1:4], v128 offset:752
	v_add_f32_e32 v130, v10, v130
	ds_read_b128 v[9:12], v128 offset:768
	v_add_f32_e32 v129, v129, v131
	v_mul_f32_e32 v131, v6, v172
	v_add_f32_e32 v130, v130, v136
	v_mul_f32_e32 v136, v8, v171
	v_add_f32_e32 v145, v129, v132
	v_fma_f32 v144, v5, v153, -v131
	v_fma_f32 v146, v7, v187, -v136
	v_add_f32_e32 v136, v130, v154
	v_add_f32_e32 v133, v145, v133
	ds_read_b128 v[5:8], v128 offset:784
	ds_read_b128 v[129:132], v128 offset:800
	v_add_f32_e32 v134, v136, v134
	v_add_f32_e32 v133, v133, v135
	s_waitcnt lgkmcnt(3)
	v_mul_f32_e32 v153, v2, v159
	v_mul_f32_e32 v145, v1, v159
	;; [unrolled: 1-line block ×3, first 2 shown]
	v_add_f32_e32 v134, v134, v137
	v_add_f32_e32 v138, v133, v138
	v_fma_f32 v153, v1, v186, -v153
	v_mul_f32_e32 v154, v3, v156
	v_fmac_f32_e32 v145, v2, v186
	v_add_f32_e32 v139, v134, v139
	v_add_f32_e32 v171, v138, v140
	s_waitcnt lgkmcnt(2)
	v_mul_f32_e32 v137, v10, v184
	v_fma_f32 v160, v3, v185, -v136
	v_mul_f32_e32 v156, v9, v184
	v_add_f32_e32 v141, v139, v141
	v_add_f32_e32 v142, v171, v142
	v_fmac_f32_e32 v154, v4, v185
	s_waitcnt vmcnt(37)
	v_mul_f32_e32 v163, v12, v188
	v_fma_f32 v168, v9, v183, -v137
	v_add_f32_e32 v141, v141, v144
	v_mul_f32_e32 v159, v11, v188
	v_fmac_f32_e32 v156, v10, v183
	ds_read_b128 v[1:4], v128 offset:816
	ds_read_b128 v[133:136], v128 offset:832
	v_add_f32_e32 v141, v141, v146
	v_add_f32_e32 v153, v141, v153
	;; [unrolled: 1-line block ×4, first 2 shown]
	s_waitcnt vmcnt(32)
	v_fma_f32 v163, v11, v181, -v163
	v_fmac_f32_e32 v159, v12, v181
	ds_read_b128 v[9:12], v128 offset:848
	ds_read_b128 v[137:140], v128 offset:864
	v_add_f32_e32 v153, v153, v163
	s_waitcnt vmcnt(31) lgkmcnt(5)
	v_mul_f32_e32 v171, v5, v157
	s_waitcnt vmcnt(30)
	v_mul_f32_e32 v172, v7, v158
	v_mul_f32_e32 v144, v6, v157
	;; [unrolled: 1-line block ×3, first 2 shown]
	s_waitcnt vmcnt(29) lgkmcnt(4)
	v_mul_f32_e32 v177, v130, v195
	v_fmac_f32_e32 v171, v6, v180
	v_add_f32_e32 v6, v142, v143
	v_fmac_f32_e32 v172, v8, v165
	v_fma_f32 v157, v7, v165, -v157
	v_fma_f32 v158, v5, v180, -v144
	v_add_f32_e32 v165, v6, v145
	ds_read_b128 v[5:8], v128 offset:880
	ds_read_b128 v[141:144], v128 offset:896
	ds_read_b64 v[145:146], v128 offset:912
	v_add_f32_e32 v153, v153, v158
	v_add_f32_e32 v154, v165, v154
	v_mul_f32_e32 v165, v129, v195
	v_fma_f32 v129, v129, v152, -v177
	s_waitcnt vmcnt(28)
	v_mul_f32_e32 v160, v131, v169
	v_mul_f32_e32 v169, v132, v169
	v_add_f32_e32 v154, v154, v156
	v_fmac_f32_e32 v165, v130, v152
	v_add_f32_e32 v153, v153, v157
	s_waitcnt vmcnt(27) lgkmcnt(6)
	v_mul_f32_e32 v156, v1, v170
	v_mul_f32_e32 v163, v2, v170
	v_add_f32_e32 v152, v154, v159
	s_waitcnt vmcnt(21)
	v_fma_f32 v131, v131, v191, -v169
	v_add_f32_e32 v129, v153, v129
	v_fmac_f32_e32 v160, v132, v191
	v_mul_f32_e32 v157, v4, v173
	v_add_f32_e32 v152, v152, v171
	v_fmac_f32_e32 v156, v2, v190
	v_fma_f32 v1, v1, v190, -v163
	v_add_f32_e32 v2, v129, v131
	v_mul_f32_e32 v168, v3, v173
	v_add_f32_e32 v152, v152, v172
	s_waitcnt lgkmcnt(5)
	v_mul_f32_e32 v131, v134, v174
	v_fma_f32 v3, v3, v189, -v157
	v_add_f32_e32 v1, v2, v1
	v_mul_f32_e32 v130, v133, v174
	v_add_f32_e32 v152, v152, v165
	v_fmac_f32_e32 v168, v4, v189
	s_waitcnt vmcnt(20)
	v_mul_f32_e32 v4, v136, v192
	v_add_f32_e32 v1, v1, v3
	v_mul_f32_e32 v154, v135, v192
	v_add_f32_e32 v129, v152, v160
	v_fmac_f32_e32 v130, v134, v176
	s_waitcnt vmcnt(19) lgkmcnt(4)
	v_mul_f32_e32 v3, v10, v196
	v_mul_f32_e32 v159, v9, v196
	s_waitcnt vmcnt(18)
	v_mul_f32_e32 v132, v11, v166
	v_add_f32_e32 v2, v129, v156
	v_fma_f32 v129, v133, v176, -v131
	s_waitcnt vmcnt(7)
	v_fma_f32 v4, v135, v202, -v4
	v_fmac_f32_e32 v154, v136, v202
	v_fma_f32 v3, v9, v201, -v3
	v_add_f32_e32 v2, v2, v168
	v_add_f32_e32 v1, v1, v129
	v_mul_f32_e32 v129, v12, v166
	v_fmac_f32_e32 v159, v10, v201
	s_waitcnt lgkmcnt(3)
	v_mul_f32_e32 v169, v137, v193
	v_add_f32_e32 v2, v2, v130
	v_add_f32_e32 v1, v1, v4
	v_mul_f32_e32 v4, v138, v193
	v_fma_f32 v9, v11, v175, -v129
	v_fmac_f32_e32 v132, v12, v175
	v_add_f32_e32 v2, v2, v154
	v_add_f32_e32 v1, v1, v3
	v_mul_f32_e32 v3, v140, v164
	v_fma_f32 v4, v137, v151, -v4
	v_mul_f32_e32 v158, v139, v164
	v_add_f32_e32 v2, v2, v159
	v_add_f32_e32 v1, v1, v9
	v_fmac_f32_e32 v169, v138, v151
	s_waitcnt lgkmcnt(2)
	v_mul_f32_e32 v9, v6, v197
	v_mul_f32_e32 v170, v5, v197
	v_add_f32_e32 v2, v2, v132
	s_waitcnt vmcnt(3)
	v_fma_f32 v3, v139, v150, -v3
	v_add_f32_e32 v1, v1, v4
	v_fmac_f32_e32 v158, v140, v150
	v_mul_f32_e32 v4, v8, v198
	v_add_f32_e32 v2, v2, v169
	v_fma_f32 v5, v5, v149, -v9
	v_add_f32_e32 v1, v1, v3
	v_mul_f32_e32 v171, v7, v198
	v_fmac_f32_e32 v170, v6, v149
	v_add_f32_e32 v2, v2, v158
	s_waitcnt lgkmcnt(1)
	v_mul_f32_e32 v3, v142, v199
	v_fma_f32 v4, v7, v148, -v4
	v_add_f32_e32 v1, v1, v5
	v_mul_f32_e32 v172, v141, v199
	v_fmac_f32_e32 v171, v8, v148
	v_add_f32_e32 v2, v2, v170
	v_mul_f32_e32 v5, v144, v200
	v_fma_f32 v3, v141, v147, -v3
	v_add_f32_e32 v1, v1, v4
	v_mul_f32_e32 v173, v143, v200
	v_fmac_f32_e32 v172, v142, v147
	v_add_f32_e32 v2, v2, v171
	s_waitcnt lgkmcnt(0)
	v_mul_f32_e32 v4, v146, v162
	s_waitcnt vmcnt(1)
	v_fma_f32 v5, v143, v167, -v5
	v_add_f32_e32 v1, v1, v3
	v_mul_f32_e32 v153, v145, v162
	v_fmac_f32_e32 v173, v144, v167
	v_add_f32_e32 v2, v2, v172
	v_fma_f32 v3, v145, v161, -v4
	v_add_f32_e32 v1, v1, v5
	v_fmac_f32_e32 v153, v146, v161
	v_add_f32_e32 v2, v2, v173
	v_add_f32_e32 v1, v1, v3
	;; [unrolled: 1-line block ×3, first 2 shown]
	s_waitcnt vmcnt(0)
	v_sub_f32_e32 v1, v155, v1
	v_sub_f32_e32 v2, v178, v2
	buffer_store_dword v1, off, s[0:3], 0 offset:88
	buffer_store_dword v2, off, s[0:3], 0 offset:92
	v_cmpx_lt_u32_e32 10, v0
	s_cbranch_execz .LBB56_335
; %bb.334:
	s_clause 0x1
	buffer_load_dword v1, off, s[0:3], 0 offset:80
	buffer_load_dword v2, off, s[0:3], 0 offset:84
	buffer_store_dword v128, off, s[0:3], 0 offset:80
	buffer_store_dword v128, off, s[0:3], 0 offset:84
	s_waitcnt vmcnt(0)
	ds_write_b64 v127, v[1:2]
.LBB56_335:
	s_or_b32 exec_lo, exec_lo, s4
	s_waitcnt lgkmcnt(0)
	s_waitcnt_vscnt null, 0x0
	s_barrier
	buffer_gl0_inv
	s_clause 0x2c
	buffer_load_dword v169, off, s[0:3], 0 offset:92
	buffer_load_dword v170, off, s[0:3], 0 offset:100
	;; [unrolled: 1-line block ×45, first 2 shown]
	ds_read2_b64 v[5:8], v128 offset0:69 offset1:70
	buffer_load_dword v163, off, s[0:3], 0 offset:268
	ds_read2_b64 v[1:4], v128 offset0:71 offset1:72
	ds_read2_b64 v[179:182], v128 offset0:73 offset1:74
	s_clause 0x7
	buffer_load_dword v177, off, s[0:3], 0 offset:276
	buffer_load_dword v175, off, s[0:3], 0 offset:284
	;; [unrolled: 1-line block ×8, first 2 shown]
	ds_read2_b64 v[183:186], v128 offset0:75 offset1:76
	s_mov_b32 s4, exec_lo
	s_waitcnt vmcnt(53) lgkmcnt(3)
	v_mul_f32_e32 v187, v5, v169
	s_waitcnt vmcnt(52)
	v_mul_f32_e32 v188, v7, v170
	v_mul_f32_e32 v189, v6, v169
	;; [unrolled: 1-line block ×3, first 2 shown]
	buffer_load_dword v169, off, s[0:3], 0 offset:84
	s_waitcnt vmcnt(50)
	v_fmac_f32_e32 v187, v6, v131
	v_fmac_f32_e32 v188, v8, v130
	v_fma_f32 v189, v5, v131, -v189
	v_fma_f32 v170, v7, v130, -v170
	ds_read2_b64 v[5:8], v128 offset0:77 offset1:78
	s_waitcnt vmcnt(49) lgkmcnt(3)
	v_mul_f32_e32 v190, v1, v12
	v_mul_f32_e32 v12, v2, v12
	s_waitcnt vmcnt(48)
	v_mul_f32_e32 v191, v3, v11
	v_mul_f32_e32 v11, v4, v11
	s_waitcnt vmcnt(47) lgkmcnt(2)
	v_mul_f32_e32 v192, v179, v10
	v_fmac_f32_e32 v190, v2, v9
	v_fma_f32 v193, v1, v9, -v12
	s_waitcnt vmcnt(46)
	v_mul_f32_e32 v194, v181, v129
	v_mul_f32_e32 v9, v180, v10
	;; [unrolled: 1-line block ×3, first 2 shown]
	s_waitcnt vmcnt(42)
	v_fmac_f32_e32 v191, v4, v137
	v_fma_f32 v137, v3, v137, -v11
	ds_read2_b64 v[1:4], v128 offset0:79 offset1:80
	v_fmac_f32_e32 v192, v180, v136
	v_fmac_f32_e32 v194, v182, v134
	v_fma_f32 v136, v179, v136, -v9
	v_fma_f32 v134, v181, v134, -v10
	ds_read2_b64 v[9:12], v128 offset0:81 offset1:82
	s_waitcnt vmcnt(41) lgkmcnt(3)
	v_mul_f32_e32 v179, v183, v135
	v_mul_f32_e32 v129, v184, v135
	s_waitcnt vmcnt(40)
	v_mul_f32_e32 v135, v185, v133
	v_mul_f32_e32 v130, v186, v133
	s_waitcnt vmcnt(39) lgkmcnt(2)
	v_mul_f32_e32 v133, v5, v138
	v_fmac_f32_e32 v179, v184, v132
	v_fma_f32 v180, v183, v132, -v129
	s_waitcnt vmcnt(34)
	v_fmac_f32_e32 v135, v186, v145
	v_fma_f32 v145, v185, v145, -v130
	ds_read2_b64 v[129:132], v128 offset0:83 offset1:84
	v_mul_f32_e32 v181, v7, v139
	v_mul_f32_e32 v138, v6, v138
	;; [unrolled: 1-line block ×3, first 2 shown]
	v_fmac_f32_e32 v133, v6, v144
	v_fmac_f32_e32 v181, v8, v142
	v_fma_f32 v138, v5, v144, -v138
	v_fma_f32 v139, v7, v142, -v139
	ds_read2_b64 v[5:8], v128 offset0:85 offset1:86
	s_waitcnt vmcnt(33) lgkmcnt(3)
	v_mul_f32_e32 v142, v1, v143
	v_mul_f32_e32 v143, v2, v143
	s_waitcnt vmcnt(32)
	v_mul_f32_e32 v144, v3, v141
	v_mul_f32_e32 v141, v4, v141
	s_waitcnt vmcnt(31) lgkmcnt(2)
	v_mul_f32_e32 v182, v9, v146
	v_fmac_f32_e32 v142, v2, v140
	v_fma_f32 v140, v1, v140, -v143
	s_waitcnt vmcnt(30)
	v_mul_f32_e32 v143, v11, v147
	v_mul_f32_e32 v147, v12, v147
	s_waitcnt vmcnt(26)
	v_fmac_f32_e32 v144, v4, v154
	v_fma_f32 v141, v3, v154, -v141
	ds_read2_b64 v[1:4], v128 offset0:87 offset1:88
	v_mul_f32_e32 v146, v10, v146
	v_fmac_f32_e32 v143, v12, v151
	v_fma_f32 v147, v11, v151, -v147
	s_waitcnt vmcnt(25) lgkmcnt(2)
	v_mul_f32_e32 v151, v129, v149
	v_mul_f32_e32 v149, v130, v149
	v_fmac_f32_e32 v182, v10, v153
	v_fma_f32 v146, v9, v153, -v146
	ds_read2_b64 v[9:12], v128 offset0:89 offset1:90
	v_fmac_f32_e32 v151, v130, v148
	v_fma_f32 v129, v129, v148, -v149
	s_clause 0x1
	buffer_load_dword v148, off, s[0:3], 0 offset:308
	buffer_load_dword v149, off, s[0:3], 0 offset:316
	s_waitcnt vmcnt(26)
	v_mul_f32_e32 v153, v131, v150
	v_mul_f32_e32 v150, v132, v150
	s_waitcnt vmcnt(25) lgkmcnt(2)
	v_mul_f32_e32 v154, v5, v155
	v_mul_f32_e32 v155, v6, v155
	s_waitcnt vmcnt(21)
	v_fmac_f32_e32 v153, v132, v162
	v_fma_f32 v130, v131, v162, -v150
	s_waitcnt vmcnt(20)
	v_mul_f32_e32 v131, v7, v161
	v_mul_f32_e32 v132, v8, v161
	v_fmac_f32_e32 v154, v6, v160
	v_fma_f32 v150, v5, v160, -v155
	s_clause 0x3
	buffer_load_dword v155, off, s[0:3], 0 offset:328
	buffer_load_dword v160, off, s[0:3], 0 offset:320
	;; [unrolled: 1-line block ×4, first 2 shown]
	v_fmac_f32_e32 v131, v8, v157
	v_fma_f32 v132, v7, v157, -v132
	s_waitcnt vmcnt(23) lgkmcnt(1)
	v_mul_f32_e32 v157, v1, v158
	s_waitcnt vmcnt(22)
	v_mul_f32_e32 v183, v3, v159
	v_mul_f32_e32 v5, v2, v158
	;; [unrolled: 1-line block ×3, first 2 shown]
	s_clause 0x1
	buffer_load_dword v158, off, s[0:3], 0 offset:324
	buffer_load_dword v159, off, s[0:3], 0 offset:332
	s_waitcnt vmcnt(18) lgkmcnt(0)
	v_mul_f32_e32 v186, v11, v167
	v_fmac_f32_e32 v183, v4, v168
	v_fmac_f32_e32 v157, v2, v156
	v_fma_f32 v168, v3, v168, -v6
	v_mul_f32_e32 v6, v12, v167
	v_fma_f32 v156, v1, v156, -v5
	v_mul_f32_e32 v185, v9, v166
	v_mul_f32_e32 v5, v10, v166
	v_fmac_f32_e32 v186, v12, v164
	v_fma_f32 v164, v11, v164, -v6
	v_add_f32_e32 v6, 0, v189
	v_fmac_f32_e32 v185, v10, v165
	v_fma_f32 v165, v9, v165, -v5
	v_add_f32_e32 v5, 0, v187
	buffer_load_dword v184, off, s[0:3], 0 offset:340
	v_add_f32_e32 v6, v6, v170
	ds_read2_b64 v[1:4], v128 offset0:91 offset1:92
	s_clause 0x3
	buffer_load_dword v166, off, s[0:3], 0 offset:360
	buffer_load_dword v167, off, s[0:3], 0 offset:352
	;; [unrolled: 1-line block ×4, first 2 shown]
	v_add_f32_e32 v5, v5, v188
	s_clause 0x2
	buffer_load_dword v188, off, s[0:3], 0 offset:348
	buffer_load_dword v170, off, s[0:3], 0 offset:356
	;; [unrolled: 1-line block ×3, first 2 shown]
	v_add_f32_e32 v6, v6, v193
	v_add_f32_e32 v5, v5, v190
	;; [unrolled: 1-line block ×4, first 2 shown]
	s_clause 0x2
	buffer_load_dword v190, off, s[0:3], 0 offset:372
	buffer_load_dword v191, off, s[0:3], 0 offset:380
	;; [unrolled: 1-line block ×3, first 2 shown]
	v_add_f32_e32 v6, v6, v136
	v_add_f32_e32 v5, v5, v192
	s_clause 0x2
	buffer_load_dword v192, off, s[0:3], 0 offset:396
	buffer_load_dword v196, off, s[0:3], 0 offset:404
	;; [unrolled: 1-line block ×3, first 2 shown]
	s_waitcnt vmcnt(31) lgkmcnt(0)
	v_mul_f32_e32 v137, v1, v163
	v_add_f32_e32 v6, v6, v134
	v_add_f32_e32 v5, v5, v194
	s_clause 0x2
	buffer_load_dword v194, off, s[0:3], 0 offset:420
	buffer_load_dword v198, off, s[0:3], 0 offset:428
	buffer_load_dword v199, off, s[0:3], 0 offset:436
	v_mul_f32_e32 v7, v2, v163
	v_add_f32_e32 v6, v6, v180
	v_add_f32_e32 v5, v5, v179
	s_clause 0x1
	buffer_load_dword v179, off, s[0:3], 0 offset:444
	buffer_load_dword v180, off, s[0:3], 0 offset:452
	v_fmac_f32_e32 v137, v2, v152
	v_add_f32_e32 v6, v6, v145
	s_clause 0x3
	buffer_load_dword v145, off, s[0:3], 0 offset:392
	buffer_load_dword v200, off, s[0:3], 0 offset:384
	;; [unrolled: 1-line block ×4, first 2 shown]
	v_add_f32_e32 v5, v5, v135
	v_add_f32_e32 v6, v6, v138
	v_fma_f32 v138, v1, v152, -v7
	v_add_f32_e32 v5, v5, v133
	v_add_f32_e32 v6, v6, v139
	;; [unrolled: 1-line block ×3, first 2 shown]
	s_clause 0x3
	buffer_load_dword v181, off, s[0:3], 0 offset:424
	buffer_load_dword v203, off, s[0:3], 0 offset:416
	;; [unrolled: 1-line block ×4, first 2 shown]
	v_add_f32_e32 v6, v6, v140
	v_add_f32_e32 v5, v5, v142
	;; [unrolled: 1-line block ×3, first 2 shown]
	s_waitcnt vmcnt(43)
	v_mul_f32_e32 v141, v3, v177
	v_add_f32_e32 v5, v5, v144
	v_add_f32_e32 v6, v6, v146
	s_waitcnt vmcnt(36)
	v_fmac_f32_e32 v141, v4, v178
	v_add_f32_e32 v5, v5, v182
	s_clause 0x3
	buffer_load_dword v182, off, s[0:3], 0 offset:448
	buffer_load_dword v206, off, s[0:3], 0 offset:440
	;; [unrolled: 1-line block ×4, first 2 shown]
	v_add_f32_e32 v6, v6, v147
	v_add_f32_e32 v5, v5, v143
	;; [unrolled: 1-line block ×4, first 2 shown]
	ds_read2_b64 v[5:8], v128 offset0:93 offset1:94
	v_add_f32_e32 v9, v1, v130
	v_mul_f32_e32 v1, v4, v177
	v_add_f32_e32 v10, v2, v153
	v_add_f32_e32 v129, v9, v150
	v_fma_f32 v142, v3, v178, -v1
	ds_read2_b64 v[1:4], v128 offset0:95 offset1:96
	v_add_f32_e32 v130, v10, v154
	ds_read2_b64 v[9:12], v128 offset0:97 offset1:98
	v_add_f32_e32 v129, v129, v132
	v_add_f32_e32 v130, v130, v131
	;; [unrolled: 1-line block ×3, first 2 shown]
	s_waitcnt lgkmcnt(2)
	v_mul_f32_e32 v132, v6, v175
	v_mul_f32_e32 v143, v5, v175
	;; [unrolled: 1-line block ×3, first 2 shown]
	v_fma_f32 v144, v5, v176, -v132
	v_add_f32_e32 v5, v130, v157
	v_fmac_f32_e32 v143, v6, v176
	v_add_f32_e32 v6, v133, v168
	ds_read2_b64 v[129:132], v128 offset0:99 offset1:100
	s_waitcnt lgkmcnt(2)
	v_mul_f32_e32 v134, v2, v173
	v_add_f32_e32 v5, v5, v183
	v_mul_f32_e32 v150, v1, v173
	v_add_f32_e32 v6, v6, v165
	v_mul_f32_e32 v133, v8, v174
	v_fma_f32 v153, v1, v171, -v134
	v_add_f32_e32 v5, v5, v185
	v_fmac_f32_e32 v150, v2, v171
	v_add_f32_e32 v1, v6, v164
	v_fma_f32 v152, v7, v172, -v133
	v_fmac_f32_e32 v147, v8, v172
	v_add_f32_e32 v2, v5, v186
	ds_read2_b64 v[5:8], v128 offset0:101 offset1:102
	ds_read2_b64 v[133:136], v128 offset0:103 offset1:104
	s_waitcnt vmcnt(38)
	v_mul_f32_e32 v151, v3, v148
	v_mul_f32_e32 v139, v4, v148
	s_waitcnt vmcnt(37) lgkmcnt(3)
	v_mul_f32_e32 v148, v9, v149
	v_mul_f32_e32 v140, v10, v149
	s_waitcnt vmcnt(34)
	v_fmac_f32_e32 v148, v10, v161
	v_add_f32_e32 v10, v1, v138
	v_fma_f32 v154, v9, v161, -v140
	v_add_f32_e32 v9, v2, v137
	s_waitcnt vmcnt(33)
	v_fma_f32 v149, v3, v162, -v139
	v_fmac_f32_e32 v151, v4, v162
	v_add_f32_e32 v10, v10, v142
	s_waitcnt vmcnt(32)
	v_mul_f32_e32 v156, v11, v158
	v_add_f32_e32 v9, v9, v141
	s_waitcnt vmcnt(31) lgkmcnt(2)
	v_mul_f32_e32 v157, v129, v159
	v_mul_f32_e32 v141, v130, v159
	v_add_f32_e32 v10, v10, v144
	v_mul_f32_e32 v142, v12, v158
	v_fmac_f32_e32 v156, v12, v160
	v_fmac_f32_e32 v157, v130, v155
	v_fma_f32 v155, v129, v155, -v141
	v_add_f32_e32 v129, v9, v143
	v_add_f32_e32 v152, v10, v152
	v_fma_f32 v160, v11, v160, -v142
	ds_read2_b64 v[1:4], v128 offset0:105 offset1:106
	ds_read2_b64 v[137:140], v128 offset0:107 offset1:108
	;; [unrolled: 1-line block ×4, first 2 shown]
	v_add_f32_e32 v147, v129, v147
	v_add_f32_e32 v152, v152, v153
	s_waitcnt vmcnt(30)
	v_mul_f32_e32 v158, v131, v184
	v_mul_f32_e32 v159, v132, v184
	v_add_f32_e32 v147, v147, v150
	v_add_f32_e32 v149, v152, v149
	s_waitcnt vmcnt(26)
	v_fmac_f32_e32 v158, v132, v195
	v_fma_f32 v132, v131, v195, -v159
	s_waitcnt vmcnt(25) lgkmcnt(5)
	v_mul_f32_e32 v153, v6, v188
	v_add_f32_e32 v147, v147, v151
	v_add_f32_e32 v149, v149, v154
	v_mul_f32_e32 v159, v5, v188
	s_waitcnt vmcnt(24)
	v_mul_f32_e32 v161, v8, v170
	v_fma_f32 v5, v5, v187, -v153
	v_add_f32_e32 v147, v147, v148
	v_add_f32_e32 v149, v149, v160
	v_mul_f32_e32 v150, v7, v170
	v_fmac_f32_e32 v159, v6, v187
	v_fma_f32 v7, v7, v167, -v161
	v_add_f32_e32 v147, v147, v156
	v_add_f32_e32 v149, v149, v155
	s_waitcnt vmcnt(23) lgkmcnt(4)
	v_mul_f32_e32 v152, v133, v189
	v_fmac_f32_e32 v150, v8, v167
	s_waitcnt vmcnt(22)
	v_mul_f32_e32 v151, v135, v190
	v_add_f32_e32 v147, v147, v157
	v_add_f32_e32 v132, v149, v132
	v_mul_f32_e32 v149, v134, v189
	v_fmac_f32_e32 v152, v134, v166
	s_waitcnt vmcnt(21) lgkmcnt(3)
	v_mul_f32_e32 v162, v1, v191
	v_add_f32_e32 v147, v147, v158
	v_add_f32_e32 v5, v132, v5
	v_mul_f32_e32 v132, v136, v190
	v_fma_f32 v133, v133, v166, -v149
	s_waitcnt vmcnt(20)
	v_mul_f32_e32 v154, v3, v193
	v_add_f32_e32 v8, v147, v159
	v_add_f32_e32 v5, v5, v7
	s_waitcnt vmcnt(8)
	v_fma_f32 v132, v135, v202, -v132
	v_fmac_f32_e32 v151, v136, v202
	v_fmac_f32_e32 v162, v2, v201
	v_add_f32_e32 v7, v8, v150
	v_mul_f32_e32 v8, v2, v191
	v_add_f32_e32 v5, v5, v133
	v_mul_f32_e32 v133, v4, v193
	s_waitcnt lgkmcnt(2)
	v_mul_f32_e32 v148, v137, v192
	v_add_f32_e32 v7, v7, v152
	v_fma_f32 v1, v1, v201, -v8
	v_add_f32_e32 v2, v5, v132
	v_fma_f32 v3, v3, v200, -v133
	v_fmac_f32_e32 v154, v4, v200
	v_add_f32_e32 v5, v7, v151
	v_mul_f32_e32 v7, v138, v192
	v_add_f32_e32 v1, v2, v1
	v_mul_f32_e32 v4, v140, v196
	v_mul_f32_e32 v163, v139, v196
	v_add_f32_e32 v2, v5, v162
	v_fma_f32 v5, v137, v145, -v7
	v_add_f32_e32 v1, v1, v3
	v_fmac_f32_e32 v148, v138, v145
	ds_read2_b64 v[128:131], v128 offset0:113 offset1:114
	v_add_f32_e32 v2, v2, v154
	s_waitcnt lgkmcnt(2)
	v_mul_f32_e32 v3, v10, v197
	s_waitcnt vmcnt(4)
	v_fma_f32 v4, v139, v205, -v4
	v_add_f32_e32 v1, v1, v5
	v_mul_f32_e32 v160, v9, v197
	v_fmac_f32_e32 v163, v140, v205
	v_add_f32_e32 v2, v2, v148
	v_mul_f32_e32 v5, v12, v194
	v_fma_f32 v3, v9, v204, -v3
	v_add_f32_e32 v1, v1, v4
	v_mul_f32_e32 v156, v11, v194
	v_fmac_f32_e32 v160, v10, v204
	v_add_f32_e32 v2, v2, v163
	s_waitcnt lgkmcnt(1)
	v_mul_f32_e32 v4, v142, v198
	v_fma_f32 v5, v11, v203, -v5
	v_add_f32_e32 v1, v1, v3
	v_mul_f32_e32 v164, v141, v198
	v_fmac_f32_e32 v156, v12, v203
	v_add_f32_e32 v2, v2, v160
	v_mul_f32_e32 v3, v144, v199
	v_fma_f32 v4, v141, v181, -v4
	v_add_f32_e32 v1, v1, v5
	v_mul_f32_e32 v155, v143, v199
	v_fmac_f32_e32 v164, v142, v181
	v_add_f32_e32 v2, v2, v156
	s_waitcnt lgkmcnt(0)
	v_mul_f32_e32 v5, v129, v179
	s_waitcnt vmcnt(1)
	v_fma_f32 v3, v143, v207, -v3
	v_add_f32_e32 v1, v1, v4
	v_mul_f32_e32 v157, v128, v179
	v_fmac_f32_e32 v155, v144, v207
	v_add_f32_e32 v2, v2, v164
	v_mul_f32_e32 v4, v131, v180
	v_fma_f32 v5, v128, v206, -v5
	v_add_f32_e32 v1, v1, v3
	v_mul_f32_e32 v6, v130, v180
	v_fmac_f32_e32 v157, v129, v206
	v_add_f32_e32 v2, v2, v155
	v_fma_f32 v3, v130, v182, -v4
	v_add_f32_e32 v1, v1, v5
	v_fmac_f32_e32 v6, v131, v182
	v_add_f32_e32 v2, v2, v157
	v_add_f32_e32 v1, v1, v3
	;; [unrolled: 1-line block ×3, first 2 shown]
	s_waitcnt vmcnt(0)
	v_sub_f32_e32 v1, v146, v1
	v_sub_f32_e32 v2, v169, v2
	buffer_store_dword v1, off, s[0:3], 0 offset:80
	buffer_store_dword v2, off, s[0:3], 0 offset:84
	v_cmpx_lt_u32_e32 9, v0
	s_cbranch_execz .LBB56_337
; %bb.336:
	s_clause 0x1
	buffer_load_dword v1, off, s[0:3], 0 offset:72
	buffer_load_dword v2, off, s[0:3], 0 offset:76
	v_mov_b32_e32 v3, 0
	buffer_store_dword v3, off, s[0:3], 0 offset:72
	buffer_store_dword v3, off, s[0:3], 0 offset:76
	s_waitcnt vmcnt(0)
	ds_write_b64 v127, v[1:2]
.LBB56_337:
	s_or_b32 exec_lo, exec_lo, s4
	s_waitcnt lgkmcnt(0)
	s_waitcnt_vscnt null, 0x0
	s_barrier
	buffer_gl0_inv
	s_clause 0x2c
	buffer_load_dword v11, off, s[0:3], 0 offset:84
	buffer_load_dword v12, off, s[0:3], 0 offset:92
	;; [unrolled: 1-line block ×45, first 2 shown]
	v_mov_b32_e32 v9, 0
	ds_read_b128 v[5:8], v9 offset:544
	ds_read_b128 v[1:4], v9 offset:560
	s_clause 0x9
	buffer_load_dword v176, off, s[0:3], 0 offset:260
	buffer_load_dword v173, off, s[0:3], 0 offset:268
	;; [unrolled: 1-line block ×10, first 2 shown]
	ds_read_b128 v[180:183], v9 offset:576
	ds_read_b128 v[184:187], v9 offset:592
	s_mov_b32 s4, exec_lo
	s_waitcnt vmcnt(54) lgkmcnt(3)
	v_mul_f32_e32 v188, v5, v11
	v_mul_f32_e32 v11, v6, v11
	s_waitcnt vmcnt(53)
	v_mul_f32_e32 v189, v7, v12
	v_mul_f32_e32 v12, v8, v12
	s_waitcnt vmcnt(52) lgkmcnt(2)
	v_mul_f32_e32 v190, v1, v128
	s_waitcnt vmcnt(49)
	v_fmac_f32_e32 v188, v6, v131
	v_fma_f32 v11, v5, v131, -v11
	s_waitcnt vmcnt(48)
	v_mul_f32_e32 v191, v3, v130
	v_mul_f32_e32 v5, v2, v128
	;; [unrolled: 1-line block ×3, first 2 shown]
	v_fmac_f32_e32 v189, v8, v129
	s_waitcnt vmcnt(43) lgkmcnt(1)
	v_mul_f32_e32 v192, v180, v138
	v_mul_f32_e32 v128, v181, v138
	v_fma_f32 v12, v7, v129, -v12
	v_fmac_f32_e32 v190, v2, v10
	v_fmac_f32_e32 v191, v4, v139
	v_fma_f32 v10, v1, v10, -v5
	v_fma_f32 v139, v3, v139, -v6
	ds_read_b128 v[1:4], v9 offset:608
	ds_read_b128 v[5:8], v9 offset:624
	s_waitcnt vmcnt(42)
	v_mul_f32_e32 v138, v182, v137
	v_mul_f32_e32 v129, v183, v137
	s_waitcnt vmcnt(41) lgkmcnt(2)
	v_mul_f32_e32 v137, v184, v135
	v_fmac_f32_e32 v192, v181, v134
	v_fma_f32 v180, v180, v134, -v128
	s_waitcnt vmcnt(40)
	v_mul_f32_e32 v181, v186, v136
	v_mul_f32_e32 v128, v185, v135
	;; [unrolled: 1-line block ×3, first 2 shown]
	v_fmac_f32_e32 v138, v183, v133
	v_fma_f32 v136, v182, v133, -v129
	v_fmac_f32_e32 v137, v185, v132
	s_waitcnt vmcnt(36)
	v_fmac_f32_e32 v181, v187, v147
	v_fma_f32 v182, v184, v132, -v128
	v_fma_f32 v147, v186, v147, -v130
	ds_read_b128 v[128:131], v9 offset:640
	ds_read_b128 v[132:135], v9 offset:656
	s_waitcnt vmcnt(35) lgkmcnt(3)
	v_mul_f32_e32 v183, v1, v145
	s_waitcnt vmcnt(34)
	v_mul_f32_e32 v184, v3, v146
	v_mul_f32_e32 v145, v2, v145
	;; [unrolled: 1-line block ×3, first 2 shown]
	s_waitcnt vmcnt(33) lgkmcnt(2)
	v_mul_f32_e32 v185, v5, v144
	v_mul_f32_e32 v144, v6, v144
	v_fmac_f32_e32 v183, v2, v142
	v_fmac_f32_e32 v184, v4, v141
	v_fma_f32 v142, v1, v142, -v145
	v_fma_f32 v141, v3, v141, -v146
	s_clause 0x1
	buffer_load_dword v145, off, s[0:3], 0 offset:300
	buffer_load_dword v146, off, s[0:3], 0 offset:308
	s_waitcnt vmcnt(34)
	v_mul_f32_e32 v186, v7, v143
	v_mul_f32_e32 v143, v8, v143
	v_fmac_f32_e32 v185, v6, v140
	v_fma_f32 v140, v5, v140, -v144
	ds_read_b128 v[1:4], v9 offset:672
	s_waitcnt vmcnt(29) lgkmcnt(2)
	v_mul_f32_e32 v144, v128, v155
	v_mul_f32_e32 v5, v129, v155
	s_waitcnt vmcnt(28)
	v_mul_f32_e32 v6, v131, v156
	v_fmac_f32_e32 v186, v8, v158
	v_fma_f32 v143, v7, v158, -v143
	v_fmac_f32_e32 v144, v129, v150
	v_fma_f32 v128, v128, v150, -v5
	v_fma_f32 v129, v130, v149, -v6
	ds_read_b128 v[5:8], v9 offset:688
	v_mul_f32_e32 v158, v130, v156
	s_waitcnt vmcnt(27) lgkmcnt(2)
	v_mul_f32_e32 v155, v132, v152
	s_waitcnt vmcnt(26)
	v_mul_f32_e32 v156, v134, v153
	v_mul_f32_e32 v152, v133, v152
	;; [unrolled: 1-line block ×3, first 2 shown]
	v_fmac_f32_e32 v158, v131, v149
	v_fmac_f32_e32 v155, v133, v148
	s_waitcnt vmcnt(22)
	v_fmac_f32_e32 v156, v135, v171
	v_fma_f32 v130, v132, v148, -v152
	v_fma_f32 v131, v134, v171, -v153
	s_clause 0x5
	buffer_load_dword v148, off, s[0:3], 0 offset:316
	buffer_load_dword v149, off, s[0:3], 0 offset:324
	;; [unrolled: 1-line block ×6, first 2 shown]
	s_waitcnt vmcnt(27) lgkmcnt(1)
	v_mul_f32_e32 v132, v1, v166
	s_waitcnt vmcnt(26)
	v_mul_f32_e32 v133, v3, v167
	v_mul_f32_e32 v134, v2, v166
	;; [unrolled: 1-line block ×3, first 2 shown]
	v_add_f32_e32 v167, 0, v188
	v_fmac_f32_e32 v132, v2, v164
	v_fmac_f32_e32 v133, v4, v160
	v_fma_f32 v134, v1, v164, -v134
	v_fma_f32 v135, v3, v160, -v135
	ds_read_b128 v[1:4], v9 offset:704
	s_waitcnt vmcnt(25) lgkmcnt(1)
	v_mul_f32_e32 v160, v5, v161
	v_mul_f32_e32 v161, v6, v161
	buffer_load_dword v166, off, s[0:3], 0 offset:332
	s_waitcnt vmcnt(25)
	v_mul_f32_e32 v164, v7, v162
	v_mul_f32_e32 v162, v8, v162
	v_fmac_f32_e32 v160, v6, v159
	v_add_f32_e32 v6, 0, v11
	v_add_f32_e32 v11, v167, v189
	v_fma_f32 v159, v5, v159, -v161
	s_waitcnt vmcnt(21)
	v_fmac_f32_e32 v164, v8, v178
	v_fma_f32 v161, v7, v178, -v162
	v_add_f32_e32 v5, v6, v12
	v_add_f32_e32 v11, v11, v190
	s_clause 0x4
	buffer_load_dword v12, off, s[0:3], 0 offset:352
	buffer_load_dword v162, off, s[0:3], 0 offset:344
	buffer_load_dword v167, off, s[0:3], 0 offset:336
	buffer_load_dword v178, off, s[0:3], 0 offset:328
	buffer_load_dword v187, off, s[0:3], 0 offset:340
	v_add_f32_e32 v10, v5, v10
	v_add_f32_e32 v11, v11, v191
	ds_read_b128 v[5:8], v9 offset:720
	s_waitcnt vmcnt(25) lgkmcnt(1)
	v_mul_f32_e32 v188, v1, v177
	v_mul_f32_e32 v177, v2, v177
	v_add_f32_e32 v10, v10, v139
	v_add_f32_e32 v11, v11, v192
	s_clause 0x1
	buffer_load_dword v189, off, s[0:3], 0 offset:348
	buffer_load_dword v190, off, s[0:3], 0 offset:356
	v_fmac_f32_e32 v188, v2, v174
	v_fma_f32 v139, v1, v174, -v177
	v_add_f32_e32 v1, v10, v180
	v_add_f32_e32 v2, v11, v138
	buffer_load_dword v191, off, s[0:3], 0 offset:364
	s_waitcnt vmcnt(27)
	v_mul_f32_e32 v174, v3, v172
	v_mul_f32_e32 v10, v4, v172
	v_add_f32_e32 v1, v1, v136
	v_add_f32_e32 v2, v2, v137
	s_clause 0x2
	buffer_load_dword v177, off, s[0:3], 0 offset:372
	buffer_load_dword v180, off, s[0:3], 0 offset:380
	;; [unrolled: 1-line block ×3, first 2 shown]
	v_fmac_f32_e32 v174, v4, v168
	v_fma_f32 v10, v3, v168, -v10
	v_add_f32_e32 v2, v2, v181
	s_clause 0x1
	buffer_load_dword v168, off, s[0:3], 0 offset:396
	buffer_load_dword v192, off, s[0:3], 0 offset:404
	v_add_f32_e32 v1, v1, v182
	s_clause 0x2
	buffer_load_dword v181, off, s[0:3], 0 offset:412
	buffer_load_dword v182, off, s[0:3], 0 offset:420
	;; [unrolled: 1-line block ×3, first 2 shown]
	s_waitcnt vmcnt(34) lgkmcnt(0)
	v_mul_f32_e32 v11, v5, v176
	v_add_f32_e32 v2, v2, v183
	s_clause 0x2
	buffer_load_dword v183, off, s[0:3], 0 offset:436
	buffer_load_dword v194, off, s[0:3], 0 offset:444
	;; [unrolled: 1-line block ×3, first 2 shown]
	v_add_f32_e32 v1, v1, v147
	v_mul_f32_e32 v3, v6, v176
	v_fmac_f32_e32 v11, v6, v151
	v_add_f32_e32 v2, v2, v184
	s_clause 0x3
	buffer_load_dword v184, off, s[0:3], 0 offset:384
	buffer_load_dword v196, off, s[0:3], 0 offset:376
	;; [unrolled: 1-line block ×4, first 2 shown]
	v_add_f32_e32 v1, v1, v142
	v_fma_f32 v136, v5, v151, -v3
	v_add_f32_e32 v2, v2, v185
	v_add_f32_e32 v1, v1, v141
	;; [unrolled: 1-line block ×3, first 2 shown]
	s_clause 0x3
	buffer_load_dword v185, off, s[0:3], 0 offset:416
	buffer_load_dword v186, off, s[0:3], 0 offset:408
	;; [unrolled: 1-line block ×4, first 2 shown]
	v_add_f32_e32 v1, v1, v140
	s_waitcnt vmcnt(44)
	v_mul_f32_e32 v140, v7, v173
	v_add_f32_e32 v2, v2, v144
	v_add_f32_e32 v1, v1, v143
	s_waitcnt vmcnt(37)
	v_fmac_f32_e32 v140, v8, v175
	v_add_f32_e32 v2, v2, v158
	s_clause 0x4
	buffer_load_dword v158, off, s[0:3], 0 offset:448
	buffer_load_dword v201, off, s[0:3], 0 offset:440
	;; [unrolled: 1-line block ×5, first 2 shown]
	v_add_f32_e32 v1, v1, v128
	v_add_f32_e32 v2, v2, v155
	;; [unrolled: 1-line block ×6, first 2 shown]
	v_mul_f32_e32 v5, v8, v173
	v_add_f32_e32 v6, v1, v131
	ds_read_b128 v[1:4], v9 offset:736
	v_add_f32_e32 v132, v128, v133
	v_fma_f32 v141, v7, v175, -v5
	v_add_f32_e32 v129, v6, v134
	ds_read_b128 v[5:8], v9 offset:752
	v_add_f32_e32 v132, v132, v160
	v_add_f32_e32 v133, v129, v135
	ds_read_b128 v[128:131], v9 offset:768
	v_add_f32_e32 v137, v132, v164
	v_add_f32_e32 v133, v133, v159
	s_waitcnt lgkmcnt(2)
	v_mul_f32_e32 v134, v2, v169
	v_mul_f32_e32 v144, v1, v169
	;; [unrolled: 1-line block ×3, first 2 shown]
	v_fma_f32 v147, v1, v170, -v134
	v_add_f32_e32 v1, v133, v161
	v_fmac_f32_e32 v144, v2, v170
	v_add_f32_e32 v2, v137, v188
	s_waitcnt lgkmcnt(1)
	v_mul_f32_e32 v155, v5, v163
	v_mul_f32_e32 v138, v6, v163
	v_add_f32_e32 v1, v1, v139
	ds_read_b128 v[132:135], v9 offset:784
	v_add_f32_e32 v2, v2, v174
	v_fmac_f32_e32 v155, v6, v154
	v_fma_f32 v154, v5, v154, -v138
	v_add_f32_e32 v1, v1, v10
	v_mul_f32_e32 v137, v4, v165
	v_add_f32_e32 v5, v2, v11
	v_fmac_f32_e32 v151, v4, v157
	v_add_f32_e32 v6, v1, v136
	v_fma_f32 v10, v3, v157, -v137
	ds_read_b128 v[1:4], v9 offset:800
	ds_read_b128 v[136:139], v9 offset:816
	s_waitcnt vmcnt(40)
	v_mul_f32_e32 v142, v8, v145
	s_waitcnt vmcnt(39) lgkmcnt(3)
	v_mul_f32_e32 v159, v128, v146
	v_mul_f32_e32 v11, v129, v146
	;; [unrolled: 1-line block ×3, first 2 shown]
	s_waitcnt vmcnt(38)
	v_mul_f32_e32 v160, v130, v148
	s_waitcnt vmcnt(34)
	v_fmac_f32_e32 v159, v129, v153
	v_fma_f32 v153, v128, v153, -v11
	v_add_f32_e32 v11, v6, v141
	v_add_f32_e32 v129, v5, v140
	s_waitcnt vmcnt(33)
	v_fma_f32 v157, v7, v171, -v142
	v_fmac_f32_e32 v156, v8, v171
	v_fmac_f32_e32 v160, v131, v152
	v_add_f32_e32 v11, v11, v147
	v_add_f32_e32 v128, v129, v144
	v_mul_f32_e32 v129, v131, v148
	s_waitcnt lgkmcnt(2)
	v_mul_f32_e32 v148, v132, v149
	v_mul_f32_e32 v144, v133, v149
	v_add_f32_e32 v10, v11, v10
	v_add_f32_e32 v128, v128, v151
	v_fma_f32 v152, v130, v152, -v129
	s_waitcnt vmcnt(32)
	v_mul_f32_e32 v149, v135, v166
	v_fmac_f32_e32 v148, v133, v150
	v_add_f32_e32 v154, v10, v154
	v_add_f32_e32 v155, v128, v155
	v_fma_f32 v150, v132, v150, -v144
	v_mul_f32_e32 v151, v134, v166
	ds_read_b128 v[5:8], v9 offset:832
	ds_read_b128 v[140:143], v9 offset:848
	v_add_f32_e32 v154, v154, v157
	v_add_f32_e32 v155, v155, v156
	s_waitcnt vmcnt(28)
	v_fma_f32 v149, v134, v178, -v149
	s_waitcnt vmcnt(27) lgkmcnt(3)
	v_mul_f32_e32 v161, v2, v187
	v_fmac_f32_e32 v151, v135, v178
	v_add_f32_e32 v153, v154, v153
	v_add_f32_e32 v155, v155, v159
	v_mul_f32_e32 v156, v1, v187
	v_fma_f32 v1, v1, v167, -v161
	ds_read_b128 v[128:131], v9 offset:864
	ds_read_b128 v[144:147], v9 offset:880
	v_add_f32_e32 v152, v153, v152
	v_add_f32_e32 v155, v155, v160
	s_waitcnt vmcnt(26)
	v_mul_f32_e32 v163, v4, v189
	v_mul_f32_e32 v157, v3, v189
	v_fmac_f32_e32 v156, v2, v167
	v_add_f32_e32 v150, v152, v150
	v_add_f32_e32 v148, v155, v148
	s_waitcnt vmcnt(25) lgkmcnt(4)
	v_mul_f32_e32 v159, v136, v190
	v_mul_f32_e32 v161, v137, v190
	v_fma_f32 v3, v3, v162, -v163
	v_add_f32_e32 v149, v150, v149
	v_add_f32_e32 v148, v148, v151
	v_fmac_f32_e32 v157, v4, v162
	s_waitcnt vmcnt(24)
	v_mul_f32_e32 v150, v139, v191
	v_fmac_f32_e32 v159, v137, v12
	v_add_f32_e32 v1, v149, v1
	v_add_f32_e32 v148, v148, v156
	v_fma_f32 v12, v136, v12, -v161
	v_mul_f32_e32 v154, v138, v191
	s_waitcnt vmcnt(23) lgkmcnt(3)
	v_mul_f32_e32 v136, v6, v177
	v_add_f32_e32 v1, v1, v3
	v_add_f32_e32 v3, v148, v157
	v_mul_f32_e32 v2, v5, v177
	s_waitcnt vmcnt(22)
	v_mul_f32_e32 v160, v7, v180
	s_waitcnt vmcnt(21) lgkmcnt(2)
	v_mul_f32_e32 v153, v140, v172
	v_add_f32_e32 v1, v1, v12
	v_add_f32_e32 v3, v3, v159
	v_mul_f32_e32 v12, v8, v180
	s_waitcnt vmcnt(9)
	v_fma_f32 v137, v138, v198, -v150
	v_fmac_f32_e32 v154, v139, v198
	v_fma_f32 v5, v5, v197, -v136
	v_fmac_f32_e32 v2, v6, v197
	v_mul_f32_e32 v6, v141, v172
	v_add_f32_e32 v1, v1, v137
	v_add_f32_e32 v3, v3, v154
	v_fma_f32 v7, v7, v196, -v12
	v_fmac_f32_e32 v160, v8, v196
	v_mul_f32_e32 v4, v142, v168
	v_add_f32_e32 v1, v1, v5
	v_add_f32_e32 v2, v3, v2
	v_mul_f32_e32 v3, v143, v168
	v_fma_f32 v5, v140, v184, -v6
	v_fmac_f32_e32 v153, v141, v184
	v_add_f32_e32 v1, v1, v7
	v_add_f32_e32 v2, v2, v160
	s_waitcnt lgkmcnt(1)
	v_mul_f32_e32 v6, v129, v192
	s_waitcnt vmcnt(5)
	v_fma_f32 v3, v142, v200, -v3
	ds_read_b128 v[132:135], v9 offset:896
	ds_read_b64 v[10:11], v9 offset:912
	v_add_f32_e32 v1, v1, v5
	v_mul_f32_e32 v162, v128, v192
	v_fmac_f32_e32 v4, v143, v200
	v_add_f32_e32 v2, v2, v153
	v_mul_f32_e32 v5, v131, v181
	v_fma_f32 v6, v128, v199, -v6
	v_add_f32_e32 v1, v1, v3
	v_mul_f32_e32 v152, v130, v181
	v_fmac_f32_e32 v162, v129, v199
	v_add_f32_e32 v2, v2, v4
	s_waitcnt lgkmcnt(2)
	v_mul_f32_e32 v3, v145, v182
	v_fma_f32 v4, v130, v186, -v5
	v_add_f32_e32 v1, v1, v6
	v_mul_f32_e32 v155, v144, v182
	v_fmac_f32_e32 v152, v131, v186
	v_add_f32_e32 v2, v2, v162
	v_mul_f32_e32 v5, v147, v193
	v_fma_f32 v3, v144, v185, -v3
	v_add_f32_e32 v1, v1, v4
	v_mul_f32_e32 v163, v146, v193
	v_fmac_f32_e32 v155, v145, v185
	v_add_f32_e32 v2, v2, v152
	s_waitcnt lgkmcnt(1)
	v_mul_f32_e32 v4, v133, v183
	s_waitcnt vmcnt(1)
	v_fma_f32 v5, v146, v203, -v5
	v_add_f32_e32 v1, v1, v3
	v_mul_f32_e32 v151, v132, v183
	v_fmac_f32_e32 v163, v147, v203
	v_add_f32_e32 v2, v2, v155
	v_mul_f32_e32 v3, v135, v194
	v_fma_f32 v4, v132, v202, -v4
	v_add_f32_e32 v1, v1, v5
	v_mul_f32_e32 v164, v134, v194
	v_fmac_f32_e32 v151, v133, v202
	v_add_f32_e32 v2, v2, v163
	s_waitcnt lgkmcnt(0)
	v_mul_f32_e32 v5, v11, v195
	v_fma_f32 v3, v134, v201, -v3
	v_add_f32_e32 v1, v1, v4
	v_mul_f32_e32 v149, v10, v195
	v_fmac_f32_e32 v164, v135, v201
	v_add_f32_e32 v2, v2, v151
	v_fma_f32 v4, v10, v158, -v5
	v_add_f32_e32 v1, v1, v3
	v_fmac_f32_e32 v149, v11, v158
	v_add_f32_e32 v2, v2, v164
	v_add_f32_e32 v1, v1, v4
	v_add_f32_e32 v2, v2, v149
	s_waitcnt vmcnt(0)
	v_sub_f32_e32 v1, v204, v1
	v_sub_f32_e32 v2, v179, v2
	buffer_store_dword v1, off, s[0:3], 0 offset:72
	buffer_store_dword v2, off, s[0:3], 0 offset:76
	v_cmpx_lt_u32_e32 8, v0
	s_cbranch_execz .LBB56_339
; %bb.338:
	s_clause 0x1
	buffer_load_dword v1, off, s[0:3], 0 offset:64
	buffer_load_dword v2, off, s[0:3], 0 offset:68
	buffer_store_dword v9, off, s[0:3], 0 offset:64
	buffer_store_dword v9, off, s[0:3], 0 offset:68
	s_waitcnt vmcnt(0)
	ds_write_b64 v127, v[1:2]
.LBB56_339:
	s_or_b32 exec_lo, exec_lo, s4
	s_waitcnt lgkmcnt(0)
	s_waitcnt_vscnt null, 0x0
	s_barrier
	buffer_gl0_inv
	s_clause 0x33
	buffer_load_dword v162, off, s[0:3], 0 offset:76
	buffer_load_dword v163, off, s[0:3], 0 offset:84
	;; [unrolled: 1-line block ×52, first 2 shown]
	ds_read2_b64 v[171:174], v9 offset0:67 offset1:68
	ds_read2_b64 v[175:178], v9 offset0:69 offset1:70
	;; [unrolled: 1-line block ×3, first 2 shown]
	s_clause 0x1
	buffer_load_dword v168, off, s[0:3], 0 offset:268
	buffer_load_dword v169, off, s[0:3], 0 offset:276
	ds_read2_b64 v[183:186], v9 offset0:73 offset1:74
	s_mov_b32 s4, exec_lo
	s_waitcnt vmcnt(53) lgkmcnt(3)
	v_mul_f32_e32 v187, v171, v162
	v_mul_f32_e32 v188, v172, v162
	s_waitcnt vmcnt(52)
	v_mul_f32_e32 v189, v173, v163
	v_mul_f32_e32 v163, v174, v163
	buffer_load_dword v162, off, s[0:3], 0 offset:68
	s_waitcnt vmcnt(50)
	v_fmac_f32_e32 v187, v172, v7
	v_fma_f32 v188, v171, v7, -v188
	v_fmac_f32_e32 v189, v174, v5
	v_fma_f32 v163, v173, v5, -v163
	ds_read2_b64 v[171:174], v9 offset0:75 offset1:76
	s_waitcnt vmcnt(49) lgkmcnt(3)
	v_mul_f32_e32 v190, v175, v2
	s_waitcnt vmcnt(48)
	v_mul_f32_e32 v191, v177, v3
	v_mul_f32_e32 v2, v176, v2
	;; [unrolled: 1-line block ×3, first 2 shown]
	s_waitcnt vmcnt(47) lgkmcnt(2)
	v_mul_f32_e32 v192, v179, v6
	v_mul_f32_e32 v5, v180, v6
	v_fmac_f32_e32 v190, v176, v1
	v_fma_f32 v193, v175, v1, -v2
	s_waitcnt vmcnt(46)
	v_mul_f32_e32 v194, v181, v4
	v_mul_f32_e32 v6, v182, v4
	s_waitcnt vmcnt(42)
	v_fma_f32 v195, v177, v129, -v3
	ds_read2_b64 v[1:4], v9 offset0:77 offset1:78
	v_fmac_f32_e32 v191, v178, v129
	v_fmac_f32_e32 v192, v180, v128
	v_fma_f32 v179, v179, v128, -v5
	v_fmac_f32_e32 v194, v182, v11
	v_fma_f32 v11, v181, v11, -v6
	ds_read2_b64 v[175:178], v9 offset0:79 offset1:80
	s_waitcnt vmcnt(41) lgkmcnt(3)
	v_mul_f32_e32 v180, v183, v12
	v_mul_f32_e32 v5, v184, v12
	s_waitcnt vmcnt(40)
	v_mul_f32_e32 v12, v185, v10
	v_mul_f32_e32 v6, v186, v10
	s_waitcnt vmcnt(39) lgkmcnt(2)
	v_mul_f32_e32 v10, v171, v130
	v_fmac_f32_e32 v180, v184, v8
	v_fma_f32 v181, v183, v8, -v5
	v_mul_f32_e32 v128, v172, v130
	s_waitcnt vmcnt(38)
	v_mul_f32_e32 v129, v174, v131
	s_waitcnt vmcnt(34)
	v_fmac_f32_e32 v12, v186, v137
	v_fma_f32 v137, v185, v137, -v6
	ds_read2_b64 v[5:8], v9 offset0:81 offset1:82
	v_mul_f32_e32 v182, v173, v131
	v_fmac_f32_e32 v10, v172, v136
	v_fma_f32 v136, v171, v136, -v128
	v_fma_f32 v171, v173, v134, -v129
	ds_read2_b64 v[128:131], v9 offset0:83 offset1:84
	v_fmac_f32_e32 v182, v174, v134
	s_waitcnt vmcnt(33) lgkmcnt(3)
	v_mul_f32_e32 v172, v1, v135
	v_mul_f32_e32 v134, v2, v135
	s_waitcnt vmcnt(32)
	v_mul_f32_e32 v173, v3, v133
	v_mul_f32_e32 v133, v4, v133
	s_waitcnt vmcnt(31) lgkmcnt(2)
	v_mul_f32_e32 v174, v175, v138
	v_fmac_f32_e32 v172, v2, v132
	v_fma_f32 v183, v1, v132, -v134
	v_mul_f32_e32 v132, v176, v138
	s_waitcnt vmcnt(30)
	v_mul_f32_e32 v184, v177, v139
	v_mul_f32_e32 v134, v178, v139
	s_waitcnt vmcnt(26)
	v_fmac_f32_e32 v173, v4, v145
	v_fma_f32 v138, v3, v145, -v133
	ds_read2_b64 v[1:4], v9 offset0:85 offset1:86
	v_fmac_f32_e32 v174, v176, v144
	v_fma_f32 v139, v175, v144, -v132
	s_waitcnt vmcnt(25) lgkmcnt(2)
	v_mul_f32_e32 v144, v5, v143
	v_fmac_f32_e32 v184, v178, v142
	v_fma_f32 v142, v177, v142, -v134
	ds_read2_b64 v[132:135], v9 offset0:87 offset1:88
	v_mul_f32_e32 v143, v6, v143
	s_waitcnt vmcnt(24)
	v_mul_f32_e32 v145, v7, v141
	v_mul_f32_e32 v141, v8, v141
	s_waitcnt vmcnt(23) lgkmcnt(2)
	v_mul_f32_e32 v175, v128, v146
	v_fmac_f32_e32 v144, v6, v140
	v_mul_f32_e32 v6, v129, v146
	v_fma_f32 v5, v5, v140, -v143
	s_waitcnt vmcnt(22)
	v_mul_f32_e32 v140, v130, v147
	v_mul_f32_e32 v143, v131, v147
	s_waitcnt vmcnt(18)
	v_fmac_f32_e32 v145, v8, v154
	v_fma_f32 v7, v7, v154, -v141
	v_fmac_f32_e32 v175, v129, v153
	v_fma_f32 v6, v128, v153, -v6
	s_clause 0x5
	buffer_load_dword v141, off, s[0:3], 0 offset:292
	buffer_load_dword v146, off, s[0:3], 0 offset:296
	;; [unrolled: 1-line block ×6, first 2 shown]
	v_fma_f32 v128, v130, v149, -v143
	s_waitcnt vmcnt(23) lgkmcnt(1)
	v_mul_f32_e32 v129, v1, v150
	s_waitcnt vmcnt(22)
	v_mul_f32_e32 v143, v3, v151
	v_mul_f32_e32 v8, v2, v150
	;; [unrolled: 1-line block ×3, first 2 shown]
	v_fmac_f32_e32 v140, v131, v149
	v_fmac_f32_e32 v129, v2, v148
	s_waitcnt vmcnt(18)
	v_fmac_f32_e32 v143, v4, v161
	v_fma_f32 v131, v1, v148, -v8
	v_fma_f32 v148, v3, v161, -v130
	s_waitcnt vmcnt(17) lgkmcnt(0)
	v_mul_f32_e32 v161, v132, v159
	v_mul_f32_e32 v8, v133, v159
	s_clause 0x1
	buffer_load_dword v149, off, s[0:3], 0 offset:308
	buffer_load_dword v150, off, s[0:3], 0 offset:316
	ds_read2_b64 v[1:4], v9 offset0:89 offset1:90
	buffer_load_dword v151, off, s[0:3], 0 offset:324
	s_waitcnt vmcnt(19)
	v_mul_f32_e32 v177, v134, v160
	v_mul_f32_e32 v130, v135, v160
	v_fmac_f32_e32 v161, v133, v158
	v_fma_f32 v132, v132, v158, -v8
	s_clause 0x5
	buffer_load_dword v158, off, s[0:3], 0 offset:344
	buffer_load_dword v159, off, s[0:3], 0 offset:336
	;; [unrolled: 1-line block ×6, first 2 shown]
	v_fmac_f32_e32 v177, v135, v157
	v_fma_f32 v157, v134, v157, -v130
	v_add_f32_e32 v8, 0, v187
	v_add_f32_e32 v130, 0, v188
	v_add_f32_e32 v8, v8, v189
	v_add_f32_e32 v130, v130, v163
	buffer_load_dword v163, off, s[0:3], 0 offset:348
	s_waitcnt vmcnt(25) lgkmcnt(0)
	v_mul_f32_e32 v133, v2, v156
	v_add_f32_e32 v8, v8, v190
	v_add_f32_e32 v130, v130, v193
	s_waitcnt vmcnt(24)
	v_mul_f32_e32 v134, v4, v155
	s_clause 0x3
	buffer_load_dword v187, off, s[0:3], 0 offset:356
	buffer_load_dword v188, off, s[0:3], 0 offset:364
	;; [unrolled: 1-line block ×4, first 2 shown]
	v_add_f32_e32 v8, v8, v191
	v_add_f32_e32 v130, v130, v195
	v_mul_f32_e32 v191, v1, v156
	v_mul_f32_e32 v156, v3, v155
	v_add_f32_e32 v8, v8, v192
	v_add_f32_e32 v130, v130, v179
	v_fmac_f32_e32 v191, v2, v152
	v_fma_f32 v152, v1, v152, -v133
	s_clause 0x3
	buffer_load_dword v155, off, s[0:3], 0 offset:388
	buffer_load_dword v179, off, s[0:3], 0 offset:396
	;; [unrolled: 1-line block ×4, first 2 shown]
	v_add_f32_e32 v1, v8, v194
	v_add_f32_e32 v2, v130, v11
	s_waitcnt vmcnt(27)
	v_fmac_f32_e32 v156, v4, v170
	v_fma_f32 v11, v3, v170, -v134
	s_clause 0x1
	buffer_load_dword v170, off, s[0:3], 0 offset:420
	buffer_load_dword v194, off, s[0:3], 0 offset:428
	v_add_f32_e32 v1, v1, v180
	v_add_f32_e32 v2, v2, v181
	s_clause 0x6
	buffer_load_dword v180, off, s[0:3], 0 offset:436
	buffer_load_dword v181, off, s[0:3], 0 offset:444
	;; [unrolled: 1-line block ×7, first 2 shown]
	v_add_f32_e32 v1, v1, v12
	v_add_f32_e32 v2, v2, v137
	;; [unrolled: 1-line block ×6, first 2 shown]
	s_clause 0x3
	buffer_load_dword v171, off, s[0:3], 0 offset:408
	buffer_load_dword v182, off, s[0:3], 0 offset:400
	;; [unrolled: 1-line block ×4, first 2 shown]
	v_add_f32_e32 v1, v1, v172
	v_add_f32_e32 v2, v2, v183
	;; [unrolled: 1-line block ×3, first 2 shown]
	s_clause 0x4
	buffer_load_dword v172, off, s[0:3], 0 offset:440
	buffer_load_dword v173, off, s[0:3], 0 offset:432
	;; [unrolled: 1-line block ×5, first 2 shown]
	v_add_f32_e32 v2, v2, v138
	v_add_f32_e32 v1, v1, v174
	buffer_load_dword v174, off, s[0:3], 0 offset:448
	v_add_f32_e32 v2, v2, v139
	v_add_f32_e32 v1, v1, v184
	;; [unrolled: 1-line block ×5, first 2 shown]
	ds_read2_b64 v[1:4], v9 offset0:91 offset1:92
	v_add_f32_e32 v5, v5, v7
	v_add_f32_e32 v7, v8, v145
	;; [unrolled: 1-line block ×4, first 2 shown]
	ds_read2_b64 v[5:8], v9 offset0:93 offset1:94
	v_add_f32_e32 v10, v10, v128
	v_add_f32_e32 v12, v12, v140
	;; [unrolled: 1-line block ×4, first 2 shown]
	s_waitcnt vmcnt(44) lgkmcnt(1)
	v_mul_f32_e32 v144, v3, v169
	v_mul_f32_e32 v130, v4, v169
	;; [unrolled: 1-line block ×3, first 2 shown]
	v_add_f32_e32 v10, v10, v148
	v_add_f32_e32 v12, v12, v143
	v_mul_f32_e32 v128, v2, v168
	v_fmac_f32_e32 v144, v4, v166
	v_fma_f32 v145, v3, v166, -v130
	v_add_f32_e32 v10, v10, v132
	v_add_f32_e32 v12, v12, v161
	s_waitcnt lgkmcnt(0)
	v_mul_f32_e32 v148, v5, v165
	v_mul_f32_e32 v133, v6, v165
	v_fmac_f32_e32 v142, v2, v167
	v_fma_f32 v140, v1, v167, -v128
	ds_read2_b64 v[1:4], v9 offset0:95 offset1:96
	ds_read2_b64 v[128:131], v9 offset0:97 offset1:98
	v_add_f32_e32 v10, v10, v157
	v_fmac_f32_e32 v148, v6, v164
	v_fma_f32 v164, v5, v164, -v133
	v_add_f32_e32 v12, v12, v177
	v_add_f32_e32 v10, v10, v152
	;; [unrolled: 1-line block ×9, first 2 shown]
	s_waitcnt vmcnt(42)
	v_mul_f32_e32 v166, v7, v141
	v_mul_f32_e32 v134, v8, v141
	s_waitcnt vmcnt(40) lgkmcnt(1)
	v_mul_f32_e32 v157, v1, v147
	v_mul_f32_e32 v136, v2, v147
	s_waitcnt vmcnt(37)
	v_fmac_f32_e32 v166, v8, v176
	v_fma_f32 v165, v7, v176, -v134
	ds_read2_b64 v[5:8], v9 offset0:99 offset1:100
	ds_read2_b64 v[132:135], v9 offset0:101 offset1:102
	v_fmac_f32_e32 v157, v2, v146
	v_fma_f32 v146, v1, v146, -v136
	s_waitcnt vmcnt(36)
	v_mul_f32_e32 v147, v3, v149
	v_mul_f32_e32 v137, v4, v149
	s_waitcnt vmcnt(35) lgkmcnt(2)
	v_mul_f32_e32 v149, v128, v150
	v_mul_f32_e32 v141, v129, v150
	s_waitcnt vmcnt(34)
	v_mul_f32_e32 v12, v131, v151
	v_mul_f32_e32 v152, v130, v151
	v_fmac_f32_e32 v147, v4, v154
	v_fmac_f32_e32 v149, v129, v153
	v_fma_f32 v151, v128, v153, -v141
	s_waitcnt vmcnt(29) lgkmcnt(1)
	v_mul_f32_e32 v145, v5, v185
	v_fma_f32 v153, v130, v178, -v12
	v_mul_f32_e32 v12, v6, v185
	v_fma_f32 v150, v3, v154, -v137
	s_waitcnt vmcnt(28)
	v_mul_f32_e32 v144, v7, v186
	v_fmac_f32_e32 v145, v6, v160
	v_add_f32_e32 v6, v10, v164
	v_mul_f32_e32 v154, v8, v186
	v_add_f32_e32 v10, v11, v148
	v_fmac_f32_e32 v144, v8, v159
	ds_read2_b64 v[1:4], v9 offset0:103 offset1:104
	ds_read2_b64 v[136:139], v9 offset0:105 offset1:106
	v_add_f32_e32 v156, v6, v165
	v_fma_f32 v154, v7, v159, -v154
	v_add_f32_e32 v159, v10, v166
	v_fmac_f32_e32 v152, v131, v178
	v_fma_f32 v148, v5, v160, -v12
	v_add_f32_e32 v146, v156, v146
	s_waitcnt vmcnt(27) lgkmcnt(2)
	v_mul_f32_e32 v156, v133, v163
	v_add_f32_e32 v157, v159, v157
	v_mul_f32_e32 v160, v132, v163
	s_waitcnt vmcnt(26)
	v_mul_f32_e32 v161, v135, v187
	v_add_f32_e32 v146, v146, v150
	v_fma_f32 v132, v132, v158, -v156
	v_add_f32_e32 v147, v157, v147
	v_mul_f32_e32 v159, v134, v187
	v_fmac_f32_e32 v160, v133, v158
	v_add_f32_e32 v146, v146, v151
	ds_read2_b64 v[128:131], v9 offset0:107 offset1:108
	ds_read2_b64 v[140:143], v9 offset0:109 offset1:110
	v_add_f32_e32 v147, v147, v149
	s_waitcnt vmcnt(25) lgkmcnt(3)
	v_mul_f32_e32 v150, v1, v188
	s_waitcnt vmcnt(24)
	v_mul_f32_e32 v157, v3, v189
	v_add_f32_e32 v146, v146, v153
	s_waitcnt vmcnt(23) lgkmcnt(2)
	v_mul_f32_e32 v163, v136, v190
	v_add_f32_e32 v147, v147, v152
	s_waitcnt vmcnt(22)
	v_mul_f32_e32 v151, v138, v155
	s_waitcnt vmcnt(12)
	v_fmac_f32_e32 v157, v4, v197
	v_add_f32_e32 v146, v146, v148
	s_waitcnt vmcnt(10)
	v_fma_f32 v134, v134, v199, -v161
	v_add_f32_e32 v145, v147, v145
	v_fmac_f32_e32 v159, v135, v199
	v_fmac_f32_e32 v150, v2, v198
	v_add_f32_e32 v146, v146, v154
	v_fmac_f32_e32 v163, v137, v196
	v_add_f32_e32 v144, v145, v144
	v_mul_f32_e32 v145, v2, v188
	ds_read2_b64 v[5:8], v9 offset0:111 offset1:112
	ds_read2_b64 v[9:12], v9 offset0:113 offset1:114
	v_add_f32_e32 v132, v146, v132
	s_waitcnt lgkmcnt(3)
	v_mul_f32_e32 v149, v128, v179
	v_add_f32_e32 v135, v144, v160
	v_mul_f32_e32 v144, v4, v189
	v_fma_f32 v1, v1, v198, -v145
	v_add_f32_e32 v2, v132, v134
	v_mul_f32_e32 v134, v137, v190
	v_add_f32_e32 v132, v135, v159
	v_fma_f32 v3, v3, v197, -v144
	v_mul_f32_e32 v4, v139, v155
	v_add_f32_e32 v1, v2, v1
	s_waitcnt vmcnt(6)
	v_fmac_f32_e32 v151, v139, v201
	v_add_f32_e32 v2, v132, v150
	v_fma_f32 v132, v136, v196, -v134
	v_fma_f32 v4, v138, v201, -v4
	v_add_f32_e32 v1, v1, v3
	v_mul_f32_e32 v3, v129, v179
	v_add_f32_e32 v2, v2, v157
	v_mul_f32_e32 v164, v130, v192
	v_fmac_f32_e32 v149, v129, v200
	v_add_f32_e32 v1, v1, v132
	v_mul_f32_e32 v132, v131, v192
	v_add_f32_e32 v2, v2, v163
	v_fma_f32 v3, v128, v200, -v3
	s_waitcnt lgkmcnt(2)
	v_mul_f32_e32 v153, v140, v193
	v_add_f32_e32 v1, v1, v4
	v_mul_f32_e32 v4, v141, v193
	v_add_f32_e32 v2, v2, v151
	v_fma_f32 v128, v130, v182, -v132
	v_fmac_f32_e32 v164, v131, v182
	v_add_f32_e32 v1, v1, v3
	v_mul_f32_e32 v3, v143, v170
	v_add_f32_e32 v2, v2, v149
	v_fma_f32 v4, v140, v171, -v4
	v_mul_f32_e32 v152, v142, v170
	v_add_f32_e32 v1, v1, v128
	v_fmac_f32_e32 v153, v141, v171
	v_add_f32_e32 v2, v2, v164
	s_waitcnt lgkmcnt(1)
	v_mul_f32_e32 v128, v6, v194
	s_waitcnt vmcnt(2)
	v_fma_f32 v3, v142, v202, -v3
	v_add_f32_e32 v1, v1, v4
	v_mul_f32_e32 v165, v5, v194
	v_fmac_f32_e32 v152, v143, v202
	v_add_f32_e32 v2, v2, v153
	v_mul_f32_e32 v4, v8, v180
	v_fma_f32 v5, v5, v183, -v128
	v_add_f32_e32 v1, v1, v3
	v_mul_f32_e32 v148, v7, v180
	v_fmac_f32_e32 v165, v6, v183
	v_add_f32_e32 v2, v2, v152
	s_waitcnt lgkmcnt(0)
	v_mul_f32_e32 v3, v10, v181
	v_fma_f32 v4, v7, v173, -v4
	v_add_f32_e32 v1, v1, v5
	v_mul_f32_e32 v147, v9, v181
	v_fmac_f32_e32 v148, v8, v173
	v_add_f32_e32 v2, v2, v165
	v_mul_f32_e32 v5, v12, v195
	v_fma_f32 v3, v9, v172, -v3
	v_add_f32_e32 v1, v1, v4
	v_mul_f32_e32 v133, v11, v195
	v_fmac_f32_e32 v147, v10, v172
	v_add_f32_e32 v2, v2, v148
	s_waitcnt vmcnt(0)
	v_fma_f32 v4, v11, v174, -v5
	v_add_f32_e32 v1, v1, v3
	v_fmac_f32_e32 v133, v12, v174
	v_add_f32_e32 v2, v2, v147
	v_add_f32_e32 v1, v1, v4
	;; [unrolled: 1-line block ×3, first 2 shown]
	v_sub_f32_e32 v1, v203, v1
	v_sub_f32_e32 v2, v162, v2
	buffer_store_dword v1, off, s[0:3], 0 offset:64
	buffer_store_dword v2, off, s[0:3], 0 offset:68
	v_cmpx_lt_u32_e32 7, v0
	s_cbranch_execz .LBB56_341
; %bb.340:
	s_clause 0x1
	buffer_load_dword v1, off, s[0:3], 0 offset:56
	buffer_load_dword v2, off, s[0:3], 0 offset:60
	v_mov_b32_e32 v3, 0
	buffer_store_dword v3, off, s[0:3], 0 offset:56
	buffer_store_dword v3, off, s[0:3], 0 offset:60
	s_waitcnt vmcnt(0)
	ds_write_b64 v127, v[1:2]
.LBB56_341:
	s_or_b32 exec_lo, exec_lo, s4
	s_waitcnt lgkmcnt(0)
	s_waitcnt_vscnt null, 0x0
	s_barrier
	buffer_gl0_inv
	s_clause 0x33
	buffer_load_dword v11, off, s[0:3], 0 offset:68
	buffer_load_dword v12, off, s[0:3], 0 offset:76
	;; [unrolled: 1-line block ×52, first 2 shown]
	v_mov_b32_e32 v9, 0
	ds_read_b128 v[5:8], v9 offset:528
	ds_read_b128 v[1:4], v9 offset:544
	;; [unrolled: 1-line block ×3, first 2 shown]
	s_clause 0x2
	buffer_load_dword v177, off, s[0:3], 0 offset:260
	buffer_load_dword v178, off, s[0:3], 0 offset:268
	buffer_load_dword v179, off, s[0:3], 0 offset:60
	ds_read_b128 v[184:187], v9 offset:576
	s_mov_b32 s4, exec_lo
	s_waitcnt vmcnt(54) lgkmcnt(3)
	v_mul_f32_e32 v188, v5, v11
	s_waitcnt vmcnt(53)
	v_mul_f32_e32 v189, v7, v12
	v_mul_f32_e32 v11, v6, v11
	v_mul_f32_e32 v12, v8, v12
	s_waitcnt vmcnt(50)
	v_fmac_f32_e32 v188, v6, v133
	v_fmac_f32_e32 v189, v8, v131
	v_fma_f32 v11, v5, v133, -v11
	v_fma_f32 v12, v7, v131, -v12
	ds_read_b128 v[5:8], v9 offset:592
	s_waitcnt vmcnt(49) lgkmcnt(3)
	v_mul_f32_e32 v190, v1, v128
	s_waitcnt vmcnt(48)
	v_mul_f32_e32 v191, v3, v129
	v_mul_f32_e32 v128, v2, v128
	;; [unrolled: 1-line block ×3, first 2 shown]
	s_waitcnt vmcnt(47) lgkmcnt(2)
	v_mul_f32_e32 v192, v180, v132
	v_mul_f32_e32 v131, v181, v132
	v_fmac_f32_e32 v190, v2, v10
	v_fma_f32 v10, v1, v10, -v128
	s_waitcnt vmcnt(46)
	v_mul_f32_e32 v193, v182, v130
	v_mul_f32_e32 v128, v183, v130
	s_waitcnt vmcnt(42)
	v_fmac_f32_e32 v191, v4, v139
	v_fma_f32 v139, v3, v139, -v129
	ds_read_b128 v[1:4], v9 offset:608
	v_fmac_f32_e32 v192, v181, v138
	v_fma_f32 v138, v180, v138, -v131
	v_fmac_f32_e32 v193, v183, v136
	v_fma_f32 v136, v182, v136, -v128
	ds_read_b128 v[128:131], v9 offset:624
	s_waitcnt vmcnt(41) lgkmcnt(3)
	v_mul_f32_e32 v180, v184, v137
	v_mul_f32_e32 v132, v185, v137
	s_waitcnt vmcnt(40)
	v_mul_f32_e32 v137, v186, v135
	v_mul_f32_e32 v133, v187, v135
	s_waitcnt vmcnt(39) lgkmcnt(2)
	v_mul_f32_e32 v181, v5, v140
	v_fmac_f32_e32 v180, v185, v134
	v_fma_f32 v182, v184, v134, -v132
	s_waitcnt vmcnt(38)
	v_mul_f32_e32 v183, v7, v141
	v_mul_f32_e32 v140, v6, v140
	;; [unrolled: 1-line block ×3, first 2 shown]
	s_waitcnt vmcnt(34)
	v_fmac_f32_e32 v137, v187, v147
	v_fma_f32 v147, v186, v147, -v133
	ds_read_b128 v[132:135], v9 offset:640
	v_fmac_f32_e32 v181, v6, v146
	v_fmac_f32_e32 v183, v8, v144
	v_fma_f32 v140, v5, v146, -v140
	v_fma_f32 v141, v7, v144, -v141
	ds_read_b128 v[5:8], v9 offset:656
	s_waitcnt vmcnt(33) lgkmcnt(3)
	v_mul_f32_e32 v144, v1, v145
	v_mul_f32_e32 v145, v2, v145
	s_waitcnt vmcnt(32)
	v_mul_f32_e32 v146, v3, v143
	v_mul_f32_e32 v143, v4, v143
	s_waitcnt vmcnt(31) lgkmcnt(2)
	v_mul_f32_e32 v184, v128, v148
	v_fmac_f32_e32 v144, v2, v142
	v_fma_f32 v142, v1, v142, -v145
	s_waitcnt vmcnt(30)
	v_mul_f32_e32 v145, v130, v149
	v_mul_f32_e32 v149, v131, v149
	;; [unrolled: 1-line block ×3, first 2 shown]
	s_waitcnt vmcnt(26)
	v_fmac_f32_e32 v146, v4, v156
	v_fma_f32 v143, v3, v156, -v143
	v_fmac_f32_e32 v145, v131, v153
	v_fma_f32 v149, v130, v153, -v149
	s_waitcnt vmcnt(25) lgkmcnt(1)
	v_mul_f32_e32 v153, v132, v154
	v_mul_f32_e32 v154, v133, v154
	ds_read_b128 v[1:4], v9 offset:672
	v_fmac_f32_e32 v184, v129, v155
	v_fma_f32 v148, v128, v155, -v148
	s_waitcnt vmcnt(24)
	v_mul_f32_e32 v155, v134, v152
	v_mul_f32_e32 v152, v135, v152
	s_waitcnt vmcnt(23) lgkmcnt(1)
	v_mul_f32_e32 v156, v5, v157
	v_fmac_f32_e32 v153, v133, v150
	v_fma_f32 v132, v132, v150, -v154
	v_mul_f32_e32 v150, v6, v157
	ds_read_b128 v[128:131], v9 offset:688
	s_waitcnt vmcnt(22)
	v_mul_f32_e32 v133, v7, v159
	v_mul_f32_e32 v154, v8, v159
	s_waitcnt vmcnt(18)
	v_fmac_f32_e32 v155, v135, v167
	v_fma_f32 v134, v134, v167, -v152
	v_fmac_f32_e32 v156, v6, v166
	v_fma_f32 v5, v5, v166, -v150
	s_clause 0x5
	buffer_load_dword v135, off, s[0:3], 0 offset:284
	buffer_load_dword v150, off, s[0:3], 0 offset:288
	;; [unrolled: 1-line block ×6, first 2 shown]
	v_fmac_f32_e32 v133, v8, v165
	v_fma_f32 v6, v7, v165, -v154
	s_clause 0x1
	buffer_load_dword v154, off, s[0:3], 0 offset:300
	buffer_load_dword v165, off, s[0:3], 0 offset:308
	s_waitcnt vmcnt(25) lgkmcnt(1)
	v_mul_f32_e32 v167, v1, v163
	s_waitcnt vmcnt(24)
	v_mul_f32_e32 v185, v3, v164
	v_mul_f32_e32 v7, v2, v163
	;; [unrolled: 1-line block ×3, first 2 shown]
	buffer_load_dword v163, off, s[0:3], 0 offset:316
	v_fmac_f32_e32 v167, v2, v161
	s_waitcnt vmcnt(21)
	v_fmac_f32_e32 v185, v4, v175
	v_fma_f32 v161, v1, v161, -v7
	v_fma_f32 v164, v3, v175, -v8
	ds_read_b128 v[1:4], v9 offset:704
	s_waitcnt vmcnt(20) lgkmcnt(1)
	v_mul_f32_e32 v175, v128, v173
	s_waitcnt vmcnt(19)
	v_mul_f32_e32 v186, v130, v174
	v_mul_f32_e32 v7, v129, v173
	;; [unrolled: 1-line block ×3, first 2 shown]
	s_clause 0x4
	buffer_load_dword v173, off, s[0:3], 0 offset:336
	buffer_load_dword v174, off, s[0:3], 0 offset:328
	;; [unrolled: 1-line block ×5, first 2 shown]
	v_fmac_f32_e32 v175, v129, v172
	v_fmac_f32_e32 v186, v131, v171
	v_fma_f32 v172, v128, v172, -v7
	v_add_f32_e32 v7, 0, v188
	v_fma_f32 v171, v130, v171, -v8
	buffer_load_dword v188, off, s[0:3], 0 offset:332
	v_add_f32_e32 v8, 0, v11
	v_add_f32_e32 v7, v7, v189
	buffer_load_dword v189, off, s[0:3], 0 offset:340
	v_add_f32_e32 v8, v8, v12
	v_add_f32_e32 v7, v7, v190
	s_waitcnt vmcnt(25) lgkmcnt(0)
	v_mul_f32_e32 v11, v1, v170
	v_mul_f32_e32 v12, v2, v170
	s_waitcnt vmcnt(24)
	v_mul_f32_e32 v170, v3, v169
	v_mul_f32_e32 v128, v4, v169
	v_fmac_f32_e32 v11, v2, v168
	v_add_f32_e32 v2, v7, v191
	v_fma_f32 v12, v1, v168, -v12
	s_clause 0x2
	buffer_load_dword v168, off, s[0:3], 0 offset:348
	buffer_load_dword v169, off, s[0:3], 0 offset:356
	;; [unrolled: 1-line block ×3, first 2 shown]
	v_add_f32_e32 v1, v8, v10
	buffer_load_dword v191, off, s[0:3], 0 offset:380
	v_add_f32_e32 v2, v2, v192
	s_waitcnt vmcnt(23)
	v_fmac_f32_e32 v170, v4, v176
	v_fma_f32 v10, v3, v176, -v128
	s_clause 0x5
	buffer_load_dword v176, off, s[0:3], 0 offset:372
	buffer_load_dword v192, off, s[0:3], 0 offset:368
	;; [unrolled: 1-line block ×6, first 2 shown]
	v_add_f32_e32 v1, v1, v139
	v_add_f32_e32 v2, v2, v193
	s_clause 0x1
	buffer_load_dword v193, off, s[0:3], 0 offset:396
	buffer_load_dword v200, off, s[0:3], 0 offset:404
	v_add_f32_e32 v1, v1, v138
	v_add_f32_e32 v2, v2, v180
	v_add_f32_e32 v1, v1, v136
	v_add_f32_e32 v2, v2, v137
	v_add_f32_e32 v1, v1, v182
	v_add_f32_e32 v2, v2, v181
	s_clause 0x5
	buffer_load_dword v180, off, s[0:3], 0 offset:412
	buffer_load_dword v182, off, s[0:3], 0 offset:420
	buffer_load_dword v201, off, s[0:3], 0 offset:428
	buffer_load_dword v202, off, s[0:3], 0 offset:436
	buffer_load_dword v203, off, s[0:3], 0 offset:444
	buffer_load_dword v181, off, s[0:3], 0 offset:452
	v_add_f32_e32 v2, v2, v183
	s_clause 0x3
	buffer_load_dword v183, off, s[0:3], 0 offset:400
	buffer_load_dword v204, off, s[0:3], 0 offset:392
	;; [unrolled: 1-line block ×4, first 2 shown]
	v_add_f32_e32 v1, v1, v147
	v_add_f32_e32 v2, v2, v144
	;; [unrolled: 1-line block ×6, first 2 shown]
	s_clause 0x3
	buffer_load_dword v184, off, s[0:3], 0 offset:432
	buffer_load_dword v207, off, s[0:3], 0 offset:424
	;; [unrolled: 1-line block ×4, first 2 shown]
	v_add_f32_e32 v1, v1, v142
	v_add_f32_e32 v2, v2, v145
	;; [unrolled: 1-line block ×5, first 2 shown]
	s_clause 0x1
	buffer_load_dword v148, off, s[0:3], 0 offset:448
	buffer_load_dword v210, off, s[0:3], 0 offset:440
	v_add_f32_e32 v7, v2, v155
	v_add_f32_e32 v1, v1, v149
	buffer_load_dword v149, off, s[0:3], 0 offset:56
	v_add_f32_e32 v7, v7, v156
	v_add_f32_e32 v1, v1, v132
	;; [unrolled: 1-line block ×4, first 2 shown]
	ds_read_b128 v[1:4], v9 offset:720
	v_add_f32_e32 v128, v128, v167
	v_add_f32_e32 v5, v8, v5
	;; [unrolled: 1-line block ×4, first 2 shown]
	ds_read_b128 v[5:8], v9 offset:736
	v_add_f32_e32 v132, v132, v175
	v_add_f32_e32 v129, v129, v161
	;; [unrolled: 1-line block ×4, first 2 shown]
	s_waitcnt vmcnt(47) lgkmcnt(1)
	v_mul_f32_e32 v136, v1, v177
	s_waitcnt vmcnt(46)
	v_mul_f32_e32 v140, v3, v178
	v_mul_f32_e32 v130, v2, v177
	;; [unrolled: 1-line block ×3, first 2 shown]
	v_add_f32_e32 v133, v133, v172
	v_fmac_f32_e32 v136, v2, v162
	v_fmac_f32_e32 v140, v4, v160
	v_fma_f32 v137, v1, v162, -v130
	v_fma_f32 v141, v3, v160, -v131
	v_add_f32_e32 v139, v133, v171
	ds_read_b128 v[1:4], v9 offset:752
	ds_read_b128 v[128:131], v9 offset:768
	s_waitcnt lgkmcnt(2)
	v_mul_f32_e32 v144, v5, v158
	v_mul_f32_e32 v134, v6, v158
	v_add_f32_e32 v12, v139, v12
	v_add_f32_e32 v11, v138, v11
	v_fmac_f32_e32 v144, v6, v151
	v_fma_f32 v146, v5, v151, -v134
	v_add_f32_e32 v10, v12, v10
	v_add_f32_e32 v11, v11, v170
	;; [unrolled: 1-line block ×8, first 2 shown]
	s_waitcnt vmcnt(44)
	v_mul_f32_e32 v145, v7, v135
	v_mul_f32_e32 v135, v8, v135
	s_waitcnt vmcnt(42) lgkmcnt(1)
	v_mul_f32_e32 v151, v1, v152
	v_mul_f32_e32 v138, v2, v152
	s_waitcnt vmcnt(39)
	v_fmac_f32_e32 v145, v8, v166
	v_fma_f32 v147, v7, v166, -v135
	ds_read_b128 v[5:8], v9 offset:784
	ds_read_b128 v[132:135], v9 offset:800
	s_waitcnt vmcnt(37) lgkmcnt(2)
	v_mul_f32_e32 v153, v128, v165
	v_mul_f32_e32 v142, v129, v165
	;; [unrolled: 1-line block ×3, first 2 shown]
	v_fmac_f32_e32 v151, v2, v150
	v_fma_f32 v150, v1, v150, -v138
	v_fmac_f32_e32 v153, v129, v157
	v_fma_f32 v155, v128, v157, -v142
	v_add_f32_e32 v10, v10, v147
	v_mul_f32_e32 v152, v3, v154
	v_fma_f32 v154, v3, v159, -v139
	s_waitcnt vmcnt(36)
	v_mul_f32_e32 v143, v131, v163
	v_mul_f32_e32 v12, v130, v163
	v_add_f32_e32 v150, v10, v150
	v_fmac_f32_e32 v152, v4, v159
	ds_read_b128 v[1:4], v9 offset:816
	ds_read_b128 v[136:139], v9 offset:832
	s_waitcnt vmcnt(32)
	v_fma_f32 v156, v130, v194, -v143
	v_fmac_f32_e32 v12, v131, v194
	v_add_f32_e32 v150, v150, v154
	s_waitcnt vmcnt(31) lgkmcnt(3)
	v_mul_f32_e32 v157, v5, v195
	v_mul_f32_e32 v144, v6, v195
	ds_read_b128 v[128:131], v9 offset:848
	ds_read_b128 v[140:143], v9 offset:864
	s_waitcnt vmcnt(30)
	v_mul_f32_e32 v146, v8, v188
	v_add_f32_e32 v150, v150, v155
	v_fmac_f32_e32 v157, v6, v187
	v_add_f32_e32 v6, v11, v145
	v_fma_f32 v159, v5, v187, -v144
	v_mul_f32_e32 v158, v7, v188
	v_add_f32_e32 v150, v150, v156
	v_fma_f32 v160, v7, v174, -v146
	v_add_f32_e32 v151, v6, v151
	s_waitcnt vmcnt(29) lgkmcnt(4)
	v_mul_f32_e32 v161, v133, v189
	v_fmac_f32_e32 v158, v8, v174
	v_add_f32_e32 v150, v150, v159
	ds_read_b128 v[5:8], v9 offset:880
	ds_read_b128 v[144:147], v9 offset:896
	ds_read_b64 v[10:11], v9 offset:912
	v_add_f32_e32 v151, v151, v152
	v_mul_f32_e32 v152, v132, v189
	s_waitcnt vmcnt(28)
	v_mul_f32_e32 v162, v135, v168
	v_fma_f32 v132, v132, v173, -v161
	v_add_f32_e32 v150, v150, v160
	v_add_f32_e32 v151, v151, v153
	v_mul_f32_e32 v154, v134, v168
	v_fmac_f32_e32 v152, v133, v173
	s_waitcnt vmcnt(27) lgkmcnt(6)
	v_mul_f32_e32 v153, v1, v169
	v_mul_f32_e32 v161, v2, v169
	v_add_f32_e32 v12, v151, v12
	s_waitcnt vmcnt(20)
	v_fma_f32 v134, v134, v198, -v162
	v_add_f32_e32 v132, v150, v132
	v_fmac_f32_e32 v154, v135, v198
	v_fmac_f32_e32 v153, v2, v197
	v_add_f32_e32 v12, v12, v157
	v_fma_f32 v1, v1, v197, -v161
	v_add_f32_e32 v2, v132, v134
	v_mul_f32_e32 v155, v3, v190
	s_waitcnt lgkmcnt(5)
	v_mul_f32_e32 v132, v137, v176
	v_add_f32_e32 v12, v12, v158
	v_mul_f32_e32 v158, v4, v190
	v_add_f32_e32 v1, v2, v1
	v_mul_f32_e32 v133, v136, v176
	v_fmac_f32_e32 v155, v4, v196
	v_add_f32_e32 v12, v12, v152
	v_fma_f32 v3, v3, v196, -v158
	v_mul_f32_e32 v4, v139, v191
	v_mul_f32_e32 v151, v138, v191
	v_fmac_f32_e32 v133, v137, v192
	v_add_f32_e32 v12, v12, v154
	v_add_f32_e32 v1, v1, v3
	s_waitcnt vmcnt(19) lgkmcnt(4)
	v_mul_f32_e32 v3, v129, v199
	s_waitcnt vmcnt(7)
	v_fma_f32 v4, v138, v206, -v4
	v_mul_f32_e32 v156, v128, v199
	v_add_f32_e32 v2, v12, v153
	v_fma_f32 v12, v136, v192, -v132
	v_fmac_f32_e32 v151, v139, v206
	v_fma_f32 v3, v128, v205, -v3
	v_mul_f32_e32 v135, v130, v193
	v_add_f32_e32 v2, v2, v155
	v_add_f32_e32 v1, v1, v12
	v_mul_f32_e32 v12, v131, v193
	v_fmac_f32_e32 v156, v129, v205
	s_waitcnt lgkmcnt(3)
	v_mul_f32_e32 v162, v140, v200
	v_add_f32_e32 v2, v2, v133
	v_add_f32_e32 v1, v1, v4
	v_mul_f32_e32 v4, v141, v200
	v_fma_f32 v12, v130, v204, -v12
	v_fmac_f32_e32 v135, v131, v204
	v_add_f32_e32 v2, v2, v151
	v_add_f32_e32 v1, v1, v3
	v_mul_f32_e32 v3, v143, v180
	v_fma_f32 v4, v140, v183, -v4
	v_mul_f32_e32 v157, v142, v180
	v_add_f32_e32 v2, v2, v156
	v_add_f32_e32 v1, v1, v12
	v_fmac_f32_e32 v162, v141, v183
	s_waitcnt lgkmcnt(2)
	v_mul_f32_e32 v12, v6, v182
	s_waitcnt vmcnt(3)
	v_fma_f32 v3, v142, v209, -v3
	v_add_f32_e32 v2, v2, v135
	v_add_f32_e32 v1, v1, v4
	v_mul_f32_e32 v159, v5, v182
	v_fmac_f32_e32 v157, v143, v209
	v_mul_f32_e32 v4, v8, v201
	v_add_f32_e32 v2, v2, v162
	v_fma_f32 v5, v5, v208, -v12
	v_add_f32_e32 v1, v1, v3
	v_mul_f32_e32 v163, v7, v201
	v_fmac_f32_e32 v159, v6, v208
	v_add_f32_e32 v2, v2, v157
	s_waitcnt lgkmcnt(1)
	v_mul_f32_e32 v3, v145, v202
	v_fma_f32 v4, v7, v207, -v4
	v_add_f32_e32 v1, v1, v5
	v_mul_f32_e32 v160, v144, v202
	v_fmac_f32_e32 v163, v8, v207
	v_add_f32_e32 v2, v2, v159
	v_mul_f32_e32 v5, v147, v203
	v_fma_f32 v3, v144, v184, -v3
	v_add_f32_e32 v1, v1, v4
	v_mul_f32_e32 v164, v146, v203
	v_fmac_f32_e32 v160, v145, v184
	v_add_f32_e32 v2, v2, v163
	s_waitcnt lgkmcnt(0)
	v_mul_f32_e32 v4, v11, v181
	s_waitcnt vmcnt(1)
	v_fma_f32 v5, v146, v210, -v5
	v_add_f32_e32 v1, v1, v3
	v_mul_f32_e32 v150, v10, v181
	v_fmac_f32_e32 v164, v147, v210
	v_add_f32_e32 v2, v2, v160
	v_fma_f32 v3, v10, v148, -v4
	v_add_f32_e32 v1, v1, v5
	v_fmac_f32_e32 v150, v11, v148
	v_add_f32_e32 v2, v2, v164
	v_add_f32_e32 v1, v1, v3
	;; [unrolled: 1-line block ×3, first 2 shown]
	s_waitcnt vmcnt(0)
	v_sub_f32_e32 v1, v149, v1
	v_sub_f32_e32 v2, v179, v2
	buffer_store_dword v1, off, s[0:3], 0 offset:56
	buffer_store_dword v2, off, s[0:3], 0 offset:60
	v_cmpx_lt_u32_e32 6, v0
	s_cbranch_execz .LBB56_343
; %bb.342:
	s_clause 0x1
	buffer_load_dword v1, off, s[0:3], 0 offset:48
	buffer_load_dword v2, off, s[0:3], 0 offset:52
	buffer_store_dword v9, off, s[0:3], 0 offset:48
	buffer_store_dword v9, off, s[0:3], 0 offset:52
	s_waitcnt vmcnt(0)
	ds_write_b64 v127, v[1:2]
.LBB56_343:
	s_or_b32 exec_lo, exec_lo, s4
	s_waitcnt lgkmcnt(0)
	s_waitcnt_vscnt null, 0x0
	s_barrier
	buffer_gl0_inv
	s_clause 0x35
	buffer_load_dword v1, off, s[0:3], 0 offset:60
	buffer_load_dword v3, off, s[0:3], 0 offset:68
	buffer_load_dword v5, off, s[0:3], 0 offset:76
	buffer_load_dword v2, off, s[0:3], 0 offset:72
	buffer_load_dword v4, off, s[0:3], 0 offset:64
	buffer_load_dword v7, off, s[0:3], 0 offset:56
	buffer_load_dword v6, off, s[0:3], 0 offset:84
	buffer_load_dword v8, off, s[0:3], 0 offset:104
	buffer_load_dword v10, off, s[0:3], 0 offset:96
	buffer_load_dword v11, off, s[0:3], 0 offset:88
	buffer_load_dword v131, off, s[0:3], 0 offset:80
	buffer_load_dword v130, off, s[0:3], 0 offset:92
	buffer_load_dword v129, off, s[0:3], 0 offset:100
	buffer_load_dword v12, off, s[0:3], 0 offset:108
	buffer_load_dword v128, off, s[0:3], 0 offset:116
	buffer_load_dword v132, off, s[0:3], 0 offset:136
	buffer_load_dword v133, off, s[0:3], 0 offset:128
	buffer_load_dword v134, off, s[0:3], 0 offset:120
	buffer_load_dword v139, off, s[0:3], 0 offset:112
	buffer_load_dword v138, off, s[0:3], 0 offset:124
	buffer_load_dword v137, off, s[0:3], 0 offset:132
	buffer_load_dword v135, off, s[0:3], 0 offset:140
	buffer_load_dword v136, off, s[0:3], 0 offset:148
	buffer_load_dword v140, off, s[0:3], 0 offset:168
	buffer_load_dword v141, off, s[0:3], 0 offset:160
	buffer_load_dword v142, off, s[0:3], 0 offset:152
	buffer_load_dword v146, off, s[0:3], 0 offset:144
	buffer_load_dword v145, off, s[0:3], 0 offset:156
	buffer_load_dword v144, off, s[0:3], 0 offset:164
	buffer_load_dword v143, off, s[0:3], 0 offset:172
	buffer_load_dword v147, off, s[0:3], 0 offset:180
	buffer_load_dword v148, off, s[0:3], 0 offset:200
	buffer_load_dword v149, off, s[0:3], 0 offset:192
	buffer_load_dword v150, off, s[0:3], 0 offset:184
	buffer_load_dword v154, off, s[0:3], 0 offset:176
	buffer_load_dword v153, off, s[0:3], 0 offset:188
	buffer_load_dword v152, off, s[0:3], 0 offset:196
	buffer_load_dword v151, off, s[0:3], 0 offset:204
	buffer_load_dword v155, off, s[0:3], 0 offset:212
	buffer_load_dword v156, off, s[0:3], 0 offset:232
	buffer_load_dword v157, off, s[0:3], 0 offset:224
	buffer_load_dword v159, off, s[0:3], 0 offset:216
	buffer_load_dword v163, off, s[0:3], 0 offset:208
	buffer_load_dword v161, off, s[0:3], 0 offset:220
	buffer_load_dword v160, off, s[0:3], 0 offset:228
	buffer_load_dword v158, off, s[0:3], 0 offset:236
	buffer_load_dword v162, off, s[0:3], 0 offset:244
	buffer_load_dword v164, off, s[0:3], 0 offset:264
	buffer_load_dword v165, off, s[0:3], 0 offset:268
	buffer_load_dword v167, off, s[0:3], 0 offset:256
	buffer_load_dword v168, off, s[0:3], 0 offset:248
	buffer_load_dword v171, off, s[0:3], 0 offset:240
	buffer_load_dword v170, off, s[0:3], 0 offset:252
	buffer_load_dword v169, off, s[0:3], 0 offset:260
	ds_read2_b64 v[172:175], v9 offset0:65 offset1:66
	ds_read2_b64 v[176:179], v9 offset0:67 offset1:68
	;; [unrolled: 1-line block ×4, first 2 shown]
	buffer_load_dword v166, off, s[0:3], 0 offset:52
	s_mov_b32 s4, exec_lo
	s_waitcnt vmcnt(54) lgkmcnt(3)
	v_mul_f32_e32 v188, v172, v1
	v_mul_f32_e32 v1, v173, v1
	s_waitcnt vmcnt(53)
	v_mul_f32_e32 v189, v174, v3
	v_mul_f32_e32 v3, v175, v3
	s_waitcnt vmcnt(52) lgkmcnt(2)
	v_mul_f32_e32 v190, v176, v5
	v_mul_f32_e32 v5, v177, v5
	s_waitcnt vmcnt(49)
	v_fma_f32 v191, v172, v7, -v1
	s_waitcnt vmcnt(48)
	v_mul_f32_e32 v1, v179, v6
	v_fmac_f32_e32 v188, v173, v7
	v_fmac_f32_e32 v189, v175, v4
	v_fma_f32 v193, v174, v4, -v3
	v_fmac_f32_e32 v190, v177, v2
	v_fma_f32 v176, v176, v2, -v5
	s_waitcnt vmcnt(44)
	v_fma_f32 v177, v178, v131, -v1
	ds_read2_b64 v[1:4], v9 offset0:73 offset1:74
	ds_read2_b64 v[172:175], v9 offset0:75 offset1:76
	v_mul_f32_e32 v192, v178, v6
	s_waitcnt vmcnt(43) lgkmcnt(3)
	v_mul_f32_e32 v178, v180, v130
	v_mul_f32_e32 v5, v181, v130
	s_waitcnt vmcnt(42)
	v_mul_f32_e32 v6, v183, v129
	s_waitcnt vmcnt(41) lgkmcnt(2)
	v_mul_f32_e32 v194, v184, v12
	v_fmac_f32_e32 v192, v179, v131
	v_mul_f32_e32 v179, v182, v129
	v_fmac_f32_e32 v178, v181, v11
	v_fma_f32 v11, v180, v11, -v5
	s_waitcnt vmcnt(40)
	v_mul_f32_e32 v180, v186, v128
	v_mul_f32_e32 v5, v185, v12
	v_mul_f32_e32 v7, v187, v128
	v_fmac_f32_e32 v179, v183, v10
	v_fma_f32 v10, v182, v10, -v6
	v_fmac_f32_e32 v194, v185, v8
	s_waitcnt vmcnt(36)
	v_fmac_f32_e32 v180, v187, v139
	v_fma_f32 v12, v184, v8, -v5
	v_fma_f32 v139, v186, v139, -v7
	ds_read2_b64 v[5:8], v9 offset0:77 offset1:78
	ds_read2_b64 v[128:131], v9 offset0:79 offset1:80
	s_waitcnt vmcnt(35) lgkmcnt(3)
	v_mul_f32_e32 v181, v1, v138
	v_mul_f32_e32 v138, v2, v138
	s_waitcnt vmcnt(34)
	v_mul_f32_e32 v182, v3, v137
	v_mul_f32_e32 v137, v4, v137
	s_waitcnt vmcnt(33) lgkmcnt(2)
	v_mul_f32_e32 v183, v172, v135
	v_fmac_f32_e32 v181, v2, v134
	v_fma_f32 v138, v1, v134, -v138
	s_waitcnt vmcnt(32)
	v_mul_f32_e32 v184, v174, v136
	v_mul_f32_e32 v1, v173, v135
	;; [unrolled: 1-line block ×3, first 2 shown]
	v_fmac_f32_e32 v182, v4, v133
	v_fma_f32 v136, v3, v133, -v137
	v_fmac_f32_e32 v183, v173, v132
	s_waitcnt vmcnt(28)
	v_fmac_f32_e32 v184, v175, v146
	v_fma_f32 v137, v172, v132, -v1
	v_fma_f32 v146, v174, v146, -v2
	ds_read2_b64 v[1:4], v9 offset0:81 offset1:82
	ds_read2_b64 v[132:135], v9 offset0:83 offset1:84
	s_waitcnt vmcnt(27) lgkmcnt(3)
	v_mul_f32_e32 v172, v5, v145
	v_mul_f32_e32 v145, v6, v145
	s_waitcnt vmcnt(26)
	v_mul_f32_e32 v173, v7, v144
	v_mul_f32_e32 v144, v8, v144
	s_waitcnt vmcnt(25) lgkmcnt(2)
	v_mul_f32_e32 v174, v128, v143
	v_mul_f32_e32 v143, v129, v143
	v_fmac_f32_e32 v172, v6, v142
	v_fma_f32 v142, v5, v142, -v145
	s_waitcnt vmcnt(24)
	v_mul_f32_e32 v145, v130, v147
	v_mul_f32_e32 v5, v131, v147
	v_fmac_f32_e32 v173, v8, v141
	v_fma_f32 v141, v7, v141, -v144
	v_fmac_f32_e32 v174, v129, v140
	v_fma_f32 v140, v128, v140, -v143
	s_waitcnt vmcnt(20)
	v_fmac_f32_e32 v145, v131, v154
	v_fma_f32 v143, v130, v154, -v5
	ds_read2_b64 v[5:8], v9 offset0:85 offset1:86
	ds_read2_b64 v[128:131], v9 offset0:87 offset1:88
	s_waitcnt vmcnt(19) lgkmcnt(3)
	v_mul_f32_e32 v147, v2, v153
	v_mul_f32_e32 v144, v1, v153
	s_waitcnt vmcnt(18)
	v_mul_f32_e32 v153, v3, v152
	v_mul_f32_e32 v152, v4, v152
	s_waitcnt vmcnt(17) lgkmcnt(2)
	v_mul_f32_e32 v154, v132, v151
	v_fma_f32 v147, v1, v150, -v147
	s_waitcnt vmcnt(16)
	v_mul_f32_e32 v1, v135, v155
	v_mul_f32_e32 v151, v133, v151
	v_fmac_f32_e32 v144, v2, v150
	v_mul_f32_e32 v150, v134, v155
	v_fmac_f32_e32 v153, v4, v149
	v_fma_f32 v149, v3, v149, -v152
	s_clause 0x4
	buffer_load_dword v152, off, s[0:3], 0 offset:276
	buffer_load_dword v155, off, s[0:3], 0 offset:296
	buffer_load_dword v175, off, s[0:3], 0 offset:288
	buffer_load_dword v185, off, s[0:3], 0 offset:280
	buffer_load_dword v186, off, s[0:3], 0 offset:272
	v_fmac_f32_e32 v154, v133, v148
	s_waitcnt vmcnt(17)
	v_fma_f32 v133, v134, v163, -v1
	ds_read2_b64 v[1:4], v9 offset0:89 offset1:90
	v_fmac_f32_e32 v150, v135, v163
	v_fma_f32 v132, v132, v148, -v151
	s_waitcnt vmcnt(16) lgkmcnt(2)
	v_mul_f32_e32 v134, v5, v161
	v_mul_f32_e32 v135, v6, v161
	s_waitcnt vmcnt(15)
	v_mul_f32_e32 v148, v7, v160
	v_mul_f32_e32 v151, v8, v160
	buffer_load_dword v160, off, s[0:3], 0 offset:292
	v_fmac_f32_e32 v134, v6, v159
	v_fma_f32 v135, v5, v159, -v135
	buffer_load_dword v159, off, s[0:3], 0 offset:284
	v_fmac_f32_e32 v148, v8, v157
	v_fma_f32 v151, v7, v157, -v151
	s_waitcnt vmcnt(16) lgkmcnt(1)
	v_mul_f32_e32 v157, v128, v158
	v_mul_f32_e32 v5, v129, v158
	s_waitcnt vmcnt(15)
	v_mul_f32_e32 v6, v131, v162
	v_mul_f32_e32 v158, v130, v162
	v_fmac_f32_e32 v157, v129, v156
	v_fma_f32 v156, v128, v156, -v5
	s_waitcnt vmcnt(10)
	v_fma_f32 v161, v130, v171, -v6
	ds_read2_b64 v[5:8], v9 offset0:91 offset1:92
	s_waitcnt vmcnt(9) lgkmcnt(1)
	v_mul_f32_e32 v162, v1, v170
	v_mul_f32_e32 v128, v2, v170
	s_waitcnt vmcnt(8)
	v_mul_f32_e32 v187, v3, v169
	v_fmac_f32_e32 v158, v131, v171
	s_clause 0x2
	buffer_load_dword v163, off, s[0:3], 0 offset:300
	buffer_load_dword v170, off, s[0:3], 0 offset:308
	;; [unrolled: 1-line block ×3, first 2 shown]
	v_fmac_f32_e32 v162, v2, v168
	v_fma_f32 v168, v1, v168, -v128
	v_mul_f32_e32 v1, v4, v169
	v_fmac_f32_e32 v187, v4, v167
	v_add_f32_e32 v2, 0, v191
	s_clause 0x3
	buffer_load_dword v169, off, s[0:3], 0 offset:328
	buffer_load_dword v195, off, s[0:3], 0 offset:320
	;; [unrolled: 1-line block ×4, first 2 shown]
	v_fma_f32 v167, v3, v167, -v1
	v_add_f32_e32 v1, 0, v188
	v_add_f32_e32 v2, v2, v193
	buffer_load_dword v188, off, s[0:3], 0 offset:324
	v_add_f32_e32 v1, v1, v189
	v_add_f32_e32 v2, v2, v176
	s_waitcnt lgkmcnt(0)
	v_mul_f32_e32 v3, v6, v165
	v_add_f32_e32 v1, v1, v190
	s_clause 0x1
	buffer_load_dword v189, off, s[0:3], 0 offset:332
	buffer_load_dword v190, off, s[0:3], 0 offset:340
	v_add_f32_e32 v2, v2, v177
	v_add_f32_e32 v1, v1, v192
	;; [unrolled: 1-line block ×3, first 2 shown]
	v_fma_f32 v11, v5, v164, -v3
	v_add_f32_e32 v1, v1, v178
	s_clause 0x5
	buffer_load_dword v176, off, s[0:3], 0 offset:360
	buffer_load_dword v177, off, s[0:3], 0 offset:352
	;; [unrolled: 1-line block ×6, first 2 shown]
	v_add_f32_e32 v2, v2, v10
	v_add_f32_e32 v1, v1, v179
	buffer_load_dword v179, off, s[0:3], 0 offset:348
	v_mul_f32_e32 v10, v5, v165
	v_add_f32_e32 v2, v2, v12
	v_add_f32_e32 v1, v1, v194
	v_fmac_f32_e32 v10, v6, v164
	v_add_f32_e32 v2, v2, v139
	v_add_f32_e32 v1, v1, v180
	s_clause 0x2
	buffer_load_dword v180, off, s[0:3], 0 offset:372
	buffer_load_dword v194, off, s[0:3], 0 offset:380
	buffer_load_dword v198, off, s[0:3], 0 offset:388
	v_add_f32_e32 v2, v2, v138
	v_add_f32_e32 v1, v1, v181
	s_clause 0x2
	buffer_load_dword v181, off, s[0:3], 0 offset:396
	buffer_load_dword v199, off, s[0:3], 0 offset:404
	buffer_load_dword v200, off, s[0:3], 0 offset:412
	;; [unrolled: 6-line block ×3, first 2 shown]
	buffer_load_dword v203, off, s[0:3], 0 offset:452
	v_add_f32_e32 v2, v2, v137
	v_add_f32_e32 v1, v1, v183
	buffer_load_dword v183, off, s[0:3], 0 offset:444
	v_add_f32_e32 v2, v2, v146
	v_add_f32_e32 v1, v1, v184
	;; [unrolled: 1-line block ×4, first 2 shown]
	s_clause 0x3
	buffer_load_dword v172, off, s[0:3], 0 offset:392
	buffer_load_dword v184, off, s[0:3], 0 offset:384
	;; [unrolled: 1-line block ×4, first 2 shown]
	v_add_f32_e32 v2, v2, v141
	v_add_f32_e32 v1, v1, v173
	;; [unrolled: 1-line block ×4, first 2 shown]
	s_clause 0x7
	buffer_load_dword v173, off, s[0:3], 0 offset:424
	buffer_load_dword v174, off, s[0:3], 0 offset:416
	;; [unrolled: 1-line block ×8, first 2 shown]
	v_add_f32_e32 v2, v2, v143
	v_add_f32_e32 v1, v1, v145
	;; [unrolled: 1-line block ×8, first 2 shown]
	ds_read2_b64 v[1:4], v9 offset0:93 offset1:94
	v_add_f32_e32 v12, v5, v133
	v_add_f32_e32 v128, v6, v150
	;; [unrolled: 1-line block ×4, first 2 shown]
	ds_read2_b64 v[128:131], v9 offset0:97 offset1:98
	v_add_f32_e32 v12, v12, v151
	v_add_f32_e32 v132, v132, v148
	;; [unrolled: 1-line block ×3, first 2 shown]
	s_waitcnt vmcnt(46)
	v_mul_f32_e32 v144, v7, v152
	v_mul_f32_e32 v5, v8, v152
	s_waitcnt vmcnt(42)
	v_fmac_f32_e32 v144, v8, v186
	v_fma_f32 v145, v7, v186, -v5
	ds_read2_b64 v[5:8], v9 offset0:95 offset1:96
	s_waitcnt vmcnt(41) lgkmcnt(2)
	v_mul_f32_e32 v136, v4, v160
	s_waitcnt vmcnt(40)
	v_mul_f32_e32 v133, v2, v159
	v_mul_f32_e32 v146, v1, v159
	v_fma_f32 v151, v3, v175, -v136
	v_fma_f32 v147, v1, v185, -v133
	v_add_f32_e32 v1, v132, v157
	v_fmac_f32_e32 v146, v2, v185
	v_add_f32_e32 v2, v12, v161
	ds_read2_b64 v[132:135], v9 offset0:99 offset1:100
	v_mul_f32_e32 v12, v3, v160
	v_add_f32_e32 v1, v1, v158
	v_add_f32_e32 v2, v2, v168
	s_waitcnt vmcnt(39) lgkmcnt(1)
	v_mul_f32_e32 v137, v6, v163
	v_mul_f32_e32 v148, v5, v163
	v_add_f32_e32 v1, v1, v162
	s_waitcnt vmcnt(37)
	v_mul_f32_e32 v150, v128, v171
	v_fmac_f32_e32 v12, v4, v175
	v_fma_f32 v152, v5, v155, -v137
	v_add_f32_e32 v5, v2, v167
	v_fmac_f32_e32 v148, v6, v155
	v_add_f32_e32 v6, v1, v187
	v_mul_f32_e32 v140, v8, v170
	v_mul_f32_e32 v141, v129, v171
	v_add_f32_e32 v11, v5, v11
	s_waitcnt vmcnt(34)
	v_fmac_f32_e32 v150, v129, v196
	v_add_f32_e32 v10, v6, v10
	v_mul_f32_e32 v149, v7, v170
	s_waitcnt vmcnt(33)
	v_fma_f32 v153, v7, v197, -v140
	v_add_f32_e32 v11, v11, v145
	ds_read2_b64 v[1:4], v9 offset0:101 offset1:102
	ds_read2_b64 v[136:139], v9 offset0:103 offset1:104
	v_add_f32_e32 v10, v10, v144
	v_fmac_f32_e32 v149, v8, v197
	v_fma_f32 v154, v128, v196, -v141
	s_waitcnt vmcnt(31) lgkmcnt(2)
	v_mul_f32_e32 v156, v132, v189
	v_add_f32_e32 v11, v11, v147
	s_waitcnt vmcnt(30)
	v_mul_f32_e32 v157, v134, v190
	v_add_f32_e32 v10, v10, v146
	v_mul_f32_e32 v129, v133, v189
	v_fmac_f32_e32 v156, v133, v169
	v_add_f32_e32 v133, v11, v151
	v_mul_f32_e32 v158, v135, v190
	v_mul_f32_e32 v128, v131, v188
	;; [unrolled: 1-line block ×3, first 2 shown]
	v_fma_f32 v132, v132, v169, -v129
	s_waitcnt vmcnt(26)
	v_fmac_f32_e32 v157, v135, v191
	v_add_f32_e32 v135, v10, v12
	v_add_f32_e32 v133, v133, v152
	v_fma_f32 v159, v130, v195, -v128
	v_fmac_f32_e32 v155, v131, v195
	v_fma_f32 v134, v134, v191, -v158
	v_add_f32_e32 v135, v135, v148
	v_add_f32_e32 v133, v133, v153
	s_waitcnt vmcnt(23) lgkmcnt(1)
	v_mul_f32_e32 v152, v2, v179
	ds_read2_b64 v[5:8], v9 offset0:105 offset1:106
	ds_read2_b64 v[140:143], v9 offset0:107 offset1:108
	v_mul_f32_e32 v151, v1, v179
	v_add_f32_e32 v135, v135, v149
	v_add_f32_e32 v133, v133, v154
	v_mul_f32_e32 v158, v4, v192
	v_fma_f32 v1, v1, v178, -v152
	v_mul_f32_e32 v148, v3, v192
	v_add_f32_e32 v135, v135, v150
	v_add_f32_e32 v133, v133, v159
	v_fmac_f32_e32 v151, v2, v178
	v_fma_f32 v3, v3, v177, -v158
	s_waitcnt lgkmcnt(2)
	v_mul_f32_e32 v153, v136, v193
	v_add_f32_e32 v135, v135, v155
	v_add_f32_e32 v132, v133, v132
	v_fmac_f32_e32 v148, v4, v177
	s_waitcnt vmcnt(22)
	v_mul_f32_e32 v149, v138, v180
	v_fmac_f32_e32 v153, v137, v176
	v_add_f32_e32 v135, v135, v156
	v_add_f32_e32 v132, v132, v134
	ds_read2_b64 v[128:131], v9 offset0:109 offset1:110
	ds_read2_b64 v[144:147], v9 offset0:111 offset1:112
	s_waitcnt vmcnt(21) lgkmcnt(3)
	v_mul_f32_e32 v160, v5, v194
	s_waitcnt vmcnt(20)
	v_mul_f32_e32 v154, v7, v198
	v_add_f32_e32 v134, v135, v157
	v_mul_f32_e32 v135, v137, v193
	v_add_f32_e32 v1, v132, v1
	v_mul_f32_e32 v132, v139, v180
	s_waitcnt vmcnt(19) lgkmcnt(2)
	v_mul_f32_e32 v150, v140, v181
	v_add_f32_e32 v4, v134, v151
	v_fma_f32 v134, v136, v176, -v135
	v_add_f32_e32 v1, v1, v3
	s_waitcnt vmcnt(9)
	v_fmac_f32_e32 v160, v6, v204
	s_waitcnt vmcnt(8)
	v_fma_f32 v132, v138, v205, -v132
	v_add_f32_e32 v3, v4, v148
	v_mul_f32_e32 v4, v6, v194
	v_add_f32_e32 v1, v1, v134
	v_fmac_f32_e32 v149, v139, v205
	v_mul_f32_e32 v134, v8, v198
	v_add_f32_e32 v3, v3, v153
	v_fma_f32 v4, v5, v204, -v4
	v_add_f32_e32 v1, v1, v132
	v_mul_f32_e32 v5, v141, v181
	v_fma_f32 v6, v7, v184, -v134
	v_add_f32_e32 v3, v3, v149
	v_fmac_f32_e32 v154, v8, v184
	v_add_f32_e32 v1, v1, v4
	v_mul_f32_e32 v4, v143, v199
	v_fma_f32 v5, v140, v172, -v5
	v_add_f32_e32 v3, v3, v160
	v_mul_f32_e32 v161, v142, v199
	v_add_f32_e32 v1, v1, v6
	v_fmac_f32_e32 v150, v141, v172
	ds_read2_b64 v[9:12], v9 offset0:113 offset1:114
	v_add_f32_e32 v3, v3, v154
	s_waitcnt lgkmcnt(2)
	v_mul_f32_e32 v6, v129, v200
	s_waitcnt vmcnt(4)
	v_fma_f32 v4, v142, v207, -v4
	v_add_f32_e32 v1, v1, v5
	v_mul_f32_e32 v159, v128, v200
	v_fmac_f32_e32 v161, v143, v207
	v_add_f32_e32 v3, v3, v150
	v_mul_f32_e32 v5, v131, v182
	v_fma_f32 v6, v128, v206, -v6
	v_add_f32_e32 v1, v1, v4
	v_mul_f32_e32 v155, v130, v182
	v_fmac_f32_e32 v159, v129, v206
	v_add_f32_e32 v3, v3, v161
	s_waitcnt lgkmcnt(1)
	v_mul_f32_e32 v4, v145, v201
	v_fma_f32 v5, v130, v174, -v5
	v_add_f32_e32 v1, v1, v6
	v_mul_f32_e32 v162, v144, v201
	v_fmac_f32_e32 v155, v131, v174
	v_add_f32_e32 v3, v3, v159
	v_mul_f32_e32 v6, v147, v202
	v_fma_f32 v4, v144, v173, -v4
	v_add_f32_e32 v1, v1, v5
	v_mul_f32_e32 v133, v146, v202
	v_fmac_f32_e32 v162, v145, v173
	v_add_f32_e32 v3, v3, v155
	s_waitcnt lgkmcnt(0)
	v_mul_f32_e32 v5, v10, v183
	s_waitcnt vmcnt(1)
	v_fma_f32 v6, v146, v210, -v6
	v_add_f32_e32 v1, v1, v4
	v_mul_f32_e32 v156, v9, v183
	v_fmac_f32_e32 v133, v147, v210
	v_add_f32_e32 v3, v3, v162
	v_mul_f32_e32 v4, v12, v203
	v_fma_f32 v5, v9, v209, -v5
	v_add_f32_e32 v1, v1, v6
	v_mul_f32_e32 v2, v11, v203
	v_fmac_f32_e32 v156, v10, v209
	v_add_f32_e32 v3, v3, v133
	v_fma_f32 v4, v11, v208, -v4
	v_add_f32_e32 v1, v1, v5
	v_fmac_f32_e32 v2, v12, v208
	v_add_f32_e32 v3, v3, v156
	v_add_f32_e32 v1, v1, v4
	;; [unrolled: 1-line block ×3, first 2 shown]
	s_waitcnt vmcnt(0)
	v_sub_f32_e32 v1, v211, v1
	v_sub_f32_e32 v2, v166, v2
	buffer_store_dword v1, off, s[0:3], 0 offset:48
	buffer_store_dword v2, off, s[0:3], 0 offset:52
	v_cmpx_lt_u32_e32 5, v0
	s_cbranch_execz .LBB56_345
; %bb.344:
	s_clause 0x1
	buffer_load_dword v1, off, s[0:3], 0 offset:40
	buffer_load_dword v2, off, s[0:3], 0 offset:44
	v_mov_b32_e32 v3, 0
	buffer_store_dword v3, off, s[0:3], 0 offset:40
	buffer_store_dword v3, off, s[0:3], 0 offset:44
	s_waitcnt vmcnt(0)
	ds_write_b64 v127, v[1:2]
.LBB56_345:
	s_or_b32 exec_lo, exec_lo, s4
	s_waitcnt lgkmcnt(0)
	s_waitcnt_vscnt null, 0x0
	s_barrier
	buffer_gl0_inv
	s_clause 0x35
	buffer_load_dword v2, off, s[0:3], 0 offset:52
	buffer_load_dword v4, off, s[0:3], 0 offset:60
	;; [unrolled: 1-line block ×54, first 2 shown]
	v_mov_b32_e32 v1, 0
	ds_read_b128 v[172:175], v1 offset:512
	ds_read_b128 v[176:179], v1 offset:528
	buffer_load_dword v169, off, s[0:3], 0 offset:44
	ds_read_b128 v[180:183], v1 offset:544
	ds_read_b128 v[184:187], v1 offset:560
	s_mov_b32 s4, exec_lo
	s_waitcnt vmcnt(54) lgkmcnt(3)
	v_mul_f32_e32 v188, v172, v2
	v_mul_f32_e32 v2, v173, v2
	s_waitcnt vmcnt(53)
	v_mul_f32_e32 v189, v174, v4
	v_mul_f32_e32 v4, v175, v4
	s_waitcnt vmcnt(52) lgkmcnt(2)
	v_mul_f32_e32 v190, v176, v6
	v_mul_f32_e32 v6, v177, v6
	s_waitcnt vmcnt(49)
	v_fma_f32 v191, v172, v8, -v2
	s_waitcnt vmcnt(48)
	v_mul_f32_e32 v2, v179, v7
	v_fmac_f32_e32 v188, v173, v8
	v_fmac_f32_e32 v189, v175, v5
	v_fma_f32 v193, v174, v5, -v4
	v_fmac_f32_e32 v190, v177, v3
	v_fma_f32 v176, v176, v3, -v6
	s_waitcnt vmcnt(44)
	v_fma_f32 v177, v178, v131, -v2
	ds_read_b128 v[2:5], v1 offset:576
	ds_read_b128 v[172:175], v1 offset:592
	v_mul_f32_e32 v192, v178, v7
	s_waitcnt vmcnt(43) lgkmcnt(3)
	v_mul_f32_e32 v178, v180, v129
	v_mul_f32_e32 v6, v181, v129
	s_waitcnt vmcnt(42)
	v_mul_f32_e32 v7, v183, v130
	s_waitcnt vmcnt(41) lgkmcnt(2)
	v_mul_f32_e32 v194, v184, v128
	v_fmac_f32_e32 v192, v179, v131
	v_mul_f32_e32 v179, v182, v130
	v_mul_f32_e32 v8, v185, v128
	v_fmac_f32_e32 v178, v181, v11
	v_fma_f32 v11, v180, v11, -v6
	s_waitcnt vmcnt(40)
	v_mul_f32_e32 v180, v186, v12
	v_mul_f32_e32 v6, v187, v12
	v_fmac_f32_e32 v179, v183, v10
	v_fma_f32 v10, v182, v10, -v7
	v_fmac_f32_e32 v194, v185, v9
	v_fma_f32 v12, v184, v9, -v8
	s_waitcnt vmcnt(36)
	v_fmac_f32_e32 v180, v187, v139
	v_fma_f32 v139, v186, v139, -v6
	ds_read_b128 v[6:9], v1 offset:608
	ds_read_b128 v[128:131], v1 offset:624
	s_waitcnt vmcnt(35) lgkmcnt(3)
	v_mul_f32_e32 v181, v2, v138
	v_mul_f32_e32 v138, v3, v138
	s_waitcnt vmcnt(34)
	v_mul_f32_e32 v182, v4, v137
	v_mul_f32_e32 v137, v5, v137
	s_waitcnt vmcnt(33) lgkmcnt(2)
	v_mul_f32_e32 v183, v172, v135
	v_fmac_f32_e32 v181, v3, v134
	v_fma_f32 v138, v2, v134, -v138
	s_waitcnt vmcnt(32)
	v_mul_f32_e32 v184, v174, v136
	v_mul_f32_e32 v2, v173, v135
	;; [unrolled: 1-line block ×3, first 2 shown]
	v_fmac_f32_e32 v182, v5, v133
	v_fma_f32 v136, v4, v133, -v137
	v_fmac_f32_e32 v183, v173, v132
	s_waitcnt vmcnt(28)
	v_fmac_f32_e32 v184, v175, v147
	v_fma_f32 v137, v172, v132, -v2
	v_fma_f32 v147, v174, v147, -v3
	ds_read_b128 v[2:5], v1 offset:640
	ds_read_b128 v[132:135], v1 offset:656
	s_waitcnt vmcnt(27) lgkmcnt(3)
	v_mul_f32_e32 v172, v6, v146
	v_mul_f32_e32 v146, v7, v146
	s_waitcnt vmcnt(26)
	v_mul_f32_e32 v173, v8, v145
	v_mul_f32_e32 v145, v9, v145
	s_waitcnt vmcnt(25) lgkmcnt(2)
	v_mul_f32_e32 v174, v128, v144
	v_fmac_f32_e32 v172, v7, v142
	v_fma_f32 v142, v6, v142, -v146
	v_fmac_f32_e32 v173, v9, v141
	v_fma_f32 v141, v8, v141, -v145
	s_clause 0x4
	buffer_load_dword v145, off, s[0:3], 0 offset:268
	buffer_load_dword v146, off, s[0:3], 0 offset:288
	;; [unrolled: 1-line block ×5, first 2 shown]
	v_mul_f32_e32 v144, v129, v144
	s_waitcnt vmcnt(29)
	v_mul_f32_e32 v6, v131, v143
	v_mul_f32_e32 v187, v130, v143
	v_fmac_f32_e32 v174, v129, v140
	v_fma_f32 v128, v128, v140, -v144
	s_waitcnt vmcnt(24)
	v_fma_f32 v130, v130, v156, -v6
	ds_read_b128 v[6:9], v1 offset:672
	buffer_load_dword v144, off, s[0:3], 0 offset:276
	s_waitcnt lgkmcnt(2)
	v_mul_f32_e32 v129, v2, v148
	v_mul_f32_e32 v140, v3, v148
	v_fmac_f32_e32 v187, v131, v156
	s_waitcnt vmcnt(24)
	v_mul_f32_e32 v131, v4, v154
	v_mul_f32_e32 v143, v5, v154
	v_fmac_f32_e32 v129, v3, v152
	v_fma_f32 v140, v2, v152, -v140
	s_waitcnt vmcnt(23) lgkmcnt(1)
	v_mul_f32_e32 v148, v132, v151
	v_mul_f32_e32 v2, v133, v151
	s_waitcnt vmcnt(22)
	v_mul_f32_e32 v3, v135, v155
	v_fmac_f32_e32 v131, v5, v150
	v_fma_f32 v143, v4, v150, -v143
	s_clause 0x1
	buffer_load_dword v150, off, s[0:3], 0 offset:284
	buffer_load_dword v151, off, s[0:3], 0 offset:292
	v_mul_f32_e32 v152, v134, v155
	v_fmac_f32_e32 v148, v133, v149
	v_fma_f32 v132, v132, v149, -v2
	s_clause 0x1
	buffer_load_dword v149, off, s[0:3], 0 offset:300
	buffer_load_dword v154, off, s[0:3], 0 offset:308
	v_add_f32_e32 v133, 0, v188
	s_waitcnt vmcnt(22)
	v_fma_f32 v134, v134, v163, -v3
	ds_read_b128 v[2:5], v1 offset:688
	v_fmac_f32_e32 v152, v135, v163
	s_waitcnt vmcnt(21) lgkmcnt(1)
	v_mul_f32_e32 v135, v6, v162
	v_mul_f32_e32 v155, v7, v162
	v_add_f32_e32 v133, v133, v189
	v_add_f32_e32 v162, 0, v191
	s_waitcnt vmcnt(20)
	v_mul_f32_e32 v156, v8, v161
	v_mul_f32_e32 v161, v9, v161
	v_fmac_f32_e32 v135, v7, v160
	v_fma_f32 v155, v6, v160, -v155
	v_add_f32_e32 v6, v162, v193
	v_add_f32_e32 v7, v133, v190
	v_fmac_f32_e32 v156, v9, v159
	v_fma_f32 v159, v8, v159, -v161
	s_clause 0x3
	buffer_load_dword v160, off, s[0:3], 0 offset:320
	buffer_load_dword v161, off, s[0:3], 0 offset:312
	;; [unrolled: 1-line block ×4, first 2 shown]
	v_add_f32_e32 v6, v6, v176
	v_add_f32_e32 v133, v7, v192
	s_clause 0x2
	buffer_load_dword v176, off, s[0:3], 0 offset:316
	buffer_load_dword v188, off, s[0:3], 0 offset:324
	;; [unrolled: 1-line block ×3, first 2 shown]
	v_add_f32_e32 v177, v6, v177
	ds_read_b128 v[6:9], v1 offset:704
	v_add_f32_e32 v133, v133, v178
	s_waitcnt vmcnt(26) lgkmcnt(1)
	v_mul_f32_e32 v178, v2, v157
	v_mul_f32_e32 v157, v3, v157
	v_add_f32_e32 v11, v177, v11
	s_waitcnt vmcnt(25)
	v_mul_f32_e32 v177, v4, v158
	v_mul_f32_e32 v158, v5, v158
	v_fmac_f32_e32 v178, v3, v153
	v_add_f32_e32 v3, v133, v179
	v_fma_f32 v133, v2, v153, -v157
	v_add_f32_e32 v2, v11, v10
	s_waitcnt vmcnt(20)
	v_fmac_f32_e32 v177, v5, v171
	v_fma_f32 v153, v4, v171, -v158
	v_add_f32_e32 v10, v3, v194
	s_clause 0x4
	buffer_load_dword v157, off, s[0:3], 0 offset:352
	buffer_load_dword v158, off, s[0:3], 0 offset:344
	;; [unrolled: 1-line block ×5, first 2 shown]
	v_add_f32_e32 v12, v2, v12
	ds_read_b128 v[2:5], v1 offset:720
	v_add_f32_e32 v10, v10, v180
	s_clause 0x1
	buffer_load_dword v180, off, s[0:3], 0 offset:348
	buffer_load_dword v191, off, s[0:3], 0 offset:356
	s_waitcnt vmcnt(26) lgkmcnt(1)
	v_mul_f32_e32 v190, v6, v170
	v_mul_f32_e32 v170, v7, v170
	v_add_f32_e32 v12, v12, v139
	v_add_f32_e32 v10, v10, v181
	buffer_load_dword v181, off, s[0:3], 0 offset:364
	v_fmac_f32_e32 v190, v7, v168
	v_fma_f32 v139, v6, v168, -v170
	s_waitcnt vmcnt(26)
	v_mul_f32_e32 v168, v8, v167
	v_add_f32_e32 v7, v10, v182
	v_mul_f32_e32 v10, v9, v167
	v_add_f32_e32 v6, v12, v138
	s_clause 0x2
	buffer_load_dword v12, off, s[0:3], 0 offset:372
	buffer_load_dword v170, off, s[0:3], 0 offset:380
	;; [unrolled: 1-line block ×3, first 2 shown]
	v_add_f32_e32 v7, v7, v183
	v_fmac_f32_e32 v168, v9, v166
	v_fma_f32 v10, v8, v166, -v10
	s_clause 0x1
	buffer_load_dword v166, off, s[0:3], 0 offset:396
	buffer_load_dword v182, off, s[0:3], 0 offset:404
	v_add_f32_e32 v6, v6, v136
	v_add_f32_e32 v7, v7, v184
	s_clause 0x2
	buffer_load_dword v183, off, s[0:3], 0 offset:412
	buffer_load_dword v184, off, s[0:3], 0 offset:420
	buffer_load_dword v192, off, s[0:3], 0 offset:428
	s_waitcnt lgkmcnt(0)
	v_mul_f32_e32 v136, v2, v165
	v_mul_f32_e32 v8, v3, v165
	v_add_f32_e32 v6, v6, v137
	v_add_f32_e32 v7, v7, v172
	s_clause 0x2
	buffer_load_dword v172, off, s[0:3], 0 offset:436
	buffer_load_dword v193, off, s[0:3], 0 offset:444
	;; [unrolled: 1-line block ×3, first 2 shown]
	v_fmac_f32_e32 v136, v3, v164
	v_fma_f32 v137, v2, v164, -v8
	v_add_f32_e32 v6, v6, v147
	v_add_f32_e32 v7, v7, v173
	s_clause 0x3
	buffer_load_dword v173, off, s[0:3], 0 offset:384
	buffer_load_dword v195, off, s[0:3], 0 offset:376
	;; [unrolled: 1-line block ×4, first 2 shown]
	v_add_f32_e32 v6, v6, v142
	v_add_f32_e32 v7, v7, v174
	;; [unrolled: 1-line block ×4, first 2 shown]
	s_clause 0x8
	buffer_load_dword v174, off, s[0:3], 0 offset:416
	buffer_load_dword v187, off, s[0:3], 0 offset:408
	;; [unrolled: 1-line block ×9, first 2 shown]
	v_add_f32_e32 v6, v6, v128
	v_add_f32_e32 v7, v7, v129
	;; [unrolled: 1-line block ×11, first 2 shown]
	ds_read_b128 v[6:9], v1 offset:736
	v_add_f32_e32 v132, v128, v156
	v_add_f32_e32 v129, v3, v155
	v_add_f32_e32 v132, v132, v178
	v_add_f32_e32 v134, v129, v159
	ds_read_b128 v[128:131], v1 offset:768
	v_add_f32_e32 v138, v132, v177
	v_add_f32_e32 v133, v134, v133
	s_waitcnt vmcnt(48)
	v_mul_f32_e32 v140, v4, v145
	v_mul_f32_e32 v2, v5, v145
	s_waitcnt vmcnt(44)
	v_fmac_f32_e32 v140, v5, v186
	v_fma_f32 v141, v4, v186, -v2
	ds_read_b128 v[2:5], v1 offset:752
	s_waitcnt vmcnt(43) lgkmcnt(2)
	v_mul_f32_e32 v135, v7, v144
	v_mul_f32_e32 v145, v6, v144
	v_fma_f32 v144, v6, v185, -v135
	v_add_f32_e32 v6, v133, v153
	v_fmac_f32_e32 v145, v7, v185
	v_add_f32_e32 v7, v138, v190
	ds_read_b128 v[132:135], v1 offset:784
	v_add_f32_e32 v6, v6, v139
	s_waitcnt vmcnt(42)
	v_mul_f32_e32 v147, v8, v150
	v_add_f32_e32 v7, v7, v168
	s_waitcnt vmcnt(41) lgkmcnt(1)
	v_mul_f32_e32 v148, v2, v151
	v_mul_f32_e32 v139, v3, v151
	v_add_f32_e32 v6, v6, v10
	s_waitcnt vmcnt(39)
	v_mul_f32_e32 v143, v129, v154
	v_mul_f32_e32 v138, v9, v150
	v_fmac_f32_e32 v148, v3, v146
	v_mul_f32_e32 v150, v4, v149
	v_add_f32_e32 v3, v6, v137
	v_mul_f32_e32 v142, v5, v149
	v_mul_f32_e32 v149, v128, v154
	v_fma_f32 v151, v2, v146, -v139
	v_add_f32_e32 v2, v7, v136
	v_fma_f32 v10, v8, v175, -v138
	v_fmac_f32_e32 v147, v9, v175
	ds_read_b128 v[6:9], v1 offset:800
	ds_read_b128 v[136:139], v1 offset:816
	s_waitcnt vmcnt(36)
	v_fma_f32 v153, v128, v162, -v143
	v_add_f32_e32 v128, v3, v141
	v_fmac_f32_e32 v149, v129, v162
	v_add_f32_e32 v129, v2, v140
	s_waitcnt vmcnt(35)
	v_fma_f32 v152, v4, v163, -v142
	v_fmac_f32_e32 v150, v5, v163
	v_add_f32_e32 v128, v128, v144
	s_waitcnt vmcnt(34)
	v_mul_f32_e32 v154, v130, v176
	v_add_f32_e32 v129, v129, v145
	v_mul_f32_e32 v145, v131, v176
	s_waitcnt vmcnt(33) lgkmcnt(2)
	v_mul_f32_e32 v155, v132, v188
	v_add_f32_e32 v10, v128, v10
	v_mul_f32_e32 v144, v133, v188
	v_add_f32_e32 v129, v129, v147
	v_fmac_f32_e32 v154, v131, v161
	v_fma_f32 v161, v130, v161, -v145
	v_add_f32_e32 v151, v10, v151
	s_waitcnt vmcnt(32)
	v_mul_f32_e32 v159, v135, v189
	v_add_f32_e32 v148, v129, v148
	v_fmac_f32_e32 v155, v133, v160
	v_fma_f32 v160, v132, v160, -v144
	v_add_f32_e32 v151, v151, v152
	v_mul_f32_e32 v156, v134, v189
	v_add_f32_e32 v148, v148, v150
	s_waitcnt vmcnt(28)
	v_fma_f32 v159, v134, v11, -v159
	s_waitcnt vmcnt(27) lgkmcnt(1)
	v_mul_f32_e32 v162, v7, v179
	v_add_f32_e32 v151, v151, v153
	ds_read_b128 v[2:5], v1 offset:832
	ds_read_b128 v[140:143], v1 offset:848
	v_add_f32_e32 v148, v148, v149
	v_fmac_f32_e32 v156, v135, v11
	v_mul_f32_e32 v150, v6, v179
	v_add_f32_e32 v151, v151, v161
	s_waitcnt vmcnt(26)
	v_mul_f32_e32 v163, v9, v180
	v_add_f32_e32 v148, v148, v154
	v_fma_f32 v6, v6, v171, -v162
	v_mul_f32_e32 v152, v8, v180
	v_add_f32_e32 v151, v151, v160
	v_fmac_f32_e32 v150, v7, v171
	v_add_f32_e32 v148, v148, v155
	s_waitcnt vmcnt(25) lgkmcnt(2)
	v_mul_f32_e32 v162, v137, v191
	v_fma_f32 v8, v8, v158, -v163
	v_add_f32_e32 v151, v151, v159
	v_mul_f32_e32 v149, v136, v191
	v_add_f32_e32 v148, v148, v156
	v_fmac_f32_e32 v152, v9, v158
	s_waitcnt vmcnt(24)
	v_mul_f32_e32 v156, v139, v181
	v_add_f32_e32 v6, v151, v6
	v_fma_f32 v136, v136, v157, -v162
	v_add_f32_e32 v148, v148, v150
	v_mul_f32_e32 v153, v138, v181
	v_fmac_f32_e32 v149, v137, v157
	v_add_f32_e32 v6, v6, v8
	s_waitcnt vmcnt(23) lgkmcnt(1)
	v_mul_f32_e32 v7, v2, v12
	v_add_f32_e32 v8, v148, v152
	v_mul_f32_e32 v12, v3, v12
	ds_read_b128 v[128:131], v1 offset:864
	ds_read_b128 v[144:147], v1 offset:880
	v_add_f32_e32 v6, v6, v136
	s_waitcnt vmcnt(9)
	v_fma_f32 v137, v138, v197, -v156
	v_fmac_f32_e32 v153, v139, v197
	v_add_f32_e32 v8, v8, v149
	v_mul_f32_e32 v136, v5, v170
	v_fmac_f32_e32 v7, v3, v196
	v_fma_f32 v2, v2, v196, -v12
	v_add_f32_e32 v3, v6, v137
	v_mul_f32_e32 v154, v4, v170
	v_add_f32_e32 v6, v8, v153
	s_waitcnt lgkmcnt(2)
	v_mul_f32_e32 v8, v141, v167
	v_fma_f32 v4, v4, v195, -v136
	v_add_f32_e32 v2, v3, v2
	v_mul_f32_e32 v161, v140, v167
	v_fmac_f32_e32 v154, v5, v195
	v_add_f32_e32 v3, v6, v7
	v_mul_f32_e32 v5, v143, v166
	v_fma_f32 v6, v140, v173, -v8
	v_add_f32_e32 v2, v2, v4
	v_mul_f32_e32 v9, v142, v166
	v_fmac_f32_e32 v161, v141, v173
	v_add_f32_e32 v3, v3, v154
	s_waitcnt lgkmcnt(1)
	v_mul_f32_e32 v4, v129, v182
	s_waitcnt vmcnt(5)
	v_fma_f32 v5, v142, v199, -v5
	v_add_f32_e32 v2, v2, v6
	ds_read_b128 v[132:135], v1 offset:896
	ds_read_b64 v[10:11], v1 offset:912
	v_mul_f32_e32 v158, v128, v182
	v_fmac_f32_e32 v9, v143, v199
	v_add_f32_e32 v3, v3, v161
	v_mul_f32_e32 v6, v131, v183
	v_fma_f32 v4, v128, v198, -v4
	v_add_f32_e32 v2, v2, v5
	v_mul_f32_e32 v155, v130, v183
	v_fmac_f32_e32 v158, v129, v198
	v_add_f32_e32 v3, v3, v9
	s_waitcnt lgkmcnt(2)
	v_mul_f32_e32 v5, v145, v184
	v_fma_f32 v6, v130, v187, -v6
	v_add_f32_e32 v2, v2, v4
	v_mul_f32_e32 v160, v144, v184
	v_fmac_f32_e32 v155, v131, v187
	v_add_f32_e32 v3, v3, v158
	v_mul_f32_e32 v4, v147, v192
	v_fma_f32 v5, v144, v174, -v5
	v_add_f32_e32 v2, v2, v6
	v_mul_f32_e32 v163, v146, v192
	v_fmac_f32_e32 v160, v145, v174
	v_add_f32_e32 v3, v3, v155
	s_waitcnt lgkmcnt(1)
	v_mul_f32_e32 v6, v133, v172
	s_waitcnt vmcnt(1)
	v_fma_f32 v4, v146, v203, -v4
	v_add_f32_e32 v2, v2, v5
	v_mul_f32_e32 v159, v132, v172
	v_fmac_f32_e32 v163, v147, v203
	v_add_f32_e32 v3, v3, v160
	v_mul_f32_e32 v5, v135, v193
	v_fma_f32 v6, v132, v202, -v6
	v_add_f32_e32 v2, v2, v4
	v_mul_f32_e32 v164, v134, v193
	v_fmac_f32_e32 v159, v133, v202
	v_add_f32_e32 v3, v3, v163
	s_waitcnt lgkmcnt(0)
	v_mul_f32_e32 v4, v11, v194
	v_fma_f32 v5, v134, v201, -v5
	v_add_f32_e32 v2, v2, v6
	v_mul_f32_e32 v150, v10, v194
	v_fmac_f32_e32 v164, v135, v201
	v_add_f32_e32 v3, v3, v159
	v_fma_f32 v4, v10, v200, -v4
	v_add_f32_e32 v2, v2, v5
	v_fmac_f32_e32 v150, v11, v200
	v_add_f32_e32 v3, v3, v164
	v_add_f32_e32 v2, v2, v4
	;; [unrolled: 1-line block ×3, first 2 shown]
	s_waitcnt vmcnt(0)
	v_sub_f32_e32 v2, v204, v2
	v_sub_f32_e32 v3, v169, v3
	buffer_store_dword v2, off, s[0:3], 0 offset:40
	buffer_store_dword v3, off, s[0:3], 0 offset:44
	v_cmpx_lt_u32_e32 4, v0
	s_cbranch_execz .LBB56_347
; %bb.346:
	s_clause 0x1
	buffer_load_dword v2, off, s[0:3], 0 offset:32
	buffer_load_dword v3, off, s[0:3], 0 offset:36
	buffer_store_dword v1, off, s[0:3], 0 offset:32
	buffer_store_dword v1, off, s[0:3], 0 offset:36
	s_waitcnt vmcnt(0)
	ds_write_b64 v127, v[2:3]
.LBB56_347:
	s_or_b32 exec_lo, exec_lo, s4
	s_waitcnt lgkmcnt(0)
	s_waitcnt_vscnt null, 0x0
	s_barrier
	buffer_gl0_inv
	s_clause 0x3b
	buffer_load_dword v163, off, s[0:3], 0 offset:44
	buffer_load_dword v2, off, s[0:3], 0 offset:56
	;; [unrolled: 1-line block ×60, first 2 shown]
	ds_read2_b64 v[177:180], v1 offset0:63 offset1:64
	ds_read2_b64 v[181:184], v1 offset0:65 offset1:66
	;; [unrolled: 1-line block ×3, first 2 shown]
	s_mov_b32 s4, exec_lo
	s_waitcnt vmcnt(59) lgkmcnt(2)
	v_mul_f32_e32 v189, v177, v163
	v_mul_f32_e32 v190, v178, v163
	buffer_load_dword v163, off, s[0:3], 0 offset:36
	s_waitcnt vmcnt(56)
	v_mul_f32_e32 v191, v179, v6
	v_mul_f32_e32 v6, v180, v6
	v_fmac_f32_e32 v189, v178, v7
	v_fma_f32 v190, v177, v7, -v190
	s_waitcnt vmcnt(55) lgkmcnt(1)
	v_mul_f32_e32 v193, v181, v5
	v_fmac_f32_e32 v191, v180, v4
	v_fma_f32 v192, v179, v4, -v6
	v_mul_f32_e32 v177, v182, v5
	ds_read2_b64 v[4:7], v1 offset0:69 offset1:70
	v_fmac_f32_e32 v193, v182, v2
	s_waitcnt vmcnt(49) lgkmcnt(1)
	v_mul_f32_e32 v197, v185, v129
	v_mul_f32_e32 v195, v183, v3
	v_fma_f32 v194, v181, v2, -v177
	v_mul_f32_e32 v2, v184, v3
	ds_read2_b64 v[177:180], v1 offset0:71 offset1:72
	v_fmac_f32_e32 v197, v186, v12
	v_fmac_f32_e32 v195, v184, v130
	v_fma_f32 v196, v183, v130, -v2
	v_mul_f32_e32 v2, v186, v129
	ds_read2_b64 v[181:184], v1 offset0:73 offset1:74
	v_fma_f32 v12, v185, v12, -v2
	s_waitcnt vmcnt(48)
	v_mul_f32_e32 v185, v187, v128
	v_mul_f32_e32 v2, v188, v128
	s_waitcnt vmcnt(47) lgkmcnt(2)
	v_mul_f32_e32 v186, v4, v11
	v_fmac_f32_e32 v185, v188, v10
	v_fma_f32 v10, v187, v10, -v2
	v_mul_f32_e32 v2, v5, v11
	s_waitcnt vmcnt(46)
	v_mul_f32_e32 v187, v6, v9
	v_fmac_f32_e32 v186, v5, v8
	s_waitcnt vmcnt(41) lgkmcnt(1)
	v_mul_f32_e32 v188, v177, v137
	v_fma_f32 v11, v4, v8, -v2
	v_mul_f32_e32 v2, v7, v9
	v_fmac_f32_e32 v187, v7, v138
	v_fmac_f32_e32 v188, v178, v135
	s_waitcnt vmcnt(39) lgkmcnt(0)
	v_mul_f32_e32 v128, v182, v134
	v_fma_f32 v138, v6, v138, -v2
	v_mul_f32_e32 v6, v178, v137
	ds_read2_b64 v[2:5], v1 offset0:75 offset1:76
	v_mul_f32_e32 v137, v179, v136
	v_fma_f32 v135, v177, v135, -v6
	v_mul_f32_e32 v6, v180, v136
	v_fmac_f32_e32 v137, v180, v133
	v_mul_f32_e32 v136, v181, v134
	v_fma_f32 v134, v181, v131, -v128
	s_waitcnt vmcnt(38)
	v_mul_f32_e32 v177, v183, v132
	v_fma_f32 v133, v179, v133, -v6
	ds_read2_b64 v[6:9], v1 offset0:77 offset1:78
	v_mul_f32_e32 v128, v184, v132
	v_fmac_f32_e32 v136, v182, v131
	s_waitcnt vmcnt(34)
	v_fmac_f32_e32 v177, v184, v145
	v_fma_f32 v132, v183, v145, -v128
	ds_read2_b64 v[128:131], v1 offset0:79 offset1:80
	s_waitcnt vmcnt(33) lgkmcnt(2)
	v_mul_f32_e32 v145, v2, v144
	v_mul_f32_e32 v144, v3, v144
	v_fmac_f32_e32 v145, v3, v142
	v_fma_f32 v142, v2, v142, -v144
	s_waitcnt vmcnt(32)
	v_mul_f32_e32 v144, v4, v143
	v_mul_f32_e32 v2, v5, v143
	s_waitcnt vmcnt(31) lgkmcnt(1)
	v_mul_f32_e32 v143, v6, v141
	v_fmac_f32_e32 v144, v5, v140
	v_fma_f32 v140, v4, v140, -v2
	v_mul_f32_e32 v2, v7, v141
	s_waitcnt vmcnt(30)
	v_mul_f32_e32 v141, v8, v146
	v_mul_f32_e32 v146, v9, v146
	v_fmac_f32_e32 v143, v7, v139
	v_fma_f32 v139, v6, v139, -v2
	ds_read2_b64 v[2:5], v1 offset0:81 offset1:82
	s_waitcnt vmcnt(26)
	v_fmac_f32_e32 v141, v9, v154
	v_fma_f32 v146, v8, v154, -v146
	ds_read2_b64 v[6:9], v1 offset0:83 offset1:84
	s_waitcnt vmcnt(25) lgkmcnt(2)
	v_mul_f32_e32 v154, v128, v152
	v_mul_f32_e32 v152, v129, v152
	v_fmac_f32_e32 v154, v129, v150
	s_waitcnt vmcnt(24)
	v_mul_f32_e32 v129, v130, v151
	v_fma_f32 v128, v128, v150, -v152
	v_mul_f32_e32 v150, v131, v151
	buffer_load_dword v152, off, s[0:3], 0 offset:284
	v_fmac_f32_e32 v129, v131, v148
	buffer_load_dword v131, off, s[0:3], 0 offset:276
	v_fma_f32 v130, v130, v148, -v150
	s_waitcnt vmcnt(25) lgkmcnt(1)
	v_mul_f32_e32 v148, v2, v149
	v_mul_f32_e32 v149, v3, v149
	s_waitcnt vmcnt(24)
	v_mul_f32_e32 v150, v4, v153
	v_mul_f32_e32 v151, v5, v153
	v_fmac_f32_e32 v148, v3, v147
	v_fma_f32 v147, v2, v147, -v149
	s_waitcnt vmcnt(20)
	v_fmac_f32_e32 v150, v5, v162
	v_fma_f32 v149, v4, v162, -v151
	ds_read2_b64 v[2:5], v1 offset0:85 offset1:86
	s_waitcnt vmcnt(19) lgkmcnt(1)
	v_mul_f32_e32 v151, v6, v161
	v_mul_f32_e32 v153, v7, v161
	s_waitcnt vmcnt(18)
	v_mul_f32_e32 v161, v8, v160
	v_mul_f32_e32 v160, v9, v160
	buffer_load_dword v162, off, s[0:3], 0 offset:292
	v_fmac_f32_e32 v151, v7, v159
	v_fma_f32 v153, v6, v159, -v153
	v_add_f32_e32 v6, 0, v189
	v_add_f32_e32 v7, 0, v190
	v_fmac_f32_e32 v161, v9, v158
	v_fma_f32 v158, v8, v158, -v160
	s_clause 0x3
	buffer_load_dword v159, off, s[0:3], 0 offset:312
	buffer_load_dword v160, off, s[0:3], 0 offset:304
	;; [unrolled: 1-line block ×4, first 2 shown]
	v_add_f32_e32 v6, v6, v191
	v_add_f32_e32 v7, v7, v192
	s_clause 0x3
	buffer_load_dword v180, off, s[0:3], 0 offset:300
	buffer_load_dword v181, off, s[0:3], 0 offset:308
	;; [unrolled: 1-line block ×4, first 2 shown]
	v_add_f32_e32 v6, v6, v193
	v_add_f32_e32 v7, v7, v194
	s_waitcnt vmcnt(26) lgkmcnt(0)
	v_mul_f32_e32 v184, v2, v156
	v_mul_f32_e32 v8, v3, v156
	s_waitcnt vmcnt(25)
	v_mul_f32_e32 v156, v4, v157
	v_add_f32_e32 v6, v6, v195
	v_add_f32_e32 v7, v7, v196
	v_mul_f32_e32 v9, v5, v157
	v_fmac_f32_e32 v184, v3, v155
	v_fma_f32 v155, v2, v155, -v8
	v_add_f32_e32 v6, v6, v197
	v_add_f32_e32 v7, v7, v12
	s_waitcnt vmcnt(20)
	v_fmac_f32_e32 v156, v5, v171
	v_fma_f32 v157, v4, v171, -v9
	ds_read2_b64 v[2:5], v1 offset0:87 offset1:88
	v_add_f32_e32 v6, v6, v185
	v_add_f32_e32 v7, v7, v10
	s_clause 0x3
	buffer_load_dword v12, off, s[0:3], 0 offset:344
	buffer_load_dword v171, off, s[0:3], 0 offset:336
	;; [unrolled: 1-line block ×4, first 2 shown]
	v_add_f32_e32 v6, v6, v186
	v_add_f32_e32 v10, v7, v11
	s_clause 0x2
	buffer_load_dword v11, off, s[0:3], 0 offset:332
	buffer_load_dword v185, off, s[0:3], 0 offset:340
	;; [unrolled: 1-line block ×3, first 2 shown]
	v_add_f32_e32 v187, v6, v187
	ds_read2_b64 v[6:9], v1 offset0:89 offset1:90
	v_add_f32_e32 v10, v10, v138
	v_add_f32_e32 v187, v187, v188
	;; [unrolled: 1-line block ×3, first 2 shown]
	s_waitcnt vmcnt(26) lgkmcnt(1)
	v_mul_f32_e32 v138, v2, v170
	v_mul_f32_e32 v170, v3, v170
	s_waitcnt vmcnt(25)
	v_mul_f32_e32 v135, v5, v169
	v_mul_f32_e32 v188, v4, v169
	v_fmac_f32_e32 v138, v3, v168
	v_fma_f32 v168, v2, v168, -v170
	v_add_f32_e32 v2, v187, v137
	v_add_f32_e32 v3, v10, v133
	v_fma_f32 v137, v4, v166, -v135
	s_clause 0x3
	buffer_load_dword v10, off, s[0:3], 0 offset:356
	buffer_load_dword v169, off, s[0:3], 0 offset:364
	;; [unrolled: 1-line block ×4, first 2 shown]
	v_fmac_f32_e32 v188, v5, v166
	v_add_f32_e32 v2, v2, v136
	v_add_f32_e32 v3, v3, v134
	s_waitcnt lgkmcnt(0)
	v_mul_f32_e32 v136, v6, v165
	v_mul_f32_e32 v4, v7, v165
	s_clause 0x3
	buffer_load_dword v166, off, s[0:3], 0 offset:388
	buffer_load_dword v191, off, s[0:3], 0 offset:396
	;; [unrolled: 1-line block ×4, first 2 shown]
	v_add_f32_e32 v2, v2, v177
	v_add_f32_e32 v3, v3, v132
	s_clause 0x4
	buffer_load_dword v177, off, s[0:3], 0 offset:420
	buffer_load_dword v194, off, s[0:3], 0 offset:428
	buffer_load_dword v195, off, s[0:3], 0 offset:436
	buffer_load_dword v196, off, s[0:3], 0 offset:444
	buffer_load_dword v165, off, s[0:3], 0 offset:452
	v_fmac_f32_e32 v136, v7, v164
	v_add_f32_e32 v2, v2, v145
	v_add_f32_e32 v3, v3, v142
	v_fma_f32 v142, v6, v164, -v4
	s_clause 0x3
	buffer_load_dword v164, off, s[0:3], 0 offset:376
	buffer_load_dword v197, off, s[0:3], 0 offset:368
	;; [unrolled: 1-line block ×4, first 2 shown]
	v_add_f32_e32 v6, v2, v144
	v_add_f32_e32 v2, v3, v140
	;; [unrolled: 1-line block ×4, first 2 shown]
	s_waitcnt vmcnt(41)
	v_mul_f32_e32 v2, v9, v167
	v_mul_f32_e32 v139, v8, v167
	v_add_f32_e32 v6, v6, v141
	v_add_f32_e32 v7, v7, v146
	s_waitcnt vmcnt(37)
	v_fma_f32 v140, v8, v176, -v2
	ds_read2_b64 v[2:5], v1 offset0:91 offset1:92
	v_fmac_f32_e32 v139, v9, v176
	s_clause 0x3
	buffer_load_dword v167, off, s[0:3], 0 offset:408
	buffer_load_dword v176, off, s[0:3], 0 offset:400
	buffer_load_dword v200, off, s[0:3], 0 offset:392
	buffer_load_dword v201, off, s[0:3], 0 offset:384
	v_add_f32_e32 v7, v7, v128
	v_add_f32_e32 v6, v6, v154
	;; [unrolled: 1-line block ×4, first 2 shown]
	ds_read2_b64 v[6:9], v1 offset0:93 offset1:94
	v_add_f32_e32 v128, v128, v147
	v_add_f32_e32 v129, v129, v148
	s_waitcnt vmcnt(40) lgkmcnt(1)
	v_mul_f32_e32 v141, v2, v175
	v_mul_f32_e32 v130, v3, v175
	v_fmac_f32_e32 v141, v3, v174
	v_fma_f32 v143, v2, v174, -v130
	v_add_f32_e32 v2, v128, v149
	v_add_f32_e32 v3, v129, v150
	s_clause 0x3
	buffer_load_dword v148, off, s[0:3], 0 offset:440
	buffer_load_dword v149, off, s[0:3], 0 offset:432
	;; [unrolled: 1-line block ×4, first 2 shown]
	v_add_f32_e32 v2, v2, v153
	buffer_load_dword v153, off, s[0:3], 0 offset:448
	v_add_f32_e32 v3, v3, v151
	buffer_load_dword v151, off, s[0:3], 0 offset:32
	v_add_f32_e32 v2, v2, v158
	v_add_f32_e32 v129, v3, v161
	;; [unrolled: 1-line block ×13, first 2 shown]
	s_waitcnt vmcnt(44) lgkmcnt(0)
	v_mul_f32_e32 v146, v6, v152
	v_mul_f32_e32 v134, v7, v152
	s_waitcnt vmcnt(43)
	v_mul_f32_e32 v144, v4, v131
	v_mul_f32_e32 v128, v5, v131
	v_fmac_f32_e32 v146, v7, v172
	v_fma_f32 v152, v6, v172, -v134
	v_fmac_f32_e32 v144, v5, v173
	v_fma_f32 v145, v4, v173, -v128
	ds_read2_b64 v[2:5], v1 offset0:95 offset1:96
	ds_read2_b64 v[128:131], v1 offset0:97 offset1:98
	v_add_f32_e32 v173, v140, v143
	v_add_f32_e32 v145, v173, v145
	s_waitcnt vmcnt(42)
	v_mul_f32_e32 v147, v8, v162
	v_mul_f32_e32 v135, v9, v162
	s_waitcnt vmcnt(38)
	v_fmac_f32_e32 v147, v9, v179
	v_fma_f32 v156, v8, v179, -v135
	ds_read2_b64 v[6:9], v1 offset0:99 offset1:100
	ds_read2_b64 v[132:135], v1 offset0:101 offset1:102
	s_waitcnt vmcnt(36) lgkmcnt(3)
	v_mul_f32_e32 v158, v4, v181
	v_mul_f32_e32 v161, v5, v181
	;; [unrolled: 1-line block ×4, first 2 shown]
	s_waitcnt vmcnt(35) lgkmcnt(2)
	v_mul_f32_e32 v162, v128, v182
	v_fmac_f32_e32 v158, v5, v160
	v_fma_f32 v160, v4, v160, -v161
	v_add_f32_e32 v161, v136, v139
	v_fma_f32 v157, v2, v178, -v157
	v_fmac_f32_e32 v155, v3, v178
	v_mul_f32_e32 v142, v129, v182
	s_waitcnt vmcnt(34)
	v_mul_f32_e32 v172, v131, v183
	v_add_f32_e32 v161, v161, v141
	v_fmac_f32_e32 v162, v129, v159
	v_mul_f32_e32 v168, v130, v183
	v_fma_f32 v159, v128, v159, -v142
	ds_read2_b64 v[2:5], v1 offset0:103 offset1:104
	ds_read2_b64 v[136:139], v1 offset0:105 offset1:106
	v_add_f32_e32 v144, v161, v144
	s_waitcnt vmcnt(30)
	v_fma_f32 v172, v130, v190, -v172
	v_fmac_f32_e32 v168, v131, v190
	v_add_f32_e32 v144, v144, v146
	s_waitcnt vmcnt(29) lgkmcnt(3)
	v_mul_f32_e32 v173, v6, v11
	v_mul_f32_e32 v11, v7, v11
	s_waitcnt vmcnt(28)
	v_mul_f32_e32 v161, v8, v185
	v_mul_f32_e32 v174, v9, v185
	ds_read2_b64 v[128:131], v1 offset0:107 offset1:108
	ds_read2_b64 v[140:143], v1 offset0:109 offset1:110
	v_fmac_f32_e32 v173, v7, v189
	v_add_f32_e32 v7, v145, v152
	v_fmac_f32_e32 v161, v9, v171
	v_fma_f32 v152, v8, v171, -v174
	v_add_f32_e32 v171, v144, v147
	v_fma_f32 v11, v6, v189, -v11
	v_add_f32_e32 v156, v7, v156
	ds_read2_b64 v[6:9], v1 offset0:111 offset1:112
	ds_read2_b64 v[144:147], v1 offset0:113 offset1:114
	s_waitcnt vmcnt(27) lgkmcnt(6)
	v_mul_f32_e32 v1, v132, v186
	v_add_f32_e32 v155, v171, v155
	v_add_f32_e32 v156, v156, v157
	v_mul_f32_e32 v157, v133, v186
	v_fmac_f32_e32 v1, v133, v12
	v_add_f32_e32 v155, v155, v158
	v_add_f32_e32 v156, v156, v160
	s_waitcnt vmcnt(26)
	v_mul_f32_e32 v171, v134, v10
	v_mul_f32_e32 v10, v135, v10
	v_add_f32_e32 v155, v155, v162
	v_fma_f32 v12, v132, v12, -v157
	v_add_f32_e32 v156, v156, v159
	s_waitcnt vmcnt(25) lgkmcnt(5)
	v_mul_f32_e32 v160, v2, v169
	s_waitcnt vmcnt(24)
	v_mul_f32_e32 v158, v4, v170
	v_add_f32_e32 v155, v155, v168
	s_waitcnt vmcnt(23) lgkmcnt(4)
	v_mul_f32_e32 v174, v136, v187
	v_add_f32_e32 v156, v156, v172
	s_waitcnt vmcnt(22)
	v_mul_f32_e32 v159, v138, v166
	s_waitcnt vmcnt(21) lgkmcnt(3)
	v_mul_f32_e32 v162, v128, v191
	v_add_f32_e32 v155, v155, v173
	s_waitcnt vmcnt(20)
	v_mul_f32_e32 v175, v130, v192
	v_add_f32_e32 v11, v156, v11
	s_waitcnt vmcnt(12)
	v_fmac_f32_e32 v158, v5, v197
	s_waitcnt vmcnt(11)
	v_fmac_f32_e32 v160, v3, v198
	v_add_f32_e32 v133, v155, v161
	s_waitcnt vmcnt(10)
	v_fma_f32 v10, v134, v199, -v10
	v_add_f32_e32 v11, v11, v152
	v_mul_f32_e32 v152, v3, v169
	v_fmac_f32_e32 v171, v135, v199
	v_add_f32_e32 v1, v133, v1
	v_fmac_f32_e32 v174, v137, v164
	v_add_f32_e32 v11, v11, v12
	v_mul_f32_e32 v12, v5, v170
	v_fma_f32 v2, v2, v198, -v152
	v_add_f32_e32 v1, v1, v171
	s_waitcnt lgkmcnt(2)
	v_mul_f32_e32 v172, v140, v193
	v_add_f32_e32 v3, v11, v10
	v_mul_f32_e32 v10, v137, v187
	v_fma_f32 v4, v4, v197, -v12
	v_add_f32_e32 v1, v1, v160
	s_waitcnt vmcnt(7)
	v_fmac_f32_e32 v162, v129, v200
	v_add_f32_e32 v2, v3, v2
	v_mul_f32_e32 v3, v139, v166
	v_fma_f32 v5, v136, v164, -v10
	v_add_f32_e32 v1, v1, v158
	s_waitcnt vmcnt(6)
	v_fmac_f32_e32 v159, v139, v201
	v_add_f32_e32 v2, v2, v4
	v_mul_f32_e32 v4, v129, v191
	v_fma_f32 v3, v138, v201, -v3
	v_add_f32_e32 v1, v1, v174
	v_fmac_f32_e32 v175, v131, v176
	v_add_f32_e32 v2, v2, v5
	v_mul_f32_e32 v5, v131, v192
	v_fma_f32 v4, v128, v200, -v4
	v_add_f32_e32 v1, v1, v159
	v_mul_f32_e32 v168, v142, v177
	v_add_f32_e32 v2, v2, v3
	v_mul_f32_e32 v3, v141, v193
	v_fma_f32 v5, v130, v176, -v5
	v_add_f32_e32 v1, v1, v162
	v_fmac_f32_e32 v172, v141, v167
	v_add_f32_e32 v2, v2, v4
	v_mul_f32_e32 v4, v143, v177
	v_fma_f32 v3, v140, v167, -v3
	v_add_f32_e32 v1, v1, v175
	s_waitcnt lgkmcnt(1)
	v_mul_f32_e32 v178, v6, v194
	v_add_f32_e32 v2, v2, v5
	v_mul_f32_e32 v5, v7, v194
	s_waitcnt vmcnt(2)
	v_fma_f32 v4, v142, v154, -v4
	v_fmac_f32_e32 v168, v143, v154
	v_add_f32_e32 v1, v1, v172
	v_add_f32_e32 v2, v2, v3
	v_mul_f32_e32 v3, v9, v195
	v_fma_f32 v5, v6, v150, -v5
	v_mul_f32_e32 v156, v8, v195
	v_fmac_f32_e32 v178, v7, v150
	v_add_f32_e32 v2, v2, v4
	v_add_f32_e32 v1, v1, v168
	s_waitcnt lgkmcnt(0)
	v_mul_f32_e32 v4, v145, v196
	v_fma_f32 v3, v8, v149, -v3
	v_mul_f32_e32 v173, v144, v196
	v_add_f32_e32 v2, v2, v5
	v_fmac_f32_e32 v156, v9, v149
	v_add_f32_e32 v1, v1, v178
	v_mul_f32_e32 v5, v147, v165
	v_fma_f32 v4, v144, v148, -v4
	v_add_f32_e32 v2, v2, v3
	v_mul_f32_e32 v132, v146, v165
	v_fmac_f32_e32 v173, v145, v148
	v_add_f32_e32 v1, v1, v156
	s_waitcnt vmcnt(1)
	v_fma_f32 v3, v146, v153, -v5
	v_add_f32_e32 v2, v2, v4
	v_fmac_f32_e32 v132, v147, v153
	v_add_f32_e32 v1, v1, v173
	v_add_f32_e32 v2, v2, v3
	;; [unrolled: 1-line block ×3, first 2 shown]
	s_waitcnt vmcnt(0)
	v_sub_f32_e32 v2, v151, v2
	v_sub_f32_e32 v1, v163, v1
	buffer_store_dword v2, off, s[0:3], 0 offset:32
	buffer_store_dword v1, off, s[0:3], 0 offset:36
	v_cmpx_lt_u32_e32 3, v0
	s_cbranch_execz .LBB56_349
; %bb.348:
	s_clause 0x1
	buffer_load_dword v1, off, s[0:3], 0 offset:24
	buffer_load_dword v2, off, s[0:3], 0 offset:28
	v_mov_b32_e32 v3, 0
	buffer_store_dword v3, off, s[0:3], 0 offset:24
	buffer_store_dword v3, off, s[0:3], 0 offset:28
	s_waitcnt vmcnt(0)
	ds_write_b64 v127, v[1:2]
.LBB56_349:
	s_or_b32 exec_lo, exec_lo, s4
	s_waitcnt lgkmcnt(0)
	s_waitcnt_vscnt null, 0x0
	s_barrier
	buffer_gl0_inv
	s_clause 0x3b
	buffer_load_dword v163, off, s[0:3], 0 offset:36
	buffer_load_dword v2, off, s[0:3], 0 offset:48
	;; [unrolled: 1-line block ×60, first 2 shown]
	v_mov_b32_e32 v1, 0
	ds_read_b128 v[177:180], v1 offset:496
	ds_read_b128 v[181:184], v1 offset:512
	;; [unrolled: 1-line block ×3, first 2 shown]
	s_mov_b32 s4, exec_lo
	s_waitcnt vmcnt(59) lgkmcnt(2)
	v_mul_f32_e32 v189, v177, v163
	v_mul_f32_e32 v190, v178, v163
	buffer_load_dword v163, off, s[0:3], 0 offset:28
	s_waitcnt vmcnt(56)
	v_mul_f32_e32 v191, v179, v6
	v_mul_f32_e32 v6, v180, v6
	v_fmac_f32_e32 v189, v178, v7
	v_fma_f32 v190, v177, v7, -v190
	s_waitcnt vmcnt(55) lgkmcnt(1)
	v_mul_f32_e32 v193, v181, v5
	v_fmac_f32_e32 v191, v180, v4
	v_fma_f32 v192, v179, v4, -v6
	v_mul_f32_e32 v177, v182, v5
	ds_read_b128 v[4:7], v1 offset:544
	v_fmac_f32_e32 v193, v182, v2
	s_waitcnt vmcnt(49) lgkmcnt(1)
	v_mul_f32_e32 v197, v185, v129
	v_mul_f32_e32 v195, v183, v3
	v_fma_f32 v194, v181, v2, -v177
	v_mul_f32_e32 v2, v184, v3
	ds_read_b128 v[177:180], v1 offset:560
	v_fmac_f32_e32 v197, v186, v12
	v_fmac_f32_e32 v195, v184, v130
	v_fma_f32 v196, v183, v130, -v2
	v_mul_f32_e32 v2, v186, v129
	ds_read_b128 v[181:184], v1 offset:576
	v_fma_f32 v12, v185, v12, -v2
	s_waitcnt vmcnt(48)
	v_mul_f32_e32 v185, v187, v128
	v_mul_f32_e32 v2, v188, v128
	s_waitcnt vmcnt(47) lgkmcnt(2)
	v_mul_f32_e32 v186, v4, v11
	v_fmac_f32_e32 v185, v188, v10
	v_fma_f32 v10, v187, v10, -v2
	v_mul_f32_e32 v2, v5, v11
	s_waitcnt vmcnt(46)
	v_mul_f32_e32 v187, v6, v9
	v_fmac_f32_e32 v186, v5, v8
	s_waitcnt vmcnt(41) lgkmcnt(1)
	v_mul_f32_e32 v188, v177, v137
	v_fma_f32 v11, v4, v8, -v2
	v_mul_f32_e32 v2, v7, v9
	v_fmac_f32_e32 v187, v7, v138
	v_fmac_f32_e32 v188, v178, v135
	s_waitcnt vmcnt(39) lgkmcnt(0)
	v_mul_f32_e32 v128, v182, v134
	v_fma_f32 v138, v6, v138, -v2
	v_mul_f32_e32 v6, v178, v137
	ds_read_b128 v[2:5], v1 offset:592
	v_mul_f32_e32 v137, v179, v136
	v_fma_f32 v135, v177, v135, -v6
	v_mul_f32_e32 v6, v180, v136
	v_fmac_f32_e32 v137, v180, v133
	v_mul_f32_e32 v136, v181, v134
	v_fma_f32 v134, v181, v131, -v128
	s_waitcnt vmcnt(38)
	v_mul_f32_e32 v177, v183, v132
	v_fma_f32 v133, v179, v133, -v6
	ds_read_b128 v[6:9], v1 offset:608
	v_mul_f32_e32 v128, v184, v132
	v_fmac_f32_e32 v136, v182, v131
	s_waitcnt vmcnt(34)
	v_fmac_f32_e32 v177, v184, v145
	v_fma_f32 v132, v183, v145, -v128
	ds_read_b128 v[128:131], v1 offset:624
	s_waitcnt vmcnt(33) lgkmcnt(2)
	v_mul_f32_e32 v145, v2, v144
	v_mul_f32_e32 v144, v3, v144
	v_fmac_f32_e32 v145, v3, v142
	v_fma_f32 v142, v2, v142, -v144
	s_waitcnt vmcnt(32)
	v_mul_f32_e32 v144, v4, v143
	v_mul_f32_e32 v2, v5, v143
	s_waitcnt vmcnt(31) lgkmcnt(1)
	v_mul_f32_e32 v143, v6, v141
	v_fmac_f32_e32 v144, v5, v140
	v_fma_f32 v140, v4, v140, -v2
	v_mul_f32_e32 v2, v7, v141
	s_waitcnt vmcnt(30)
	v_mul_f32_e32 v141, v8, v146
	v_mul_f32_e32 v146, v9, v146
	v_fmac_f32_e32 v143, v7, v139
	v_fma_f32 v139, v6, v139, -v2
	ds_read_b128 v[2:5], v1 offset:640
	s_waitcnt vmcnt(26)
	v_fmac_f32_e32 v141, v9, v154
	v_fma_f32 v146, v8, v154, -v146
	ds_read_b128 v[6:9], v1 offset:656
	s_waitcnt vmcnt(25) lgkmcnt(2)
	v_mul_f32_e32 v154, v128, v152
	v_mul_f32_e32 v152, v129, v152
	v_fmac_f32_e32 v154, v129, v150
	v_fma_f32 v128, v128, v150, -v152
	s_waitcnt vmcnt(24)
	v_mul_f32_e32 v129, v130, v151
	v_mul_f32_e32 v150, v131, v151
	buffer_load_dword v152, off, s[0:3], 0 offset:276
	v_fmac_f32_e32 v129, v131, v148
	v_fma_f32 v130, v130, v148, -v150
	buffer_load_dword v131, off, s[0:3], 0 offset:268
	s_waitcnt vmcnt(25) lgkmcnt(1)
	v_mul_f32_e32 v148, v2, v149
	v_mul_f32_e32 v149, v3, v149
	s_waitcnt vmcnt(24)
	v_mul_f32_e32 v150, v4, v153
	v_mul_f32_e32 v151, v5, v153
	v_fmac_f32_e32 v148, v3, v147
	v_fma_f32 v147, v2, v147, -v149
	s_waitcnt vmcnt(20)
	v_fmac_f32_e32 v150, v5, v162
	v_fma_f32 v149, v4, v162, -v151
	ds_read_b128 v[2:5], v1 offset:672
	s_waitcnt vmcnt(19) lgkmcnt(1)
	v_mul_f32_e32 v151, v6, v161
	v_mul_f32_e32 v153, v7, v161
	s_waitcnt vmcnt(18)
	v_mul_f32_e32 v161, v8, v160
	v_mul_f32_e32 v160, v9, v160
	buffer_load_dword v162, off, s[0:3], 0 offset:284
	v_fmac_f32_e32 v151, v7, v159
	v_fma_f32 v153, v6, v159, -v153
	v_add_f32_e32 v6, 0, v189
	v_add_f32_e32 v7, 0, v190
	v_fmac_f32_e32 v161, v9, v158
	v_fma_f32 v158, v8, v158, -v160
	s_clause 0x3
	buffer_load_dword v159, off, s[0:3], 0 offset:304
	buffer_load_dword v160, off, s[0:3], 0 offset:296
	;; [unrolled: 1-line block ×4, first 2 shown]
	v_add_f32_e32 v6, v6, v191
	v_add_f32_e32 v7, v7, v192
	s_clause 0x3
	buffer_load_dword v180, off, s[0:3], 0 offset:292
	buffer_load_dword v181, off, s[0:3], 0 offset:300
	;; [unrolled: 1-line block ×4, first 2 shown]
	v_add_f32_e32 v6, v6, v193
	v_add_f32_e32 v7, v7, v194
	s_waitcnt vmcnt(26) lgkmcnt(0)
	v_mul_f32_e32 v184, v2, v156
	v_mul_f32_e32 v8, v3, v156
	s_waitcnt vmcnt(25)
	v_mul_f32_e32 v156, v4, v157
	v_add_f32_e32 v6, v6, v195
	v_add_f32_e32 v7, v7, v196
	v_mul_f32_e32 v9, v5, v157
	v_fmac_f32_e32 v184, v3, v155
	v_fma_f32 v155, v2, v155, -v8
	v_add_f32_e32 v6, v6, v197
	v_add_f32_e32 v7, v7, v12
	s_waitcnt vmcnt(20)
	v_fmac_f32_e32 v156, v5, v171
	v_fma_f32 v157, v4, v171, -v9
	ds_read_b128 v[2:5], v1 offset:688
	v_add_f32_e32 v6, v6, v185
	v_add_f32_e32 v7, v7, v10
	s_clause 0x3
	buffer_load_dword v12, off, s[0:3], 0 offset:336
	buffer_load_dword v171, off, s[0:3], 0 offset:328
	buffer_load_dword v189, off, s[0:3], 0 offset:320
	buffer_load_dword v190, off, s[0:3], 0 offset:312
	v_add_f32_e32 v6, v6, v186
	v_add_f32_e32 v10, v7, v11
	s_clause 0x2
	buffer_load_dword v11, off, s[0:3], 0 offset:324
	buffer_load_dword v185, off, s[0:3], 0 offset:332
	;; [unrolled: 1-line block ×3, first 2 shown]
	v_add_f32_e32 v187, v6, v187
	v_add_f32_e32 v10, v10, v138
	ds_read_b128 v[6:9], v1 offset:704
	v_add_f32_e32 v187, v187, v188
	s_waitcnt vmcnt(26) lgkmcnt(1)
	v_mul_f32_e32 v138, v2, v169
	v_mul_f32_e32 v169, v3, v169
	s_waitcnt vmcnt(25)
	v_mul_f32_e32 v188, v4, v168
	v_mul_f32_e32 v168, v5, v168
	v_fmac_f32_e32 v138, v3, v167
	v_add_f32_e32 v3, v10, v135
	v_add_f32_e32 v10, v187, v137
	v_fma_f32 v135, v2, v167, -v169
	v_fmac_f32_e32 v188, v5, v166
	v_fma_f32 v137, v4, v166, -v168
	v_add_f32_e32 v2, v3, v133
	v_add_f32_e32 v3, v10, v136
	s_clause 0x7
	buffer_load_dword v166, off, s[0:3], 0 offset:348
	buffer_load_dword v167, off, s[0:3], 0 offset:356
	;; [unrolled: 1-line block ×8, first 2 shown]
	s_waitcnt lgkmcnt(0)
	v_mul_f32_e32 v4, v7, v165
	v_mul_f32_e32 v10, v6, v165
	v_add_f32_e32 v2, v2, v134
	v_add_f32_e32 v3, v3, v177
	s_clause 0x1
	buffer_load_dword v177, off, s[0:3], 0 offset:380
	buffer_load_dword v194, off, s[0:3], 0 offset:388
	v_fma_f32 v136, v6, v164, -v4
	s_clause 0x1
	buffer_load_dword v165, off, s[0:3], 0 offset:396
	buffer_load_dword v195, off, s[0:3], 0 offset:404
	v_add_f32_e32 v2, v2, v132
	v_add_f32_e32 v3, v3, v145
	v_fmac_f32_e32 v10, v7, v164
	s_clause 0x4
	buffer_load_dword v164, off, s[0:3], 0 offset:412
	buffer_load_dword v196, off, s[0:3], 0 offset:420
	;; [unrolled: 1-line block ×5, first 2 shown]
	v_add_f32_e32 v2, v2, v142
	v_add_f32_e32 v3, v3, v144
	;; [unrolled: 1-line block ×4, first 2 shown]
	s_waitcnt vmcnt(41)
	v_mul_f32_e32 v3, v9, v170
	v_mul_f32_e32 v140, v8, v170
	buffer_load_dword v170, off, s[0:3], 0 offset:452
	v_add_f32_e32 v7, v2, v139
	v_add_f32_e32 v6, v6, v141
	s_waitcnt vmcnt(38)
	v_fma_f32 v139, v8, v176, -v3
	ds_read_b128 v[2:5], v1 offset:720
	v_fmac_f32_e32 v140, v9, v176
	v_add_f32_e32 v7, v7, v146
	v_add_f32_e32 v6, v6, v154
	s_clause 0x3
	buffer_load_dword v154, off, s[0:3], 0 offset:400
	buffer_load_dword v176, off, s[0:3], 0 offset:392
	buffer_load_dword v200, off, s[0:3], 0 offset:384
	buffer_load_dword v201, off, s[0:3], 0 offset:376
	v_add_f32_e32 v7, v7, v128
	v_add_f32_e32 v6, v6, v129
	;; [unrolled: 1-line block ×4, first 2 shown]
	ds_read_b128 v[6:9], v1 offset:736
	v_add_f32_e32 v128, v128, v147
	v_add_f32_e32 v129, v129, v150
	s_waitcnt vmcnt(41) lgkmcnt(1)
	v_mul_f32_e32 v141, v2, v175
	v_mul_f32_e32 v130, v3, v175
	v_fmac_f32_e32 v141, v3, v174
	v_fma_f32 v142, v2, v174, -v130
	v_add_f32_e32 v2, v128, v149
	v_add_f32_e32 v3, v129, v151
	s_clause 0x3
	buffer_load_dword v148, off, s[0:3], 0 offset:432
	buffer_load_dword v149, off, s[0:3], 0 offset:424
	;; [unrolled: 1-line block ×4, first 2 shown]
	v_add_f32_e32 v2, v2, v153
	v_add_f32_e32 v3, v3, v161
	s_clause 0x1
	buffer_load_dword v153, off, s[0:3], 0 offset:448
	buffer_load_dword v161, off, s[0:3], 0 offset:440
	v_add_f32_e32 v2, v2, v158
	buffer_load_dword v158, off, s[0:3], 0 offset:24
	v_add_f32_e32 v3, v3, v184
	v_add_f32_e32 v129, v2, v155
	;; [unrolled: 1-line block ×14, first 2 shown]
	s_waitcnt vmcnt(46) lgkmcnt(0)
	v_mul_f32_e32 v145, v6, v152
	v_mul_f32_e32 v134, v7, v152
	s_waitcnt vmcnt(45)
	v_mul_f32_e32 v143, v4, v131
	v_mul_f32_e32 v128, v5, v131
	v_fmac_f32_e32 v145, v7, v172
	v_fma_f32 v147, v6, v172, -v134
	v_fmac_f32_e32 v143, v5, v173
	v_fma_f32 v144, v4, v173, -v128
	ds_read_b128 v[2:5], v1 offset:752
	ds_read_b128 v[128:131], v1 offset:768
	v_add_f32_e32 v10, v10, v143
	v_add_f32_e32 v144, v141, v144
	;; [unrolled: 1-line block ×3, first 2 shown]
	s_waitcnt vmcnt(44)
	v_mul_f32_e32 v146, v8, v162
	v_mul_f32_e32 v135, v9, v162
	v_add_f32_e32 v144, v144, v147
	s_waitcnt vmcnt(40)
	v_fmac_f32_e32 v146, v9, v179
	v_fma_f32 v152, v8, v179, -v135
	ds_read_b128 v[6:9], v1 offset:784
	ds_read_b128 v[132:135], v1 offset:800
	s_waitcnt vmcnt(39) lgkmcnt(3)
	v_mul_f32_e32 v138, v3, v180
	v_mul_f32_e32 v155, v2, v180
	s_waitcnt vmcnt(38)
	v_mul_f32_e32 v156, v4, v181
	v_mul_f32_e32 v137, v5, v181
	s_waitcnt vmcnt(37) lgkmcnt(2)
	v_mul_f32_e32 v157, v128, v182
	v_fma_f32 v172, v2, v178, -v138
	v_fmac_f32_e32 v155, v3, v178
	v_mul_f32_e32 v140, v129, v182
	v_fmac_f32_e32 v156, v5, v160
	v_fma_f32 v160, v4, v160, -v137
	s_waitcnt vmcnt(36)
	v_mul_f32_e32 v142, v131, v183
	v_fmac_f32_e32 v157, v129, v159
	v_fma_f32 v159, v128, v159, -v140
	v_mul_f32_e32 v162, v130, v183
	ds_read_b128 v[2:5], v1 offset:816
	ds_read_b128 v[136:139], v1 offset:832
	s_waitcnt vmcnt(32)
	v_fma_f32 v173, v130, v190, -v142
	v_fmac_f32_e32 v162, v131, v190
	ds_read_b128 v[128:131], v1 offset:848
	ds_read_b128 v[140:143], v1 offset:864
	s_waitcnt vmcnt(31) lgkmcnt(5)
	v_mul_f32_e32 v174, v6, v11
	v_mul_f32_e32 v11, v7, v11
	s_waitcnt vmcnt(30)
	v_mul_f32_e32 v175, v8, v185
	v_mul_f32_e32 v145, v9, v185
	s_waitcnt vmcnt(29) lgkmcnt(4)
	v_mul_f32_e32 v178, v133, v186
	v_fmac_f32_e32 v174, v7, v189
	v_add_f32_e32 v7, v10, v146
	v_add_f32_e32 v10, v144, v152
	v_fma_f32 v152, v6, v189, -v11
	v_fmac_f32_e32 v175, v9, v171
	v_fma_f32 v171, v8, v171, -v145
	v_add_f32_e32 v155, v7, v155
	v_add_f32_e32 v172, v10, v172
	ds_read_b128 v[6:9], v1 offset:880
	ds_read_b128 v[144:147], v1 offset:896
	ds_read_b64 v[10:11], v1 offset:912
	v_add_f32_e32 v155, v155, v156
	v_add_f32_e32 v160, v172, v160
	v_mul_f32_e32 v156, v132, v186
	s_waitcnt vmcnt(28)
	v_mul_f32_e32 v172, v134, v166
	v_add_f32_e32 v155, v155, v157
	v_add_f32_e32 v159, v160, v159
	v_fmac_f32_e32 v156, v133, v12
	v_mul_f32_e32 v166, v135, v166
	v_fma_f32 v12, v132, v12, -v178
	v_add_f32_e32 v133, v155, v162
	v_add_f32_e32 v159, v159, v173
	s_waitcnt vmcnt(27) lgkmcnt(6)
	v_mul_f32_e32 v157, v2, v167
	v_mul_f32_e32 v167, v3, v167
	s_waitcnt vmcnt(21)
	v_fma_f32 v134, v134, v193, -v166
	v_add_f32_e32 v133, v133, v174
	v_add_f32_e32 v152, v159, v152
	v_fmac_f32_e32 v172, v135, v193
	v_mul_f32_e32 v160, v4, v168
	v_mul_f32_e32 v168, v5, v168
	v_add_f32_e32 v133, v133, v175
	v_add_f32_e32 v152, v152, v171
	v_fmac_f32_e32 v157, v3, v192
	v_fma_f32 v2, v2, v192, -v167
	v_fma_f32 v4, v4, v191, -v168
	v_add_f32_e32 v133, v133, v156
	v_add_f32_e32 v12, v152, v12
	s_waitcnt lgkmcnt(5)
	v_mul_f32_e32 v132, v136, v169
	v_fmac_f32_e32 v160, v5, v191
	s_waitcnt vmcnt(20)
	v_mul_f32_e32 v5, v139, v177
	v_mul_f32_e32 v155, v138, v177
	v_add_f32_e32 v3, v12, v134
	v_add_f32_e32 v12, v133, v172
	v_mul_f32_e32 v133, v137, v169
	v_fmac_f32_e32 v132, v137, v187
	s_waitcnt vmcnt(19) lgkmcnt(4)
	v_mul_f32_e32 v162, v128, v194
	v_add_f32_e32 v2, v3, v2
	v_add_f32_e32 v3, v12, v157
	v_fma_f32 v12, v136, v187, -v133
	s_waitcnt vmcnt(18)
	v_mul_f32_e32 v135, v130, v165
	s_waitcnt vmcnt(8)
	v_fmac_f32_e32 v162, v129, v200
	v_add_f32_e32 v2, v2, v4
	v_add_f32_e32 v3, v3, v160
	v_mul_f32_e32 v4, v129, v194
	s_waitcnt vmcnt(7)
	v_fma_f32 v5, v138, v201, -v5
	v_fmac_f32_e32 v155, v139, v201
	v_add_f32_e32 v2, v2, v12
	v_add_f32_e32 v3, v3, v132
	v_mul_f32_e32 v12, v131, v165
	v_fma_f32 v4, v128, v200, -v4
	s_waitcnt lgkmcnt(3)
	v_mul_f32_e32 v166, v140, v195
	v_add_f32_e32 v2, v2, v5
	v_add_f32_e32 v3, v3, v155
	v_mul_f32_e32 v5, v141, v195
	v_fma_f32 v12, v130, v176, -v12
	v_fmac_f32_e32 v135, v131, v176
	v_add_f32_e32 v2, v2, v4
	v_add_f32_e32 v3, v3, v162
	v_mul_f32_e32 v4, v143, v164
	v_fma_f32 v5, v140, v154, -v5
	v_mul_f32_e32 v159, v142, v164
	v_add_f32_e32 v2, v2, v12
	v_fmac_f32_e32 v166, v141, v154
	v_add_f32_e32 v3, v3, v135
	s_waitcnt lgkmcnt(2)
	v_mul_f32_e32 v12, v7, v196
	v_mul_f32_e32 v173, v6, v196
	s_waitcnt vmcnt(3)
	v_fma_f32 v4, v142, v151, -v4
	v_add_f32_e32 v2, v2, v5
	v_fmac_f32_e32 v159, v143, v151
	v_add_f32_e32 v3, v3, v166
	v_mul_f32_e32 v5, v9, v197
	v_fma_f32 v6, v6, v150, -v12
	v_add_f32_e32 v2, v2, v4
	v_mul_f32_e32 v174, v8, v197
	v_fmac_f32_e32 v173, v7, v150
	v_add_f32_e32 v3, v3, v159
	s_waitcnt lgkmcnt(1)
	v_mul_f32_e32 v4, v145, v198
	v_fma_f32 v5, v8, v149, -v5
	v_add_f32_e32 v2, v2, v6
	v_mul_f32_e32 v171, v144, v198
	v_fmac_f32_e32 v174, v9, v149
	v_add_f32_e32 v3, v3, v173
	v_mul_f32_e32 v6, v147, v199
	v_fma_f32 v4, v144, v148, -v4
	v_add_f32_e32 v2, v2, v5
	v_mul_f32_e32 v175, v146, v199
	v_fmac_f32_e32 v171, v145, v148
	v_add_f32_e32 v3, v3, v174
	s_waitcnt lgkmcnt(0)
	v_mul_f32_e32 v5, v11, v170
	s_waitcnt vmcnt(1)
	v_fma_f32 v6, v146, v161, -v6
	v_add_f32_e32 v2, v2, v4
	v_mul_f32_e32 v152, v10, v170
	v_fmac_f32_e32 v175, v147, v161
	v_add_f32_e32 v3, v3, v171
	v_fma_f32 v4, v10, v153, -v5
	v_add_f32_e32 v2, v2, v6
	v_fmac_f32_e32 v152, v11, v153
	v_add_f32_e32 v3, v3, v175
	v_add_f32_e32 v2, v2, v4
	;; [unrolled: 1-line block ×3, first 2 shown]
	s_waitcnt vmcnt(0)
	v_sub_f32_e32 v2, v158, v2
	v_sub_f32_e32 v3, v163, v3
	buffer_store_dword v2, off, s[0:3], 0 offset:24
	buffer_store_dword v3, off, s[0:3], 0 offset:28
	v_cmpx_lt_u32_e32 2, v0
	s_cbranch_execz .LBB56_351
; %bb.350:
	s_clause 0x1
	buffer_load_dword v2, off, s[0:3], 0 offset:16
	buffer_load_dword v3, off, s[0:3], 0 offset:20
	buffer_store_dword v1, off, s[0:3], 0 offset:16
	buffer_store_dword v1, off, s[0:3], 0 offset:20
	s_waitcnt vmcnt(0)
	ds_write_b64 v127, v[2:3]
.LBB56_351:
	s_or_b32 exec_lo, exec_lo, s4
	s_waitcnt lgkmcnt(0)
	s_waitcnt_vscnt null, 0x0
	s_barrier
	buffer_gl0_inv
	s_clause 0x3c
	buffer_load_dword v9, off, s[0:3], 0 offset:28
	buffer_load_dword v10, off, s[0:3], 0 offset:36
	;; [unrolled: 1-line block ×61, first 2 shown]
	ds_read2_b64 v[173:176], v1 offset0:61 offset1:62
	ds_read2_b64 v[177:180], v1 offset0:63 offset1:64
	buffer_load_dword v188, off, s[0:3], 0 offset:20
	s_mov_b32 s4, exec_lo
	s_waitcnt vmcnt(61) lgkmcnt(1)
	v_mul_f32_e32 v186, v173, v9
	v_mul_f32_e32 v9, v174, v9
	s_waitcnt vmcnt(60)
	v_mul_f32_e32 v187, v175, v10
	v_mul_f32_e32 v10, v176, v10
	s_waitcnt vmcnt(57)
	v_fmac_f32_e32 v186, v174, v6
	v_fma_f32 v189, v173, v6, -v9
	v_fmac_f32_e32 v187, v176, v5
	v_fma_f32 v190, v175, v5, -v10
	ds_read2_b64 v[173:176], v1 offset0:65 offset1:66
	s_waitcnt vmcnt(56) lgkmcnt(1)
	v_mul_f32_e32 v191, v177, v4
	v_mul_f32_e32 v4, v178, v4
	s_waitcnt vmcnt(55)
	v_mul_f32_e32 v192, v179, v3
	v_mul_f32_e32 v3, v180, v3
	v_fmac_f32_e32 v191, v178, v2
	v_fma_f32 v177, v177, v2, -v4
	s_waitcnt vmcnt(51)
	v_fmac_f32_e32 v192, v180, v163
	v_fma_f32 v163, v179, v163, -v3
	ds_read2_b64 v[2:5], v1 offset0:67 offset1:68
	s_waitcnt vmcnt(50) lgkmcnt(1)
	v_mul_f32_e32 v178, v173, v162
	v_mul_f32_e32 v6, v174, v162
	s_waitcnt vmcnt(49)
	v_mul_f32_e32 v162, v175, v160
	v_mul_f32_e32 v9, v176, v160
	v_fmac_f32_e32 v178, v174, v156
	v_fma_f32 v156, v173, v156, -v6
	v_fmac_f32_e32 v162, v176, v149
	v_fma_f32 v149, v175, v149, -v9
	ds_read2_b64 v[173:176], v1 offset0:69 offset1:70
	s_waitcnt vmcnt(48) lgkmcnt(1)
	v_mul_f32_e32 v179, v2, v154
	v_mul_f32_e32 v6, v3, v154
	s_waitcnt vmcnt(47)
	v_mul_f32_e32 v180, v4, v152
	v_mul_f32_e32 v9, v5, v152
	v_fmac_f32_e32 v179, v3, v135
	v_fma_f32 v135, v2, v135, -v6
	s_waitcnt vmcnt(43)
	v_fmac_f32_e32 v180, v5, v161
	v_fma_f32 v193, v4, v161, -v9
	ds_read2_b64 v[2:5], v1 offset0:71 offset1:72
	s_waitcnt vmcnt(42) lgkmcnt(1)
	v_mul_f32_e32 v194, v173, v159
	v_mul_f32_e32 v6, v174, v159
	s_waitcnt vmcnt(41)
	v_mul_f32_e32 v195, v175, v158
	v_mul_f32_e32 v9, v176, v158
	ds_read2_b64 v[158:161], v1 offset0:73 offset1:74
	v_fmac_f32_e32 v194, v174, v150
	v_fma_f32 v150, v173, v150, -v6
	v_fmac_f32_e32 v195, v176, v144
	v_fma_f32 v173, v175, v144, -v9
	s_waitcnt vmcnt(40) lgkmcnt(1)
	v_mul_f32_e32 v174, v2, v148
	v_mul_f32_e32 v6, v3, v148
	s_waitcnt vmcnt(39)
	v_mul_f32_e32 v148, v4, v146
	v_mul_f32_e32 v9, v5, v146
	v_fmac_f32_e32 v174, v3, v131
	v_fma_f32 v131, v2, v131, -v6
	s_waitcnt vmcnt(35)
	v_fmac_f32_e32 v148, v5, v157
	v_fma_f32 v157, v4, v157, -v9
	ds_read2_b64 v[2:5], v1 offset0:75 offset1:76
	s_waitcnt vmcnt(34) lgkmcnt(1)
	v_mul_f32_e32 v175, v158, v155
	v_mul_f32_e32 v6, v159, v155
	s_waitcnt vmcnt(33)
	v_mul_f32_e32 v176, v160, v153
	v_mul_f32_e32 v9, v161, v153
	ds_read2_b64 v[152:155], v1 offset0:77 offset1:78
	v_fmac_f32_e32 v175, v159, v142
	v_fma_f32 v142, v158, v142, -v6
	v_fmac_f32_e32 v176, v161, v137
	v_fma_f32 v137, v160, v137, -v9
	;; [unrolled: 23-line block ×3, first 2 shown]
	s_waitcnt vmcnt(24) lgkmcnt(1)
	v_mul_f32_e32 v152, v2, v134
	v_mul_f32_e32 v6, v3, v134
	s_waitcnt vmcnt(23)
	v_mul_f32_e32 v134, v4, v133
	v_mul_f32_e32 v9, v5, v133
	v_fmac_f32_e32 v152, v3, v8
	v_fma_f32 v133, v2, v8, -v6
	s_waitcnt vmcnt(19)
	v_fmac_f32_e32 v134, v5, v143
	v_fma_f32 v143, v4, v143, -v9
	ds_read2_b64 v[2:5], v1 offset0:83 offset1:84
	s_waitcnt vmcnt(18) lgkmcnt(1)
	v_mul_f32_e32 v153, v144, v140
	v_mul_f32_e32 v6, v145, v140
	s_waitcnt vmcnt(17)
	v_mul_f32_e32 v140, v146, v138
	v_mul_f32_e32 v8, v147, v138
	v_fmac_f32_e32 v153, v145, v130
	v_fma_f32 v130, v144, v130, -v6
	v_fmac_f32_e32 v140, v147, v12
	v_fma_f32 v12, v146, v12, -v8
	ds_read2_b64 v[8:11], v1 offset0:85 offset1:86
	s_waitcnt vmcnt(16) lgkmcnt(1)
	v_mul_f32_e32 v138, v2, v129
	v_mul_f32_e32 v6, v3, v129
	s_waitcnt vmcnt(15)
	v_mul_f32_e32 v129, v4, v128
	v_mul_f32_e32 v128, v5, v128
	v_fmac_f32_e32 v138, v3, v7
	v_fma_f32 v144, v2, v7, -v6
	s_waitcnt vmcnt(11)
	v_fmac_f32_e32 v129, v5, v172
	v_fma_f32 v128, v4, v172, -v128
	ds_read2_b64 v[2:5], v1 offset0:87 offset1:88
	s_waitcnt vmcnt(10) lgkmcnt(1)
	v_mul_f32_e32 v145, v8, v171
	v_mul_f32_e32 v6, v9, v171
	s_waitcnt vmcnt(9)
	v_mul_f32_e32 v7, v11, v170
	v_mul_f32_e32 v146, v10, v170
	buffer_load_dword v170, off, s[0:3], 0 offset:276
	v_fmac_f32_e32 v145, v9, v169
	v_fma_f32 v147, v8, v169, -v6
	v_fma_f32 v10, v10, v166, -v7
	ds_read2_b64 v[6:9], v1 offset0:89 offset1:90
	v_fmac_f32_e32 v146, v11, v166
	buffer_load_dword v11, off, s[0:3], 0 offset:268
	s_waitcnt vmcnt(10) lgkmcnt(1)
	v_mul_f32_e32 v154, v2, v168
	v_mul_f32_e32 v155, v3, v168
	s_waitcnt vmcnt(9)
	v_mul_f32_e32 v161, v4, v167
	v_mul_f32_e32 v166, v5, v167
	v_fmac_f32_e32 v154, v3, v165
	v_fma_f32 v155, v2, v165, -v155
	s_waitcnt vmcnt(5)
	v_fmac_f32_e32 v161, v5, v183
	v_fma_f32 v165, v4, v183, -v166
	ds_read2_b64 v[2:5], v1 offset0:91 offset1:92
	s_waitcnt vmcnt(4) lgkmcnt(1)
	v_mul_f32_e32 v166, v6, v184
	v_mul_f32_e32 v167, v7, v184
	s_waitcnt vmcnt(3)
	v_mul_f32_e32 v168, v8, v185
	v_mul_f32_e32 v169, v9, v185
	v_fmac_f32_e32 v166, v7, v182
	v_fma_f32 v167, v6, v182, -v167
	v_fmac_f32_e32 v168, v9, v181
	v_fma_f32 v169, v8, v181, -v169
	s_clause 0x4
	buffer_load_dword v171, off, s[0:3], 0 offset:296
	buffer_load_dword v172, off, s[0:3], 0 offset:288
	;; [unrolled: 1-line block ×5, first 2 shown]
	v_add_f32_e32 v7, 0, v186
	v_add_f32_e32 v6, 0, v189
	s_clause 0x1
	buffer_load_dword v184, off, s[0:3], 0 offset:292
	buffer_load_dword v185, off, s[0:3], 0 offset:300
	v_add_f32_e32 v7, v7, v187
	v_add_f32_e32 v6, v6, v190
	v_add_f32_e32 v7, v7, v191
	v_add_f32_e32 v6, v6, v177
	s_clause 0x1
	buffer_load_dword v177, off, s[0:3], 0 offset:308
	buffer_load_dword v186, off, s[0:3], 0 offset:316
	v_add_f32_e32 v7, v7, v192
	v_add_f32_e32 v6, v6, v163
	;; [unrolled: 1-line block ×4, first 2 shown]
	s_clause 0x3
	buffer_load_dword v156, off, s[0:3], 0 offset:328
	buffer_load_dword v163, off, s[0:3], 0 offset:320
	;; [unrolled: 1-line block ×4, first 2 shown]
	v_add_f32_e32 v7, v7, v162
	v_add_f32_e32 v6, v6, v149
	s_clause 0x2
	buffer_load_dword v149, off, s[0:3], 0 offset:324
	buffer_load_dword v162, off, s[0:3], 0 offset:332
	;; [unrolled: 1-line block ×3, first 2 shown]
	v_add_f32_e32 v7, v7, v179
	v_add_f32_e32 v6, v6, v135
	;; [unrolled: 1-line block ×6, first 2 shown]
	s_clause 0x4
	buffer_load_dword v150, off, s[0:3], 0 offset:360
	buffer_load_dword v179, off, s[0:3], 0 offset:352
	;; [unrolled: 1-line block ×5, first 2 shown]
	v_add_f32_e32 v7, v7, v195
	v_add_f32_e32 v6, v6, v173
	buffer_load_dword v173, off, s[0:3], 0 offset:348
	v_add_f32_e32 v7, v7, v174
	v_add_f32_e32 v6, v6, v131
	buffer_load_dword v174, off, s[0:3], 0 offset:364
	v_add_f32_e32 v7, v7, v148
	v_add_f32_e32 v6, v6, v157
	s_clause 0x4
	buffer_load_dword v157, off, s[0:3], 0 offset:372
	buffer_load_dword v192, off, s[0:3], 0 offset:380
	;; [unrolled: 1-line block ×5, first 2 shown]
	v_add_f32_e32 v7, v7, v175
	v_add_f32_e32 v6, v6, v142
	s_clause 0x3
	buffer_load_dword v175, off, s[0:3], 0 offset:412
	buffer_load_dword v195, off, s[0:3], 0 offset:420
	;; [unrolled: 1-line block ×4, first 2 shown]
	v_add_f32_e32 v7, v7, v176
	v_add_f32_e32 v6, v6, v137
	buffer_load_dword v176, off, s[0:3], 0 offset:436
	v_add_f32_e32 v7, v7, v158
	v_add_f32_e32 v6, v6, v139
	buffer_load_dword v158, off, s[0:3], 0 offset:452
	v_add_f32_e32 v7, v7, v141
	v_add_f32_e32 v6, v6, v151
	v_add_f32_e32 v7, v7, v159
	s_clause 0x3
	buffer_load_dword v151, off, s[0:3], 0 offset:392
	buffer_load_dword v159, off, s[0:3], 0 offset:384
	;; [unrolled: 1-line block ×4, first 2 shown]
	v_add_f32_e32 v6, v6, v136
	v_add_f32_e32 v7, v7, v160
	;; [unrolled: 1-line block ×4, first 2 shown]
	s_clause 0x6
	buffer_load_dword v152, off, s[0:3], 0 offset:424
	buffer_load_dword v160, off, s[0:3], 0 offset:416
	;; [unrolled: 1-line block ×7, first 2 shown]
	v_add_f32_e32 v6, v6, v133
	v_add_f32_e32 v7, v7, v134
	v_add_f32_e32 v6, v6, v143
	v_add_f32_e32 v7, v7, v153
	buffer_load_dword v153, off, s[0:3], 0 offset:16
	v_add_f32_e32 v6, v6, v130
	v_add_f32_e32 v7, v7, v140
	;; [unrolled: 1-line block ×3, first 2 shown]
	s_waitcnt vmcnt(46) lgkmcnt(0)
	v_mul_f32_e32 v12, v2, v11
	v_mul_f32_e32 v8, v3, v11
	v_fmac_f32_e32 v12, v3, v164
	v_fma_f32 v11, v2, v164, -v8
	v_add_f32_e32 v2, v6, v144
	v_add_f32_e32 v3, v7, v138
	ds_read2_b64 v[6:9], v1 offset0:93 offset1:94
	v_mul_f32_e32 v144, v4, v170
	v_add_f32_e32 v128, v2, v128
	v_mul_f32_e32 v2, v5, v170
	v_add_f32_e32 v129, v3, v129
	v_add_f32_e32 v132, v128, v147
	;; [unrolled: 1-line block ×3, first 2 shown]
	ds_read2_b64 v[128:131], v1 offset0:97 offset1:98
	v_add_f32_e32 v10, v132, v10
	v_add_f32_e32 v133, v133, v146
	s_waitcnt vmcnt(42)
	v_fmac_f32_e32 v144, v5, v182
	v_fma_f32 v164, v4, v182, -v2
	ds_read2_b64 v[2:5], v1 offset0:95 offset1:96
	s_waitcnt vmcnt(41) lgkmcnt(2)
	v_mul_f32_e32 v132, v7, v183
	v_mul_f32_e32 v145, v6, v183
	v_add_f32_e32 v10, v10, v155
	s_waitcnt vmcnt(40)
	v_mul_f32_e32 v136, v9, v184
	v_fma_f32 v146, v6, v181, -v132
	v_add_f32_e32 v6, v133, v154
	v_fmac_f32_e32 v145, v7, v181
	v_add_f32_e32 v7, v10, v165
	v_mul_f32_e32 v10, v8, v184
	ds_read2_b64 v[132:135], v1 offset0:99 offset1:100
	v_add_f32_e32 v6, v6, v161
	v_fma_f32 v147, v8, v172, -v136
	v_add_f32_e32 v7, v7, v167
	v_fmac_f32_e32 v10, v9, v172
	s_waitcnt vmcnt(37) lgkmcnt(2)
	v_mul_f32_e32 v141, v129, v186
	v_add_f32_e32 v6, v6, v166
	v_mul_f32_e32 v161, v128, v186
	s_waitcnt lgkmcnt(1)
	v_mul_f32_e32 v137, v3, v185
	v_mul_f32_e32 v154, v2, v185
	;; [unrolled: 1-line block ×4, first 2 shown]
	s_waitcnt vmcnt(34)
	v_fma_f32 v167, v128, v187, -v141
	v_fma_f32 v165, v2, v171, -v137
	v_add_f32_e32 v2, v7, v169
	v_fmac_f32_e32 v154, v3, v171
	v_add_f32_e32 v3, v6, v168
	s_waitcnt vmcnt(33)
	v_fma_f32 v166, v4, v189, -v140
	ds_read2_b64 v[6:9], v1 offset0:101 offset1:102
	ds_read2_b64 v[136:139], v1 offset0:103 offset1:104
	v_add_f32_e32 v11, v2, v11
	v_fmac_f32_e32 v155, v5, v189
	v_add_f32_e32 v12, v3, v12
	s_waitcnt vmcnt(32)
	v_mul_f32_e32 v128, v131, v149
	v_fmac_f32_e32 v161, v129, v187
	v_add_f32_e32 v11, v11, v164
	v_mul_f32_e32 v164, v130, v149
	v_add_f32_e32 v12, v12, v144
	s_waitcnt vmcnt(31) lgkmcnt(2)
	v_mul_f32_e32 v149, v132, v162
	v_mul_f32_e32 v129, v133, v162
	v_add_f32_e32 v11, v11, v146
	v_fmac_f32_e32 v164, v131, v163
	v_add_f32_e32 v12, v12, v145
	v_fma_f32 v163, v130, v163, -v128
	s_waitcnt vmcnt(30)
	v_mul_f32_e32 v162, v135, v178
	v_add_f32_e32 v11, v11, v147
	v_fmac_f32_e32 v149, v133, v156
	v_add_f32_e32 v10, v12, v10
	v_fma_f32 v156, v132, v156, -v129
	v_mul_f32_e32 v168, v134, v178
	v_add_f32_e32 v11, v11, v165
	s_waitcnt vmcnt(26)
	v_fma_f32 v162, v134, v190, -v162
	v_add_f32_e32 v10, v10, v154
	s_waitcnt vmcnt(24) lgkmcnt(1)
	v_mul_f32_e32 v12, v7, v173
	ds_read2_b64 v[2:5], v1 offset0:105 offset1:106
	ds_read2_b64 v[140:143], v1 offset0:107 offset1:108
	v_add_f32_e32 v11, v11, v166
	ds_read2_b64 v[128:131], v1 offset0:109 offset1:110
	ds_read2_b64 v[144:147], v1 offset0:111 offset1:112
	v_add_f32_e32 v10, v10, v155
	v_fmac_f32_e32 v168, v135, v190
	ds_read2_b64 v[132:135], v1 offset0:113 offset1:114
	v_add_f32_e32 v11, v11, v167
	v_mul_f32_e32 v1, v6, v173
	v_add_f32_e32 v10, v10, v161
	v_mul_f32_e32 v165, v9, v191
	v_fma_f32 v6, v6, v180, -v12
	v_add_f32_e32 v11, v11, v163
	v_mul_f32_e32 v154, v8, v191
	v_add_f32_e32 v10, v10, v164
	v_fmac_f32_e32 v1, v7, v180
	s_waitcnt vmcnt(23) lgkmcnt(5)
	v_mul_f32_e32 v12, v137, v174
	v_add_f32_e32 v11, v11, v156
	v_fma_f32 v8, v8, v179, -v165
	v_add_f32_e32 v10, v10, v149
	v_mul_f32_e32 v166, v136, v174
	v_fmac_f32_e32 v154, v9, v179
	v_add_f32_e32 v11, v11, v162
	s_waitcnt vmcnt(22)
	v_mul_f32_e32 v9, v139, v157
	v_add_f32_e32 v10, v10, v168
	v_mul_f32_e32 v155, v138, v157
	v_fmac_f32_e32 v166, v137, v150
	v_add_f32_e32 v6, v11, v6
	s_waitcnt vmcnt(21) lgkmcnt(4)
	v_mul_f32_e32 v169, v2, v192
	v_add_f32_e32 v1, v10, v1
	v_fma_f32 v10, v136, v150, -v12
	s_waitcnt vmcnt(8)
	v_fma_f32 v9, v138, v199, -v9
	v_add_f32_e32 v6, v6, v8
	v_mul_f32_e32 v8, v3, v192
	v_add_f32_e32 v1, v1, v154
	v_fmac_f32_e32 v155, v139, v199
	v_fmac_f32_e32 v169, v3, v198
	v_add_f32_e32 v6, v6, v10
	v_mul_f32_e32 v10, v5, v148
	v_add_f32_e32 v1, v1, v166
	v_fma_f32 v2, v2, v198, -v8
	v_mul_f32_e32 v167, v4, v148
	v_add_f32_e32 v3, v6, v9
	s_waitcnt lgkmcnt(3)
	v_mul_f32_e32 v6, v141, v193
	v_add_f32_e32 v1, v1, v155
	v_fma_f32 v4, v4, v159, -v10
	v_mul_f32_e32 v161, v140, v193
	v_add_f32_e32 v2, v3, v2
	v_fmac_f32_e32 v167, v5, v159
	v_add_f32_e32 v1, v1, v169
	v_mul_f32_e32 v3, v143, v194
	v_fma_f32 v5, v140, v151, -v6
	v_add_f32_e32 v2, v2, v4
	v_mul_f32_e32 v170, v142, v194
	v_fmac_f32_e32 v161, v141, v151
	v_add_f32_e32 v1, v1, v167
	s_waitcnt lgkmcnt(2)
	v_mul_f32_e32 v4, v129, v175
	s_waitcnt vmcnt(4)
	v_fma_f32 v3, v142, v201, -v3
	v_add_f32_e32 v2, v2, v5
	v_mul_f32_e32 v163, v128, v175
	v_fmac_f32_e32 v170, v143, v201
	v_add_f32_e32 v1, v1, v161
	v_mul_f32_e32 v5, v131, v195
	v_fma_f32 v4, v128, v200, -v4
	v_add_f32_e32 v2, v2, v3
	v_mul_f32_e32 v164, v130, v195
	v_fmac_f32_e32 v163, v129, v200
	v_add_f32_e32 v1, v1, v170
	s_waitcnt lgkmcnt(1)
	v_mul_f32_e32 v3, v145, v196
	v_fma_f32 v5, v130, v160, -v5
	v_add_f32_e32 v2, v2, v4
	v_mul_f32_e32 v171, v144, v196
	v_fmac_f32_e32 v164, v131, v160
	v_add_f32_e32 v1, v1, v163
	v_mul_f32_e32 v4, v147, v176
	v_fma_f32 v3, v144, v152, -v3
	v_add_f32_e32 v2, v2, v5
	v_mul_f32_e32 v156, v146, v176
	v_fmac_f32_e32 v171, v145, v152
	v_add_f32_e32 v1, v1, v164
	s_waitcnt lgkmcnt(0)
	v_mul_f32_e32 v5, v133, v197
	s_waitcnt vmcnt(1)
	v_fma_f32 v4, v146, v204, -v4
	v_add_f32_e32 v2, v2, v3
	v_mul_f32_e32 v149, v132, v197
	v_fmac_f32_e32 v156, v147, v204
	v_add_f32_e32 v1, v1, v171
	v_mul_f32_e32 v3, v135, v158
	v_fma_f32 v5, v132, v203, -v5
	v_add_f32_e32 v2, v2, v4
	v_mul_f32_e32 v7, v134, v158
	v_fmac_f32_e32 v149, v133, v203
	v_add_f32_e32 v1, v1, v156
	v_fma_f32 v3, v134, v202, -v3
	v_add_f32_e32 v2, v2, v5
	v_fmac_f32_e32 v7, v135, v202
	v_add_f32_e32 v1, v1, v149
	v_add_f32_e32 v2, v2, v3
	;; [unrolled: 1-line block ×3, first 2 shown]
	s_waitcnt vmcnt(0)
	v_sub_f32_e32 v2, v153, v2
	v_sub_f32_e32 v1, v188, v1
	buffer_store_dword v2, off, s[0:3], 0 offset:16
	buffer_store_dword v1, off, s[0:3], 0 offset:20
	v_cmpx_lt_u32_e32 1, v0
	s_cbranch_execz .LBB56_353
; %bb.352:
	s_clause 0x1
	buffer_load_dword v1, off, s[0:3], 0 offset:8
	buffer_load_dword v2, off, s[0:3], 0 offset:12
	v_mov_b32_e32 v3, 0
	buffer_store_dword v3, off, s[0:3], 0 offset:8
	buffer_store_dword v3, off, s[0:3], 0 offset:12
	s_waitcnt vmcnt(0)
	ds_write_b64 v127, v[1:2]
.LBB56_353:
	s_or_b32 exec_lo, exec_lo, s4
	s_waitcnt lgkmcnt(0)
	s_waitcnt_vscnt null, 0x0
	s_barrier
	buffer_gl0_inv
	s_clause 0x3c
	buffer_load_dword v2, off, s[0:3], 0 offset:20
	buffer_load_dword v3, off, s[0:3], 0 offset:28
	;; [unrolled: 1-line block ×61, first 2 shown]
	v_mov_b32_e32 v1, 0
	ds_read_b128 v[176:179], v1 offset:480
	ds_read_b128 v[180:183], v1 offset:496
	buffer_load_dword v174, off, s[0:3], 0 offset:12
	s_mov_b32 s4, exec_lo
	s_waitcnt vmcnt(61) lgkmcnt(1)
	v_mul_f32_e32 v187, v176, v2
	v_mul_f32_e32 v2, v177, v2
	s_waitcnt vmcnt(60)
	v_mul_f32_e32 v188, v178, v3
	v_mul_f32_e32 v3, v179, v3
	s_waitcnt vmcnt(59) lgkmcnt(0)
	v_mul_f32_e32 v189, v180, v4
	v_mul_f32_e32 v190, v181, v4
	s_waitcnt vmcnt(58)
	v_mul_f32_e32 v191, v182, v5
	v_mul_f32_e32 v192, v183, v5
	s_waitcnt vmcnt(55)
	v_fmac_f32_e32 v187, v177, v8
	v_fma_f32 v8, v176, v8, -v2
	v_fmac_f32_e32 v188, v179, v7
	v_fma_f32 v7, v178, v7, -v3
	ds_read_b128 v[2:5], v1 offset:512
	ds_read_b128 v[176:179], v1 offset:528
	v_fmac_f32_e32 v189, v181, v6
	v_fma_f32 v6, v180, v6, -v190
	s_waitcnt vmcnt(51)
	v_fma_f32 v180, v182, v158, -v192
	v_fmac_f32_e32 v191, v183, v158
	v_add_f32_e32 v8, 0, v8
	v_add_f32_e32 v7, v8, v7
	;; [unrolled: 1-line block ×3, first 2 shown]
	s_waitcnt vmcnt(50) lgkmcnt(1)
	v_mul_f32_e32 v181, v2, v155
	v_mul_f32_e32 v155, v3, v155
	s_waitcnt vmcnt(49)
	v_mul_f32_e32 v182, v4, v153
	v_mul_f32_e32 v153, v5, v153
	s_waitcnt vmcnt(48) lgkmcnt(0)
	v_mul_f32_e32 v183, v176, v150
	v_fmac_f32_e32 v181, v3, v137
	v_fma_f32 v137, v2, v137, -v155
	v_fmac_f32_e32 v182, v5, v133
	v_fma_f32 v153, v4, v133, -v153
	ds_read_b128 v[2:5], v1 offset:544
	v_mul_f32_e32 v150, v177, v150
	s_waitcnt vmcnt(47)
	v_mul_f32_e32 v190, v178, v148
	v_mul_f32_e32 v148, v179, v148
	v_fmac_f32_e32 v183, v177, v128
	v_fma_f32 v128, v176, v128, -v150
	s_waitcnt vmcnt(43)
	v_fmac_f32_e32 v190, v179, v163
	v_fma_f32 v155, v178, v163, -v148
	ds_read_b128 v[176:179], v1 offset:560
	s_waitcnt vmcnt(42) lgkmcnt(1)
	v_mul_f32_e32 v163, v2, v162
	v_mul_f32_e32 v133, v3, v162
	s_waitcnt vmcnt(41)
	v_mul_f32_e32 v162, v4, v161
	v_mul_f32_e32 v148, v5, v161
	v_fmac_f32_e32 v163, v3, v143
	v_fma_f32 v143, v2, v143, -v133
	v_fmac_f32_e32 v162, v5, v140
	v_fma_f32 v140, v4, v140, -v148
	ds_read_b128 v[2:5], v1 offset:576
	s_waitcnt vmcnt(40) lgkmcnt(1)
	v_mul_f32_e32 v161, v176, v159
	s_waitcnt vmcnt(39)
	v_mul_f32_e32 v192, v178, v157
	v_mul_f32_e32 v157, v179, v157
	;; [unrolled: 1-line block ×3, first 2 shown]
	v_fmac_f32_e32 v161, v177, v134
	s_waitcnt vmcnt(35)
	v_fmac_f32_e32 v192, v179, v160
	v_fma_f32 v177, v178, v160, -v157
	ds_read_b128 v[157:160], v1 offset:592
	v_fma_f32 v176, v176, v134, -v150
	s_waitcnt vmcnt(34) lgkmcnt(1)
	v_mul_f32_e32 v178, v2, v156
	v_mul_f32_e32 v133, v3, v156
	s_waitcnt vmcnt(33)
	v_mul_f32_e32 v156, v4, v154
	v_mul_f32_e32 v134, v5, v154
	v_fmac_f32_e32 v178, v3, v138
	v_fma_f32 v138, v2, v138, -v133
	v_fmac_f32_e32 v156, v5, v135
	v_fma_f32 v193, v4, v135, -v134
	ds_read_b128 v[2:5], v1 offset:608
	s_waitcnt vmcnt(32) lgkmcnt(1)
	v_mul_f32_e32 v154, v157, v151
	v_mul_f32_e32 v148, v158, v151
	s_waitcnt vmcnt(31)
	v_mul_f32_e32 v179, v159, v149
	v_mul_f32_e32 v149, v160, v149
	v_fmac_f32_e32 v154, v158, v129
	v_fma_f32 v129, v157, v129, -v148
	s_waitcnt vmcnt(27)
	v_fmac_f32_e32 v179, v160, v152
	v_fma_f32 v152, v159, v152, -v149
	ds_read_b128 v[148:151], v1 offset:624
	s_waitcnt vmcnt(26) lgkmcnt(1)
	v_mul_f32_e32 v157, v2, v147
	v_mul_f32_e32 v133, v3, v147
	s_waitcnt vmcnt(25)
	v_mul_f32_e32 v147, v4, v146
	v_mul_f32_e32 v134, v5, v146
	v_fmac_f32_e32 v157, v3, v132
	v_fma_f32 v158, v2, v132, -v133
	v_fmac_f32_e32 v147, v5, v130
	v_fma_f32 v130, v4, v130, -v134
	ds_read_b128 v[2:5], v1 offset:640
	s_waitcnt vmcnt(24) lgkmcnt(1)
	v_mul_f32_e32 v146, v148, v144
	v_mul_f32_e32 v135, v149, v144
	s_waitcnt vmcnt(23)
	v_mul_f32_e32 v144, v150, v142
	v_mul_f32_e32 v142, v151, v142
	v_fmac_f32_e32 v146, v149, v10
	v_fma_f32 v10, v148, v10, -v135
	ds_read_b128 v[132:135], v1 offset:656
	s_waitcnt vmcnt(19)
	v_fmac_f32_e32 v144, v151, v145
	v_fma_f32 v142, v150, v145, -v142
	buffer_load_dword v145, off, s[0:3], 0 offset:260
	s_waitcnt vmcnt(18) lgkmcnt(1)
	v_mul_f32_e32 v149, v4, v139
	v_mul_f32_e32 v139, v5, v139
	;; [unrolled: 1-line block ×4, first 2 shown]
	v_fmac_f32_e32 v149, v5, v11
	v_fma_f32 v11, v4, v11, -v139
	s_clause 0x4
	buffer_load_dword v139, off, s[0:3], 0 offset:268
	buffer_load_dword v151, off, s[0:3], 0 offset:288
	;; [unrolled: 1-line block ×5, first 2 shown]
	s_waitcnt vmcnt(22) lgkmcnt(0)
	v_mul_f32_e32 v150, v132, v136
	v_mul_f32_e32 v136, v133, v136
	v_fmac_f32_e32 v148, v3, v131
	v_fma_f32 v131, v2, v131, -v141
	s_waitcnt vmcnt(21)
	v_mul_f32_e32 v2, v135, v12
	v_mul_f32_e32 v141, v134, v12
	v_fmac_f32_e32 v150, v133, v9
	v_fma_f32 v12, v132, v9, -v136
	v_add_f32_e32 v9, 0, v187
	s_waitcnt vmcnt(17)
	v_fma_f32 v132, v134, v172, -v2
	ds_read_b128 v[2:5], v1 offset:672
	buffer_load_dword v133, off, s[0:3], 0 offset:276
	v_add_f32_e32 v134, v6, v180
	v_add_f32_e32 v8, v9, v188
	v_fmac_f32_e32 v141, v135, v172
	s_clause 0x2
	buffer_load_dword v136, off, s[0:3], 0 offset:284
	buffer_load_dword v172, off, s[0:3], 0 offset:292
	;; [unrolled: 1-line block ×3, first 2 shown]
	v_add_f32_e32 v134, v134, v137
	v_add_f32_e32 v7, v8, v189
	;; [unrolled: 1-line block ×4, first 2 shown]
	ds_read_b128 v[6:9], v1 offset:688
	buffer_load_dword v153, off, s[0:3], 0 offset:308
	v_add_f32_e32 v135, v135, v181
	s_waitcnt vmcnt(21) lgkmcnt(1)
	v_mul_f32_e32 v137, v2, v171
	v_mul_f32_e32 v171, v3, v171
	s_waitcnt vmcnt(20)
	v_mul_f32_e32 v181, v4, v170
	v_mul_f32_e32 v170, v5, v170
	v_fmac_f32_e32 v137, v3, v169
	v_fma_f32 v169, v2, v169, -v171
	v_add_f32_e32 v2, v135, v182
	v_fmac_f32_e32 v181, v5, v168
	v_fma_f32 v168, v4, v168, -v170
	s_clause 0x3
	buffer_load_dword v170, off, s[0:3], 0 offset:320
	buffer_load_dword v171, off, s[0:3], 0 offset:312
	;; [unrolled: 1-line block ×4, first 2 shown]
	v_add_f32_e32 v3, v134, v128
	v_add_f32_e32 v2, v2, v183
	s_waitcnt vmcnt(23) lgkmcnt(0)
	v_mul_f32_e32 v135, v6, v166
	v_add_f32_e32 v128, v3, v155
	s_clause 0x2
	buffer_load_dword v155, off, s[0:3], 0 offset:316
	buffer_load_dword v183, off, s[0:3], 0 offset:324
	;; [unrolled: 1-line block ×3, first 2 shown]
	v_add_f32_e32 v134, v2, v190
	ds_read_b128 v[2:5], v1 offset:704
	v_fmac_f32_e32 v135, v7, v164
	v_add_f32_e32 v128, v128, v143
	v_mul_f32_e32 v143, v7, v166
	v_add_f32_e32 v134, v134, v163
	s_waitcnt vmcnt(25)
	v_mul_f32_e32 v163, v8, v165
	v_mul_f32_e32 v165, v9, v165
	v_add_f32_e32 v7, v128, v140
	v_fma_f32 v140, v6, v164, -v143
	v_add_f32_e32 v6, v134, v162
	s_waitcnt vmcnt(21)
	v_fmac_f32_e32 v163, v9, v185
	v_fma_f32 v143, v8, v185, -v165
	v_add_f32_e32 v128, v7, v176
	s_clause 0x4
	buffer_load_dword v162, off, s[0:3], 0 offset:352
	buffer_load_dword v164, off, s[0:3], 0 offset:344
	;; [unrolled: 1-line block ×5, first 2 shown]
	v_add_f32_e32 v134, v6, v161
	ds_read_b128 v[6:9], v1 offset:720
	v_add_f32_e32 v128, v128, v177
	v_add_f32_e32 v134, v134, v192
	s_waitcnt vmcnt(25) lgkmcnt(1)
	v_mul_f32_e32 v177, v3, v186
	v_mul_f32_e32 v161, v2, v186
	v_add_f32_e32 v128, v128, v138
	s_clause 0x2
	buffer_load_dword v185, off, s[0:3], 0 offset:348
	buffer_load_dword v186, off, s[0:3], 0 offset:356
	;; [unrolled: 1-line block ×3, first 2 shown]
	v_fma_f32 v138, v2, v184, -v177
	v_add_f32_e32 v2, v134, v178
	v_fmac_f32_e32 v161, v3, v184
	v_add_f32_e32 v3, v128, v193
	s_waitcnt vmcnt(27)
	v_mul_f32_e32 v177, v4, v175
	s_clause 0x1
	buffer_load_dword v178, off, s[0:3], 0 offset:372
	buffer_load_dword v184, off, s[0:3], 0 offset:380
	v_add_f32_e32 v2, v2, v156
	v_mul_f32_e32 v128, v5, v175
	v_add_f32_e32 v3, v3, v129
	s_clause 0x2
	buffer_load_dword v156, off, s[0:3], 0 offset:388
	buffer_load_dword v175, off, s[0:3], 0 offset:396
	;; [unrolled: 1-line block ×3, first 2 shown]
	v_add_f32_e32 v2, v2, v154
	v_fmac_f32_e32 v177, v5, v173
	v_add_f32_e32 v3, v3, v152
	s_clause 0x2
	buffer_load_dword v152, off, s[0:3], 0 offset:412
	buffer_load_dword v154, off, s[0:3], 0 offset:420
	;; [unrolled: 1-line block ×3, first 2 shown]
	v_fma_f32 v173, v4, v173, -v128
	v_add_f32_e32 v2, v2, v179
	v_add_f32_e32 v3, v3, v158
	s_clause 0x2
	buffer_load_dword v158, off, s[0:3], 0 offset:436
	buffer_load_dword v179, off, s[0:3], 0 offset:444
	;; [unrolled: 1-line block ×3, first 2 shown]
	v_add_f32_e32 v2, v2, v157
	s_clause 0x7
	buffer_load_dword v157, off, s[0:3], 0 offset:384
	buffer_load_dword v193, off, s[0:3], 0 offset:376
	;; [unrolled: 1-line block ×8, first 2 shown]
	v_add_f32_e32 v3, v3, v130
	v_add_f32_e32 v2, v2, v147
	;; [unrolled: 1-line block ×8, first 2 shown]
	s_clause 0x3
	buffer_load_dword v148, off, s[0:3], 0 offset:448
	buffer_load_dword v201, off, s[0:3], 0 offset:440
	;; [unrolled: 1-line block ×4, first 2 shown]
	v_add_f32_e32 v3, v3, v11
	v_add_f32_e32 v2, v2, v149
	buffer_load_dword v149, off, s[0:3], 0 offset:8
	v_add_f32_e32 v3, v3, v12
	v_add_f32_e32 v2, v2, v150
	s_waitcnt vmcnt(49) lgkmcnt(0)
	v_mul_f32_e32 v10, v6, v145
	v_mul_f32_e32 v4, v7, v145
	v_fmac_f32_e32 v10, v7, v167
	v_fma_f32 v11, v6, v167, -v4
	v_add_f32_e32 v6, v3, v132
	v_add_f32_e32 v7, v2, v141
	ds_read_b128 v[2:5], v1 offset:736
	v_add_f32_e32 v12, v6, v169
	s_waitcnt vmcnt(48)
	v_mul_f32_e32 v141, v8, v139
	v_mul_f32_e32 v6, v9, v139
	v_add_f32_e32 v128, v7, v137
	v_add_f32_e32 v12, v12, v168
	s_waitcnt vmcnt(44)
	v_fmac_f32_e32 v141, v9, v194
	v_fma_f32 v142, v8, v194, -v6
	ds_read_b128 v[6:9], v1 offset:752
	v_add_f32_e32 v132, v128, v181
	v_add_f32_e32 v12, v12, v140
	ds_read_b128 v[128:131], v1 offset:768
	v_add_f32_e32 v132, v132, v135
	v_add_f32_e32 v12, v12, v143
	s_waitcnt vmcnt(43) lgkmcnt(2)
	v_mul_f32_e32 v144, v2, v133
	v_mul_f32_e32 v133, v3, v133
	v_fmac_f32_e32 v144, v3, v160
	v_fma_f32 v145, v2, v160, -v133
	v_add_f32_e32 v2, v132, v163
	v_add_f32_e32 v3, v12, v138
	ds_read_b128 v[132:135], v1 offset:784
	s_waitcnt vmcnt(42)
	v_mul_f32_e32 v12, v4, v136
	s_waitcnt vmcnt(41) lgkmcnt(2)
	v_mul_f32_e32 v137, v7, v172
	v_add_f32_e32 v2, v2, v161
	v_add_f32_e32 v3, v3, v173
	v_mul_f32_e32 v150, v6, v172
	v_mul_f32_e32 v136, v5, v136
	v_fma_f32 v147, v6, v151, -v137
	v_add_f32_e32 v2, v2, v177
	v_add_f32_e32 v6, v3, v11
	v_fmac_f32_e32 v150, v7, v151
	s_waitcnt vmcnt(39) lgkmcnt(1)
	v_mul_f32_e32 v161, v128, v153
	v_fma_f32 v146, v4, v159, -v136
	v_add_f32_e32 v7, v2, v10
	v_mul_f32_e32 v10, v129, v153
	v_add_f32_e32 v11, v6, v142
	v_fmac_f32_e32 v12, v5, v159
	v_mul_f32_e32 v140, v9, v180
	v_mul_f32_e32 v160, v8, v180
	s_waitcnt vmcnt(36)
	v_fma_f32 v153, v128, v182, -v10
	v_add_f32_e32 v10, v7, v141
	v_add_f32_e32 v11, v11, v145
	s_waitcnt vmcnt(35)
	v_fma_f32 v151, v8, v187, -v140
	ds_read_b128 v[2:5], v1 offset:800
	ds_read_b128 v[136:139], v1 offset:816
	v_fmac_f32_e32 v160, v9, v187
	v_add_f32_e32 v10, v10, v144
	v_add_f32_e32 v11, v11, v146
	s_waitcnt vmcnt(34)
	v_mul_f32_e32 v128, v131, v155
	v_fmac_f32_e32 v161, v129, v182
	v_mul_f32_e32 v159, v130, v155
	v_add_f32_e32 v10, v10, v12
	v_add_f32_e32 v12, v11, v147
	s_waitcnt vmcnt(33) lgkmcnt(2)
	v_mul_f32_e32 v129, v133, v183
	v_fma_f32 v168, v130, v171, -v128
	v_mul_f32_e32 v155, v132, v183
	v_add_f32_e32 v150, v10, v150
	v_add_f32_e32 v12, v12, v151
	v_fmac_f32_e32 v159, v131, v171
	s_waitcnt vmcnt(32)
	v_mul_f32_e32 v163, v134, v188
	v_mul_f32_e32 v167, v135, v188
	v_add_f32_e32 v150, v150, v160
	v_add_f32_e32 v12, v12, v153
	v_fma_f32 v169, v132, v170, -v129
	v_fmac_f32_e32 v155, v133, v170
	s_waitcnt vmcnt(28)
	v_fmac_f32_e32 v163, v135, v166
	v_add_f32_e32 v150, v150, v161
	v_add_f32_e32 v12, v12, v168
	v_fma_f32 v166, v134, v166, -v167
	s_waitcnt vmcnt(27) lgkmcnt(1)
	v_mul_f32_e32 v167, v3, v176
	ds_read_b128 v[6:9], v1 offset:832
	ds_read_b128 v[140:143], v1 offset:848
	v_add_f32_e32 v150, v150, v159
	v_add_f32_e32 v12, v12, v169
	v_mul_f32_e32 v151, v2, v176
	s_waitcnt vmcnt(26)
	v_mul_f32_e32 v170, v5, v185
	v_fma_f32 v2, v2, v165, -v167
	v_add_f32_e32 v150, v150, v155
	v_add_f32_e32 v12, v12, v166
	v_mul_f32_e32 v160, v4, v185
	v_fmac_f32_e32 v151, v3, v165
	s_waitcnt vmcnt(25) lgkmcnt(2)
	v_mul_f32_e32 v167, v137, v186
	v_add_f32_e32 v150, v150, v163
	v_fma_f32 v4, v4, v164, -v170
	v_add_f32_e32 v2, v12, v2
	v_mul_f32_e32 v153, v136, v186
	v_fmac_f32_e32 v160, v5, v164
	v_add_f32_e32 v12, v150, v151
	s_waitcnt vmcnt(24)
	v_mul_f32_e32 v163, v139, v189
	v_fma_f32 v136, v136, v162, -v167
	v_add_f32_e32 v2, v2, v4
	v_mul_f32_e32 v161, v138, v189
	v_fmac_f32_e32 v153, v137, v162
	v_add_f32_e32 v4, v12, v160
	s_waitcnt vmcnt(23) lgkmcnt(1)
	v_mul_f32_e32 v12, v7, v178
	v_add_f32_e32 v2, v2, v136
	ds_read_b128 v[128:131], v1 offset:864
	ds_read_b128 v[144:147], v1 offset:880
	s_waitcnt vmcnt(9)
	v_fma_f32 v137, v138, v196, -v163
	v_mul_f32_e32 v3, v6, v178
	v_fmac_f32_e32 v161, v139, v196
	v_add_f32_e32 v4, v4, v153
	v_mul_f32_e32 v136, v9, v184
	v_fma_f32 v6, v6, v195, -v12
	v_add_f32_e32 v2, v2, v137
	v_mul_f32_e32 v165, v8, v184
	v_fmac_f32_e32 v3, v7, v195
	v_add_f32_e32 v4, v4, v161
	s_waitcnt lgkmcnt(2)
	v_mul_f32_e32 v7, v141, v156
	v_fma_f32 v8, v8, v193, -v136
	v_add_f32_e32 v2, v2, v6
	v_mul_f32_e32 v159, v140, v156
	v_fmac_f32_e32 v165, v9, v193
	v_add_f32_e32 v3, v4, v3
	v_mul_f32_e32 v4, v143, v175
	v_fma_f32 v6, v140, v157, -v7
	v_add_f32_e32 v2, v2, v8
	v_mul_f32_e32 v5, v142, v175
	v_fmac_f32_e32 v159, v141, v157
	v_add_f32_e32 v3, v3, v165
	s_waitcnt lgkmcnt(1)
	v_mul_f32_e32 v7, v129, v190
	s_waitcnt vmcnt(5)
	v_fma_f32 v4, v142, v200, -v4
	v_add_f32_e32 v2, v2, v6
	ds_read_b128 v[132:135], v1 offset:896
	ds_read_b64 v[10:11], v1 offset:912
	v_mul_f32_e32 v164, v128, v190
	v_fmac_f32_e32 v5, v143, v200
	v_add_f32_e32 v3, v3, v159
	v_mul_f32_e32 v6, v131, v152
	v_fma_f32 v7, v128, v199, -v7
	v_add_f32_e32 v2, v2, v4
	v_mul_f32_e32 v155, v130, v152
	v_fmac_f32_e32 v164, v129, v199
	v_add_f32_e32 v3, v3, v5
	s_waitcnt lgkmcnt(2)
	v_mul_f32_e32 v4, v145, v154
	v_fma_f32 v5, v130, v198, -v6
	v_add_f32_e32 v2, v2, v7
	v_mul_f32_e32 v168, v144, v154
	v_fmac_f32_e32 v155, v131, v198
	v_add_f32_e32 v3, v3, v164
	v_mul_f32_e32 v6, v147, v191
	v_fma_f32 v4, v144, v197, -v4
	v_add_f32_e32 v2, v2, v5
	v_mul_f32_e32 v169, v146, v191
	v_fmac_f32_e32 v168, v145, v197
	v_add_f32_e32 v3, v3, v155
	s_waitcnt lgkmcnt(1)
	v_mul_f32_e32 v5, v133, v158
	s_waitcnt vmcnt(1)
	v_fma_f32 v6, v146, v203, -v6
	v_add_f32_e32 v2, v2, v4
	v_mul_f32_e32 v166, v132, v158
	v_fmac_f32_e32 v169, v147, v203
	v_add_f32_e32 v3, v3, v168
	v_mul_f32_e32 v4, v135, v179
	v_fma_f32 v5, v132, v202, -v5
	v_add_f32_e32 v2, v2, v6
	v_mul_f32_e32 v170, v134, v179
	v_fmac_f32_e32 v166, v133, v202
	v_add_f32_e32 v3, v3, v169
	s_waitcnt lgkmcnt(0)
	v_mul_f32_e32 v6, v11, v192
	v_fma_f32 v4, v134, v201, -v4
	v_add_f32_e32 v2, v2, v5
	v_mul_f32_e32 v150, v10, v192
	v_fmac_f32_e32 v170, v135, v201
	v_add_f32_e32 v3, v3, v166
	v_fma_f32 v5, v10, v148, -v6
	v_add_f32_e32 v2, v2, v4
	v_fmac_f32_e32 v150, v11, v148
	v_add_f32_e32 v3, v3, v170
	v_add_f32_e32 v2, v2, v5
	;; [unrolled: 1-line block ×3, first 2 shown]
	s_waitcnt vmcnt(0)
	v_sub_f32_e32 v2, v149, v2
	v_sub_f32_e32 v3, v174, v3
	buffer_store_dword v2, off, s[0:3], 0 offset:8
	buffer_store_dword v3, off, s[0:3], 0 offset:12
	v_cmpx_ne_u32_e32 0, v0
	s_cbranch_execz .LBB56_355
; %bb.354:
	s_clause 0x1
	buffer_load_dword v2, off, s[0:3], 0
	buffer_load_dword v3, off, s[0:3], 0 offset:4
	buffer_store_dword v1, off, s[0:3], 0
	buffer_store_dword v1, off, s[0:3], 0 offset:4
	s_waitcnt vmcnt(0)
	ds_write_b64 v127, v[2:3]
.LBB56_355:
	s_or_b32 exec_lo, exec_lo, s4
	s_waitcnt lgkmcnt(0)
	s_waitcnt_vscnt null, 0x0
	s_barrier
	buffer_gl0_inv
	s_clause 0x34
	buffer_load_dword v163, off, s[0:3], 0 offset:12
	buffer_load_dword v164, off, s[0:3], 0 offset:20
	;; [unrolled: 1-line block ×53, first 2 shown]
	ds_read2_b64 v[170:173], v1 offset0:59 offset1:60
	ds_read2_b64 v[174:177], v1 offset0:61 offset1:62
	ds_read2_b64 v[178:181], v1 offset0:63 offset1:64
	ds_read2_b64 v[182:185], v1 offset0:65 offset1:66
	buffer_load_dword v161, off, s[0:3], 0 offset:220
	s_and_b32 vcc_lo, exec_lo, s22
	s_waitcnt vmcnt(53) lgkmcnt(3)
	v_mul_f32_e32 v168, v170, v163
	v_mul_f32_e32 v186, v171, v163
	s_waitcnt vmcnt(52)
	v_mul_f32_e32 v163, v172, v164
	v_mul_f32_e32 v187, v173, v164
	s_waitcnt vmcnt(49)
	v_fmac_f32_e32 v168, v171, v5
	v_fma_f32 v186, v170, v5, -v186
	v_fmac_f32_e32 v163, v173, v4
	v_fma_f32 v187, v172, v4, -v187
	ds_read2_b64 v[170:173], v1 offset0:67 offset1:68
	s_waitcnt vmcnt(48) lgkmcnt(3)
	v_mul_f32_e32 v188, v174, v3
	v_mul_f32_e32 v3, v175, v3
	s_waitcnt vmcnt(47)
	v_mul_f32_e32 v189, v176, v2
	v_mul_f32_e32 v2, v177, v2
	s_waitcnt vmcnt(46) lgkmcnt(2)
	v_mul_f32_e32 v190, v178, v7
	v_fmac_f32_e32 v188, v175, v0
	v_fma_f32 v0, v174, v0, -v3
	s_waitcnt vmcnt(41)
	v_fmac_f32_e32 v189, v177, v128
	v_fma_f32 v128, v176, v128, -v2
	ds_read2_b64 v[2:5], v1 offset0:69 offset1:70
	ds_read2_b64 v[174:177], v1 offset0:71 offset1:72
	v_mul_f32_e32 v7, v179, v7
	v_mul_f32_e32 v191, v180, v6
	v_mul_f32_e32 v6, v181, v6
	v_fmac_f32_e32 v190, v179, v12
	s_clause 0x1
	buffer_load_dword v179, off, s[0:3], 0 offset:228
	buffer_load_dword v164, off, s[0:3], 0 offset:4
	v_fma_f32 v12, v178, v12, -v7
	v_fmac_f32_e32 v191, v181, v10
	v_fma_f32 v10, v180, v10, -v6
	s_waitcnt vmcnt(42) lgkmcnt(3)
	v_mul_f32_e32 v178, v182, v11
	v_mul_f32_e32 v6, v183, v11
	s_waitcnt vmcnt(41)
	v_mul_f32_e32 v11, v184, v9
	v_mul_f32_e32 v7, v185, v9
	s_waitcnt vmcnt(36) lgkmcnt(2)
	v_mul_f32_e32 v181, v170, v158
	v_fmac_f32_e32 v178, v183, v8
	v_fma_f32 v180, v182, v8, -v6
	v_fmac_f32_e32 v11, v185, v159
	v_fma_f32 v159, v184, v159, -v7
	ds_read2_b64 v[6:9], v1 offset0:73 offset1:74
	v_mul_f32_e32 v158, v171, v158
	s_waitcnt vmcnt(35)
	v_mul_f32_e32 v182, v172, v157
	v_mul_f32_e32 v157, v173, v157
	s_waitcnt vmcnt(34) lgkmcnt(2)
	v_mul_f32_e32 v183, v2, v156
	v_mul_f32_e32 v156, v3, v156
	v_fmac_f32_e32 v181, v171, v151
	v_fma_f32 v158, v170, v151, -v158
	s_waitcnt vmcnt(33)
	v_mul_f32_e32 v170, v4, v155
	v_mul_f32_e32 v151, v5, v155
	v_fmac_f32_e32 v182, v173, v146
	v_fma_f32 v146, v172, v146, -v157
	s_waitcnt vmcnt(32) lgkmcnt(1)
	v_mul_f32_e32 v155, v174, v152
	v_mul_f32_e32 v157, v175, v152
	s_waitcnt vmcnt(31)
	v_mul_f32_e32 v171, v176, v153
	v_mul_f32_e32 v172, v177, v153
	v_fmac_f32_e32 v183, v3, v139
	v_fma_f32 v156, v2, v139, -v156
	s_waitcnt vmcnt(27)
	v_fmac_f32_e32 v170, v5, v154
	v_fma_f32 v173, v4, v154, -v151
	ds_read2_b64 v[2:5], v1 offset0:75 offset1:76
	ds_read2_b64 v[151:154], v1 offset0:77 offset1:78
	v_fmac_f32_e32 v155, v175, v150
	v_fma_f32 v150, v174, v150, -v157
	v_fmac_f32_e32 v171, v177, v147
	v_fma_f32 v147, v176, v147, -v172
	s_clause 0x3
	buffer_load_dword v157, off, s[0:3], 0 offset:248
	buffer_load_dword v172, off, s[0:3], 0 offset:240
	;; [unrolled: 1-line block ×4, first 2 shown]
	s_waitcnt vmcnt(30) lgkmcnt(2)
	v_mul_f32_e32 v176, v6, v143
	v_mul_f32_e32 v139, v7, v143
	s_waitcnt vmcnt(29)
	v_mul_f32_e32 v143, v8, v141
	v_mul_f32_e32 v141, v9, v141
	v_fmac_f32_e32 v176, v7, v133
	v_fma_f32 v133, v6, v133, -v139
	s_waitcnt vmcnt(25)
	v_fmac_f32_e32 v143, v9, v149
	v_fma_f32 v149, v8, v149, -v141
	ds_read2_b64 v[6:9], v1 offset0:79 offset1:80
	s_clause 0x1
	buffer_load_dword v185, off, s[0:3], 0 offset:236
	buffer_load_dword v192, off, s[0:3], 0 offset:244
	s_waitcnt vmcnt(26) lgkmcnt(2)
	v_mul_f32_e32 v177, v2, v148
	v_mul_f32_e32 v139, v3, v148
	s_waitcnt vmcnt(25)
	v_mul_f32_e32 v148, v4, v145
	v_mul_f32_e32 v141, v5, v145
	s_waitcnt vmcnt(24) lgkmcnt(1)
	v_mul_f32_e32 v145, v151, v144
	v_mul_f32_e32 v144, v152, v144
	s_waitcnt vmcnt(23)
	v_mul_f32_e32 v193, v153, v136
	v_mul_f32_e32 v136, v154, v136
	v_fmac_f32_e32 v177, v3, v138
	v_fma_f32 v184, v2, v138, -v139
	v_fmac_f32_e32 v148, v5, v134
	v_fma_f32 v134, v4, v134, -v141
	ds_read2_b64 v[2:5], v1 offset0:81 offset1:82
	v_fmac_f32_e32 v145, v152, v129
	v_fma_f32 v129, v151, v129, -v144
	s_waitcnt vmcnt(19)
	v_fmac_f32_e32 v193, v154, v142
	v_fma_f32 v136, v153, v142, -v136
	s_waitcnt vmcnt(18) lgkmcnt(1)
	v_mul_f32_e32 v142, v6, v140
	v_mul_f32_e32 v144, v7, v140
	ds_read2_b64 v[138:141], v1 offset0:83 offset1:84
	buffer_load_dword v154, off, s[0:3], 0 offset:260
	v_fmac_f32_e32 v142, v7, v135
	v_fma_f32 v135, v6, v135, -v144
	s_waitcnt vmcnt(18)
	v_mul_f32_e32 v144, v8, v137
	v_mul_f32_e32 v6, v9, v137
	buffer_load_dword v137, off, s[0:3], 0 offset:252
	v_fmac_f32_e32 v144, v9, v130
	v_fma_f32 v130, v8, v130, -v6
	s_waitcnt vmcnt(18) lgkmcnt(1)
	v_mul_f32_e32 v151, v2, v132
	v_mul_f32_e32 v6, v3, v132
	s_waitcnt vmcnt(17)
	v_mul_f32_e32 v7, v5, v131
	v_mul_f32_e32 v132, v4, v131
	v_fmac_f32_e32 v151, v3, v127
	v_fma_f32 v127, v2, v127, -v6
	s_waitcnt vmcnt(13)
	v_fma_f32 v131, v4, v169, -v7
	s_waitcnt vmcnt(12) lgkmcnt(0)
	v_mul_f32_e32 v152, v138, v167
	v_mul_f32_e32 v6, v139, v167
	s_waitcnt vmcnt(11)
	v_mul_f32_e32 v153, v140, v166
	v_mul_f32_e32 v7, v141, v166
	v_fmac_f32_e32 v132, v5, v169
	ds_read2_b64 v[2:5], v1 offset0:85 offset1:86
	v_fmac_f32_e32 v152, v139, v165
	v_fma_f32 v138, v138, v165, -v6
	v_fmac_f32_e32 v153, v141, v162
	v_fma_f32 v139, v140, v162, -v7
	s_clause 0x5
	buffer_load_dword v140, off, s[0:3], 0 offset:280
	buffer_load_dword v141, off, s[0:3], 0 offset:272
	;; [unrolled: 1-line block ×6, first 2 shown]
	v_add_f32_e32 v7, 0, v186
	v_add_f32_e32 v6, 0, v168
	;; [unrolled: 1-line block ×4, first 2 shown]
	s_clause 0x1
	buffer_load_dword v163, off, s[0:3], 0 offset:284
	buffer_load_dword v168, off, s[0:3], 0 offset:292
	v_add_f32_e32 v0, v7, v0
	v_add_f32_e32 v6, v6, v188
	s_clause 0x3
	buffer_load_dword v169, off, s[0:3], 0 offset:312
	buffer_load_dword v186, off, s[0:3], 0 offset:304
	;; [unrolled: 1-line block ×4, first 2 shown]
	s_waitcnt vmcnt(22) lgkmcnt(0)
	v_mul_f32_e32 v7, v3, v161
	v_add_f32_e32 v0, v0, v128
	v_add_f32_e32 v6, v6, v189
	v_fma_f32 v128, v2, v160, -v7
	v_add_f32_e32 v0, v0, v12
	v_add_f32_e32 v6, v6, v190
	s_clause 0x2
	buffer_load_dword v12, off, s[0:3], 0 offset:300
	buffer_load_dword v189, off, s[0:3], 0 offset:308
	;; [unrolled: 1-line block ×3, first 2 shown]
	v_add_f32_e32 v0, v0, v10
	v_add_f32_e32 v6, v6, v191
	v_mul_f32_e32 v191, v2, v161
	buffer_load_dword v10, off, s[0:3], 0 offset:324
	v_add_f32_e32 v0, v0, v180
	v_add_f32_e32 v6, v6, v178
	v_fmac_f32_e32 v191, v3, v160
	v_add_f32_e32 v0, v0, v159
	v_add_f32_e32 v6, v6, v11
	;; [unrolled: 1-line block ×23, first 2 shown]
	s_waitcnt vmcnt(25)
	v_mul_f32_e32 v161, v4, v179
	v_mul_f32_e32 v8, v5, v179
	v_add_f32_e32 v179, v6, v183
	v_add_f32_e32 v170, v179, v170
	s_waitcnt vmcnt(20)
	v_fmac_f32_e32 v161, v5, v175
	v_fma_f32 v159, v4, v175, -v8
	ds_read2_b64 v[2:5], v1 offset0:87 offset1:88
	s_clause 0x6
	buffer_load_dword v11, off, s[0:3], 0 offset:344
	buffer_load_dword v158, off, s[0:3], 0 offset:336
	;; [unrolled: 1-line block ×7, first 2 shown]
	ds_read2_b64 v[6:9], v1 offset0:89 offset1:90
	v_add_f32_e32 v0, v0, v159
	s_waitcnt vmcnt(26) lgkmcnt(1)
	v_mul_f32_e32 v173, v2, v185
	v_mul_f32_e32 v180, v3, v185
	s_waitcnt vmcnt(25)
	v_mul_f32_e32 v179, v4, v192
	v_mul_f32_e32 v150, v5, v192
	v_fmac_f32_e32 v173, v3, v174
	v_fma_f32 v174, v2, v174, -v180
	v_add_f32_e32 v2, v170, v155
	s_clause 0x3
	buffer_load_dword v147, off, s[0:3], 0 offset:356
	buffer_load_dword v155, off, s[0:3], 0 offset:364
	;; [unrolled: 1-line block ×4, first 2 shown]
	v_fmac_f32_e32 v179, v5, v172
	v_fma_f32 v150, v4, v172, -v150
	v_add_f32_e32 v0, v0, v174
	v_add_f32_e32 v2, v2, v171
	s_clause 0x3
	buffer_load_dword v171, off, s[0:3], 0 offset:388
	buffer_load_dword v172, off, s[0:3], 0 offset:396
	;; [unrolled: 1-line block ×4, first 2 shown]
	v_add_f32_e32 v0, v0, v150
	v_add_f32_e32 v2, v2, v176
	s_waitcnt vmcnt(31) lgkmcnt(0)
	v_mul_f32_e32 v192, v6, v137
	v_mul_f32_e32 v3, v7, v137
	s_clause 0x4
	buffer_load_dword v149, off, s[0:3], 0 offset:420
	buffer_load_dword v176, off, s[0:3], 0 offset:428
	;; [unrolled: 1-line block ×5, first 2 shown]
	v_add_f32_e32 v2, v2, v143
	v_fmac_f32_e32 v192, v7, v157
	v_fma_f32 v137, v6, v157, -v3
	v_mul_f32_e32 v143, v8, v154
	v_add_f32_e32 v2, v2, v177
	s_clause 0x3
	buffer_load_dword v157, off, s[0:3], 0 offset:376
	buffer_load_dword v177, off, s[0:3], 0 offset:368
	;; [unrolled: 1-line block ×4, first 2 shown]
	v_add_f32_e32 v0, v0, v137
	v_add_f32_e32 v6, v2, v148
	v_mul_f32_e32 v2, v9, v154
	v_add_f32_e32 v6, v6, v145
	s_waitcnt vmcnt(36)
	v_fma_f32 v148, v8, v165, -v2
	ds_read2_b64 v[2:5], v1 offset0:91 offset1:92
	v_fmac_f32_e32 v143, v9, v165
	v_add_f32_e32 v6, v6, v193
	s_clause 0x3
	buffer_load_dword v154, off, s[0:3], 0 offset:408
	buffer_load_dword v165, off, s[0:3], 0 offset:400
	;; [unrolled: 1-line block ×4, first 2 shown]
	v_add_f32_e32 v0, v0, v148
	v_add_f32_e32 v129, v6, v142
	ds_read2_b64 v[6:9], v1 offset0:93 offset1:94
	v_add_f32_e32 v129, v129, v144
	s_waitcnt vmcnt(39) lgkmcnt(1)
	v_mul_f32_e32 v144, v2, v166
	v_mul_f32_e32 v130, v3, v166
	s_waitcnt vmcnt(38)
	v_mul_f32_e32 v145, v4, v167
	v_fmac_f32_e32 v144, v3, v162
	v_fma_f32 v142, v2, v162, -v130
	v_add_f32_e32 v2, v129, v151
	s_clause 0x5
	buffer_load_dword v151, off, s[0:3], 0 offset:440
	buffer_load_dword v162, off, s[0:3], 0 offset:432
	;; [unrolled: 1-line block ×5, first 2 shown]
	buffer_load_dword v199, off, s[0:3], 0
	v_mul_f32_e32 v3, v5, v167
	v_add_f32_e32 v2, v2, v132
	v_fmac_f32_e32 v145, v5, v141
	ds_read2_b64 v[127:130], v1 offset0:97 offset1:98
	s_waitcnt vmcnt(43) lgkmcnt(1)
	v_mul_f32_e32 v132, v7, v163
	s_waitcnt vmcnt(42)
	v_mul_f32_e32 v159, v8, v168
	v_add_f32_e32 v2, v2, v152
	v_fma_f32 v152, v4, v141, -v3
	v_mul_f32_e32 v133, v9, v168
	v_add_f32_e32 v0, v0, v142
	s_waitcnt vmcnt(38)
	v_fmac_f32_e32 v159, v9, v188
	v_add_f32_e32 v131, v2, v153
	ds_read2_b64 v[2:5], v1 offset0:95 offset1:96
	v_mul_f32_e32 v153, v6, v163
	v_fma_f32 v163, v6, v140, -v132
	v_add_f32_e32 v0, v0, v152
	v_add_f32_e32 v131, v131, v191
	v_fmac_f32_e32 v153, v7, v140
	v_add_f32_e32 v0, v0, v163
	v_add_f32_e32 v135, v131, v161
	v_fma_f32 v161, v8, v188, -v133
	ds_read2_b64 v[6:9], v1 offset0:99 offset1:100
	ds_read2_b64 v[131:134], v1 offset0:101 offset1:102
	s_waitcnt vmcnt(35) lgkmcnt(3)
	v_mul_f32_e32 v168, v127, v190
	v_mul_f32_e32 v139, v128, v190
	v_add_f32_e32 v135, v135, v173
	s_waitcnt vmcnt(34)
	v_mul_f32_e32 v173, v129, v10
	v_mul_f32_e32 v10, v130, v10
	v_fmac_f32_e32 v168, v128, v169
	v_fma_f32 v148, v127, v169, -v139
	v_add_f32_e32 v135, v135, v179
	s_waitcnt lgkmcnt(2)
	v_mul_f32_e32 v167, v2, v12
	v_mul_f32_e32 v12, v3, v12
	v_mul_f32_e32 v150, v4, v189
	v_mul_f32_e32 v136, v5, v189
	v_add_f32_e32 v140, v135, v192
	v_add_f32_e32 v0, v0, v161
	v_fma_f32 v12, v2, v187, -v12
	v_fmac_f32_e32 v167, v3, v187
	v_fmac_f32_e32 v150, v5, v186
	v_add_f32_e32 v143, v140, v143
	v_fma_f32 v174, v4, v186, -v136
	ds_read2_b64 v[2:5], v1 offset0:103 offset1:104
	ds_read2_b64 v[135:138], v1 offset0:105 offset1:106
	v_add_f32_e32 v0, v0, v12
	v_add_f32_e32 v143, v143, v144
	;; [unrolled: 1-line block ×6, first 2 shown]
	s_waitcnt vmcnt(29) lgkmcnt(3)
	v_mul_f32_e32 v169, v6, v146
	s_waitcnt vmcnt(28)
	v_mul_f32_e32 v152, v8, v156
	v_mul_f32_e32 v144, v7, v146
	;; [unrolled: 1-line block ×3, first 2 shown]
	v_fmac_f32_e32 v173, v130, v175
	v_fma_f32 v10, v129, v175, -v10
	ds_read2_b64 v[127:130], v1 offset0:107 offset1:108
	ds_read2_b64 v[139:142], v1 offset0:109 offset1:110
	v_fmac_f32_e32 v169, v7, v160
	v_fma_f32 v156, v6, v160, -v144
	v_fmac_f32_e32 v152, v9, v158
	v_fma_f32 v158, v8, v158, -v146
	ds_read2_b64 v[6:9], v1 offset0:111 offset1:112
	ds_read2_b64 v[143:146], v1 offset0:113 offset1:114
	v_add_f32_e32 v1, v153, v159
	v_add_f32_e32 v0, v0, v10
	s_waitcnt vmcnt(27) lgkmcnt(6)
	v_mul_f32_e32 v153, v131, v178
	v_mul_f32_e32 v159, v132, v178
	v_add_f32_e32 v1, v1, v167
	v_add_f32_e32 v0, v0, v156
	v_fmac_f32_e32 v153, v132, v11
	v_fma_f32 v11, v131, v11, -v159
	v_add_f32_e32 v1, v1, v150
	v_add_f32_e32 v0, v0, v158
	s_waitcnt vmcnt(26)
	v_mul_f32_e32 v12, v133, v147
	v_mul_f32_e32 v147, v134, v147
	v_add_f32_e32 v1, v1, v168
	s_waitcnt vmcnt(25) lgkmcnt(5)
	v_mul_f32_e32 v131, v3, v155
	v_add_f32_e32 v0, v0, v11
	v_mul_f32_e32 v160, v2, v155
	s_waitcnt vmcnt(24)
	v_mul_f32_e32 v11, v5, v170
	v_add_f32_e32 v1, v1, v173
	v_mul_f32_e32 v161, v4, v170
	s_waitcnt vmcnt(23) lgkmcnt(4)
	v_mul_f32_e32 v150, v135, v180
	s_waitcnt vmcnt(22)
	v_mul_f32_e32 v163, v137, v171
	s_waitcnt vmcnt(21) lgkmcnt(3)
	v_mul_f32_e32 v148, v127, v172
	v_add_f32_e32 v1, v1, v169
	s_waitcnt vmcnt(20)
	v_mul_f32_e32 v167, v129, v181
	s_waitcnt vmcnt(19) lgkmcnt(2)
	v_mul_f32_e32 v168, v139, v182
	s_waitcnt vmcnt(18)
	v_mul_f32_e32 v10, v141, v149
	s_waitcnt vmcnt(17) lgkmcnt(1)
	v_mul_f32_e32 v173, v6, v176
	v_add_f32_e32 v1, v1, v152
	s_waitcnt vmcnt(16)
	v_mul_f32_e32 v174, v8, v183
	s_waitcnt vmcnt(15) lgkmcnt(0)
	v_mul_f32_e32 v156, v143, v185
	s_waitcnt vmcnt(13)
	v_fmac_f32_e32 v150, v136, v157
	s_waitcnt vmcnt(12)
	v_fma_f32 v4, v4, v177, -v11
	v_add_f32_e32 v1, v1, v153
	s_waitcnt vmcnt(10)
	v_fma_f32 v132, v133, v195, -v147
	v_fmac_f32_e32 v12, v134, v195
	v_fma_f32 v2, v2, v194, -v131
	v_fmac_f32_e32 v160, v3, v194
	v_mul_f32_e32 v3, v136, v180
	v_add_f32_e32 v0, v0, v132
	v_add_f32_e32 v1, v1, v12
	v_fmac_f32_e32 v161, v5, v177
	v_mul_f32_e32 v169, v145, v184
	v_fma_f32 v3, v135, v157, -v3
	v_add_f32_e32 v0, v0, v2
	v_add_f32_e32 v1, v1, v160
	v_mul_f32_e32 v2, v138, v171
	s_waitcnt vmcnt(9)
	v_fmac_f32_e32 v168, v140, v154
	s_waitcnt vmcnt(8)
	v_fmac_f32_e32 v167, v130, v165
	v_add_f32_e32 v0, v0, v4
	v_add_f32_e32 v1, v1, v161
	v_mul_f32_e32 v4, v128, v172
	s_waitcnt vmcnt(6)
	v_fma_f32 v2, v137, v196, -v2
	v_fmac_f32_e32 v163, v138, v196
	v_add_f32_e32 v0, v0, v3
	v_add_f32_e32 v1, v1, v150
	v_mul_f32_e32 v3, v130, v181
	v_fma_f32 v4, v127, v193, -v4
	v_fmac_f32_e32 v148, v128, v193
	v_add_f32_e32 v0, v0, v2
	v_add_f32_e32 v1, v1, v163
	v_mul_f32_e32 v2, v140, v182
	v_fma_f32 v3, v129, v165, -v3
	v_add_f32_e32 v0, v0, v4
	v_add_f32_e32 v1, v1, v148
	v_mul_f32_e32 v4, v142, v149
	v_fma_f32 v2, v139, v154, -v2
	v_add_f32_e32 v0, v0, v3
	v_add_f32_e32 v1, v1, v167
	v_mul_f32_e32 v3, v7, v176
	s_waitcnt vmcnt(5)
	v_fmac_f32_e32 v156, v144, v151
	s_waitcnt vmcnt(4)
	v_fmac_f32_e32 v174, v9, v162
	v_add_f32_e32 v0, v0, v2
	s_waitcnt vmcnt(2)
	v_fma_f32 v4, v141, v197, -v4
	v_fmac_f32_e32 v10, v142, v197
	v_add_f32_e32 v1, v1, v168
	v_mul_f32_e32 v2, v9, v183
	v_fma_f32 v3, v6, v166, -v3
	v_add_f32_e32 v0, v0, v4
	v_fmac_f32_e32 v173, v7, v166
	v_add_f32_e32 v1, v1, v10
	v_mul_f32_e32 v4, v144, v185
	v_fma_f32 v2, v8, v162, -v2
	v_add_f32_e32 v0, v0, v3
	v_mul_f32_e32 v3, v146, v184
	v_add_f32_e32 v1, v1, v173
	v_fma_f32 v4, v143, v151, -v4
	s_waitcnt vmcnt(1)
	v_fmac_f32_e32 v169, v146, v198
	v_add_f32_e32 v0, v0, v2
	v_fma_f32 v2, v145, v198, -v3
	v_add_f32_e32 v1, v1, v174
	v_add_f32_e32 v0, v0, v4
	;; [unrolled: 1-line block ×5, first 2 shown]
	s_waitcnt vmcnt(0)
	v_sub_f32_e32 v0, v199, v0
	v_sub_f32_e32 v1, v164, v1
	buffer_store_dword v0, off, s[0:3], 0
	buffer_store_dword v1, off, s[0:3], 0 offset:4
	s_cbranch_vccz .LBB56_468
; %bb.356:
	v_mov_b32_e32 v0, 0
	global_load_dword v1, v0, s[20:21] offset:220
	s_waitcnt vmcnt(0)
	v_add_nc_u32_e32 v1, -1, v1
	v_cmp_ne_u32_e32 vcc_lo, 55, v1
	s_cbranch_vccz .LBB56_358
; %bb.357:
	v_lshlrev_b32_e32 v1, 3, v1
	s_clause 0x3
	buffer_load_dword v2, v1, s[0:3], 0 offen
	buffer_load_dword v3, v1, s[0:3], 0 offen offset:4
	buffer_load_dword v4, off, s[0:3], 0 offset:440
	buffer_load_dword v5, off, s[0:3], 0 offset:444
	s_waitcnt vmcnt(3)
	buffer_store_dword v2, off, s[0:3], 0 offset:440
	s_waitcnt vmcnt(2)
	buffer_store_dword v3, off, s[0:3], 0 offset:444
	s_waitcnt vmcnt(1)
	buffer_store_dword v4, v1, s[0:3], 0 offen
	s_waitcnt vmcnt(0)
	buffer_store_dword v5, v1, s[0:3], 0 offen offset:4
.LBB56_358:
	global_load_dword v0, v0, s[20:21] offset:216
	s_waitcnt vmcnt(0)
	v_add_nc_u32_e32 v0, -1, v0
	v_cmp_eq_u32_e32 vcc_lo, 54, v0
	s_cbranch_vccnz .LBB56_360
; %bb.359:
	v_lshlrev_b32_e32 v0, 3, v0
	s_clause 0x3
	buffer_load_dword v1, v0, s[0:3], 0 offen
	buffer_load_dword v2, v0, s[0:3], 0 offen offset:4
	buffer_load_dword v3, off, s[0:3], 0 offset:436
	buffer_load_dword v4, off, s[0:3], 0 offset:432
	s_waitcnt vmcnt(3)
	buffer_store_dword v1, off, s[0:3], 0 offset:432
	s_waitcnt vmcnt(2)
	buffer_store_dword v2, off, s[0:3], 0 offset:436
	s_waitcnt vmcnt(1)
	buffer_store_dword v3, v0, s[0:3], 0 offen offset:4
	s_waitcnt vmcnt(0)
	buffer_store_dword v4, v0, s[0:3], 0 offen
.LBB56_360:
	v_mov_b32_e32 v0, 0
	global_load_dword v1, v0, s[20:21] offset:212
	s_waitcnt vmcnt(0)
	v_add_nc_u32_e32 v1, -1, v1
	v_cmp_eq_u32_e32 vcc_lo, 53, v1
	s_cbranch_vccnz .LBB56_362
; %bb.361:
	v_lshlrev_b32_e32 v1, 3, v1
	s_clause 0x3
	buffer_load_dword v2, v1, s[0:3], 0 offen
	buffer_load_dword v3, v1, s[0:3], 0 offen offset:4
	buffer_load_dword v4, off, s[0:3], 0 offset:424
	buffer_load_dword v5, off, s[0:3], 0 offset:428
	s_waitcnt vmcnt(3)
	buffer_store_dword v2, off, s[0:3], 0 offset:424
	s_waitcnt vmcnt(2)
	buffer_store_dword v3, off, s[0:3], 0 offset:428
	s_waitcnt vmcnt(1)
	buffer_store_dword v4, v1, s[0:3], 0 offen
	s_waitcnt vmcnt(0)
	buffer_store_dword v5, v1, s[0:3], 0 offen offset:4
.LBB56_362:
	global_load_dword v0, v0, s[20:21] offset:208
	s_waitcnt vmcnt(0)
	v_add_nc_u32_e32 v0, -1, v0
	v_cmp_eq_u32_e32 vcc_lo, 52, v0
	s_cbranch_vccnz .LBB56_364
; %bb.363:
	v_lshlrev_b32_e32 v0, 3, v0
	s_clause 0x3
	buffer_load_dword v1, v0, s[0:3], 0 offen
	buffer_load_dword v2, v0, s[0:3], 0 offen offset:4
	buffer_load_dword v3, off, s[0:3], 0 offset:420
	buffer_load_dword v4, off, s[0:3], 0 offset:416
	s_waitcnt vmcnt(3)
	buffer_store_dword v1, off, s[0:3], 0 offset:416
	s_waitcnt vmcnt(2)
	buffer_store_dword v2, off, s[0:3], 0 offset:420
	s_waitcnt vmcnt(1)
	buffer_store_dword v3, v0, s[0:3], 0 offen offset:4
	s_waitcnt vmcnt(0)
	buffer_store_dword v4, v0, s[0:3], 0 offen
.LBB56_364:
	v_mov_b32_e32 v0, 0
	global_load_dword v1, v0, s[20:21] offset:204
	s_waitcnt vmcnt(0)
	v_add_nc_u32_e32 v1, -1, v1
	v_cmp_eq_u32_e32 vcc_lo, 51, v1
	s_cbranch_vccnz .LBB56_366
; %bb.365:
	v_lshlrev_b32_e32 v1, 3, v1
	s_clause 0x3
	buffer_load_dword v2, v1, s[0:3], 0 offen
	buffer_load_dword v3, v1, s[0:3], 0 offen offset:4
	buffer_load_dword v4, off, s[0:3], 0 offset:408
	buffer_load_dword v5, off, s[0:3], 0 offset:412
	s_waitcnt vmcnt(3)
	buffer_store_dword v2, off, s[0:3], 0 offset:408
	s_waitcnt vmcnt(2)
	buffer_store_dword v3, off, s[0:3], 0 offset:412
	s_waitcnt vmcnt(1)
	buffer_store_dword v4, v1, s[0:3], 0 offen
	s_waitcnt vmcnt(0)
	buffer_store_dword v5, v1, s[0:3], 0 offen offset:4
.LBB56_366:
	;; [unrolled: 43-line block ×27, first 2 shown]
	global_load_dword v0, v0, s[20:21]
	s_waitcnt vmcnt(0)
	v_add_nc_u32_e32 v0, -1, v0
	v_cmp_eq_u32_e32 vcc_lo, 0, v0
	s_cbranch_vccnz .LBB56_468
; %bb.467:
	v_lshlrev_b32_e32 v0, 3, v0
	s_clause 0x3
	buffer_load_dword v1, v0, s[0:3], 0 offen
	buffer_load_dword v2, v0, s[0:3], 0 offen offset:4
	buffer_load_dword v3, off, s[0:3], 0 offset:4
	buffer_load_dword v4, off, s[0:3], 0
	s_waitcnt vmcnt(3)
	buffer_store_dword v1, off, s[0:3], 0
	s_waitcnt vmcnt(2)
	buffer_store_dword v2, off, s[0:3], 0 offset:4
	s_waitcnt vmcnt(1)
	buffer_store_dword v3, v0, s[0:3], 0 offen offset:4
	s_waitcnt vmcnt(0)
	buffer_store_dword v4, v0, s[0:3], 0 offen
.LBB56_468:
	s_clause 0x3e
	buffer_load_dword v0, off, s[0:3], 0
	buffer_load_dword v1, off, s[0:3], 0 offset:4
	buffer_load_dword v2, off, s[0:3], 0 offset:8
	;; [unrolled: 1-line block ×62, first 2 shown]
	s_clause 0x32
	buffer_load_dword v178, off, s[0:3], 0 offset:252
	buffer_load_dword v179, off, s[0:3], 0 offset:256
	buffer_load_dword v180, off, s[0:3], 0 offset:260
	buffer_load_dword v181, off, s[0:3], 0 offset:264
	buffer_load_dword v182, off, s[0:3], 0 offset:268
	buffer_load_dword v183, off, s[0:3], 0 offset:272
	buffer_load_dword v184, off, s[0:3], 0 offset:276
	buffer_load_dword v185, off, s[0:3], 0 offset:280
	buffer_load_dword v186, off, s[0:3], 0 offset:284
	buffer_load_dword v187, off, s[0:3], 0 offset:288
	buffer_load_dword v188, off, s[0:3], 0 offset:292
	buffer_load_dword v189, off, s[0:3], 0 offset:296
	buffer_load_dword v190, off, s[0:3], 0 offset:300
	buffer_load_dword v191, off, s[0:3], 0 offset:304
	buffer_load_dword v192, off, s[0:3], 0 offset:308
	buffer_load_dword v193, off, s[0:3], 0 offset:312
	buffer_load_dword v194, off, s[0:3], 0 offset:316
	buffer_load_dword v195, off, s[0:3], 0 offset:320
	buffer_load_dword v196, off, s[0:3], 0 offset:324
	buffer_load_dword v197, off, s[0:3], 0 offset:328
	buffer_load_dword v198, off, s[0:3], 0 offset:332
	buffer_load_dword v199, off, s[0:3], 0 offset:336
	buffer_load_dword v200, off, s[0:3], 0 offset:340
	buffer_load_dword v201, off, s[0:3], 0 offset:344
	buffer_load_dword v202, off, s[0:3], 0 offset:348
	buffer_load_dword v203, off, s[0:3], 0 offset:352
	buffer_load_dword v204, off, s[0:3], 0 offset:356
	buffer_load_dword v205, off, s[0:3], 0 offset:360
	buffer_load_dword v206, off, s[0:3], 0 offset:364
	buffer_load_dword v207, off, s[0:3], 0 offset:368
	buffer_load_dword v208, off, s[0:3], 0 offset:372
	buffer_load_dword v209, off, s[0:3], 0 offset:376
	buffer_load_dword v210, off, s[0:3], 0 offset:380
	buffer_load_dword v211, off, s[0:3], 0 offset:384
	buffer_load_dword v212, off, s[0:3], 0 offset:388
	buffer_load_dword v213, off, s[0:3], 0 offset:392
	buffer_load_dword v214, off, s[0:3], 0 offset:396
	buffer_load_dword v215, off, s[0:3], 0 offset:400
	buffer_load_dword v216, off, s[0:3], 0 offset:404
	buffer_load_dword v217, off, s[0:3], 0 offset:408
	buffer_load_dword v218, off, s[0:3], 0 offset:412
	buffer_load_dword v219, off, s[0:3], 0 offset:416
	buffer_load_dword v220, off, s[0:3], 0 offset:420
	buffer_load_dword v221, off, s[0:3], 0 offset:424
	buffer_load_dword v222, off, s[0:3], 0 offset:428
	buffer_load_dword v223, off, s[0:3], 0 offset:432
	buffer_load_dword v224, off, s[0:3], 0 offset:436
	buffer_load_dword v225, off, s[0:3], 0 offset:440
	buffer_load_dword v226, off, s[0:3], 0 offset:444
	buffer_load_dword v227, off, s[0:3], 0 offset:448
	buffer_load_dword v228, off, s[0:3], 0 offset:452
	s_waitcnt vmcnt(62)
	global_store_dwordx2 v[107:108], v[0:1], off
	global_store_dwordx2 v[111:112], v[2:3], off
	;; [unrolled: 1-line block ×26, first 2 shown]
	s_waitcnt vmcnt(60)
	global_store_dwordx2 v[61:62], v[167:168], off
	s_waitcnt vmcnt(58)
	global_store_dwordx2 v[63:64], v[169:170], off
	;; [unrolled: 2-line block ×31, first 2 shown]
	s_endpgm
	.section	.rodata,"a",@progbits
	.p2align	6, 0x0
	.amdhsa_kernel _ZN9rocsolver6v33100L18getri_kernel_smallILi57E19rocblas_complex_numIfEPS3_EEvT1_iilPiilS6_bb
		.amdhsa_group_segment_fixed_size 920
		.amdhsa_private_segment_fixed_size 464
		.amdhsa_kernarg_size 60
		.amdhsa_user_sgpr_count 6
		.amdhsa_user_sgpr_private_segment_buffer 1
		.amdhsa_user_sgpr_dispatch_ptr 0
		.amdhsa_user_sgpr_queue_ptr 0
		.amdhsa_user_sgpr_kernarg_segment_ptr 1
		.amdhsa_user_sgpr_dispatch_id 0
		.amdhsa_user_sgpr_flat_scratch_init 0
		.amdhsa_user_sgpr_private_segment_size 0
		.amdhsa_wavefront_size32 1
		.amdhsa_uses_dynamic_stack 0
		.amdhsa_system_sgpr_private_segment_wavefront_offset 1
		.amdhsa_system_sgpr_workgroup_id_x 1
		.amdhsa_system_sgpr_workgroup_id_y 0
		.amdhsa_system_sgpr_workgroup_id_z 0
		.amdhsa_system_sgpr_workgroup_info 0
		.amdhsa_system_vgpr_workitem_id 0
		.amdhsa_next_free_vgpr 254
		.amdhsa_next_free_sgpr 23
		.amdhsa_reserve_vcc 1
		.amdhsa_reserve_flat_scratch 0
		.amdhsa_float_round_mode_32 0
		.amdhsa_float_round_mode_16_64 0
		.amdhsa_float_denorm_mode_32 3
		.amdhsa_float_denorm_mode_16_64 3
		.amdhsa_dx10_clamp 1
		.amdhsa_ieee_mode 1
		.amdhsa_fp16_overflow 0
		.amdhsa_workgroup_processor_mode 1
		.amdhsa_memory_ordered 1
		.amdhsa_forward_progress 1
		.amdhsa_shared_vgpr_count 0
		.amdhsa_exception_fp_ieee_invalid_op 0
		.amdhsa_exception_fp_denorm_src 0
		.amdhsa_exception_fp_ieee_div_zero 0
		.amdhsa_exception_fp_ieee_overflow 0
		.amdhsa_exception_fp_ieee_underflow 0
		.amdhsa_exception_fp_ieee_inexact 0
		.amdhsa_exception_int_div_zero 0
	.end_amdhsa_kernel
	.section	.text._ZN9rocsolver6v33100L18getri_kernel_smallILi57E19rocblas_complex_numIfEPS3_EEvT1_iilPiilS6_bb,"axG",@progbits,_ZN9rocsolver6v33100L18getri_kernel_smallILi57E19rocblas_complex_numIfEPS3_EEvT1_iilPiilS6_bb,comdat
.Lfunc_end56:
	.size	_ZN9rocsolver6v33100L18getri_kernel_smallILi57E19rocblas_complex_numIfEPS3_EEvT1_iilPiilS6_bb, .Lfunc_end56-_ZN9rocsolver6v33100L18getri_kernel_smallILi57E19rocblas_complex_numIfEPS3_EEvT1_iilPiilS6_bb
                                        ; -- End function
	.set _ZN9rocsolver6v33100L18getri_kernel_smallILi57E19rocblas_complex_numIfEPS3_EEvT1_iilPiilS6_bb.num_vgpr, 254
	.set _ZN9rocsolver6v33100L18getri_kernel_smallILi57E19rocblas_complex_numIfEPS3_EEvT1_iilPiilS6_bb.num_agpr, 0
	.set _ZN9rocsolver6v33100L18getri_kernel_smallILi57E19rocblas_complex_numIfEPS3_EEvT1_iilPiilS6_bb.numbered_sgpr, 23
	.set _ZN9rocsolver6v33100L18getri_kernel_smallILi57E19rocblas_complex_numIfEPS3_EEvT1_iilPiilS6_bb.num_named_barrier, 0
	.set _ZN9rocsolver6v33100L18getri_kernel_smallILi57E19rocblas_complex_numIfEPS3_EEvT1_iilPiilS6_bb.private_seg_size, 464
	.set _ZN9rocsolver6v33100L18getri_kernel_smallILi57E19rocblas_complex_numIfEPS3_EEvT1_iilPiilS6_bb.uses_vcc, 1
	.set _ZN9rocsolver6v33100L18getri_kernel_smallILi57E19rocblas_complex_numIfEPS3_EEvT1_iilPiilS6_bb.uses_flat_scratch, 0
	.set _ZN9rocsolver6v33100L18getri_kernel_smallILi57E19rocblas_complex_numIfEPS3_EEvT1_iilPiilS6_bb.has_dyn_sized_stack, 0
	.set _ZN9rocsolver6v33100L18getri_kernel_smallILi57E19rocblas_complex_numIfEPS3_EEvT1_iilPiilS6_bb.has_recursion, 0
	.set _ZN9rocsolver6v33100L18getri_kernel_smallILi57E19rocblas_complex_numIfEPS3_EEvT1_iilPiilS6_bb.has_indirect_call, 0
	.section	.AMDGPU.csdata,"",@progbits
; Kernel info:
; codeLenInByte = 120568
; TotalNumSgprs: 25
; NumVgprs: 254
; ScratchSize: 464
; MemoryBound: 0
; FloatMode: 240
; IeeeMode: 1
; LDSByteSize: 920 bytes/workgroup (compile time only)
; SGPRBlocks: 0
; VGPRBlocks: 31
; NumSGPRsForWavesPerEU: 25
; NumVGPRsForWavesPerEU: 254
; Occupancy: 4
; WaveLimiterHint : 1
; COMPUTE_PGM_RSRC2:SCRATCH_EN: 1
; COMPUTE_PGM_RSRC2:USER_SGPR: 6
; COMPUTE_PGM_RSRC2:TRAP_HANDLER: 0
; COMPUTE_PGM_RSRC2:TGID_X_EN: 1
; COMPUTE_PGM_RSRC2:TGID_Y_EN: 0
; COMPUTE_PGM_RSRC2:TGID_Z_EN: 0
; COMPUTE_PGM_RSRC2:TIDIG_COMP_CNT: 0
	.section	.text._ZN9rocsolver6v33100L18getri_kernel_smallILi58E19rocblas_complex_numIfEPS3_EEvT1_iilPiilS6_bb,"axG",@progbits,_ZN9rocsolver6v33100L18getri_kernel_smallILi58E19rocblas_complex_numIfEPS3_EEvT1_iilPiilS6_bb,comdat
	.globl	_ZN9rocsolver6v33100L18getri_kernel_smallILi58E19rocblas_complex_numIfEPS3_EEvT1_iilPiilS6_bb ; -- Begin function _ZN9rocsolver6v33100L18getri_kernel_smallILi58E19rocblas_complex_numIfEPS3_EEvT1_iilPiilS6_bb
	.p2align	8
	.type	_ZN9rocsolver6v33100L18getri_kernel_smallILi58E19rocblas_complex_numIfEPS3_EEvT1_iilPiilS6_bb,@function
_ZN9rocsolver6v33100L18getri_kernel_smallILi58E19rocblas_complex_numIfEPS3_EEvT1_iilPiilS6_bb: ; @_ZN9rocsolver6v33100L18getri_kernel_smallILi58E19rocblas_complex_numIfEPS3_EEvT1_iilPiilS6_bb
; %bb.0:
	s_add_u32 s0, s0, s7
	s_addc_u32 s1, s1, 0
	s_mov_b32 s7, exec_lo
	v_cmpx_gt_u32_e32 58, v0
	s_cbranch_execz .LBB57_246
; %bb.1:
	s_clause 0x2
	s_load_dword s7, s[4:5], 0x38
	s_load_dwordx4 s[16:19], s[4:5], 0x10
	s_load_dwordx4 s[8:11], s[4:5], 0x28
                                        ; implicit-def: $sgpr20_sgpr21
	s_waitcnt lgkmcnt(0)
	s_bitcmp1_b32 s7, 8
	s_cselect_b32 s22, -1, 0
	s_bfe_u32 s12, s7, 0x10008
	s_ashr_i32 s7, s6, 31
	s_cmp_eq_u32 s12, 0
	s_cbranch_scc1 .LBB57_3
; %bb.2:
	s_load_dword s12, s[4:5], 0x20
	s_mul_i32 s13, s8, s7
	s_mul_hi_u32 s14, s8, s6
	s_mul_i32 s9, s9, s6
	s_add_i32 s13, s14, s13
	s_mul_i32 s8, s8, s6
	s_add_i32 s9, s13, s9
	s_lshl_b64 s[8:9], s[8:9], 2
	s_waitcnt lgkmcnt(0)
	s_ashr_i32 s13, s12, 31
	s_add_u32 s14, s18, s8
	s_addc_u32 s15, s19, s9
	s_lshl_b64 s[8:9], s[12:13], 2
	s_add_u32 s20, s14, s8
	s_addc_u32 s21, s15, s9
.LBB57_3:
	s_clause 0x1
	s_load_dwordx4 s[12:15], s[4:5], 0x0
	s_load_dword s8, s[4:5], 0x38
	s_mul_i32 s4, s16, s7
	s_mul_hi_u32 s5, s16, s6
	s_mul_i32 s9, s17, s6
	s_add_i32 s5, s5, s4
	s_mul_i32 s4, s16, s6
	s_add_i32 s5, s5, s9
	s_lshl_b64 s[4:5], s[4:5], 3
	s_waitcnt lgkmcnt(0)
	v_add3_u32 v1, s15, s15, v0
	s_ashr_i32 s17, s14, 31
	s_mov_b32 s16, s14
	s_add_u32 s9, s12, s4
	s_addc_u32 s12, s13, s5
	v_add_nc_u32_e32 v3, s15, v1
	v_ashrrev_i32_e32 v2, 31, v1
	s_lshl_b64 s[4:5], s[16:17], 3
	s_add_u32 s4, s9, s4
	v_add_nc_u32_e32 v5, s15, v3
	v_ashrrev_i32_e32 v4, 31, v3
	v_lshlrev_b64 v[1:2], 3, v[1:2]
	s_addc_u32 s5, s12, s5
	s_ashr_i32 s13, s15, 31
	v_ashrrev_i32_e32 v6, 31, v5
	v_add_nc_u32_e32 v7, s15, v5
	v_lshlrev_b64 v[3:4], 3, v[3:4]
	v_add_co_u32 v13, vcc_lo, s4, v1
	v_add_co_ci_u32_e64 v14, null, s5, v2, vcc_lo
	v_lshlrev_b64 v[1:2], 3, v[5:6]
	v_ashrrev_i32_e32 v8, 31, v7
	v_add_nc_u32_e32 v5, s15, v7
	v_add_co_u32 v15, vcc_lo, s4, v3
	v_add_co_ci_u32_e64 v16, null, s5, v4, vcc_lo
	v_lshlrev_b64 v[3:4], 3, v[7:8]
	v_ashrrev_i32_e32 v6, 31, v5
	v_add_nc_u32_e32 v7, s15, v5
	;; [unrolled: 5-line block ×41, first 2 shown]
	v_add_co_u32 v95, vcc_lo, s4, v3
	v_add_co_ci_u32_e64 v96, null, s5, v4, vcc_lo
	v_lshlrev_b64 v[3:4], 3, v[7:8]
	v_add_nc_u32_e32 v7, s15, v5
	v_ashrrev_i32_e32 v6, 31, v5
	v_add_co_u32 v97, vcc_lo, s4, v1
	v_add_co_ci_u32_e64 v98, null, s5, v2, vcc_lo
	v_ashrrev_i32_e32 v8, 31, v7
	v_lshlrev_b64 v[1:2], 3, v[5:6]
	v_add_co_u32 v99, vcc_lo, s4, v3
	v_add_nc_u32_e32 v6, s15, v7
	v_add_co_ci_u32_e64 v100, null, s5, v4, vcc_lo
	v_lshlrev_b64 v[4:5], 3, v[7:8]
	v_add_co_u32 v101, vcc_lo, s4, v1
	v_ashrrev_i32_e32 v7, 31, v6
	v_lshlrev_b32_e32 v3, 3, v0
	v_add_co_ci_u32_e64 v102, null, s5, v2, vcc_lo
	v_add_co_u32 v103, vcc_lo, s4, v4
	v_add_co_ci_u32_e64 v104, null, s5, v5, vcc_lo
	v_lshlrev_b64 v[4:5], 3, v[6:7]
	v_add_nc_u32_e32 v6, s15, v6
	v_add_co_u32 v107, s9, s4, v3
	s_mov_b32 s12, s15
	v_add_co_ci_u32_e64 v108, null, s5, 0, s9
	s_lshl_b64 s[12:13], s[12:13], 3
	v_ashrrev_i32_e32 v7, 31, v6
	v_add_co_u32 v111, vcc_lo, v107, s12
	v_add_co_ci_u32_e64 v112, null, s13, v108, vcc_lo
	v_add_co_u32 v105, vcc_lo, s4, v4
	v_add_co_ci_u32_e64 v106, null, s5, v5, vcc_lo
	v_lshlrev_b64 v[4:5], 3, v[6:7]
	v_add_nc_u32_e32 v6, s15, v6
	s_clause 0x8
	global_load_dwordx2 v[1:2], v3, s[4:5]
	global_load_dwordx2 v[8:9], v[111:112], off
	global_load_dwordx2 v[10:11], v[13:14], off
	;; [unrolled: 1-line block ×8, first 2 shown]
	s_bitcmp0_b32 s8, 0
	v_ashrrev_i32_e32 v7, 31, v6
	v_add_co_u32 v109, vcc_lo, s4, v4
	v_add_co_ci_u32_e64 v110, null, s5, v5, vcc_lo
	v_lshlrev_b64 v[4:5], 3, v[6:7]
	v_add_nc_u32_e32 v6, s15, v6
	v_ashrrev_i32_e32 v7, 31, v6
	v_add_co_u32 v113, vcc_lo, s4, v4
	v_add_co_ci_u32_e64 v114, null, s5, v5, vcc_lo
	v_lshlrev_b64 v[115:116], 3, v[6:7]
	v_add_nc_u32_e32 v6, s15, v6
	s_clause 0xb
	global_load_dwordx2 v[4:5], v[27:28], off
	global_load_dwordx2 v[141:142], v[29:30], off
	;; [unrolled: 1-line block ×12, first 2 shown]
	v_ashrrev_i32_e32 v7, 31, v6
	v_add_co_u32 v115, vcc_lo, s4, v115
	v_add_co_ci_u32_e64 v116, null, s5, v116, vcc_lo
	v_lshlrev_b64 v[117:118], 3, v[6:7]
	v_add_nc_u32_e32 v6, s15, v6
	s_clause 0x7
	global_load_dwordx2 v[163:164], v[51:52], off
	global_load_dwordx2 v[165:166], v[53:54], off
	;; [unrolled: 1-line block ×8, first 2 shown]
	v_add_nc_u32_e32 v121, s15, v6
	v_ashrrev_i32_e32 v7, 31, v6
	v_add_co_u32 v117, vcc_lo, s4, v117
	v_add_co_ci_u32_e64 v118, null, s5, v118, vcc_lo
	v_add_nc_u32_e32 v123, s15, v121
	v_ashrrev_i32_e32 v122, 31, v121
	v_lshlrev_b64 v[6:7], 3, v[6:7]
	s_clause 0x2
	global_load_dwordx2 v[179:180], v[67:68], off
	global_load_dwordx2 v[181:182], v[71:72], off
	;; [unrolled: 1-line block ×3, first 2 shown]
	v_add_nc_u32_e32 v125, s15, v123
	v_ashrrev_i32_e32 v124, 31, v123
	v_lshlrev_b64 v[121:122], 3, v[121:122]
	v_add_co_u32 v119, vcc_lo, s4, v6
	v_add_nc_u32_e32 v127, s15, v125
	v_ashrrev_i32_e32 v126, 31, v125
	v_lshlrev_b64 v[123:124], 3, v[123:124]
	v_add_co_ci_u32_e64 v120, null, s5, v7, vcc_lo
	v_ashrrev_i32_e32 v128, 31, v127
	v_lshlrev_b64 v[125:126], 3, v[125:126]
	v_add_co_u32 v121, vcc_lo, s4, v121
	v_add_co_ci_u32_e64 v122, null, s5, v122, vcc_lo
	v_lshlrev_b64 v[127:128], 3, v[127:128]
	v_add_co_u32 v123, vcc_lo, s4, v123
	v_add_co_ci_u32_e64 v124, null, s5, v124, vcc_lo
	v_add_co_u32 v125, vcc_lo, s4, v125
	v_add_co_ci_u32_e64 v126, null, s5, v126, vcc_lo
	;; [unrolled: 2-line block ×3, first 2 shown]
	s_clause 0x19
	global_load_dwordx2 v[6:7], v[69:70], off
	global_load_dwordx2 v[185:186], v[75:76], off
	;; [unrolled: 1-line block ×26, first 2 shown]
	s_mov_b32 s5, -1
	s_waitcnt vmcnt(57)
	buffer_store_dword v2, off, s[0:3], 0 offset:4
	buffer_store_dword v1, off, s[0:3], 0
	s_waitcnt vmcnt(56)
	buffer_store_dword v9, off, s[0:3], 0 offset:12
	buffer_store_dword v8, off, s[0:3], 0 offset:8
	s_waitcnt vmcnt(55)
	buffer_store_dword v11, off, s[0:3], 0 offset:20
	buffer_store_dword v10, off, s[0:3], 0 offset:16
	;; [unrolled: 3-line block ×30, first 2 shown]
	buffer_store_dword v182, off, s[0:3], 0 offset:252
	buffer_store_dword v181, off, s[0:3], 0 offset:248
	;; [unrolled: 1-line block ×4, first 2 shown]
	s_waitcnt vmcnt(24)
	buffer_store_dword v185, off, s[0:3], 0 offset:264
	buffer_store_dword v186, off, s[0:3], 0 offset:268
	s_waitcnt vmcnt(23)
	buffer_store_dword v187, off, s[0:3], 0 offset:272
	buffer_store_dword v188, off, s[0:3], 0 offset:276
	s_waitcnt vmcnt(22)
	buffer_store_dword v189, off, s[0:3], 0 offset:280
	buffer_store_dword v190, off, s[0:3], 0 offset:284
	s_waitcnt vmcnt(21)
	buffer_store_dword v191, off, s[0:3], 0 offset:288
	buffer_store_dword v192, off, s[0:3], 0 offset:292
	s_waitcnt vmcnt(20)
	buffer_store_dword v194, off, s[0:3], 0 offset:300
	buffer_store_dword v193, off, s[0:3], 0 offset:296
	s_waitcnt vmcnt(19)
	buffer_store_dword v196, off, s[0:3], 0 offset:308
	buffer_store_dword v195, off, s[0:3], 0 offset:304
	s_waitcnt vmcnt(18)
	buffer_store_dword v197, off, s[0:3], 0 offset:312
	buffer_store_dword v198, off, s[0:3], 0 offset:316
	s_waitcnt vmcnt(17)
	buffer_store_dword v199, off, s[0:3], 0 offset:320
	buffer_store_dword v200, off, s[0:3], 0 offset:324
	s_waitcnt vmcnt(16)
	buffer_store_dword v201, off, s[0:3], 0 offset:328
	buffer_store_dword v202, off, s[0:3], 0 offset:332
	s_waitcnt vmcnt(15)
	buffer_store_dword v203, off, s[0:3], 0 offset:336
	buffer_store_dword v204, off, s[0:3], 0 offset:340
	s_waitcnt vmcnt(14)
	buffer_store_dword v206, off, s[0:3], 0 offset:348
	buffer_store_dword v205, off, s[0:3], 0 offset:344
	s_waitcnt vmcnt(13)
	buffer_store_dword v208, off, s[0:3], 0 offset:356
	buffer_store_dword v207, off, s[0:3], 0 offset:352
	s_waitcnt vmcnt(12)
	buffer_store_dword v209, off, s[0:3], 0 offset:360
	buffer_store_dword v210, off, s[0:3], 0 offset:364
	s_waitcnt vmcnt(11)
	buffer_store_dword v211, off, s[0:3], 0 offset:368
	buffer_store_dword v212, off, s[0:3], 0 offset:372
	s_waitcnt vmcnt(10)
	buffer_store_dword v213, off, s[0:3], 0 offset:376
	buffer_store_dword v214, off, s[0:3], 0 offset:380
	s_waitcnt vmcnt(9)
	buffer_store_dword v215, off, s[0:3], 0 offset:384
	buffer_store_dword v216, off, s[0:3], 0 offset:388
	s_waitcnt vmcnt(8)
	buffer_store_dword v218, off, s[0:3], 0 offset:396
	buffer_store_dword v217, off, s[0:3], 0 offset:392
	s_waitcnt vmcnt(7)
	buffer_store_dword v220, off, s[0:3], 0 offset:404
	buffer_store_dword v219, off, s[0:3], 0 offset:400
	s_waitcnt vmcnt(6)
	buffer_store_dword v221, off, s[0:3], 0 offset:408
	buffer_store_dword v222, off, s[0:3], 0 offset:412
	s_waitcnt vmcnt(5)
	buffer_store_dword v223, off, s[0:3], 0 offset:416
	buffer_store_dword v224, off, s[0:3], 0 offset:420
	s_waitcnt vmcnt(4)
	buffer_store_dword v225, off, s[0:3], 0 offset:424
	buffer_store_dword v226, off, s[0:3], 0 offset:428
	s_waitcnt vmcnt(3)
	buffer_store_dword v227, off, s[0:3], 0 offset:432
	buffer_store_dword v228, off, s[0:3], 0 offset:436
	s_waitcnt vmcnt(2)
	buffer_store_dword v230, off, s[0:3], 0 offset:444
	buffer_store_dword v229, off, s[0:3], 0 offset:440
	s_waitcnt vmcnt(1)
	buffer_store_dword v232, off, s[0:3], 0 offset:452
	buffer_store_dword v231, off, s[0:3], 0 offset:448
	s_waitcnt vmcnt(0)
	buffer_store_dword v233, off, s[0:3], 0 offset:456
	buffer_store_dword v234, off, s[0:3], 0 offset:460
	s_cbranch_scc1 .LBB57_244
; %bb.4:
	v_cmp_eq_u32_e64 s4, 0, v0
	s_and_saveexec_b32 s5, s4
; %bb.5:
	v_mov_b32_e32 v1, 0
	ds_write_b32 v1, v1 offset:928
; %bb.6:
	s_or_b32 exec_lo, exec_lo, s5
	v_lshl_add_u32 v5, v0, 3, 0
	s_waitcnt lgkmcnt(0)
	s_waitcnt_vscnt null, 0x0
	s_barrier
	buffer_gl0_inv
	s_clause 0x1
	buffer_load_dword v1, v5, s[0:3], 0 offen
	buffer_load_dword v2, v5, s[0:3], 0 offen offset:4
	s_waitcnt vmcnt(1)
	v_cmp_eq_f32_e32 vcc_lo, 0, v1
	s_waitcnt vmcnt(0)
	v_cmp_eq_f32_e64 s5, 0, v2
	s_and_b32 s5, vcc_lo, s5
	s_and_saveexec_b32 s8, s5
	s_cbranch_execz .LBB57_10
; %bb.7:
	v_mov_b32_e32 v1, 0
	s_mov_b32 s9, 0
	ds_read_b32 v2, v1 offset:928
	s_waitcnt lgkmcnt(0)
	v_readfirstlane_b32 s5, v2
	v_add_nc_u32_e32 v2, 1, v0
	s_cmp_eq_u32 s5, 0
	v_cmp_gt_i32_e32 vcc_lo, s5, v2
	s_cselect_b32 s12, -1, 0
	s_or_b32 s12, s12, vcc_lo
	s_and_b32 exec_lo, exec_lo, s12
	s_cbranch_execz .LBB57_10
; %bb.8:
	v_mov_b32_e32 v4, s5
.LBB57_9:                               ; =>This Inner Loop Header: Depth=1
	ds_cmpst_rtn_b32 v4, v1, v4, v2 offset:928
	s_waitcnt lgkmcnt(0)
	v_cmp_ne_u32_e32 vcc_lo, 0, v4
	v_cmp_le_i32_e64 s5, v4, v2
	s_and_b32 s5, vcc_lo, s5
	s_and_b32 s5, exec_lo, s5
	s_or_b32 s9, s5, s9
	s_andn2_b32 exec_lo, exec_lo, s9
	s_cbranch_execnz .LBB57_9
.LBB57_10:
	s_or_b32 exec_lo, exec_lo, s8
	v_mov_b32_e32 v1, 0
	s_barrier
	buffer_gl0_inv
	ds_read_b32 v2, v1 offset:928
	s_and_saveexec_b32 s5, s4
	s_cbranch_execz .LBB57_12
; %bb.11:
	s_lshl_b64 s[8:9], s[6:7], 2
	s_add_u32 s8, s10, s8
	s_addc_u32 s9, s11, s9
	s_waitcnt lgkmcnt(0)
	global_store_dword v1, v2, s[8:9]
.LBB57_12:
	s_or_b32 exec_lo, exec_lo, s5
	s_waitcnt lgkmcnt(0)
	v_cmp_ne_u32_e32 vcc_lo, 0, v2
	s_mov_b32 s5, 0
	s_cbranch_vccnz .LBB57_244
; %bb.13:
	s_clause 0x1
	buffer_load_dword v2, v5, s[0:3], 0 offen
	buffer_load_dword v4, v5, s[0:3], 0 offen offset:4
                                        ; implicit-def: $vgpr7
                                        ; implicit-def: $vgpr6
                                        ; implicit-def: $vgpr1
	s_waitcnt vmcnt(0)
	v_cmp_ngt_f32_e64 s5, |v2|, |v4|
	s_and_saveexec_b32 s8, s5
	s_xor_b32 s5, exec_lo, s8
	s_cbranch_execz .LBB57_15
; %bb.14:
	v_div_scale_f32 v1, null, v4, v4, v2
	v_div_scale_f32 v8, vcc_lo, v2, v4, v2
	v_rcp_f32_e32 v6, v1
	v_fma_f32 v7, -v1, v6, 1.0
	v_fmac_f32_e32 v6, v7, v6
	v_mul_f32_e32 v7, v8, v6
	v_fma_f32 v9, -v1, v7, v8
	v_fmac_f32_e32 v7, v9, v6
	v_fma_f32 v1, -v1, v7, v8
	v_div_fmas_f32 v1, v1, v6, v7
	v_div_fixup_f32 v1, v1, v4, v2
	v_fmac_f32_e32 v4, v2, v1
	v_div_scale_f32 v2, null, v4, v4, 1.0
	v_rcp_f32_e32 v6, v2
	v_fma_f32 v7, -v2, v6, 1.0
	v_fmac_f32_e32 v6, v7, v6
	v_div_scale_f32 v7, vcc_lo, 1.0, v4, 1.0
	v_mul_f32_e32 v8, v7, v6
	v_fma_f32 v9, -v2, v8, v7
	v_fmac_f32_e32 v8, v9, v6
	v_fma_f32 v2, -v2, v8, v7
	v_div_fmas_f32 v2, v2, v6, v8
	v_div_fixup_f32 v2, v2, v4, 1.0
                                        ; implicit-def: $vgpr4
	v_mul_f32_e32 v7, v1, v2
	v_xor_b32_e32 v6, 0x80000000, v2
                                        ; implicit-def: $vgpr2
	v_xor_b32_e32 v1, 0x80000000, v7
.LBB57_15:
	s_andn2_saveexec_b32 s5, s5
	s_cbranch_execz .LBB57_17
; %bb.16:
	v_div_scale_f32 v1, null, v2, v2, v4
	v_div_scale_f32 v8, vcc_lo, v4, v2, v4
	v_rcp_f32_e32 v6, v1
	v_fma_f32 v7, -v1, v6, 1.0
	v_fmac_f32_e32 v6, v7, v6
	v_mul_f32_e32 v7, v8, v6
	v_fma_f32 v9, -v1, v7, v8
	v_fmac_f32_e32 v7, v9, v6
	v_fma_f32 v1, -v1, v7, v8
	v_div_fmas_f32 v1, v1, v6, v7
	v_div_fixup_f32 v6, v1, v2, v4
	v_fmac_f32_e32 v2, v4, v6
	v_div_scale_f32 v1, null, v2, v2, 1.0
	v_div_scale_f32 v8, vcc_lo, 1.0, v2, 1.0
	v_rcp_f32_e32 v4, v1
	v_fma_f32 v7, -v1, v4, 1.0
	v_fmac_f32_e32 v4, v7, v4
	v_mul_f32_e32 v7, v8, v4
	v_fma_f32 v9, -v1, v7, v8
	v_fmac_f32_e32 v7, v9, v4
	v_fma_f32 v1, -v1, v7, v8
	v_div_fmas_f32 v1, v1, v4, v7
	v_div_fixup_f32 v7, v1, v2, 1.0
	v_xor_b32_e32 v1, 0x80000000, v7
	v_mul_f32_e64 v6, v6, -v7
.LBB57_17:
	s_or_b32 exec_lo, exec_lo, s5
	buffer_store_dword v7, v5, s[0:3], 0 offen
	buffer_store_dword v6, v5, s[0:3], 0 offen offset:4
	s_clause 0x1
	buffer_load_dword v8, off, s[0:3], 0 offset:12
	buffer_load_dword v7, off, s[0:3], 0 offset:8
	v_xor_b32_e32 v2, 0x80000000, v6
	v_add_nc_u32_e32 v4, 0x1d0, v3
	s_waitcnt vmcnt(0)
	ds_write2_b64 v3, v[1:2], v[7:8] offset1:58
	s_waitcnt lgkmcnt(0)
	s_waitcnt_vscnt null, 0x0
	s_barrier
	buffer_gl0_inv
	s_and_saveexec_b32 s5, s4
	s_cbranch_execz .LBB57_19
; %bb.18:
	s_clause 0x1
	buffer_load_dword v8, v5, s[0:3], 0 offen offset:4
	buffer_load_dword v9, v5, s[0:3], 0 offen
	ds_read_b64 v[1:2], v4
	v_mov_b32_e32 v6, 0
	ds_read_b64 v[6:7], v6 offset:8
	s_waitcnt vmcnt(1) lgkmcnt(1)
	v_mul_f32_e32 v10, v1, v8
	v_mul_f32_e32 v8, v2, v8
	s_waitcnt vmcnt(0)
	v_fmac_f32_e32 v10, v2, v9
	v_fma_f32 v1, v1, v9, -v8
	v_add_f32_e32 v2, 0, v10
	v_add_f32_e32 v1, 0, v1
	s_waitcnt lgkmcnt(0)
	v_mul_f32_e32 v8, v2, v7
	v_mul_f32_e32 v7, v1, v7
	v_fma_f32 v1, v1, v6, -v8
	v_fmac_f32_e32 v7, v2, v6
	buffer_store_dword v1, off, s[0:3], 0 offset:8
	buffer_store_dword v7, off, s[0:3], 0 offset:12
.LBB57_19:
	s_or_b32 exec_lo, exec_lo, s5
	s_waitcnt_vscnt null, 0x0
	s_barrier
	buffer_gl0_inv
	s_clause 0x1
	buffer_load_dword v1, off, s[0:3], 0 offset:16
	buffer_load_dword v2, off, s[0:3], 0 offset:20
	s_mov_b32 s5, exec_lo
	s_waitcnt vmcnt(0)
	ds_write_b64 v4, v[1:2]
	s_waitcnt lgkmcnt(0)
	s_barrier
	buffer_gl0_inv
	v_cmpx_gt_u32_e32 2, v0
	s_cbranch_execz .LBB57_23
; %bb.20:
	s_clause 0x1
	buffer_load_dword v6, v5, s[0:3], 0 offen offset:4
	buffer_load_dword v5, v5, s[0:3], 0 offen
	ds_read_b64 v[1:2], v4
	s_waitcnt vmcnt(1) lgkmcnt(0)
	v_mul_f32_e32 v7, v2, v6
	v_mul_f32_e32 v6, v1, v6
	s_waitcnt vmcnt(0)
	v_fma_f32 v1, v1, v5, -v7
	v_fmac_f32_e32 v6, v2, v5
	v_add_f32_e32 v2, 0, v1
	v_add_f32_e32 v1, 0, v6
	s_and_saveexec_b32 s8, s4
	s_cbranch_execz .LBB57_22
; %bb.21:
	s_clause 0x1
	buffer_load_dword v7, off, s[0:3], 0 offset:12
	buffer_load_dword v8, off, s[0:3], 0 offset:8
	v_mov_b32_e32 v5, 0
	ds_read_b64 v[5:6], v5 offset:472
	s_waitcnt vmcnt(1) lgkmcnt(0)
	v_mul_f32_e32 v9, v5, v7
	v_mul_f32_e32 v7, v6, v7
	s_waitcnt vmcnt(0)
	v_fmac_f32_e32 v9, v6, v8
	v_fma_f32 v5, v5, v8, -v7
	v_add_f32_e32 v1, v1, v9
	v_add_f32_e32 v2, v2, v5
.LBB57_22:
	s_or_b32 exec_lo, exec_lo, s8
	v_mov_b32_e32 v5, 0
	ds_read_b64 v[5:6], v5 offset:16
	s_waitcnt lgkmcnt(0)
	v_mul_f32_e32 v7, v1, v6
	v_mul_f32_e32 v6, v2, v6
	v_fma_f32 v2, v2, v5, -v7
	v_fmac_f32_e32 v6, v1, v5
	buffer_store_dword v2, off, s[0:3], 0 offset:16
	buffer_store_dword v6, off, s[0:3], 0 offset:20
.LBB57_23:
	s_or_b32 exec_lo, exec_lo, s5
	s_waitcnt_vscnt null, 0x0
	s_barrier
	buffer_gl0_inv
	s_clause 0x1
	buffer_load_dword v5, off, s[0:3], 0 offset:24
	buffer_load_dword v6, off, s[0:3], 0 offset:28
	v_add_nc_u32_e32 v1, -1, v0
	s_mov_b32 s4, exec_lo
	s_waitcnt vmcnt(0)
	ds_write_b64 v4, v[5:6]
	s_waitcnt lgkmcnt(0)
	s_barrier
	buffer_gl0_inv
	v_cmpx_gt_u32_e32 3, v0
	s_cbranch_execz .LBB57_27
; %bb.24:
	v_add_nc_u32_e32 v5, -1, v0
	v_add_nc_u32_e32 v6, 0x1d0, v3
	v_mov_b32_e32 v7, v3
	v_mov_b32_e32 v2, 0
	;; [unrolled: 1-line block ×3, first 2 shown]
	s_mov_b32 s5, 0
	.p2align	6
.LBB57_25:                              ; =>This Inner Loop Header: Depth=1
	s_clause 0x1
	buffer_load_dword v11, v7, s[0:3], 0 offen offset:4
	buffer_load_dword v12, v7, s[0:3], 0 offen
	ds_read_b64 v[9:10], v6
	v_add_nc_u32_e32 v5, 1, v5
	v_add_nc_u32_e32 v6, 8, v6
	;; [unrolled: 1-line block ×3, first 2 shown]
	v_cmp_lt_u32_e32 vcc_lo, 1, v5
	s_or_b32 s5, vcc_lo, s5
	s_waitcnt vmcnt(1) lgkmcnt(0)
	v_mul_f32_e32 v129, v10, v11
	v_mul_f32_e32 v11, v9, v11
	s_waitcnt vmcnt(0)
	v_fma_f32 v9, v9, v12, -v129
	v_fmac_f32_e32 v11, v10, v12
	v_add_f32_e32 v8, v8, v9
	v_add_f32_e32 v2, v2, v11
	s_andn2_b32 exec_lo, exec_lo, s5
	s_cbranch_execnz .LBB57_25
; %bb.26:
	s_or_b32 exec_lo, exec_lo, s5
	v_mov_b32_e32 v5, 0
	ds_read_b64 v[5:6], v5 offset:24
	s_waitcnt lgkmcnt(0)
	v_mul_f32_e32 v7, v2, v6
	v_mul_f32_e32 v6, v8, v6
	v_fma_f32 v7, v8, v5, -v7
	v_fmac_f32_e32 v6, v2, v5
	buffer_store_dword v7, off, s[0:3], 0 offset:24
	buffer_store_dword v6, off, s[0:3], 0 offset:28
.LBB57_27:
	s_or_b32 exec_lo, exec_lo, s4
	s_waitcnt_vscnt null, 0x0
	s_barrier
	buffer_gl0_inv
	s_clause 0x1
	buffer_load_dword v5, off, s[0:3], 0 offset:32
	buffer_load_dword v6, off, s[0:3], 0 offset:36
	s_mov_b32 s4, exec_lo
	s_waitcnt vmcnt(0)
	ds_write_b64 v4, v[5:6]
	s_waitcnt lgkmcnt(0)
	s_barrier
	buffer_gl0_inv
	v_cmpx_gt_u32_e32 4, v0
	s_cbranch_execz .LBB57_31
; %bb.28:
	v_add_nc_u32_e32 v5, -1, v0
	v_add_nc_u32_e32 v6, 0x1d0, v3
	v_mov_b32_e32 v7, v3
	v_mov_b32_e32 v2, 0
	;; [unrolled: 1-line block ×3, first 2 shown]
	s_mov_b32 s5, 0
	.p2align	6
.LBB57_29:                              ; =>This Inner Loop Header: Depth=1
	s_clause 0x1
	buffer_load_dword v11, v7, s[0:3], 0 offen offset:4
	buffer_load_dword v12, v7, s[0:3], 0 offen
	ds_read_b64 v[9:10], v6
	v_add_nc_u32_e32 v5, 1, v5
	v_add_nc_u32_e32 v6, 8, v6
	v_add_nc_u32_e32 v7, 8, v7
	v_cmp_lt_u32_e32 vcc_lo, 2, v5
	s_or_b32 s5, vcc_lo, s5
	s_waitcnt vmcnt(1) lgkmcnt(0)
	v_mul_f32_e32 v129, v10, v11
	v_mul_f32_e32 v11, v9, v11
	s_waitcnt vmcnt(0)
	v_fma_f32 v9, v9, v12, -v129
	v_fmac_f32_e32 v11, v10, v12
	v_add_f32_e32 v8, v8, v9
	v_add_f32_e32 v2, v2, v11
	s_andn2_b32 exec_lo, exec_lo, s5
	s_cbranch_execnz .LBB57_29
; %bb.30:
	s_or_b32 exec_lo, exec_lo, s5
	v_mov_b32_e32 v5, 0
	ds_read_b64 v[5:6], v5 offset:32
	s_waitcnt lgkmcnt(0)
	v_mul_f32_e32 v7, v2, v6
	v_mul_f32_e32 v6, v8, v6
	v_fma_f32 v7, v8, v5, -v7
	v_fmac_f32_e32 v6, v2, v5
	buffer_store_dword v7, off, s[0:3], 0 offset:32
	buffer_store_dword v6, off, s[0:3], 0 offset:36
.LBB57_31:
	s_or_b32 exec_lo, exec_lo, s4
	s_waitcnt_vscnt null, 0x0
	s_barrier
	buffer_gl0_inv
	s_clause 0x1
	buffer_load_dword v5, off, s[0:3], 0 offset:40
	buffer_load_dword v6, off, s[0:3], 0 offset:44
	s_mov_b32 s4, exec_lo
	s_waitcnt vmcnt(0)
	ds_write_b64 v4, v[5:6]
	s_waitcnt lgkmcnt(0)
	s_barrier
	buffer_gl0_inv
	v_cmpx_gt_u32_e32 5, v0
	s_cbranch_execz .LBB57_35
; %bb.32:
	v_add_nc_u32_e32 v5, -1, v0
	v_add_nc_u32_e32 v6, 0x1d0, v3
	v_mov_b32_e32 v7, v3
	v_mov_b32_e32 v2, 0
	;; [unrolled: 1-line block ×3, first 2 shown]
	s_mov_b32 s5, 0
	.p2align	6
.LBB57_33:                              ; =>This Inner Loop Header: Depth=1
	s_clause 0x1
	buffer_load_dword v11, v7, s[0:3], 0 offen offset:4
	buffer_load_dword v12, v7, s[0:3], 0 offen
	ds_read_b64 v[9:10], v6
	v_add_nc_u32_e32 v5, 1, v5
	v_add_nc_u32_e32 v6, 8, v6
	;; [unrolled: 1-line block ×3, first 2 shown]
	v_cmp_lt_u32_e32 vcc_lo, 3, v5
	s_or_b32 s5, vcc_lo, s5
	s_waitcnt vmcnt(1) lgkmcnt(0)
	v_mul_f32_e32 v129, v10, v11
	v_mul_f32_e32 v11, v9, v11
	s_waitcnt vmcnt(0)
	v_fma_f32 v9, v9, v12, -v129
	v_fmac_f32_e32 v11, v10, v12
	v_add_f32_e32 v8, v8, v9
	v_add_f32_e32 v2, v2, v11
	s_andn2_b32 exec_lo, exec_lo, s5
	s_cbranch_execnz .LBB57_33
; %bb.34:
	s_or_b32 exec_lo, exec_lo, s5
	v_mov_b32_e32 v5, 0
	ds_read_b64 v[5:6], v5 offset:40
	s_waitcnt lgkmcnt(0)
	v_mul_f32_e32 v7, v2, v6
	v_mul_f32_e32 v6, v8, v6
	v_fma_f32 v7, v8, v5, -v7
	v_fmac_f32_e32 v6, v2, v5
	buffer_store_dword v7, off, s[0:3], 0 offset:40
	buffer_store_dword v6, off, s[0:3], 0 offset:44
.LBB57_35:
	s_or_b32 exec_lo, exec_lo, s4
	s_waitcnt_vscnt null, 0x0
	s_barrier
	buffer_gl0_inv
	s_clause 0x1
	buffer_load_dword v5, off, s[0:3], 0 offset:48
	buffer_load_dword v6, off, s[0:3], 0 offset:52
	s_mov_b32 s4, exec_lo
	s_waitcnt vmcnt(0)
	ds_write_b64 v4, v[5:6]
	s_waitcnt lgkmcnt(0)
	s_barrier
	buffer_gl0_inv
	v_cmpx_gt_u32_e32 6, v0
	s_cbranch_execz .LBB57_39
; %bb.36:
	v_add_nc_u32_e32 v5, -1, v0
	v_add_nc_u32_e32 v6, 0x1d0, v3
	v_mov_b32_e32 v7, v3
	v_mov_b32_e32 v2, 0
	;; [unrolled: 1-line block ×3, first 2 shown]
	s_mov_b32 s5, 0
	.p2align	6
.LBB57_37:                              ; =>This Inner Loop Header: Depth=1
	s_clause 0x1
	buffer_load_dword v11, v7, s[0:3], 0 offen offset:4
	buffer_load_dword v12, v7, s[0:3], 0 offen
	ds_read_b64 v[9:10], v6
	v_add_nc_u32_e32 v5, 1, v5
	v_add_nc_u32_e32 v6, 8, v6
	;; [unrolled: 1-line block ×3, first 2 shown]
	v_cmp_lt_u32_e32 vcc_lo, 4, v5
	s_or_b32 s5, vcc_lo, s5
	s_waitcnt vmcnt(1) lgkmcnt(0)
	v_mul_f32_e32 v129, v10, v11
	v_mul_f32_e32 v11, v9, v11
	s_waitcnt vmcnt(0)
	v_fma_f32 v9, v9, v12, -v129
	v_fmac_f32_e32 v11, v10, v12
	v_add_f32_e32 v8, v8, v9
	v_add_f32_e32 v2, v2, v11
	s_andn2_b32 exec_lo, exec_lo, s5
	s_cbranch_execnz .LBB57_37
; %bb.38:
	s_or_b32 exec_lo, exec_lo, s5
	v_mov_b32_e32 v5, 0
	ds_read_b64 v[5:6], v5 offset:48
	s_waitcnt lgkmcnt(0)
	v_mul_f32_e32 v7, v2, v6
	v_mul_f32_e32 v6, v8, v6
	v_fma_f32 v7, v8, v5, -v7
	v_fmac_f32_e32 v6, v2, v5
	buffer_store_dword v7, off, s[0:3], 0 offset:48
	buffer_store_dword v6, off, s[0:3], 0 offset:52
.LBB57_39:
	s_or_b32 exec_lo, exec_lo, s4
	s_waitcnt_vscnt null, 0x0
	s_barrier
	buffer_gl0_inv
	s_clause 0x1
	buffer_load_dword v5, off, s[0:3], 0 offset:56
	buffer_load_dword v6, off, s[0:3], 0 offset:60
	s_mov_b32 s4, exec_lo
	s_waitcnt vmcnt(0)
	ds_write_b64 v4, v[5:6]
	s_waitcnt lgkmcnt(0)
	s_barrier
	buffer_gl0_inv
	v_cmpx_gt_u32_e32 7, v0
	s_cbranch_execz .LBB57_43
; %bb.40:
	v_add_nc_u32_e32 v5, -1, v0
	v_add_nc_u32_e32 v6, 0x1d0, v3
	v_mov_b32_e32 v7, v3
	v_mov_b32_e32 v2, 0
	;; [unrolled: 1-line block ×3, first 2 shown]
	s_mov_b32 s5, 0
	.p2align	6
.LBB57_41:                              ; =>This Inner Loop Header: Depth=1
	s_clause 0x1
	buffer_load_dword v11, v7, s[0:3], 0 offen offset:4
	buffer_load_dword v12, v7, s[0:3], 0 offen
	ds_read_b64 v[9:10], v6
	v_add_nc_u32_e32 v5, 1, v5
	v_add_nc_u32_e32 v6, 8, v6
	;; [unrolled: 1-line block ×3, first 2 shown]
	v_cmp_lt_u32_e32 vcc_lo, 5, v5
	s_or_b32 s5, vcc_lo, s5
	s_waitcnt vmcnt(1) lgkmcnt(0)
	v_mul_f32_e32 v129, v10, v11
	v_mul_f32_e32 v11, v9, v11
	s_waitcnt vmcnt(0)
	v_fma_f32 v9, v9, v12, -v129
	v_fmac_f32_e32 v11, v10, v12
	v_add_f32_e32 v8, v8, v9
	v_add_f32_e32 v2, v2, v11
	s_andn2_b32 exec_lo, exec_lo, s5
	s_cbranch_execnz .LBB57_41
; %bb.42:
	s_or_b32 exec_lo, exec_lo, s5
	v_mov_b32_e32 v5, 0
	ds_read_b64 v[5:6], v5 offset:56
	s_waitcnt lgkmcnt(0)
	v_mul_f32_e32 v7, v2, v6
	v_mul_f32_e32 v6, v8, v6
	v_fma_f32 v7, v8, v5, -v7
	v_fmac_f32_e32 v6, v2, v5
	buffer_store_dword v7, off, s[0:3], 0 offset:56
	buffer_store_dword v6, off, s[0:3], 0 offset:60
.LBB57_43:
	s_or_b32 exec_lo, exec_lo, s4
	s_waitcnt_vscnt null, 0x0
	s_barrier
	buffer_gl0_inv
	s_clause 0x1
	buffer_load_dword v5, off, s[0:3], 0 offset:64
	buffer_load_dword v6, off, s[0:3], 0 offset:68
	s_mov_b32 s4, exec_lo
	s_waitcnt vmcnt(0)
	ds_write_b64 v4, v[5:6]
	s_waitcnt lgkmcnt(0)
	s_barrier
	buffer_gl0_inv
	v_cmpx_gt_u32_e32 8, v0
	s_cbranch_execz .LBB57_47
; %bb.44:
	v_add_nc_u32_e32 v5, -1, v0
	v_add_nc_u32_e32 v6, 0x1d0, v3
	v_mov_b32_e32 v7, v3
	v_mov_b32_e32 v2, 0
	;; [unrolled: 1-line block ×3, first 2 shown]
	s_mov_b32 s5, 0
	.p2align	6
.LBB57_45:                              ; =>This Inner Loop Header: Depth=1
	s_clause 0x1
	buffer_load_dword v11, v7, s[0:3], 0 offen offset:4
	buffer_load_dword v12, v7, s[0:3], 0 offen
	ds_read_b64 v[9:10], v6
	v_add_nc_u32_e32 v5, 1, v5
	v_add_nc_u32_e32 v6, 8, v6
	;; [unrolled: 1-line block ×3, first 2 shown]
	v_cmp_lt_u32_e32 vcc_lo, 6, v5
	s_or_b32 s5, vcc_lo, s5
	s_waitcnt vmcnt(1) lgkmcnt(0)
	v_mul_f32_e32 v129, v10, v11
	v_mul_f32_e32 v11, v9, v11
	s_waitcnt vmcnt(0)
	v_fma_f32 v9, v9, v12, -v129
	v_fmac_f32_e32 v11, v10, v12
	v_add_f32_e32 v8, v8, v9
	v_add_f32_e32 v2, v2, v11
	s_andn2_b32 exec_lo, exec_lo, s5
	s_cbranch_execnz .LBB57_45
; %bb.46:
	s_or_b32 exec_lo, exec_lo, s5
	v_mov_b32_e32 v5, 0
	ds_read_b64 v[5:6], v5 offset:64
	s_waitcnt lgkmcnt(0)
	v_mul_f32_e32 v7, v2, v6
	v_mul_f32_e32 v6, v8, v6
	v_fma_f32 v7, v8, v5, -v7
	v_fmac_f32_e32 v6, v2, v5
	buffer_store_dword v7, off, s[0:3], 0 offset:64
	buffer_store_dword v6, off, s[0:3], 0 offset:68
.LBB57_47:
	s_or_b32 exec_lo, exec_lo, s4
	s_waitcnt_vscnt null, 0x0
	s_barrier
	buffer_gl0_inv
	s_clause 0x1
	buffer_load_dword v5, off, s[0:3], 0 offset:72
	buffer_load_dword v6, off, s[0:3], 0 offset:76
	s_mov_b32 s4, exec_lo
	s_waitcnt vmcnt(0)
	ds_write_b64 v4, v[5:6]
	s_waitcnt lgkmcnt(0)
	s_barrier
	buffer_gl0_inv
	v_cmpx_gt_u32_e32 9, v0
	s_cbranch_execz .LBB57_51
; %bb.48:
	v_add_nc_u32_e32 v5, -1, v0
	v_add_nc_u32_e32 v6, 0x1d0, v3
	v_mov_b32_e32 v7, v3
	v_mov_b32_e32 v2, 0
	;; [unrolled: 1-line block ×3, first 2 shown]
	s_mov_b32 s5, 0
	.p2align	6
.LBB57_49:                              ; =>This Inner Loop Header: Depth=1
	s_clause 0x1
	buffer_load_dword v11, v7, s[0:3], 0 offen offset:4
	buffer_load_dword v12, v7, s[0:3], 0 offen
	ds_read_b64 v[9:10], v6
	v_add_nc_u32_e32 v5, 1, v5
	v_add_nc_u32_e32 v6, 8, v6
	;; [unrolled: 1-line block ×3, first 2 shown]
	v_cmp_lt_u32_e32 vcc_lo, 7, v5
	s_or_b32 s5, vcc_lo, s5
	s_waitcnt vmcnt(1) lgkmcnt(0)
	v_mul_f32_e32 v129, v10, v11
	v_mul_f32_e32 v11, v9, v11
	s_waitcnt vmcnt(0)
	v_fma_f32 v9, v9, v12, -v129
	v_fmac_f32_e32 v11, v10, v12
	v_add_f32_e32 v8, v8, v9
	v_add_f32_e32 v2, v2, v11
	s_andn2_b32 exec_lo, exec_lo, s5
	s_cbranch_execnz .LBB57_49
; %bb.50:
	s_or_b32 exec_lo, exec_lo, s5
	v_mov_b32_e32 v5, 0
	ds_read_b64 v[5:6], v5 offset:72
	s_waitcnt lgkmcnt(0)
	v_mul_f32_e32 v7, v2, v6
	v_mul_f32_e32 v6, v8, v6
	v_fma_f32 v7, v8, v5, -v7
	v_fmac_f32_e32 v6, v2, v5
	buffer_store_dword v7, off, s[0:3], 0 offset:72
	buffer_store_dword v6, off, s[0:3], 0 offset:76
.LBB57_51:
	s_or_b32 exec_lo, exec_lo, s4
	s_waitcnt_vscnt null, 0x0
	s_barrier
	buffer_gl0_inv
	s_clause 0x1
	buffer_load_dword v5, off, s[0:3], 0 offset:80
	buffer_load_dword v6, off, s[0:3], 0 offset:84
	s_mov_b32 s4, exec_lo
	s_waitcnt vmcnt(0)
	ds_write_b64 v4, v[5:6]
	s_waitcnt lgkmcnt(0)
	s_barrier
	buffer_gl0_inv
	v_cmpx_gt_u32_e32 10, v0
	s_cbranch_execz .LBB57_55
; %bb.52:
	v_add_nc_u32_e32 v5, -1, v0
	v_add_nc_u32_e32 v6, 0x1d0, v3
	v_mov_b32_e32 v7, v3
	v_mov_b32_e32 v2, 0
	;; [unrolled: 1-line block ×3, first 2 shown]
	s_mov_b32 s5, 0
	.p2align	6
.LBB57_53:                              ; =>This Inner Loop Header: Depth=1
	s_clause 0x1
	buffer_load_dword v11, v7, s[0:3], 0 offen offset:4
	buffer_load_dword v12, v7, s[0:3], 0 offen
	ds_read_b64 v[9:10], v6
	v_add_nc_u32_e32 v5, 1, v5
	v_add_nc_u32_e32 v6, 8, v6
	v_add_nc_u32_e32 v7, 8, v7
	v_cmp_lt_u32_e32 vcc_lo, 8, v5
	s_or_b32 s5, vcc_lo, s5
	s_waitcnt vmcnt(1) lgkmcnt(0)
	v_mul_f32_e32 v129, v10, v11
	v_mul_f32_e32 v11, v9, v11
	s_waitcnt vmcnt(0)
	v_fma_f32 v9, v9, v12, -v129
	v_fmac_f32_e32 v11, v10, v12
	v_add_f32_e32 v8, v8, v9
	v_add_f32_e32 v2, v2, v11
	s_andn2_b32 exec_lo, exec_lo, s5
	s_cbranch_execnz .LBB57_53
; %bb.54:
	s_or_b32 exec_lo, exec_lo, s5
	v_mov_b32_e32 v5, 0
	ds_read_b64 v[5:6], v5 offset:80
	s_waitcnt lgkmcnt(0)
	v_mul_f32_e32 v7, v2, v6
	v_mul_f32_e32 v6, v8, v6
	v_fma_f32 v7, v8, v5, -v7
	v_fmac_f32_e32 v6, v2, v5
	buffer_store_dword v7, off, s[0:3], 0 offset:80
	buffer_store_dword v6, off, s[0:3], 0 offset:84
.LBB57_55:
	s_or_b32 exec_lo, exec_lo, s4
	s_waitcnt_vscnt null, 0x0
	s_barrier
	buffer_gl0_inv
	s_clause 0x1
	buffer_load_dword v5, off, s[0:3], 0 offset:88
	buffer_load_dword v6, off, s[0:3], 0 offset:92
	s_mov_b32 s4, exec_lo
	s_waitcnt vmcnt(0)
	ds_write_b64 v4, v[5:6]
	s_waitcnt lgkmcnt(0)
	s_barrier
	buffer_gl0_inv
	v_cmpx_gt_u32_e32 11, v0
	s_cbranch_execz .LBB57_59
; %bb.56:
	v_add_nc_u32_e32 v5, -1, v0
	v_add_nc_u32_e32 v6, 0x1d0, v3
	v_mov_b32_e32 v7, v3
	v_mov_b32_e32 v2, 0
	;; [unrolled: 1-line block ×3, first 2 shown]
	s_mov_b32 s5, 0
	.p2align	6
.LBB57_57:                              ; =>This Inner Loop Header: Depth=1
	s_clause 0x1
	buffer_load_dword v11, v7, s[0:3], 0 offen offset:4
	buffer_load_dword v12, v7, s[0:3], 0 offen
	ds_read_b64 v[9:10], v6
	v_add_nc_u32_e32 v5, 1, v5
	v_add_nc_u32_e32 v6, 8, v6
	;; [unrolled: 1-line block ×3, first 2 shown]
	v_cmp_lt_u32_e32 vcc_lo, 9, v5
	s_or_b32 s5, vcc_lo, s5
	s_waitcnt vmcnt(1) lgkmcnt(0)
	v_mul_f32_e32 v129, v10, v11
	v_mul_f32_e32 v11, v9, v11
	s_waitcnt vmcnt(0)
	v_fma_f32 v9, v9, v12, -v129
	v_fmac_f32_e32 v11, v10, v12
	v_add_f32_e32 v8, v8, v9
	v_add_f32_e32 v2, v2, v11
	s_andn2_b32 exec_lo, exec_lo, s5
	s_cbranch_execnz .LBB57_57
; %bb.58:
	s_or_b32 exec_lo, exec_lo, s5
	v_mov_b32_e32 v5, 0
	ds_read_b64 v[5:6], v5 offset:88
	s_waitcnt lgkmcnt(0)
	v_mul_f32_e32 v7, v2, v6
	v_mul_f32_e32 v6, v8, v6
	v_fma_f32 v7, v8, v5, -v7
	v_fmac_f32_e32 v6, v2, v5
	buffer_store_dword v7, off, s[0:3], 0 offset:88
	buffer_store_dword v6, off, s[0:3], 0 offset:92
.LBB57_59:
	s_or_b32 exec_lo, exec_lo, s4
	s_waitcnt_vscnt null, 0x0
	s_barrier
	buffer_gl0_inv
	s_clause 0x1
	buffer_load_dword v5, off, s[0:3], 0 offset:96
	buffer_load_dword v6, off, s[0:3], 0 offset:100
	s_mov_b32 s4, exec_lo
	s_waitcnt vmcnt(0)
	ds_write_b64 v4, v[5:6]
	s_waitcnt lgkmcnt(0)
	s_barrier
	buffer_gl0_inv
	v_cmpx_gt_u32_e32 12, v0
	s_cbranch_execz .LBB57_63
; %bb.60:
	v_add_nc_u32_e32 v5, -1, v0
	v_add_nc_u32_e32 v6, 0x1d0, v3
	v_mov_b32_e32 v7, v3
	v_mov_b32_e32 v2, 0
	;; [unrolled: 1-line block ×3, first 2 shown]
	s_mov_b32 s5, 0
	.p2align	6
.LBB57_61:                              ; =>This Inner Loop Header: Depth=1
	s_clause 0x1
	buffer_load_dword v11, v7, s[0:3], 0 offen offset:4
	buffer_load_dword v12, v7, s[0:3], 0 offen
	ds_read_b64 v[9:10], v6
	v_add_nc_u32_e32 v5, 1, v5
	v_add_nc_u32_e32 v6, 8, v6
	;; [unrolled: 1-line block ×3, first 2 shown]
	v_cmp_lt_u32_e32 vcc_lo, 10, v5
	s_or_b32 s5, vcc_lo, s5
	s_waitcnt vmcnt(1) lgkmcnt(0)
	v_mul_f32_e32 v129, v10, v11
	v_mul_f32_e32 v11, v9, v11
	s_waitcnt vmcnt(0)
	v_fma_f32 v9, v9, v12, -v129
	v_fmac_f32_e32 v11, v10, v12
	v_add_f32_e32 v8, v8, v9
	v_add_f32_e32 v2, v2, v11
	s_andn2_b32 exec_lo, exec_lo, s5
	s_cbranch_execnz .LBB57_61
; %bb.62:
	s_or_b32 exec_lo, exec_lo, s5
	v_mov_b32_e32 v5, 0
	ds_read_b64 v[5:6], v5 offset:96
	s_waitcnt lgkmcnt(0)
	v_mul_f32_e32 v7, v2, v6
	v_mul_f32_e32 v6, v8, v6
	v_fma_f32 v7, v8, v5, -v7
	v_fmac_f32_e32 v6, v2, v5
	buffer_store_dword v7, off, s[0:3], 0 offset:96
	buffer_store_dword v6, off, s[0:3], 0 offset:100
.LBB57_63:
	s_or_b32 exec_lo, exec_lo, s4
	s_waitcnt_vscnt null, 0x0
	s_barrier
	buffer_gl0_inv
	s_clause 0x1
	buffer_load_dword v5, off, s[0:3], 0 offset:104
	buffer_load_dword v6, off, s[0:3], 0 offset:108
	s_mov_b32 s4, exec_lo
	s_waitcnt vmcnt(0)
	ds_write_b64 v4, v[5:6]
	s_waitcnt lgkmcnt(0)
	s_barrier
	buffer_gl0_inv
	v_cmpx_gt_u32_e32 13, v0
	s_cbranch_execz .LBB57_67
; %bb.64:
	v_add_nc_u32_e32 v5, -1, v0
	v_add_nc_u32_e32 v6, 0x1d0, v3
	v_mov_b32_e32 v7, v3
	v_mov_b32_e32 v2, 0
	;; [unrolled: 1-line block ×3, first 2 shown]
	s_mov_b32 s5, 0
	.p2align	6
.LBB57_65:                              ; =>This Inner Loop Header: Depth=1
	s_clause 0x1
	buffer_load_dword v11, v7, s[0:3], 0 offen offset:4
	buffer_load_dword v12, v7, s[0:3], 0 offen
	ds_read_b64 v[9:10], v6
	v_add_nc_u32_e32 v5, 1, v5
	v_add_nc_u32_e32 v6, 8, v6
	;; [unrolled: 1-line block ×3, first 2 shown]
	v_cmp_lt_u32_e32 vcc_lo, 11, v5
	s_or_b32 s5, vcc_lo, s5
	s_waitcnt vmcnt(1) lgkmcnt(0)
	v_mul_f32_e32 v129, v10, v11
	v_mul_f32_e32 v11, v9, v11
	s_waitcnt vmcnt(0)
	v_fma_f32 v9, v9, v12, -v129
	v_fmac_f32_e32 v11, v10, v12
	v_add_f32_e32 v8, v8, v9
	v_add_f32_e32 v2, v2, v11
	s_andn2_b32 exec_lo, exec_lo, s5
	s_cbranch_execnz .LBB57_65
; %bb.66:
	s_or_b32 exec_lo, exec_lo, s5
	v_mov_b32_e32 v5, 0
	ds_read_b64 v[5:6], v5 offset:104
	s_waitcnt lgkmcnt(0)
	v_mul_f32_e32 v7, v2, v6
	v_mul_f32_e32 v6, v8, v6
	v_fma_f32 v7, v8, v5, -v7
	v_fmac_f32_e32 v6, v2, v5
	buffer_store_dword v7, off, s[0:3], 0 offset:104
	buffer_store_dword v6, off, s[0:3], 0 offset:108
.LBB57_67:
	s_or_b32 exec_lo, exec_lo, s4
	s_waitcnt_vscnt null, 0x0
	s_barrier
	buffer_gl0_inv
	s_clause 0x1
	buffer_load_dword v5, off, s[0:3], 0 offset:112
	buffer_load_dword v6, off, s[0:3], 0 offset:116
	s_mov_b32 s4, exec_lo
	s_waitcnt vmcnt(0)
	ds_write_b64 v4, v[5:6]
	s_waitcnt lgkmcnt(0)
	s_barrier
	buffer_gl0_inv
	v_cmpx_gt_u32_e32 14, v0
	s_cbranch_execz .LBB57_71
; %bb.68:
	v_add_nc_u32_e32 v5, -1, v0
	v_add_nc_u32_e32 v6, 0x1d0, v3
	v_mov_b32_e32 v7, v3
	v_mov_b32_e32 v2, 0
	;; [unrolled: 1-line block ×3, first 2 shown]
	s_mov_b32 s5, 0
	.p2align	6
.LBB57_69:                              ; =>This Inner Loop Header: Depth=1
	s_clause 0x1
	buffer_load_dword v11, v7, s[0:3], 0 offen offset:4
	buffer_load_dword v12, v7, s[0:3], 0 offen
	ds_read_b64 v[9:10], v6
	v_add_nc_u32_e32 v5, 1, v5
	v_add_nc_u32_e32 v6, 8, v6
	;; [unrolled: 1-line block ×3, first 2 shown]
	v_cmp_lt_u32_e32 vcc_lo, 12, v5
	s_or_b32 s5, vcc_lo, s5
	s_waitcnt vmcnt(1) lgkmcnt(0)
	v_mul_f32_e32 v129, v10, v11
	v_mul_f32_e32 v11, v9, v11
	s_waitcnt vmcnt(0)
	v_fma_f32 v9, v9, v12, -v129
	v_fmac_f32_e32 v11, v10, v12
	v_add_f32_e32 v8, v8, v9
	v_add_f32_e32 v2, v2, v11
	s_andn2_b32 exec_lo, exec_lo, s5
	s_cbranch_execnz .LBB57_69
; %bb.70:
	s_or_b32 exec_lo, exec_lo, s5
	v_mov_b32_e32 v5, 0
	ds_read_b64 v[5:6], v5 offset:112
	s_waitcnt lgkmcnt(0)
	v_mul_f32_e32 v7, v2, v6
	v_mul_f32_e32 v6, v8, v6
	v_fma_f32 v7, v8, v5, -v7
	v_fmac_f32_e32 v6, v2, v5
	buffer_store_dword v7, off, s[0:3], 0 offset:112
	buffer_store_dword v6, off, s[0:3], 0 offset:116
.LBB57_71:
	s_or_b32 exec_lo, exec_lo, s4
	s_waitcnt_vscnt null, 0x0
	s_barrier
	buffer_gl0_inv
	s_clause 0x1
	buffer_load_dword v5, off, s[0:3], 0 offset:120
	buffer_load_dword v6, off, s[0:3], 0 offset:124
	s_mov_b32 s4, exec_lo
	s_waitcnt vmcnt(0)
	ds_write_b64 v4, v[5:6]
	s_waitcnt lgkmcnt(0)
	s_barrier
	buffer_gl0_inv
	v_cmpx_gt_u32_e32 15, v0
	s_cbranch_execz .LBB57_75
; %bb.72:
	v_add_nc_u32_e32 v5, -1, v0
	v_add_nc_u32_e32 v6, 0x1d0, v3
	v_mov_b32_e32 v7, v3
	v_mov_b32_e32 v2, 0
	;; [unrolled: 1-line block ×3, first 2 shown]
	s_mov_b32 s5, 0
	.p2align	6
.LBB57_73:                              ; =>This Inner Loop Header: Depth=1
	s_clause 0x1
	buffer_load_dword v11, v7, s[0:3], 0 offen offset:4
	buffer_load_dword v12, v7, s[0:3], 0 offen
	ds_read_b64 v[9:10], v6
	v_add_nc_u32_e32 v5, 1, v5
	v_add_nc_u32_e32 v6, 8, v6
	;; [unrolled: 1-line block ×3, first 2 shown]
	v_cmp_lt_u32_e32 vcc_lo, 13, v5
	s_or_b32 s5, vcc_lo, s5
	s_waitcnt vmcnt(1) lgkmcnt(0)
	v_mul_f32_e32 v129, v10, v11
	v_mul_f32_e32 v11, v9, v11
	s_waitcnt vmcnt(0)
	v_fma_f32 v9, v9, v12, -v129
	v_fmac_f32_e32 v11, v10, v12
	v_add_f32_e32 v8, v8, v9
	v_add_f32_e32 v2, v2, v11
	s_andn2_b32 exec_lo, exec_lo, s5
	s_cbranch_execnz .LBB57_73
; %bb.74:
	s_or_b32 exec_lo, exec_lo, s5
	v_mov_b32_e32 v5, 0
	ds_read_b64 v[5:6], v5 offset:120
	s_waitcnt lgkmcnt(0)
	v_mul_f32_e32 v7, v2, v6
	v_mul_f32_e32 v6, v8, v6
	v_fma_f32 v7, v8, v5, -v7
	v_fmac_f32_e32 v6, v2, v5
	buffer_store_dword v7, off, s[0:3], 0 offset:120
	buffer_store_dword v6, off, s[0:3], 0 offset:124
.LBB57_75:
	s_or_b32 exec_lo, exec_lo, s4
	s_waitcnt_vscnt null, 0x0
	s_barrier
	buffer_gl0_inv
	s_clause 0x1
	buffer_load_dword v5, off, s[0:3], 0 offset:128
	buffer_load_dword v6, off, s[0:3], 0 offset:132
	s_mov_b32 s4, exec_lo
	s_waitcnt vmcnt(0)
	ds_write_b64 v4, v[5:6]
	s_waitcnt lgkmcnt(0)
	s_barrier
	buffer_gl0_inv
	v_cmpx_gt_u32_e32 16, v0
	s_cbranch_execz .LBB57_79
; %bb.76:
	v_add_nc_u32_e32 v5, -1, v0
	v_add_nc_u32_e32 v6, 0x1d0, v3
	v_mov_b32_e32 v7, v3
	v_mov_b32_e32 v2, 0
	;; [unrolled: 1-line block ×3, first 2 shown]
	s_mov_b32 s5, 0
	.p2align	6
.LBB57_77:                              ; =>This Inner Loop Header: Depth=1
	s_clause 0x1
	buffer_load_dword v11, v7, s[0:3], 0 offen offset:4
	buffer_load_dword v12, v7, s[0:3], 0 offen
	ds_read_b64 v[9:10], v6
	v_add_nc_u32_e32 v5, 1, v5
	v_add_nc_u32_e32 v6, 8, v6
	;; [unrolled: 1-line block ×3, first 2 shown]
	v_cmp_lt_u32_e32 vcc_lo, 14, v5
	s_or_b32 s5, vcc_lo, s5
	s_waitcnt vmcnt(1) lgkmcnt(0)
	v_mul_f32_e32 v129, v10, v11
	v_mul_f32_e32 v11, v9, v11
	s_waitcnt vmcnt(0)
	v_fma_f32 v9, v9, v12, -v129
	v_fmac_f32_e32 v11, v10, v12
	v_add_f32_e32 v8, v8, v9
	v_add_f32_e32 v2, v2, v11
	s_andn2_b32 exec_lo, exec_lo, s5
	s_cbranch_execnz .LBB57_77
; %bb.78:
	s_or_b32 exec_lo, exec_lo, s5
	v_mov_b32_e32 v5, 0
	ds_read_b64 v[5:6], v5 offset:128
	s_waitcnt lgkmcnt(0)
	v_mul_f32_e32 v7, v2, v6
	v_mul_f32_e32 v6, v8, v6
	v_fma_f32 v7, v8, v5, -v7
	v_fmac_f32_e32 v6, v2, v5
	buffer_store_dword v7, off, s[0:3], 0 offset:128
	buffer_store_dword v6, off, s[0:3], 0 offset:132
.LBB57_79:
	s_or_b32 exec_lo, exec_lo, s4
	s_waitcnt_vscnt null, 0x0
	s_barrier
	buffer_gl0_inv
	s_clause 0x1
	buffer_load_dword v5, off, s[0:3], 0 offset:136
	buffer_load_dword v6, off, s[0:3], 0 offset:140
	s_mov_b32 s4, exec_lo
	s_waitcnt vmcnt(0)
	ds_write_b64 v4, v[5:6]
	s_waitcnt lgkmcnt(0)
	s_barrier
	buffer_gl0_inv
	v_cmpx_gt_u32_e32 17, v0
	s_cbranch_execz .LBB57_83
; %bb.80:
	v_add_nc_u32_e32 v5, -1, v0
	v_add_nc_u32_e32 v6, 0x1d0, v3
	v_mov_b32_e32 v7, v3
	v_mov_b32_e32 v2, 0
	;; [unrolled: 1-line block ×3, first 2 shown]
	s_mov_b32 s5, 0
	.p2align	6
.LBB57_81:                              ; =>This Inner Loop Header: Depth=1
	s_clause 0x1
	buffer_load_dword v11, v7, s[0:3], 0 offen offset:4
	buffer_load_dword v12, v7, s[0:3], 0 offen
	ds_read_b64 v[9:10], v6
	v_add_nc_u32_e32 v5, 1, v5
	v_add_nc_u32_e32 v6, 8, v6
	;; [unrolled: 1-line block ×3, first 2 shown]
	v_cmp_lt_u32_e32 vcc_lo, 15, v5
	s_or_b32 s5, vcc_lo, s5
	s_waitcnt vmcnt(1) lgkmcnt(0)
	v_mul_f32_e32 v129, v10, v11
	v_mul_f32_e32 v11, v9, v11
	s_waitcnt vmcnt(0)
	v_fma_f32 v9, v9, v12, -v129
	v_fmac_f32_e32 v11, v10, v12
	v_add_f32_e32 v8, v8, v9
	v_add_f32_e32 v2, v2, v11
	s_andn2_b32 exec_lo, exec_lo, s5
	s_cbranch_execnz .LBB57_81
; %bb.82:
	s_or_b32 exec_lo, exec_lo, s5
	v_mov_b32_e32 v5, 0
	ds_read_b64 v[5:6], v5 offset:136
	s_waitcnt lgkmcnt(0)
	v_mul_f32_e32 v7, v2, v6
	v_mul_f32_e32 v6, v8, v6
	v_fma_f32 v7, v8, v5, -v7
	v_fmac_f32_e32 v6, v2, v5
	buffer_store_dword v7, off, s[0:3], 0 offset:136
	buffer_store_dword v6, off, s[0:3], 0 offset:140
.LBB57_83:
	s_or_b32 exec_lo, exec_lo, s4
	s_waitcnt_vscnt null, 0x0
	s_barrier
	buffer_gl0_inv
	s_clause 0x1
	buffer_load_dword v5, off, s[0:3], 0 offset:144
	buffer_load_dword v6, off, s[0:3], 0 offset:148
	s_mov_b32 s4, exec_lo
	s_waitcnt vmcnt(0)
	ds_write_b64 v4, v[5:6]
	s_waitcnt lgkmcnt(0)
	s_barrier
	buffer_gl0_inv
	v_cmpx_gt_u32_e32 18, v0
	s_cbranch_execz .LBB57_87
; %bb.84:
	v_add_nc_u32_e32 v5, -1, v0
	v_add_nc_u32_e32 v6, 0x1d0, v3
	v_mov_b32_e32 v7, v3
	v_mov_b32_e32 v2, 0
	;; [unrolled: 1-line block ×3, first 2 shown]
	s_mov_b32 s5, 0
	.p2align	6
.LBB57_85:                              ; =>This Inner Loop Header: Depth=1
	s_clause 0x1
	buffer_load_dword v11, v7, s[0:3], 0 offen offset:4
	buffer_load_dword v12, v7, s[0:3], 0 offen
	ds_read_b64 v[9:10], v6
	v_add_nc_u32_e32 v5, 1, v5
	v_add_nc_u32_e32 v6, 8, v6
	;; [unrolled: 1-line block ×3, first 2 shown]
	v_cmp_lt_u32_e32 vcc_lo, 16, v5
	s_or_b32 s5, vcc_lo, s5
	s_waitcnt vmcnt(1) lgkmcnt(0)
	v_mul_f32_e32 v129, v10, v11
	v_mul_f32_e32 v11, v9, v11
	s_waitcnt vmcnt(0)
	v_fma_f32 v9, v9, v12, -v129
	v_fmac_f32_e32 v11, v10, v12
	v_add_f32_e32 v8, v8, v9
	v_add_f32_e32 v2, v2, v11
	s_andn2_b32 exec_lo, exec_lo, s5
	s_cbranch_execnz .LBB57_85
; %bb.86:
	s_or_b32 exec_lo, exec_lo, s5
	v_mov_b32_e32 v5, 0
	ds_read_b64 v[5:6], v5 offset:144
	s_waitcnt lgkmcnt(0)
	v_mul_f32_e32 v7, v2, v6
	v_mul_f32_e32 v6, v8, v6
	v_fma_f32 v7, v8, v5, -v7
	v_fmac_f32_e32 v6, v2, v5
	buffer_store_dword v7, off, s[0:3], 0 offset:144
	buffer_store_dword v6, off, s[0:3], 0 offset:148
.LBB57_87:
	s_or_b32 exec_lo, exec_lo, s4
	s_waitcnt_vscnt null, 0x0
	s_barrier
	buffer_gl0_inv
	s_clause 0x1
	buffer_load_dword v5, off, s[0:3], 0 offset:152
	buffer_load_dword v6, off, s[0:3], 0 offset:156
	s_mov_b32 s4, exec_lo
	s_waitcnt vmcnt(0)
	ds_write_b64 v4, v[5:6]
	s_waitcnt lgkmcnt(0)
	s_barrier
	buffer_gl0_inv
	v_cmpx_gt_u32_e32 19, v0
	s_cbranch_execz .LBB57_91
; %bb.88:
	v_add_nc_u32_e32 v5, -1, v0
	v_add_nc_u32_e32 v6, 0x1d0, v3
	v_mov_b32_e32 v7, v3
	v_mov_b32_e32 v2, 0
	;; [unrolled: 1-line block ×3, first 2 shown]
	s_mov_b32 s5, 0
	.p2align	6
.LBB57_89:                              ; =>This Inner Loop Header: Depth=1
	s_clause 0x1
	buffer_load_dword v11, v7, s[0:3], 0 offen offset:4
	buffer_load_dword v12, v7, s[0:3], 0 offen
	ds_read_b64 v[9:10], v6
	v_add_nc_u32_e32 v5, 1, v5
	v_add_nc_u32_e32 v6, 8, v6
	;; [unrolled: 1-line block ×3, first 2 shown]
	v_cmp_lt_u32_e32 vcc_lo, 17, v5
	s_or_b32 s5, vcc_lo, s5
	s_waitcnt vmcnt(1) lgkmcnt(0)
	v_mul_f32_e32 v129, v10, v11
	v_mul_f32_e32 v11, v9, v11
	s_waitcnt vmcnt(0)
	v_fma_f32 v9, v9, v12, -v129
	v_fmac_f32_e32 v11, v10, v12
	v_add_f32_e32 v8, v8, v9
	v_add_f32_e32 v2, v2, v11
	s_andn2_b32 exec_lo, exec_lo, s5
	s_cbranch_execnz .LBB57_89
; %bb.90:
	s_or_b32 exec_lo, exec_lo, s5
	v_mov_b32_e32 v5, 0
	ds_read_b64 v[5:6], v5 offset:152
	s_waitcnt lgkmcnt(0)
	v_mul_f32_e32 v7, v2, v6
	v_mul_f32_e32 v6, v8, v6
	v_fma_f32 v7, v8, v5, -v7
	v_fmac_f32_e32 v6, v2, v5
	buffer_store_dword v7, off, s[0:3], 0 offset:152
	buffer_store_dword v6, off, s[0:3], 0 offset:156
.LBB57_91:
	s_or_b32 exec_lo, exec_lo, s4
	s_waitcnt_vscnt null, 0x0
	s_barrier
	buffer_gl0_inv
	s_clause 0x1
	buffer_load_dword v5, off, s[0:3], 0 offset:160
	buffer_load_dword v6, off, s[0:3], 0 offset:164
	s_mov_b32 s4, exec_lo
	s_waitcnt vmcnt(0)
	ds_write_b64 v4, v[5:6]
	s_waitcnt lgkmcnt(0)
	s_barrier
	buffer_gl0_inv
	v_cmpx_gt_u32_e32 20, v0
	s_cbranch_execz .LBB57_95
; %bb.92:
	v_add_nc_u32_e32 v5, -1, v0
	v_add_nc_u32_e32 v6, 0x1d0, v3
	v_mov_b32_e32 v7, v3
	v_mov_b32_e32 v2, 0
	;; [unrolled: 1-line block ×3, first 2 shown]
	s_mov_b32 s5, 0
	.p2align	6
.LBB57_93:                              ; =>This Inner Loop Header: Depth=1
	s_clause 0x1
	buffer_load_dword v11, v7, s[0:3], 0 offen offset:4
	buffer_load_dword v12, v7, s[0:3], 0 offen
	ds_read_b64 v[9:10], v6
	v_add_nc_u32_e32 v5, 1, v5
	v_add_nc_u32_e32 v6, 8, v6
	;; [unrolled: 1-line block ×3, first 2 shown]
	v_cmp_lt_u32_e32 vcc_lo, 18, v5
	s_or_b32 s5, vcc_lo, s5
	s_waitcnt vmcnt(1) lgkmcnt(0)
	v_mul_f32_e32 v129, v10, v11
	v_mul_f32_e32 v11, v9, v11
	s_waitcnt vmcnt(0)
	v_fma_f32 v9, v9, v12, -v129
	v_fmac_f32_e32 v11, v10, v12
	v_add_f32_e32 v8, v8, v9
	v_add_f32_e32 v2, v2, v11
	s_andn2_b32 exec_lo, exec_lo, s5
	s_cbranch_execnz .LBB57_93
; %bb.94:
	s_or_b32 exec_lo, exec_lo, s5
	v_mov_b32_e32 v5, 0
	ds_read_b64 v[5:6], v5 offset:160
	s_waitcnt lgkmcnt(0)
	v_mul_f32_e32 v7, v2, v6
	v_mul_f32_e32 v6, v8, v6
	v_fma_f32 v7, v8, v5, -v7
	v_fmac_f32_e32 v6, v2, v5
	buffer_store_dword v7, off, s[0:3], 0 offset:160
	buffer_store_dword v6, off, s[0:3], 0 offset:164
.LBB57_95:
	s_or_b32 exec_lo, exec_lo, s4
	s_waitcnt_vscnt null, 0x0
	s_barrier
	buffer_gl0_inv
	s_clause 0x1
	buffer_load_dword v5, off, s[0:3], 0 offset:168
	buffer_load_dword v6, off, s[0:3], 0 offset:172
	s_mov_b32 s4, exec_lo
	s_waitcnt vmcnt(0)
	ds_write_b64 v4, v[5:6]
	s_waitcnt lgkmcnt(0)
	s_barrier
	buffer_gl0_inv
	v_cmpx_gt_u32_e32 21, v0
	s_cbranch_execz .LBB57_99
; %bb.96:
	v_add_nc_u32_e32 v5, -1, v0
	v_add_nc_u32_e32 v6, 0x1d0, v3
	v_mov_b32_e32 v7, v3
	v_mov_b32_e32 v2, 0
	;; [unrolled: 1-line block ×3, first 2 shown]
	s_mov_b32 s5, 0
	.p2align	6
.LBB57_97:                              ; =>This Inner Loop Header: Depth=1
	s_clause 0x1
	buffer_load_dword v11, v7, s[0:3], 0 offen offset:4
	buffer_load_dword v12, v7, s[0:3], 0 offen
	ds_read_b64 v[9:10], v6
	v_add_nc_u32_e32 v5, 1, v5
	v_add_nc_u32_e32 v6, 8, v6
	;; [unrolled: 1-line block ×3, first 2 shown]
	v_cmp_lt_u32_e32 vcc_lo, 19, v5
	s_or_b32 s5, vcc_lo, s5
	s_waitcnt vmcnt(1) lgkmcnt(0)
	v_mul_f32_e32 v129, v10, v11
	v_mul_f32_e32 v11, v9, v11
	s_waitcnt vmcnt(0)
	v_fma_f32 v9, v9, v12, -v129
	v_fmac_f32_e32 v11, v10, v12
	v_add_f32_e32 v8, v8, v9
	v_add_f32_e32 v2, v2, v11
	s_andn2_b32 exec_lo, exec_lo, s5
	s_cbranch_execnz .LBB57_97
; %bb.98:
	s_or_b32 exec_lo, exec_lo, s5
	v_mov_b32_e32 v5, 0
	ds_read_b64 v[5:6], v5 offset:168
	s_waitcnt lgkmcnt(0)
	v_mul_f32_e32 v7, v2, v6
	v_mul_f32_e32 v6, v8, v6
	v_fma_f32 v7, v8, v5, -v7
	v_fmac_f32_e32 v6, v2, v5
	buffer_store_dword v7, off, s[0:3], 0 offset:168
	buffer_store_dword v6, off, s[0:3], 0 offset:172
.LBB57_99:
	s_or_b32 exec_lo, exec_lo, s4
	s_waitcnt_vscnt null, 0x0
	s_barrier
	buffer_gl0_inv
	s_clause 0x1
	buffer_load_dword v5, off, s[0:3], 0 offset:176
	buffer_load_dword v6, off, s[0:3], 0 offset:180
	s_mov_b32 s4, exec_lo
	s_waitcnt vmcnt(0)
	ds_write_b64 v4, v[5:6]
	s_waitcnt lgkmcnt(0)
	s_barrier
	buffer_gl0_inv
	v_cmpx_gt_u32_e32 22, v0
	s_cbranch_execz .LBB57_103
; %bb.100:
	v_add_nc_u32_e32 v5, -1, v0
	v_add_nc_u32_e32 v6, 0x1d0, v3
	v_mov_b32_e32 v7, v3
	v_mov_b32_e32 v2, 0
	;; [unrolled: 1-line block ×3, first 2 shown]
	s_mov_b32 s5, 0
	.p2align	6
.LBB57_101:                             ; =>This Inner Loop Header: Depth=1
	s_clause 0x1
	buffer_load_dword v11, v7, s[0:3], 0 offen offset:4
	buffer_load_dword v12, v7, s[0:3], 0 offen
	ds_read_b64 v[9:10], v6
	v_add_nc_u32_e32 v5, 1, v5
	v_add_nc_u32_e32 v6, 8, v6
	;; [unrolled: 1-line block ×3, first 2 shown]
	v_cmp_lt_u32_e32 vcc_lo, 20, v5
	s_or_b32 s5, vcc_lo, s5
	s_waitcnt vmcnt(1) lgkmcnt(0)
	v_mul_f32_e32 v129, v10, v11
	v_mul_f32_e32 v11, v9, v11
	s_waitcnt vmcnt(0)
	v_fma_f32 v9, v9, v12, -v129
	v_fmac_f32_e32 v11, v10, v12
	v_add_f32_e32 v8, v8, v9
	v_add_f32_e32 v2, v2, v11
	s_andn2_b32 exec_lo, exec_lo, s5
	s_cbranch_execnz .LBB57_101
; %bb.102:
	s_or_b32 exec_lo, exec_lo, s5
	v_mov_b32_e32 v5, 0
	ds_read_b64 v[5:6], v5 offset:176
	s_waitcnt lgkmcnt(0)
	v_mul_f32_e32 v7, v2, v6
	v_mul_f32_e32 v6, v8, v6
	v_fma_f32 v7, v8, v5, -v7
	v_fmac_f32_e32 v6, v2, v5
	buffer_store_dword v7, off, s[0:3], 0 offset:176
	buffer_store_dword v6, off, s[0:3], 0 offset:180
.LBB57_103:
	s_or_b32 exec_lo, exec_lo, s4
	s_waitcnt_vscnt null, 0x0
	s_barrier
	buffer_gl0_inv
	s_clause 0x1
	buffer_load_dword v5, off, s[0:3], 0 offset:184
	buffer_load_dword v6, off, s[0:3], 0 offset:188
	s_mov_b32 s4, exec_lo
	s_waitcnt vmcnt(0)
	ds_write_b64 v4, v[5:6]
	s_waitcnt lgkmcnt(0)
	s_barrier
	buffer_gl0_inv
	v_cmpx_gt_u32_e32 23, v0
	s_cbranch_execz .LBB57_107
; %bb.104:
	v_add_nc_u32_e32 v5, -1, v0
	v_add_nc_u32_e32 v6, 0x1d0, v3
	v_mov_b32_e32 v7, v3
	v_mov_b32_e32 v2, 0
	;; [unrolled: 1-line block ×3, first 2 shown]
	s_mov_b32 s5, 0
	.p2align	6
.LBB57_105:                             ; =>This Inner Loop Header: Depth=1
	s_clause 0x1
	buffer_load_dword v11, v7, s[0:3], 0 offen offset:4
	buffer_load_dword v12, v7, s[0:3], 0 offen
	ds_read_b64 v[9:10], v6
	v_add_nc_u32_e32 v5, 1, v5
	v_add_nc_u32_e32 v6, 8, v6
	;; [unrolled: 1-line block ×3, first 2 shown]
	v_cmp_lt_u32_e32 vcc_lo, 21, v5
	s_or_b32 s5, vcc_lo, s5
	s_waitcnt vmcnt(1) lgkmcnt(0)
	v_mul_f32_e32 v129, v10, v11
	v_mul_f32_e32 v11, v9, v11
	s_waitcnt vmcnt(0)
	v_fma_f32 v9, v9, v12, -v129
	v_fmac_f32_e32 v11, v10, v12
	v_add_f32_e32 v8, v8, v9
	v_add_f32_e32 v2, v2, v11
	s_andn2_b32 exec_lo, exec_lo, s5
	s_cbranch_execnz .LBB57_105
; %bb.106:
	s_or_b32 exec_lo, exec_lo, s5
	v_mov_b32_e32 v5, 0
	ds_read_b64 v[5:6], v5 offset:184
	s_waitcnt lgkmcnt(0)
	v_mul_f32_e32 v7, v2, v6
	v_mul_f32_e32 v6, v8, v6
	v_fma_f32 v7, v8, v5, -v7
	v_fmac_f32_e32 v6, v2, v5
	buffer_store_dword v7, off, s[0:3], 0 offset:184
	buffer_store_dword v6, off, s[0:3], 0 offset:188
.LBB57_107:
	s_or_b32 exec_lo, exec_lo, s4
	s_waitcnt_vscnt null, 0x0
	s_barrier
	buffer_gl0_inv
	s_clause 0x1
	buffer_load_dword v5, off, s[0:3], 0 offset:192
	buffer_load_dword v6, off, s[0:3], 0 offset:196
	s_mov_b32 s4, exec_lo
	s_waitcnt vmcnt(0)
	ds_write_b64 v4, v[5:6]
	s_waitcnt lgkmcnt(0)
	s_barrier
	buffer_gl0_inv
	v_cmpx_gt_u32_e32 24, v0
	s_cbranch_execz .LBB57_111
; %bb.108:
	v_add_nc_u32_e32 v5, -1, v0
	v_add_nc_u32_e32 v6, 0x1d0, v3
	v_mov_b32_e32 v7, v3
	v_mov_b32_e32 v2, 0
	;; [unrolled: 1-line block ×3, first 2 shown]
	s_mov_b32 s5, 0
	.p2align	6
.LBB57_109:                             ; =>This Inner Loop Header: Depth=1
	s_clause 0x1
	buffer_load_dword v11, v7, s[0:3], 0 offen offset:4
	buffer_load_dword v12, v7, s[0:3], 0 offen
	ds_read_b64 v[9:10], v6
	v_add_nc_u32_e32 v5, 1, v5
	v_add_nc_u32_e32 v6, 8, v6
	;; [unrolled: 1-line block ×3, first 2 shown]
	v_cmp_lt_u32_e32 vcc_lo, 22, v5
	s_or_b32 s5, vcc_lo, s5
	s_waitcnt vmcnt(1) lgkmcnt(0)
	v_mul_f32_e32 v129, v10, v11
	v_mul_f32_e32 v11, v9, v11
	s_waitcnt vmcnt(0)
	v_fma_f32 v9, v9, v12, -v129
	v_fmac_f32_e32 v11, v10, v12
	v_add_f32_e32 v8, v8, v9
	v_add_f32_e32 v2, v2, v11
	s_andn2_b32 exec_lo, exec_lo, s5
	s_cbranch_execnz .LBB57_109
; %bb.110:
	s_or_b32 exec_lo, exec_lo, s5
	v_mov_b32_e32 v5, 0
	ds_read_b64 v[5:6], v5 offset:192
	s_waitcnt lgkmcnt(0)
	v_mul_f32_e32 v7, v2, v6
	v_mul_f32_e32 v6, v8, v6
	v_fma_f32 v7, v8, v5, -v7
	v_fmac_f32_e32 v6, v2, v5
	buffer_store_dword v7, off, s[0:3], 0 offset:192
	buffer_store_dword v6, off, s[0:3], 0 offset:196
.LBB57_111:
	s_or_b32 exec_lo, exec_lo, s4
	s_waitcnt_vscnt null, 0x0
	s_barrier
	buffer_gl0_inv
	s_clause 0x1
	buffer_load_dword v5, off, s[0:3], 0 offset:200
	buffer_load_dword v6, off, s[0:3], 0 offset:204
	s_mov_b32 s4, exec_lo
	s_waitcnt vmcnt(0)
	ds_write_b64 v4, v[5:6]
	s_waitcnt lgkmcnt(0)
	s_barrier
	buffer_gl0_inv
	v_cmpx_gt_u32_e32 25, v0
	s_cbranch_execz .LBB57_115
; %bb.112:
	v_add_nc_u32_e32 v5, -1, v0
	v_add_nc_u32_e32 v6, 0x1d0, v3
	v_mov_b32_e32 v7, v3
	v_mov_b32_e32 v2, 0
	;; [unrolled: 1-line block ×3, first 2 shown]
	s_mov_b32 s5, 0
	.p2align	6
.LBB57_113:                             ; =>This Inner Loop Header: Depth=1
	s_clause 0x1
	buffer_load_dword v11, v7, s[0:3], 0 offen offset:4
	buffer_load_dword v12, v7, s[0:3], 0 offen
	ds_read_b64 v[9:10], v6
	v_add_nc_u32_e32 v5, 1, v5
	v_add_nc_u32_e32 v6, 8, v6
	;; [unrolled: 1-line block ×3, first 2 shown]
	v_cmp_lt_u32_e32 vcc_lo, 23, v5
	s_or_b32 s5, vcc_lo, s5
	s_waitcnt vmcnt(1) lgkmcnt(0)
	v_mul_f32_e32 v129, v10, v11
	v_mul_f32_e32 v11, v9, v11
	s_waitcnt vmcnt(0)
	v_fma_f32 v9, v9, v12, -v129
	v_fmac_f32_e32 v11, v10, v12
	v_add_f32_e32 v8, v8, v9
	v_add_f32_e32 v2, v2, v11
	s_andn2_b32 exec_lo, exec_lo, s5
	s_cbranch_execnz .LBB57_113
; %bb.114:
	s_or_b32 exec_lo, exec_lo, s5
	v_mov_b32_e32 v5, 0
	ds_read_b64 v[5:6], v5 offset:200
	s_waitcnt lgkmcnt(0)
	v_mul_f32_e32 v7, v2, v6
	v_mul_f32_e32 v6, v8, v6
	v_fma_f32 v7, v8, v5, -v7
	v_fmac_f32_e32 v6, v2, v5
	buffer_store_dword v7, off, s[0:3], 0 offset:200
	buffer_store_dword v6, off, s[0:3], 0 offset:204
.LBB57_115:
	s_or_b32 exec_lo, exec_lo, s4
	s_waitcnt_vscnt null, 0x0
	s_barrier
	buffer_gl0_inv
	s_clause 0x1
	buffer_load_dword v5, off, s[0:3], 0 offset:208
	buffer_load_dword v6, off, s[0:3], 0 offset:212
	s_mov_b32 s4, exec_lo
	s_waitcnt vmcnt(0)
	ds_write_b64 v4, v[5:6]
	s_waitcnt lgkmcnt(0)
	s_barrier
	buffer_gl0_inv
	v_cmpx_gt_u32_e32 26, v0
	s_cbranch_execz .LBB57_119
; %bb.116:
	v_add_nc_u32_e32 v5, -1, v0
	v_add_nc_u32_e32 v6, 0x1d0, v3
	v_mov_b32_e32 v7, v3
	v_mov_b32_e32 v2, 0
	;; [unrolled: 1-line block ×3, first 2 shown]
	s_mov_b32 s5, 0
	.p2align	6
.LBB57_117:                             ; =>This Inner Loop Header: Depth=1
	s_clause 0x1
	buffer_load_dword v11, v7, s[0:3], 0 offen offset:4
	buffer_load_dword v12, v7, s[0:3], 0 offen
	ds_read_b64 v[9:10], v6
	v_add_nc_u32_e32 v5, 1, v5
	v_add_nc_u32_e32 v6, 8, v6
	;; [unrolled: 1-line block ×3, first 2 shown]
	v_cmp_lt_u32_e32 vcc_lo, 24, v5
	s_or_b32 s5, vcc_lo, s5
	s_waitcnt vmcnt(1) lgkmcnt(0)
	v_mul_f32_e32 v129, v10, v11
	v_mul_f32_e32 v11, v9, v11
	s_waitcnt vmcnt(0)
	v_fma_f32 v9, v9, v12, -v129
	v_fmac_f32_e32 v11, v10, v12
	v_add_f32_e32 v8, v8, v9
	v_add_f32_e32 v2, v2, v11
	s_andn2_b32 exec_lo, exec_lo, s5
	s_cbranch_execnz .LBB57_117
; %bb.118:
	s_or_b32 exec_lo, exec_lo, s5
	v_mov_b32_e32 v5, 0
	ds_read_b64 v[5:6], v5 offset:208
	s_waitcnt lgkmcnt(0)
	v_mul_f32_e32 v7, v2, v6
	v_mul_f32_e32 v6, v8, v6
	v_fma_f32 v7, v8, v5, -v7
	v_fmac_f32_e32 v6, v2, v5
	buffer_store_dword v7, off, s[0:3], 0 offset:208
	buffer_store_dword v6, off, s[0:3], 0 offset:212
.LBB57_119:
	s_or_b32 exec_lo, exec_lo, s4
	s_waitcnt_vscnt null, 0x0
	s_barrier
	buffer_gl0_inv
	s_clause 0x1
	buffer_load_dword v5, off, s[0:3], 0 offset:216
	buffer_load_dword v6, off, s[0:3], 0 offset:220
	s_mov_b32 s4, exec_lo
	s_waitcnt vmcnt(0)
	ds_write_b64 v4, v[5:6]
	s_waitcnt lgkmcnt(0)
	s_barrier
	buffer_gl0_inv
	v_cmpx_gt_u32_e32 27, v0
	s_cbranch_execz .LBB57_123
; %bb.120:
	v_add_nc_u32_e32 v5, -1, v0
	v_add_nc_u32_e32 v6, 0x1d0, v3
	v_mov_b32_e32 v7, v3
	v_mov_b32_e32 v2, 0
	;; [unrolled: 1-line block ×3, first 2 shown]
	s_mov_b32 s5, 0
	.p2align	6
.LBB57_121:                             ; =>This Inner Loop Header: Depth=1
	s_clause 0x1
	buffer_load_dword v11, v7, s[0:3], 0 offen offset:4
	buffer_load_dword v12, v7, s[0:3], 0 offen
	ds_read_b64 v[9:10], v6
	v_add_nc_u32_e32 v5, 1, v5
	v_add_nc_u32_e32 v6, 8, v6
	;; [unrolled: 1-line block ×3, first 2 shown]
	v_cmp_lt_u32_e32 vcc_lo, 25, v5
	s_or_b32 s5, vcc_lo, s5
	s_waitcnt vmcnt(1) lgkmcnt(0)
	v_mul_f32_e32 v129, v10, v11
	v_mul_f32_e32 v11, v9, v11
	s_waitcnt vmcnt(0)
	v_fma_f32 v9, v9, v12, -v129
	v_fmac_f32_e32 v11, v10, v12
	v_add_f32_e32 v8, v8, v9
	v_add_f32_e32 v2, v2, v11
	s_andn2_b32 exec_lo, exec_lo, s5
	s_cbranch_execnz .LBB57_121
; %bb.122:
	s_or_b32 exec_lo, exec_lo, s5
	v_mov_b32_e32 v5, 0
	ds_read_b64 v[5:6], v5 offset:216
	s_waitcnt lgkmcnt(0)
	v_mul_f32_e32 v7, v2, v6
	v_mul_f32_e32 v6, v8, v6
	v_fma_f32 v7, v8, v5, -v7
	v_fmac_f32_e32 v6, v2, v5
	buffer_store_dword v7, off, s[0:3], 0 offset:216
	buffer_store_dword v6, off, s[0:3], 0 offset:220
.LBB57_123:
	s_or_b32 exec_lo, exec_lo, s4
	s_waitcnt_vscnt null, 0x0
	s_barrier
	buffer_gl0_inv
	s_clause 0x1
	buffer_load_dword v5, off, s[0:3], 0 offset:224
	buffer_load_dword v6, off, s[0:3], 0 offset:228
	s_mov_b32 s4, exec_lo
	s_waitcnt vmcnt(0)
	ds_write_b64 v4, v[5:6]
	s_waitcnt lgkmcnt(0)
	s_barrier
	buffer_gl0_inv
	v_cmpx_gt_u32_e32 28, v0
	s_cbranch_execz .LBB57_127
; %bb.124:
	v_add_nc_u32_e32 v5, -1, v0
	v_add_nc_u32_e32 v6, 0x1d0, v3
	v_mov_b32_e32 v7, v3
	v_mov_b32_e32 v2, 0
	;; [unrolled: 1-line block ×3, first 2 shown]
	s_mov_b32 s5, 0
	.p2align	6
.LBB57_125:                             ; =>This Inner Loop Header: Depth=1
	s_clause 0x1
	buffer_load_dword v11, v7, s[0:3], 0 offen offset:4
	buffer_load_dword v12, v7, s[0:3], 0 offen
	ds_read_b64 v[9:10], v6
	v_add_nc_u32_e32 v5, 1, v5
	v_add_nc_u32_e32 v6, 8, v6
	;; [unrolled: 1-line block ×3, first 2 shown]
	v_cmp_lt_u32_e32 vcc_lo, 26, v5
	s_or_b32 s5, vcc_lo, s5
	s_waitcnt vmcnt(1) lgkmcnt(0)
	v_mul_f32_e32 v129, v10, v11
	v_mul_f32_e32 v11, v9, v11
	s_waitcnt vmcnt(0)
	v_fma_f32 v9, v9, v12, -v129
	v_fmac_f32_e32 v11, v10, v12
	v_add_f32_e32 v8, v8, v9
	v_add_f32_e32 v2, v2, v11
	s_andn2_b32 exec_lo, exec_lo, s5
	s_cbranch_execnz .LBB57_125
; %bb.126:
	s_or_b32 exec_lo, exec_lo, s5
	v_mov_b32_e32 v5, 0
	ds_read_b64 v[5:6], v5 offset:224
	s_waitcnt lgkmcnt(0)
	v_mul_f32_e32 v7, v2, v6
	v_mul_f32_e32 v6, v8, v6
	v_fma_f32 v7, v8, v5, -v7
	v_fmac_f32_e32 v6, v2, v5
	buffer_store_dword v7, off, s[0:3], 0 offset:224
	buffer_store_dword v6, off, s[0:3], 0 offset:228
.LBB57_127:
	s_or_b32 exec_lo, exec_lo, s4
	s_waitcnt_vscnt null, 0x0
	s_barrier
	buffer_gl0_inv
	s_clause 0x1
	buffer_load_dword v5, off, s[0:3], 0 offset:232
	buffer_load_dword v6, off, s[0:3], 0 offset:236
	s_mov_b32 s4, exec_lo
	s_waitcnt vmcnt(0)
	ds_write_b64 v4, v[5:6]
	s_waitcnt lgkmcnt(0)
	s_barrier
	buffer_gl0_inv
	v_cmpx_gt_u32_e32 29, v0
	s_cbranch_execz .LBB57_131
; %bb.128:
	v_add_nc_u32_e32 v5, -1, v0
	v_add_nc_u32_e32 v6, 0x1d0, v3
	v_mov_b32_e32 v7, v3
	v_mov_b32_e32 v2, 0
	;; [unrolled: 1-line block ×3, first 2 shown]
	s_mov_b32 s5, 0
	.p2align	6
.LBB57_129:                             ; =>This Inner Loop Header: Depth=1
	s_clause 0x1
	buffer_load_dword v11, v7, s[0:3], 0 offen offset:4
	buffer_load_dword v12, v7, s[0:3], 0 offen
	ds_read_b64 v[9:10], v6
	v_add_nc_u32_e32 v5, 1, v5
	v_add_nc_u32_e32 v6, 8, v6
	;; [unrolled: 1-line block ×3, first 2 shown]
	v_cmp_lt_u32_e32 vcc_lo, 27, v5
	s_or_b32 s5, vcc_lo, s5
	s_waitcnt vmcnt(1) lgkmcnt(0)
	v_mul_f32_e32 v129, v10, v11
	v_mul_f32_e32 v11, v9, v11
	s_waitcnt vmcnt(0)
	v_fma_f32 v9, v9, v12, -v129
	v_fmac_f32_e32 v11, v10, v12
	v_add_f32_e32 v8, v8, v9
	v_add_f32_e32 v2, v2, v11
	s_andn2_b32 exec_lo, exec_lo, s5
	s_cbranch_execnz .LBB57_129
; %bb.130:
	s_or_b32 exec_lo, exec_lo, s5
	v_mov_b32_e32 v5, 0
	ds_read_b64 v[5:6], v5 offset:232
	s_waitcnt lgkmcnt(0)
	v_mul_f32_e32 v7, v2, v6
	v_mul_f32_e32 v6, v8, v6
	v_fma_f32 v7, v8, v5, -v7
	v_fmac_f32_e32 v6, v2, v5
	buffer_store_dword v7, off, s[0:3], 0 offset:232
	buffer_store_dword v6, off, s[0:3], 0 offset:236
.LBB57_131:
	s_or_b32 exec_lo, exec_lo, s4
	s_waitcnt_vscnt null, 0x0
	s_barrier
	buffer_gl0_inv
	s_clause 0x1
	buffer_load_dword v5, off, s[0:3], 0 offset:240
	buffer_load_dword v6, off, s[0:3], 0 offset:244
	s_mov_b32 s4, exec_lo
	s_waitcnt vmcnt(0)
	ds_write_b64 v4, v[5:6]
	s_waitcnt lgkmcnt(0)
	s_barrier
	buffer_gl0_inv
	v_cmpx_gt_u32_e32 30, v0
	s_cbranch_execz .LBB57_135
; %bb.132:
	v_add_nc_u32_e32 v5, -1, v0
	v_add_nc_u32_e32 v6, 0x1d0, v3
	v_mov_b32_e32 v7, v3
	v_mov_b32_e32 v2, 0
	;; [unrolled: 1-line block ×3, first 2 shown]
	s_mov_b32 s5, 0
	.p2align	6
.LBB57_133:                             ; =>This Inner Loop Header: Depth=1
	s_clause 0x1
	buffer_load_dword v11, v7, s[0:3], 0 offen offset:4
	buffer_load_dword v12, v7, s[0:3], 0 offen
	ds_read_b64 v[9:10], v6
	v_add_nc_u32_e32 v5, 1, v5
	v_add_nc_u32_e32 v6, 8, v6
	v_add_nc_u32_e32 v7, 8, v7
	v_cmp_lt_u32_e32 vcc_lo, 28, v5
	s_or_b32 s5, vcc_lo, s5
	s_waitcnt vmcnt(1) lgkmcnt(0)
	v_mul_f32_e32 v129, v10, v11
	v_mul_f32_e32 v11, v9, v11
	s_waitcnt vmcnt(0)
	v_fma_f32 v9, v9, v12, -v129
	v_fmac_f32_e32 v11, v10, v12
	v_add_f32_e32 v8, v8, v9
	v_add_f32_e32 v2, v2, v11
	s_andn2_b32 exec_lo, exec_lo, s5
	s_cbranch_execnz .LBB57_133
; %bb.134:
	s_or_b32 exec_lo, exec_lo, s5
	v_mov_b32_e32 v5, 0
	ds_read_b64 v[5:6], v5 offset:240
	s_waitcnt lgkmcnt(0)
	v_mul_f32_e32 v7, v2, v6
	v_mul_f32_e32 v6, v8, v6
	v_fma_f32 v7, v8, v5, -v7
	v_fmac_f32_e32 v6, v2, v5
	buffer_store_dword v7, off, s[0:3], 0 offset:240
	buffer_store_dword v6, off, s[0:3], 0 offset:244
.LBB57_135:
	s_or_b32 exec_lo, exec_lo, s4
	s_waitcnt_vscnt null, 0x0
	s_barrier
	buffer_gl0_inv
	s_clause 0x1
	buffer_load_dword v5, off, s[0:3], 0 offset:248
	buffer_load_dword v6, off, s[0:3], 0 offset:252
	s_mov_b32 s4, exec_lo
	s_waitcnt vmcnt(0)
	ds_write_b64 v4, v[5:6]
	s_waitcnt lgkmcnt(0)
	s_barrier
	buffer_gl0_inv
	v_cmpx_gt_u32_e32 31, v0
	s_cbranch_execz .LBB57_139
; %bb.136:
	v_add_nc_u32_e32 v5, -1, v0
	v_add_nc_u32_e32 v6, 0x1d0, v3
	v_mov_b32_e32 v7, v3
	v_mov_b32_e32 v2, 0
	;; [unrolled: 1-line block ×3, first 2 shown]
	s_mov_b32 s5, 0
	.p2align	6
.LBB57_137:                             ; =>This Inner Loop Header: Depth=1
	s_clause 0x1
	buffer_load_dword v11, v7, s[0:3], 0 offen offset:4
	buffer_load_dword v12, v7, s[0:3], 0 offen
	ds_read_b64 v[9:10], v6
	v_add_nc_u32_e32 v5, 1, v5
	v_add_nc_u32_e32 v6, 8, v6
	v_add_nc_u32_e32 v7, 8, v7
	v_cmp_lt_u32_e32 vcc_lo, 29, v5
	s_or_b32 s5, vcc_lo, s5
	s_waitcnt vmcnt(1) lgkmcnt(0)
	v_mul_f32_e32 v129, v10, v11
	v_mul_f32_e32 v11, v9, v11
	s_waitcnt vmcnt(0)
	v_fma_f32 v9, v9, v12, -v129
	v_fmac_f32_e32 v11, v10, v12
	v_add_f32_e32 v8, v8, v9
	v_add_f32_e32 v2, v2, v11
	s_andn2_b32 exec_lo, exec_lo, s5
	s_cbranch_execnz .LBB57_137
; %bb.138:
	s_or_b32 exec_lo, exec_lo, s5
	v_mov_b32_e32 v5, 0
	ds_read_b64 v[5:6], v5 offset:248
	s_waitcnt lgkmcnt(0)
	v_mul_f32_e32 v7, v2, v6
	v_mul_f32_e32 v6, v8, v6
	v_fma_f32 v7, v8, v5, -v7
	v_fmac_f32_e32 v6, v2, v5
	buffer_store_dword v7, off, s[0:3], 0 offset:248
	buffer_store_dword v6, off, s[0:3], 0 offset:252
.LBB57_139:
	s_or_b32 exec_lo, exec_lo, s4
	s_waitcnt_vscnt null, 0x0
	s_barrier
	buffer_gl0_inv
	s_clause 0x1
	buffer_load_dword v5, off, s[0:3], 0 offset:256
	buffer_load_dword v6, off, s[0:3], 0 offset:260
	s_mov_b32 s4, exec_lo
	s_waitcnt vmcnt(0)
	ds_write_b64 v4, v[5:6]
	s_waitcnt lgkmcnt(0)
	s_barrier
	buffer_gl0_inv
	v_cmpx_gt_u32_e32 32, v0
	s_cbranch_execz .LBB57_143
; %bb.140:
	v_add_nc_u32_e32 v5, -1, v0
	v_add_nc_u32_e32 v6, 0x1d0, v3
	v_mov_b32_e32 v7, v3
	v_mov_b32_e32 v2, 0
	;; [unrolled: 1-line block ×3, first 2 shown]
	s_mov_b32 s5, 0
	.p2align	6
.LBB57_141:                             ; =>This Inner Loop Header: Depth=1
	s_clause 0x1
	buffer_load_dword v11, v7, s[0:3], 0 offen offset:4
	buffer_load_dword v12, v7, s[0:3], 0 offen
	ds_read_b64 v[9:10], v6
	v_add_nc_u32_e32 v5, 1, v5
	v_add_nc_u32_e32 v6, 8, v6
	;; [unrolled: 1-line block ×3, first 2 shown]
	v_cmp_lt_u32_e32 vcc_lo, 30, v5
	s_or_b32 s5, vcc_lo, s5
	s_waitcnt vmcnt(1) lgkmcnt(0)
	v_mul_f32_e32 v129, v10, v11
	v_mul_f32_e32 v11, v9, v11
	s_waitcnt vmcnt(0)
	v_fma_f32 v9, v9, v12, -v129
	v_fmac_f32_e32 v11, v10, v12
	v_add_f32_e32 v8, v8, v9
	v_add_f32_e32 v2, v2, v11
	s_andn2_b32 exec_lo, exec_lo, s5
	s_cbranch_execnz .LBB57_141
; %bb.142:
	s_or_b32 exec_lo, exec_lo, s5
	v_mov_b32_e32 v5, 0
	ds_read_b64 v[5:6], v5 offset:256
	s_waitcnt lgkmcnt(0)
	v_mul_f32_e32 v7, v2, v6
	v_mul_f32_e32 v6, v8, v6
	v_fma_f32 v7, v8, v5, -v7
	v_fmac_f32_e32 v6, v2, v5
	buffer_store_dword v7, off, s[0:3], 0 offset:256
	buffer_store_dword v6, off, s[0:3], 0 offset:260
.LBB57_143:
	s_or_b32 exec_lo, exec_lo, s4
	s_waitcnt_vscnt null, 0x0
	s_barrier
	buffer_gl0_inv
	s_clause 0x1
	buffer_load_dword v5, off, s[0:3], 0 offset:264
	buffer_load_dword v6, off, s[0:3], 0 offset:268
	s_mov_b32 s4, exec_lo
	s_waitcnt vmcnt(0)
	ds_write_b64 v4, v[5:6]
	s_waitcnt lgkmcnt(0)
	s_barrier
	buffer_gl0_inv
	v_cmpx_gt_u32_e32 33, v0
	s_cbranch_execz .LBB57_147
; %bb.144:
	v_add_nc_u32_e32 v5, -1, v0
	v_add_nc_u32_e32 v6, 0x1d0, v3
	v_mov_b32_e32 v7, v3
	v_mov_b32_e32 v2, 0
	;; [unrolled: 1-line block ×3, first 2 shown]
	s_mov_b32 s5, 0
	.p2align	6
.LBB57_145:                             ; =>This Inner Loop Header: Depth=1
	s_clause 0x1
	buffer_load_dword v11, v7, s[0:3], 0 offen offset:4
	buffer_load_dword v12, v7, s[0:3], 0 offen
	ds_read_b64 v[9:10], v6
	v_add_nc_u32_e32 v5, 1, v5
	v_add_nc_u32_e32 v6, 8, v6
	;; [unrolled: 1-line block ×3, first 2 shown]
	v_cmp_lt_u32_e32 vcc_lo, 31, v5
	s_or_b32 s5, vcc_lo, s5
	s_waitcnt vmcnt(1) lgkmcnt(0)
	v_mul_f32_e32 v129, v10, v11
	v_mul_f32_e32 v11, v9, v11
	s_waitcnt vmcnt(0)
	v_fma_f32 v9, v9, v12, -v129
	v_fmac_f32_e32 v11, v10, v12
	v_add_f32_e32 v8, v8, v9
	v_add_f32_e32 v2, v2, v11
	s_andn2_b32 exec_lo, exec_lo, s5
	s_cbranch_execnz .LBB57_145
; %bb.146:
	s_or_b32 exec_lo, exec_lo, s5
	v_mov_b32_e32 v5, 0
	ds_read_b64 v[5:6], v5 offset:264
	s_waitcnt lgkmcnt(0)
	v_mul_f32_e32 v7, v2, v6
	v_mul_f32_e32 v6, v8, v6
	v_fma_f32 v7, v8, v5, -v7
	v_fmac_f32_e32 v6, v2, v5
	buffer_store_dword v7, off, s[0:3], 0 offset:264
	buffer_store_dword v6, off, s[0:3], 0 offset:268
.LBB57_147:
	s_or_b32 exec_lo, exec_lo, s4
	s_waitcnt_vscnt null, 0x0
	s_barrier
	buffer_gl0_inv
	s_clause 0x1
	buffer_load_dword v5, off, s[0:3], 0 offset:272
	buffer_load_dword v6, off, s[0:3], 0 offset:276
	s_mov_b32 s4, exec_lo
	s_waitcnt vmcnt(0)
	ds_write_b64 v4, v[5:6]
	s_waitcnt lgkmcnt(0)
	s_barrier
	buffer_gl0_inv
	v_cmpx_gt_u32_e32 34, v0
	s_cbranch_execz .LBB57_151
; %bb.148:
	v_add_nc_u32_e32 v5, -1, v0
	v_add_nc_u32_e32 v6, 0x1d0, v3
	v_mov_b32_e32 v7, v3
	v_mov_b32_e32 v2, 0
	;; [unrolled: 1-line block ×3, first 2 shown]
	s_mov_b32 s5, 0
	.p2align	6
.LBB57_149:                             ; =>This Inner Loop Header: Depth=1
	s_clause 0x1
	buffer_load_dword v11, v7, s[0:3], 0 offen offset:4
	buffer_load_dword v12, v7, s[0:3], 0 offen
	ds_read_b64 v[9:10], v6
	v_add_nc_u32_e32 v5, 1, v5
	v_add_nc_u32_e32 v6, 8, v6
	;; [unrolled: 1-line block ×3, first 2 shown]
	v_cmp_lt_u32_e32 vcc_lo, 32, v5
	s_or_b32 s5, vcc_lo, s5
	s_waitcnt vmcnt(1) lgkmcnt(0)
	v_mul_f32_e32 v129, v10, v11
	v_mul_f32_e32 v11, v9, v11
	s_waitcnt vmcnt(0)
	v_fma_f32 v9, v9, v12, -v129
	v_fmac_f32_e32 v11, v10, v12
	v_add_f32_e32 v8, v8, v9
	v_add_f32_e32 v2, v2, v11
	s_andn2_b32 exec_lo, exec_lo, s5
	s_cbranch_execnz .LBB57_149
; %bb.150:
	s_or_b32 exec_lo, exec_lo, s5
	v_mov_b32_e32 v5, 0
	ds_read_b64 v[5:6], v5 offset:272
	s_waitcnt lgkmcnt(0)
	v_mul_f32_e32 v7, v2, v6
	v_mul_f32_e32 v6, v8, v6
	v_fma_f32 v7, v8, v5, -v7
	v_fmac_f32_e32 v6, v2, v5
	buffer_store_dword v7, off, s[0:3], 0 offset:272
	buffer_store_dword v6, off, s[0:3], 0 offset:276
.LBB57_151:
	s_or_b32 exec_lo, exec_lo, s4
	s_waitcnt_vscnt null, 0x0
	s_barrier
	buffer_gl0_inv
	s_clause 0x1
	buffer_load_dword v5, off, s[0:3], 0 offset:280
	buffer_load_dword v6, off, s[0:3], 0 offset:284
	s_mov_b32 s4, exec_lo
	s_waitcnt vmcnt(0)
	ds_write_b64 v4, v[5:6]
	s_waitcnt lgkmcnt(0)
	s_barrier
	buffer_gl0_inv
	v_cmpx_gt_u32_e32 35, v0
	s_cbranch_execz .LBB57_155
; %bb.152:
	v_add_nc_u32_e32 v5, -1, v0
	v_add_nc_u32_e32 v6, 0x1d0, v3
	v_mov_b32_e32 v7, v3
	v_mov_b32_e32 v2, 0
	;; [unrolled: 1-line block ×3, first 2 shown]
	s_mov_b32 s5, 0
	.p2align	6
.LBB57_153:                             ; =>This Inner Loop Header: Depth=1
	s_clause 0x1
	buffer_load_dword v11, v7, s[0:3], 0 offen offset:4
	buffer_load_dword v12, v7, s[0:3], 0 offen
	ds_read_b64 v[9:10], v6
	v_add_nc_u32_e32 v5, 1, v5
	v_add_nc_u32_e32 v6, 8, v6
	;; [unrolled: 1-line block ×3, first 2 shown]
	v_cmp_lt_u32_e32 vcc_lo, 33, v5
	s_or_b32 s5, vcc_lo, s5
	s_waitcnt vmcnt(1) lgkmcnt(0)
	v_mul_f32_e32 v129, v10, v11
	v_mul_f32_e32 v11, v9, v11
	s_waitcnt vmcnt(0)
	v_fma_f32 v9, v9, v12, -v129
	v_fmac_f32_e32 v11, v10, v12
	v_add_f32_e32 v8, v8, v9
	v_add_f32_e32 v2, v2, v11
	s_andn2_b32 exec_lo, exec_lo, s5
	s_cbranch_execnz .LBB57_153
; %bb.154:
	s_or_b32 exec_lo, exec_lo, s5
	v_mov_b32_e32 v5, 0
	ds_read_b64 v[5:6], v5 offset:280
	s_waitcnt lgkmcnt(0)
	v_mul_f32_e32 v7, v2, v6
	v_mul_f32_e32 v6, v8, v6
	v_fma_f32 v7, v8, v5, -v7
	v_fmac_f32_e32 v6, v2, v5
	buffer_store_dword v7, off, s[0:3], 0 offset:280
	buffer_store_dword v6, off, s[0:3], 0 offset:284
.LBB57_155:
	s_or_b32 exec_lo, exec_lo, s4
	s_waitcnt_vscnt null, 0x0
	s_barrier
	buffer_gl0_inv
	s_clause 0x1
	buffer_load_dword v5, off, s[0:3], 0 offset:288
	buffer_load_dword v6, off, s[0:3], 0 offset:292
	s_mov_b32 s4, exec_lo
	s_waitcnt vmcnt(0)
	ds_write_b64 v4, v[5:6]
	s_waitcnt lgkmcnt(0)
	s_barrier
	buffer_gl0_inv
	v_cmpx_gt_u32_e32 36, v0
	s_cbranch_execz .LBB57_159
; %bb.156:
	v_add_nc_u32_e32 v5, -1, v0
	v_add_nc_u32_e32 v6, 0x1d0, v3
	v_mov_b32_e32 v7, v3
	v_mov_b32_e32 v2, 0
	;; [unrolled: 1-line block ×3, first 2 shown]
	s_mov_b32 s5, 0
	.p2align	6
.LBB57_157:                             ; =>This Inner Loop Header: Depth=1
	s_clause 0x1
	buffer_load_dword v11, v7, s[0:3], 0 offen offset:4
	buffer_load_dword v12, v7, s[0:3], 0 offen
	ds_read_b64 v[9:10], v6
	v_add_nc_u32_e32 v5, 1, v5
	v_add_nc_u32_e32 v6, 8, v6
	;; [unrolled: 1-line block ×3, first 2 shown]
	v_cmp_lt_u32_e32 vcc_lo, 34, v5
	s_or_b32 s5, vcc_lo, s5
	s_waitcnt vmcnt(1) lgkmcnt(0)
	v_mul_f32_e32 v129, v10, v11
	v_mul_f32_e32 v11, v9, v11
	s_waitcnt vmcnt(0)
	v_fma_f32 v9, v9, v12, -v129
	v_fmac_f32_e32 v11, v10, v12
	v_add_f32_e32 v8, v8, v9
	v_add_f32_e32 v2, v2, v11
	s_andn2_b32 exec_lo, exec_lo, s5
	s_cbranch_execnz .LBB57_157
; %bb.158:
	s_or_b32 exec_lo, exec_lo, s5
	v_mov_b32_e32 v5, 0
	ds_read_b64 v[5:6], v5 offset:288
	s_waitcnt lgkmcnt(0)
	v_mul_f32_e32 v7, v2, v6
	v_mul_f32_e32 v6, v8, v6
	v_fma_f32 v7, v8, v5, -v7
	v_fmac_f32_e32 v6, v2, v5
	buffer_store_dword v7, off, s[0:3], 0 offset:288
	buffer_store_dword v6, off, s[0:3], 0 offset:292
.LBB57_159:
	s_or_b32 exec_lo, exec_lo, s4
	s_waitcnt_vscnt null, 0x0
	s_barrier
	buffer_gl0_inv
	s_clause 0x1
	buffer_load_dword v5, off, s[0:3], 0 offset:296
	buffer_load_dword v6, off, s[0:3], 0 offset:300
	s_mov_b32 s4, exec_lo
	s_waitcnt vmcnt(0)
	ds_write_b64 v4, v[5:6]
	s_waitcnt lgkmcnt(0)
	s_barrier
	buffer_gl0_inv
	v_cmpx_gt_u32_e32 37, v0
	s_cbranch_execz .LBB57_163
; %bb.160:
	v_add_nc_u32_e32 v5, -1, v0
	v_add_nc_u32_e32 v6, 0x1d0, v3
	v_mov_b32_e32 v7, v3
	v_mov_b32_e32 v2, 0
	;; [unrolled: 1-line block ×3, first 2 shown]
	s_mov_b32 s5, 0
	.p2align	6
.LBB57_161:                             ; =>This Inner Loop Header: Depth=1
	s_clause 0x1
	buffer_load_dword v11, v7, s[0:3], 0 offen offset:4
	buffer_load_dword v12, v7, s[0:3], 0 offen
	ds_read_b64 v[9:10], v6
	v_add_nc_u32_e32 v5, 1, v5
	v_add_nc_u32_e32 v6, 8, v6
	;; [unrolled: 1-line block ×3, first 2 shown]
	v_cmp_lt_u32_e32 vcc_lo, 35, v5
	s_or_b32 s5, vcc_lo, s5
	s_waitcnt vmcnt(1) lgkmcnt(0)
	v_mul_f32_e32 v129, v10, v11
	v_mul_f32_e32 v11, v9, v11
	s_waitcnt vmcnt(0)
	v_fma_f32 v9, v9, v12, -v129
	v_fmac_f32_e32 v11, v10, v12
	v_add_f32_e32 v8, v8, v9
	v_add_f32_e32 v2, v2, v11
	s_andn2_b32 exec_lo, exec_lo, s5
	s_cbranch_execnz .LBB57_161
; %bb.162:
	s_or_b32 exec_lo, exec_lo, s5
	v_mov_b32_e32 v5, 0
	ds_read_b64 v[5:6], v5 offset:296
	s_waitcnt lgkmcnt(0)
	v_mul_f32_e32 v7, v2, v6
	v_mul_f32_e32 v6, v8, v6
	v_fma_f32 v7, v8, v5, -v7
	v_fmac_f32_e32 v6, v2, v5
	buffer_store_dword v7, off, s[0:3], 0 offset:296
	buffer_store_dword v6, off, s[0:3], 0 offset:300
.LBB57_163:
	s_or_b32 exec_lo, exec_lo, s4
	s_waitcnt_vscnt null, 0x0
	s_barrier
	buffer_gl0_inv
	s_clause 0x1
	buffer_load_dword v5, off, s[0:3], 0 offset:304
	buffer_load_dword v6, off, s[0:3], 0 offset:308
	s_mov_b32 s4, exec_lo
	s_waitcnt vmcnt(0)
	ds_write_b64 v4, v[5:6]
	s_waitcnt lgkmcnt(0)
	s_barrier
	buffer_gl0_inv
	v_cmpx_gt_u32_e32 38, v0
	s_cbranch_execz .LBB57_167
; %bb.164:
	v_add_nc_u32_e32 v5, -1, v0
	v_add_nc_u32_e32 v6, 0x1d0, v3
	v_mov_b32_e32 v7, v3
	v_mov_b32_e32 v2, 0
	;; [unrolled: 1-line block ×3, first 2 shown]
	s_mov_b32 s5, 0
	.p2align	6
.LBB57_165:                             ; =>This Inner Loop Header: Depth=1
	s_clause 0x1
	buffer_load_dword v11, v7, s[0:3], 0 offen offset:4
	buffer_load_dword v12, v7, s[0:3], 0 offen
	ds_read_b64 v[9:10], v6
	v_add_nc_u32_e32 v5, 1, v5
	v_add_nc_u32_e32 v6, 8, v6
	;; [unrolled: 1-line block ×3, first 2 shown]
	v_cmp_lt_u32_e32 vcc_lo, 36, v5
	s_or_b32 s5, vcc_lo, s5
	s_waitcnt vmcnt(1) lgkmcnt(0)
	v_mul_f32_e32 v129, v10, v11
	v_mul_f32_e32 v11, v9, v11
	s_waitcnt vmcnt(0)
	v_fma_f32 v9, v9, v12, -v129
	v_fmac_f32_e32 v11, v10, v12
	v_add_f32_e32 v8, v8, v9
	v_add_f32_e32 v2, v2, v11
	s_andn2_b32 exec_lo, exec_lo, s5
	s_cbranch_execnz .LBB57_165
; %bb.166:
	s_or_b32 exec_lo, exec_lo, s5
	v_mov_b32_e32 v5, 0
	ds_read_b64 v[5:6], v5 offset:304
	s_waitcnt lgkmcnt(0)
	v_mul_f32_e32 v7, v2, v6
	v_mul_f32_e32 v6, v8, v6
	v_fma_f32 v7, v8, v5, -v7
	v_fmac_f32_e32 v6, v2, v5
	buffer_store_dword v7, off, s[0:3], 0 offset:304
	buffer_store_dword v6, off, s[0:3], 0 offset:308
.LBB57_167:
	s_or_b32 exec_lo, exec_lo, s4
	s_waitcnt_vscnt null, 0x0
	s_barrier
	buffer_gl0_inv
	s_clause 0x1
	buffer_load_dword v5, off, s[0:3], 0 offset:312
	buffer_load_dword v6, off, s[0:3], 0 offset:316
	s_mov_b32 s4, exec_lo
	s_waitcnt vmcnt(0)
	ds_write_b64 v4, v[5:6]
	s_waitcnt lgkmcnt(0)
	s_barrier
	buffer_gl0_inv
	v_cmpx_gt_u32_e32 39, v0
	s_cbranch_execz .LBB57_171
; %bb.168:
	v_add_nc_u32_e32 v5, -1, v0
	v_add_nc_u32_e32 v6, 0x1d0, v3
	v_mov_b32_e32 v7, v3
	v_mov_b32_e32 v2, 0
	;; [unrolled: 1-line block ×3, first 2 shown]
	s_mov_b32 s5, 0
	.p2align	6
.LBB57_169:                             ; =>This Inner Loop Header: Depth=1
	s_clause 0x1
	buffer_load_dword v11, v7, s[0:3], 0 offen offset:4
	buffer_load_dword v12, v7, s[0:3], 0 offen
	ds_read_b64 v[9:10], v6
	v_add_nc_u32_e32 v5, 1, v5
	v_add_nc_u32_e32 v6, 8, v6
	;; [unrolled: 1-line block ×3, first 2 shown]
	v_cmp_lt_u32_e32 vcc_lo, 37, v5
	s_or_b32 s5, vcc_lo, s5
	s_waitcnt vmcnt(1) lgkmcnt(0)
	v_mul_f32_e32 v129, v10, v11
	v_mul_f32_e32 v11, v9, v11
	s_waitcnt vmcnt(0)
	v_fma_f32 v9, v9, v12, -v129
	v_fmac_f32_e32 v11, v10, v12
	v_add_f32_e32 v8, v8, v9
	v_add_f32_e32 v2, v2, v11
	s_andn2_b32 exec_lo, exec_lo, s5
	s_cbranch_execnz .LBB57_169
; %bb.170:
	s_or_b32 exec_lo, exec_lo, s5
	v_mov_b32_e32 v5, 0
	ds_read_b64 v[5:6], v5 offset:312
	s_waitcnt lgkmcnt(0)
	v_mul_f32_e32 v7, v2, v6
	v_mul_f32_e32 v6, v8, v6
	v_fma_f32 v7, v8, v5, -v7
	v_fmac_f32_e32 v6, v2, v5
	buffer_store_dword v7, off, s[0:3], 0 offset:312
	buffer_store_dword v6, off, s[0:3], 0 offset:316
.LBB57_171:
	s_or_b32 exec_lo, exec_lo, s4
	s_waitcnt_vscnt null, 0x0
	s_barrier
	buffer_gl0_inv
	s_clause 0x1
	buffer_load_dword v5, off, s[0:3], 0 offset:320
	buffer_load_dword v6, off, s[0:3], 0 offset:324
	s_mov_b32 s4, exec_lo
	s_waitcnt vmcnt(0)
	ds_write_b64 v4, v[5:6]
	s_waitcnt lgkmcnt(0)
	s_barrier
	buffer_gl0_inv
	v_cmpx_gt_u32_e32 40, v0
	s_cbranch_execz .LBB57_175
; %bb.172:
	v_add_nc_u32_e32 v5, -1, v0
	v_add_nc_u32_e32 v6, 0x1d0, v3
	v_mov_b32_e32 v7, v3
	v_mov_b32_e32 v2, 0
	;; [unrolled: 1-line block ×3, first 2 shown]
	s_mov_b32 s5, 0
	.p2align	6
.LBB57_173:                             ; =>This Inner Loop Header: Depth=1
	s_clause 0x1
	buffer_load_dword v11, v7, s[0:3], 0 offen offset:4
	buffer_load_dword v12, v7, s[0:3], 0 offen
	ds_read_b64 v[9:10], v6
	v_add_nc_u32_e32 v5, 1, v5
	v_add_nc_u32_e32 v6, 8, v6
	;; [unrolled: 1-line block ×3, first 2 shown]
	v_cmp_lt_u32_e32 vcc_lo, 38, v5
	s_or_b32 s5, vcc_lo, s5
	s_waitcnt vmcnt(1) lgkmcnt(0)
	v_mul_f32_e32 v129, v10, v11
	v_mul_f32_e32 v11, v9, v11
	s_waitcnt vmcnt(0)
	v_fma_f32 v9, v9, v12, -v129
	v_fmac_f32_e32 v11, v10, v12
	v_add_f32_e32 v8, v8, v9
	v_add_f32_e32 v2, v2, v11
	s_andn2_b32 exec_lo, exec_lo, s5
	s_cbranch_execnz .LBB57_173
; %bb.174:
	s_or_b32 exec_lo, exec_lo, s5
	v_mov_b32_e32 v5, 0
	ds_read_b64 v[5:6], v5 offset:320
	s_waitcnt lgkmcnt(0)
	v_mul_f32_e32 v7, v2, v6
	v_mul_f32_e32 v6, v8, v6
	v_fma_f32 v7, v8, v5, -v7
	v_fmac_f32_e32 v6, v2, v5
	buffer_store_dword v7, off, s[0:3], 0 offset:320
	buffer_store_dword v6, off, s[0:3], 0 offset:324
.LBB57_175:
	s_or_b32 exec_lo, exec_lo, s4
	s_waitcnt_vscnt null, 0x0
	s_barrier
	buffer_gl0_inv
	s_clause 0x1
	buffer_load_dword v5, off, s[0:3], 0 offset:328
	buffer_load_dword v6, off, s[0:3], 0 offset:332
	s_mov_b32 s4, exec_lo
	s_waitcnt vmcnt(0)
	ds_write_b64 v4, v[5:6]
	s_waitcnt lgkmcnt(0)
	s_barrier
	buffer_gl0_inv
	v_cmpx_gt_u32_e32 41, v0
	s_cbranch_execz .LBB57_179
; %bb.176:
	v_add_nc_u32_e32 v5, -1, v0
	v_add_nc_u32_e32 v6, 0x1d0, v3
	v_mov_b32_e32 v7, v3
	v_mov_b32_e32 v2, 0
	;; [unrolled: 1-line block ×3, first 2 shown]
	s_mov_b32 s5, 0
	.p2align	6
.LBB57_177:                             ; =>This Inner Loop Header: Depth=1
	s_clause 0x1
	buffer_load_dword v11, v7, s[0:3], 0 offen offset:4
	buffer_load_dword v12, v7, s[0:3], 0 offen
	ds_read_b64 v[9:10], v6
	v_add_nc_u32_e32 v5, 1, v5
	v_add_nc_u32_e32 v6, 8, v6
	;; [unrolled: 1-line block ×3, first 2 shown]
	v_cmp_lt_u32_e32 vcc_lo, 39, v5
	s_or_b32 s5, vcc_lo, s5
	s_waitcnt vmcnt(1) lgkmcnt(0)
	v_mul_f32_e32 v129, v10, v11
	v_mul_f32_e32 v11, v9, v11
	s_waitcnt vmcnt(0)
	v_fma_f32 v9, v9, v12, -v129
	v_fmac_f32_e32 v11, v10, v12
	v_add_f32_e32 v8, v8, v9
	v_add_f32_e32 v2, v2, v11
	s_andn2_b32 exec_lo, exec_lo, s5
	s_cbranch_execnz .LBB57_177
; %bb.178:
	s_or_b32 exec_lo, exec_lo, s5
	v_mov_b32_e32 v5, 0
	ds_read_b64 v[5:6], v5 offset:328
	s_waitcnt lgkmcnt(0)
	v_mul_f32_e32 v7, v2, v6
	v_mul_f32_e32 v6, v8, v6
	v_fma_f32 v7, v8, v5, -v7
	v_fmac_f32_e32 v6, v2, v5
	buffer_store_dword v7, off, s[0:3], 0 offset:328
	buffer_store_dword v6, off, s[0:3], 0 offset:332
.LBB57_179:
	s_or_b32 exec_lo, exec_lo, s4
	s_waitcnt_vscnt null, 0x0
	s_barrier
	buffer_gl0_inv
	s_clause 0x1
	buffer_load_dword v5, off, s[0:3], 0 offset:336
	buffer_load_dword v6, off, s[0:3], 0 offset:340
	s_mov_b32 s4, exec_lo
	s_waitcnt vmcnt(0)
	ds_write_b64 v4, v[5:6]
	s_waitcnt lgkmcnt(0)
	s_barrier
	buffer_gl0_inv
	v_cmpx_gt_u32_e32 42, v0
	s_cbranch_execz .LBB57_183
; %bb.180:
	v_add_nc_u32_e32 v5, -1, v0
	v_add_nc_u32_e32 v6, 0x1d0, v3
	v_mov_b32_e32 v7, v3
	v_mov_b32_e32 v2, 0
	;; [unrolled: 1-line block ×3, first 2 shown]
	s_mov_b32 s5, 0
	.p2align	6
.LBB57_181:                             ; =>This Inner Loop Header: Depth=1
	s_clause 0x1
	buffer_load_dword v11, v7, s[0:3], 0 offen offset:4
	buffer_load_dword v12, v7, s[0:3], 0 offen
	ds_read_b64 v[9:10], v6
	v_add_nc_u32_e32 v5, 1, v5
	v_add_nc_u32_e32 v6, 8, v6
	v_add_nc_u32_e32 v7, 8, v7
	v_cmp_lt_u32_e32 vcc_lo, 40, v5
	s_or_b32 s5, vcc_lo, s5
	s_waitcnt vmcnt(1) lgkmcnt(0)
	v_mul_f32_e32 v129, v10, v11
	v_mul_f32_e32 v11, v9, v11
	s_waitcnt vmcnt(0)
	v_fma_f32 v9, v9, v12, -v129
	v_fmac_f32_e32 v11, v10, v12
	v_add_f32_e32 v8, v8, v9
	v_add_f32_e32 v2, v2, v11
	s_andn2_b32 exec_lo, exec_lo, s5
	s_cbranch_execnz .LBB57_181
; %bb.182:
	s_or_b32 exec_lo, exec_lo, s5
	v_mov_b32_e32 v5, 0
	ds_read_b64 v[5:6], v5 offset:336
	s_waitcnt lgkmcnt(0)
	v_mul_f32_e32 v7, v2, v6
	v_mul_f32_e32 v6, v8, v6
	v_fma_f32 v7, v8, v5, -v7
	v_fmac_f32_e32 v6, v2, v5
	buffer_store_dword v7, off, s[0:3], 0 offset:336
	buffer_store_dword v6, off, s[0:3], 0 offset:340
.LBB57_183:
	s_or_b32 exec_lo, exec_lo, s4
	s_waitcnt_vscnt null, 0x0
	s_barrier
	buffer_gl0_inv
	s_clause 0x1
	buffer_load_dword v5, off, s[0:3], 0 offset:344
	buffer_load_dword v6, off, s[0:3], 0 offset:348
	s_mov_b32 s4, exec_lo
	s_waitcnt vmcnt(0)
	ds_write_b64 v4, v[5:6]
	s_waitcnt lgkmcnt(0)
	s_barrier
	buffer_gl0_inv
	v_cmpx_gt_u32_e32 43, v0
	s_cbranch_execz .LBB57_187
; %bb.184:
	v_add_nc_u32_e32 v5, -1, v0
	v_add_nc_u32_e32 v6, 0x1d0, v3
	v_mov_b32_e32 v7, v3
	v_mov_b32_e32 v2, 0
	;; [unrolled: 1-line block ×3, first 2 shown]
	s_mov_b32 s5, 0
	.p2align	6
.LBB57_185:                             ; =>This Inner Loop Header: Depth=1
	s_clause 0x1
	buffer_load_dword v11, v7, s[0:3], 0 offen offset:4
	buffer_load_dword v12, v7, s[0:3], 0 offen
	ds_read_b64 v[9:10], v6
	v_add_nc_u32_e32 v5, 1, v5
	v_add_nc_u32_e32 v6, 8, v6
	;; [unrolled: 1-line block ×3, first 2 shown]
	v_cmp_lt_u32_e32 vcc_lo, 41, v5
	s_or_b32 s5, vcc_lo, s5
	s_waitcnt vmcnt(1) lgkmcnt(0)
	v_mul_f32_e32 v129, v10, v11
	v_mul_f32_e32 v11, v9, v11
	s_waitcnt vmcnt(0)
	v_fma_f32 v9, v9, v12, -v129
	v_fmac_f32_e32 v11, v10, v12
	v_add_f32_e32 v8, v8, v9
	v_add_f32_e32 v2, v2, v11
	s_andn2_b32 exec_lo, exec_lo, s5
	s_cbranch_execnz .LBB57_185
; %bb.186:
	s_or_b32 exec_lo, exec_lo, s5
	v_mov_b32_e32 v5, 0
	ds_read_b64 v[5:6], v5 offset:344
	s_waitcnt lgkmcnt(0)
	v_mul_f32_e32 v7, v2, v6
	v_mul_f32_e32 v6, v8, v6
	v_fma_f32 v7, v8, v5, -v7
	v_fmac_f32_e32 v6, v2, v5
	buffer_store_dword v7, off, s[0:3], 0 offset:344
	buffer_store_dword v6, off, s[0:3], 0 offset:348
.LBB57_187:
	s_or_b32 exec_lo, exec_lo, s4
	s_waitcnt_vscnt null, 0x0
	s_barrier
	buffer_gl0_inv
	s_clause 0x1
	buffer_load_dword v5, off, s[0:3], 0 offset:352
	buffer_load_dword v6, off, s[0:3], 0 offset:356
	s_mov_b32 s4, exec_lo
	s_waitcnt vmcnt(0)
	ds_write_b64 v4, v[5:6]
	s_waitcnt lgkmcnt(0)
	s_barrier
	buffer_gl0_inv
	v_cmpx_gt_u32_e32 44, v0
	s_cbranch_execz .LBB57_191
; %bb.188:
	v_add_nc_u32_e32 v5, -1, v0
	v_add_nc_u32_e32 v6, 0x1d0, v3
	v_mov_b32_e32 v7, v3
	v_mov_b32_e32 v2, 0
	;; [unrolled: 1-line block ×3, first 2 shown]
	s_mov_b32 s5, 0
	.p2align	6
.LBB57_189:                             ; =>This Inner Loop Header: Depth=1
	s_clause 0x1
	buffer_load_dword v11, v7, s[0:3], 0 offen offset:4
	buffer_load_dword v12, v7, s[0:3], 0 offen
	ds_read_b64 v[9:10], v6
	v_add_nc_u32_e32 v5, 1, v5
	v_add_nc_u32_e32 v6, 8, v6
	v_add_nc_u32_e32 v7, 8, v7
	v_cmp_lt_u32_e32 vcc_lo, 42, v5
	s_or_b32 s5, vcc_lo, s5
	s_waitcnt vmcnt(1) lgkmcnt(0)
	v_mul_f32_e32 v129, v10, v11
	v_mul_f32_e32 v11, v9, v11
	s_waitcnt vmcnt(0)
	v_fma_f32 v9, v9, v12, -v129
	v_fmac_f32_e32 v11, v10, v12
	v_add_f32_e32 v8, v8, v9
	v_add_f32_e32 v2, v2, v11
	s_andn2_b32 exec_lo, exec_lo, s5
	s_cbranch_execnz .LBB57_189
; %bb.190:
	s_or_b32 exec_lo, exec_lo, s5
	v_mov_b32_e32 v5, 0
	ds_read_b64 v[5:6], v5 offset:352
	s_waitcnt lgkmcnt(0)
	v_mul_f32_e32 v7, v2, v6
	v_mul_f32_e32 v6, v8, v6
	v_fma_f32 v7, v8, v5, -v7
	v_fmac_f32_e32 v6, v2, v5
	buffer_store_dword v7, off, s[0:3], 0 offset:352
	buffer_store_dword v6, off, s[0:3], 0 offset:356
.LBB57_191:
	s_or_b32 exec_lo, exec_lo, s4
	s_waitcnt_vscnt null, 0x0
	s_barrier
	buffer_gl0_inv
	s_clause 0x1
	buffer_load_dword v5, off, s[0:3], 0 offset:360
	buffer_load_dword v6, off, s[0:3], 0 offset:364
	s_mov_b32 s4, exec_lo
	s_waitcnt vmcnt(0)
	ds_write_b64 v4, v[5:6]
	s_waitcnt lgkmcnt(0)
	s_barrier
	buffer_gl0_inv
	v_cmpx_gt_u32_e32 45, v0
	s_cbranch_execz .LBB57_195
; %bb.192:
	v_add_nc_u32_e32 v5, -1, v0
	v_add_nc_u32_e32 v6, 0x1d0, v3
	v_mov_b32_e32 v7, v3
	v_mov_b32_e32 v2, 0
	;; [unrolled: 1-line block ×3, first 2 shown]
	s_mov_b32 s5, 0
	.p2align	6
.LBB57_193:                             ; =>This Inner Loop Header: Depth=1
	s_clause 0x1
	buffer_load_dword v11, v7, s[0:3], 0 offen offset:4
	buffer_load_dword v12, v7, s[0:3], 0 offen
	ds_read_b64 v[9:10], v6
	v_add_nc_u32_e32 v5, 1, v5
	v_add_nc_u32_e32 v6, 8, v6
	v_add_nc_u32_e32 v7, 8, v7
	v_cmp_lt_u32_e32 vcc_lo, 43, v5
	s_or_b32 s5, vcc_lo, s5
	s_waitcnt vmcnt(1) lgkmcnt(0)
	v_mul_f32_e32 v129, v10, v11
	v_mul_f32_e32 v11, v9, v11
	s_waitcnt vmcnt(0)
	v_fma_f32 v9, v9, v12, -v129
	v_fmac_f32_e32 v11, v10, v12
	v_add_f32_e32 v8, v8, v9
	v_add_f32_e32 v2, v2, v11
	s_andn2_b32 exec_lo, exec_lo, s5
	s_cbranch_execnz .LBB57_193
; %bb.194:
	s_or_b32 exec_lo, exec_lo, s5
	v_mov_b32_e32 v5, 0
	ds_read_b64 v[5:6], v5 offset:360
	s_waitcnt lgkmcnt(0)
	v_mul_f32_e32 v7, v2, v6
	v_mul_f32_e32 v6, v8, v6
	v_fma_f32 v7, v8, v5, -v7
	v_fmac_f32_e32 v6, v2, v5
	buffer_store_dword v7, off, s[0:3], 0 offset:360
	buffer_store_dword v6, off, s[0:3], 0 offset:364
.LBB57_195:
	s_or_b32 exec_lo, exec_lo, s4
	s_waitcnt_vscnt null, 0x0
	s_barrier
	buffer_gl0_inv
	s_clause 0x1
	buffer_load_dword v5, off, s[0:3], 0 offset:368
	buffer_load_dword v6, off, s[0:3], 0 offset:372
	s_mov_b32 s4, exec_lo
	s_waitcnt vmcnt(0)
	ds_write_b64 v4, v[5:6]
	s_waitcnt lgkmcnt(0)
	s_barrier
	buffer_gl0_inv
	v_cmpx_gt_u32_e32 46, v0
	s_cbranch_execz .LBB57_199
; %bb.196:
	v_add_nc_u32_e32 v5, -1, v0
	v_add_nc_u32_e32 v6, 0x1d0, v3
	v_mov_b32_e32 v7, v3
	v_mov_b32_e32 v2, 0
	;; [unrolled: 1-line block ×3, first 2 shown]
	s_mov_b32 s5, 0
	.p2align	6
.LBB57_197:                             ; =>This Inner Loop Header: Depth=1
	s_clause 0x1
	buffer_load_dword v11, v7, s[0:3], 0 offen offset:4
	buffer_load_dword v12, v7, s[0:3], 0 offen
	ds_read_b64 v[9:10], v6
	v_add_nc_u32_e32 v5, 1, v5
	v_add_nc_u32_e32 v6, 8, v6
	;; [unrolled: 1-line block ×3, first 2 shown]
	v_cmp_lt_u32_e32 vcc_lo, 44, v5
	s_or_b32 s5, vcc_lo, s5
	s_waitcnt vmcnt(1) lgkmcnt(0)
	v_mul_f32_e32 v129, v10, v11
	v_mul_f32_e32 v11, v9, v11
	s_waitcnt vmcnt(0)
	v_fma_f32 v9, v9, v12, -v129
	v_fmac_f32_e32 v11, v10, v12
	v_add_f32_e32 v8, v8, v9
	v_add_f32_e32 v2, v2, v11
	s_andn2_b32 exec_lo, exec_lo, s5
	s_cbranch_execnz .LBB57_197
; %bb.198:
	s_or_b32 exec_lo, exec_lo, s5
	v_mov_b32_e32 v5, 0
	ds_read_b64 v[5:6], v5 offset:368
	s_waitcnt lgkmcnt(0)
	v_mul_f32_e32 v7, v2, v6
	v_mul_f32_e32 v6, v8, v6
	v_fma_f32 v7, v8, v5, -v7
	v_fmac_f32_e32 v6, v2, v5
	buffer_store_dword v7, off, s[0:3], 0 offset:368
	buffer_store_dword v6, off, s[0:3], 0 offset:372
.LBB57_199:
	s_or_b32 exec_lo, exec_lo, s4
	s_waitcnt_vscnt null, 0x0
	s_barrier
	buffer_gl0_inv
	s_clause 0x1
	buffer_load_dword v5, off, s[0:3], 0 offset:376
	buffer_load_dword v6, off, s[0:3], 0 offset:380
	s_mov_b32 s4, exec_lo
	s_waitcnt vmcnt(0)
	ds_write_b64 v4, v[5:6]
	s_waitcnt lgkmcnt(0)
	s_barrier
	buffer_gl0_inv
	v_cmpx_gt_u32_e32 47, v0
	s_cbranch_execz .LBB57_203
; %bb.200:
	v_add_nc_u32_e32 v5, -1, v0
	v_add_nc_u32_e32 v6, 0x1d0, v3
	v_mov_b32_e32 v7, v3
	v_mov_b32_e32 v2, 0
	;; [unrolled: 1-line block ×3, first 2 shown]
	s_mov_b32 s5, 0
	.p2align	6
.LBB57_201:                             ; =>This Inner Loop Header: Depth=1
	s_clause 0x1
	buffer_load_dword v11, v7, s[0:3], 0 offen offset:4
	buffer_load_dword v12, v7, s[0:3], 0 offen
	ds_read_b64 v[9:10], v6
	v_add_nc_u32_e32 v5, 1, v5
	v_add_nc_u32_e32 v6, 8, v6
	;; [unrolled: 1-line block ×3, first 2 shown]
	v_cmp_lt_u32_e32 vcc_lo, 45, v5
	s_or_b32 s5, vcc_lo, s5
	s_waitcnt vmcnt(1) lgkmcnt(0)
	v_mul_f32_e32 v129, v10, v11
	v_mul_f32_e32 v11, v9, v11
	s_waitcnt vmcnt(0)
	v_fma_f32 v9, v9, v12, -v129
	v_fmac_f32_e32 v11, v10, v12
	v_add_f32_e32 v8, v8, v9
	v_add_f32_e32 v2, v2, v11
	s_andn2_b32 exec_lo, exec_lo, s5
	s_cbranch_execnz .LBB57_201
; %bb.202:
	s_or_b32 exec_lo, exec_lo, s5
	v_mov_b32_e32 v5, 0
	ds_read_b64 v[5:6], v5 offset:376
	s_waitcnt lgkmcnt(0)
	v_mul_f32_e32 v7, v2, v6
	v_mul_f32_e32 v6, v8, v6
	v_fma_f32 v7, v8, v5, -v7
	v_fmac_f32_e32 v6, v2, v5
	buffer_store_dword v7, off, s[0:3], 0 offset:376
	buffer_store_dword v6, off, s[0:3], 0 offset:380
.LBB57_203:
	s_or_b32 exec_lo, exec_lo, s4
	s_waitcnt_vscnt null, 0x0
	s_barrier
	buffer_gl0_inv
	s_clause 0x1
	buffer_load_dword v5, off, s[0:3], 0 offset:384
	buffer_load_dword v6, off, s[0:3], 0 offset:388
	s_mov_b32 s4, exec_lo
	s_waitcnt vmcnt(0)
	ds_write_b64 v4, v[5:6]
	s_waitcnt lgkmcnt(0)
	s_barrier
	buffer_gl0_inv
	v_cmpx_gt_u32_e32 48, v0
	s_cbranch_execz .LBB57_207
; %bb.204:
	v_add_nc_u32_e32 v5, -1, v0
	v_add_nc_u32_e32 v6, 0x1d0, v3
	v_mov_b32_e32 v7, v3
	v_mov_b32_e32 v2, 0
	;; [unrolled: 1-line block ×3, first 2 shown]
	s_mov_b32 s5, 0
	.p2align	6
.LBB57_205:                             ; =>This Inner Loop Header: Depth=1
	s_clause 0x1
	buffer_load_dword v11, v7, s[0:3], 0 offen offset:4
	buffer_load_dword v12, v7, s[0:3], 0 offen
	ds_read_b64 v[9:10], v6
	v_add_nc_u32_e32 v5, 1, v5
	v_add_nc_u32_e32 v6, 8, v6
	;; [unrolled: 1-line block ×3, first 2 shown]
	v_cmp_lt_u32_e32 vcc_lo, 46, v5
	s_or_b32 s5, vcc_lo, s5
	s_waitcnt vmcnt(1) lgkmcnt(0)
	v_mul_f32_e32 v129, v10, v11
	v_mul_f32_e32 v11, v9, v11
	s_waitcnt vmcnt(0)
	v_fma_f32 v9, v9, v12, -v129
	v_fmac_f32_e32 v11, v10, v12
	v_add_f32_e32 v8, v8, v9
	v_add_f32_e32 v2, v2, v11
	s_andn2_b32 exec_lo, exec_lo, s5
	s_cbranch_execnz .LBB57_205
; %bb.206:
	s_or_b32 exec_lo, exec_lo, s5
	v_mov_b32_e32 v5, 0
	ds_read_b64 v[5:6], v5 offset:384
	s_waitcnt lgkmcnt(0)
	v_mul_f32_e32 v7, v2, v6
	v_mul_f32_e32 v6, v8, v6
	v_fma_f32 v7, v8, v5, -v7
	v_fmac_f32_e32 v6, v2, v5
	buffer_store_dword v7, off, s[0:3], 0 offset:384
	buffer_store_dword v6, off, s[0:3], 0 offset:388
.LBB57_207:
	s_or_b32 exec_lo, exec_lo, s4
	s_waitcnt_vscnt null, 0x0
	s_barrier
	buffer_gl0_inv
	s_clause 0x1
	buffer_load_dword v5, off, s[0:3], 0 offset:392
	buffer_load_dword v6, off, s[0:3], 0 offset:396
	s_mov_b32 s4, exec_lo
	s_waitcnt vmcnt(0)
	ds_write_b64 v4, v[5:6]
	s_waitcnt lgkmcnt(0)
	s_barrier
	buffer_gl0_inv
	v_cmpx_gt_u32_e32 49, v0
	s_cbranch_execz .LBB57_211
; %bb.208:
	v_add_nc_u32_e32 v5, -1, v0
	v_add_nc_u32_e32 v6, 0x1d0, v3
	v_mov_b32_e32 v7, v3
	v_mov_b32_e32 v2, 0
	;; [unrolled: 1-line block ×3, first 2 shown]
	s_mov_b32 s5, 0
	.p2align	6
.LBB57_209:                             ; =>This Inner Loop Header: Depth=1
	s_clause 0x1
	buffer_load_dword v11, v7, s[0:3], 0 offen offset:4
	buffer_load_dword v12, v7, s[0:3], 0 offen
	ds_read_b64 v[9:10], v6
	v_add_nc_u32_e32 v5, 1, v5
	v_add_nc_u32_e32 v6, 8, v6
	;; [unrolled: 1-line block ×3, first 2 shown]
	v_cmp_lt_u32_e32 vcc_lo, 47, v5
	s_or_b32 s5, vcc_lo, s5
	s_waitcnt vmcnt(1) lgkmcnt(0)
	v_mul_f32_e32 v129, v10, v11
	v_mul_f32_e32 v11, v9, v11
	s_waitcnt vmcnt(0)
	v_fma_f32 v9, v9, v12, -v129
	v_fmac_f32_e32 v11, v10, v12
	v_add_f32_e32 v8, v8, v9
	v_add_f32_e32 v2, v2, v11
	s_andn2_b32 exec_lo, exec_lo, s5
	s_cbranch_execnz .LBB57_209
; %bb.210:
	s_or_b32 exec_lo, exec_lo, s5
	v_mov_b32_e32 v5, 0
	ds_read_b64 v[5:6], v5 offset:392
	s_waitcnt lgkmcnt(0)
	v_mul_f32_e32 v7, v2, v6
	v_mul_f32_e32 v6, v8, v6
	v_fma_f32 v7, v8, v5, -v7
	v_fmac_f32_e32 v6, v2, v5
	buffer_store_dword v7, off, s[0:3], 0 offset:392
	buffer_store_dword v6, off, s[0:3], 0 offset:396
.LBB57_211:
	s_or_b32 exec_lo, exec_lo, s4
	s_waitcnt_vscnt null, 0x0
	s_barrier
	buffer_gl0_inv
	s_clause 0x1
	buffer_load_dword v5, off, s[0:3], 0 offset:400
	buffer_load_dword v6, off, s[0:3], 0 offset:404
	s_mov_b32 s4, exec_lo
	s_waitcnt vmcnt(0)
	ds_write_b64 v4, v[5:6]
	s_waitcnt lgkmcnt(0)
	s_barrier
	buffer_gl0_inv
	v_cmpx_gt_u32_e32 50, v0
	s_cbranch_execz .LBB57_215
; %bb.212:
	v_add_nc_u32_e32 v5, -1, v0
	v_add_nc_u32_e32 v6, 0x1d0, v3
	v_mov_b32_e32 v7, v3
	v_mov_b32_e32 v2, 0
	;; [unrolled: 1-line block ×3, first 2 shown]
	s_mov_b32 s5, 0
	.p2align	6
.LBB57_213:                             ; =>This Inner Loop Header: Depth=1
	s_clause 0x1
	buffer_load_dword v11, v7, s[0:3], 0 offen offset:4
	buffer_load_dword v12, v7, s[0:3], 0 offen
	ds_read_b64 v[9:10], v6
	v_add_nc_u32_e32 v5, 1, v5
	v_add_nc_u32_e32 v6, 8, v6
	;; [unrolled: 1-line block ×3, first 2 shown]
	v_cmp_lt_u32_e32 vcc_lo, 48, v5
	s_or_b32 s5, vcc_lo, s5
	s_waitcnt vmcnt(1) lgkmcnt(0)
	v_mul_f32_e32 v129, v10, v11
	v_mul_f32_e32 v11, v9, v11
	s_waitcnt vmcnt(0)
	v_fma_f32 v9, v9, v12, -v129
	v_fmac_f32_e32 v11, v10, v12
	v_add_f32_e32 v8, v8, v9
	v_add_f32_e32 v2, v2, v11
	s_andn2_b32 exec_lo, exec_lo, s5
	s_cbranch_execnz .LBB57_213
; %bb.214:
	s_or_b32 exec_lo, exec_lo, s5
	v_mov_b32_e32 v5, 0
	ds_read_b64 v[5:6], v5 offset:400
	s_waitcnt lgkmcnt(0)
	v_mul_f32_e32 v7, v2, v6
	v_mul_f32_e32 v6, v8, v6
	v_fma_f32 v7, v8, v5, -v7
	v_fmac_f32_e32 v6, v2, v5
	buffer_store_dword v7, off, s[0:3], 0 offset:400
	buffer_store_dword v6, off, s[0:3], 0 offset:404
.LBB57_215:
	s_or_b32 exec_lo, exec_lo, s4
	s_waitcnt_vscnt null, 0x0
	s_barrier
	buffer_gl0_inv
	s_clause 0x1
	buffer_load_dword v5, off, s[0:3], 0 offset:408
	buffer_load_dword v6, off, s[0:3], 0 offset:412
	s_mov_b32 s4, exec_lo
	s_waitcnt vmcnt(0)
	ds_write_b64 v4, v[5:6]
	s_waitcnt lgkmcnt(0)
	s_barrier
	buffer_gl0_inv
	v_cmpx_gt_u32_e32 51, v0
	s_cbranch_execz .LBB57_219
; %bb.216:
	v_add_nc_u32_e32 v5, -1, v0
	v_add_nc_u32_e32 v6, 0x1d0, v3
	v_mov_b32_e32 v7, v3
	v_mov_b32_e32 v2, 0
	;; [unrolled: 1-line block ×3, first 2 shown]
	s_mov_b32 s5, 0
	.p2align	6
.LBB57_217:                             ; =>This Inner Loop Header: Depth=1
	s_clause 0x1
	buffer_load_dword v11, v7, s[0:3], 0 offen offset:4
	buffer_load_dword v12, v7, s[0:3], 0 offen
	ds_read_b64 v[9:10], v6
	v_add_nc_u32_e32 v5, 1, v5
	v_add_nc_u32_e32 v6, 8, v6
	;; [unrolled: 1-line block ×3, first 2 shown]
	v_cmp_lt_u32_e32 vcc_lo, 49, v5
	s_or_b32 s5, vcc_lo, s5
	s_waitcnt vmcnt(1) lgkmcnt(0)
	v_mul_f32_e32 v129, v10, v11
	v_mul_f32_e32 v11, v9, v11
	s_waitcnt vmcnt(0)
	v_fma_f32 v9, v9, v12, -v129
	v_fmac_f32_e32 v11, v10, v12
	v_add_f32_e32 v8, v8, v9
	v_add_f32_e32 v2, v2, v11
	s_andn2_b32 exec_lo, exec_lo, s5
	s_cbranch_execnz .LBB57_217
; %bb.218:
	s_or_b32 exec_lo, exec_lo, s5
	v_mov_b32_e32 v5, 0
	ds_read_b64 v[5:6], v5 offset:408
	s_waitcnt lgkmcnt(0)
	v_mul_f32_e32 v7, v2, v6
	v_mul_f32_e32 v6, v8, v6
	v_fma_f32 v7, v8, v5, -v7
	v_fmac_f32_e32 v6, v2, v5
	buffer_store_dword v7, off, s[0:3], 0 offset:408
	buffer_store_dword v6, off, s[0:3], 0 offset:412
.LBB57_219:
	s_or_b32 exec_lo, exec_lo, s4
	s_waitcnt_vscnt null, 0x0
	s_barrier
	buffer_gl0_inv
	s_clause 0x1
	buffer_load_dword v5, off, s[0:3], 0 offset:416
	buffer_load_dword v6, off, s[0:3], 0 offset:420
	s_mov_b32 s4, exec_lo
	s_waitcnt vmcnt(0)
	ds_write_b64 v4, v[5:6]
	s_waitcnt lgkmcnt(0)
	s_barrier
	buffer_gl0_inv
	v_cmpx_gt_u32_e32 52, v0
	s_cbranch_execz .LBB57_223
; %bb.220:
	v_add_nc_u32_e32 v5, -1, v0
	v_add_nc_u32_e32 v6, 0x1d0, v3
	v_mov_b32_e32 v7, v3
	v_mov_b32_e32 v2, 0
	;; [unrolled: 1-line block ×3, first 2 shown]
	s_mov_b32 s5, 0
	.p2align	6
.LBB57_221:                             ; =>This Inner Loop Header: Depth=1
	s_clause 0x1
	buffer_load_dword v11, v7, s[0:3], 0 offen offset:4
	buffer_load_dword v12, v7, s[0:3], 0 offen
	ds_read_b64 v[9:10], v6
	v_add_nc_u32_e32 v5, 1, v5
	v_add_nc_u32_e32 v6, 8, v6
	;; [unrolled: 1-line block ×3, first 2 shown]
	v_cmp_lt_u32_e32 vcc_lo, 50, v5
	s_or_b32 s5, vcc_lo, s5
	s_waitcnt vmcnt(1) lgkmcnt(0)
	v_mul_f32_e32 v129, v10, v11
	v_mul_f32_e32 v11, v9, v11
	s_waitcnt vmcnt(0)
	v_fma_f32 v9, v9, v12, -v129
	v_fmac_f32_e32 v11, v10, v12
	v_add_f32_e32 v8, v8, v9
	v_add_f32_e32 v2, v2, v11
	s_andn2_b32 exec_lo, exec_lo, s5
	s_cbranch_execnz .LBB57_221
; %bb.222:
	s_or_b32 exec_lo, exec_lo, s5
	v_mov_b32_e32 v5, 0
	ds_read_b64 v[5:6], v5 offset:416
	s_waitcnt lgkmcnt(0)
	v_mul_f32_e32 v7, v2, v6
	v_mul_f32_e32 v6, v8, v6
	v_fma_f32 v7, v8, v5, -v7
	v_fmac_f32_e32 v6, v2, v5
	buffer_store_dword v7, off, s[0:3], 0 offset:416
	buffer_store_dword v6, off, s[0:3], 0 offset:420
.LBB57_223:
	s_or_b32 exec_lo, exec_lo, s4
	s_waitcnt_vscnt null, 0x0
	s_barrier
	buffer_gl0_inv
	s_clause 0x1
	buffer_load_dword v5, off, s[0:3], 0 offset:424
	buffer_load_dword v6, off, s[0:3], 0 offset:428
	s_mov_b32 s4, exec_lo
	s_waitcnt vmcnt(0)
	ds_write_b64 v4, v[5:6]
	s_waitcnt lgkmcnt(0)
	s_barrier
	buffer_gl0_inv
	v_cmpx_gt_u32_e32 53, v0
	s_cbranch_execz .LBB57_227
; %bb.224:
	v_add_nc_u32_e32 v5, -1, v0
	v_add_nc_u32_e32 v6, 0x1d0, v3
	v_mov_b32_e32 v7, v3
	v_mov_b32_e32 v2, 0
	;; [unrolled: 1-line block ×3, first 2 shown]
	s_mov_b32 s5, 0
	.p2align	6
.LBB57_225:                             ; =>This Inner Loop Header: Depth=1
	s_clause 0x1
	buffer_load_dword v11, v7, s[0:3], 0 offen offset:4
	buffer_load_dword v12, v7, s[0:3], 0 offen
	ds_read_b64 v[9:10], v6
	v_add_nc_u32_e32 v5, 1, v5
	v_add_nc_u32_e32 v6, 8, v6
	;; [unrolled: 1-line block ×3, first 2 shown]
	v_cmp_lt_u32_e32 vcc_lo, 51, v5
	s_or_b32 s5, vcc_lo, s5
	s_waitcnt vmcnt(1) lgkmcnt(0)
	v_mul_f32_e32 v129, v10, v11
	v_mul_f32_e32 v11, v9, v11
	s_waitcnt vmcnt(0)
	v_fma_f32 v9, v9, v12, -v129
	v_fmac_f32_e32 v11, v10, v12
	v_add_f32_e32 v8, v8, v9
	v_add_f32_e32 v2, v2, v11
	s_andn2_b32 exec_lo, exec_lo, s5
	s_cbranch_execnz .LBB57_225
; %bb.226:
	s_or_b32 exec_lo, exec_lo, s5
	v_mov_b32_e32 v5, 0
	ds_read_b64 v[5:6], v5 offset:424
	s_waitcnt lgkmcnt(0)
	v_mul_f32_e32 v7, v2, v6
	v_mul_f32_e32 v6, v8, v6
	v_fma_f32 v7, v8, v5, -v7
	v_fmac_f32_e32 v6, v2, v5
	buffer_store_dword v7, off, s[0:3], 0 offset:424
	buffer_store_dword v6, off, s[0:3], 0 offset:428
.LBB57_227:
	s_or_b32 exec_lo, exec_lo, s4
	s_waitcnt_vscnt null, 0x0
	s_barrier
	buffer_gl0_inv
	s_clause 0x1
	buffer_load_dword v5, off, s[0:3], 0 offset:432
	buffer_load_dword v6, off, s[0:3], 0 offset:436
	s_mov_b32 s4, exec_lo
	s_waitcnt vmcnt(0)
	ds_write_b64 v4, v[5:6]
	s_waitcnt lgkmcnt(0)
	s_barrier
	buffer_gl0_inv
	v_cmpx_gt_u32_e32 54, v0
	s_cbranch_execz .LBB57_231
; %bb.228:
	v_add_nc_u32_e32 v5, -1, v0
	v_add_nc_u32_e32 v6, 0x1d0, v3
	v_mov_b32_e32 v7, v3
	v_mov_b32_e32 v2, 0
	;; [unrolled: 1-line block ×3, first 2 shown]
	s_mov_b32 s5, 0
	.p2align	6
.LBB57_229:                             ; =>This Inner Loop Header: Depth=1
	s_clause 0x1
	buffer_load_dword v11, v7, s[0:3], 0 offen offset:4
	buffer_load_dword v12, v7, s[0:3], 0 offen
	ds_read_b64 v[9:10], v6
	v_add_nc_u32_e32 v5, 1, v5
	v_add_nc_u32_e32 v6, 8, v6
	;; [unrolled: 1-line block ×3, first 2 shown]
	v_cmp_lt_u32_e32 vcc_lo, 52, v5
	s_or_b32 s5, vcc_lo, s5
	s_waitcnt vmcnt(1) lgkmcnt(0)
	v_mul_f32_e32 v129, v10, v11
	v_mul_f32_e32 v11, v9, v11
	s_waitcnt vmcnt(0)
	v_fma_f32 v9, v9, v12, -v129
	v_fmac_f32_e32 v11, v10, v12
	v_add_f32_e32 v8, v8, v9
	v_add_f32_e32 v2, v2, v11
	s_andn2_b32 exec_lo, exec_lo, s5
	s_cbranch_execnz .LBB57_229
; %bb.230:
	s_or_b32 exec_lo, exec_lo, s5
	v_mov_b32_e32 v5, 0
	ds_read_b64 v[5:6], v5 offset:432
	s_waitcnt lgkmcnt(0)
	v_mul_f32_e32 v7, v2, v6
	v_mul_f32_e32 v6, v8, v6
	v_fma_f32 v7, v8, v5, -v7
	v_fmac_f32_e32 v6, v2, v5
	buffer_store_dword v7, off, s[0:3], 0 offset:432
	buffer_store_dword v6, off, s[0:3], 0 offset:436
.LBB57_231:
	s_or_b32 exec_lo, exec_lo, s4
	s_waitcnt_vscnt null, 0x0
	s_barrier
	buffer_gl0_inv
	s_clause 0x1
	buffer_load_dword v5, off, s[0:3], 0 offset:440
	buffer_load_dword v6, off, s[0:3], 0 offset:444
	s_mov_b32 s4, exec_lo
	s_waitcnt vmcnt(0)
	ds_write_b64 v4, v[5:6]
	s_waitcnt lgkmcnt(0)
	s_barrier
	buffer_gl0_inv
	v_cmpx_gt_u32_e32 55, v0
	s_cbranch_execz .LBB57_235
; %bb.232:
	v_add_nc_u32_e32 v5, -1, v0
	v_add_nc_u32_e32 v6, 0x1d0, v3
	v_mov_b32_e32 v7, v3
	v_mov_b32_e32 v2, 0
	;; [unrolled: 1-line block ×3, first 2 shown]
	s_mov_b32 s5, 0
	.p2align	6
.LBB57_233:                             ; =>This Inner Loop Header: Depth=1
	s_clause 0x1
	buffer_load_dword v11, v7, s[0:3], 0 offen offset:4
	buffer_load_dword v12, v7, s[0:3], 0 offen
	ds_read_b64 v[9:10], v6
	v_add_nc_u32_e32 v5, 1, v5
	v_add_nc_u32_e32 v6, 8, v6
	;; [unrolled: 1-line block ×3, first 2 shown]
	v_cmp_lt_u32_e32 vcc_lo, 53, v5
	s_or_b32 s5, vcc_lo, s5
	s_waitcnt vmcnt(1) lgkmcnt(0)
	v_mul_f32_e32 v129, v10, v11
	v_mul_f32_e32 v11, v9, v11
	s_waitcnt vmcnt(0)
	v_fma_f32 v9, v9, v12, -v129
	v_fmac_f32_e32 v11, v10, v12
	v_add_f32_e32 v8, v8, v9
	v_add_f32_e32 v2, v2, v11
	s_andn2_b32 exec_lo, exec_lo, s5
	s_cbranch_execnz .LBB57_233
; %bb.234:
	s_or_b32 exec_lo, exec_lo, s5
	v_mov_b32_e32 v5, 0
	ds_read_b64 v[5:6], v5 offset:440
	s_waitcnt lgkmcnt(0)
	v_mul_f32_e32 v7, v2, v6
	v_mul_f32_e32 v6, v8, v6
	v_fma_f32 v7, v8, v5, -v7
	v_fmac_f32_e32 v6, v2, v5
	buffer_store_dword v7, off, s[0:3], 0 offset:440
	buffer_store_dword v6, off, s[0:3], 0 offset:444
.LBB57_235:
	s_or_b32 exec_lo, exec_lo, s4
	s_waitcnt_vscnt null, 0x0
	s_barrier
	buffer_gl0_inv
	s_clause 0x1
	buffer_load_dword v5, off, s[0:3], 0 offset:448
	buffer_load_dword v6, off, s[0:3], 0 offset:452
	s_mov_b32 s4, exec_lo
	s_waitcnt vmcnt(0)
	ds_write_b64 v4, v[5:6]
	s_waitcnt lgkmcnt(0)
	s_barrier
	buffer_gl0_inv
	v_cmpx_gt_u32_e32 56, v0
	s_cbranch_execz .LBB57_239
; %bb.236:
	v_add_nc_u32_e32 v5, -1, v0
	v_add_nc_u32_e32 v6, 0x1d0, v3
	v_mov_b32_e32 v7, v3
	v_mov_b32_e32 v2, 0
	;; [unrolled: 1-line block ×3, first 2 shown]
	s_mov_b32 s5, 0
	.p2align	6
.LBB57_237:                             ; =>This Inner Loop Header: Depth=1
	s_clause 0x1
	buffer_load_dword v11, v7, s[0:3], 0 offen offset:4
	buffer_load_dword v12, v7, s[0:3], 0 offen
	ds_read_b64 v[9:10], v6
	v_add_nc_u32_e32 v5, 1, v5
	v_add_nc_u32_e32 v6, 8, v6
	v_add_nc_u32_e32 v7, 8, v7
	v_cmp_lt_u32_e32 vcc_lo, 54, v5
	s_or_b32 s5, vcc_lo, s5
	s_waitcnt vmcnt(1) lgkmcnt(0)
	v_mul_f32_e32 v129, v10, v11
	v_mul_f32_e32 v11, v9, v11
	s_waitcnt vmcnt(0)
	v_fma_f32 v9, v9, v12, -v129
	v_fmac_f32_e32 v11, v10, v12
	v_add_f32_e32 v8, v8, v9
	v_add_f32_e32 v2, v2, v11
	s_andn2_b32 exec_lo, exec_lo, s5
	s_cbranch_execnz .LBB57_237
; %bb.238:
	s_or_b32 exec_lo, exec_lo, s5
	v_mov_b32_e32 v5, 0
	ds_read_b64 v[5:6], v5 offset:448
	s_waitcnt lgkmcnt(0)
	v_mul_f32_e32 v7, v2, v6
	v_mul_f32_e32 v6, v8, v6
	v_fma_f32 v7, v8, v5, -v7
	v_fmac_f32_e32 v6, v2, v5
	buffer_store_dword v7, off, s[0:3], 0 offset:448
	buffer_store_dword v6, off, s[0:3], 0 offset:452
.LBB57_239:
	s_or_b32 exec_lo, exec_lo, s4
	s_waitcnt_vscnt null, 0x0
	s_barrier
	buffer_gl0_inv
	s_clause 0x1
	buffer_load_dword v5, off, s[0:3], 0 offset:456
	buffer_load_dword v6, off, s[0:3], 0 offset:460
	s_mov_b32 s4, exec_lo
	s_waitcnt vmcnt(0)
	ds_write_b64 v4, v[5:6]
	s_waitcnt lgkmcnt(0)
	s_barrier
	buffer_gl0_inv
	v_cmpx_ne_u32_e32 57, v0
	s_cbranch_execz .LBB57_243
; %bb.240:
	v_mov_b32_e32 v2, 0
	v_mov_b32_e32 v5, 0
	s_mov_b32 s5, 0
	.p2align	6
.LBB57_241:                             ; =>This Inner Loop Header: Depth=1
	s_clause 0x1
	buffer_load_dword v8, v3, s[0:3], 0 offen offset:4
	buffer_load_dword v9, v3, s[0:3], 0 offen
	ds_read_b64 v[6:7], v4
	v_add_nc_u32_e32 v1, 1, v1
	v_add_nc_u32_e32 v4, 8, v4
	;; [unrolled: 1-line block ×3, first 2 shown]
	v_cmp_lt_u32_e32 vcc_lo, 55, v1
	s_or_b32 s5, vcc_lo, s5
	s_waitcnt vmcnt(1) lgkmcnt(0)
	v_mul_f32_e32 v10, v7, v8
	v_mul_f32_e32 v8, v6, v8
	s_waitcnt vmcnt(0)
	v_fma_f32 v6, v6, v9, -v10
	v_fmac_f32_e32 v8, v7, v9
	v_add_f32_e32 v5, v5, v6
	v_add_f32_e32 v2, v2, v8
	s_andn2_b32 exec_lo, exec_lo, s5
	s_cbranch_execnz .LBB57_241
; %bb.242:
	s_or_b32 exec_lo, exec_lo, s5
	v_mov_b32_e32 v1, 0
	ds_read_b64 v[3:4], v1 offset:456
	s_waitcnt lgkmcnt(0)
	v_mul_f32_e32 v1, v2, v4
	v_mul_f32_e32 v4, v5, v4
	v_fma_f32 v1, v5, v3, -v1
	v_fmac_f32_e32 v4, v2, v3
	buffer_store_dword v1, off, s[0:3], 0 offset:456
	buffer_store_dword v4, off, s[0:3], 0 offset:460
.LBB57_243:
	s_or_b32 exec_lo, exec_lo, s4
	s_mov_b32 s5, -1
	s_waitcnt_vscnt null, 0x0
	s_barrier
	buffer_gl0_inv
.LBB57_244:
	s_and_b32 vcc_lo, exec_lo, s5
	s_cbranch_vccz .LBB57_246
; %bb.245:
	s_lshl_b64 s[4:5], s[6:7], 2
	v_mov_b32_e32 v1, 0
	s_add_u32 s4, s10, s4
	s_addc_u32 s5, s11, s5
	global_load_dword v1, v1, s[4:5]
	s_waitcnt vmcnt(0)
	v_cmp_ne_u32_e32 vcc_lo, 0, v1
	s_cbranch_vccz .LBB57_247
.LBB57_246:
	s_endpgm
.LBB57_247:
	v_lshl_add_u32 v129, v0, 3, 0x1d0
	s_mov_b32 s4, exec_lo
	v_cmpx_eq_u32_e32 57, v0
	s_cbranch_execz .LBB57_249
; %bb.248:
	s_clause 0x1
	buffer_load_dword v1, off, s[0:3], 0 offset:448
	buffer_load_dword v2, off, s[0:3], 0 offset:452
	v_mov_b32_e32 v3, 0
	buffer_store_dword v3, off, s[0:3], 0 offset:448
	buffer_store_dword v3, off, s[0:3], 0 offset:452
	s_waitcnt vmcnt(0)
	ds_write_b64 v129, v[1:2]
.LBB57_249:
	s_or_b32 exec_lo, exec_lo, s4
	s_waitcnt lgkmcnt(0)
	s_waitcnt_vscnt null, 0x0
	s_barrier
	buffer_gl0_inv
	s_clause 0x3
	buffer_load_dword v4, off, s[0:3], 0 offset:460
	buffer_load_dword v5, off, s[0:3], 0 offset:456
	;; [unrolled: 1-line block ×4, first 2 shown]
	v_mov_b32_e32 v1, 0
	s_mov_b32 s4, exec_lo
	ds_read_b64 v[2:3], v1 offset:920
	s_waitcnt vmcnt(3) lgkmcnt(0)
	v_mul_f32_e32 v8, v3, v4
	v_mul_f32_e32 v4, v2, v4
	s_waitcnt vmcnt(2)
	v_fma_f32 v2, v2, v5, -v8
	v_fmac_f32_e32 v4, v3, v5
	v_add_f32_e32 v2, 0, v2
	v_add_f32_e32 v3, 0, v4
	s_waitcnt vmcnt(1)
	v_sub_f32_e32 v2, v6, v2
	s_waitcnt vmcnt(0)
	v_sub_f32_e32 v3, v7, v3
	buffer_store_dword v2, off, s[0:3], 0 offset:448
	buffer_store_dword v3, off, s[0:3], 0 offset:452
	v_cmpx_lt_u32_e32 55, v0
	s_cbranch_execz .LBB57_251
; %bb.250:
	s_clause 0x1
	buffer_load_dword v2, off, s[0:3], 0 offset:440
	buffer_load_dword v3, off, s[0:3], 0 offset:444
	buffer_store_dword v1, off, s[0:3], 0 offset:440
	buffer_store_dword v1, off, s[0:3], 0 offset:444
	s_waitcnt vmcnt(0)
	ds_write_b64 v129, v[2:3]
.LBB57_251:
	s_or_b32 exec_lo, exec_lo, s4
	s_waitcnt lgkmcnt(0)
	s_waitcnt_vscnt null, 0x0
	s_barrier
	buffer_gl0_inv
	s_clause 0x5
	buffer_load_dword v5, off, s[0:3], 0 offset:452
	buffer_load_dword v6, off, s[0:3], 0 offset:460
	;; [unrolled: 1-line block ×6, first 2 shown]
	ds_read_b128 v[1:4], v1 offset:912
	s_mov_b32 s4, exec_lo
	s_waitcnt vmcnt(5) lgkmcnt(0)
	v_mul_f32_e32 v11, v2, v5
	v_mul_f32_e32 v5, v1, v5
	s_waitcnt vmcnt(4)
	v_mul_f32_e32 v12, v3, v6
	v_mul_f32_e32 v6, v4, v6
	s_waitcnt vmcnt(3)
	v_fma_f32 v1, v1, v7, -v11
	v_fmac_f32_e32 v5, v2, v7
	s_waitcnt vmcnt(2)
	v_fmac_f32_e32 v12, v4, v8
	v_fma_f32 v2, v3, v8, -v6
	v_add_f32_e32 v1, 0, v1
	v_add_f32_e32 v3, 0, v5
	;; [unrolled: 1-line block ×4, first 2 shown]
	s_waitcnt vmcnt(1)
	v_sub_f32_e32 v1, v9, v1
	s_waitcnt vmcnt(0)
	v_sub_f32_e32 v2, v10, v2
	buffer_store_dword v1, off, s[0:3], 0 offset:440
	buffer_store_dword v2, off, s[0:3], 0 offset:444
	v_cmpx_lt_u32_e32 54, v0
	s_cbranch_execz .LBB57_253
; %bb.252:
	s_clause 0x1
	buffer_load_dword v1, off, s[0:3], 0 offset:432
	buffer_load_dword v2, off, s[0:3], 0 offset:436
	v_mov_b32_e32 v3, 0
	buffer_store_dword v3, off, s[0:3], 0 offset:432
	buffer_store_dword v3, off, s[0:3], 0 offset:436
	s_waitcnt vmcnt(0)
	ds_write_b64 v129, v[1:2]
.LBB57_253:
	s_or_b32 exec_lo, exec_lo, s4
	s_waitcnt lgkmcnt(0)
	s_waitcnt_vscnt null, 0x0
	s_barrier
	buffer_gl0_inv
	s_clause 0x7
	buffer_load_dword v8, off, s[0:3], 0 offset:444
	buffer_load_dword v9, off, s[0:3], 0 offset:452
	;; [unrolled: 1-line block ×8, first 2 shown]
	v_mov_b32_e32 v1, 0
	ds_read2_b64 v[2:5], v1 offset0:113 offset1:114
	ds_read_b64 v[6:7], v1 offset:920
	s_mov_b32 s4, exec_lo
	s_waitcnt vmcnt(7) lgkmcnt(1)
	v_mul_f32_e32 v133, v3, v8
	v_mul_f32_e32 v8, v2, v8
	s_waitcnt vmcnt(6)
	v_mul_f32_e32 v134, v4, v9
	v_mul_f32_e32 v9, v5, v9
	s_waitcnt vmcnt(5) lgkmcnt(0)
	v_mul_f32_e32 v135, v6, v10
	s_waitcnt vmcnt(4)
	v_fma_f32 v2, v2, v11, -v133
	v_fmac_f32_e32 v8, v3, v11
	v_mul_f32_e32 v3, v7, v10
	s_waitcnt vmcnt(3)
	v_fma_f32 v4, v4, v12, -v9
	v_fmac_f32_e32 v134, v5, v12
	v_add_f32_e32 v2, 0, v2
	v_add_f32_e32 v5, 0, v8
	s_waitcnt vmcnt(2)
	v_fma_f32 v3, v6, v130, -v3
	v_fmac_f32_e32 v135, v7, v130
	v_add_f32_e32 v2, v2, v4
	v_add_f32_e32 v4, v5, v134
	;; [unrolled: 1-line block ×4, first 2 shown]
	s_waitcnt vmcnt(1)
	v_sub_f32_e32 v2, v131, v2
	s_waitcnt vmcnt(0)
	v_sub_f32_e32 v3, v132, v3
	buffer_store_dword v2, off, s[0:3], 0 offset:432
	buffer_store_dword v3, off, s[0:3], 0 offset:436
	v_cmpx_lt_u32_e32 53, v0
	s_cbranch_execz .LBB57_255
; %bb.254:
	s_clause 0x1
	buffer_load_dword v2, off, s[0:3], 0 offset:424
	buffer_load_dword v3, off, s[0:3], 0 offset:428
	buffer_store_dword v1, off, s[0:3], 0 offset:424
	buffer_store_dword v1, off, s[0:3], 0 offset:428
	s_waitcnt vmcnt(0)
	ds_write_b64 v129, v[2:3]
.LBB57_255:
	s_or_b32 exec_lo, exec_lo, s4
	s_waitcnt lgkmcnt(0)
	s_waitcnt_vscnt null, 0x0
	s_barrier
	buffer_gl0_inv
	s_clause 0x9
	buffer_load_dword v10, off, s[0:3], 0 offset:436
	buffer_load_dword v11, off, s[0:3], 0 offset:444
	;; [unrolled: 1-line block ×10, first 2 shown]
	ds_read_b128 v[2:5], v1 offset:896
	ds_read_b128 v[6:9], v1 offset:912
	s_mov_b32 s4, exec_lo
	s_waitcnt vmcnt(9) lgkmcnt(1)
	v_mul_f32_e32 v1, v2, v10
	v_mul_f32_e32 v10, v3, v10
	s_waitcnt vmcnt(8)
	v_mul_f32_e32 v137, v4, v11
	v_mul_f32_e32 v11, v5, v11
	s_waitcnt vmcnt(7) lgkmcnt(0)
	v_mul_f32_e32 v138, v6, v12
	s_waitcnt vmcnt(5)
	v_fmac_f32_e32 v1, v3, v131
	v_fma_f32 v2, v2, v131, -v10
	v_mul_f32_e32 v3, v7, v12
	s_waitcnt vmcnt(4)
	v_fma_f32 v4, v4, v132, -v11
	v_fmac_f32_e32 v137, v5, v132
	v_add_f32_e32 v1, 0, v1
	v_add_f32_e32 v2, 0, v2
	v_mul_f32_e32 v5, v9, v130
	s_waitcnt vmcnt(3)
	v_fma_f32 v3, v6, v133, -v3
	v_mul_f32_e32 v139, v8, v130
	v_fmac_f32_e32 v138, v7, v133
	v_add_f32_e32 v2, v2, v4
	v_add_f32_e32 v1, v1, v137
	s_waitcnt vmcnt(2)
	v_fma_f32 v4, v8, v134, -v5
	v_fmac_f32_e32 v139, v9, v134
	v_add_f32_e32 v2, v2, v3
	v_add_f32_e32 v1, v1, v138
	;; [unrolled: 1-line block ×4, first 2 shown]
	s_waitcnt vmcnt(1)
	v_sub_f32_e32 v2, v135, v2
	s_waitcnt vmcnt(0)
	v_sub_f32_e32 v1, v136, v1
	buffer_store_dword v2, off, s[0:3], 0 offset:424
	buffer_store_dword v1, off, s[0:3], 0 offset:428
	v_cmpx_lt_u32_e32 52, v0
	s_cbranch_execz .LBB57_257
; %bb.256:
	s_clause 0x1
	buffer_load_dword v1, off, s[0:3], 0 offset:416
	buffer_load_dword v2, off, s[0:3], 0 offset:420
	v_mov_b32_e32 v3, 0
	buffer_store_dword v3, off, s[0:3], 0 offset:416
	buffer_store_dword v3, off, s[0:3], 0 offset:420
	s_waitcnt vmcnt(0)
	ds_write_b64 v129, v[1:2]
.LBB57_257:
	s_or_b32 exec_lo, exec_lo, s4
	s_waitcnt lgkmcnt(0)
	s_waitcnt_vscnt null, 0x0
	s_barrier
	buffer_gl0_inv
	s_clause 0xb
	buffer_load_dword v12, off, s[0:3], 0 offset:428
	buffer_load_dword v130, off, s[0:3], 0 offset:436
	;; [unrolled: 1-line block ×12, first 2 shown]
	v_mov_b32_e32 v1, 0
	ds_read2_b64 v[2:5], v1 offset0:111 offset1:112
	ds_read2_b64 v[6:9], v1 offset0:113 offset1:114
	ds_read_b64 v[10:11], v1 offset:920
	s_mov_b32 s4, exec_lo
	s_waitcnt vmcnt(11) lgkmcnt(2)
	v_mul_f32_e32 v141, v2, v12
	v_mul_f32_e32 v12, v3, v12
	s_waitcnt vmcnt(10)
	v_mul_f32_e32 v142, v4, v130
	v_mul_f32_e32 v130, v5, v130
	s_waitcnt vmcnt(9) lgkmcnt(1)
	v_mul_f32_e32 v143, v6, v131
	s_waitcnt vmcnt(6)
	v_fmac_f32_e32 v141, v3, v134
	v_fma_f32 v2, v2, v134, -v12
	v_mul_f32_e32 v3, v7, v131
	s_waitcnt vmcnt(5)
	v_fma_f32 v4, v4, v135, -v130
	v_fmac_f32_e32 v142, v5, v135
	v_add_f32_e32 v5, 0, v141
	v_add_f32_e32 v2, 0, v2
	v_mul_f32_e32 v12, v9, v132
	s_waitcnt vmcnt(4)
	v_fma_f32 v3, v6, v136, -v3
	v_mul_f32_e32 v144, v8, v132
	v_fmac_f32_e32 v143, v7, v136
	v_add_f32_e32 v2, v2, v4
	v_add_f32_e32 v4, v5, v142
	s_waitcnt lgkmcnt(0)
	v_mul_f32_e32 v5, v11, v133
	s_waitcnt vmcnt(3)
	v_fma_f32 v6, v8, v137, -v12
	v_mul_f32_e32 v145, v10, v133
	v_add_f32_e32 v2, v2, v3
	v_fmac_f32_e32 v144, v9, v137
	v_add_f32_e32 v3, v4, v143
	s_waitcnt vmcnt(2)
	v_fma_f32 v4, v10, v138, -v5
	v_fmac_f32_e32 v145, v11, v138
	v_add_f32_e32 v2, v2, v6
	v_add_f32_e32 v3, v3, v144
	;; [unrolled: 1-line block ×4, first 2 shown]
	s_waitcnt vmcnt(1)
	v_sub_f32_e32 v2, v139, v2
	s_waitcnt vmcnt(0)
	v_sub_f32_e32 v3, v140, v3
	buffer_store_dword v2, off, s[0:3], 0 offset:416
	buffer_store_dword v3, off, s[0:3], 0 offset:420
	v_cmpx_lt_u32_e32 51, v0
	s_cbranch_execz .LBB57_259
; %bb.258:
	s_clause 0x1
	buffer_load_dword v2, off, s[0:3], 0 offset:408
	buffer_load_dword v3, off, s[0:3], 0 offset:412
	buffer_store_dword v1, off, s[0:3], 0 offset:408
	buffer_store_dword v1, off, s[0:3], 0 offset:412
	s_waitcnt vmcnt(0)
	ds_write_b64 v129, v[2:3]
.LBB57_259:
	s_or_b32 exec_lo, exec_lo, s4
	s_waitcnt lgkmcnt(0)
	s_waitcnt_vscnt null, 0x0
	s_barrier
	buffer_gl0_inv
	s_clause 0xd
	buffer_load_dword v10, off, s[0:3], 0 offset:420
	buffer_load_dword v11, off, s[0:3], 0 offset:428
	;; [unrolled: 1-line block ×14, first 2 shown]
	ds_read_b128 v[2:5], v1 offset:880
	ds_read_b128 v[6:9], v1 offset:896
	;; [unrolled: 1-line block ×3, first 2 shown]
	s_mov_b32 s4, exec_lo
	s_waitcnt vmcnt(13) lgkmcnt(2)
	v_mul_f32_e32 v1, v2, v10
	v_mul_f32_e32 v10, v3, v10
	s_waitcnt vmcnt(12)
	v_mul_f32_e32 v145, v4, v11
	v_mul_f32_e32 v11, v5, v11
	s_waitcnt vmcnt(11) lgkmcnt(1)
	v_mul_f32_e32 v146, v6, v12
	s_waitcnt vmcnt(10)
	v_mul_f32_e32 v147, v8, v134
	s_waitcnt vmcnt(7)
	v_fma_f32 v2, v2, v137, -v10
	v_fmac_f32_e32 v1, v3, v137
	v_mul_f32_e32 v3, v7, v12
	s_waitcnt vmcnt(6)
	v_fma_f32 v4, v4, v138, -v11
	v_fmac_f32_e32 v145, v5, v138
	v_add_f32_e32 v2, 0, v2
	v_add_f32_e32 v1, 0, v1
	v_mul_f32_e32 v5, v9, v134
	s_waitcnt vmcnt(5)
	v_fma_f32 v3, v6, v139, -v3
	v_fmac_f32_e32 v146, v7, v139
	v_add_f32_e32 v2, v2, v4
	v_add_f32_e32 v1, v1, v145
	s_waitcnt lgkmcnt(0)
	v_mul_f32_e32 v4, v131, v135
	s_waitcnt vmcnt(4)
	v_fma_f32 v5, v8, v140, -v5
	v_mul_f32_e32 v148, v130, v135
	v_add_f32_e32 v2, v2, v3
	v_fmac_f32_e32 v147, v9, v140
	v_add_f32_e32 v1, v1, v146
	v_mul_f32_e32 v3, v133, v136
	s_waitcnt vmcnt(3)
	v_fma_f32 v4, v130, v141, -v4
	v_add_f32_e32 v2, v2, v5
	v_mul_f32_e32 v149, v132, v136
	v_fmac_f32_e32 v148, v131, v141
	v_add_f32_e32 v1, v1, v147
	s_waitcnt vmcnt(2)
	v_fma_f32 v3, v132, v142, -v3
	v_add_f32_e32 v2, v2, v4
	v_fmac_f32_e32 v149, v133, v142
	v_add_f32_e32 v1, v1, v148
	v_add_f32_e32 v2, v2, v3
	;; [unrolled: 1-line block ×3, first 2 shown]
	s_waitcnt vmcnt(1)
	v_sub_f32_e32 v2, v143, v2
	s_waitcnt vmcnt(0)
	v_sub_f32_e32 v1, v144, v1
	buffer_store_dword v2, off, s[0:3], 0 offset:408
	buffer_store_dword v1, off, s[0:3], 0 offset:412
	v_cmpx_lt_u32_e32 50, v0
	s_cbranch_execz .LBB57_261
; %bb.260:
	s_clause 0x1
	buffer_load_dword v1, off, s[0:3], 0 offset:400
	buffer_load_dword v2, off, s[0:3], 0 offset:404
	v_mov_b32_e32 v3, 0
	buffer_store_dword v3, off, s[0:3], 0 offset:400
	buffer_store_dword v3, off, s[0:3], 0 offset:404
	s_waitcnt vmcnt(0)
	ds_write_b64 v129, v[1:2]
.LBB57_261:
	s_or_b32 exec_lo, exec_lo, s4
	s_waitcnt lgkmcnt(0)
	s_waitcnt_vscnt null, 0x0
	s_barrier
	buffer_gl0_inv
	s_clause 0xf
	buffer_load_dword v12, off, s[0:3], 0 offset:412
	buffer_load_dword v134, off, s[0:3], 0 offset:420
	;; [unrolled: 1-line block ×16, first 2 shown]
	v_mov_b32_e32 v1, 0
	ds_read2_b64 v[2:5], v1 offset0:109 offset1:110
	ds_read2_b64 v[6:9], v1 offset0:111 offset1:112
	;; [unrolled: 1-line block ×3, first 2 shown]
	ds_read_b64 v[10:11], v1 offset:920
	s_mov_b32 s4, exec_lo
	s_waitcnt vmcnt(15) lgkmcnt(3)
	v_mul_f32_e32 v149, v2, v12
	v_mul_f32_e32 v12, v3, v12
	s_waitcnt vmcnt(14)
	v_mul_f32_e32 v150, v4, v134
	v_mul_f32_e32 v134, v5, v134
	s_waitcnt vmcnt(13) lgkmcnt(2)
	v_mul_f32_e32 v151, v6, v135
	s_waitcnt vmcnt(12)
	v_mul_f32_e32 v152, v8, v136
	s_waitcnt vmcnt(11) lgkmcnt(1)
	v_mul_f32_e32 v153, v130, v137
	s_waitcnt vmcnt(8)
	v_fma_f32 v2, v2, v140, -v12
	v_fmac_f32_e32 v149, v3, v140
	v_mul_f32_e32 v3, v7, v135
	s_waitcnt vmcnt(7)
	v_fma_f32 v4, v4, v141, -v134
	v_fmac_f32_e32 v150, v5, v141
	v_add_f32_e32 v2, 0, v2
	v_add_f32_e32 v5, 0, v149
	v_mul_f32_e32 v12, v9, v136
	s_waitcnt vmcnt(6)
	v_fma_f32 v3, v6, v142, -v3
	v_fmac_f32_e32 v151, v7, v142
	v_add_f32_e32 v2, v2, v4
	v_add_f32_e32 v4, v5, v150
	;; [unrolled: 6-line block ×3, first 2 shown]
	v_mul_f32_e32 v4, v133, v138
	s_waitcnt vmcnt(4)
	v_fma_f32 v5, v130, v144, -v5
	v_mul_f32_e32 v154, v132, v138
	v_add_f32_e32 v2, v2, v6
	v_fmac_f32_e32 v153, v131, v144
	v_add_f32_e32 v3, v3, v152
	s_waitcnt lgkmcnt(0)
	v_mul_f32_e32 v6, v11, v139
	s_waitcnt vmcnt(3)
	v_fma_f32 v4, v132, v145, -v4
	v_add_f32_e32 v2, v2, v5
	v_mul_f32_e32 v155, v10, v139
	v_fmac_f32_e32 v154, v133, v145
	v_add_f32_e32 v3, v3, v153
	s_waitcnt vmcnt(2)
	v_fma_f32 v5, v10, v146, -v6
	v_add_f32_e32 v2, v2, v4
	v_fmac_f32_e32 v155, v11, v146
	v_add_f32_e32 v3, v3, v154
	v_add_f32_e32 v2, v2, v5
	v_add_f32_e32 v3, v3, v155
	s_waitcnt vmcnt(1)
	v_sub_f32_e32 v2, v147, v2
	s_waitcnt vmcnt(0)
	v_sub_f32_e32 v3, v148, v3
	buffer_store_dword v2, off, s[0:3], 0 offset:400
	buffer_store_dword v3, off, s[0:3], 0 offset:404
	v_cmpx_lt_u32_e32 49, v0
	s_cbranch_execz .LBB57_263
; %bb.262:
	s_clause 0x1
	buffer_load_dword v2, off, s[0:3], 0 offset:392
	buffer_load_dword v3, off, s[0:3], 0 offset:396
	buffer_store_dword v1, off, s[0:3], 0 offset:392
	buffer_store_dword v1, off, s[0:3], 0 offset:396
	s_waitcnt vmcnt(0)
	ds_write_b64 v129, v[2:3]
.LBB57_263:
	s_or_b32 exec_lo, exec_lo, s4
	s_waitcnt lgkmcnt(0)
	s_waitcnt_vscnt null, 0x0
	s_barrier
	buffer_gl0_inv
	s_clause 0x11
	buffer_load_dword v10, off, s[0:3], 0 offset:404
	buffer_load_dword v11, off, s[0:3], 0 offset:412
	;; [unrolled: 1-line block ×18, first 2 shown]
	ds_read_b128 v[2:5], v1 offset:864
	ds_read_b128 v[6:9], v1 offset:880
	;; [unrolled: 1-line block ×4, first 2 shown]
	s_mov_b32 s4, exec_lo
	s_waitcnt vmcnt(17) lgkmcnt(3)
	v_mul_f32_e32 v1, v2, v10
	v_mul_f32_e32 v10, v3, v10
	s_waitcnt vmcnt(16)
	v_mul_f32_e32 v153, v4, v11
	v_mul_f32_e32 v11, v5, v11
	s_waitcnt vmcnt(15) lgkmcnt(2)
	v_mul_f32_e32 v154, v6, v12
	s_waitcnt vmcnt(14)
	v_mul_f32_e32 v155, v8, v138
	s_waitcnt vmcnt(13) lgkmcnt(1)
	v_mul_f32_e32 v156, v130, v139
	s_waitcnt vmcnt(12)
	v_mul_f32_e32 v157, v132, v140
	s_waitcnt vmcnt(9)
	v_fma_f32 v2, v2, v143, -v10
	v_fmac_f32_e32 v1, v3, v143
	v_mul_f32_e32 v3, v7, v12
	s_waitcnt vmcnt(8)
	v_fma_f32 v4, v4, v144, -v11
	v_fmac_f32_e32 v153, v5, v144
	v_add_f32_e32 v2, 0, v2
	v_add_f32_e32 v1, 0, v1
	v_mul_f32_e32 v5, v9, v138
	s_waitcnt vmcnt(7)
	v_fma_f32 v3, v6, v145, -v3
	v_fmac_f32_e32 v154, v7, v145
	v_add_f32_e32 v2, v2, v4
	v_add_f32_e32 v1, v1, v153
	;; [unrolled: 6-line block ×4, first 2 shown]
	s_waitcnt lgkmcnt(0)
	v_mul_f32_e32 v5, v135, v141
	s_waitcnt vmcnt(4)
	v_fma_f32 v3, v132, v148, -v3
	v_mul_f32_e32 v158, v134, v141
	v_add_f32_e32 v2, v2, v4
	v_fmac_f32_e32 v157, v133, v148
	v_add_f32_e32 v1, v1, v156
	v_mul_f32_e32 v4, v137, v142
	s_waitcnt vmcnt(3)
	v_fma_f32 v5, v134, v149, -v5
	v_add_f32_e32 v2, v2, v3
	v_mul_f32_e32 v159, v136, v142
	v_fmac_f32_e32 v158, v135, v149
	v_add_f32_e32 v1, v1, v157
	s_waitcnt vmcnt(2)
	v_fma_f32 v3, v136, v150, -v4
	v_add_f32_e32 v2, v2, v5
	v_fmac_f32_e32 v159, v137, v150
	v_add_f32_e32 v1, v1, v158
	v_add_f32_e32 v2, v2, v3
	;; [unrolled: 1-line block ×3, first 2 shown]
	s_waitcnt vmcnt(1)
	v_sub_f32_e32 v2, v151, v2
	s_waitcnt vmcnt(0)
	v_sub_f32_e32 v1, v152, v1
	buffer_store_dword v2, off, s[0:3], 0 offset:392
	buffer_store_dword v1, off, s[0:3], 0 offset:396
	v_cmpx_lt_u32_e32 48, v0
	s_cbranch_execz .LBB57_265
; %bb.264:
	s_clause 0x1
	buffer_load_dword v1, off, s[0:3], 0 offset:384
	buffer_load_dword v2, off, s[0:3], 0 offset:388
	v_mov_b32_e32 v3, 0
	buffer_store_dword v3, off, s[0:3], 0 offset:384
	buffer_store_dword v3, off, s[0:3], 0 offset:388
	s_waitcnt vmcnt(0)
	ds_write_b64 v129, v[1:2]
.LBB57_265:
	s_or_b32 exec_lo, exec_lo, s4
	s_waitcnt lgkmcnt(0)
	s_waitcnt_vscnt null, 0x0
	s_barrier
	buffer_gl0_inv
	s_clause 0x13
	buffer_load_dword v12, off, s[0:3], 0 offset:396
	buffer_load_dword v138, off, s[0:3], 0 offset:404
	;; [unrolled: 1-line block ×20, first 2 shown]
	v_mov_b32_e32 v1, 0
	ds_read2_b64 v[2:5], v1 offset0:107 offset1:108
	ds_read2_b64 v[6:9], v1 offset0:109 offset1:110
	;; [unrolled: 1-line block ×4, first 2 shown]
	ds_read_b64 v[10:11], v1 offset:920
	s_mov_b32 s4, exec_lo
	s_waitcnt vmcnt(19) lgkmcnt(4)
	v_mul_f32_e32 v157, v2, v12
	v_mul_f32_e32 v12, v3, v12
	s_waitcnt vmcnt(18)
	v_mul_f32_e32 v158, v4, v138
	v_mul_f32_e32 v138, v5, v138
	s_waitcnt vmcnt(17) lgkmcnt(3)
	v_mul_f32_e32 v159, v6, v139
	s_waitcnt vmcnt(16)
	v_mul_f32_e32 v160, v8, v140
	s_waitcnt vmcnt(15) lgkmcnt(2)
	v_mul_f32_e32 v161, v130, v141
	s_waitcnt vmcnt(14)
	;; [unrolled: 4-line block ×3, first 2 shown]
	v_fma_f32 v2, v2, v146, -v12
	v_fmac_f32_e32 v157, v3, v146
	v_mul_f32_e32 v3, v7, v139
	s_waitcnt vmcnt(9)
	v_fma_f32 v4, v4, v147, -v138
	v_fmac_f32_e32 v158, v5, v147
	v_add_f32_e32 v2, 0, v2
	v_add_f32_e32 v5, 0, v157
	v_mul_f32_e32 v12, v9, v140
	s_waitcnt vmcnt(8)
	v_fma_f32 v3, v6, v148, -v3
	v_fmac_f32_e32 v159, v7, v148
	v_add_f32_e32 v2, v2, v4
	v_add_f32_e32 v4, v5, v158
	;; [unrolled: 6-line block ×5, first 2 shown]
	v_mul_f32_e32 v5, v137, v144
	s_waitcnt vmcnt(4)
	v_fma_f32 v6, v134, v152, -v6
	v_mul_f32_e32 v164, v136, v144
	v_add_f32_e32 v2, v2, v4
	v_fmac_f32_e32 v163, v135, v152
	v_add_f32_e32 v3, v3, v162
	s_waitcnt lgkmcnt(0)
	v_mul_f32_e32 v4, v11, v145
	s_waitcnt vmcnt(3)
	v_fma_f32 v5, v136, v153, -v5
	v_add_f32_e32 v2, v2, v6
	v_mul_f32_e32 v165, v10, v145
	v_fmac_f32_e32 v164, v137, v153
	v_add_f32_e32 v3, v3, v163
	s_waitcnt vmcnt(2)
	v_fma_f32 v4, v10, v154, -v4
	v_add_f32_e32 v2, v2, v5
	v_fmac_f32_e32 v165, v11, v154
	v_add_f32_e32 v3, v3, v164
	v_add_f32_e32 v2, v2, v4
	;; [unrolled: 1-line block ×3, first 2 shown]
	s_waitcnt vmcnt(1)
	v_sub_f32_e32 v2, v155, v2
	s_waitcnt vmcnt(0)
	v_sub_f32_e32 v3, v156, v3
	buffer_store_dword v2, off, s[0:3], 0 offset:384
	buffer_store_dword v3, off, s[0:3], 0 offset:388
	v_cmpx_lt_u32_e32 47, v0
	s_cbranch_execz .LBB57_267
; %bb.266:
	s_clause 0x1
	buffer_load_dword v2, off, s[0:3], 0 offset:376
	buffer_load_dword v3, off, s[0:3], 0 offset:380
	buffer_store_dword v1, off, s[0:3], 0 offset:376
	buffer_store_dword v1, off, s[0:3], 0 offset:380
	s_waitcnt vmcnt(0)
	ds_write_b64 v129, v[2:3]
.LBB57_267:
	s_or_b32 exec_lo, exec_lo, s4
	s_waitcnt lgkmcnt(0)
	s_waitcnt_vscnt null, 0x0
	s_barrier
	buffer_gl0_inv
	s_clause 0x15
	buffer_load_dword v10, off, s[0:3], 0 offset:388
	buffer_load_dword v11, off, s[0:3], 0 offset:396
	;; [unrolled: 1-line block ×22, first 2 shown]
	ds_read_b128 v[2:5], v1 offset:848
	ds_read_b128 v[6:9], v1 offset:864
	;; [unrolled: 1-line block ×5, first 2 shown]
	s_mov_b32 s4, exec_lo
	s_waitcnt vmcnt(21) lgkmcnt(4)
	v_mul_f32_e32 v1, v2, v10
	v_mul_f32_e32 v10, v3, v10
	s_waitcnt vmcnt(20)
	v_mul_f32_e32 v161, v4, v11
	v_mul_f32_e32 v11, v5, v11
	s_waitcnt vmcnt(19) lgkmcnt(3)
	v_mul_f32_e32 v162, v6, v12
	s_waitcnt vmcnt(18)
	v_mul_f32_e32 v163, v8, v142
	s_waitcnt vmcnt(17) lgkmcnt(2)
	v_mul_f32_e32 v164, v130, v143
	s_waitcnt vmcnt(16)
	;; [unrolled: 4-line block ×3, first 2 shown]
	v_mul_f32_e32 v167, v136, v146
	s_waitcnt vmcnt(11)
	v_fma_f32 v2, v2, v149, -v10
	v_fmac_f32_e32 v1, v3, v149
	v_mul_f32_e32 v3, v7, v12
	s_waitcnt vmcnt(10)
	v_fma_f32 v4, v4, v150, -v11
	v_fmac_f32_e32 v161, v5, v150
	v_add_f32_e32 v2, 0, v2
	v_add_f32_e32 v1, 0, v1
	v_mul_f32_e32 v5, v9, v142
	s_waitcnt vmcnt(9)
	v_fma_f32 v3, v6, v151, -v3
	v_fmac_f32_e32 v162, v7, v151
	v_add_f32_e32 v2, v2, v4
	v_add_f32_e32 v1, v1, v161
	v_mul_f32_e32 v4, v131, v143
	s_waitcnt vmcnt(8)
	v_fma_f32 v5, v8, v152, -v5
	v_fmac_f32_e32 v163, v9, v152
	v_add_f32_e32 v2, v2, v3
	v_add_f32_e32 v1, v1, v162
	v_mul_f32_e32 v3, v133, v144
	s_waitcnt vmcnt(7)
	v_fma_f32 v4, v130, v153, -v4
	v_fmac_f32_e32 v164, v131, v153
	v_add_f32_e32 v2, v2, v5
	v_add_f32_e32 v1, v1, v163
	v_mul_f32_e32 v5, v135, v145
	s_waitcnt vmcnt(6)
	v_fma_f32 v3, v132, v154, -v3
	v_fmac_f32_e32 v165, v133, v154
	v_add_f32_e32 v2, v2, v4
	v_add_f32_e32 v1, v1, v164
	v_mul_f32_e32 v4, v137, v146
	s_waitcnt vmcnt(5)
	v_fma_f32 v5, v134, v155, -v5
	v_fmac_f32_e32 v166, v135, v155
	v_add_f32_e32 v2, v2, v3
	v_add_f32_e32 v1, v1, v165
	s_waitcnt lgkmcnt(0)
	v_mul_f32_e32 v3, v139, v147
	s_waitcnt vmcnt(4)
	v_fma_f32 v4, v136, v156, -v4
	v_mul_f32_e32 v168, v138, v147
	v_add_f32_e32 v2, v2, v5
	v_fmac_f32_e32 v167, v137, v156
	v_add_f32_e32 v1, v1, v166
	v_mul_f32_e32 v5, v141, v148
	s_waitcnt vmcnt(3)
	v_fma_f32 v3, v138, v157, -v3
	v_add_f32_e32 v2, v2, v4
	v_mul_f32_e32 v169, v140, v148
	v_fmac_f32_e32 v168, v139, v157
	v_add_f32_e32 v1, v1, v167
	s_waitcnt vmcnt(2)
	v_fma_f32 v4, v140, v158, -v5
	v_add_f32_e32 v2, v2, v3
	v_fmac_f32_e32 v169, v141, v158
	v_add_f32_e32 v1, v1, v168
	v_add_f32_e32 v2, v2, v4
	;; [unrolled: 1-line block ×3, first 2 shown]
	s_waitcnt vmcnt(1)
	v_sub_f32_e32 v2, v159, v2
	s_waitcnt vmcnt(0)
	v_sub_f32_e32 v1, v160, v1
	buffer_store_dword v2, off, s[0:3], 0 offset:376
	buffer_store_dword v1, off, s[0:3], 0 offset:380
	v_cmpx_lt_u32_e32 46, v0
	s_cbranch_execz .LBB57_269
; %bb.268:
	s_clause 0x1
	buffer_load_dword v1, off, s[0:3], 0 offset:368
	buffer_load_dword v2, off, s[0:3], 0 offset:372
	v_mov_b32_e32 v3, 0
	buffer_store_dword v3, off, s[0:3], 0 offset:368
	buffer_store_dword v3, off, s[0:3], 0 offset:372
	s_waitcnt vmcnt(0)
	ds_write_b64 v129, v[1:2]
.LBB57_269:
	s_or_b32 exec_lo, exec_lo, s4
	s_waitcnt lgkmcnt(0)
	s_waitcnt_vscnt null, 0x0
	s_barrier
	buffer_gl0_inv
	s_clause 0x17
	buffer_load_dword v12, off, s[0:3], 0 offset:380
	buffer_load_dword v142, off, s[0:3], 0 offset:388
	;; [unrolled: 1-line block ×24, first 2 shown]
	v_mov_b32_e32 v1, 0
	ds_read2_b64 v[2:5], v1 offset0:105 offset1:106
	ds_read2_b64 v[6:9], v1 offset0:107 offset1:108
	;; [unrolled: 1-line block ×5, first 2 shown]
	ds_read_b64 v[10:11], v1 offset:920
	s_mov_b32 s4, exec_lo
	s_waitcnt vmcnt(23) lgkmcnt(5)
	v_mul_f32_e32 v165, v2, v12
	v_mul_f32_e32 v12, v3, v12
	s_waitcnt vmcnt(22)
	v_mul_f32_e32 v166, v4, v142
	v_mul_f32_e32 v142, v5, v142
	s_waitcnt vmcnt(21) lgkmcnt(4)
	v_mul_f32_e32 v167, v6, v143
	s_waitcnt vmcnt(20)
	v_mul_f32_e32 v168, v8, v144
	s_waitcnt vmcnt(19) lgkmcnt(3)
	v_mul_f32_e32 v169, v130, v145
	s_waitcnt vmcnt(18)
	;; [unrolled: 4-line block ×4, first 2 shown]
	v_fma_f32 v2, v2, v152, -v12
	v_fmac_f32_e32 v165, v3, v152
	v_mul_f32_e32 v3, v7, v143
	s_waitcnt vmcnt(11)
	v_fma_f32 v4, v4, v153, -v142
	v_fmac_f32_e32 v166, v5, v153
	v_add_f32_e32 v2, 0, v2
	v_add_f32_e32 v5, 0, v165
	v_mul_f32_e32 v12, v9, v144
	s_waitcnt vmcnt(10)
	v_fma_f32 v3, v6, v154, -v3
	v_fmac_f32_e32 v167, v7, v154
	v_add_f32_e32 v2, v2, v4
	v_add_f32_e32 v4, v5, v166
	v_mul_f32_e32 v5, v131, v145
	s_waitcnt vmcnt(9)
	v_fma_f32 v6, v8, v155, -v12
	v_fmac_f32_e32 v168, v9, v155
	v_add_f32_e32 v2, v2, v3
	v_add_f32_e32 v3, v4, v167
	v_mul_f32_e32 v4, v133, v146
	s_waitcnt vmcnt(8)
	v_fma_f32 v5, v130, v156, -v5
	v_fmac_f32_e32 v169, v131, v156
	v_add_f32_e32 v2, v2, v6
	v_add_f32_e32 v3, v3, v168
	v_mul_f32_e32 v6, v135, v147
	s_waitcnt vmcnt(7)
	v_fma_f32 v4, v132, v157, -v4
	v_fmac_f32_e32 v170, v133, v157
	v_add_f32_e32 v2, v2, v5
	v_add_f32_e32 v3, v3, v169
	v_mul_f32_e32 v5, v137, v148
	s_waitcnt vmcnt(6)
	v_fma_f32 v6, v134, v158, -v6
	v_fmac_f32_e32 v171, v135, v158
	v_add_f32_e32 v2, v2, v4
	v_add_f32_e32 v3, v3, v170
	v_mul_f32_e32 v4, v139, v149
	s_waitcnt vmcnt(5)
	v_fma_f32 v5, v136, v159, -v5
	v_fmac_f32_e32 v172, v137, v159
	v_add_f32_e32 v2, v2, v6
	v_add_f32_e32 v3, v3, v171
	v_mul_f32_e32 v6, v141, v150
	s_waitcnt vmcnt(4)
	v_fma_f32 v4, v138, v160, -v4
	v_mul_f32_e32 v174, v140, v150
	v_add_f32_e32 v2, v2, v5
	v_fmac_f32_e32 v173, v139, v160
	v_add_f32_e32 v3, v3, v172
	s_waitcnt lgkmcnt(0)
	v_mul_f32_e32 v5, v11, v151
	s_waitcnt vmcnt(3)
	v_fma_f32 v6, v140, v161, -v6
	v_add_f32_e32 v2, v2, v4
	v_mul_f32_e32 v175, v10, v151
	v_fmac_f32_e32 v174, v141, v161
	v_add_f32_e32 v3, v3, v173
	s_waitcnt vmcnt(2)
	v_fma_f32 v4, v10, v162, -v5
	v_add_f32_e32 v2, v2, v6
	v_fmac_f32_e32 v175, v11, v162
	v_add_f32_e32 v3, v3, v174
	v_add_f32_e32 v2, v2, v4
	;; [unrolled: 1-line block ×3, first 2 shown]
	s_waitcnt vmcnt(1)
	v_sub_f32_e32 v2, v163, v2
	s_waitcnt vmcnt(0)
	v_sub_f32_e32 v3, v164, v3
	buffer_store_dword v2, off, s[0:3], 0 offset:368
	buffer_store_dword v3, off, s[0:3], 0 offset:372
	v_cmpx_lt_u32_e32 45, v0
	s_cbranch_execz .LBB57_271
; %bb.270:
	s_clause 0x1
	buffer_load_dword v2, off, s[0:3], 0 offset:360
	buffer_load_dword v3, off, s[0:3], 0 offset:364
	buffer_store_dword v1, off, s[0:3], 0 offset:360
	buffer_store_dword v1, off, s[0:3], 0 offset:364
	s_waitcnt vmcnt(0)
	ds_write_b64 v129, v[2:3]
.LBB57_271:
	s_or_b32 exec_lo, exec_lo, s4
	s_waitcnt lgkmcnt(0)
	s_waitcnt_vscnt null, 0x0
	s_barrier
	buffer_gl0_inv
	s_clause 0x19
	buffer_load_dword v10, off, s[0:3], 0 offset:372
	buffer_load_dword v11, off, s[0:3], 0 offset:380
	;; [unrolled: 1-line block ×26, first 2 shown]
	ds_read_b128 v[2:5], v1 offset:832
	ds_read_b128 v[6:9], v1 offset:848
	ds_read_b128 v[130:133], v1 offset:864
	ds_read_b128 v[134:137], v1 offset:880
	ds_read_b128 v[138:141], v1 offset:896
	ds_read_b128 v[142:145], v1 offset:912
	s_mov_b32 s4, exec_lo
	s_waitcnt vmcnt(25) lgkmcnt(5)
	v_mul_f32_e32 v1, v2, v10
	v_mul_f32_e32 v10, v3, v10
	s_waitcnt vmcnt(24)
	v_mul_f32_e32 v169, v4, v11
	v_mul_f32_e32 v11, v5, v11
	s_waitcnt vmcnt(23) lgkmcnt(4)
	v_mul_f32_e32 v170, v6, v12
	s_waitcnt vmcnt(22)
	v_mul_f32_e32 v171, v8, v146
	s_waitcnt vmcnt(21) lgkmcnt(3)
	v_mul_f32_e32 v172, v130, v147
	s_waitcnt vmcnt(20)
	;; [unrolled: 4-line block ×4, first 2 shown]
	v_mul_f32_e32 v177, v140, v152
	s_waitcnt vmcnt(13)
	v_fma_f32 v2, v2, v155, -v10
	v_fmac_f32_e32 v1, v3, v155
	v_mul_f32_e32 v3, v7, v12
	s_waitcnt vmcnt(12)
	v_fma_f32 v4, v4, v156, -v11
	v_fmac_f32_e32 v169, v5, v156
	v_add_f32_e32 v2, 0, v2
	v_add_f32_e32 v1, 0, v1
	v_mul_f32_e32 v5, v9, v146
	s_waitcnt vmcnt(11)
	v_fma_f32 v3, v6, v157, -v3
	v_fmac_f32_e32 v170, v7, v157
	v_add_f32_e32 v2, v2, v4
	v_add_f32_e32 v1, v1, v169
	;; [unrolled: 6-line block ×8, first 2 shown]
	s_waitcnt lgkmcnt(0)
	v_mul_f32_e32 v4, v143, v153
	s_waitcnt vmcnt(4)
	v_fma_f32 v5, v140, v164, -v5
	v_mul_f32_e32 v178, v142, v153
	v_add_f32_e32 v2, v2, v3
	v_fmac_f32_e32 v177, v141, v164
	v_add_f32_e32 v1, v1, v176
	v_mul_f32_e32 v3, v145, v154
	s_waitcnt vmcnt(3)
	v_fma_f32 v4, v142, v165, -v4
	v_add_f32_e32 v2, v2, v5
	v_mul_f32_e32 v179, v144, v154
	v_fmac_f32_e32 v178, v143, v165
	v_add_f32_e32 v1, v1, v177
	s_waitcnt vmcnt(2)
	v_fma_f32 v3, v144, v166, -v3
	v_add_f32_e32 v2, v2, v4
	v_fmac_f32_e32 v179, v145, v166
	v_add_f32_e32 v1, v1, v178
	v_add_f32_e32 v2, v2, v3
	;; [unrolled: 1-line block ×3, first 2 shown]
	s_waitcnt vmcnt(1)
	v_sub_f32_e32 v2, v167, v2
	s_waitcnt vmcnt(0)
	v_sub_f32_e32 v1, v168, v1
	buffer_store_dword v2, off, s[0:3], 0 offset:360
	buffer_store_dword v1, off, s[0:3], 0 offset:364
	v_cmpx_lt_u32_e32 44, v0
	s_cbranch_execz .LBB57_273
; %bb.272:
	s_clause 0x1
	buffer_load_dword v1, off, s[0:3], 0 offset:352
	buffer_load_dword v2, off, s[0:3], 0 offset:356
	v_mov_b32_e32 v3, 0
	buffer_store_dword v3, off, s[0:3], 0 offset:352
	buffer_store_dword v3, off, s[0:3], 0 offset:356
	s_waitcnt vmcnt(0)
	ds_write_b64 v129, v[1:2]
.LBB57_273:
	s_or_b32 exec_lo, exec_lo, s4
	s_waitcnt lgkmcnt(0)
	s_waitcnt_vscnt null, 0x0
	s_barrier
	buffer_gl0_inv
	s_clause 0x1b
	buffer_load_dword v12, off, s[0:3], 0 offset:364
	buffer_load_dword v146, off, s[0:3], 0 offset:372
	;; [unrolled: 1-line block ×28, first 2 shown]
	v_mov_b32_e32 v1, 0
	ds_read2_b64 v[2:5], v1 offset0:103 offset1:104
	ds_read2_b64 v[6:9], v1 offset0:105 offset1:106
	ds_read2_b64 v[130:133], v1 offset0:107 offset1:108
	ds_read2_b64 v[134:137], v1 offset0:109 offset1:110
	ds_read2_b64 v[138:141], v1 offset0:111 offset1:112
	ds_read2_b64 v[142:145], v1 offset0:113 offset1:114
	ds_read_b64 v[10:11], v1 offset:920
	s_mov_b32 s4, exec_lo
	s_waitcnt vmcnt(27) lgkmcnt(6)
	v_mul_f32_e32 v173, v2, v12
	v_mul_f32_e32 v12, v3, v12
	s_waitcnt vmcnt(26)
	v_mul_f32_e32 v174, v4, v146
	v_mul_f32_e32 v146, v5, v146
	s_waitcnt vmcnt(25) lgkmcnt(5)
	v_mul_f32_e32 v175, v6, v147
	s_waitcnt vmcnt(24)
	v_mul_f32_e32 v176, v8, v148
	s_waitcnt vmcnt(23) lgkmcnt(4)
	v_mul_f32_e32 v177, v130, v149
	s_waitcnt vmcnt(22)
	;; [unrolled: 4-line block ×5, first 2 shown]
	v_fma_f32 v2, v2, v158, -v12
	v_fmac_f32_e32 v173, v3, v158
	v_mul_f32_e32 v3, v7, v147
	s_waitcnt vmcnt(13)
	v_fma_f32 v4, v4, v159, -v146
	v_fmac_f32_e32 v174, v5, v159
	v_add_f32_e32 v2, 0, v2
	v_add_f32_e32 v5, 0, v173
	v_mul_f32_e32 v12, v9, v148
	s_waitcnt vmcnt(12)
	v_fma_f32 v3, v6, v160, -v3
	v_fmac_f32_e32 v175, v7, v160
	v_add_f32_e32 v2, v2, v4
	v_add_f32_e32 v4, v5, v174
	;; [unrolled: 6-line block ×9, first 2 shown]
	v_mul_f32_e32 v4, v145, v156
	s_waitcnt vmcnt(4)
	v_fma_f32 v5, v142, v168, -v5
	v_mul_f32_e32 v184, v144, v156
	v_add_f32_e32 v2, v2, v6
	v_fmac_f32_e32 v183, v143, v168
	v_add_f32_e32 v3, v3, v182
	s_waitcnt lgkmcnt(0)
	v_mul_f32_e32 v6, v11, v157
	s_waitcnt vmcnt(3)
	v_fma_f32 v4, v144, v169, -v4
	v_add_f32_e32 v2, v2, v5
	v_mul_f32_e32 v185, v10, v157
	v_fmac_f32_e32 v184, v145, v169
	v_add_f32_e32 v3, v3, v183
	s_waitcnt vmcnt(2)
	v_fma_f32 v5, v10, v170, -v6
	v_add_f32_e32 v2, v2, v4
	v_fmac_f32_e32 v185, v11, v170
	v_add_f32_e32 v3, v3, v184
	v_add_f32_e32 v2, v2, v5
	;; [unrolled: 1-line block ×3, first 2 shown]
	s_waitcnt vmcnt(1)
	v_sub_f32_e32 v2, v171, v2
	s_waitcnt vmcnt(0)
	v_sub_f32_e32 v3, v172, v3
	buffer_store_dword v2, off, s[0:3], 0 offset:352
	buffer_store_dword v3, off, s[0:3], 0 offset:356
	v_cmpx_lt_u32_e32 43, v0
	s_cbranch_execz .LBB57_275
; %bb.274:
	s_clause 0x1
	buffer_load_dword v2, off, s[0:3], 0 offset:344
	buffer_load_dword v3, off, s[0:3], 0 offset:348
	buffer_store_dword v1, off, s[0:3], 0 offset:344
	buffer_store_dword v1, off, s[0:3], 0 offset:348
	s_waitcnt vmcnt(0)
	ds_write_b64 v129, v[2:3]
.LBB57_275:
	s_or_b32 exec_lo, exec_lo, s4
	s_waitcnt lgkmcnt(0)
	s_waitcnt_vscnt null, 0x0
	s_barrier
	buffer_gl0_inv
	s_clause 0x1d
	buffer_load_dword v10, off, s[0:3], 0 offset:356
	buffer_load_dword v11, off, s[0:3], 0 offset:364
	;; [unrolled: 1-line block ×30, first 2 shown]
	ds_read_b128 v[2:5], v1 offset:816
	ds_read_b128 v[6:9], v1 offset:832
	ds_read_b128 v[130:133], v1 offset:848
	ds_read_b128 v[134:137], v1 offset:864
	ds_read_b128 v[138:141], v1 offset:880
	ds_read_b128 v[142:145], v1 offset:896
	ds_read_b128 v[146:149], v1 offset:912
	s_mov_b32 s4, exec_lo
	s_waitcnt vmcnt(29) lgkmcnt(6)
	v_mul_f32_e32 v1, v2, v10
	v_mul_f32_e32 v10, v3, v10
	s_waitcnt vmcnt(28)
	v_mul_f32_e32 v177, v4, v11
	v_mul_f32_e32 v11, v5, v11
	s_waitcnt vmcnt(27) lgkmcnt(5)
	v_mul_f32_e32 v178, v6, v12
	s_waitcnt vmcnt(26)
	v_mul_f32_e32 v179, v8, v150
	s_waitcnt vmcnt(25) lgkmcnt(4)
	v_mul_f32_e32 v180, v130, v151
	s_waitcnt vmcnt(24)
	;; [unrolled: 4-line block ×5, first 2 shown]
	v_mul_f32_e32 v187, v144, v158
	s_waitcnt vmcnt(15)
	v_fma_f32 v2, v2, v161, -v10
	v_fmac_f32_e32 v1, v3, v161
	v_mul_f32_e32 v3, v7, v12
	s_waitcnt vmcnt(14)
	v_fma_f32 v4, v4, v162, -v11
	v_fmac_f32_e32 v177, v5, v162
	v_add_f32_e32 v2, 0, v2
	v_add_f32_e32 v1, 0, v1
	v_mul_f32_e32 v5, v9, v150
	s_waitcnt vmcnt(13)
	v_fma_f32 v3, v6, v163, -v3
	v_fmac_f32_e32 v178, v7, v163
	v_add_f32_e32 v2, v2, v4
	v_add_f32_e32 v1, v1, v177
	;; [unrolled: 6-line block ×10, first 2 shown]
	s_waitcnt lgkmcnt(0)
	v_mul_f32_e32 v5, v147, v159
	s_waitcnt vmcnt(4)
	v_fma_f32 v3, v144, v172, -v3
	v_mul_f32_e32 v188, v146, v159
	v_add_f32_e32 v2, v2, v4
	v_fmac_f32_e32 v187, v145, v172
	v_add_f32_e32 v1, v1, v186
	v_mul_f32_e32 v4, v149, v160
	s_waitcnt vmcnt(3)
	v_fma_f32 v5, v146, v173, -v5
	v_add_f32_e32 v2, v2, v3
	v_mul_f32_e32 v189, v148, v160
	v_fmac_f32_e32 v188, v147, v173
	v_add_f32_e32 v1, v1, v187
	s_waitcnt vmcnt(2)
	v_fma_f32 v3, v148, v174, -v4
	v_add_f32_e32 v2, v2, v5
	v_fmac_f32_e32 v189, v149, v174
	v_add_f32_e32 v1, v1, v188
	v_add_f32_e32 v2, v2, v3
	;; [unrolled: 1-line block ×3, first 2 shown]
	s_waitcnt vmcnt(1)
	v_sub_f32_e32 v2, v175, v2
	s_waitcnt vmcnt(0)
	v_sub_f32_e32 v1, v176, v1
	buffer_store_dword v2, off, s[0:3], 0 offset:344
	buffer_store_dword v1, off, s[0:3], 0 offset:348
	v_cmpx_lt_u32_e32 42, v0
	s_cbranch_execz .LBB57_277
; %bb.276:
	s_clause 0x1
	buffer_load_dword v1, off, s[0:3], 0 offset:336
	buffer_load_dword v2, off, s[0:3], 0 offset:340
	v_mov_b32_e32 v3, 0
	buffer_store_dword v3, off, s[0:3], 0 offset:336
	buffer_store_dword v3, off, s[0:3], 0 offset:340
	s_waitcnt vmcnt(0)
	ds_write_b64 v129, v[1:2]
.LBB57_277:
	s_or_b32 exec_lo, exec_lo, s4
	s_waitcnt lgkmcnt(0)
	s_waitcnt_vscnt null, 0x0
	s_barrier
	buffer_gl0_inv
	s_clause 0x1f
	buffer_load_dword v12, off, s[0:3], 0 offset:348
	buffer_load_dword v150, off, s[0:3], 0 offset:356
	;; [unrolled: 1-line block ×32, first 2 shown]
	v_mov_b32_e32 v1, 0
	ds_read2_b64 v[2:5], v1 offset0:101 offset1:102
	ds_read2_b64 v[6:9], v1 offset0:103 offset1:104
	;; [unrolled: 1-line block ×7, first 2 shown]
	ds_read_b64 v[10:11], v1 offset:920
	s_mov_b32 s4, exec_lo
	s_waitcnt vmcnt(31) lgkmcnt(7)
	v_mul_f32_e32 v181, v2, v12
	v_mul_f32_e32 v12, v3, v12
	s_waitcnt vmcnt(30)
	v_mul_f32_e32 v182, v4, v150
	v_mul_f32_e32 v150, v5, v150
	s_waitcnt vmcnt(29) lgkmcnt(6)
	v_mul_f32_e32 v183, v6, v151
	s_waitcnt vmcnt(28)
	v_mul_f32_e32 v184, v8, v152
	s_waitcnt vmcnt(27) lgkmcnt(5)
	v_mul_f32_e32 v185, v130, v153
	s_waitcnt vmcnt(26)
	;; [unrolled: 4-line block ×6, first 2 shown]
	v_fma_f32 v2, v2, v164, -v12
	v_fmac_f32_e32 v181, v3, v164
	v_mul_f32_e32 v3, v7, v151
	s_waitcnt vmcnt(15)
	v_fma_f32 v4, v4, v165, -v150
	v_fmac_f32_e32 v182, v5, v165
	v_add_f32_e32 v2, 0, v2
	v_add_f32_e32 v5, 0, v181
	v_mul_f32_e32 v12, v9, v152
	s_waitcnt vmcnt(14)
	v_fma_f32 v3, v6, v166, -v3
	v_fmac_f32_e32 v183, v7, v166
	v_add_f32_e32 v2, v2, v4
	v_add_f32_e32 v4, v5, v182
	;; [unrolled: 6-line block ×11, first 2 shown]
	v_mul_f32_e32 v5, v149, v162
	s_waitcnt vmcnt(4)
	v_fma_f32 v6, v146, v176, -v6
	v_mul_f32_e32 v194, v148, v162
	v_add_f32_e32 v2, v2, v4
	v_fmac_f32_e32 v193, v147, v176
	v_add_f32_e32 v3, v3, v192
	s_waitcnt lgkmcnt(0)
	v_mul_f32_e32 v4, v11, v163
	s_waitcnt vmcnt(3)
	v_fma_f32 v5, v148, v177, -v5
	v_add_f32_e32 v2, v2, v6
	v_mul_f32_e32 v195, v10, v163
	v_fmac_f32_e32 v194, v149, v177
	v_add_f32_e32 v3, v3, v193
	s_waitcnt vmcnt(2)
	v_fma_f32 v4, v10, v178, -v4
	v_add_f32_e32 v2, v2, v5
	v_fmac_f32_e32 v195, v11, v178
	v_add_f32_e32 v3, v3, v194
	v_add_f32_e32 v2, v2, v4
	;; [unrolled: 1-line block ×3, first 2 shown]
	s_waitcnt vmcnt(1)
	v_sub_f32_e32 v2, v179, v2
	s_waitcnt vmcnt(0)
	v_sub_f32_e32 v3, v180, v3
	buffer_store_dword v2, off, s[0:3], 0 offset:336
	buffer_store_dword v3, off, s[0:3], 0 offset:340
	v_cmpx_lt_u32_e32 41, v0
	s_cbranch_execz .LBB57_279
; %bb.278:
	s_clause 0x1
	buffer_load_dword v2, off, s[0:3], 0 offset:328
	buffer_load_dword v3, off, s[0:3], 0 offset:332
	buffer_store_dword v1, off, s[0:3], 0 offset:328
	buffer_store_dword v1, off, s[0:3], 0 offset:332
	s_waitcnt vmcnt(0)
	ds_write_b64 v129, v[2:3]
.LBB57_279:
	s_or_b32 exec_lo, exec_lo, s4
	s_waitcnt lgkmcnt(0)
	s_waitcnt_vscnt null, 0x0
	s_barrier
	buffer_gl0_inv
	s_clause 0x21
	buffer_load_dword v10, off, s[0:3], 0 offset:340
	buffer_load_dword v11, off, s[0:3], 0 offset:348
	;; [unrolled: 1-line block ×34, first 2 shown]
	ds_read_b128 v[2:5], v1 offset:800
	ds_read_b128 v[6:9], v1 offset:816
	;; [unrolled: 1-line block ×8, first 2 shown]
	s_mov_b32 s4, exec_lo
	s_waitcnt vmcnt(33) lgkmcnt(7)
	v_mul_f32_e32 v1, v2, v10
	v_mul_f32_e32 v10, v3, v10
	s_waitcnt vmcnt(32)
	v_mul_f32_e32 v185, v4, v11
	v_mul_f32_e32 v11, v5, v11
	s_waitcnt vmcnt(31) lgkmcnt(6)
	v_mul_f32_e32 v186, v6, v12
	s_waitcnt vmcnt(30)
	v_mul_f32_e32 v187, v8, v154
	s_waitcnt vmcnt(29) lgkmcnt(5)
	v_mul_f32_e32 v188, v130, v155
	s_waitcnt vmcnt(28)
	v_mul_f32_e32 v189, v132, v156
	s_waitcnt vmcnt(27) lgkmcnt(4)
	v_mul_f32_e32 v190, v134, v157
	s_waitcnt vmcnt(26)
	v_mul_f32_e32 v191, v136, v158
	s_waitcnt vmcnt(25) lgkmcnt(3)
	v_mul_f32_e32 v192, v138, v159
	s_waitcnt vmcnt(24)
	v_mul_f32_e32 v193, v140, v160
	s_waitcnt vmcnt(23) lgkmcnt(2)
	v_mul_f32_e32 v194, v142, v161
	s_waitcnt vmcnt(22)
	v_mul_f32_e32 v195, v144, v162
	s_waitcnt vmcnt(21) lgkmcnt(1)
	v_mul_f32_e32 v196, v146, v163
	s_waitcnt vmcnt(20)
	v_mul_f32_e32 v197, v148, v164
	s_waitcnt vmcnt(17)
	v_fma_f32 v2, v2, v167, -v10
	v_fmac_f32_e32 v1, v3, v167
	v_mul_f32_e32 v3, v7, v12
	s_waitcnt vmcnt(16)
	v_fma_f32 v4, v4, v168, -v11
	v_fmac_f32_e32 v185, v5, v168
	v_add_f32_e32 v2, 0, v2
	v_add_f32_e32 v1, 0, v1
	v_mul_f32_e32 v5, v9, v154
	s_waitcnt vmcnt(15)
	v_fma_f32 v3, v6, v169, -v3
	v_fmac_f32_e32 v186, v7, v169
	v_add_f32_e32 v2, v2, v4
	v_add_f32_e32 v1, v1, v185
	;; [unrolled: 6-line block ×12, first 2 shown]
	s_waitcnt lgkmcnt(0)
	v_mul_f32_e32 v3, v151, v165
	s_waitcnt vmcnt(4)
	v_fma_f32 v4, v148, v180, -v4
	v_mul_f32_e32 v198, v150, v165
	v_add_f32_e32 v2, v2, v5
	v_fmac_f32_e32 v197, v149, v180
	v_add_f32_e32 v1, v1, v196
	v_mul_f32_e32 v5, v153, v166
	s_waitcnt vmcnt(3)
	v_fma_f32 v3, v150, v181, -v3
	v_add_f32_e32 v2, v2, v4
	v_mul_f32_e32 v199, v152, v166
	v_fmac_f32_e32 v198, v151, v181
	v_add_f32_e32 v1, v1, v197
	s_waitcnt vmcnt(2)
	v_fma_f32 v4, v152, v182, -v5
	v_add_f32_e32 v2, v2, v3
	v_fmac_f32_e32 v199, v153, v182
	v_add_f32_e32 v1, v1, v198
	v_add_f32_e32 v2, v2, v4
	;; [unrolled: 1-line block ×3, first 2 shown]
	s_waitcnt vmcnt(1)
	v_sub_f32_e32 v2, v183, v2
	s_waitcnt vmcnt(0)
	v_sub_f32_e32 v1, v184, v1
	buffer_store_dword v2, off, s[0:3], 0 offset:328
	buffer_store_dword v1, off, s[0:3], 0 offset:332
	v_cmpx_lt_u32_e32 40, v0
	s_cbranch_execz .LBB57_281
; %bb.280:
	s_clause 0x1
	buffer_load_dword v1, off, s[0:3], 0 offset:320
	buffer_load_dword v2, off, s[0:3], 0 offset:324
	v_mov_b32_e32 v3, 0
	buffer_store_dword v3, off, s[0:3], 0 offset:320
	buffer_store_dword v3, off, s[0:3], 0 offset:324
	s_waitcnt vmcnt(0)
	ds_write_b64 v129, v[1:2]
.LBB57_281:
	s_or_b32 exec_lo, exec_lo, s4
	s_waitcnt lgkmcnt(0)
	s_waitcnt_vscnt null, 0x0
	s_barrier
	buffer_gl0_inv
	s_clause 0x23
	buffer_load_dword v12, off, s[0:3], 0 offset:332
	buffer_load_dword v154, off, s[0:3], 0 offset:340
	;; [unrolled: 1-line block ×36, first 2 shown]
	v_mov_b32_e32 v1, 0
	ds_read2_b64 v[2:5], v1 offset0:99 offset1:100
	ds_read2_b64 v[6:9], v1 offset0:101 offset1:102
	;; [unrolled: 1-line block ×8, first 2 shown]
	ds_read_b64 v[10:11], v1 offset:920
	s_mov_b32 s4, exec_lo
	s_waitcnt vmcnt(35) lgkmcnt(8)
	v_mul_f32_e32 v189, v2, v12
	v_mul_f32_e32 v12, v3, v12
	s_waitcnt vmcnt(34)
	v_mul_f32_e32 v190, v4, v154
	v_mul_f32_e32 v154, v5, v154
	s_waitcnt vmcnt(33) lgkmcnt(7)
	v_mul_f32_e32 v191, v6, v155
	s_waitcnt vmcnt(32)
	v_mul_f32_e32 v192, v8, v156
	s_waitcnt vmcnt(31) lgkmcnt(6)
	v_mul_f32_e32 v193, v130, v157
	s_waitcnt vmcnt(30)
	;; [unrolled: 4-line block ×7, first 2 shown]
	v_fma_f32 v2, v2, v170, -v12
	v_fmac_f32_e32 v189, v3, v170
	v_mul_f32_e32 v3, v7, v155
	s_waitcnt vmcnt(17)
	v_fma_f32 v4, v4, v171, -v154
	v_fmac_f32_e32 v190, v5, v171
	v_add_f32_e32 v2, 0, v2
	v_add_f32_e32 v5, 0, v189
	v_mul_f32_e32 v12, v9, v156
	s_waitcnt vmcnt(16)
	v_fma_f32 v3, v6, v172, -v3
	v_fmac_f32_e32 v191, v7, v172
	v_add_f32_e32 v2, v2, v4
	v_add_f32_e32 v4, v5, v190
	;; [unrolled: 6-line block ×13, first 2 shown]
	v_mul_f32_e32 v6, v153, v168
	s_waitcnt vmcnt(4)
	v_fma_f32 v4, v150, v184, -v4
	v_mul_f32_e32 v204, v152, v168
	v_add_f32_e32 v2, v2, v5
	v_fmac_f32_e32 v203, v151, v184
	v_add_f32_e32 v3, v3, v202
	s_waitcnt lgkmcnt(0)
	v_mul_f32_e32 v5, v11, v169
	s_waitcnt vmcnt(3)
	v_fma_f32 v6, v152, v185, -v6
	v_add_f32_e32 v2, v2, v4
	v_mul_f32_e32 v205, v10, v169
	v_fmac_f32_e32 v204, v153, v185
	v_add_f32_e32 v3, v3, v203
	s_waitcnt vmcnt(2)
	v_fma_f32 v4, v10, v186, -v5
	v_add_f32_e32 v2, v2, v6
	v_fmac_f32_e32 v205, v11, v186
	v_add_f32_e32 v3, v3, v204
	v_add_f32_e32 v2, v2, v4
	;; [unrolled: 1-line block ×3, first 2 shown]
	s_waitcnt vmcnt(1)
	v_sub_f32_e32 v2, v187, v2
	s_waitcnt vmcnt(0)
	v_sub_f32_e32 v3, v188, v3
	buffer_store_dword v2, off, s[0:3], 0 offset:320
	buffer_store_dword v3, off, s[0:3], 0 offset:324
	v_cmpx_lt_u32_e32 39, v0
	s_cbranch_execz .LBB57_283
; %bb.282:
	s_clause 0x1
	buffer_load_dword v2, off, s[0:3], 0 offset:312
	buffer_load_dword v3, off, s[0:3], 0 offset:316
	buffer_store_dword v1, off, s[0:3], 0 offset:312
	buffer_store_dword v1, off, s[0:3], 0 offset:316
	s_waitcnt vmcnt(0)
	ds_write_b64 v129, v[2:3]
.LBB57_283:
	s_or_b32 exec_lo, exec_lo, s4
	s_waitcnt lgkmcnt(0)
	s_waitcnt_vscnt null, 0x0
	s_barrier
	buffer_gl0_inv
	s_clause 0x25
	buffer_load_dword v10, off, s[0:3], 0 offset:324
	buffer_load_dword v11, off, s[0:3], 0 offset:332
	;; [unrolled: 1-line block ×38, first 2 shown]
	ds_read_b128 v[2:5], v1 offset:784
	ds_read_b128 v[6:9], v1 offset:800
	;; [unrolled: 1-line block ×9, first 2 shown]
	s_mov_b32 s4, exec_lo
	s_waitcnt vmcnt(37) lgkmcnt(8)
	v_mul_f32_e32 v1, v2, v10
	v_mul_f32_e32 v10, v3, v10
	s_waitcnt vmcnt(36)
	v_mul_f32_e32 v193, v4, v11
	v_mul_f32_e32 v11, v5, v11
	s_waitcnt vmcnt(35) lgkmcnt(7)
	v_mul_f32_e32 v194, v6, v12
	s_waitcnt vmcnt(34)
	v_mul_f32_e32 v195, v8, v158
	s_waitcnt vmcnt(33) lgkmcnt(6)
	v_mul_f32_e32 v196, v130, v159
	s_waitcnt vmcnt(32)
	;; [unrolled: 4-line block ×7, first 2 shown]
	v_mul_f32_e32 v207, v152, v170
	s_waitcnt vmcnt(19)
	v_fma_f32 v2, v2, v173, -v10
	v_fmac_f32_e32 v1, v3, v173
	v_mul_f32_e32 v3, v7, v12
	s_waitcnt vmcnt(18)
	v_fma_f32 v4, v4, v174, -v11
	v_fmac_f32_e32 v193, v5, v174
	v_add_f32_e32 v2, 0, v2
	v_add_f32_e32 v1, 0, v1
	v_mul_f32_e32 v5, v9, v158
	s_waitcnt vmcnt(17)
	v_fma_f32 v3, v6, v175, -v3
	v_fmac_f32_e32 v194, v7, v175
	v_add_f32_e32 v2, v2, v4
	v_add_f32_e32 v1, v1, v193
	;; [unrolled: 6-line block ×14, first 2 shown]
	s_waitcnt lgkmcnt(0)
	v_mul_f32_e32 v4, v155, v171
	s_waitcnt vmcnt(4)
	v_fma_f32 v5, v152, v188, -v5
	v_mul_f32_e32 v208, v154, v171
	v_add_f32_e32 v2, v2, v3
	v_fmac_f32_e32 v207, v153, v188
	v_add_f32_e32 v1, v1, v206
	v_mul_f32_e32 v3, v157, v172
	s_waitcnt vmcnt(3)
	v_fma_f32 v4, v154, v189, -v4
	v_add_f32_e32 v2, v2, v5
	v_mul_f32_e32 v209, v156, v172
	v_fmac_f32_e32 v208, v155, v189
	v_add_f32_e32 v1, v1, v207
	s_waitcnt vmcnt(2)
	v_fma_f32 v3, v156, v190, -v3
	v_add_f32_e32 v2, v2, v4
	v_fmac_f32_e32 v209, v157, v190
	v_add_f32_e32 v1, v1, v208
	v_add_f32_e32 v2, v2, v3
	;; [unrolled: 1-line block ×3, first 2 shown]
	s_waitcnt vmcnt(1)
	v_sub_f32_e32 v2, v191, v2
	s_waitcnt vmcnt(0)
	v_sub_f32_e32 v1, v192, v1
	buffer_store_dword v2, off, s[0:3], 0 offset:312
	buffer_store_dword v1, off, s[0:3], 0 offset:316
	v_cmpx_lt_u32_e32 38, v0
	s_cbranch_execz .LBB57_285
; %bb.284:
	s_clause 0x1
	buffer_load_dword v1, off, s[0:3], 0 offset:304
	buffer_load_dword v2, off, s[0:3], 0 offset:308
	v_mov_b32_e32 v3, 0
	buffer_store_dword v3, off, s[0:3], 0 offset:304
	buffer_store_dword v3, off, s[0:3], 0 offset:308
	s_waitcnt vmcnt(0)
	ds_write_b64 v129, v[1:2]
.LBB57_285:
	s_or_b32 exec_lo, exec_lo, s4
	s_waitcnt lgkmcnt(0)
	s_waitcnt_vscnt null, 0x0
	s_barrier
	buffer_gl0_inv
	s_clause 0x27
	buffer_load_dword v12, off, s[0:3], 0 offset:316
	buffer_load_dword v158, off, s[0:3], 0 offset:324
	;; [unrolled: 1-line block ×40, first 2 shown]
	v_mov_b32_e32 v1, 0
	ds_read2_b64 v[2:5], v1 offset0:97 offset1:98
	ds_read2_b64 v[6:9], v1 offset0:99 offset1:100
	ds_read2_b64 v[130:133], v1 offset0:101 offset1:102
	ds_read2_b64 v[134:137], v1 offset0:103 offset1:104
	ds_read2_b64 v[138:141], v1 offset0:105 offset1:106
	ds_read2_b64 v[142:145], v1 offset0:107 offset1:108
	ds_read2_b64 v[146:149], v1 offset0:109 offset1:110
	ds_read2_b64 v[150:153], v1 offset0:111 offset1:112
	ds_read2_b64 v[154:157], v1 offset0:113 offset1:114
	ds_read_b64 v[10:11], v1 offset:920
	s_mov_b32 s4, exec_lo
	s_waitcnt vmcnt(39) lgkmcnt(9)
	v_mul_f32_e32 v197, v2, v12
	v_mul_f32_e32 v12, v3, v12
	s_waitcnt vmcnt(38)
	v_mul_f32_e32 v198, v4, v158
	v_mul_f32_e32 v158, v5, v158
	s_waitcnt vmcnt(37) lgkmcnt(8)
	v_mul_f32_e32 v199, v6, v159
	s_waitcnt vmcnt(36)
	v_mul_f32_e32 v200, v8, v160
	s_waitcnt vmcnt(35) lgkmcnt(7)
	v_mul_f32_e32 v201, v130, v161
	s_waitcnt vmcnt(34)
	;; [unrolled: 4-line block ×8, first 2 shown]
	v_fma_f32 v2, v2, v176, -v12
	v_fmac_f32_e32 v197, v3, v176
	v_mul_f32_e32 v3, v7, v159
	s_waitcnt vmcnt(19)
	v_fma_f32 v4, v4, v177, -v158
	v_fmac_f32_e32 v198, v5, v177
	v_add_f32_e32 v2, 0, v2
	v_add_f32_e32 v5, 0, v197
	v_mul_f32_e32 v12, v9, v160
	s_waitcnt vmcnt(18)
	v_fma_f32 v3, v6, v178, -v3
	v_fmac_f32_e32 v199, v7, v178
	v_add_f32_e32 v2, v2, v4
	v_add_f32_e32 v4, v5, v198
	;; [unrolled: 6-line block ×15, first 2 shown]
	v_mul_f32_e32 v4, v157, v174
	s_waitcnt vmcnt(4)
	v_fma_f32 v5, v154, v192, -v5
	v_mul_f32_e32 v214, v156, v174
	v_add_f32_e32 v2, v2, v6
	v_fmac_f32_e32 v213, v155, v192
	v_add_f32_e32 v3, v3, v212
	s_waitcnt lgkmcnt(0)
	v_mul_f32_e32 v6, v11, v175
	s_waitcnt vmcnt(3)
	v_fma_f32 v4, v156, v193, -v4
	v_add_f32_e32 v2, v2, v5
	v_mul_f32_e32 v215, v10, v175
	v_fmac_f32_e32 v214, v157, v193
	v_add_f32_e32 v3, v3, v213
	s_waitcnt vmcnt(2)
	v_fma_f32 v5, v10, v194, -v6
	v_add_f32_e32 v2, v2, v4
	v_fmac_f32_e32 v215, v11, v194
	v_add_f32_e32 v3, v3, v214
	v_add_f32_e32 v2, v2, v5
	;; [unrolled: 1-line block ×3, first 2 shown]
	s_waitcnt vmcnt(1)
	v_sub_f32_e32 v2, v195, v2
	s_waitcnt vmcnt(0)
	v_sub_f32_e32 v3, v196, v3
	buffer_store_dword v2, off, s[0:3], 0 offset:304
	buffer_store_dword v3, off, s[0:3], 0 offset:308
	v_cmpx_lt_u32_e32 37, v0
	s_cbranch_execz .LBB57_287
; %bb.286:
	s_clause 0x1
	buffer_load_dword v2, off, s[0:3], 0 offset:296
	buffer_load_dword v3, off, s[0:3], 0 offset:300
	buffer_store_dword v1, off, s[0:3], 0 offset:296
	buffer_store_dword v1, off, s[0:3], 0 offset:300
	s_waitcnt vmcnt(0)
	ds_write_b64 v129, v[2:3]
.LBB57_287:
	s_or_b32 exec_lo, exec_lo, s4
	s_waitcnt lgkmcnt(0)
	s_waitcnt_vscnt null, 0x0
	s_barrier
	buffer_gl0_inv
	s_clause 0x29
	buffer_load_dword v10, off, s[0:3], 0 offset:308
	buffer_load_dword v11, off, s[0:3], 0 offset:316
	;; [unrolled: 1-line block ×42, first 2 shown]
	ds_read_b128 v[2:5], v1 offset:768
	ds_read_b128 v[6:9], v1 offset:784
	;; [unrolled: 1-line block ×10, first 2 shown]
	s_mov_b32 s4, exec_lo
	s_waitcnt vmcnt(41) lgkmcnt(9)
	v_mul_f32_e32 v1, v2, v10
	v_mul_f32_e32 v10, v3, v10
	s_waitcnt vmcnt(40)
	v_mul_f32_e32 v201, v4, v11
	v_mul_f32_e32 v11, v5, v11
	s_waitcnt vmcnt(39) lgkmcnt(8)
	v_mul_f32_e32 v202, v6, v12
	s_waitcnt vmcnt(38)
	v_mul_f32_e32 v203, v8, v162
	s_waitcnt vmcnt(37) lgkmcnt(7)
	v_mul_f32_e32 v204, v130, v163
	s_waitcnt vmcnt(36)
	;; [unrolled: 4-line block ×8, first 2 shown]
	v_mul_f32_e32 v217, v156, v176
	s_waitcnt vmcnt(21)
	v_fma_f32 v2, v2, v179, -v10
	v_fmac_f32_e32 v1, v3, v179
	v_mul_f32_e32 v3, v7, v12
	s_waitcnt vmcnt(20)
	v_fma_f32 v4, v4, v180, -v11
	v_fmac_f32_e32 v201, v5, v180
	v_add_f32_e32 v2, 0, v2
	v_add_f32_e32 v1, 0, v1
	v_mul_f32_e32 v5, v9, v162
	s_waitcnt vmcnt(19)
	v_fma_f32 v3, v6, v181, -v3
	v_fmac_f32_e32 v202, v7, v181
	v_add_f32_e32 v2, v2, v4
	v_add_f32_e32 v1, v1, v201
	;; [unrolled: 6-line block ×16, first 2 shown]
	s_waitcnt lgkmcnt(0)
	v_mul_f32_e32 v5, v159, v177
	s_waitcnt vmcnt(4)
	v_fma_f32 v3, v156, v196, -v3
	v_mul_f32_e32 v218, v158, v177
	v_add_f32_e32 v2, v2, v4
	v_fmac_f32_e32 v217, v157, v196
	v_add_f32_e32 v1, v1, v216
	v_mul_f32_e32 v4, v161, v178
	s_waitcnt vmcnt(3)
	v_fma_f32 v5, v158, v197, -v5
	v_add_f32_e32 v2, v2, v3
	v_mul_f32_e32 v219, v160, v178
	v_fmac_f32_e32 v218, v159, v197
	v_add_f32_e32 v1, v1, v217
	s_waitcnt vmcnt(2)
	v_fma_f32 v3, v160, v198, -v4
	v_add_f32_e32 v2, v2, v5
	v_fmac_f32_e32 v219, v161, v198
	v_add_f32_e32 v1, v1, v218
	v_add_f32_e32 v2, v2, v3
	;; [unrolled: 1-line block ×3, first 2 shown]
	s_waitcnt vmcnt(1)
	v_sub_f32_e32 v2, v199, v2
	s_waitcnt vmcnt(0)
	v_sub_f32_e32 v1, v200, v1
	buffer_store_dword v2, off, s[0:3], 0 offset:296
	buffer_store_dword v1, off, s[0:3], 0 offset:300
	v_cmpx_lt_u32_e32 36, v0
	s_cbranch_execz .LBB57_289
; %bb.288:
	s_clause 0x1
	buffer_load_dword v1, off, s[0:3], 0 offset:288
	buffer_load_dword v2, off, s[0:3], 0 offset:292
	v_mov_b32_e32 v3, 0
	buffer_store_dword v3, off, s[0:3], 0 offset:288
	buffer_store_dword v3, off, s[0:3], 0 offset:292
	s_waitcnt vmcnt(0)
	ds_write_b64 v129, v[1:2]
.LBB57_289:
	s_or_b32 exec_lo, exec_lo, s4
	s_waitcnt lgkmcnt(0)
	s_waitcnt_vscnt null, 0x0
	s_barrier
	buffer_gl0_inv
	s_clause 0x2b
	buffer_load_dword v12, off, s[0:3], 0 offset:300
	buffer_load_dword v162, off, s[0:3], 0 offset:308
	;; [unrolled: 1-line block ×44, first 2 shown]
	v_mov_b32_e32 v1, 0
	ds_read2_b64 v[2:5], v1 offset0:95 offset1:96
	ds_read2_b64 v[6:9], v1 offset0:97 offset1:98
	;; [unrolled: 1-line block ×10, first 2 shown]
	ds_read_b64 v[10:11], v1 offset:920
	s_mov_b32 s4, exec_lo
	s_waitcnt vmcnt(43) lgkmcnt(10)
	v_mul_f32_e32 v205, v2, v12
	v_mul_f32_e32 v12, v3, v12
	s_waitcnt vmcnt(42)
	v_mul_f32_e32 v206, v4, v162
	v_mul_f32_e32 v162, v5, v162
	s_waitcnt vmcnt(41) lgkmcnt(9)
	v_mul_f32_e32 v207, v6, v163
	s_waitcnt vmcnt(40)
	v_mul_f32_e32 v208, v8, v164
	s_waitcnt vmcnt(39) lgkmcnt(8)
	v_mul_f32_e32 v209, v130, v165
	s_waitcnt vmcnt(38)
	;; [unrolled: 4-line block ×9, first 2 shown]
	v_fma_f32 v2, v2, v182, -v12
	v_fmac_f32_e32 v205, v3, v182
	v_mul_f32_e32 v3, v7, v163
	s_waitcnt vmcnt(21)
	v_fma_f32 v4, v4, v183, -v162
	v_fmac_f32_e32 v206, v5, v183
	v_add_f32_e32 v2, 0, v2
	v_add_f32_e32 v5, 0, v205
	v_mul_f32_e32 v12, v9, v164
	s_waitcnt vmcnt(20)
	v_fma_f32 v3, v6, v184, -v3
	v_fmac_f32_e32 v207, v7, v184
	v_add_f32_e32 v2, v2, v4
	v_add_f32_e32 v4, v5, v206
	;; [unrolled: 6-line block ×17, first 2 shown]
	v_mul_f32_e32 v5, v161, v180
	s_waitcnt vmcnt(4)
	v_fma_f32 v6, v158, v200, -v6
	v_mul_f32_e32 v224, v160, v180
	v_add_f32_e32 v2, v2, v4
	v_fmac_f32_e32 v223, v159, v200
	v_add_f32_e32 v3, v3, v222
	s_waitcnt lgkmcnt(0)
	v_mul_f32_e32 v4, v11, v181
	s_waitcnt vmcnt(3)
	v_fma_f32 v5, v160, v201, -v5
	v_add_f32_e32 v2, v2, v6
	v_mul_f32_e32 v225, v10, v181
	v_fmac_f32_e32 v224, v161, v201
	v_add_f32_e32 v3, v3, v223
	s_waitcnt vmcnt(2)
	v_fma_f32 v4, v10, v202, -v4
	v_add_f32_e32 v2, v2, v5
	v_fmac_f32_e32 v225, v11, v202
	v_add_f32_e32 v3, v3, v224
	v_add_f32_e32 v2, v2, v4
	;; [unrolled: 1-line block ×3, first 2 shown]
	s_waitcnt vmcnt(1)
	v_sub_f32_e32 v2, v203, v2
	s_waitcnt vmcnt(0)
	v_sub_f32_e32 v3, v204, v3
	buffer_store_dword v2, off, s[0:3], 0 offset:288
	buffer_store_dword v3, off, s[0:3], 0 offset:292
	v_cmpx_lt_u32_e32 35, v0
	s_cbranch_execz .LBB57_291
; %bb.290:
	s_clause 0x1
	buffer_load_dword v2, off, s[0:3], 0 offset:280
	buffer_load_dword v3, off, s[0:3], 0 offset:284
	buffer_store_dword v1, off, s[0:3], 0 offset:280
	buffer_store_dword v1, off, s[0:3], 0 offset:284
	s_waitcnt vmcnt(0)
	ds_write_b64 v129, v[2:3]
.LBB57_291:
	s_or_b32 exec_lo, exec_lo, s4
	s_waitcnt lgkmcnt(0)
	s_waitcnt_vscnt null, 0x0
	s_barrier
	buffer_gl0_inv
	s_clause 0x2d
	buffer_load_dword v10, off, s[0:3], 0 offset:292
	buffer_load_dword v11, off, s[0:3], 0 offset:300
	;; [unrolled: 1-line block ×46, first 2 shown]
	ds_read_b128 v[2:5], v1 offset:752
	ds_read_b128 v[6:9], v1 offset:768
	;; [unrolled: 1-line block ×11, first 2 shown]
	s_mov_b32 s4, exec_lo
	s_waitcnt vmcnt(45) lgkmcnt(10)
	v_mul_f32_e32 v1, v2, v10
	v_mul_f32_e32 v10, v3, v10
	s_waitcnt vmcnt(44)
	v_mul_f32_e32 v209, v4, v11
	v_mul_f32_e32 v11, v5, v11
	s_waitcnt vmcnt(43) lgkmcnt(9)
	v_mul_f32_e32 v210, v6, v12
	s_waitcnt vmcnt(42)
	v_mul_f32_e32 v211, v8, v166
	s_waitcnt vmcnt(41) lgkmcnt(8)
	v_mul_f32_e32 v212, v130, v167
	s_waitcnt vmcnt(40)
	;; [unrolled: 4-line block ×9, first 2 shown]
	v_mul_f32_e32 v227, v160, v182
	s_waitcnt vmcnt(23)
	v_fma_f32 v2, v2, v185, -v10
	v_fmac_f32_e32 v1, v3, v185
	v_mul_f32_e32 v3, v7, v12
	s_waitcnt vmcnt(22)
	v_fma_f32 v4, v4, v186, -v11
	v_fmac_f32_e32 v209, v5, v186
	v_add_f32_e32 v2, 0, v2
	v_add_f32_e32 v1, 0, v1
	v_mul_f32_e32 v5, v9, v166
	s_waitcnt vmcnt(21)
	v_fma_f32 v3, v6, v187, -v3
	v_fmac_f32_e32 v210, v7, v187
	v_add_f32_e32 v2, v2, v4
	v_add_f32_e32 v1, v1, v209
	;; [unrolled: 6-line block ×18, first 2 shown]
	s_waitcnt lgkmcnt(0)
	v_mul_f32_e32 v3, v163, v183
	s_waitcnt vmcnt(4)
	v_fma_f32 v4, v160, v204, -v4
	v_mul_f32_e32 v228, v162, v183
	v_add_f32_e32 v2, v2, v5
	v_fmac_f32_e32 v227, v161, v204
	v_add_f32_e32 v1, v1, v226
	v_mul_f32_e32 v5, v165, v184
	s_waitcnt vmcnt(3)
	v_fma_f32 v3, v162, v205, -v3
	v_add_f32_e32 v2, v2, v4
	v_mul_f32_e32 v229, v164, v184
	v_fmac_f32_e32 v228, v163, v205
	v_add_f32_e32 v1, v1, v227
	s_waitcnt vmcnt(2)
	v_fma_f32 v4, v164, v206, -v5
	v_add_f32_e32 v2, v2, v3
	v_fmac_f32_e32 v229, v165, v206
	v_add_f32_e32 v1, v1, v228
	v_add_f32_e32 v2, v2, v4
	v_add_f32_e32 v1, v1, v229
	s_waitcnt vmcnt(1)
	v_sub_f32_e32 v2, v207, v2
	s_waitcnt vmcnt(0)
	v_sub_f32_e32 v1, v208, v1
	buffer_store_dword v2, off, s[0:3], 0 offset:280
	buffer_store_dword v1, off, s[0:3], 0 offset:284
	v_cmpx_lt_u32_e32 34, v0
	s_cbranch_execz .LBB57_293
; %bb.292:
	s_clause 0x1
	buffer_load_dword v1, off, s[0:3], 0 offset:272
	buffer_load_dword v2, off, s[0:3], 0 offset:276
	v_mov_b32_e32 v3, 0
	buffer_store_dword v3, off, s[0:3], 0 offset:272
	buffer_store_dword v3, off, s[0:3], 0 offset:276
	s_waitcnt vmcnt(0)
	ds_write_b64 v129, v[1:2]
.LBB57_293:
	s_or_b32 exec_lo, exec_lo, s4
	s_waitcnt lgkmcnt(0)
	s_waitcnt_vscnt null, 0x0
	s_barrier
	buffer_gl0_inv
	s_clause 0x2f
	buffer_load_dword v12, off, s[0:3], 0 offset:284
	buffer_load_dword v166, off, s[0:3], 0 offset:292
	;; [unrolled: 1-line block ×48, first 2 shown]
	v_mov_b32_e32 v1, 0
	ds_read2_b64 v[2:5], v1 offset0:93 offset1:94
	ds_read2_b64 v[6:9], v1 offset0:95 offset1:96
	;; [unrolled: 1-line block ×11, first 2 shown]
	ds_read_b64 v[10:11], v1 offset:920
	s_mov_b32 s4, exec_lo
	s_waitcnt vmcnt(47) lgkmcnt(11)
	v_mul_f32_e32 v213, v2, v12
	v_mul_f32_e32 v12, v3, v12
	s_waitcnt vmcnt(46)
	v_mul_f32_e32 v214, v4, v166
	v_mul_f32_e32 v166, v5, v166
	s_waitcnt vmcnt(45) lgkmcnt(10)
	v_mul_f32_e32 v215, v6, v167
	s_waitcnt vmcnt(44)
	v_mul_f32_e32 v216, v8, v168
	s_waitcnt vmcnt(43) lgkmcnt(9)
	v_mul_f32_e32 v217, v130, v169
	s_waitcnt vmcnt(42)
	;; [unrolled: 4-line block ×10, first 2 shown]
	v_fma_f32 v2, v2, v188, -v12
	v_fmac_f32_e32 v213, v3, v188
	v_mul_f32_e32 v3, v7, v167
	s_waitcnt vmcnt(23)
	v_fma_f32 v4, v4, v189, -v166
	v_fmac_f32_e32 v214, v5, v189
	v_add_f32_e32 v2, 0, v2
	v_add_f32_e32 v5, 0, v213
	v_mul_f32_e32 v12, v9, v168
	s_waitcnt vmcnt(22)
	v_fma_f32 v3, v6, v190, -v3
	v_fmac_f32_e32 v215, v7, v190
	v_add_f32_e32 v2, v2, v4
	v_add_f32_e32 v4, v5, v214
	;; [unrolled: 6-line block ×19, first 2 shown]
	v_mul_f32_e32 v6, v165, v186
	s_waitcnt vmcnt(4)
	v_fma_f32 v4, v162, v208, -v4
	v_mul_f32_e32 v234, v164, v186
	v_add_f32_e32 v2, v2, v5
	v_fmac_f32_e32 v233, v163, v208
	v_add_f32_e32 v3, v3, v232
	s_waitcnt lgkmcnt(0)
	v_mul_f32_e32 v5, v11, v187
	s_waitcnt vmcnt(3)
	v_fma_f32 v6, v164, v209, -v6
	v_add_f32_e32 v2, v2, v4
	v_mul_f32_e32 v235, v10, v187
	v_fmac_f32_e32 v234, v165, v209
	v_add_f32_e32 v3, v3, v233
	s_waitcnt vmcnt(2)
	v_fma_f32 v4, v10, v210, -v5
	v_add_f32_e32 v2, v2, v6
	v_fmac_f32_e32 v235, v11, v210
	v_add_f32_e32 v3, v3, v234
	v_add_f32_e32 v2, v2, v4
	;; [unrolled: 1-line block ×3, first 2 shown]
	s_waitcnt vmcnt(1)
	v_sub_f32_e32 v2, v211, v2
	s_waitcnt vmcnt(0)
	v_sub_f32_e32 v3, v212, v3
	buffer_store_dword v2, off, s[0:3], 0 offset:272
	buffer_store_dword v3, off, s[0:3], 0 offset:276
	v_cmpx_lt_u32_e32 33, v0
	s_cbranch_execz .LBB57_295
; %bb.294:
	s_clause 0x1
	buffer_load_dword v2, off, s[0:3], 0 offset:264
	buffer_load_dword v3, off, s[0:3], 0 offset:268
	buffer_store_dword v1, off, s[0:3], 0 offset:264
	buffer_store_dword v1, off, s[0:3], 0 offset:268
	s_waitcnt vmcnt(0)
	ds_write_b64 v129, v[2:3]
.LBB57_295:
	s_or_b32 exec_lo, exec_lo, s4
	s_waitcnt lgkmcnt(0)
	s_waitcnt_vscnt null, 0x0
	s_barrier
	buffer_gl0_inv
	s_clause 0x31
	buffer_load_dword v10, off, s[0:3], 0 offset:276
	buffer_load_dword v11, off, s[0:3], 0 offset:284
	;; [unrolled: 1-line block ×50, first 2 shown]
	ds_read_b128 v[2:5], v1 offset:736
	ds_read_b128 v[6:9], v1 offset:752
	;; [unrolled: 1-line block ×12, first 2 shown]
	s_mov_b32 s4, exec_lo
	s_waitcnt vmcnt(49) lgkmcnt(11)
	v_mul_f32_e32 v1, v2, v10
	v_mul_f32_e32 v10, v3, v10
	s_waitcnt vmcnt(48)
	v_mul_f32_e32 v217, v4, v11
	v_mul_f32_e32 v11, v5, v11
	s_waitcnt vmcnt(47) lgkmcnt(10)
	v_mul_f32_e32 v218, v6, v12
	s_waitcnt vmcnt(46)
	v_mul_f32_e32 v219, v8, v170
	s_waitcnt vmcnt(45) lgkmcnt(9)
	v_mul_f32_e32 v220, v130, v171
	s_waitcnt vmcnt(44)
	;; [unrolled: 4-line block ×10, first 2 shown]
	v_mul_f32_e32 v237, v164, v188
	s_waitcnt vmcnt(25)
	v_fma_f32 v2, v2, v191, -v10
	v_fmac_f32_e32 v1, v3, v191
	v_mul_f32_e32 v3, v7, v12
	s_waitcnt vmcnt(24)
	v_fma_f32 v4, v4, v192, -v11
	v_fmac_f32_e32 v217, v5, v192
	v_add_f32_e32 v2, 0, v2
	v_add_f32_e32 v1, 0, v1
	v_mul_f32_e32 v5, v9, v170
	s_waitcnt vmcnt(23)
	v_fma_f32 v3, v6, v193, -v3
	v_fmac_f32_e32 v218, v7, v193
	v_add_f32_e32 v2, v2, v4
	v_add_f32_e32 v1, v1, v217
	;; [unrolled: 6-line block ×20, first 2 shown]
	s_waitcnt lgkmcnt(0)
	v_mul_f32_e32 v4, v167, v189
	s_waitcnt vmcnt(4)
	v_fma_f32 v5, v164, v212, -v5
	v_mul_f32_e32 v238, v166, v189
	v_add_f32_e32 v2, v2, v3
	v_fmac_f32_e32 v237, v165, v212
	v_add_f32_e32 v1, v1, v236
	v_mul_f32_e32 v3, v169, v190
	s_waitcnt vmcnt(3)
	v_fma_f32 v4, v166, v213, -v4
	v_add_f32_e32 v2, v2, v5
	v_mul_f32_e32 v239, v168, v190
	v_fmac_f32_e32 v238, v167, v213
	v_add_f32_e32 v1, v1, v237
	s_waitcnt vmcnt(2)
	v_fma_f32 v3, v168, v214, -v3
	v_add_f32_e32 v2, v2, v4
	v_fmac_f32_e32 v239, v169, v214
	v_add_f32_e32 v1, v1, v238
	v_add_f32_e32 v2, v2, v3
	;; [unrolled: 1-line block ×3, first 2 shown]
	s_waitcnt vmcnt(1)
	v_sub_f32_e32 v2, v215, v2
	s_waitcnt vmcnt(0)
	v_sub_f32_e32 v1, v216, v1
	buffer_store_dword v2, off, s[0:3], 0 offset:264
	buffer_store_dword v1, off, s[0:3], 0 offset:268
	v_cmpx_lt_u32_e32 32, v0
	s_cbranch_execz .LBB57_297
; %bb.296:
	s_clause 0x1
	buffer_load_dword v1, off, s[0:3], 0 offset:256
	buffer_load_dword v2, off, s[0:3], 0 offset:260
	v_mov_b32_e32 v3, 0
	buffer_store_dword v3, off, s[0:3], 0 offset:256
	buffer_store_dword v3, off, s[0:3], 0 offset:260
	s_waitcnt vmcnt(0)
	ds_write_b64 v129, v[1:2]
.LBB57_297:
	s_or_b32 exec_lo, exec_lo, s4
	s_waitcnt lgkmcnt(0)
	s_waitcnt_vscnt null, 0x0
	s_barrier
	buffer_gl0_inv
	s_clause 0x33
	buffer_load_dword v12, off, s[0:3], 0 offset:268
	buffer_load_dword v170, off, s[0:3], 0 offset:276
	;; [unrolled: 1-line block ×52, first 2 shown]
	v_mov_b32_e32 v1, 0
	ds_read2_b64 v[2:5], v1 offset0:91 offset1:92
	ds_read2_b64 v[6:9], v1 offset0:93 offset1:94
	;; [unrolled: 1-line block ×12, first 2 shown]
	ds_read_b64 v[10:11], v1 offset:920
	s_mov_b32 s4, exec_lo
	s_waitcnt vmcnt(51) lgkmcnt(12)
	v_mul_f32_e32 v221, v2, v12
	v_mul_f32_e32 v12, v3, v12
	s_waitcnt vmcnt(50)
	v_mul_f32_e32 v222, v4, v170
	v_mul_f32_e32 v170, v5, v170
	s_waitcnt vmcnt(49) lgkmcnt(11)
	v_mul_f32_e32 v223, v6, v171
	s_waitcnt vmcnt(48)
	v_mul_f32_e32 v224, v8, v172
	s_waitcnt vmcnt(47) lgkmcnt(10)
	v_mul_f32_e32 v225, v130, v173
	s_waitcnt vmcnt(46)
	;; [unrolled: 4-line block ×11, first 2 shown]
	v_fma_f32 v2, v2, v194, -v12
	v_fmac_f32_e32 v221, v3, v194
	v_mul_f32_e32 v3, v7, v171
	s_waitcnt vmcnt(25)
	v_fma_f32 v4, v4, v195, -v170
	v_fmac_f32_e32 v222, v5, v195
	v_add_f32_e32 v2, 0, v2
	v_add_f32_e32 v5, 0, v221
	v_mul_f32_e32 v12, v9, v172
	s_waitcnt vmcnt(24)
	v_fma_f32 v3, v6, v196, -v3
	v_fmac_f32_e32 v223, v7, v196
	v_add_f32_e32 v2, v2, v4
	v_add_f32_e32 v4, v5, v222
	;; [unrolled: 6-line block ×21, first 2 shown]
	v_mul_f32_e32 v4, v169, v192
	s_waitcnt vmcnt(4)
	v_fma_f32 v5, v166, v216, -v5
	v_mul_f32_e32 v244, v168, v192
	v_add_f32_e32 v2, v2, v6
	v_fmac_f32_e32 v243, v167, v216
	v_add_f32_e32 v3, v3, v242
	s_waitcnt lgkmcnt(0)
	v_mul_f32_e32 v6, v11, v193
	s_waitcnt vmcnt(3)
	v_fma_f32 v4, v168, v217, -v4
	v_add_f32_e32 v2, v2, v5
	v_mul_f32_e32 v245, v10, v193
	v_fmac_f32_e32 v244, v169, v217
	v_add_f32_e32 v3, v3, v243
	s_waitcnt vmcnt(2)
	v_fma_f32 v5, v10, v218, -v6
	v_add_f32_e32 v2, v2, v4
	v_fmac_f32_e32 v245, v11, v218
	v_add_f32_e32 v3, v3, v244
	v_add_f32_e32 v2, v2, v5
	;; [unrolled: 1-line block ×3, first 2 shown]
	s_waitcnt vmcnt(1)
	v_sub_f32_e32 v2, v219, v2
	s_waitcnt vmcnt(0)
	v_sub_f32_e32 v3, v220, v3
	buffer_store_dword v2, off, s[0:3], 0 offset:256
	buffer_store_dword v3, off, s[0:3], 0 offset:260
	v_cmpx_lt_u32_e32 31, v0
	s_cbranch_execz .LBB57_299
; %bb.298:
	s_clause 0x1
	buffer_load_dword v2, off, s[0:3], 0 offset:248
	buffer_load_dword v3, off, s[0:3], 0 offset:252
	buffer_store_dword v1, off, s[0:3], 0 offset:248
	buffer_store_dword v1, off, s[0:3], 0 offset:252
	s_waitcnt vmcnt(0)
	ds_write_b64 v129, v[2:3]
.LBB57_299:
	s_or_b32 exec_lo, exec_lo, s4
	s_waitcnt lgkmcnt(0)
	s_waitcnt_vscnt null, 0x0
	s_barrier
	buffer_gl0_inv
	s_clause 0x35
	buffer_load_dword v10, off, s[0:3], 0 offset:260
	buffer_load_dword v11, off, s[0:3], 0 offset:268
	;; [unrolled: 1-line block ×54, first 2 shown]
	ds_read_b128 v[2:5], v1 offset:720
	ds_read_b128 v[6:9], v1 offset:736
	;; [unrolled: 1-line block ×13, first 2 shown]
	s_mov_b32 s4, exec_lo
	s_waitcnt vmcnt(53) lgkmcnt(12)
	v_mul_f32_e32 v1, v2, v10
	v_mul_f32_e32 v10, v3, v10
	s_waitcnt vmcnt(52)
	v_mul_f32_e32 v225, v4, v11
	v_mul_f32_e32 v11, v5, v11
	s_waitcnt vmcnt(51) lgkmcnt(11)
	v_mul_f32_e32 v226, v6, v12
	s_waitcnt vmcnt(50)
	v_mul_f32_e32 v227, v8, v174
	s_waitcnt vmcnt(49) lgkmcnt(10)
	v_mul_f32_e32 v228, v130, v175
	s_waitcnt vmcnt(48)
	;; [unrolled: 4-line block ×11, first 2 shown]
	v_mul_f32_e32 v247, v168, v194
	s_waitcnt vmcnt(27)
	v_fma_f32 v2, v2, v197, -v10
	v_fmac_f32_e32 v1, v3, v197
	v_mul_f32_e32 v3, v7, v12
	s_waitcnt vmcnt(26)
	v_fma_f32 v4, v4, v198, -v11
	v_fmac_f32_e32 v225, v5, v198
	v_add_f32_e32 v2, 0, v2
	v_add_f32_e32 v1, 0, v1
	v_mul_f32_e32 v5, v9, v174
	s_waitcnt vmcnt(25)
	v_fma_f32 v3, v6, v199, -v3
	v_fmac_f32_e32 v226, v7, v199
	v_add_f32_e32 v2, v2, v4
	v_add_f32_e32 v1, v1, v225
	;; [unrolled: 6-line block ×22, first 2 shown]
	s_waitcnt lgkmcnt(0)
	v_mul_f32_e32 v5, v171, v195
	s_waitcnt vmcnt(4)
	v_fma_f32 v3, v168, v220, -v3
	v_mul_f32_e32 v248, v170, v195
	v_add_f32_e32 v2, v2, v4
	v_fmac_f32_e32 v247, v169, v220
	v_add_f32_e32 v1, v1, v246
	v_mul_f32_e32 v4, v173, v196
	s_waitcnt vmcnt(3)
	v_fma_f32 v5, v170, v221, -v5
	v_add_f32_e32 v2, v2, v3
	v_mul_f32_e32 v249, v172, v196
	v_fmac_f32_e32 v248, v171, v221
	v_add_f32_e32 v1, v1, v247
	s_waitcnt vmcnt(2)
	v_fma_f32 v3, v172, v222, -v4
	v_add_f32_e32 v2, v2, v5
	v_fmac_f32_e32 v249, v173, v222
	v_add_f32_e32 v1, v1, v248
	v_add_f32_e32 v2, v2, v3
	;; [unrolled: 1-line block ×3, first 2 shown]
	s_waitcnt vmcnt(1)
	v_sub_f32_e32 v2, v223, v2
	s_waitcnt vmcnt(0)
	v_sub_f32_e32 v1, v224, v1
	buffer_store_dword v2, off, s[0:3], 0 offset:248
	buffer_store_dword v1, off, s[0:3], 0 offset:252
	v_cmpx_lt_u32_e32 30, v0
	s_cbranch_execz .LBB57_301
; %bb.300:
	s_clause 0x1
	buffer_load_dword v1, off, s[0:3], 0 offset:240
	buffer_load_dword v2, off, s[0:3], 0 offset:244
	v_mov_b32_e32 v3, 0
	buffer_store_dword v3, off, s[0:3], 0 offset:240
	buffer_store_dword v3, off, s[0:3], 0 offset:244
	s_waitcnt vmcnt(0)
	ds_write_b64 v129, v[1:2]
.LBB57_301:
	s_or_b32 exec_lo, exec_lo, s4
	s_waitcnt lgkmcnt(0)
	s_waitcnt_vscnt null, 0x0
	s_barrier
	buffer_gl0_inv
	s_clause 0x37
	buffer_load_dword v143, off, s[0:3], 0 offset:252
	buffer_load_dword v147, off, s[0:3], 0 offset:260
	;; [unrolled: 1-line block ×56, first 2 shown]
	v_mov_b32_e32 v1, 0
	ds_read2_b64 v[131:134], v1 offset0:89 offset1:90
	ds_read2_b64 v[135:138], v1 offset0:91 offset1:92
	;; [unrolled: 1-line block ×3, first 2 shown]
	s_mov_b32 s4, exec_lo
	s_waitcnt vmcnt(55) lgkmcnt(2)
	v_mul_f32_e32 v190, v131, v143
	v_mul_f32_e32 v191, v132, v143
	ds_read2_b64 v[143:146], v1 offset0:95 offset1:96
	s_waitcnt vmcnt(54)
	v_mul_f32_e32 v192, v133, v147
	v_mul_f32_e32 v147, v134, v147
	s_waitcnt vmcnt(51)
	v_fmac_f32_e32 v190, v132, v150
	v_fma_f32 v150, v131, v150, -v191
	s_waitcnt vmcnt(50) lgkmcnt(2)
	v_mul_f32_e32 v191, v135, v151
	v_fmac_f32_e32 v192, v134, v149
	v_fma_f32 v147, v133, v149, -v147
	s_waitcnt vmcnt(49)
	v_mul_f32_e32 v193, v137, v152
	v_mul_f32_e32 v149, v136, v151
	v_mul_f32_e32 v151, v138, v152
	ds_read2_b64 v[131:134], v1 offset0:97 offset1:98
	v_fmac_f32_e32 v191, v136, v148
	s_waitcnt vmcnt(45)
	v_fmac_f32_e32 v193, v138, v156
	v_fma_f32 v148, v135, v148, -v149
	v_fma_f32 v151, v137, v156, -v151
	s_waitcnt vmcnt(44) lgkmcnt(2)
	v_mul_f32_e32 v156, v139, v157
	v_mul_f32_e32 v149, v140, v157
	ds_read2_b64 v[135:138], v1 offset0:99 offset1:100
	s_waitcnt vmcnt(43)
	v_mul_f32_e32 v157, v141, v158
	v_mul_f32_e32 v152, v142, v158
	v_add_f32_e32 v158, 0, v190
	v_fmac_f32_e32 v156, v140, v155
	v_fma_f32 v155, v139, v155, -v149
	v_add_f32_e32 v139, 0, v150
	s_waitcnt vmcnt(42) lgkmcnt(2)
	v_mul_f32_e32 v190, v143, v159
	v_add_f32_e32 v140, v158, v192
	v_mul_f32_e32 v149, v144, v159
	s_waitcnt vmcnt(41)
	v_mul_f32_e32 v192, v145, v160
	v_add_f32_e32 v139, v139, v147
	v_mul_f32_e32 v158, v146, v160
	s_waitcnt vmcnt(40) lgkmcnt(1)
	v_mul_f32_e32 v194, v131, v161
	v_fma_f32 v159, v141, v154, -v152
	v_fmac_f32_e32 v190, v144, v153
	v_fma_f32 v160, v143, v153, -v149
	v_add_f32_e32 v143, v140, v191
	v_add_f32_e32 v144, v139, v148
	v_mul_f32_e32 v152, v132, v161
	s_waitcnt vmcnt(37)
	v_fmac_f32_e32 v194, v132, v164
	s_waitcnt vmcnt(36)
	v_fmac_f32_e32 v192, v146, v165
	v_add_f32_e32 v132, v143, v193
	v_fma_f32 v161, v145, v165, -v158
	v_fma_f32 v164, v131, v164, -v152
	v_add_f32_e32 v131, v144, v151
	s_waitcnt vmcnt(35)
	v_mul_f32_e32 v165, v133, v166
	v_add_f32_e32 v132, v132, v156
	v_mul_f32_e32 v156, v134, v166
	s_waitcnt vmcnt(34) lgkmcnt(0)
	v_mul_f32_e32 v166, v135, v167
	v_add_f32_e32 v131, v131, v155
	v_mul_f32_e32 v155, v136, v167
	v_fmac_f32_e32 v157, v142, v154
	s_waitcnt vmcnt(33)
	v_mul_f32_e32 v191, v137, v168
	v_mul_f32_e32 v167, v138, v168
	v_fmac_f32_e32 v166, v136, v162
	v_fma_f32 v162, v135, v162, -v155
	v_add_f32_e32 v135, v131, v159
	v_add_f32_e32 v132, v132, v157
	s_waitcnt vmcnt(29)
	v_fmac_f32_e32 v191, v138, v172
	v_fma_f32 v167, v137, v172, -v167
	ds_read2_b64 v[139:142], v1 offset0:101 offset1:102
	ds_read2_b64 v[147:150], v1 offset0:103 offset1:104
	v_add_f32_e32 v172, v135, v160
	v_add_f32_e32 v168, v132, v190
	v_fmac_f32_e32 v165, v134, v163
	v_fma_f32 v163, v133, v163, -v156
	ds_read2_b64 v[143:146], v1 offset0:105 offset1:106
	ds_read2_b64 v[151:154], v1 offset0:107 offset1:108
	v_add_f32_e32 v161, v172, v161
	v_add_f32_e32 v168, v168, v192
	ds_read2_b64 v[131:134], v1 offset0:109 offset1:110
	ds_read2_b64 v[155:158], v1 offset0:111 offset1:112
	ds_read2_b64 v[135:138], v1 offset0:113 offset1:114
	ds_read_b64 v[159:160], v1 offset:920
	v_add_f32_e32 v161, v161, v164
	v_add_f32_e32 v168, v168, v194
	v_add_f32_e32 v161, v161, v163
	v_add_f32_e32 v165, v168, v165
	s_waitcnt vmcnt(28) lgkmcnt(7)
	v_mul_f32_e32 v190, v139, v173
	v_mul_f32_e32 v173, v140, v173
	v_add_f32_e32 v161, v161, v162
	v_add_f32_e32 v162, v165, v166
	s_waitcnt vmcnt(27)
	v_mul_f32_e32 v172, v141, v174
	v_mul_f32_e32 v174, v142, v174
	v_fma_f32 v139, v139, v171, -v173
	v_add_f32_e32 v161, v161, v167
	v_fmac_f32_e32 v190, v140, v171
	v_add_f32_e32 v162, v162, v191
	s_waitcnt vmcnt(26) lgkmcnt(6)
	v_mul_f32_e32 v171, v148, v175
	v_fma_f32 v141, v141, v170, -v174
	v_add_f32_e32 v139, v161, v139
	v_mul_f32_e32 v192, v147, v175
	v_fmac_f32_e32 v172, v142, v170
	v_add_f32_e32 v161, v162, v190
	s_waitcnt vmcnt(25)
	v_mul_f32_e32 v167, v150, v176
	v_fma_f32 v147, v147, v169, -v171
	v_add_f32_e32 v139, v139, v141
	v_mul_f32_e32 v164, v149, v176
	v_fmac_f32_e32 v192, v148, v169
	v_add_f32_e32 v141, v161, v172
	s_waitcnt vmcnt(24) lgkmcnt(5)
	v_mul_f32_e32 v148, v144, v177
	s_waitcnt vmcnt(10)
	v_fma_f32 v149, v149, v183, -v167
	v_add_f32_e32 v139, v139, v147
	v_mul_f32_e32 v140, v143, v177
	v_fmac_f32_e32 v164, v150, v183
	v_add_f32_e32 v141, v141, v192
	v_mul_f32_e32 v147, v146, v178
	v_fma_f32 v143, v143, v182, -v148
	v_add_f32_e32 v139, v139, v149
	v_mul_f32_e32 v168, v145, v178
	v_fmac_f32_e32 v140, v144, v182
	v_add_f32_e32 v141, v141, v164
	s_waitcnt lgkmcnt(4)
	v_mul_f32_e32 v144, v152, v179
	v_fma_f32 v145, v145, v181, -v147
	v_add_f32_e32 v139, v139, v143
	v_mul_f32_e32 v163, v151, v179
	v_fmac_f32_e32 v168, v146, v181
	v_add_f32_e32 v140, v141, v140
	v_mul_f32_e32 v142, v153, v130
	v_mul_f32_e32 v130, v154, v130
	v_fma_f32 v141, v151, v180, -v144
	v_add_f32_e32 v139, v139, v145
	v_fmac_f32_e32 v163, v152, v180
	v_add_f32_e32 v140, v140, v168
	s_waitcnt lgkmcnt(3)
	v_mul_f32_e32 v170, v131, v11
	v_mul_f32_e32 v11, v132, v11
	s_waitcnt vmcnt(6)
	v_fma_f32 v130, v153, v187, -v130
	v_add_f32_e32 v139, v139, v141
	v_fmac_f32_e32 v142, v154, v187
	v_add_f32_e32 v140, v140, v163
	v_mul_f32_e32 v165, v133, v10
	v_mul_f32_e32 v10, v134, v10
	v_fma_f32 v11, v131, v186, -v11
	v_add_f32_e32 v130, v139, v130
	v_fmac_f32_e32 v170, v132, v186
	v_add_f32_e32 v131, v140, v142
	s_waitcnt lgkmcnt(2)
	v_mul_f32_e32 v166, v155, v9
	v_mul_f32_e32 v9, v156, v9
	v_fma_f32 v10, v133, v185, -v10
	v_add_f32_e32 v11, v130, v11
	v_fmac_f32_e32 v165, v134, v185
	v_add_f32_e32 v130, v131, v170
	v_mul_f32_e32 v173, v157, v7
	v_mul_f32_e32 v7, v158, v7
	v_fma_f32 v9, v155, v184, -v9
	v_add_f32_e32 v10, v11, v10
	v_fmac_f32_e32 v166, v156, v184
	v_add_f32_e32 v11, v130, v165
	s_waitcnt lgkmcnt(1)
	v_mul_f32_e32 v174, v135, v6
	v_mul_f32_e32 v6, v136, v6
	s_waitcnt vmcnt(2)
	v_fma_f32 v7, v157, v189, -v7
	v_add_f32_e32 v9, v10, v9
	v_fmac_f32_e32 v173, v158, v189
	v_add_f32_e32 v10, v11, v166
	v_mul_f32_e32 v175, v137, v2
	v_mul_f32_e32 v2, v138, v2
	v_fma_f32 v6, v135, v188, -v6
	v_add_f32_e32 v7, v9, v7
	v_fmac_f32_e32 v174, v136, v188
	v_add_f32_e32 v9, v10, v173
	s_waitcnt lgkmcnt(0)
	v_mul_f32_e32 v162, v159, v3
	v_mul_f32_e32 v3, v160, v3
	v_fma_f32 v2, v137, v12, -v2
	v_add_f32_e32 v6, v7, v6
	v_fmac_f32_e32 v175, v138, v12
	v_add_f32_e32 v7, v9, v174
	v_fma_f32 v3, v159, v8, -v3
	v_fmac_f32_e32 v162, v160, v8
	v_add_f32_e32 v2, v6, v2
	v_add_f32_e32 v6, v7, v175
	;; [unrolled: 1-line block ×4, first 2 shown]
	s_waitcnt vmcnt(1)
	v_sub_f32_e32 v2, v4, v2
	s_waitcnt vmcnt(0)
	v_sub_f32_e32 v3, v5, v3
	buffer_store_dword v2, off, s[0:3], 0 offset:240
	buffer_store_dword v3, off, s[0:3], 0 offset:244
	v_cmpx_lt_u32_e32 29, v0
	s_cbranch_execz .LBB57_303
; %bb.302:
	s_clause 0x1
	buffer_load_dword v2, off, s[0:3], 0 offset:232
	buffer_load_dword v3, off, s[0:3], 0 offset:236
	buffer_store_dword v1, off, s[0:3], 0 offset:232
	buffer_store_dword v1, off, s[0:3], 0 offset:236
	s_waitcnt vmcnt(0)
	ds_write_b64 v129, v[2:3]
.LBB57_303:
	s_or_b32 exec_lo, exec_lo, s4
	s_waitcnt lgkmcnt(0)
	s_waitcnt_vscnt null, 0x0
	s_barrier
	buffer_gl0_inv
	s_clause 0x39
	buffer_load_dword v149, off, s[0:3], 0 offset:244
	buffer_load_dword v150, off, s[0:3], 0 offset:252
	;; [unrolled: 1-line block ×58, first 2 shown]
	ds_read_b128 v[137:140], v1 offset:704
	ds_read_b128 v[141:144], v1 offset:720
	;; [unrolled: 1-line block ×3, first 2 shown]
	s_mov_b32 s4, exec_lo
	s_waitcnt vmcnt(57) lgkmcnt(2)
	v_mul_f32_e32 v189, v137, v149
	v_mul_f32_e32 v149, v138, v149
	s_waitcnt vmcnt(56)
	v_mul_f32_e32 v190, v139, v150
	v_mul_f32_e32 v150, v140, v150
	s_waitcnt vmcnt(53)
	v_fmac_f32_e32 v189, v138, v153
	v_fma_f32 v149, v137, v153, -v149
	v_fmac_f32_e32 v190, v140, v152
	v_fma_f32 v153, v139, v152, -v150
	ds_read_b128 v[137:140], v1 offset:752
	s_waitcnt vmcnt(52) lgkmcnt(2)
	v_mul_f32_e32 v191, v141, v154
	v_mul_f32_e32 v150, v142, v154
	s_waitcnt vmcnt(51)
	v_mul_f32_e32 v154, v143, v155
	v_mul_f32_e32 v152, v144, v155
	s_waitcnt vmcnt(50) lgkmcnt(1)
	v_mul_f32_e32 v192, v145, v156
	v_mul_f32_e32 v155, v146, v156
	s_waitcnt vmcnt(49)
	v_mul_f32_e32 v193, v147, v157
	v_mul_f32_e32 v156, v148, v157
	v_fmac_f32_e32 v191, v142, v151
	v_fma_f32 v157, v141, v151, -v150
	s_waitcnt vmcnt(45)
	v_fmac_f32_e32 v154, v144, v161
	v_fma_f32 v161, v143, v161, -v152
	ds_read_b128 v[141:144], v1 offset:768
	v_fmac_f32_e32 v192, v146, v160
	v_fma_f32 v160, v145, v160, -v155
	v_fmac_f32_e32 v193, v148, v159
	v_fma_f32 v194, v147, v159, -v156
	ds_read_b128 v[145:148], v1 offset:784
	v_add_f32_e32 v155, 0, v149
	s_waitcnt vmcnt(44) lgkmcnt(2)
	v_mul_f32_e32 v195, v137, v162
	v_mul_f32_e32 v150, v138, v162
	s_waitcnt vmcnt(43)
	v_mul_f32_e32 v162, v139, v163
	v_mul_f32_e32 v151, v140, v163
	v_add_f32_e32 v156, 0, v189
	v_add_f32_e32 v153, v155, v153
	v_fmac_f32_e32 v195, v138, v158
	v_fma_f32 v163, v137, v158, -v150
	s_waitcnt vmcnt(39)
	v_fmac_f32_e32 v162, v140, v167
	v_fma_f32 v167, v139, v167, -v151
	ds_read_b128 v[137:140], v1 offset:800
	ds_read_b128 v[149:152], v1 offset:816
	v_add_f32_e32 v156, v156, v190
	v_add_f32_e32 v153, v153, v157
	s_waitcnt vmcnt(38) lgkmcnt(3)
	v_mul_f32_e32 v189, v141, v168
	v_mul_f32_e32 v155, v142, v168
	s_waitcnt vmcnt(37)
	v_mul_f32_e32 v168, v143, v169
	v_mul_f32_e32 v158, v144, v169
	v_add_f32_e32 v156, v156, v191
	s_waitcnt vmcnt(36) lgkmcnt(2)
	v_mul_f32_e32 v169, v145, v170
	v_mul_f32_e32 v157, v146, v170
	v_fmac_f32_e32 v168, v144, v165
	v_fma_f32 v165, v143, v165, -v158
	v_add_f32_e32 v158, v153, v161
	v_add_f32_e32 v159, v156, v154
	s_waitcnt vmcnt(35)
	v_mul_f32_e32 v161, v148, v171
	v_mul_f32_e32 v190, v147, v171
	v_fmac_f32_e32 v169, v146, v164
	v_fma_f32 v170, v145, v164, -v157
	v_add_f32_e32 v164, v158, v160
	s_waitcnt vmcnt(31)
	v_fma_f32 v171, v147, v174, -v161
	v_add_f32_e32 v161, v159, v192
	v_fmac_f32_e32 v190, v148, v174
	s_waitcnt vmcnt(30) lgkmcnt(1)
	v_mul_f32_e32 v174, v137, v175
	v_add_f32_e32 v164, v164, v194
	v_mul_f32_e32 v175, v138, v175
	v_add_f32_e32 v161, v161, v193
	v_fmac_f32_e32 v189, v142, v166
	v_fmac_f32_e32 v174, v138, v173
	v_add_f32_e32 v138, v164, v163
	v_fma_f32 v166, v141, v166, -v155
	v_add_f32_e32 v161, v161, v195
	v_fma_f32 v173, v137, v173, -v175
	ds_read_b128 v[141:144], v1 offset:832
	ds_read_b128 v[153:156], v1 offset:848
	v_add_f32_e32 v167, v138, v167
	s_waitcnt vmcnt(29)
	v_mul_f32_e32 v191, v139, v176
	v_add_f32_e32 v175, v161, v162
	v_mul_f32_e32 v176, v140, v176
	ds_read_b128 v[145:148], v1 offset:864
	ds_read_b128 v[157:160], v1 offset:880
	v_add_f32_e32 v166, v167, v166
	v_fmac_f32_e32 v191, v140, v172
	v_add_f32_e32 v175, v175, v189
	v_fma_f32 v172, v139, v172, -v176
	ds_read_b128 v[137:140], v1 offset:896
	ds_read_b128 v[161:164], v1 offset:912
	v_add_f32_e32 v165, v166, v165
	s_waitcnt vmcnt(28) lgkmcnt(6)
	v_mul_f32_e32 v1, v149, v177
	v_add_f32_e32 v168, v175, v168
	v_mul_f32_e32 v167, v150, v177
	s_waitcnt vmcnt(27)
	v_mul_f32_e32 v177, v152, v178
	v_add_f32_e32 v165, v165, v170
	v_fmac_f32_e32 v1, v150, v12
	v_add_f32_e32 v168, v168, v169
	v_fma_f32 v12, v149, v12, -v167
	v_mul_f32_e32 v176, v151, v178
	v_add_f32_e32 v165, v165, v171
	s_waitcnt vmcnt(26) lgkmcnt(5)
	v_mul_f32_e32 v166, v141, v135
	v_add_f32_e32 v168, v168, v190
	v_mul_f32_e32 v135, v142, v135
	s_waitcnt vmcnt(11)
	v_fma_f32 v151, v151, v182, -v177
	v_add_f32_e32 v165, v165, v173
	v_fmac_f32_e32 v176, v152, v182
	v_add_f32_e32 v168, v168, v174
	v_mul_f32_e32 v175, v143, v134
	v_mul_f32_e32 v134, v144, v134
	v_add_f32_e32 v150, v165, v172
	v_fma_f32 v135, v141, v181, -v135
	v_add_f32_e32 v165, v168, v191
	v_fmac_f32_e32 v166, v142, v181
	s_waitcnt lgkmcnt(4)
	v_mul_f32_e32 v178, v153, v133
	v_add_f32_e32 v12, v150, v12
	v_mul_f32_e32 v133, v154, v133
	v_add_f32_e32 v1, v165, v1
	v_fma_f32 v134, v143, v180, -v134
	v_fmac_f32_e32 v175, v144, v180
	v_add_f32_e32 v12, v12, v151
	v_mul_f32_e32 v170, v155, v132
	v_add_f32_e32 v1, v1, v176
	v_mul_f32_e32 v132, v156, v132
	v_fma_f32 v133, v153, v179, -v133
	v_add_f32_e32 v12, v12, v135
	v_fmac_f32_e32 v178, v154, v179
	v_add_f32_e32 v1, v1, v166
	s_waitcnt lgkmcnt(3)
	v_mul_f32_e32 v169, v145, v130
	v_mul_f32_e32 v130, v146, v130
	v_add_f32_e32 v12, v12, v134
	s_waitcnt vmcnt(7)
	v_fma_f32 v132, v155, v186, -v132
	v_add_f32_e32 v1, v1, v175
	v_fmac_f32_e32 v170, v156, v186
	v_mul_f32_e32 v189, v147, v11
	v_add_f32_e32 v12, v12, v133
	v_mul_f32_e32 v11, v148, v11
	v_add_f32_e32 v1, v1, v178
	v_fma_f32 v130, v145, v185, -v130
	v_fmac_f32_e32 v169, v146, v185
	v_add_f32_e32 v12, v12, v132
	s_waitcnt lgkmcnt(2)
	v_mul_f32_e32 v171, v157, v10
	v_add_f32_e32 v1, v1, v170
	v_mul_f32_e32 v10, v158, v10
	v_fma_f32 v11, v147, v184, -v11
	v_add_f32_e32 v12, v12, v130
	v_fmac_f32_e32 v189, v148, v184
	v_add_f32_e32 v1, v1, v169
	v_mul_f32_e32 v190, v159, v8
	v_mul_f32_e32 v8, v160, v8
	v_fma_f32 v10, v157, v183, -v10
	v_add_f32_e32 v11, v12, v11
	v_fmac_f32_e32 v171, v158, v183
	v_add_f32_e32 v1, v1, v189
	s_waitcnt lgkmcnt(1)
	v_mul_f32_e32 v192, v137, v7
	v_mul_f32_e32 v7, v138, v7
	s_waitcnt vmcnt(3)
	v_fma_f32 v8, v159, v188, -v8
	v_add_f32_e32 v10, v11, v10
	v_fmac_f32_e32 v190, v160, v188
	v_add_f32_e32 v1, v1, v171
	v_mul_f32_e32 v173, v139, v6
	v_mul_f32_e32 v6, v140, v6
	v_fma_f32 v7, v137, v187, -v7
	v_add_f32_e32 v8, v10, v8
	v_fmac_f32_e32 v192, v138, v187
	v_add_f32_e32 v1, v1, v190
	s_waitcnt lgkmcnt(0)
	v_mul_f32_e32 v174, v161, v5
	v_mul_f32_e32 v5, v162, v5
	v_fma_f32 v6, v139, v136, -v6
	v_add_f32_e32 v7, v8, v7
	v_fmac_f32_e32 v173, v140, v136
	v_add_f32_e32 v1, v1, v192
	v_mul_f32_e32 v149, v163, v2
	v_mul_f32_e32 v2, v164, v2
	v_fma_f32 v5, v161, v131, -v5
	v_add_f32_e32 v6, v7, v6
	v_fmac_f32_e32 v174, v162, v131
	v_add_f32_e32 v1, v1, v173
	s_waitcnt vmcnt(2)
	v_fma_f32 v2, v163, v9, -v2
	v_fmac_f32_e32 v149, v164, v9
	v_add_f32_e32 v5, v6, v5
	v_add_f32_e32 v1, v1, v174
	;; [unrolled: 1-line block ×4, first 2 shown]
	s_waitcnt vmcnt(1)
	v_sub_f32_e32 v2, v3, v2
	s_waitcnt vmcnt(0)
	v_sub_f32_e32 v1, v4, v1
	buffer_store_dword v2, off, s[0:3], 0 offset:232
	buffer_store_dword v1, off, s[0:3], 0 offset:236
	v_cmpx_lt_u32_e32 28, v0
	s_cbranch_execz .LBB57_305
; %bb.304:
	s_clause 0x1
	buffer_load_dword v1, off, s[0:3], 0 offset:224
	buffer_load_dword v2, off, s[0:3], 0 offset:228
	v_mov_b32_e32 v3, 0
	buffer_store_dword v3, off, s[0:3], 0 offset:224
	buffer_store_dword v3, off, s[0:3], 0 offset:228
	s_waitcnt vmcnt(0)
	ds_write_b64 v129, v[1:2]
.LBB57_305:
	s_or_b32 exec_lo, exec_lo, s4
	s_waitcnt lgkmcnt(0)
	s_waitcnt_vscnt null, 0x0
	s_barrier
	buffer_gl0_inv
	s_clause 0x3b
	buffer_load_dword v161, off, s[0:3], 0 offset:236
	buffer_load_dword v162, off, s[0:3], 0 offset:244
	;; [unrolled: 1-line block ×60, first 2 shown]
	v_mov_b32_e32 v1, 0
	ds_read2_b64 v[149:152], v1 offset0:87 offset1:88
	ds_read2_b64 v[153:156], v1 offset0:89 offset1:90
	;; [unrolled: 1-line block ×3, first 2 shown]
	s_mov_b32 s4, exec_lo
	s_waitcnt vmcnt(59) lgkmcnt(2)
	v_mul_f32_e32 v191, v149, v161
	s_waitcnt vmcnt(58)
	v_mul_f32_e32 v192, v151, v162
	v_mul_f32_e32 v161, v150, v161
	;; [unrolled: 1-line block ×3, first 2 shown]
	s_waitcnt vmcnt(55)
	v_fmac_f32_e32 v191, v150, v164
	v_fmac_f32_e32 v192, v152, v163
	v_fma_f32 v161, v149, v164, -v161
	v_fma_f32 v162, v151, v163, -v162
	ds_read2_b64 v[149:152], v1 offset0:93 offset1:94
	s_waitcnt vmcnt(54) lgkmcnt(2)
	v_mul_f32_e32 v193, v153, v145
	v_mul_f32_e32 v145, v154, v145
	s_waitcnt vmcnt(53)
	v_mul_f32_e32 v194, v155, v144
	v_mul_f32_e32 v144, v156, v144
	s_waitcnt vmcnt(47) lgkmcnt(1)
	v_mul_f32_e32 v163, v160, v168
	v_fmac_f32_e32 v193, v154, v140
	v_fma_f32 v140, v153, v140, -v145
	v_fmac_f32_e32 v194, v156, v167
	v_fma_f32 v144, v155, v167, -v144
	ds_read2_b64 v[153:156], v1 offset0:95 offset1:96
	v_mul_f32_e32 v195, v159, v168
	v_mul_f32_e32 v145, v157, v142
	;; [unrolled: 1-line block ×3, first 2 shown]
	v_fma_f32 v196, v159, v165, -v163
	v_fmac_f32_e32 v195, v160, v165
	v_add_f32_e32 v165, 0, v191
	v_fmac_f32_e32 v145, v158, v166
	v_fma_f32 v142, v157, v166, -v142
	s_waitcnt vmcnt(46) lgkmcnt(1)
	v_mul_f32_e32 v197, v149, v169
	v_mul_f32_e32 v163, v150, v169
	ds_read2_b64 v[157:160], v1 offset0:97 offset1:98
	v_add_f32_e32 v165, v165, v192
	s_waitcnt vmcnt(45)
	v_mul_f32_e32 v198, v151, v170
	v_fmac_f32_e32 v197, v150, v147
	v_add_f32_e32 v150, 0, v161
	v_mul_f32_e32 v164, v152, v170
	v_add_f32_e32 v165, v165, v193
	s_waitcnt vmcnt(41)
	v_fmac_f32_e32 v198, v152, v173
	v_fma_f32 v147, v149, v147, -v163
	v_add_f32_e32 v166, v150, v162
	v_fma_f32 v173, v151, v173, -v164
	v_add_f32_e32 v165, v165, v194
	ds_read2_b64 v[149:152], v1 offset0:99 offset1:100
	ds_read2_b64 v[161:164], v1 offset0:101 offset1:102
	s_waitcnt vmcnt(40) lgkmcnt(3)
	v_mul_f32_e32 v191, v153, v174
	v_add_f32_e32 v140, v166, v140
	v_mul_f32_e32 v166, v154, v174
	v_add_f32_e32 v145, v165, v145
	s_waitcnt vmcnt(39)
	v_mul_f32_e32 v167, v156, v175
	v_mul_f32_e32 v192, v155, v175
	v_add_f32_e32 v140, v140, v144
	s_waitcnt vmcnt(37) lgkmcnt(2)
	v_mul_f32_e32 v144, v159, v141
	v_mul_f32_e32 v141, v160, v141
	v_fma_f32 v174, v153, v172, -v166
	v_fmac_f32_e32 v191, v154, v172
	v_add_f32_e32 v140, v140, v142
	v_add_f32_e32 v142, v145, v195
	s_waitcnt vmcnt(33)
	v_fma_f32 v145, v159, v179, -v141
	v_mul_f32_e32 v193, v157, v176
	v_mul_f32_e32 v169, v158, v176
	v_add_f32_e32 v140, v140, v196
	v_add_f32_e32 v141, v142, v197
	v_fma_f32 v194, v155, v171, -v167
	s_waitcnt vmcnt(32) lgkmcnt(1)
	v_mul_f32_e32 v142, v149, v180
	v_mul_f32_e32 v175, v150, v180
	v_add_f32_e32 v140, v140, v147
	v_add_f32_e32 v141, v141, v198
	v_fmac_f32_e32 v192, v156, v171
	v_fmac_f32_e32 v144, v160, v179
	;; [unrolled: 1-line block ×3, first 2 shown]
	v_add_f32_e32 v140, v140, v173
	v_add_f32_e32 v179, v141, v191
	v_fma_f32 v137, v157, v137, -v169
	ds_read2_b64 v[153:156], v1 offset0:103 offset1:104
	ds_read2_b64 v[165:168], v1 offset0:105 offset1:106
	s_waitcnt vmcnt(31)
	v_mul_f32_e32 v147, v151, v181
	v_add_f32_e32 v180, v140, v174
	v_add_f32_e32 v179, v179, v192
	v_mul_f32_e32 v176, v152, v181
	v_fmac_f32_e32 v142, v150, v178
	v_fma_f32 v178, v149, v178, -v175
	v_add_f32_e32 v180, v180, v194
	v_add_f32_e32 v179, v179, v193
	v_fmac_f32_e32 v147, v152, v177
	v_fma_f32 v177, v151, v177, -v176
	s_waitcnt vmcnt(30) lgkmcnt(2)
	v_mul_f32_e32 v181, v161, v135
	v_add_f32_e32 v137, v180, v137
	v_add_f32_e32 v144, v179, v144
	v_mul_f32_e32 v135, v162, v135
	s_waitcnt vmcnt(29)
	v_mul_f32_e32 v191, v163, v136
	v_mul_f32_e32 v136, v164, v136
	v_add_f32_e32 v137, v137, v145
	v_add_f32_e32 v142, v144, v142
	v_fmac_f32_e32 v181, v162, v131
	v_fma_f32 v131, v161, v131, -v135
	s_waitcnt vmcnt(28) lgkmcnt(1)
	v_mul_f32_e32 v192, v153, v132
	v_add_f32_e32 v137, v137, v178
	v_add_f32_e32 v142, v142, v147
	v_mul_f32_e32 v132, v154, v132
	s_waitcnt vmcnt(20)
	v_fma_f32 v136, v163, v185, -v136
	ds_read2_b64 v[157:160], v1 offset0:107 offset1:108
	ds_read2_b64 v[169:172], v1 offset0:109 offset1:110
	v_add_f32_e32 v137, v137, v177
	v_fmac_f32_e32 v191, v164, v185
	v_mul_f32_e32 v180, v155, v10
	v_mul_f32_e32 v10, v156, v10
	v_fma_f32 v132, v153, v184, -v132
	v_add_f32_e32 v131, v137, v131
	v_add_f32_e32 v137, v142, v181
	v_fmac_f32_e32 v192, v154, v184
	s_waitcnt lgkmcnt(2)
	v_mul_f32_e32 v135, v165, v8
	v_mul_f32_e32 v8, v166, v8
	v_add_f32_e32 v131, v131, v136
	v_add_f32_e32 v136, v137, v191
	v_fma_f32 v10, v155, v183, -v10
	v_fmac_f32_e32 v180, v156, v183
	v_mul_f32_e32 v161, v167, v6
	v_add_f32_e32 v131, v131, v132
	v_add_f32_e32 v132, v136, v192
	v_mul_f32_e32 v6, v168, v6
	v_fma_f32 v8, v165, v182, -v8
	v_fmac_f32_e32 v135, v166, v182
	v_add_f32_e32 v10, v131, v10
	v_add_f32_e32 v131, v132, v180
	s_waitcnt lgkmcnt(1)
	v_mul_f32_e32 v145, v157, v5
	v_mul_f32_e32 v5, v158, v5
	s_waitcnt vmcnt(8)
	v_fma_f32 v6, v167, v190, -v6
	v_add_f32_e32 v8, v10, v8
	v_fmac_f32_e32 v161, v168, v190
	v_add_f32_e32 v10, v131, v135
	ds_read2_b64 v[149:152], v1 offset0:111 offset1:112
	ds_read2_b64 v[173:176], v1 offset0:113 offset1:114
	ds_read_b64 v[140:141], v1 offset:920
	v_mul_f32_e32 v131, v160, v186
	v_fma_f32 v5, v157, v189, -v5
	v_add_f32_e32 v6, v8, v6
	v_mul_f32_e32 v162, v159, v186
	v_fmac_f32_e32 v145, v158, v189
	v_add_f32_e32 v8, v10, v161
	s_waitcnt lgkmcnt(3)
	v_mul_f32_e32 v10, v170, v187
	v_fma_f32 v131, v159, v188, -v131
	v_add_f32_e32 v5, v6, v5
	v_mul_f32_e32 v163, v169, v187
	v_fmac_f32_e32 v162, v160, v188
	v_add_f32_e32 v6, v8, v145
	v_mul_f32_e32 v8, v172, v143
	v_fma_f32 v10, v169, v148, -v10
	v_add_f32_e32 v5, v5, v131
	v_mul_f32_e32 v144, v171, v143
	v_fmac_f32_e32 v163, v170, v148
	v_add_f32_e32 v6, v6, v162
	s_waitcnt lgkmcnt(2)
	v_mul_f32_e32 v131, v150, v138
	s_waitcnt vmcnt(4)
	v_fma_f32 v8, v171, v146, -v8
	v_add_f32_e32 v5, v5, v10
	v_mul_f32_e32 v164, v149, v138
	v_fmac_f32_e32 v144, v172, v146
	v_add_f32_e32 v6, v6, v163
	v_mul_f32_e32 v10, v152, v134
	v_fma_f32 v131, v149, v139, -v131
	v_add_f32_e32 v5, v5, v8
	v_mul_f32_e32 v178, v151, v134
	v_fmac_f32_e32 v164, v150, v139
	v_add_f32_e32 v6, v6, v144
	s_waitcnt lgkmcnt(1)
	v_mul_f32_e32 v8, v174, v130
	v_fma_f32 v10, v151, v133, -v10
	v_add_f32_e32 v5, v5, v131
	v_mul_f32_e32 v147, v173, v130
	v_fmac_f32_e32 v178, v152, v133
	v_add_f32_e32 v6, v6, v164
	v_mul_f32_e32 v177, v175, v9
	v_mul_f32_e32 v9, v176, v9
	v_fma_f32 v8, v173, v12, -v8
	v_add_f32_e32 v5, v5, v10
	v_fmac_f32_e32 v147, v174, v12
	v_add_f32_e32 v6, v6, v178
	s_waitcnt lgkmcnt(0)
	v_mul_f32_e32 v142, v140, v4
	v_mul_f32_e32 v4, v141, v4
	s_waitcnt vmcnt(2)
	v_fma_f32 v9, v175, v11, -v9
	v_add_f32_e32 v5, v5, v8
	v_fmac_f32_e32 v177, v176, v11
	v_add_f32_e32 v6, v6, v147
	v_fma_f32 v4, v140, v7, -v4
	v_fmac_f32_e32 v142, v141, v7
	v_add_f32_e32 v5, v5, v9
	v_add_f32_e32 v6, v6, v177
	;; [unrolled: 1-line block ×4, first 2 shown]
	s_waitcnt vmcnt(1)
	v_sub_f32_e32 v2, v2, v4
	s_waitcnt vmcnt(0)
	v_sub_f32_e32 v3, v3, v5
	buffer_store_dword v2, off, s[0:3], 0 offset:224
	buffer_store_dword v3, off, s[0:3], 0 offset:228
	v_cmpx_lt_u32_e32 27, v0
	s_cbranch_execz .LBB57_307
; %bb.306:
	s_clause 0x1
	buffer_load_dword v2, off, s[0:3], 0 offset:216
	buffer_load_dword v3, off, s[0:3], 0 offset:220
	buffer_store_dword v1, off, s[0:3], 0 offset:216
	buffer_store_dword v1, off, s[0:3], 0 offset:220
	s_waitcnt vmcnt(0)
	ds_write_b64 v129, v[2:3]
.LBB57_307:
	s_or_b32 exec_lo, exec_lo, s4
	s_waitcnt lgkmcnt(0)
	s_waitcnt_vscnt null, 0x0
	s_barrier
	buffer_gl0_inv
	s_clause 0x3d
	buffer_load_dword v159, off, s[0:3], 0 offset:228
	buffer_load_dword v160, off, s[0:3], 0 offset:236
	;; [unrolled: 1-line block ×62, first 2 shown]
	ds_read_b128 v[151:154], v1 offset:688
	ds_read_b128 v[155:158], v1 offset:704
	s_mov_b32 s4, exec_lo
	s_waitcnt vmcnt(61) lgkmcnt(1)
	v_mul_f32_e32 v170, v151, v159
	s_waitcnt vmcnt(60)
	v_mul_f32_e32 v190, v153, v160
	v_mul_f32_e32 v159, v152, v159
	;; [unrolled: 1-line block ×3, first 2 shown]
	s_waitcnt vmcnt(57)
	v_fmac_f32_e32 v170, v152, v162
	v_fmac_f32_e32 v190, v154, v161
	v_fma_f32 v159, v151, v162, -v159
	v_fma_f32 v191, v153, v161, -v160
	ds_read_b128 v[151:154], v1 offset:720
	s_waitcnt vmcnt(56) lgkmcnt(1)
	v_mul_f32_e32 v192, v155, v163
	v_mul_f32_e32 v160, v156, v163
	s_waitcnt vmcnt(55)
	v_mul_f32_e32 v193, v157, v164
	v_mul_f32_e32 v161, v158, v164
	v_fmac_f32_e32 v192, v156, v148
	v_fma_f32 v148, v155, v148, -v160
	s_waitcnt vmcnt(51)
	v_fmac_f32_e32 v193, v158, v165
	v_fma_f32 v194, v157, v165, -v161
	ds_read_b128 v[155:158], v1 offset:736
	s_waitcnt vmcnt(49) lgkmcnt(1)
	v_mul_f32_e32 v196, v153, v143
	v_mul_f32_e32 v143, v154, v143
	v_mul_f32_e32 v195, v151, v144
	v_mul_f32_e32 v144, v152, v144
	v_fmac_f32_e32 v196, v154, v138
	v_fma_f32 v138, v153, v138, -v143
	v_fmac_f32_e32 v195, v152, v139
	v_fma_f32 v139, v151, v139, -v144
	ds_read_b128 v[151:154], v1 offset:752
	s_waitcnt vmcnt(48) lgkmcnt(1)
	v_mul_f32_e32 v197, v155, v11
	v_mul_f32_e32 v11, v156, v11
	s_waitcnt vmcnt(47)
	v_mul_f32_e32 v198, v157, v166
	v_mul_f32_e32 v143, v158, v166
	v_add_f32_e32 v144, 0, v170
	v_fmac_f32_e32 v197, v156, v7
	v_fma_f32 v7, v155, v7, -v11
	s_waitcnt vmcnt(43)
	v_fmac_f32_e32 v198, v158, v167
	v_fma_f32 v11, v157, v167, -v143
	ds_read_b128 v[155:158], v1 offset:768
	v_add_f32_e32 v143, 0, v159
	v_add_f32_e32 v144, v144, v190
	ds_read_b128 v[159:162], v1 offset:784
	ds_read_b128 v[163:166], v1 offset:800
	v_add_f32_e32 v143, v143, v191
	v_add_f32_e32 v144, v144, v192
	s_waitcnt vmcnt(42) lgkmcnt(3)
	v_mul_f32_e32 v191, v151, v150
	v_add_f32_e32 v143, v143, v148
	v_add_f32_e32 v144, v144, v193
	v_mul_f32_e32 v150, v152, v150
	s_waitcnt vmcnt(41)
	v_mul_f32_e32 v190, v153, v142
	v_mul_f32_e32 v142, v154, v142
	v_add_f32_e32 v143, v143, v194
	v_fmac_f32_e32 v191, v152, v145
	v_fma_f32 v148, v151, v145, -v150
	v_fmac_f32_e32 v190, v154, v9
	s_waitcnt vmcnt(40) lgkmcnt(2)
	v_mul_f32_e32 v192, v155, v140
	v_mul_f32_e32 v140, v156, v140
	v_add_f32_e32 v139, v143, v139
	v_add_f32_e32 v143, v144, v195
	s_waitcnt vmcnt(39)
	v_mul_f32_e32 v193, v157, v146
	v_fmac_f32_e32 v192, v156, v8
	v_fma_f32 v140, v155, v8, -v140
	v_add_f32_e32 v8, v139, v138
	v_add_f32_e32 v138, v143, v196
	v_mul_f32_e32 v146, v158, v146
	s_waitcnt vmcnt(38) lgkmcnt(1)
	v_mul_f32_e32 v194, v159, v134
	v_mul_f32_e32 v134, v160, v134
	v_add_f32_e32 v7, v8, v7
	v_add_f32_e32 v8, v138, v197
	v_fma_f32 v9, v153, v9, -v142
	s_waitcnt vmcnt(32) lgkmcnt(0)
	v_mul_f32_e32 v138, v163, v132
	v_mul_f32_e32 v132, v164, v132
	v_add_f32_e32 v7, v7, v11
	v_add_f32_e32 v8, v8, v198
	v_mul_f32_e32 v11, v161, v135
	v_fmac_f32_e32 v193, v158, v169
	v_fma_f32 v139, v157, v169, -v146
	v_add_f32_e32 v7, v7, v148
	v_fma_f32 v146, v159, v168, -v134
	s_waitcnt vmcnt(31)
	v_mul_f32_e32 v158, v166, v133
	v_add_f32_e32 v159, v8, v191
	v_mul_f32_e32 v134, v162, v135
	v_fmac_f32_e32 v11, v162, v12
	v_fma_f32 v162, v163, v10, -v132
	v_add_f32_e32 v163, v7, v9
	v_mul_f32_e32 v148, v165, v133
	v_fmac_f32_e32 v138, v164, v10
	s_waitcnt vmcnt(27)
	v_fma_f32 v164, v165, v174, -v158
	v_add_f32_e32 v165, v159, v190
	v_add_f32_e32 v140, v163, v140
	ds_read_b128 v[142:145], v1 offset:816
	ds_read_b128 v[150:153], v1 offset:832
	v_fmac_f32_e32 v194, v160, v168
	v_fma_f32 v12, v161, v12, -v134
	v_add_f32_e32 v165, v165, v192
	v_add_f32_e32 v139, v140, v139
	ds_read_b128 v[154:157], v1 offset:848
	ds_read_b128 v[167:170], v1 offset:864
	;; [unrolled: 1-line block ×4, first 2 shown]
	v_fmac_f32_e32 v148, v166, v174
	v_add_f32_e32 v165, v165, v193
	v_add_f32_e32 v139, v139, v146
	ds_read_b128 v[158:161], v1 offset:912
	v_add_f32_e32 v165, v165, v194
	v_add_f32_e32 v12, v139, v12
	;; [unrolled: 1-line block ×3, first 2 shown]
	s_waitcnt vmcnt(26) lgkmcnt(6)
	v_mul_f32_e32 v163, v143, v175
	v_add_f32_e32 v12, v12, v162
	v_mul_f32_e32 v1, v142, v175
	s_waitcnt vmcnt(25)
	v_mul_f32_e32 v174, v145, v176
	v_add_f32_e32 v11, v11, v138
	v_fma_f32 v142, v142, v173, -v163
	v_add_f32_e32 v12, v12, v164
	v_mul_f32_e32 v166, v144, v176
	v_fmac_f32_e32 v1, v143, v173
	v_add_f32_e32 v11, v11, v148
	s_waitcnt vmcnt(24) lgkmcnt(5)
	v_mul_f32_e32 v148, v151, v177
	v_fma_f32 v144, v144, v172, -v174
	v_add_f32_e32 v12, v12, v142
	v_mul_f32_e32 v140, v150, v177
	v_fmac_f32_e32 v166, v145, v172
	v_add_f32_e32 v1, v11, v1
	s_waitcnt vmcnt(23)
	v_mul_f32_e32 v11, v153, v178
	v_fma_f32 v142, v150, v171, -v148
	v_add_f32_e32 v12, v12, v144
	v_mul_f32_e32 v175, v152, v178
	v_fmac_f32_e32 v140, v151, v171
	v_add_f32_e32 v1, v1, v166
	s_waitcnt vmcnt(22) lgkmcnt(4)
	v_mul_f32_e32 v144, v155, v179
	s_waitcnt vmcnt(9)
	v_fma_f32 v11, v152, v184, -v11
	v_add_f32_e32 v12, v12, v142
	v_mul_f32_e32 v176, v154, v179
	v_fmac_f32_e32 v175, v153, v184
	v_add_f32_e32 v1, v1, v140
	v_mul_f32_e32 v140, v157, v180
	v_fma_f32 v142, v154, v183, -v144
	v_add_f32_e32 v11, v12, v11
	v_mul_f32_e32 v146, v156, v180
	v_fmac_f32_e32 v176, v155, v183
	v_add_f32_e32 v1, v1, v175
	s_waitcnt lgkmcnt(3)
	v_mul_f32_e32 v12, v168, v181
	v_fma_f32 v140, v156, v182, -v140
	v_add_f32_e32 v11, v11, v142
	v_mul_f32_e32 v190, v167, v181
	v_fmac_f32_e32 v146, v157, v182
	v_add_f32_e32 v1, v1, v176
	v_mul_f32_e32 v191, v169, v141
	v_mul_f32_e32 v141, v170, v141
	v_fma_f32 v12, v167, v149, -v12
	v_add_f32_e32 v11, v11, v140
	v_fmac_f32_e32 v190, v168, v149
	v_add_f32_e32 v1, v1, v146
	s_waitcnt lgkmcnt(2)
	v_mul_f32_e32 v139, v7, v136
	v_mul_f32_e32 v136, v8, v136
	s_waitcnt vmcnt(5)
	v_fma_f32 v140, v169, v147, -v141
	v_add_f32_e32 v11, v11, v12
	v_fmac_f32_e32 v191, v170, v147
	v_add_f32_e32 v1, v1, v190
	v_mul_f32_e32 v12, v10, v130
	v_fmac_f32_e32 v139, v8, v137
	v_fma_f32 v7, v7, v137, -v136
	v_add_f32_e32 v8, v11, v140
	v_mul_f32_e32 v165, v9, v130
	v_add_f32_e32 v1, v1, v191
	s_waitcnt lgkmcnt(1)
	v_mul_f32_e32 v192, v132, v6
	v_mul_f32_e32 v6, v133, v6
	v_fma_f32 v9, v9, v131, -v12
	v_add_f32_e32 v7, v8, v7
	v_fmac_f32_e32 v165, v10, v131
	v_add_f32_e32 v1, v1, v139
	v_mul_f32_e32 v162, v134, v4
	v_mul_f32_e32 v4, v135, v4
	v_fmac_f32_e32 v192, v133, v5
	v_fma_f32 v5, v132, v5, -v6
	v_add_f32_e32 v6, v7, v9
	v_add_f32_e32 v1, v1, v165
	s_waitcnt lgkmcnt(0)
	v_mul_f32_e32 v138, v158, v3
	v_mul_f32_e32 v3, v159, v3
	s_waitcnt vmcnt(2)
	v_fma_f32 v4, v134, v187, -v4
	v_add_f32_e32 v5, v6, v5
	v_fmac_f32_e32 v162, v135, v187
	v_add_f32_e32 v1, v1, v192
	v_mul_f32_e32 v143, v160, v2
	v_mul_f32_e32 v2, v161, v2
	v_fma_f32 v3, v158, v186, -v3
	v_add_f32_e32 v4, v5, v4
	v_fmac_f32_e32 v138, v159, v186
	v_add_f32_e32 v1, v1, v162
	v_fma_f32 v2, v160, v185, -v2
	v_fmac_f32_e32 v143, v161, v185
	v_add_f32_e32 v3, v4, v3
	v_add_f32_e32 v1, v1, v138
	;; [unrolled: 1-line block ×4, first 2 shown]
	s_waitcnt vmcnt(1)
	v_sub_f32_e32 v2, v188, v2
	s_waitcnt vmcnt(0)
	v_sub_f32_e32 v1, v189, v1
	buffer_store_dword v2, off, s[0:3], 0 offset:216
	buffer_store_dword v1, off, s[0:3], 0 offset:220
	v_cmpx_lt_u32_e32 26, v0
	s_cbranch_execz .LBB57_309
; %bb.308:
	s_clause 0x1
	buffer_load_dword v1, off, s[0:3], 0 offset:208
	buffer_load_dword v2, off, s[0:3], 0 offset:212
	v_mov_b32_e32 v3, 0
	buffer_store_dword v3, off, s[0:3], 0 offset:208
	buffer_store_dword v3, off, s[0:3], 0 offset:212
	s_waitcnt vmcnt(0)
	ds_write_b64 v129, v[1:2]
.LBB57_309:
	s_or_b32 exec_lo, exec_lo, s4
	s_waitcnt lgkmcnt(0)
	s_waitcnt_vscnt null, 0x0
	s_barrier
	buffer_gl0_inv
	s_clause 0x3e
	buffer_load_dword v7, off, s[0:3], 0 offset:220
	buffer_load_dword v8, off, s[0:3], 0 offset:228
	buffer_load_dword v5, off, s[0:3], 0 offset:232
	buffer_load_dword v132, off, s[0:3], 0 offset:224
	buffer_load_dword v133, off, s[0:3], 0 offset:216
	buffer_load_dword v11, off, s[0:3], 0 offset:236
	buffer_load_dword v12, off, s[0:3], 0 offset:244
	buffer_load_dword v144, off, s[0:3], 0 offset:264
	buffer_load_dword v150, off, s[0:3], 0 offset:256
	buffer_load_dword v154, off, s[0:3], 0 offset:248
	buffer_load_dword v159, off, s[0:3], 0 offset:240
	buffer_load_dword v158, off, s[0:3], 0 offset:252
	buffer_load_dword v157, off, s[0:3], 0 offset:260
	buffer_load_dword v153, off, s[0:3], 0 offset:268
	buffer_load_dword v151, off, s[0:3], 0 offset:276
	buffer_load_dword v140, off, s[0:3], 0 offset:296
	buffer_load_dword v142, off, s[0:3], 0 offset:288
	buffer_load_dword v162, off, s[0:3], 0 offset:280
	buffer_load_dword v167, off, s[0:3], 0 offset:272
	buffer_load_dword v165, off, s[0:3], 0 offset:284
	buffer_load_dword v161, off, s[0:3], 0 offset:292
	buffer_load_dword v160, off, s[0:3], 0 offset:300
	buffer_load_dword v163, off, s[0:3], 0 offset:308
	buffer_load_dword v152, off, s[0:3], 0 offset:316
	buffer_load_dword v143, off, s[0:3], 0 offset:328
	buffer_load_dword v145, off, s[0:3], 0 offset:320
	buffer_load_dword v166, off, s[0:3], 0 offset:312
	buffer_load_dword v168, off, s[0:3], 0 offset:304
	buffer_load_dword v155, off, s[0:3], 0 offset:324
	buffer_load_dword v148, off, s[0:3], 0 offset:332
	buffer_load_dword v149, off, s[0:3], 0 offset:340
	buffer_load_dword v2, off, s[0:3], 0 offset:360
	buffer_load_dword v139, off, s[0:3], 0 offset:364
	buffer_load_dword v138, off, s[0:3], 0 offset:352
	buffer_load_dword v141, off, s[0:3], 0 offset:344
	buffer_load_dword v156, off, s[0:3], 0 offset:336
	buffer_load_dword v146, off, s[0:3], 0 offset:348
	buffer_load_dword v147, off, s[0:3], 0 offset:356
	buffer_load_dword v137, off, s[0:3], 0 offset:372
	buffer_load_dword v136, off, s[0:3], 0 offset:380
	buffer_load_dword v134, off, s[0:3], 0 offset:388
	buffer_load_dword v135, off, s[0:3], 0 offset:396
	buffer_load_dword v131, off, s[0:3], 0 offset:404
	buffer_load_dword v130, off, s[0:3], 0 offset:412
	buffer_load_dword v10, off, s[0:3], 0 offset:420
	buffer_load_dword v9, off, s[0:3], 0 offset:428
	buffer_load_dword v6, off, s[0:3], 0 offset:436
	buffer_load_dword v4, off, s[0:3], 0 offset:444
	buffer_load_dword v3, off, s[0:3], 0 offset:452
	buffer_load_dword v164, off, s[0:3], 0 offset:460
	buffer_load_dword v185, off, s[0:3], 0 offset:368
	buffer_load_dword v186, off, s[0:3], 0 offset:392
	buffer_load_dword v187, off, s[0:3], 0 offset:384
	buffer_load_dword v188, off, s[0:3], 0 offset:376
	buffer_load_dword v189, off, s[0:3], 0 offset:424
	buffer_load_dword v190, off, s[0:3], 0 offset:416
	buffer_load_dword v191, off, s[0:3], 0 offset:408
	buffer_load_dword v192, off, s[0:3], 0 offset:400
	buffer_load_dword v193, off, s[0:3], 0 offset:456
	buffer_load_dword v194, off, s[0:3], 0 offset:448
	buffer_load_dword v195, off, s[0:3], 0 offset:440
	buffer_load_dword v196, off, s[0:3], 0 offset:432
	buffer_load_dword v197, off, s[0:3], 0 offset:208
	buffer_load_dword v198, off, s[0:3], 0 offset:212
	v_mov_b32_e32 v1, 0
	ds_read2_b64 v[169:172], v1 offset0:85 offset1:86
	ds_read2_b64 v[173:176], v1 offset0:87 offset1:88
	s_mov_b32 s4, exec_lo
	ds_read2_b64 v[181:184], v1 offset0:99 offset1:100
	s_waitcnt vmcnt(62) lgkmcnt(2)
	v_mul_f32_e32 v177, v169, v7
	v_mul_f32_e32 v178, v171, v8
	;; [unrolled: 1-line block ×4, first 2 shown]
	s_waitcnt vmcnt(59)
	v_fmac_f32_e32 v177, v170, v133
	v_fmac_f32_e32 v178, v172, v132
	v_fma_f32 v7, v169, v133, -v7
	v_fma_f32 v8, v171, v132, -v8
	ds_read2_b64 v[169:172], v1 offset0:89 offset1:90
	s_waitcnt vmcnt(58) lgkmcnt(2)
	v_mul_f32_e32 v132, v173, v11
	s_waitcnt vmcnt(57)
	v_mul_f32_e32 v133, v175, v12
	v_mul_f32_e32 v11, v174, v11
	;; [unrolled: 1-line block ×3, first 2 shown]
	v_add_f32_e32 v7, 0, v7
	v_fmac_f32_e32 v132, v174, v5
	s_waitcnt vmcnt(53)
	v_fmac_f32_e32 v133, v176, v159
	v_fma_f32 v5, v173, v5, -v11
	v_fma_f32 v11, v175, v159, -v12
	ds_read2_b64 v[173:176], v1 offset0:91 offset1:92
	v_add_f32_e32 v7, v7, v8
	v_add_f32_e32 v5, v7, v5
	s_waitcnt vmcnt(51) lgkmcnt(1)
	v_mul_f32_e32 v159, v171, v157
	v_mul_f32_e32 v157, v172, v157
	;; [unrolled: 1-line block ×4, first 2 shown]
	v_add_f32_e32 v5, v5, v11
	v_fmac_f32_e32 v159, v172, v150
	v_fma_f32 v150, v171, v150, -v157
	v_fmac_f32_e32 v12, v170, v154
	v_fma_f32 v154, v169, v154, -v158
	ds_read2_b64 v[169:172], v1 offset0:93 offset1:94
	s_waitcnt vmcnt(50) lgkmcnt(1)
	v_mul_f32_e32 v157, v173, v153
	v_mul_f32_e32 v153, v174, v153
	s_waitcnt vmcnt(49)
	v_mul_f32_e32 v199, v175, v151
	v_mul_f32_e32 v151, v176, v151
	v_add_f32_e32 v5, v5, v154
	v_fmac_f32_e32 v157, v174, v144
	v_fma_f32 v144, v173, v144, -v153
	v_add_f32_e32 v153, 0, v177
	s_waitcnt vmcnt(45)
	v_fmac_f32_e32 v199, v176, v167
	v_fma_f32 v151, v175, v167, -v151
	ds_read2_b64 v[173:176], v1 offset0:95 offset1:96
	v_add_f32_e32 v5, v5, v150
	v_add_f32_e32 v153, v153, v178
	ds_read2_b64 v[177:180], v1 offset0:97 offset1:98
	v_add_f32_e32 v5, v5, v144
	v_add_f32_e32 v8, v153, v132
	s_waitcnt vmcnt(44) lgkmcnt(2)
	v_mul_f32_e32 v153, v170, v165
	v_mul_f32_e32 v132, v169, v165
	v_add_f32_e32 v5, v5, v151
	v_add_f32_e32 v7, v8, v133
	s_waitcnt vmcnt(43)
	v_mul_f32_e32 v11, v171, v161
	v_fma_f32 v8, v169, v162, -v153
	v_fmac_f32_e32 v132, v170, v162
	v_add_f32_e32 v7, v7, v12
	v_mul_f32_e32 v12, v172, v161
	v_add_f32_e32 v5, v5, v8
	s_waitcnt vmcnt(42) lgkmcnt(1)
	v_mul_f32_e32 v133, v173, v160
	v_mul_f32_e32 v153, v174, v160
	v_add_f32_e32 v7, v7, v159
	v_fma_f32 v12, v171, v142, -v12
	v_fmac_f32_e32 v11, v172, v142
	s_waitcnt vmcnt(41)
	v_mul_f32_e32 v161, v176, v163
	v_fmac_f32_e32 v133, v174, v140
	v_add_f32_e32 v7, v7, v157
	v_fma_f32 v140, v173, v140, -v153
	v_add_f32_e32 v5, v5, v12
	v_mul_f32_e32 v154, v175, v163
	s_waitcnt vmcnt(40) lgkmcnt(0)
	v_mul_f32_e32 v142, v178, v152
	v_add_f32_e32 v7, v7, v199
	s_waitcnt vmcnt(36)
	v_fma_f32 v161, v175, v168, -v161
	v_add_f32_e32 v5, v5, v140
	v_mul_f32_e32 v162, v177, v152
	ds_read2_b64 v[157:160], v1 offset0:101 offset1:102
	ds_read2_b64 v[169:172], v1 offset0:103 offset1:104
	v_add_f32_e32 v7, v7, v132
	v_fmac_f32_e32 v154, v176, v168
	v_fma_f32 v163, v177, v166, -v142
	s_waitcnt vmcnt(35)
	v_mul_f32_e32 v142, v180, v155
	v_add_f32_e32 v5, v5, v161
	v_add_f32_e32 v7, v7, v11
	v_fmac_f32_e32 v162, v178, v166
	v_mul_f32_e32 v132, v179, v155
	s_waitcnt vmcnt(34)
	v_mul_f32_e32 v155, v181, v148
	s_waitcnt vmcnt(33)
	v_mul_f32_e32 v11, v183, v149
	v_add_f32_e32 v12, v7, v133
	v_mul_f32_e32 v8, v182, v148
	v_mul_f32_e32 v148, v184, v149
	v_fma_f32 v149, v179, v145, -v142
	v_add_f32_e32 v5, v5, v163
	v_add_f32_e32 v12, v12, v154
	v_fmac_f32_e32 v132, v180, v145
	v_fma_f32 v181, v181, v143, -v8
	v_fmac_f32_e32 v155, v182, v143
	v_add_f32_e32 v5, v5, v149
	v_add_f32_e32 v12, v12, v162
	s_waitcnt vmcnt(28)
	v_fma_f32 v133, v183, v156, -v148
	s_waitcnt vmcnt(27) lgkmcnt(1)
	v_mul_f32_e32 v140, v157, v146
	v_mul_f32_e32 v146, v158, v146
	v_add_f32_e32 v5, v5, v181
	v_add_f32_e32 v12, v12, v132
	ds_read2_b64 v[150:153], v1 offset0:105 offset1:106
	ds_read2_b64 v[165:168], v1 offset0:107 offset1:108
	v_fmac_f32_e32 v11, v184, v156
	s_waitcnt vmcnt(26)
	v_mul_f32_e32 v148, v159, v147
	v_mul_f32_e32 v147, v160, v147
	v_add_f32_e32 v12, v12, v155
	v_fmac_f32_e32 v140, v158, v141
	v_fma_f32 v141, v157, v141, -v146
	v_add_f32_e32 v5, v5, v133
	s_waitcnt lgkmcnt(2)
	v_mul_f32_e32 v154, v169, v139
	v_add_f32_e32 v11, v12, v11
	v_mul_f32_e32 v139, v170, v139
	v_fmac_f32_e32 v148, v160, v138
	v_fma_f32 v138, v159, v138, -v147
	v_add_f32_e32 v5, v5, v141
	v_add_f32_e32 v11, v11, v140
	s_waitcnt vmcnt(25)
	v_mul_f32_e32 v12, v172, v137
	v_fmac_f32_e32 v154, v170, v2
	v_fma_f32 v2, v169, v2, -v139
	v_add_f32_e32 v5, v5, v138
	v_mul_f32_e32 v156, v171, v137
	v_add_f32_e32 v11, v11, v148
	s_waitcnt vmcnt(24) lgkmcnt(1)
	v_mul_f32_e32 v146, v150, v136
	v_mul_f32_e32 v136, v151, v136
	s_waitcnt vmcnt(13)
	v_fma_f32 v12, v171, v185, -v12
	v_add_f32_e32 v2, v5, v2
	ds_read2_b64 v[142:145], v1 offset0:109 offset1:110
	ds_read2_b64 v[173:176], v1 offset0:111 offset1:112
	v_fmac_f32_e32 v156, v172, v185
	v_add_f32_e32 v5, v11, v154
	v_mul_f32_e32 v132, v152, v134
	v_mul_f32_e32 v11, v153, v134
	s_waitcnt vmcnt(10)
	v_fma_f32 v134, v150, v188, -v136
	v_add_f32_e32 v2, v2, v12
	v_fmac_f32_e32 v146, v151, v188
	v_add_f32_e32 v5, v5, v156
	s_waitcnt lgkmcnt(2)
	v_mul_f32_e32 v12, v166, v135
	v_fma_f32 v11, v152, v187, -v11
	v_add_f32_e32 v2, v2, v134
	v_mul_f32_e32 v149, v165, v135
	v_fmac_f32_e32 v132, v153, v187
	v_add_f32_e32 v5, v5, v146
	v_mul_f32_e32 v147, v167, v131
	v_mul_f32_e32 v131, v168, v131
	v_fma_f32 v12, v165, v186, -v12
	v_add_f32_e32 v2, v2, v11
	v_fmac_f32_e32 v149, v166, v186
	v_add_f32_e32 v5, v5, v132
	s_waitcnt lgkmcnt(1)
	v_mul_f32_e32 v157, v142, v130
	v_mul_f32_e32 v11, v143, v130
	s_waitcnt vmcnt(6)
	v_fma_f32 v130, v167, v192, -v131
	v_add_f32_e32 v2, v2, v12
	ds_read2_b64 v[177:180], v1 offset0:113 offset1:114
	ds_read_b64 v[7:8], v1 offset:920
	v_fmac_f32_e32 v147, v168, v192
	v_add_f32_e32 v5, v5, v149
	v_mul_f32_e32 v155, v144, v10
	v_mul_f32_e32 v10, v145, v10
	v_fma_f32 v11, v142, v191, -v11
	v_add_f32_e32 v2, v2, v130
	v_fmac_f32_e32 v157, v143, v191
	v_add_f32_e32 v5, v5, v147
	s_waitcnt lgkmcnt(2)
	v_mul_f32_e32 v158, v173, v9
	v_mul_f32_e32 v9, v174, v9
	v_fma_f32 v10, v144, v190, -v10
	v_add_f32_e32 v2, v2, v11
	v_fmac_f32_e32 v155, v145, v190
	v_add_f32_e32 v5, v5, v157
	v_mul_f32_e32 v159, v175, v6
	v_mul_f32_e32 v6, v176, v6
	v_fma_f32 v9, v173, v189, -v9
	v_add_f32_e32 v2, v2, v10
	v_fmac_f32_e32 v158, v174, v189
	v_add_f32_e32 v5, v5, v155
	s_waitcnt lgkmcnt(1)
	v_mul_f32_e32 v133, v177, v4
	v_mul_f32_e32 v4, v178, v4
	s_waitcnt vmcnt(2)
	v_fma_f32 v6, v175, v196, -v6
	v_add_f32_e32 v2, v2, v9
	v_fmac_f32_e32 v159, v176, v196
	v_add_f32_e32 v5, v5, v158
	v_mul_f32_e32 v137, v179, v3
	v_mul_f32_e32 v3, v180, v3
	v_fma_f32 v4, v177, v195, -v4
	v_add_f32_e32 v2, v2, v6
	v_fmac_f32_e32 v133, v178, v195
	v_add_f32_e32 v5, v5, v159
	s_waitcnt lgkmcnt(0)
	v_mul_f32_e32 v6, v8, v164
	v_fma_f32 v3, v179, v194, -v3
	v_add_f32_e32 v2, v2, v4
	v_mul_f32_e32 v140, v7, v164
	v_fmac_f32_e32 v137, v180, v194
	v_add_f32_e32 v4, v5, v133
	v_fma_f32 v5, v7, v193, -v6
	v_add_f32_e32 v2, v2, v3
	v_fmac_f32_e32 v140, v8, v193
	v_add_f32_e32 v3, v4, v137
	v_add_f32_e32 v2, v2, v5
	;; [unrolled: 1-line block ×3, first 2 shown]
	s_waitcnt vmcnt(1)
	v_sub_f32_e32 v2, v197, v2
	s_waitcnt vmcnt(0)
	v_sub_f32_e32 v3, v198, v3
	buffer_store_dword v2, off, s[0:3], 0 offset:208
	buffer_store_dword v3, off, s[0:3], 0 offset:212
	v_cmpx_lt_u32_e32 25, v0
	s_cbranch_execz .LBB57_311
; %bb.310:
	s_clause 0x1
	buffer_load_dword v2, off, s[0:3], 0 offset:200
	buffer_load_dword v3, off, s[0:3], 0 offset:204
	buffer_store_dword v1, off, s[0:3], 0 offset:200
	buffer_store_dword v1, off, s[0:3], 0 offset:204
	s_waitcnt vmcnt(0)
	ds_write_b64 v129, v[2:3]
.LBB57_311:
	s_or_b32 exec_lo, exec_lo, s4
	s_waitcnt lgkmcnt(0)
	s_waitcnt_vscnt null, 0x0
	s_barrier
	buffer_gl0_inv
	s_clause 0x31
	buffer_load_dword v131, off, s[0:3], 0 offset:212
	buffer_load_dword v4, off, s[0:3], 0 offset:220
	;; [unrolled: 1-line block ×50, first 2 shown]
	ds_read_b128 v[163:166], v1 offset:672
	s_clause 0x1
	buffer_load_dword v181, off, s[0:3], 0 offset:460
	buffer_load_dword v182, off, s[0:3], 0 offset:360
	ds_read_b128 v[167:170], v1 offset:688
	s_clause 0x2
	buffer_load_dword v183, off, s[0:3], 0 offset:384
	buffer_load_dword v184, off, s[0:3], 0 offset:376
	;; [unrolled: 1-line block ×3, first 2 shown]
	ds_read_b128 v[171:174], v1 offset:704
	s_clause 0x4
	buffer_load_dword v186, off, s[0:3], 0 offset:416
	buffer_load_dword v187, off, s[0:3], 0 offset:408
	;; [unrolled: 1-line block ×5, first 2 shown]
	s_mov_b32 s4, exec_lo
	s_waitcnt vmcnt(59) lgkmcnt(2)
	v_mul_f32_e32 v190, v163, v131
	v_mul_f32_e32 v131, v164, v131
	s_waitcnt vmcnt(58)
	v_mul_f32_e32 v192, v165, v4
	v_mul_f32_e32 v4, v166, v4
	s_waitcnt vmcnt(55)
	v_fmac_f32_e32 v190, v164, v9
	v_fma_f32 v9, v163, v9, -v131
	v_fmac_f32_e32 v192, v166, v6
	v_fma_f32 v193, v165, v6, -v4
	ds_read_b128 v[163:166], v1 offset:720
	s_clause 0x3
	buffer_load_dword v196, off, s[0:3], 0 offset:448
	buffer_load_dword v197, off, s[0:3], 0 offset:440
	;; [unrolled: 1-line block ×4, first 2 shown]
	s_waitcnt vmcnt(57) lgkmcnt(2)
	v_mul_f32_e32 v194, v169, v7
	v_mul_f32_e32 v4, v170, v7
	s_waitcnt vmcnt(51) lgkmcnt(1)
	v_mul_f32_e32 v195, v173, v141
	buffer_load_dword v201, off, s[0:3], 0 offset:200
	v_mul_f32_e32 v131, v167, v8
	v_fmac_f32_e32 v194, v170, v142
	v_fma_f32 v142, v169, v142, -v4
	v_mul_f32_e32 v4, v174, v141
	v_fmac_f32_e32 v195, v174, v136
	buffer_load_dword v174, off, s[0:3], 0 offset:456
	v_mul_f32_e32 v8, v168, v8
	v_fmac_f32_e32 v131, v168, v3
	v_fma_f32 v7, v167, v3, -v8
	v_mul_f32_e32 v3, v172, v5
	v_mul_f32_e32 v8, v171, v5
	v_fma_f32 v141, v171, v139, -v3
	v_fma_f32 v171, v173, v136, -v4
	ds_read_b128 v[3:6], v1 offset:736
	v_fmac_f32_e32 v8, v172, v139
	s_waitcnt vmcnt(52) lgkmcnt(1)
	v_mul_f32_e32 v172, v163, v138
	v_mul_f32_e32 v136, v164, v138
	s_waitcnt vmcnt(51)
	v_mul_f32_e32 v173, v165, v137
	v_mul_f32_e32 v137, v166, v137
	v_fmac_f32_e32 v172, v164, v133
	v_fma_f32 v133, v163, v133, -v136
	s_waitcnt vmcnt(47)
	v_fmac_f32_e32 v173, v166, v159
	v_fma_f32 v159, v165, v159, -v137
	ds_read_b128 v[136:139], v1 offset:752
	ds_read_b128 v[163:166], v1 offset:784
	s_waitcnt vmcnt(46) lgkmcnt(2)
	v_mul_f32_e32 v200, v3, v158
	v_mul_f32_e32 v158, v4, v158
	v_fmac_f32_e32 v200, v4, v156
	v_fma_f32 v156, v3, v156, -v158
	v_add_f32_e32 v3, 0, v9
	v_add_f32_e32 v4, 0, v190
	s_waitcnt vmcnt(45)
	v_mul_f32_e32 v9, v5, v154
	v_mul_f32_e32 v154, v6, v154
	v_add_f32_e32 v3, v3, v193
	v_add_f32_e32 v158, v4, v192
	v_fmac_f32_e32 v9, v6, v152
	v_fma_f32 v190, v5, v152, -v154
	s_waitcnt vmcnt(44) lgkmcnt(1)
	v_mul_f32_e32 v192, v136, v148
	v_add_f32_e32 v7, v3, v7
	v_add_f32_e32 v131, v158, v131
	ds_read_b128 v[3:6], v1 offset:768
	v_fmac_f32_e32 v192, v137, v143
	v_add_f32_e32 v7, v7, v142
	v_add_f32_e32 v131, v131, v194
	v_mul_f32_e32 v142, v137, v148
	s_waitcnt vmcnt(43)
	v_mul_f32_e32 v148, v138, v146
	v_mul_f32_e32 v146, v139, v146
	v_add_f32_e32 v7, v7, v141
	v_add_f32_e32 v8, v131, v8
	v_fma_f32 v193, v136, v143, -v142
	s_waitcnt vmcnt(39)
	v_fmac_f32_e32 v148, v139, v161
	v_fma_f32 v146, v138, v161, -v146
	v_add_f32_e32 v7, v7, v171
	v_add_f32_e32 v8, v8, v195
	ds_read_b128 v[136:139], v1 offset:800
	ds_read_b128 v[167:170], v1 offset:816
	s_waitcnt vmcnt(36) lgkmcnt(3)
	v_mul_f32_e32 v143, v164, v153
	s_waitcnt vmcnt(35)
	v_mul_f32_e32 v171, v165, v140
	v_add_f32_e32 v7, v7, v133
	v_add_f32_e32 v8, v8, v172
	s_waitcnt lgkmcnt(2)
	v_mul_f32_e32 v141, v4, v157
	v_mul_f32_e32 v131, v3, v157
	;; [unrolled: 1-line block ×3, first 2 shown]
	v_add_f32_e32 v7, v7, v159
	v_add_f32_e32 v8, v8, v173
	v_fma_f32 v172, v3, v151, -v141
	v_mul_f32_e32 v161, v5, v155
	v_fmac_f32_e32 v131, v4, v151
	v_add_f32_e32 v7, v7, v156
	v_add_f32_e32 v8, v8, v200
	v_fma_f32 v194, v5, v147, -v142
	v_mul_f32_e32 v133, v163, v153
	v_fmac_f32_e32 v161, v6, v147
	v_add_f32_e32 v7, v7, v190
	v_add_f32_e32 v8, v8, v9
	v_mul_f32_e32 v140, v166, v140
	v_fma_f32 v159, v163, v135, -v143
	v_fmac_f32_e32 v133, v164, v135
	v_add_f32_e32 v7, v7, v193
	v_add_f32_e32 v8, v8, v192
	s_waitcnt vmcnt(30)
	v_fmac_f32_e32 v171, v166, v160
	v_fma_f32 v160, v165, v160, -v140
	s_waitcnt vmcnt(28) lgkmcnt(1)
	v_mul_f32_e32 v9, v138, v150
	v_add_f32_e32 v7, v7, v146
	v_add_f32_e32 v8, v8, v148
	v_mul_f32_e32 v135, v137, v149
	ds_read_b128 v[3:6], v1 offset:832
	ds_read_b128 v[151:154], v1 offset:848
	v_mul_f32_e32 v163, v136, v149
	v_add_f32_e32 v7, v7, v172
	v_add_f32_e32 v8, v8, v131
	v_mul_f32_e32 v147, v139, v150
	v_fmac_f32_e32 v9, v139, v144
	v_fma_f32 v139, v136, v145, -v135
	v_add_f32_e32 v7, v7, v194
	v_add_f32_e32 v8, v8, v161
	v_fmac_f32_e32 v163, v137, v145
	ds_read_b128 v[140:143], v1 offset:864
	ds_read_b128 v[155:158], v1 offset:880
	v_fma_f32 v149, v138, v144, -v147
	v_add_f32_e32 v7, v7, v159
	v_add_f32_e32 v8, v8, v133
	ds_read_b128 v[135:138], v1 offset:896
	ds_read_b128 v[144:147], v1 offset:912
	s_waitcnt lgkmcnt(6)
	v_mul_f32_e32 v1, v167, v132
	v_mul_f32_e32 v132, v168, v132
	v_add_f32_e32 v7, v7, v160
	v_add_f32_e32 v8, v8, v171
	s_waitcnt vmcnt(27)
	v_mul_f32_e32 v131, v169, v134
	v_mul_f32_e32 v134, v170, v134
	v_fmac_f32_e32 v1, v168, v2
	v_add_f32_e32 v7, v7, v139
	v_add_f32_e32 v8, v8, v163
	v_fma_f32 v2, v167, v2, -v132
	s_waitcnt vmcnt(26) lgkmcnt(5)
	v_mul_f32_e32 v148, v3, v130
	s_waitcnt vmcnt(14)
	v_fmac_f32_e32 v131, v170, v182
	v_add_f32_e32 v7, v7, v149
	v_add_f32_e32 v8, v8, v9
	v_mul_f32_e32 v9, v4, v130
	v_fma_f32 v130, v169, v182, -v134
	v_mul_f32_e32 v150, v5, v12
	v_add_f32_e32 v2, v7, v2
	v_add_f32_e32 v1, v8, v1
	v_mul_f32_e32 v7, v6, v12
	s_waitcnt vmcnt(11)
	v_fma_f32 v3, v3, v185, -v9
	v_fmac_f32_e32 v148, v4, v185
	v_add_f32_e32 v2, v2, v130
	v_add_f32_e32 v1, v1, v131
	s_waitcnt lgkmcnt(4)
	v_mul_f32_e32 v4, v152, v11
	v_fma_f32 v5, v5, v184, -v7
	v_mul_f32_e32 v161, v151, v11
	v_add_f32_e32 v2, v2, v3
	v_fmac_f32_e32 v150, v6, v184
	v_add_f32_e32 v1, v1, v148
	v_mul_f32_e32 v3, v154, v10
	v_fma_f32 v4, v151, v183, -v4
	v_add_f32_e32 v2, v2, v5
	v_mul_f32_e32 v159, v153, v10
	v_fmac_f32_e32 v161, v152, v183
	v_add_f32_e32 v1, v1, v150
	s_waitcnt lgkmcnt(3)
	v_mul_f32_e32 v5, v141, v175
	s_waitcnt vmcnt(7)
	v_fma_f32 v3, v153, v189, -v3
	v_add_f32_e32 v2, v2, v4
	v_mul_f32_e32 v133, v140, v175
	v_fmac_f32_e32 v159, v154, v189
	v_add_f32_e32 v1, v1, v161
	v_mul_f32_e32 v4, v143, v176
	v_fma_f32 v5, v140, v188, -v5
	v_add_f32_e32 v2, v2, v3
	v_mul_f32_e32 v164, v142, v176
	v_fmac_f32_e32 v133, v141, v188
	v_add_f32_e32 v1, v1, v159
	s_waitcnt lgkmcnt(2)
	v_mul_f32_e32 v3, v156, v177
	v_fma_f32 v4, v142, v187, -v4
	v_add_f32_e32 v2, v2, v5
	v_mul_f32_e32 v160, v155, v177
	v_fmac_f32_e32 v164, v143, v187
	v_add_f32_e32 v1, v1, v133
	v_mul_f32_e32 v5, v158, v178
	v_fma_f32 v3, v155, v186, -v3
	v_add_f32_e32 v2, v2, v4
	v_mul_f32_e32 v165, v157, v178
	v_fmac_f32_e32 v160, v156, v186
	v_add_f32_e32 v1, v1, v164
	s_waitcnt lgkmcnt(1)
	v_mul_f32_e32 v4, v136, v179
	v_add_f32_e32 v2, v2, v3
	v_mul_f32_e32 v166, v135, v179
	v_mul_f32_e32 v3, v138, v180
	v_add_f32_e32 v1, v1, v160
	v_mul_f32_e32 v139, v137, v180
	s_waitcnt lgkmcnt(0)
	v_mul_f32_e32 v163, v144, v162
	v_mul_f32_e32 v132, v146, v181
	s_waitcnt vmcnt(5)
	v_fmac_f32_e32 v163, v145, v196
	s_waitcnt vmcnt(4)
	v_fma_f32 v3, v137, v197, -v3
	s_waitcnt vmcnt(3)
	v_fma_f32 v4, v135, v198, -v4
	;; [unrolled: 2-line block ×3, first 2 shown]
	v_fmac_f32_e32 v165, v158, v199
	v_fmac_f32_e32 v166, v136, v198
	;; [unrolled: 1-line block ×3, first 2 shown]
	v_add_f32_e32 v2, v2, v5
	v_add_f32_e32 v1, v1, v165
	v_mul_f32_e32 v5, v145, v162
	v_add_f32_e32 v2, v2, v4
	v_add_f32_e32 v1, v1, v166
	v_mul_f32_e32 v4, v147, v181
	v_fma_f32 v5, v144, v196, -v5
	s_waitcnt vmcnt(0)
	v_fmac_f32_e32 v132, v147, v174
	v_add_f32_e32 v2, v2, v3
	v_add_f32_e32 v1, v1, v139
	v_fma_f32 v3, v146, v174, -v4
	v_add_f32_e32 v2, v2, v5
	v_add_f32_e32 v1, v1, v163
	;; [unrolled: 1-line block ×4, first 2 shown]
	v_sub_f32_e32 v2, v201, v2
	v_sub_f32_e32 v1, v191, v1
	buffer_store_dword v2, off, s[0:3], 0 offset:200
	buffer_store_dword v1, off, s[0:3], 0 offset:204
	v_cmpx_lt_u32_e32 24, v0
	s_cbranch_execz .LBB57_313
; %bb.312:
	s_clause 0x1
	buffer_load_dword v1, off, s[0:3], 0 offset:192
	buffer_load_dword v2, off, s[0:3], 0 offset:196
	v_mov_b32_e32 v3, 0
	buffer_store_dword v3, off, s[0:3], 0 offset:192
	buffer_store_dword v3, off, s[0:3], 0 offset:196
	s_waitcnt vmcnt(0)
	ds_write_b64 v129, v[1:2]
.LBB57_313:
	s_or_b32 exec_lo, exec_lo, s4
	s_waitcnt lgkmcnt(0)
	s_waitcnt_vscnt null, 0x0
	s_barrier
	buffer_gl0_inv
	s_clause 0x26
	buffer_load_dword v3, off, s[0:3], 0 offset:204
	buffer_load_dword v4, off, s[0:3], 0 offset:212
	;; [unrolled: 1-line block ×39, first 2 shown]
	v_mov_b32_e32 v1, 0
	s_clause 0x2
	buffer_load_dword v134, off, s[0:3], 0 offset:364
	buffer_load_dword v132, off, s[0:3], 0 offset:372
	;; [unrolled: 1-line block ×3, first 2 shown]
	s_mov_b32 s4, exec_lo
	ds_read2_b64 v[167:170], v1 offset0:83 offset1:84
	s_clause 0x1
	buffer_load_dword v11, off, s[0:3], 0 offset:388
	buffer_load_dword v10, off, s[0:3], 0 offset:396
	ds_read2_b64 v[171:174], v1 offset0:85 offset1:86
	s_clause 0xc
	buffer_load_dword v151, off, s[0:3], 0 offset:352
	buffer_load_dword v8, off, s[0:3], 0 offset:404
	;; [unrolled: 1-line block ×13, first 2 shown]
	ds_read2_b64 v[175:178], v1 offset0:87 offset1:88
	s_waitcnt vmcnt(56) lgkmcnt(2)
	v_mul_f32_e32 v188, v167, v3
	v_mul_f32_e32 v3, v168, v3
	s_waitcnt vmcnt(55)
	v_mul_f32_e32 v189, v169, v4
	v_mul_f32_e32 v4, v170, v4
	s_waitcnt vmcnt(54) lgkmcnt(1)
	v_mul_f32_e32 v190, v171, v6
	v_mul_f32_e32 v6, v172, v6
	s_waitcnt vmcnt(51)
	v_fmac_f32_e32 v188, v168, v12
	v_fma_f32 v3, v167, v12, -v3
	v_fmac_f32_e32 v189, v170, v9
	v_fma_f32 v4, v169, v9, -v4
	ds_read2_b64 v[167:170], v1 offset0:89 offset1:90
	v_fmac_f32_e32 v190, v172, v2
	v_fma_f32 v2, v171, v2, -v6
	s_clause 0x3
	buffer_load_dword v6, off, s[0:3], 0 offset:408
	buffer_load_dword v12, off, s[0:3], 0 offset:400
	;; [unrolled: 1-line block ×4, first 2 shown]
	s_waitcnt vmcnt(54)
	v_mul_f32_e32 v9, v173, v7
	v_mul_f32_e32 v7, v174, v7
	s_waitcnt vmcnt(48) lgkmcnt(1)
	v_mul_f32_e32 v193, v177, v146
	v_mul_f32_e32 v146, v178, v146
	v_add_f32_e32 v3, 0, v3
	v_fmac_f32_e32 v9, v174, v148
	v_fma_f32 v7, v173, v148, -v7
	v_mul_f32_e32 v148, v175, v147
	ds_read2_b64 v[171:174], v1 offset0:91 offset1:92
	v_mul_f32_e32 v147, v176, v147
	v_fmac_f32_e32 v193, v178, v141
	v_fma_f32 v146, v177, v141, -v146
	v_fmac_f32_e32 v148, v176, v143
	s_clause 0x3
	buffer_load_dword v176, off, s[0:3], 0 offset:440
	buffer_load_dword v177, off, s[0:3], 0 offset:432
	;; [unrolled: 1-line block ×4, first 2 shown]
	v_fma_f32 v147, v175, v143, -v147
	v_add_f32_e32 v3, v3, v4
	s_waitcnt vmcnt(51) lgkmcnt(1)
	v_mul_f32_e32 v175, v167, v142
	v_mul_f32_e32 v141, v168, v142
	s_waitcnt vmcnt(50)
	v_mul_f32_e32 v195, v169, v140
	v_mul_f32_e32 v140, v170, v140
	v_add_f32_e32 v2, v3, v2
	v_fmac_f32_e32 v175, v168, v137
	v_fma_f32 v137, v167, v137, -v141
	v_add_f32_e32 v167, 0, v188
	s_waitcnt vmcnt(46)
	v_fmac_f32_e32 v195, v170, v164
	v_fma_f32 v164, v169, v164, -v140
	ds_read2_b64 v[140:143], v1 offset0:93 offset1:94
	v_add_f32_e32 v2, v2, v7
	s_waitcnt vmcnt(45) lgkmcnt(1)
	v_mul_f32_e32 v196, v171, v163
	v_mul_f32_e32 v163, v172, v163
	v_add_f32_e32 v2, v2, v147
	v_fmac_f32_e32 v196, v172, v161
	v_fma_f32 v161, v171, v161, -v163
	v_add_f32_e32 v163, v167, v189
	s_clause 0x2
	buffer_load_dword v188, off, s[0:3], 0 offset:456
	buffer_load_dword v189, off, s[0:3], 0 offset:448
	;; [unrolled: 1-line block ×3, first 2 shown]
	v_add_f32_e32 v2, v2, v146
	ds_read2_b64 v[167:170], v1 offset0:95 offset1:96
	v_add_f32_e32 v163, v163, v190
	s_waitcnt vmcnt(47)
	v_mul_f32_e32 v190, v173, v158
	v_mul_f32_e32 v158, v174, v158
	v_add_f32_e32 v2, v2, v137
	v_add_f32_e32 v9, v163, v9
	v_fmac_f32_e32 v190, v174, v155
	v_fma_f32 v3, v173, v155, -v158
	ds_read2_b64 v[171:174], v1 offset0:97 offset1:98
	v_add_f32_e32 v2, v2, v164
	v_add_f32_e32 v7, v9, v148
	s_waitcnt vmcnt(46) lgkmcnt(2)
	v_mul_f32_e32 v9, v140, v153
	v_mul_f32_e32 v148, v141, v153
	s_waitcnt vmcnt(45)
	v_mul_f32_e32 v197, v142, v152
	v_mul_f32_e32 v147, v143, v152
	v_add_f32_e32 v7, v7, v193
	v_add_f32_e32 v2, v2, v161
	v_fmac_f32_e32 v9, v141, v149
	v_fma_f32 v198, v140, v149, -v148
	s_waitcnt vmcnt(41)
	v_fmac_f32_e32 v197, v143, v165
	v_add_f32_e32 v7, v7, v175
	v_fma_f32 v165, v142, v165, -v147
	ds_read2_b64 v[140:143], v1 offset0:99 offset1:100
	ds_read2_b64 v[146:149], v1 offset0:101 offset1:102
	v_add_f32_e32 v2, v2, v3
	s_waitcnt vmcnt(40) lgkmcnt(3)
	v_mul_f32_e32 v175, v167, v160
	v_add_f32_e32 v7, v7, v195
	v_mul_f32_e32 v152, v168, v160
	s_waitcnt vmcnt(39)
	v_mul_f32_e32 v137, v170, v159
	v_add_f32_e32 v2, v2, v198
	v_mul_f32_e32 v193, v169, v159
	v_add_f32_e32 v7, v7, v196
	s_waitcnt vmcnt(38) lgkmcnt(2)
	v_mul_f32_e32 v195, v171, v157
	v_fmac_f32_e32 v175, v168, v156
	v_fma_f32 v199, v167, v156, -v152
	v_fma_f32 v200, v169, v154, -v137
	v_add_f32_e32 v7, v7, v190
	s_waitcnt vmcnt(37)
	v_mul_f32_e32 v137, v174, v144
	v_add_f32_e32 v2, v2, v165
	v_mul_f32_e32 v160, v172, v157
	v_fmac_f32_e32 v193, v170, v154
	v_add_f32_e32 v3, v7, v9
	v_fmac_f32_e32 v195, v172, v139
	s_waitcnt vmcnt(31)
	v_fma_f32 v172, v173, v162, -v137
	s_waitcnt lgkmcnt(1)
	v_mul_f32_e32 v7, v140, v138
	s_waitcnt vmcnt(30)
	v_mul_f32_e32 v9, v142, v150
	v_add_f32_e32 v3, v3, v197
	v_mul_f32_e32 v137, v141, v138
	v_mul_f32_e32 v138, v143, v150
	v_add_f32_e32 v165, v2, v199
	v_mul_f32_e32 v164, v173, v144
	v_add_f32_e32 v150, v3, v175
	v_fma_f32 v171, v171, v139, -v160
	s_waitcnt lgkmcnt(0)
	v_mul_f32_e32 v173, v146, v133
	v_add_f32_e32 v165, v165, v200
	v_fmac_f32_e32 v164, v174, v162
	v_add_f32_e32 v150, v150, v193
	v_mul_f32_e32 v133, v147, v133
	ds_read2_b64 v[152:155], v1 offset0:103 offset1:104
	ds_read2_b64 v[156:159], v1 offset0:105 offset1:106
	v_add_f32_e32 v165, v165, v171
	v_fmac_f32_e32 v7, v141, v135
	v_add_f32_e32 v150, v150, v195
	v_fma_f32 v135, v140, v135, -v137
	v_fmac_f32_e32 v173, v147, v131
	v_fma_f32 v131, v146, v131, -v133
	v_fmac_f32_e32 v9, v143, v145
	v_add_f32_e32 v146, v150, v164
	v_add_f32_e32 v150, v165, v172
	v_fma_f32 v145, v142, v145, -v138
	s_waitcnt vmcnt(29)
	v_mul_f32_e32 v174, v148, v136
	v_mul_f32_e32 v136, v149, v136
	v_add_f32_e32 v7, v146, v7
	v_add_f32_e32 v135, v150, v135
	ds_read2_b64 v[160:163], v1 offset0:107 offset1:108
	ds_read2_b64 v[167:170], v1 offset0:109 offset1:110
	s_waitcnt vmcnt(23)
	v_fmac_f32_e32 v174, v149, v151
	v_fma_f32 v136, v148, v151, -v136
	v_add_f32_e32 v7, v7, v9
	v_add_f32_e32 v135, v135, v145
	s_waitcnt lgkmcnt(3)
	v_mul_f32_e32 v175, v152, v134
	v_mul_f32_e32 v134, v153, v134
	;; [unrolled: 1-line block ×3, first 2 shown]
	v_add_f32_e32 v7, v7, v173
	v_add_f32_e32 v131, v135, v131
	v_mul_f32_e32 v171, v154, v132
	s_waitcnt vmcnt(14)
	v_fma_f32 v134, v152, v184, -v134
	v_fmac_f32_e32 v175, v153, v184
	v_add_f32_e32 v7, v7, v174
	v_add_f32_e32 v131, v131, v136
	s_waitcnt lgkmcnt(2)
	v_mul_f32_e32 v133, v156, v130
	v_mul_f32_e32 v130, v157, v130
	s_waitcnt vmcnt(13)
	v_fma_f32 v9, v154, v185, -v9
	v_fmac_f32_e32 v171, v155, v185
	v_add_f32_e32 v131, v131, v134
	v_add_f32_e32 v7, v7, v175
	v_mul_f32_e32 v147, v158, v11
	v_mul_f32_e32 v11, v159, v11
	s_waitcnt vmcnt(12)
	v_fma_f32 v130, v156, v186, -v130
	v_add_f32_e32 v9, v131, v9
	v_fmac_f32_e32 v133, v157, v186
	v_add_f32_e32 v7, v7, v171
	s_waitcnt lgkmcnt(1)
	v_mul_f32_e32 v164, v160, v10
	v_mul_f32_e32 v10, v161, v10
	v_add_f32_e32 v9, v9, v130
	ds_read2_b64 v[137:140], v1 offset0:111 offset1:112
	ds_read2_b64 v[141:144], v1 offset0:113 offset1:114
	ds_read_b64 v[2:3], v1 offset:920
	v_add_f32_e32 v7, v7, v133
	v_mul_f32_e32 v148, v162, v8
	v_mul_f32_e32 v8, v163, v8
	s_waitcnt lgkmcnt(3)
	v_mul_f32_e32 v149, v167, v5
	v_mul_f32_e32 v5, v168, v5
	;; [unrolled: 1-line block ×3, first 2 shown]
	s_waitcnt lgkmcnt(2)
	v_mul_f32_e32 v150, v137, v179
	v_mul_f32_e32 v151, v139, v180
	s_waitcnt lgkmcnt(1)
	v_mul_f32_e32 v132, v141, v181
	v_mul_f32_e32 v145, v143, v182
	s_waitcnt lgkmcnt(0)
	v_mul_f32_e32 v135, v2, v183
	s_waitcnt vmcnt(10)
	v_fmac_f32_e32 v149, v168, v6
	s_waitcnt vmcnt(9)
	v_fma_f32 v8, v162, v12, -v8
	s_waitcnt vmcnt(8)
	v_fma_f32 v10, v160, v191, -v10
	;; [unrolled: 2-line block ×3, first 2 shown]
	v_fmac_f32_e32 v147, v159, v192
	v_fmac_f32_e32 v164, v161, v191
	;; [unrolled: 1-line block ×3, first 2 shown]
	v_fma_f32 v5, v167, v6, -v5
	v_add_f32_e32 v9, v9, v11
	v_add_f32_e32 v7, v7, v147
	;; [unrolled: 1-line block ×4, first 2 shown]
	v_mul_f32_e32 v10, v170, v166
	s_waitcnt vmcnt(4)
	v_fmac_f32_e32 v150, v138, v178
	s_waitcnt vmcnt(3)
	v_fmac_f32_e32 v146, v170, v194
	v_add_f32_e32 v6, v9, v8
	v_add_f32_e32 v7, v7, v148
	v_mul_f32_e32 v8, v138, v179
	v_fma_f32 v9, v169, v194, -v10
	v_fmac_f32_e32 v151, v140, v177
	v_add_f32_e32 v5, v6, v5
	v_add_f32_e32 v6, v7, v149
	v_mul_f32_e32 v7, v140, v180
	v_fma_f32 v8, v137, v178, -v8
	;; [unrolled: 5-line block ×3, first 2 shown]
	v_add_f32_e32 v5, v5, v8
	v_add_f32_e32 v6, v6, v150
	v_mul_f32_e32 v8, v144, v182
	v_fma_f32 v9, v141, v176, -v9
	v_add_f32_e32 v5, v5, v7
	v_add_f32_e32 v6, v6, v151
	v_mul_f32_e32 v7, v3, v183
	s_waitcnt vmcnt(1)
	v_fma_f32 v8, v143, v189, -v8
	v_fmac_f32_e32 v145, v144, v189
	v_add_f32_e32 v5, v5, v9
	v_add_f32_e32 v6, v6, v132
	v_fmac_f32_e32 v135, v3, v188
	v_fma_f32 v2, v2, v188, -v7
	v_add_f32_e32 v3, v5, v8
	v_add_f32_e32 v5, v6, v145
	;; [unrolled: 1-line block ×4, first 2 shown]
	s_waitcnt vmcnt(0)
	v_sub_f32_e32 v2, v4, v2
	v_sub_f32_e32 v3, v187, v3
	buffer_store_dword v2, off, s[0:3], 0 offset:192
	buffer_store_dword v3, off, s[0:3], 0 offset:196
	v_cmpx_lt_u32_e32 23, v0
	s_cbranch_execz .LBB57_315
; %bb.314:
	s_clause 0x1
	buffer_load_dword v2, off, s[0:3], 0 offset:184
	buffer_load_dword v3, off, s[0:3], 0 offset:188
	buffer_store_dword v1, off, s[0:3], 0 offset:184
	buffer_store_dword v1, off, s[0:3], 0 offset:188
	s_waitcnt vmcnt(0)
	ds_write_b64 v129, v[2:3]
.LBB57_315:
	s_or_b32 exec_lo, exec_lo, s4
	s_waitcnt lgkmcnt(0)
	s_waitcnt_vscnt null, 0x0
	s_barrier
	buffer_gl0_inv
	s_clause 0x24
	buffer_load_dword v10, off, s[0:3], 0 offset:196
	buffer_load_dword v11, off, s[0:3], 0 offset:204
	;; [unrolled: 1-line block ×37, first 2 shown]
	ds_read_b128 v[2:5], v1 offset:656
	s_clause 0x1
	buffer_load_dword v176, off, s[0:3], 0 offset:340
	buffer_load_dword v177, off, s[0:3], 0 offset:348
	ds_read_b128 v[6:9], v1 offset:672
	s_clause 0xa
	buffer_load_dword v178, off, s[0:3], 0 offset:356
	buffer_load_dword v179, off, s[0:3], 0 offset:364
	;; [unrolled: 1-line block ×11, first 2 shown]
	ds_read_b128 v[130:133], v1 offset:688
	ds_read_b128 v[134:137], v1 offset:704
	;; [unrolled: 1-line block ×3, first 2 shown]
	s_clause 0x7
	buffer_load_dword v191, off, s[0:3], 0 offset:188
	buffer_load_dword v192, off, s[0:3], 0 offset:412
	;; [unrolled: 1-line block ×8, first 2 shown]
	s_mov_b32 s4, exec_lo
	s_waitcnt vmcnt(57) lgkmcnt(4)
	v_mul_f32_e32 v189, v3, v10
	v_mul_f32_e32 v10, v2, v10
	s_waitcnt vmcnt(56)
	v_mul_f32_e32 v190, v4, v11
	v_mul_f32_e32 v11, v5, v11
	s_waitcnt vmcnt(53)
	v_fma_f32 v189, v2, v143, -v189
	v_fmac_f32_e32 v10, v3, v143
	v_fmac_f32_e32 v190, v5, v142
	v_fma_f32 v11, v4, v142, -v11
	s_waitcnt vmcnt(52) lgkmcnt(3)
	v_mul_f32_e32 v142, v6, v144
	v_mul_f32_e32 v2, v7, v144
	s_waitcnt vmcnt(51)
	v_mul_f32_e32 v3, v9, v145
	v_mul_f32_e32 v143, v8, v145
	s_waitcnt vmcnt(46) lgkmcnt(2)
	v_mul_f32_e32 v144, v130, v150
	v_fmac_f32_e32 v142, v7, v12
	v_fma_f32 v6, v6, v12, -v2
	v_fma_f32 v12, v8, v149, -v3
	v_mul_f32_e32 v2, v131, v150
	s_waitcnt vmcnt(45)
	v_mul_f32_e32 v145, v132, v151
	v_mul_f32_e32 v3, v133, v151
	s_clause 0x3
	buffer_load_dword v150, off, s[0:3], 0 offset:400
	buffer_load_dword v151, off, s[0:3], 0 offset:392
	;; [unrolled: 1-line block ×4, first 2 shown]
	v_fmac_f32_e32 v143, v9, v149
	v_fmac_f32_e32 v144, v131, v148
	v_fma_f32 v130, v130, v148, -v2
	v_fmac_f32_e32 v145, v133, v147
	v_fma_f32 v147, v132, v147, -v3
	s_waitcnt vmcnt(48) lgkmcnt(1)
	v_mul_f32_e32 v148, v134, v152
	v_mul_f32_e32 v2, v135, v152
	s_waitcnt vmcnt(47)
	v_mul_f32_e32 v149, v136, v153
	v_mul_f32_e32 v3, v137, v153
	s_waitcnt vmcnt(42) lgkmcnt(0)
	v_mul_f32_e32 v152, v138, v158
	v_mul_f32_e32 v7, v139, v158
	s_waitcnt vmcnt(41)
	v_mul_f32_e32 v153, v140, v159
	v_mul_f32_e32 v8, v141, v159
	v_fmac_f32_e32 v148, v135, v146
	v_fma_f32 v134, v134, v146, -v2
	v_fmac_f32_e32 v149, v137, v157
	v_fma_f32 v146, v136, v157, -v3
	ds_read_b128 v[2:5], v1 offset:736
	v_fmac_f32_e32 v152, v139, v156
	v_fma_f32 v138, v138, v156, -v7
	v_fmac_f32_e32 v153, v141, v155
	v_fma_f32 v139, v140, v155, -v8
	s_clause 0x7
	buffer_load_dword v155, off, s[0:3], 0 offset:432
	buffer_load_dword v156, off, s[0:3], 0 offset:424
	buffer_load_dword v157, off, s[0:3], 0 offset:416
	buffer_load_dword v158, off, s[0:3], 0 offset:408
	buffer_load_dword v159, off, s[0:3], 0 offset:456
	buffer_load_dword v201, off, s[0:3], 0 offset:448
	buffer_load_dword v202, off, s[0:3], 0 offset:440
	buffer_load_dword v203, off, s[0:3], 0 offset:184
	v_add_f32_e32 v7, 0, v189
	v_add_f32_e32 v8, 0, v10
	v_add_f32_e32 v7, v7, v11
	v_add_f32_e32 v8, v8, v190
	s_waitcnt vmcnt(48) lgkmcnt(0)
	v_mul_f32_e32 v10, v2, v160
	v_mul_f32_e32 v9, v3, v160
	v_fmac_f32_e32 v10, v3, v154
	v_fma_f32 v11, v2, v154, -v9
	v_add_f32_e32 v2, v7, v6
	v_add_f32_e32 v3, v8, v142
	ds_read_b128 v[6:9], v1 offset:752
	s_waitcnt vmcnt(47)
	v_mul_f32_e32 v154, v4, v161
	v_add_f32_e32 v12, v2, v12
	v_mul_f32_e32 v2, v5, v161
	v_add_f32_e32 v131, v3, v143
	s_waitcnt vmcnt(43)
	v_fmac_f32_e32 v154, v5, v165
	v_add_f32_e32 v12, v12, v130
	v_fma_f32 v160, v4, v165, -v2
	ds_read_b128 v[2:5], v1 offset:768
	v_add_f32_e32 v135, v131, v144
	ds_read_b128 v[130:133], v1 offset:784
	v_add_f32_e32 v12, v12, v147
	v_add_f32_e32 v135, v135, v145
	;; [unrolled: 1-line block ×3, first 2 shown]
	s_waitcnt vmcnt(42) lgkmcnt(2)
	v_mul_f32_e32 v136, v7, v166
	v_mul_f32_e32 v147, v6, v166
	s_waitcnt vmcnt(41)
	v_mul_f32_e32 v140, v9, v167
	v_fma_f32 v161, v6, v164, -v136
	v_add_f32_e32 v6, v135, v148
	v_fmac_f32_e32 v147, v7, v164
	v_add_f32_e32 v7, v12, v146
	v_mul_f32_e32 v12, v8, v167
	s_waitcnt vmcnt(40) lgkmcnt(1)
	v_mul_f32_e32 v164, v2, v168
	v_add_f32_e32 v6, v6, v149
	v_mul_f32_e32 v141, v3, v168
	v_add_f32_e32 v7, v7, v138
	ds_read_b128 v[134:137], v1 offset:800
	v_fmac_f32_e32 v164, v3, v162
	v_add_f32_e32 v6, v6, v152
	v_fma_f32 v162, v2, v162, -v141
	v_add_f32_e32 v2, v7, v139
	v_fma_f32 v146, v8, v163, -v140
	v_fmac_f32_e32 v12, v9, v163
	v_add_f32_e32 v3, v6, v153
	s_waitcnt vmcnt(39)
	v_mul_f32_e32 v142, v5, v169
	v_add_f32_e32 v11, v2, v11
	v_mul_f32_e32 v165, v4, v169
	s_waitcnt vmcnt(38) lgkmcnt(1)
	v_mul_f32_e32 v143, v131, v170
	v_add_f32_e32 v10, v3, v10
	s_waitcnt vmcnt(34)
	v_fma_f32 v153, v4, v174, -v142
	v_add_f32_e32 v11, v11, v160
	v_mul_f32_e32 v152, v130, v170
	ds_read_b128 v[6:9], v1 offset:816
	ds_read_b128 v[138:141], v1 offset:832
	v_add_f32_e32 v10, v10, v154
	v_fmac_f32_e32 v165, v5, v174
	v_add_f32_e32 v11, v11, v161
	v_fma_f32 v163, v130, v173, -v143
	s_waitcnt vmcnt(33)
	v_mul_f32_e32 v130, v133, v175
	v_add_f32_e32 v10, v10, v147
	v_fmac_f32_e32 v152, v131, v173
	v_add_f32_e32 v11, v11, v146
	v_mul_f32_e32 v160, v132, v175
	s_waitcnt vmcnt(32) lgkmcnt(2)
	v_mul_f32_e32 v131, v135, v176
	v_add_f32_e32 v10, v10, v12
	v_fma_f32 v167, v132, v172, -v130
	v_add_f32_e32 v11, v11, v162
	v_mul_f32_e32 v154, v134, v176
	v_fmac_f32_e32 v160, v133, v172
	v_add_f32_e32 v10, v10, v164
	s_waitcnt vmcnt(31)
	v_mul_f32_e32 v166, v137, v177
	v_add_f32_e32 v11, v11, v153
	v_fma_f32 v168, v134, v171, -v131
	v_mul_f32_e32 v161, v136, v177
	v_add_f32_e32 v10, v10, v165
	v_fmac_f32_e32 v154, v135, v171
	v_add_f32_e32 v11, v11, v163
	s_waitcnt vmcnt(24)
	v_fma_f32 v166, v136, v184, -v166
	s_waitcnt lgkmcnt(1)
	v_mul_f32_e32 v12, v7, v178
	v_add_f32_e32 v10, v10, v152
	ds_read_b128 v[2:5], v1 offset:848
	ds_read_b128 v[142:145], v1 offset:864
	v_add_f32_e32 v11, v11, v167
	ds_read_b128 v[130:133], v1 offset:880
	ds_read_b128 v[146:149], v1 offset:896
	v_fmac_f32_e32 v161, v137, v184
	v_add_f32_e32 v10, v10, v160
	ds_read_b128 v[134:137], v1 offset:912
	v_add_f32_e32 v11, v11, v168
	v_mul_f32_e32 v1, v6, v178
	v_mul_f32_e32 v164, v9, v179
	v_add_f32_e32 v10, v10, v154
	v_fma_f32 v6, v6, v183, -v12
	v_add_f32_e32 v11, v11, v166
	v_mul_f32_e32 v162, v8, v179
	v_fmac_f32_e32 v1, v7, v183
	v_add_f32_e32 v10, v10, v161
	s_waitcnt lgkmcnt(5)
	v_mul_f32_e32 v12, v139, v180
	v_fma_f32 v8, v8, v182, -v164
	v_add_f32_e32 v6, v11, v6
	v_mul_f32_e32 v153, v138, v180
	v_fmac_f32_e32 v162, v9, v182
	v_add_f32_e32 v1, v10, v1
	s_waitcnt vmcnt(23)
	v_mul_f32_e32 v9, v141, v185
	v_fma_f32 v10, v138, v181, -v12
	v_add_f32_e32 v6, v6, v8
	v_mul_f32_e32 v165, v140, v185
	v_fmac_f32_e32 v153, v139, v181
	v_add_f32_e32 v1, v1, v162
	s_waitcnt vmcnt(22) lgkmcnt(4)
	v_mul_f32_e32 v169, v2, v186
	v_mul_f32_e32 v8, v3, v186
	v_add_f32_e32 v6, v6, v10
	s_waitcnt vmcnt(21)
	v_mul_f32_e32 v10, v5, v187
	v_add_f32_e32 v1, v1, v153
	v_mul_f32_e32 v163, v4, v187
	s_waitcnt vmcnt(20) lgkmcnt(3)
	v_mul_f32_e32 v152, v142, v188
	s_waitcnt vmcnt(18)
	v_mul_f32_e32 v170, v144, v192
	s_waitcnt vmcnt(17) lgkmcnt(2)
	v_mul_f32_e32 v167, v130, v193
	s_waitcnt vmcnt(16)
	;; [unrolled: 4-line block ×4, first 2 shown]
	v_mul_f32_e32 v7, v136, v198
	s_waitcnt vmcnt(11)
	v_fmac_f32_e32 v152, v143, v150
	s_waitcnt vmcnt(10)
	v_fma_f32 v4, v4, v151, -v10
	s_waitcnt vmcnt(9)
	v_fmac_f32_e32 v169, v3, v199
	s_waitcnt vmcnt(8)
	v_fma_f32 v9, v140, v200, -v9
	v_fmac_f32_e32 v165, v141, v200
	v_fma_f32 v2, v2, v199, -v8
	v_fmac_f32_e32 v163, v5, v151
	v_add_f32_e32 v3, v6, v9
	v_add_f32_e32 v1, v1, v165
	v_mul_f32_e32 v6, v143, v188
	v_add_f32_e32 v2, v3, v2
	v_add_f32_e32 v1, v1, v169
	v_mul_f32_e32 v3, v145, v192
	v_fma_f32 v5, v142, v150, -v6
	v_add_f32_e32 v2, v2, v4
	v_add_f32_e32 v1, v1, v163
	v_mul_f32_e32 v4, v131, v193
	s_waitcnt vmcnt(5)
	v_fmac_f32_e32 v167, v131, v157
	s_waitcnt vmcnt(4)
	v_fma_f32 v3, v144, v158, -v3
	v_add_f32_e32 v2, v2, v5
	v_fmac_f32_e32 v170, v145, v158
	v_add_f32_e32 v1, v1, v152
	v_mul_f32_e32 v5, v133, v194
	v_fma_f32 v4, v130, v157, -v4
	v_add_f32_e32 v2, v2, v3
	v_mul_f32_e32 v3, v147, v195
	v_add_f32_e32 v1, v1, v170
	v_fma_f32 v5, v132, v156, -v5
	v_fmac_f32_e32 v160, v133, v156
	v_add_f32_e32 v2, v2, v4
	v_mul_f32_e32 v4, v149, v196
	v_add_f32_e32 v1, v1, v167
	v_fma_f32 v3, v146, v155, -v3
	v_fmac_f32_e32 v171, v147, v155
	v_add_f32_e32 v2, v2, v5
	v_mul_f32_e32 v5, v135, v197
	v_add_f32_e32 v1, v1, v160
	s_waitcnt vmcnt(1)
	v_fma_f32 v4, v148, v202, -v4
	v_fmac_f32_e32 v168, v149, v202
	v_add_f32_e32 v2, v2, v3
	v_mul_f32_e32 v3, v137, v198
	v_add_f32_e32 v1, v1, v171
	v_fma_f32 v5, v134, v201, -v5
	v_fmac_f32_e32 v154, v135, v201
	v_add_f32_e32 v2, v2, v4
	v_fma_f32 v3, v136, v159, -v3
	v_add_f32_e32 v1, v1, v168
	v_fmac_f32_e32 v7, v137, v159
	v_add_f32_e32 v2, v2, v5
	v_add_f32_e32 v1, v1, v154
	;; [unrolled: 1-line block ×4, first 2 shown]
	s_waitcnt vmcnt(0)
	v_sub_f32_e32 v2, v203, v2
	v_sub_f32_e32 v1, v191, v1
	buffer_store_dword v2, off, s[0:3], 0 offset:184
	buffer_store_dword v1, off, s[0:3], 0 offset:188
	v_cmpx_lt_u32_e32 22, v0
	s_cbranch_execz .LBB57_317
; %bb.316:
	s_clause 0x1
	buffer_load_dword v1, off, s[0:3], 0 offset:176
	buffer_load_dword v2, off, s[0:3], 0 offset:180
	v_mov_b32_e32 v3, 0
	buffer_store_dword v3, off, s[0:3], 0 offset:176
	buffer_store_dword v3, off, s[0:3], 0 offset:180
	s_waitcnt vmcnt(0)
	ds_write_b64 v129, v[1:2]
.LBB57_317:
	s_or_b32 exec_lo, exec_lo, s4
	s_waitcnt lgkmcnt(0)
	s_waitcnt_vscnt null, 0x0
	s_barrier
	buffer_gl0_inv
	s_clause 0x23
	buffer_load_dword v2, off, s[0:3], 0 offset:188
	buffer_load_dword v3, off, s[0:3], 0 offset:196
	;; [unrolled: 1-line block ×36, first 2 shown]
	v_mov_b32_e32 v1, 0
	s_clause 0x1
	buffer_load_dword v171, off, s[0:3], 0 offset:324
	buffer_load_dword v172, off, s[0:3], 0 offset:332
	s_mov_b32 s4, exec_lo
	ds_read2_b64 v[4:7], v1 offset0:81 offset1:82
	s_clause 0x7
	buffer_load_dword v173, off, s[0:3], 0 offset:340
	buffer_load_dword v174, off, s[0:3], 0 offset:348
	;; [unrolled: 1-line block ×8, first 2 shown]
	ds_read2_b64 v[8:11], v1 offset0:83 offset1:84
	s_clause 0x3
	buffer_load_dword v181, off, s[0:3], 0 offset:372
	buffer_load_dword v182, off, s[0:3], 0 offset:380
	;; [unrolled: 1-line block ×4, first 2 shown]
	ds_read2_b64 v[130:133], v1 offset0:85 offset1:86
	s_clause 0x4
	buffer_load_dword v185, off, s[0:3], 0 offset:404
	buffer_load_dword v186, off, s[0:3], 0 offset:412
	;; [unrolled: 1-line block ×5, first 2 shown]
	ds_read2_b64 v[134:137], v1 offset0:87 offset1:88
	s_waitcnt vmcnt(54) lgkmcnt(3)
	v_mul_f32_e32 v190, v5, v2
	v_mul_f32_e32 v191, v4, v2
	s_waitcnt vmcnt(53)
	v_mul_f32_e32 v192, v6, v3
	v_mul_f32_e32 v2, v7, v3
	s_waitcnt vmcnt(50)
	v_fma_f32 v190, v4, v139, -v190
	v_fmac_f32_e32 v191, v5, v139
	v_fmac_f32_e32 v192, v7, v138
	v_fma_f32 v138, v6, v138, -v2
	ds_read2_b64 v[2:5], v1 offset0:89 offset1:90
	s_waitcnt vmcnt(49) lgkmcnt(3)
	v_mul_f32_e32 v139, v8, v140
	v_mul_f32_e32 v6, v9, v140
	s_clause 0x7
	buffer_load_dword v194, off, s[0:3], 0 offset:436
	buffer_load_dword v195, off, s[0:3], 0 offset:444
	;; [unrolled: 1-line block ×8, first 2 shown]
	s_waitcnt vmcnt(56)
	v_mul_f32_e32 v140, v10, v141
	v_mul_f32_e32 v7, v11, v141
	s_waitcnt vmcnt(55) lgkmcnt(2)
	v_mul_f32_e32 v141, v130, v142
	v_mul_f32_e32 v142, v131, v142
	v_fmac_f32_e32 v139, v9, v12
	v_fma_f32 v12, v8, v12, -v6
	s_waitcnt vmcnt(54)
	v_mul_f32_e32 v6, v133, v143
	v_mul_f32_e32 v193, v132, v143
	s_waitcnt vmcnt(50)
	v_fmac_f32_e32 v140, v11, v147
	v_fma_f32 v11, v130, v146, -v142
	s_waitcnt vmcnt(49) lgkmcnt(1)
	v_mul_f32_e32 v142, v134, v148
	v_fma_f32 v130, v132, v145, -v6
	v_mul_f32_e32 v6, v135, v148
	v_fma_f32 v10, v10, v147, -v7
	v_fmac_f32_e32 v141, v131, v146
	v_fmac_f32_e32 v193, v133, v145
	s_waitcnt vmcnt(48)
	v_mul_f32_e32 v143, v136, v149
	v_mul_f32_e32 v7, v137, v149
	v_fmac_f32_e32 v142, v135, v144
	v_fma_f32 v134, v134, v144, -v6
	s_waitcnt vmcnt(43) lgkmcnt(0)
	v_mul_f32_e32 v144, v2, v154
	v_mul_f32_e32 v131, v3, v154
	s_waitcnt vmcnt(42)
	v_mul_f32_e32 v145, v4, v155
	v_mul_f32_e32 v132, v5, v155
	v_fmac_f32_e32 v143, v137, v153
	v_fma_f32 v135, v136, v153, -v7
	ds_read2_b64 v[6:9], v1 offset0:91 offset1:92
	v_fmac_f32_e32 v144, v3, v152
	v_fma_f32 v146, v2, v152, -v131
	v_fmac_f32_e32 v145, v5, v151
	v_fma_f32 v147, v4, v151, -v132
	s_clause 0x3
	buffer_load_dword v151, off, s[0:3], 0 offset:424
	buffer_load_dword v152, off, s[0:3], 0 offset:416
	;; [unrolled: 1-line block ×4, first 2 shown]
	v_add_f32_e32 v2, 0, v190
	s_clause 0x3
	buffer_load_dword v155, off, s[0:3], 0 offset:456
	buffer_load_dword v190, off, s[0:3], 0 offset:448
	;; [unrolled: 1-line block ×4, first 2 shown]
	v_add_f32_e32 v3, 0, v191
	buffer_load_dword v191, off, s[0:3], 0 offset:176
	v_add_f32_e32 v2, v2, v138
	v_add_f32_e32 v3, v3, v192
	;; [unrolled: 1-line block ×4, first 2 shown]
	s_waitcnt vmcnt(50) lgkmcnt(0)
	v_mul_f32_e32 v12, v6, v156
	v_mul_f32_e32 v4, v7, v156
	v_fmac_f32_e32 v12, v7, v150
	v_fma_f32 v138, v6, v150, -v4
	v_add_f32_e32 v6, v2, v10
	v_add_f32_e32 v7, v3, v140
	ds_read2_b64 v[2:5], v1 offset0:93 offset1:94
	v_add_f32_e32 v10, v6, v11
	s_waitcnt vmcnt(49)
	v_mul_f32_e32 v11, v8, v157
	v_mul_f32_e32 v6, v9, v157
	v_add_f32_e32 v131, v7, v141
	v_add_f32_e32 v10, v10, v130
	s_waitcnt vmcnt(45)
	v_fmac_f32_e32 v11, v9, v161
	v_fma_f32 v148, v8, v161, -v6
	ds_read2_b64 v[6:9], v1 offset0:95 offset1:96
	v_add_f32_e32 v136, v131, v193
	ds_read2_b64 v[130:133], v1 offset0:97 offset1:98
	v_add_f32_e32 v10, v10, v134
	v_add_f32_e32 v136, v136, v142
	;; [unrolled: 1-line block ×3, first 2 shown]
	s_waitcnt vmcnt(44) lgkmcnt(2)
	v_mul_f32_e32 v134, v3, v162
	v_mul_f32_e32 v149, v2, v162
	s_waitcnt vmcnt(43)
	v_mul_f32_e32 v139, v5, v163
	v_fma_f32 v150, v2, v160, -v134
	v_add_f32_e32 v2, v136, v143
	v_fmac_f32_e32 v149, v3, v160
	v_add_f32_e32 v3, v10, v146
	ds_read2_b64 v[134:137], v1 offset0:99 offset1:100
	v_mul_f32_e32 v10, v4, v163
	v_add_f32_e32 v2, v2, v144
	s_waitcnt vmcnt(42) lgkmcnt(2)
	v_mul_f32_e32 v140, v7, v164
	v_add_f32_e32 v3, v3, v147
	v_mul_f32_e32 v156, v6, v164
	s_waitcnt vmcnt(40) lgkmcnt(1)
	v_mul_f32_e32 v160, v130, v166
	v_add_f32_e32 v2, v2, v145
	v_fma_f32 v147, v6, v158, -v140
	v_add_f32_e32 v6, v3, v138
	v_fmac_f32_e32 v156, v7, v158
	s_waitcnt vmcnt(37)
	v_fmac_f32_e32 v160, v131, v169
	v_add_f32_e32 v7, v2, v12
	v_mul_f32_e32 v12, v131, v166
	v_add_f32_e32 v131, v6, v148
	v_fma_f32 v146, v4, v159, -v139
	v_fmac_f32_e32 v10, v5, v159
	v_add_f32_e32 v11, v7, v11
	v_fma_f32 v12, v130, v169, -v12
	v_add_f32_e32 v130, v131, v150
	v_mul_f32_e32 v142, v9, v165
	v_mul_f32_e32 v157, v8, v165
	v_add_f32_e32 v11, v11, v149
	ds_read2_b64 v[2:5], v1 offset0:101 offset1:102
	ds_read2_b64 v[138:141], v1 offset0:103 offset1:104
	v_add_f32_e32 v130, v130, v146
	s_waitcnt vmcnt(36)
	v_fma_f32 v158, v8, v170, -v142
	v_fmac_f32_e32 v157, v9, v170
	v_add_f32_e32 v10, v11, v10
	s_waitcnt vmcnt(35)
	v_mul_f32_e32 v131, v133, v171
	v_add_f32_e32 v165, v130, v147
	v_mul_f32_e32 v150, v132, v171
	s_waitcnt vmcnt(34) lgkmcnt(2)
	v_mul_f32_e32 v146, v135, v172
	v_add_f32_e32 v156, v10, v156
	v_fma_f32 v163, v132, v168, -v131
	v_add_f32_e32 v158, v165, v158
	v_mul_f32_e32 v159, v134, v172
	v_fmac_f32_e32 v150, v133, v168
	v_add_f32_e32 v156, v156, v157
	s_waitcnt vmcnt(33)
	v_mul_f32_e32 v162, v137, v173
	v_add_f32_e32 v12, v158, v12
	v_fma_f32 v164, v134, v167, -v146
	v_mul_f32_e32 v161, v136, v173
	v_add_f32_e32 v156, v156, v160
	v_fmac_f32_e32 v159, v135, v167
	v_add_f32_e32 v12, v12, v163
	s_waitcnt vmcnt(26)
	v_fma_f32 v162, v136, v180, -v162
	s_waitcnt lgkmcnt(1)
	v_mul_f32_e32 v166, v3, v174
	v_add_f32_e32 v150, v156, v150
	ds_read2_b64 v[6:9], v1 offset0:105 offset1:106
	ds_read2_b64 v[142:145], v1 offset0:107 offset1:108
	v_add_f32_e32 v12, v12, v164
	v_fmac_f32_e32 v161, v137, v180
	v_mul_f32_e32 v165, v2, v174
	v_add_f32_e32 v150, v150, v159
	v_mul_f32_e32 v167, v5, v175
	v_fma_f32 v2, v2, v179, -v166
	v_add_f32_e32 v12, v12, v162
	v_mul_f32_e32 v157, v4, v175
	v_fmac_f32_e32 v165, v3, v179
	v_add_f32_e32 v150, v150, v161
	s_waitcnt lgkmcnt(2)
	v_mul_f32_e32 v166, v139, v176
	v_fma_f32 v4, v4, v178, -v167
	v_add_f32_e32 v2, v12, v2
	v_mul_f32_e32 v158, v138, v176
	v_fmac_f32_e32 v157, v5, v178
	v_add_f32_e32 v12, v150, v165
	s_waitcnt vmcnt(25)
	v_mul_f32_e32 v161, v141, v181
	v_fma_f32 v138, v138, v177, -v166
	v_add_f32_e32 v2, v2, v4
	v_mul_f32_e32 v160, v140, v181
	v_fmac_f32_e32 v158, v139, v177
	v_add_f32_e32 v4, v12, v157
	s_waitcnt vmcnt(24) lgkmcnt(1)
	v_mul_f32_e32 v12, v7, v182
	v_add_f32_e32 v2, v2, v138
	ds_read2_b64 v[130:133], v1 offset0:109 offset1:110
	ds_read2_b64 v[146:149], v1 offset0:111 offset1:112
	v_mul_f32_e32 v3, v6, v182
	v_add_f32_e32 v4, v4, v158
	s_waitcnt vmcnt(23)
	v_mul_f32_e32 v138, v9, v183
	v_mul_f32_e32 v163, v8, v183
	s_waitcnt vmcnt(22) lgkmcnt(2)
	v_mul_f32_e32 v156, v142, v184
	s_waitcnt vmcnt(21)
	v_mul_f32_e32 v5, v144, v185
	ds_read2_b64 v[134:137], v1 offset0:113 offset1:114
	ds_read_b64 v[10:11], v1 offset:920
	s_waitcnt vmcnt(20) lgkmcnt(3)
	v_mul_f32_e32 v167, v130, v186
	s_waitcnt vmcnt(19)
	v_mul_f32_e32 v159, v132, v187
	s_waitcnt vmcnt(18) lgkmcnt(2)
	v_mul_f32_e32 v164, v146, v188
	s_waitcnt vmcnt(16)
	v_mul_f32_e32 v168, v148, v194
	s_waitcnt vmcnt(12)
	v_fmac_f32_e32 v156, v143, v198
	s_waitcnt vmcnt(11)
	v_fma_f32 v8, v8, v199, -v138
	s_waitcnt vmcnt(10)
	v_fma_f32 v6, v6, v200, -v12
	s_waitcnt vmcnt(9)
	v_fma_f32 v139, v140, v201, -v161
	v_fmac_f32_e32 v160, v141, v201
	v_fmac_f32_e32 v3, v7, v200
	v_mul_f32_e32 v7, v143, v184
	v_fmac_f32_e32 v163, v9, v199
	v_add_f32_e32 v2, v2, v139
	v_add_f32_e32 v4, v4, v160
	s_waitcnt lgkmcnt(1)
	v_mul_f32_e32 v162, v134, v195
	v_mul_f32_e32 v169, v136, v196
	s_waitcnt lgkmcnt(0)
	v_mul_f32_e32 v150, v10, v197
	v_add_f32_e32 v2, v2, v6
	v_add_f32_e32 v3, v4, v3
	v_mul_f32_e32 v4, v145, v185
	v_fma_f32 v6, v142, v198, -v7
	v_mul_f32_e32 v7, v131, v186
	v_add_f32_e32 v2, v2, v8
	v_add_f32_e32 v3, v3, v163
	;; [unrolled: 1-line block ×4, first 2 shown]
	v_mul_f32_e32 v6, v133, v187
	s_waitcnt vmcnt(8)
	v_fmac_f32_e32 v164, v147, v151
	s_waitcnt vmcnt(7)
	v_fmac_f32_e32 v159, v133, v152
	s_waitcnt vmcnt(6)
	v_fma_f32 v7, v130, v153, -v7
	s_waitcnt vmcnt(5)
	v_fma_f32 v4, v144, v154, -v4
	v_fmac_f32_e32 v5, v145, v154
	v_fmac_f32_e32 v167, v131, v153
	s_waitcnt vmcnt(1)
	v_fmac_f32_e32 v168, v149, v203
	v_fmac_f32_e32 v162, v135, v202
	v_add_f32_e32 v2, v2, v4
	v_add_f32_e32 v3, v3, v5
	v_mul_f32_e32 v4, v147, v188
	v_fma_f32 v5, v132, v152, -v6
	v_mul_f32_e32 v6, v149, v194
	v_add_f32_e32 v2, v2, v7
	v_add_f32_e32 v3, v3, v167
	v_fma_f32 v4, v146, v151, -v4
	v_fmac_f32_e32 v169, v137, v190
	v_fma_f32 v6, v148, v203, -v6
	v_add_f32_e32 v2, v2, v5
	v_add_f32_e32 v3, v3, v159
	v_mul_f32_e32 v5, v135, v195
	v_fmac_f32_e32 v150, v11, v155
	v_add_f32_e32 v2, v2, v4
	v_add_f32_e32 v3, v3, v164
	v_mul_f32_e32 v4, v137, v196
	v_fma_f32 v5, v134, v202, -v5
	v_add_f32_e32 v2, v2, v6
	v_add_f32_e32 v3, v3, v168
	v_mul_f32_e32 v6, v11, v197
	v_fma_f32 v4, v136, v190, -v4
	v_add_f32_e32 v2, v2, v5
	v_add_f32_e32 v3, v3, v162
	v_fma_f32 v5, v10, v155, -v6
	v_add_f32_e32 v2, v2, v4
	v_add_f32_e32 v3, v3, v169
	;; [unrolled: 1-line block ×4, first 2 shown]
	s_waitcnt vmcnt(0)
	v_sub_f32_e32 v2, v191, v2
	v_sub_f32_e32 v3, v189, v3
	buffer_store_dword v2, off, s[0:3], 0 offset:176
	buffer_store_dword v3, off, s[0:3], 0 offset:180
	v_cmpx_lt_u32_e32 21, v0
	s_cbranch_execz .LBB57_319
; %bb.318:
	s_clause 0x1
	buffer_load_dword v2, off, s[0:3], 0 offset:168
	buffer_load_dword v3, off, s[0:3], 0 offset:172
	buffer_store_dword v1, off, s[0:3], 0 offset:168
	buffer_store_dword v1, off, s[0:3], 0 offset:172
	s_waitcnt vmcnt(0)
	ds_write_b64 v129, v[2:3]
.LBB57_319:
	s_or_b32 exec_lo, exec_lo, s4
	s_waitcnt lgkmcnt(0)
	s_waitcnt_vscnt null, 0x0
	s_barrier
	buffer_gl0_inv
	s_clause 0x23
	buffer_load_dword v138, off, s[0:3], 0 offset:180
	buffer_load_dword v139, off, s[0:3], 0 offset:188
	;; [unrolled: 1-line block ×36, first 2 shown]
	ds_read_b128 v[5:8], v1 offset:640
	s_clause 0x2
	buffer_load_dword v174, off, s[0:3], 0 offset:316
	buffer_load_dword v175, off, s[0:3], 0 offset:324
	;; [unrolled: 1-line block ×3, first 2 shown]
	ds_read_b128 v[9:12], v1 offset:656
	s_clause 0x3
	buffer_load_dword v177, off, s[0:3], 0 offset:364
	buffer_load_dword v4, off, s[0:3], 0 offset:372
	;; [unrolled: 1-line block ×4, first 2 shown]
	ds_read_b128 v[130:133], v1 offset:672
	s_clause 0x6
	buffer_load_dword v178, off, s[0:3], 0 offset:340
	buffer_load_dword v179, off, s[0:3], 0 offset:348
	;; [unrolled: 1-line block ×7, first 2 shown]
	ds_read_b128 v[134:137], v1 offset:688
	buffer_load_dword v188, off, s[0:3], 0 offset:172
	s_mov_b32 s4, exec_lo
	s_waitcnt vmcnt(50) lgkmcnt(3)
	v_mul_f32_e32 v185, v6, v138
	v_mul_f32_e32 v186, v5, v138
	s_waitcnt vmcnt(49)
	v_mul_f32_e32 v187, v7, v139
	v_mul_f32_e32 v138, v8, v139
	s_waitcnt vmcnt(46)
	v_fma_f32 v185, v5, v141, -v185
	v_fmac_f32_e32 v186, v6, v141
	v_fmac_f32_e32 v187, v8, v140
	v_fma_f32 v189, v7, v140, -v138
	ds_read_b128 v[5:8], v1 offset:704
	ds_read_b128 v[138:141], v1 offset:720
	s_waitcnt vmcnt(45) lgkmcnt(4)
	v_mul_f32_e32 v190, v9, v143
	v_mul_f32_e32 v143, v10, v143
	s_waitcnt vmcnt(43) lgkmcnt(3)
	v_mul_f32_e32 v192, v130, v145
	v_mul_f32_e32 v145, v131, v145
	;; [unrolled: 1-line block ×3, first 2 shown]
	v_fmac_f32_e32 v190, v10, v142
	v_fma_f32 v142, v9, v142, -v143
	s_waitcnt vmcnt(42)
	v_mul_f32_e32 v9, v133, v146
	v_mul_f32_e32 v144, v12, v144
	;; [unrolled: 1-line block ×3, first 2 shown]
	s_waitcnt vmcnt(39)
	v_fmac_f32_e32 v192, v131, v149
	v_fma_f32 v130, v130, v149, -v145
	v_fma_f32 v131, v132, v148, -v9
	s_waitcnt vmcnt(37) lgkmcnt(2)
	v_mul_f32_e32 v132, v134, v151
	v_mul_f32_e32 v9, v135, v151
	s_waitcnt vmcnt(36)
	v_mul_f32_e32 v145, v136, v152
	v_mul_f32_e32 v10, v137, v152
	v_fmac_f32_e32 v191, v12, v150
	v_fma_f32 v144, v11, v150, -v144
	s_clause 0x3
	buffer_load_dword v150, off, s[0:3], 0 offset:396
	buffer_load_dword v193, off, s[0:3], 0 offset:404
	;; [unrolled: 1-line block ×4, first 2 shown]
	v_fmac_f32_e32 v143, v133, v148
	s_clause 0x4
	buffer_load_dword v196, off, s[0:3], 0 offset:428
	buffer_load_dword v197, off, s[0:3], 0 offset:436
	;; [unrolled: 1-line block ×5, first 2 shown]
	v_fmac_f32_e32 v132, v135, v147
	v_fma_f32 v133, v134, v147, -v9
	s_waitcnt vmcnt(44) lgkmcnt(1)
	v_mul_f32_e32 v134, v5, v153
	v_mul_f32_e32 v9, v6, v153
	s_waitcnt vmcnt(40)
	v_fmac_f32_e32 v145, v137, v157
	v_fma_f32 v135, v136, v157, -v10
	s_waitcnt vmcnt(39)
	v_mul_f32_e32 v146, v7, v158
	v_mul_f32_e32 v10, v8, v158
	s_clause 0x3
	buffer_load_dword v152, off, s[0:3], 0 offset:384
	buffer_load_dword v153, off, s[0:3], 0 offset:376
	;; [unrolled: 1-line block ×4, first 2 shown]
	v_fmac_f32_e32 v134, v6, v156
	v_fma_f32 v136, v5, v156, -v9
	v_fmac_f32_e32 v146, v8, v155
	v_fma_f32 v147, v7, v155, -v10
	ds_read_b128 v[5:8], v1 offset:736
	s_waitcnt vmcnt(42) lgkmcnt(1)
	v_mul_f32_e32 v148, v138, v159
	v_mul_f32_e32 v9, v139, v159
	s_waitcnt vmcnt(41)
	v_mul_f32_e32 v149, v140, v160
	v_mul_f32_e32 v10, v141, v160
	v_fmac_f32_e32 v148, v139, v154
	v_fma_f32 v138, v138, v154, -v9
	s_clause 0x3
	buffer_load_dword v154, off, s[0:3], 0 offset:416
	buffer_load_dword v155, off, s[0:3], 0 offset:408
	buffer_load_dword v156, off, s[0:3], 0 offset:400
	buffer_load_dword v159, off, s[0:3], 0 offset:392
	v_add_f32_e32 v9, 0, v185
	s_waitcnt vmcnt(41)
	v_fmac_f32_e32 v149, v141, v164
	v_fma_f32 v139, v140, v164, -v10
	v_add_f32_e32 v10, 0, v186
	v_add_f32_e32 v137, v9, v189
	;; [unrolled: 1-line block ×3, first 2 shown]
	ds_read_b128 v[9:12], v1 offset:752
	v_add_f32_e32 v137, v137, v142
	s_waitcnt vmcnt(40) lgkmcnt(1)
	v_mul_f32_e32 v142, v5, v165
	v_mul_f32_e32 v141, v6, v165
	v_add_f32_e32 v140, v140, v190
	s_waitcnt vmcnt(39)
	v_mul_f32_e32 v189, v7, v166
	v_fmac_f32_e32 v142, v6, v163
	v_fma_f32 v160, v5, v163, -v141
	s_clause 0x5
	buffer_load_dword v163, off, s[0:3], 0 offset:448
	buffer_load_dword v164, off, s[0:3], 0 offset:440
	;; [unrolled: 1-line block ×6, first 2 shown]
	v_add_f32_e32 v5, v137, v144
	v_add_f32_e32 v6, v140, v191
	v_fmac_f32_e32 v189, v8, v162
	v_add_f32_e32 v5, v5, v130
	v_add_f32_e32 v6, v6, v192
	v_mul_f32_e32 v130, v8, v166
	s_waitcnt vmcnt(43) lgkmcnt(0)
	v_mul_f32_e32 v141, v12, v168
	v_mul_f32_e32 v166, v9, v167
	v_add_f32_e32 v5, v5, v131
	v_add_f32_e32 v131, v6, v143
	v_fma_f32 v162, v7, v162, -v130
	v_fmac_f32_e32 v166, v10, v161
	v_add_f32_e32 v137, v5, v133
	ds_read_b128 v[5:8], v1 offset:768
	v_add_f32_e32 v140, v131, v132
	ds_read_b128 v[130:133], v1 offset:784
	v_add_f32_e32 v135, v137, v135
	v_mul_f32_e32 v137, v10, v167
	v_add_f32_e32 v140, v140, v145
	v_mul_f32_e32 v167, v11, v168
	s_waitcnt vmcnt(39)
	v_fma_f32 v168, v11, v172, -v141
	v_add_f32_e32 v143, v135, v136
	v_fma_f32 v161, v9, v161, -v137
	v_add_f32_e32 v140, v140, v134
	v_fmac_f32_e32 v167, v12, v172
	ds_read_b128 v[9:12], v1 offset:800
	ds_read_b128 v[134:137], v1 offset:816
	v_add_f32_e32 v141, v143, v147
	v_add_f32_e32 v140, v140, v146
	;; [unrolled: 1-line block ×3, first 2 shown]
	s_waitcnt vmcnt(38) lgkmcnt(3)
	v_mul_f32_e32 v172, v5, v173
	v_mul_f32_e32 v143, v6, v173
	s_waitcnt vmcnt(37)
	v_mul_f32_e32 v173, v7, v174
	v_mul_f32_e32 v144, v8, v174
	v_add_f32_e32 v140, v140, v148
	v_fmac_f32_e32 v172, v6, v171
	v_fma_f32 v171, v5, v171, -v143
	v_add_f32_e32 v143, v138, v139
	v_fmac_f32_e32 v173, v8, v170
	v_fma_f32 v170, v7, v170, -v144
	v_add_f32_e32 v144, v140, v149
	s_waitcnt vmcnt(35) lgkmcnt(2)
	v_mul_f32_e32 v146, v133, v176
	v_add_f32_e32 v147, v143, v160
	s_waitcnt vmcnt(30) lgkmcnt(1)
	v_mul_f32_e32 v148, v10, v178
	v_mul_f32_e32 v174, v130, v175
	;; [unrolled: 1-line block ×3, first 2 shown]
	s_waitcnt vmcnt(24)
	v_fma_f32 v160, v132, v184, -v146
	v_add_f32_e32 v146, v144, v142
	v_add_f32_e32 v147, v147, v162
	v_mul_f32_e32 v162, v9, v178
	v_fmac_f32_e32 v174, v131, v169
	v_fma_f32 v169, v130, v169, -v145
	v_add_f32_e32 v146, v146, v189
	v_mul_f32_e32 v175, v132, v176
	v_fmac_f32_e32 v162, v10, v183
	v_add_f32_e32 v10, v147, v161
	ds_read_b128 v[5:8], v1 offset:832
	ds_read_b128 v[138:141], v1 offset:848
	v_add_f32_e32 v146, v146, v166
	v_fmac_f32_e32 v175, v133, v184
	v_mul_f32_e32 v149, v12, v179
	v_add_f32_e32 v168, v10, v168
	v_fma_f32 v161, v9, v183, -v148
	v_add_f32_e32 v167, v146, v167
	v_mul_f32_e32 v176, v11, v179
	v_fma_f32 v166, v11, v182, -v149
	v_add_f32_e32 v168, v168, v171
	s_waitcnt lgkmcnt(2)
	v_mul_f32_e32 v171, v135, v180
	v_add_f32_e32 v167, v167, v172
	ds_read_b128 v[130:133], v1 offset:864
	ds_read_b128 v[142:145], v1 offset:880
	v_fmac_f32_e32 v176, v12, v182
	v_add_f32_e32 v168, v168, v170
	ds_read_b128 v[9:12], v1 offset:896
	ds_read_b128 v[146:149], v1 offset:912
	v_add_f32_e32 v167, v167, v173
	v_mul_f32_e32 v1, v134, v180
	v_mul_f32_e32 v172, v136, v177
	v_add_f32_e32 v168, v168, v169
	v_mul_f32_e32 v177, v137, v177
	v_add_f32_e32 v167, v167, v174
	v_fma_f32 v134, v134, v181, -v171
	v_fmac_f32_e32 v1, v135, v181
	v_add_f32_e32 v160, v168, v160
	s_waitcnt lgkmcnt(5)
	v_mul_f32_e32 v170, v5, v4
	v_add_f32_e32 v167, v167, v175
	v_mul_f32_e32 v4, v6, v4
	v_mul_f32_e32 v173, v7, v3
	v_add_f32_e32 v160, v160, v161
	v_mul_f32_e32 v3, v8, v3
	v_add_f32_e32 v162, v167, v162
	s_waitcnt lgkmcnt(4)
	v_mul_f32_e32 v178, v138, v2
	v_mul_f32_e32 v2, v139, v2
	v_add_f32_e32 v160, v160, v166
	v_add_f32_e32 v162, v162, v176
	;; [unrolled: 1-line block ×4, first 2 shown]
	s_waitcnt vmcnt(22)
	v_mul_f32_e32 v169, v140, v150
	s_waitcnt vmcnt(21) lgkmcnt(3)
	v_mul_f32_e32 v174, v130, v193
	s_waitcnt vmcnt(20)
	v_mul_f32_e32 v179, v132, v194
	s_waitcnt vmcnt(19) lgkmcnt(2)
	v_mul_f32_e32 v168, v142, v195
	;; [unrolled: 4-line block ×4, first 2 shown]
	s_waitcnt vmcnt(14)
	v_mul_f32_e32 v135, v148, v151
	s_waitcnt vmcnt(13)
	v_fma_f32 v2, v138, v152, -v2
	s_waitcnt vmcnt(12)
	v_fma_f32 v3, v7, v153, -v3
	;; [unrolled: 2-line block ×4, first 2 shown]
	v_fmac_f32_e32 v172, v137, v158
	v_fmac_f32_e32 v170, v6, v157
	;; [unrolled: 1-line block ×4, first 2 shown]
	v_add_f32_e32 v5, v134, v136
	v_add_f32_e32 v1, v1, v172
	;; [unrolled: 1-line block ×4, first 2 shown]
	v_mul_f32_e32 v5, v141, v150
	s_waitcnt vmcnt(6)
	v_fmac_f32_e32 v169, v141, v159
	v_fmac_f32_e32 v174, v131, v156
	v_add_f32_e32 v3, v4, v3
	v_add_f32_e32 v1, v1, v173
	v_mul_f32_e32 v4, v131, v193
	v_fma_f32 v5, v140, v159, -v5
	v_fmac_f32_e32 v179, v133, v155
	v_add_f32_e32 v2, v3, v2
	v_add_f32_e32 v1, v1, v178
	v_mul_f32_e32 v3, v133, v194
	v_fma_f32 v4, v130, v156, -v4
	;; [unrolled: 5-line block ×3, first 2 shown]
	s_waitcnt vmcnt(5)
	v_fmac_f32_e32 v167, v147, v163
	v_add_f32_e32 v2, v2, v4
	v_add_f32_e32 v1, v1, v174
	v_mul_f32_e32 v4, v145, v196
	v_fma_f32 v5, v142, v154, -v5
	s_waitcnt vmcnt(2)
	v_fmac_f32_e32 v175, v145, v185
	v_add_f32_e32 v2, v2, v3
	v_add_f32_e32 v1, v1, v179
	v_mul_f32_e32 v3, v10, v197
	v_fma_f32 v4, v144, v185, -v4
	v_fmac_f32_e32 v180, v10, v165
	v_add_f32_e32 v2, v2, v5
	v_add_f32_e32 v1, v1, v168
	v_mul_f32_e32 v5, v12, v198
	v_fma_f32 v3, v9, v165, -v3
	;; [unrolled: 5-line block ×3, first 2 shown]
	s_waitcnt vmcnt(1)
	v_fmac_f32_e32 v135, v149, v186
	v_add_f32_e32 v2, v2, v3
	v_add_f32_e32 v1, v1, v180
	v_mul_f32_e32 v3, v149, v151
	v_fma_f32 v4, v146, v163, -v4
	v_add_f32_e32 v2, v2, v5
	v_add_f32_e32 v1, v1, v161
	v_fma_f32 v3, v148, v186, -v3
	v_add_f32_e32 v2, v2, v4
	v_add_f32_e32 v1, v1, v167
	;; [unrolled: 1-line block ×4, first 2 shown]
	s_waitcnt vmcnt(0)
	v_sub_f32_e32 v2, v187, v2
	v_sub_f32_e32 v1, v188, v1
	buffer_store_dword v2, off, s[0:3], 0 offset:168
	buffer_store_dword v1, off, s[0:3], 0 offset:172
	v_cmpx_lt_u32_e32 20, v0
	s_cbranch_execz .LBB57_321
; %bb.320:
	s_clause 0x1
	buffer_load_dword v1, off, s[0:3], 0 offset:160
	buffer_load_dword v2, off, s[0:3], 0 offset:164
	v_mov_b32_e32 v3, 0
	buffer_store_dword v3, off, s[0:3], 0 offset:160
	buffer_store_dword v3, off, s[0:3], 0 offset:164
	s_waitcnt vmcnt(0)
	ds_write_b64 v129, v[1:2]
.LBB57_321:
	s_or_b32 exec_lo, exec_lo, s4
	s_waitcnt lgkmcnt(0)
	s_waitcnt_vscnt null, 0x0
	s_barrier
	buffer_gl0_inv
	s_clause 0x25
	buffer_load_dword v2, off, s[0:3], 0 offset:172
	buffer_load_dword v3, off, s[0:3], 0 offset:180
	;; [unrolled: 1-line block ×38, first 2 shown]
	v_mov_b32_e32 v1, 0
	ds_read2_b64 v[4:7], v1 offset0:79 offset1:80
	ds_read2_b64 v[8:11], v1 offset0:81 offset1:82
	s_clause 0x10
	buffer_load_dword v173, off, s[0:3], 0 offset:324
	buffer_load_dword v174, off, s[0:3], 0 offset:332
	;; [unrolled: 1-line block ×17, first 2 shown]
	ds_read2_b64 v[130:133], v1 offset0:83 offset1:84
	ds_read2_b64 v[134:137], v1 offset0:85 offset1:86
	s_mov_b32 s4, exec_lo
	s_waitcnt vmcnt(54) lgkmcnt(3)
	v_mul_f32_e32 v190, v5, v2
	v_mul_f32_e32 v191, v4, v2
	s_waitcnt vmcnt(53)
	v_mul_f32_e32 v192, v6, v3
	v_mul_f32_e32 v2, v7, v3
	s_waitcnt vmcnt(52) lgkmcnt(2)
	v_mul_f32_e32 v193, v8, v12
	v_mul_f32_e32 v3, v9, v12
	s_waitcnt vmcnt(49)
	v_fma_f32 v12, v4, v140, -v190
	s_waitcnt vmcnt(48)
	v_mul_f32_e32 v4, v11, v141
	v_fmac_f32_e32 v191, v5, v140
	v_mul_f32_e32 v140, v10, v141
	v_fmac_f32_e32 v192, v7, v139
	v_fma_f32 v139, v6, v139, -v2
	v_fmac_f32_e32 v193, v9, v138
	v_fma_f32 v138, v8, v138, -v3
	s_waitcnt vmcnt(44)
	v_fma_f32 v10, v10, v145, -v4
	ds_read2_b64 v[2:5], v1 offset0:87 offset1:88
	ds_read2_b64 v[6:9], v1 offset0:89 offset1:90
	v_fmac_f32_e32 v140, v11, v145
	s_waitcnt vmcnt(43) lgkmcnt(3)
	v_mul_f32_e32 v11, v130, v146
	v_mul_f32_e32 v141, v131, v146
	s_waitcnt vmcnt(42)
	v_mul_f32_e32 v145, v132, v147
	v_mul_f32_e32 v146, v133, v147
	s_waitcnt vmcnt(41) lgkmcnt(2)
	v_mul_f32_e32 v147, v134, v148
	v_mul_f32_e32 v148, v135, v148
	v_fmac_f32_e32 v11, v131, v144
	v_fma_f32 v130, v130, v144, -v141
	s_waitcnt vmcnt(40)
	v_mul_f32_e32 v131, v136, v149
	v_mul_f32_e32 v141, v137, v149
	v_fmac_f32_e32 v145, v133, v143
	v_fma_f32 v132, v132, v143, -v146
	v_fmac_f32_e32 v147, v135, v142
	v_fma_f32 v133, v134, v142, -v148
	s_waitcnt vmcnt(36)
	v_fmac_f32_e32 v131, v137, v153
	v_fma_f32 v134, v136, v153, -v141
	s_clause 0x3
	buffer_load_dword v190, off, s[0:3], 0 offset:388
	buffer_load_dword v194, off, s[0:3], 0 offset:396
	buffer_load_dword v195, off, s[0:3], 0 offset:404
	buffer_load_dword v196, off, s[0:3], 0 offset:412
	s_waitcnt vmcnt(39) lgkmcnt(1)
	v_mul_f32_e32 v135, v2, v154
	v_mul_f32_e32 v136, v3, v154
	s_waitcnt vmcnt(38)
	v_mul_f32_e32 v137, v4, v155
	v_mul_f32_e32 v141, v5, v155
	s_waitcnt vmcnt(37) lgkmcnt(0)
	v_mul_f32_e32 v143, v7, v156
	s_clause 0x3
	buffer_load_dword v153, off, s[0:3], 0 offset:420
	buffer_load_dword v197, off, s[0:3], 0 offset:428
	;; [unrolled: 1-line block ×4, first 2 shown]
	v_fmac_f32_e32 v135, v3, v152
	v_fma_f32 v136, v2, v152, -v136
	v_mul_f32_e32 v142, v6, v156
	v_fmac_f32_e32 v137, v5, v151
	v_fma_f32 v141, v4, v151, -v141
	ds_read2_b64 v[2:5], v1 offset0:91 offset1:92
	v_fma_f32 v143, v6, v150, -v143
	s_waitcnt vmcnt(40)
	v_mul_f32_e32 v6, v9, v157
	s_clause 0x1
	buffer_load_dword v154, off, s[0:3], 0 offset:452
	buffer_load_dword v151, off, s[0:3], 0 offset:460
	v_fmac_f32_e32 v142, v7, v150
	v_mul_f32_e32 v144, v8, v157
	s_waitcnt vmcnt(38)
	v_fma_f32 v146, v8, v161, -v6
	v_add_f32_e32 v6, 0, v12
	s_clause 0x3
	buffer_load_dword v12, off, s[0:3], 0 offset:408
	buffer_load_dword v150, off, s[0:3], 0 offset:400
	;; [unrolled: 1-line block ×4, first 2 shown]
	v_add_f32_e32 v7, 0, v191
	v_fmac_f32_e32 v144, v9, v161
	v_add_f32_e32 v6, v6, v139
	v_add_f32_e32 v139, v7, v192
	;; [unrolled: 1-line block ×3, first 2 shown]
	ds_read2_b64 v[6:9], v1 offset0:93 offset1:94
	s_waitcnt vmcnt(41) lgkmcnt(1)
	v_mul_f32_e32 v148, v2, v162
	v_mul_f32_e32 v149, v3, v162
	v_add_f32_e32 v139, v139, v193
	v_add_f32_e32 v10, v138, v10
	v_fmac_f32_e32 v148, v3, v160
	v_fma_f32 v138, v2, v160, -v149
	s_clause 0x6
	buffer_load_dword v156, off, s[0:3], 0 offset:440
	buffer_load_dword v157, off, s[0:3], 0 offset:432
	;; [unrolled: 1-line block ×7, first 2 shown]
	v_add_f32_e32 v2, v139, v140
	v_add_f32_e32 v3, v10, v130
	s_waitcnt vmcnt(47)
	v_mul_f32_e32 v10, v4, v163
	v_add_f32_e32 v2, v2, v11
	v_add_f32_e32 v3, v3, v132
	v_mul_f32_e32 v11, v5, v163
	v_fmac_f32_e32 v10, v5, v159
	s_waitcnt vmcnt(45) lgkmcnt(0)
	v_mul_f32_e32 v149, v8, v165
	v_add_f32_e32 v2, v2, v145
	v_add_f32_e32 v3, v3, v133
	v_fma_f32 v11, v4, v159, -v11
	s_waitcnt vmcnt(41)
	v_fmac_f32_e32 v149, v9, v169
	v_add_f32_e32 v130, v2, v147
	v_add_f32_e32 v134, v3, v134
	ds_read2_b64 v[2:5], v1 offset0:95 offset1:96
	v_mul_f32_e32 v147, v6, v164
	v_add_f32_e32 v139, v130, v131
	v_add_f32_e32 v134, v134, v136
	v_mul_f32_e32 v136, v7, v164
	ds_read2_b64 v[130:133], v1 offset0:97 offset1:98
	v_fmac_f32_e32 v147, v7, v158
	v_add_f32_e32 v135, v139, v135
	v_mul_f32_e32 v139, v9, v165
	v_add_f32_e32 v140, v134, v141
	v_fma_f32 v158, v6, v158, -v136
	v_fma_f32 v159, v8, v169, -v139
	v_add_f32_e32 v139, v135, v137
	v_add_f32_e32 v140, v140, v143
	ds_read2_b64 v[6:9], v1 offset0:99 offset1:100
	ds_read2_b64 v[134:137], v1 offset0:101 offset1:102
	v_add_f32_e32 v139, v139, v142
	s_waitcnt vmcnt(39) lgkmcnt(3)
	v_mul_f32_e32 v164, v4, v171
	v_mul_f32_e32 v142, v5, v171
	v_add_f32_e32 v140, v140, v146
	v_mul_f32_e32 v141, v3, v170
	v_add_f32_e32 v139, v139, v144
	v_fmac_f32_e32 v164, v5, v167
	v_fma_f32 v167, v4, v167, -v142
	v_add_f32_e32 v142, v140, v138
	v_mul_f32_e32 v163, v2, v170
	v_add_f32_e32 v144, v139, v148
	v_fma_f32 v146, v2, v168, -v141
	s_waitcnt vmcnt(38) lgkmcnt(2)
	v_mul_f32_e32 v165, v130, v172
	v_add_f32_e32 v11, v142, v11
	v_fmac_f32_e32 v163, v3, v168
	v_add_f32_e32 v10, v144, v10
	v_mul_f32_e32 v143, v131, v172
	s_waitcnt vmcnt(37)
	v_mul_f32_e32 v145, v133, v173
	v_add_f32_e32 v11, v11, v158
	s_waitcnt vmcnt(36) lgkmcnt(1)
	v_mul_f32_e32 v158, v6, v174
	v_add_f32_e32 v10, v10, v147
	v_mul_f32_e32 v147, v7, v174
	v_fmac_f32_e32 v165, v131, v166
	v_fma_f32 v166, v130, v166, -v143
	s_waitcnt vmcnt(31)
	v_fmac_f32_e32 v158, v7, v179
	v_add_f32_e32 v7, v11, v159
	v_add_f32_e32 v10, v10, v149
	v_mul_f32_e32 v169, v132, v173
	s_waitcnt vmcnt(30)
	v_fma_f32 v168, v132, v180, -v145
	ds_read2_b64 v[2:5], v1 offset0:103 offset1:104
	ds_read2_b64 v[138:141], v1 offset0:105 offset1:106
	v_add_f32_e32 v172, v7, v146
	v_add_f32_e32 v163, v10, v163
	v_fmac_f32_e32 v169, v133, v180
	v_mul_f32_e32 v148, v9, v175
	v_fma_f32 v159, v6, v179, -v147
	v_add_f32_e32 v167, v172, v167
	v_add_f32_e32 v163, v163, v164
	v_mul_f32_e32 v170, v8, v175
	v_fma_f32 v171, v8, v178, -v148
	s_waitcnt lgkmcnt(2)
	v_mul_f32_e32 v173, v135, v176
	v_add_f32_e32 v166, v167, v166
	v_add_f32_e32 v163, v163, v165
	v_fmac_f32_e32 v170, v9, v178
	v_mul_f32_e32 v172, v134, v176
	s_waitcnt vmcnt(29)
	v_mul_f32_e32 v174, v137, v181
	v_add_f32_e32 v166, v166, v168
	v_add_f32_e32 v163, v163, v169
	v_fma_f32 v134, v134, v177, -v173
	v_mul_f32_e32 v164, v136, v181
	v_fmac_f32_e32 v172, v135, v177
	v_add_f32_e32 v159, v166, v159
	v_add_f32_e32 v158, v163, v158
	s_waitcnt vmcnt(28) lgkmcnt(1)
	v_mul_f32_e32 v167, v2, v182
	v_mul_f32_e32 v173, v3, v182
	s_waitcnt vmcnt(22)
	v_fma_f32 v136, v136, v188, -v174
	v_add_f32_e32 v159, v159, v171
	v_add_f32_e32 v158, v158, v170
	ds_read2_b64 v[130:133], v1 offset0:107 offset1:108
	ds_read2_b64 v[142:145], v1 offset0:109 offset1:110
	v_fmac_f32_e32 v164, v137, v188
	v_mul_f32_e32 v170, v5, v183
	v_add_f32_e32 v134, v159, v134
	v_add_f32_e32 v158, v158, v172
	v_fmac_f32_e32 v167, v3, v187
	v_fma_f32 v2, v2, v187, -v173
	v_mul_f32_e32 v165, v4, v183
	v_add_f32_e32 v3, v134, v136
	v_add_f32_e32 v134, v158, v164
	s_waitcnt lgkmcnt(2)
	v_mul_f32_e32 v136, v139, v184
	v_fma_f32 v4, v4, v186, -v170
	v_mul_f32_e32 v135, v138, v184
	v_add_f32_e32 v2, v3, v2
	v_fmac_f32_e32 v165, v5, v186
	v_add_f32_e32 v3, v134, v167
	v_fma_f32 v134, v138, v185, -v136
	v_fmac_f32_e32 v135, v139, v185
	v_add_f32_e32 v2, v2, v4
	ds_read2_b64 v[6:9], v1 offset0:111 offset1:112
	ds_read2_b64 v[146:149], v1 offset0:113 offset1:114
	ds_read_b64 v[10:11], v1 offset:920
	v_add_f32_e32 v3, v3, v165
	v_add_f32_e32 v2, v2, v134
	;; [unrolled: 1-line block ×3, first 2 shown]
	s_waitcnt vmcnt(20)
	v_mul_f32_e32 v5, v141, v190
	v_mul_f32_e32 v168, v140, v190
	s_waitcnt vmcnt(19) lgkmcnt(4)
	v_mul_f32_e32 v4, v131, v194
	v_mul_f32_e32 v169, v130, v194
	s_waitcnt vmcnt(18)
	v_mul_f32_e32 v134, v133, v195
	v_mul_f32_e32 v137, v132, v195
	s_waitcnt vmcnt(17) lgkmcnt(3)
	v_mul_f32_e32 v174, v142, v196
	s_waitcnt vmcnt(16)
	v_mul_f32_e32 v163, v144, v153
	s_waitcnt vmcnt(15) lgkmcnt(2)
	v_mul_f32_e32 v166, v6, v197
	s_waitcnt vmcnt(14)
	;; [unrolled: 4-line block ×4, first 2 shown]
	v_fmac_f32_e32 v174, v143, v12
	s_waitcnt vmcnt(9)
	v_fmac_f32_e32 v137, v133, v150
	s_waitcnt vmcnt(8)
	v_fma_f32 v4, v130, v152, -v4
	s_waitcnt vmcnt(7)
	v_fma_f32 v5, v140, v155, -v5
	v_fmac_f32_e32 v168, v141, v155
	v_fmac_f32_e32 v169, v131, v152
	v_fma_f32 v130, v132, v150, -v134
	v_add_f32_e32 v2, v2, v5
	v_add_f32_e32 v3, v3, v168
	v_mul_f32_e32 v5, v143, v196
	v_add_f32_e32 v2, v2, v4
	v_add_f32_e32 v3, v3, v169
	v_mul_f32_e32 v4, v145, v153
	v_fma_f32 v5, v142, v12, -v5
	v_mul_f32_e32 v12, v7, v197
	v_add_f32_e32 v2, v2, v130
	v_add_f32_e32 v3, v3, v137
	s_waitcnt vmcnt(4)
	v_fmac_f32_e32 v166, v7, v160
	s_waitcnt vmcnt(3)
	v_fma_f32 v4, v144, v161, -v4
	v_fmac_f32_e32 v163, v145, v161
	v_add_f32_e32 v2, v2, v5
	v_add_f32_e32 v3, v3, v174
	v_mul_f32_e32 v5, v9, v198
	v_fma_f32 v6, v6, v160, -v12
	v_fmac_f32_e32 v175, v9, v157
	v_add_f32_e32 v2, v2, v4
	v_add_f32_e32 v3, v3, v163
	v_mul_f32_e32 v4, v147, v199
	;; [unrolled: 5-line block ×3, first 2 shown]
	v_fma_f32 v4, v146, v156, -v4
	s_waitcnt vmcnt(1)
	v_fmac_f32_e32 v176, v149, v191
	v_add_f32_e32 v2, v2, v5
	v_add_f32_e32 v3, v3, v175
	v_mul_f32_e32 v5, v11, v151
	v_fma_f32 v6, v148, v191, -v6
	v_fmac_f32_e32 v159, v11, v162
	v_add_f32_e32 v2, v2, v4
	v_add_f32_e32 v3, v3, v171
	v_fma_f32 v4, v10, v162, -v5
	v_add_f32_e32 v2, v2, v6
	v_add_f32_e32 v3, v3, v176
	;; [unrolled: 1-line block ×4, first 2 shown]
	s_waitcnt vmcnt(0)
	v_sub_f32_e32 v2, v192, v2
	v_sub_f32_e32 v3, v189, v3
	buffer_store_dword v2, off, s[0:3], 0 offset:160
	buffer_store_dword v3, off, s[0:3], 0 offset:164
	v_cmpx_lt_u32_e32 19, v0
	s_cbranch_execz .LBB57_323
; %bb.322:
	s_clause 0x1
	buffer_load_dword v2, off, s[0:3], 0 offset:152
	buffer_load_dword v3, off, s[0:3], 0 offset:156
	buffer_store_dword v1, off, s[0:3], 0 offset:152
	buffer_store_dword v1, off, s[0:3], 0 offset:156
	s_waitcnt vmcnt(0)
	ds_write_b64 v129, v[2:3]
.LBB57_323:
	s_or_b32 exec_lo, exec_lo, s4
	s_waitcnt lgkmcnt(0)
	s_waitcnt_vscnt null, 0x0
	s_barrier
	buffer_gl0_inv
	s_clause 0x1e
	buffer_load_dword v2, off, s[0:3], 0 offset:164
	buffer_load_dword v3, off, s[0:3], 0 offset:172
	;; [unrolled: 1-line block ×31, first 2 shown]
	ds_read_b128 v[4:7], v1 offset:624
	s_clause 0x3
	buffer_load_dword v174, off, s[0:3], 0 offset:304
	buffer_load_dword v175, off, s[0:3], 0 offset:296
	;; [unrolled: 1-line block ×4, first 2 shown]
	ds_read_b128 v[8:11], v1 offset:640
	s_clause 0xa
	buffer_load_dword v178, off, s[0:3], 0 offset:292
	buffer_load_dword v179, off, s[0:3], 0 offset:300
	;; [unrolled: 1-line block ×11, first 2 shown]
	ds_read_b128 v[130:133], v1 offset:656
	ds_read_b128 v[134:137], v1 offset:672
	;; [unrolled: 1-line block ×4, first 2 shown]
	buffer_load_dword v189, off, s[0:3], 0 offset:156
	s_mov_b32 s4, exec_lo
	s_waitcnt vmcnt(46) lgkmcnt(5)
	v_mul_f32_e32 v190, v5, v2
	v_mul_f32_e32 v191, v4, v2
	s_waitcnt vmcnt(45)
	v_mul_f32_e32 v192, v6, v3
	v_mul_f32_e32 v2, v7, v3
	s_waitcnt vmcnt(44) lgkmcnt(4)
	v_mul_f32_e32 v193, v8, v12
	v_mul_f32_e32 v3, v9, v12
	s_waitcnt vmcnt(41)
	v_fma_f32 v12, v4, v148, -v190
	v_fmac_f32_e32 v191, v5, v148
	s_waitcnt vmcnt(40)
	v_mul_f32_e32 v148, v10, v149
	v_mul_f32_e32 v4, v11, v149
	v_fmac_f32_e32 v192, v7, v147
	s_waitcnt vmcnt(35) lgkmcnt(3)
	v_mul_f32_e32 v149, v131, v154
	v_fma_f32 v147, v6, v147, -v2
	v_fmac_f32_e32 v148, v11, v153
	v_mul_f32_e32 v11, v130, v154
	v_fma_f32 v10, v10, v153, -v4
	s_waitcnt vmcnt(34)
	v_mul_f32_e32 v153, v132, v155
	v_mul_f32_e32 v154, v133, v155
	s_waitcnt vmcnt(33) lgkmcnt(2)
	v_mul_f32_e32 v155, v134, v156
	v_mul_f32_e32 v156, v135, v156
	v_fmac_f32_e32 v11, v131, v152
	v_fma_f32 v130, v130, v152, -v149
	s_waitcnt vmcnt(32)
	v_mul_f32_e32 v131, v136, v157
	v_mul_f32_e32 v149, v137, v157
	v_fmac_f32_e32 v193, v9, v146
	v_fma_f32 v146, v8, v146, -v3
	ds_read_b128 v[2:5], v1 offset:720
	ds_read_b128 v[6:9], v1 offset:736
	v_fmac_f32_e32 v153, v133, v151
	v_fma_f32 v132, v132, v151, -v154
	v_fmac_f32_e32 v155, v135, v150
	v_fma_f32 v133, v134, v150, -v156
	s_waitcnt vmcnt(28)
	v_fmac_f32_e32 v131, v137, v161
	v_fma_f32 v134, v136, v161, -v149
	s_clause 0x7
	buffer_load_dword v149, off, s[0:3], 0 offset:348
	buffer_load_dword v150, off, s[0:3], 0 offset:356
	buffer_load_dword v151, off, s[0:3], 0 offset:364
	buffer_load_dword v152, off, s[0:3], 0 offset:372
	buffer_load_dword v154, off, s[0:3], 0 offset:368
	buffer_load_dword v156, off, s[0:3], 0 offset:360
	buffer_load_dword v157, off, s[0:3], 0 offset:352
	buffer_load_dword v161, off, s[0:3], 0 offset:344
	s_waitcnt vmcnt(35) lgkmcnt(3)
	v_mul_f32_e32 v135, v138, v162
	v_mul_f32_e32 v136, v139, v162
	s_waitcnt vmcnt(34)
	v_mul_f32_e32 v137, v140, v163
	v_mul_f32_e32 v162, v141, v163
	s_waitcnt vmcnt(33) lgkmcnt(2)
	v_mul_f32_e32 v163, v142, v164
	v_mul_f32_e32 v164, v143, v164
	v_fmac_f32_e32 v135, v139, v160
	v_fma_f32 v136, v138, v160, -v136
	s_waitcnt vmcnt(32)
	v_mul_f32_e32 v138, v144, v165
	v_mul_f32_e32 v139, v145, v165
	v_fmac_f32_e32 v137, v141, v159
	v_fmac_f32_e32 v163, v143, v158
	v_fma_f32 v141, v142, v158, -v164
	s_waitcnt vmcnt(28)
	v_fmac_f32_e32 v138, v145, v169
	v_fma_f32 v139, v144, v169, -v139
	s_waitcnt vmcnt(27) lgkmcnt(1)
	v_mul_f32_e32 v142, v2, v170
	v_mul_f32_e32 v143, v3, v170
	s_waitcnt vmcnt(26)
	v_mul_f32_e32 v144, v4, v171
	v_mul_f32_e32 v145, v5, v171
	v_fma_f32 v140, v140, v159, -v162
	s_clause 0x8
	buffer_load_dword v159, off, s[0:3], 0 offset:380
	buffer_load_dword v160, off, s[0:3], 0 offset:388
	;; [unrolled: 1-line block ×9, first 2 shown]
	v_fmac_f32_e32 v142, v3, v168
	v_fma_f32 v143, v2, v168, -v143
	buffer_load_dword v168, off, s[0:3], 0 offset:452
	v_fmac_f32_e32 v144, v5, v167
	v_fma_f32 v145, v4, v167, -v145
	s_clause 0x4
	buffer_load_dword v167, off, s[0:3], 0 offset:460
	buffer_load_dword v171, off, s[0:3], 0 offset:400
	;; [unrolled: 1-line block ×5, first 2 shown]
	v_add_f32_e32 v3, 0, v191
	v_add_f32_e32 v2, 0, v12
	s_waitcnt vmcnt(40) lgkmcnt(0)
	v_mul_f32_e32 v4, v7, v172
	v_add_f32_e32 v3, v3, v192
	v_add_f32_e32 v2, v2, v147
	v_fma_f32 v147, v6, v166, -v4
	v_add_f32_e32 v3, v3, v193
	s_clause 0x3
	buffer_load_dword v12, off, s[0:3], 0 offset:432
	buffer_load_dword v191, off, s[0:3], 0 offset:424
	;; [unrolled: 1-line block ×4, first 2 shown]
	v_add_f32_e32 v2, v2, v146
	v_mul_f32_e32 v146, v6, v172
	v_add_f32_e32 v3, v3, v148
	s_waitcnt vmcnt(43)
	v_mul_f32_e32 v148, v8, v173
	v_add_f32_e32 v2, v2, v10
	s_clause 0x2
	buffer_load_dword v10, off, s[0:3], 0 offset:456
	buffer_load_dword v197, off, s[0:3], 0 offset:448
	;; [unrolled: 1-line block ×3, first 2 shown]
	v_fmac_f32_e32 v146, v7, v166
	v_add_f32_e32 v3, v3, v11
	buffer_load_dword v11, off, s[0:3], 0 offset:152
	v_add_f32_e32 v2, v2, v130
	s_waitcnt vmcnt(43)
	v_fmac_f32_e32 v148, v9, v177
	v_add_f32_e32 v3, v3, v153
	v_add_f32_e32 v2, v2, v132
	;; [unrolled: 1-line block ×4, first 2 shown]
	ds_read_b128 v[2:5], v1 offset:752
	v_add_f32_e32 v131, v7, v131
	v_add_f32_e32 v130, v6, v134
	v_mul_f32_e32 v6, v9, v173
	v_add_f32_e32 v135, v131, v135
	v_add_f32_e32 v134, v130, v136
	v_fma_f32 v153, v8, v177, -v6
	ds_read_b128 v[6:9], v1 offset:768
	ds_read_b128 v[130:133], v1 offset:784
	v_add_f32_e32 v135, v135, v137
	v_add_f32_e32 v134, v134, v140
	;; [unrolled: 1-line block ×3, first 2 shown]
	s_waitcnt vmcnt(42) lgkmcnt(2)
	v_mul_f32_e32 v136, v3, v178
	v_mul_f32_e32 v155, v2, v178
	v_fma_f32 v166, v2, v176, -v136
	v_add_f32_e32 v2, v135, v163
	v_fmac_f32_e32 v155, v3, v176
	v_add_f32_e32 v3, v140, v139
	ds_read_b128 v[134:137], v1 offset:800
	s_waitcnt vmcnt(41)
	v_mul_f32_e32 v163, v4, v179
	v_add_f32_e32 v2, v2, v138
	s_waitcnt vmcnt(40) lgkmcnt(2)
	v_mul_f32_e32 v172, v6, v180
	v_mul_f32_e32 v138, v7, v180
	v_add_f32_e32 v3, v3, v143
	s_waitcnt vmcnt(38) lgkmcnt(1)
	v_mul_f32_e32 v176, v130, v182
	v_add_f32_e32 v2, v2, v142
	v_fmac_f32_e32 v172, v7, v174
	v_fma_f32 v174, v6, v174, -v138
	v_add_f32_e32 v6, v3, v145
	v_mul_f32_e32 v142, v131, v182
	v_add_f32_e32 v7, v2, v144
	s_waitcnt vmcnt(33)
	v_fmac_f32_e32 v176, v131, v187
	v_mul_f32_e32 v139, v5, v179
	v_add_f32_e32 v131, v6, v147
	v_fma_f32 v178, v130, v187, -v142
	v_add_f32_e32 v130, v7, v146
	v_fmac_f32_e32 v163, v5, v175
	v_fma_f32 v175, v4, v175, -v139
	v_add_f32_e32 v131, v131, v153
	s_waitcnt lgkmcnt(0)
	v_mul_f32_e32 v147, v135, v184
	v_add_f32_e32 v130, v130, v148
	v_mul_f32_e32 v179, v134, v184
	v_mul_f32_e32 v143, v9, v181
	v_add_f32_e32 v131, v131, v166
	v_fma_f32 v182, v134, v185, -v147
	v_add_f32_e32 v134, v130, v155
	v_mul_f32_e32 v173, v8, v181
	s_waitcnt vmcnt(32)
	v_fma_f32 v177, v8, v188, -v143
	v_add_f32_e32 v155, v131, v175
	ds_read_b128 v[2:5], v1 offset:816
	ds_read_b128 v[138:141], v1 offset:832
	v_add_f32_e32 v163, v134, v163
	v_fmac_f32_e32 v173, v9, v188
	v_mul_f32_e32 v146, v133, v183
	v_add_f32_e32 v155, v155, v174
	v_mul_f32_e32 v153, v132, v183
	v_add_f32_e32 v163, v163, v172
	v_fmac_f32_e32 v179, v135, v185
	v_fma_f32 v181, v132, v186, -v146
	v_add_f32_e32 v155, v155, v177
	v_fmac_f32_e32 v153, v133, v186
	v_add_f32_e32 v163, v163, v173
	ds_read_b128 v[6:9], v1 offset:848
	ds_read_b128 v[142:145], v1 offset:864
	v_add_f32_e32 v155, v155, v178
	v_add_f32_e32 v163, v163, v176
	;; [unrolled: 1-line block ×6, first 2 shown]
	s_waitcnt vmcnt(30)
	v_mul_f32_e32 v166, v136, v149
	v_mul_f32_e32 v180, v137, v149
	ds_read_b128 v[130:133], v1 offset:880
	ds_read_b128 v[146:149], v1 offset:896
	s_waitcnt vmcnt(28) lgkmcnt(5)
	v_mul_f32_e32 v172, v4, v151
	v_mul_f32_e32 v151, v5, v151
	s_waitcnt vmcnt(27) lgkmcnt(4)
	v_mul_f32_e32 v174, v138, v152
	v_mul_f32_e32 v152, v139, v152
	s_waitcnt vmcnt(23)
	v_fmac_f32_e32 v166, v137, v161
	v_fma_f32 v161, v136, v161, -v180
	ds_read_b128 v[134:137], v1 offset:912
	v_mul_f32_e32 v1, v2, v150
	v_mul_f32_e32 v150, v3, v150
	v_add_f32_e32 v153, v153, v166
	v_fma_f32 v4, v4, v156, -v151
	v_fmac_f32_e32 v172, v5, v156
	v_fmac_f32_e32 v1, v3, v157
	v_fma_f32 v2, v2, v157, -v150
	v_add_f32_e32 v150, v155, v161
	v_fma_f32 v138, v138, v154, -v152
	v_fmac_f32_e32 v174, v139, v154
	v_add_f32_e32 v1, v153, v1
	v_add_f32_e32 v2, v150, v2
	s_waitcnt vmcnt(22)
	v_mul_f32_e32 v5, v141, v159
	v_mul_f32_e32 v173, v140, v159
	v_add_f32_e32 v2, v2, v4
	v_add_f32_e32 v1, v1, v172
	s_waitcnt vmcnt(21) lgkmcnt(4)
	v_mul_f32_e32 v4, v7, v160
	v_mul_f32_e32 v175, v6, v160
	s_waitcnt vmcnt(20)
	v_mul_f32_e32 v177, v8, v162
	v_add_f32_e32 v2, v2, v138
	v_add_f32_e32 v1, v1, v174
	v_mul_f32_e32 v138, v9, v162
	s_waitcnt vmcnt(9)
	v_fma_f32 v4, v6, v195, -v4
	s_waitcnt vmcnt(8)
	v_fma_f32 v5, v140, v196, -v5
	v_fmac_f32_e32 v173, v141, v196
	v_fmac_f32_e32 v175, v7, v195
	v_fma_f32 v6, v8, v194, -v138
	s_waitcnt lgkmcnt(3)
	v_mul_f32_e32 v176, v142, v165
	v_add_f32_e32 v2, v2, v5
	v_add_f32_e32 v1, v1, v173
	v_mul_f32_e32 v5, v143, v165
	v_fmac_f32_e32 v177, v9, v194
	v_mul_f32_e32 v178, v144, v158
	v_add_f32_e32 v2, v2, v4
	v_add_f32_e32 v1, v1, v175
	v_mul_f32_e32 v4, v145, v158
	v_fma_f32 v5, v142, v171, -v5
	v_fmac_f32_e32 v176, v143, v171
	v_add_f32_e32 v2, v2, v6
	v_add_f32_e32 v1, v1, v177
	s_waitcnt lgkmcnt(2)
	v_mul_f32_e32 v6, v131, v164
	s_waitcnt vmcnt(4)
	v_fma_f32 v4, v144, v193, -v4
	v_mul_f32_e32 v180, v130, v164
	v_add_f32_e32 v2, v2, v5
	v_fmac_f32_e32 v178, v145, v193
	v_add_f32_e32 v1, v1, v176
	v_mul_f32_e32 v5, v133, v169
	v_fma_f32 v6, v130, v192, -v6
	v_add_f32_e32 v2, v2, v4
	v_mul_f32_e32 v163, v132, v169
	v_fmac_f32_e32 v180, v131, v192
	v_add_f32_e32 v1, v1, v178
	s_waitcnt lgkmcnt(1)
	v_mul_f32_e32 v4, v147, v190
	v_fma_f32 v5, v132, v191, -v5
	v_add_f32_e32 v2, v2, v6
	v_mul_f32_e32 v181, v146, v190
	v_fmac_f32_e32 v163, v133, v191
	v_add_f32_e32 v1, v1, v180
	v_mul_f32_e32 v6, v149, v170
	v_fma_f32 v4, v146, v12, -v4
	v_add_f32_e32 v2, v2, v5
	v_mul_f32_e32 v182, v148, v170
	v_fmac_f32_e32 v181, v147, v12
	v_add_f32_e32 v1, v1, v163
	s_waitcnt lgkmcnt(0)
	v_mul_f32_e32 v5, v135, v168
	s_waitcnt vmcnt(1)
	v_fma_f32 v6, v148, v198, -v6
	v_add_f32_e32 v2, v2, v4
	v_mul_f32_e32 v179, v134, v168
	v_fmac_f32_e32 v182, v149, v198
	v_add_f32_e32 v1, v1, v181
	v_mul_f32_e32 v4, v137, v167
	v_fma_f32 v5, v134, v197, -v5
	v_add_f32_e32 v2, v2, v6
	v_mul_f32_e32 v3, v136, v167
	v_fmac_f32_e32 v179, v135, v197
	v_add_f32_e32 v1, v1, v182
	v_fma_f32 v4, v136, v10, -v4
	v_add_f32_e32 v2, v2, v5
	v_fmac_f32_e32 v3, v137, v10
	v_add_f32_e32 v1, v1, v179
	v_add_f32_e32 v2, v2, v4
	v_add_f32_e32 v1, v1, v3
	s_waitcnt vmcnt(0)
	v_sub_f32_e32 v2, v11, v2
	v_sub_f32_e32 v1, v189, v1
	buffer_store_dword v2, off, s[0:3], 0 offset:152
	buffer_store_dword v1, off, s[0:3], 0 offset:156
	v_cmpx_lt_u32_e32 18, v0
	s_cbranch_execz .LBB57_325
; %bb.324:
	s_clause 0x1
	buffer_load_dword v1, off, s[0:3], 0 offset:144
	buffer_load_dword v2, off, s[0:3], 0 offset:148
	v_mov_b32_e32 v3, 0
	buffer_store_dword v3, off, s[0:3], 0 offset:144
	buffer_store_dword v3, off, s[0:3], 0 offset:148
	s_waitcnt vmcnt(0)
	ds_write_b64 v129, v[1:2]
.LBB57_325:
	s_or_b32 exec_lo, exec_lo, s4
	s_waitcnt lgkmcnt(0)
	s_waitcnt_vscnt null, 0x0
	s_barrier
	buffer_gl0_inv
	s_clause 0x25
	buffer_load_dword v2, off, s[0:3], 0 offset:156
	buffer_load_dword v3, off, s[0:3], 0 offset:164
	;; [unrolled: 1-line block ×38, first 2 shown]
	v_mov_b32_e32 v1, 0
	ds_read2_b64 v[4:7], v1 offset0:77 offset1:78
	ds_read2_b64 v[8:11], v1 offset0:79 offset1:80
	s_clause 0x10
	buffer_load_dword v173, off, s[0:3], 0 offset:308
	buffer_load_dword v174, off, s[0:3], 0 offset:316
	;; [unrolled: 1-line block ×17, first 2 shown]
	ds_read2_b64 v[130:133], v1 offset0:81 offset1:82
	ds_read2_b64 v[134:137], v1 offset0:83 offset1:84
	s_mov_b32 s4, exec_lo
	s_waitcnt vmcnt(54) lgkmcnt(3)
	v_mul_f32_e32 v190, v5, v2
	v_mul_f32_e32 v191, v4, v2
	s_waitcnt vmcnt(53)
	v_mul_f32_e32 v192, v6, v3
	v_mul_f32_e32 v2, v7, v3
	s_waitcnt vmcnt(52) lgkmcnt(2)
	v_mul_f32_e32 v193, v8, v12
	v_mul_f32_e32 v3, v9, v12
	s_waitcnt vmcnt(49)
	v_fma_f32 v12, v4, v140, -v190
	v_fmac_f32_e32 v191, v5, v140
	s_waitcnt vmcnt(48)
	v_mul_f32_e32 v140, v10, v141
	v_mul_f32_e32 v4, v11, v141
	v_fmac_f32_e32 v192, v7, v139
	s_waitcnt vmcnt(43) lgkmcnt(1)
	v_mul_f32_e32 v141, v131, v146
	v_fma_f32 v139, v6, v139, -v2
	v_fmac_f32_e32 v193, v9, v138
	v_fma_f32 v138, v8, v138, -v3
	v_fmac_f32_e32 v140, v11, v145
	v_fma_f32 v10, v10, v145, -v4
	ds_read2_b64 v[2:5], v1 offset0:85 offset1:86
	ds_read2_b64 v[6:9], v1 offset0:87 offset1:88
	v_mul_f32_e32 v11, v130, v146
	s_waitcnt vmcnt(42)
	v_mul_f32_e32 v145, v132, v147
	v_mul_f32_e32 v146, v133, v147
	s_waitcnt vmcnt(41) lgkmcnt(2)
	v_mul_f32_e32 v147, v134, v148
	v_fma_f32 v141, v130, v144, -v141
	s_waitcnt vmcnt(40)
	v_mul_f32_e32 v130, v137, v149
	v_mul_f32_e32 v148, v135, v148
	v_fmac_f32_e32 v11, v131, v144
	v_fmac_f32_e32 v145, v133, v143
	v_fma_f32 v143, v132, v143, -v146
	s_clause 0x3
	buffer_load_dword v190, off, s[0:3], 0 offset:372
	buffer_load_dword v194, off, s[0:3], 0 offset:380
	;; [unrolled: 1-line block ×4, first 2 shown]
	v_fmac_f32_e32 v147, v135, v142
	s_waitcnt vmcnt(40)
	v_fma_f32 v135, v136, v153, -v130
	ds_read2_b64 v[130:133], v1 offset0:89 offset1:90
	v_mul_f32_e32 v144, v136, v149
	v_fma_f32 v134, v134, v142, -v148
	s_waitcnt vmcnt(39) lgkmcnt(2)
	v_mul_f32_e32 v136, v2, v154
	v_fmac_f32_e32 v144, v137, v153
	v_mul_f32_e32 v137, v3, v154
	s_waitcnt vmcnt(37) lgkmcnt(1)
	v_mul_f32_e32 v149, v7, v156
	v_mul_f32_e32 v142, v4, v155
	;; [unrolled: 1-line block ×4, first 2 shown]
	v_fmac_f32_e32 v136, v3, v152
	v_fma_f32 v137, v2, v152, -v137
	s_waitcnt vmcnt(36)
	v_mul_f32_e32 v152, v8, v157
	v_mul_f32_e32 v2, v9, v157
	v_fma_f32 v149, v6, v150, -v149
	v_fmac_f32_e32 v142, v5, v151
	v_fma_f32 v146, v4, v151, -v146
	s_clause 0x3
	buffer_load_dword v151, off, s[0:3], 0 offset:404
	buffer_load_dword v153, off, s[0:3], 0 offset:412
	;; [unrolled: 1-line block ×4, first 2 shown]
	s_waitcnt vmcnt(35) lgkmcnt(0)
	v_mul_f32_e32 v156, v130, v162
	v_mul_f32_e32 v6, v131, v162
	v_fmac_f32_e32 v148, v7, v150
	v_fmac_f32_e32 v152, v9, v161
	v_fma_f32 v150, v8, v161, -v2
	ds_read2_b64 v[2:5], v1 offset0:91 offset1:92
	s_waitcnt vmcnt(34)
	v_mul_f32_e32 v157, v132, v163
	v_mul_f32_e32 v7, v133, v163
	buffer_load_dword v161, off, s[0:3], 0 offset:436
	v_fmac_f32_e32 v156, v131, v160
	v_fma_f32 v160, v130, v160, -v6
	v_add_f32_e32 v6, 0, v12
	s_clause 0x6
	buffer_load_dword v12, off, s[0:3], 0 offset:444
	buffer_load_dword v162, off, s[0:3], 0 offset:452
	;; [unrolled: 1-line block ×7, first 2 shown]
	v_fmac_f32_e32 v157, v133, v159
	v_fma_f32 v159, v132, v159, -v7
	v_add_f32_e32 v7, 0, v191
	v_add_f32_e32 v6, v6, v139
	;; [unrolled: 1-line block ×4, first 2 shown]
	s_waitcnt vmcnt(41) lgkmcnt(0)
	v_mul_f32_e32 v8, v3, v164
	v_add_f32_e32 v7, v7, v193
	s_clause 0x8
	buffer_load_dword v191, off, s[0:3], 0 offset:424
	buffer_load_dword v192, off, s[0:3], 0 offset:416
	;; [unrolled: 1-line block ×9, first 2 shown]
	v_add_f32_e32 v6, v6, v10
	v_add_f32_e32 v7, v7, v140
	v_mul_f32_e32 v10, v2, v164
	v_add_f32_e32 v6, v6, v141
	v_add_f32_e32 v7, v7, v11
	v_fmac_f32_e32 v10, v3, v158
	v_fma_f32 v11, v2, v158, -v8
	v_add_f32_e32 v6, v6, v143
	v_add_f32_e32 v7, v7, v145
	s_waitcnt vmcnt(49)
	v_mul_f32_e32 v143, v4, v165
	v_add_f32_e32 v6, v6, v134
	v_add_f32_e32 v7, v7, v147
	s_waitcnt vmcnt(45)
	v_fmac_f32_e32 v143, v5, v169
	v_add_f32_e32 v2, v6, v135
	v_add_f32_e32 v3, v7, v144
	ds_read2_b64 v[6:9], v1 offset0:93 offset1:94
	v_add_f32_e32 v130, v2, v137
	v_mul_f32_e32 v2, v5, v165
	v_add_f32_e32 v131, v3, v136
	v_add_f32_e32 v134, v130, v146
	v_fma_f32 v144, v4, v169, -v2
	ds_read2_b64 v[2:5], v1 offset0:95 offset1:96
	v_add_f32_e32 v135, v131, v142
	ds_read2_b64 v[130:133], v1 offset0:97 offset1:98
	v_add_f32_e32 v134, v134, v149
	v_add_f32_e32 v135, v135, v148
	;; [unrolled: 1-line block ×3, first 2 shown]
	s_waitcnt vmcnt(44) lgkmcnt(2)
	v_mul_f32_e32 v136, v7, v170
	v_mul_f32_e32 v146, v6, v170
	s_waitcnt vmcnt(43)
	v_mul_f32_e32 v148, v8, v171
	v_fma_f32 v147, v6, v168, -v136
	v_add_f32_e32 v6, v135, v152
	v_fmac_f32_e32 v146, v7, v168
	v_add_f32_e32 v7, v138, v160
	ds_read2_b64 v[134:137], v1 offset0:99 offset1:100
	s_waitcnt vmcnt(42) lgkmcnt(2)
	v_mul_f32_e32 v139, v3, v172
	v_add_f32_e32 v6, v6, v156
	v_mul_f32_e32 v150, v2, v172
	v_add_f32_e32 v7, v7, v159
	v_mul_f32_e32 v138, v9, v171
	v_fmac_f32_e32 v148, v9, v167
	v_add_f32_e32 v6, v6, v157
	v_fma_f32 v157, v2, v166, -v139
	v_add_f32_e32 v2, v7, v11
	v_fmac_f32_e32 v150, v3, v166
	v_fma_f32 v149, v8, v167, -v138
	v_add_f32_e32 v3, v6, v10
	s_waitcnt vmcnt(40) lgkmcnt(1)
	v_mul_f32_e32 v10, v131, v174
	v_add_f32_e32 v11, v2, v144
	v_mul_f32_e32 v142, v5, v173
	v_mul_f32_e32 v152, v4, v173
	;; [unrolled: 1-line block ×3, first 2 shown]
	s_waitcnt vmcnt(35)
	v_fma_f32 v159, v130, v179, -v10
	v_add_f32_e32 v10, v3, v143
	v_add_f32_e32 v11, v11, v147
	s_waitcnt vmcnt(34)
	v_fma_f32 v158, v4, v180, -v142
	ds_read2_b64 v[6:9], v1 offset0:101 offset1:102
	ds_read2_b64 v[138:141], v1 offset0:103 offset1:104
	v_fmac_f32_e32 v152, v5, v180
	v_add_f32_e32 v10, v10, v146
	v_add_f32_e32 v11, v11, v149
	v_mul_f32_e32 v130, v133, v175
	v_fmac_f32_e32 v156, v131, v179
	v_mul_f32_e32 v160, v132, v175
	v_add_f32_e32 v10, v10, v148
	v_add_f32_e32 v157, v11, v157
	s_waitcnt lgkmcnt(2)
	v_mul_f32_e32 v131, v135, v176
	v_fma_f32 v167, v132, v178, -v130
	v_mul_f32_e32 v164, v134, v176
	v_add_f32_e32 v150, v10, v150
	v_add_f32_e32 v157, v157, v158
	v_fmac_f32_e32 v160, v133, v178
	s_waitcnt vmcnt(33)
	v_mul_f32_e32 v166, v137, v181
	v_fma_f32 v168, v134, v177, -v131
	v_add_f32_e32 v150, v150, v152
	v_add_f32_e32 v157, v157, v159
	v_mul_f32_e32 v165, v136, v181
	v_fmac_f32_e32 v164, v135, v177
	s_waitcnt vmcnt(26)
	v_fma_f32 v166, v136, v188, -v166
	v_add_f32_e32 v150, v150, v156
	v_add_f32_e32 v157, v157, v167
	s_waitcnt lgkmcnt(1)
	v_mul_f32_e32 v169, v7, v182
	ds_read2_b64 v[2:5], v1 offset0:105 offset1:106
	ds_read2_b64 v[142:145], v1 offset0:107 offset1:108
	v_fmac_f32_e32 v165, v137, v188
	v_add_f32_e32 v150, v150, v160
	v_add_f32_e32 v157, v157, v168
	v_mul_f32_e32 v158, v6, v182
	v_mul_f32_e32 v170, v9, v183
	v_fma_f32 v6, v6, v187, -v169
	v_add_f32_e32 v150, v150, v164
	v_add_f32_e32 v157, v157, v166
	v_mul_f32_e32 v152, v8, v183
	v_fmac_f32_e32 v158, v7, v187
	s_waitcnt lgkmcnt(2)
	v_mul_f32_e32 v169, v139, v184
	v_add_f32_e32 v150, v150, v165
	v_fma_f32 v8, v8, v186, -v170
	v_add_f32_e32 v6, v157, v6
	v_mul_f32_e32 v159, v138, v184
	v_fmac_f32_e32 v152, v9, v186
	v_add_f32_e32 v150, v150, v158
	v_fma_f32 v138, v138, v185, -v169
	v_add_f32_e32 v6, v6, v8
	v_fmac_f32_e32 v159, v139, v185
	ds_read2_b64 v[130:133], v1 offset0:109 offset1:110
	ds_read2_b64 v[146:149], v1 offset0:111 offset1:112
	v_add_f32_e32 v8, v150, v152
	ds_read2_b64 v[134:137], v1 offset0:113 offset1:114
	ds_read_b64 v[10:11], v1 offset:920
	v_add_f32_e32 v6, v6, v138
	v_add_f32_e32 v8, v8, v159
	s_waitcnt vmcnt(24)
	v_mul_f32_e32 v165, v141, v190
	v_mul_f32_e32 v156, v140, v190
	s_waitcnt vmcnt(23) lgkmcnt(5)
	v_mul_f32_e32 v7, v2, v194
	v_mul_f32_e32 v139, v3, v194
	s_waitcnt vmcnt(22)
	v_mul_f32_e32 v138, v5, v195
	v_mul_f32_e32 v167, v4, v195
	s_waitcnt vmcnt(21) lgkmcnt(4)
	v_mul_f32_e32 v160, v142, v196
	s_waitcnt vmcnt(20)
	v_mul_f32_e32 v9, v144, v151
	s_waitcnt vmcnt(19) lgkmcnt(3)
	v_mul_f32_e32 v170, v130, v153
	s_waitcnt vmcnt(18)
	;; [unrolled: 4-line block ×3, first 2 shown]
	v_mul_f32_e32 v171, v148, v161
	s_waitcnt vmcnt(12)
	v_fmac_f32_e32 v160, v143, v197
	s_waitcnt vmcnt(11)
	v_fma_f32 v4, v4, v198, -v138
	s_waitcnt vmcnt(10)
	v_fmac_f32_e32 v7, v3, v199
	s_waitcnt vmcnt(9)
	v_fma_f32 v140, v140, v200, -v165
	v_fmac_f32_e32 v156, v141, v200
	v_fma_f32 v2, v2, v199, -v139
	v_fmac_f32_e32 v167, v5, v198
	v_mul_f32_e32 v5, v145, v151
	v_add_f32_e32 v3, v6, v140
	v_add_f32_e32 v6, v8, v156
	v_mul_f32_e32 v8, v143, v196
	s_waitcnt lgkmcnt(1)
	v_mul_f32_e32 v166, v134, v12
	v_mul_f32_e32 v172, v136, v162
	v_add_f32_e32 v2, v3, v2
	v_add_f32_e32 v3, v6, v7
	v_fma_f32 v6, v142, v197, -v8
	s_waitcnt vmcnt(6)
	v_fmac_f32_e32 v170, v131, v193
	s_waitcnt vmcnt(5)
	v_fma_f32 v5, v144, v201, -v5
	v_add_f32_e32 v2, v2, v4
	v_add_f32_e32 v3, v3, v167
	v_mul_f32_e32 v4, v131, v153
	v_fmac_f32_e32 v9, v145, v201
	v_fmac_f32_e32 v164, v133, v192
	v_add_f32_e32 v2, v2, v6
	v_add_f32_e32 v3, v3, v160
	v_mul_f32_e32 v6, v133, v154
	v_fma_f32 v4, v130, v193, -v4
	v_fmac_f32_e32 v168, v147, v191
	v_add_f32_e32 v2, v2, v5
	v_add_f32_e32 v3, v3, v9
	v_mul_f32_e32 v5, v147, v155
	v_fma_f32 v6, v132, v192, -v6
	s_waitcnt vmcnt(1)
	v_fmac_f32_e32 v171, v149, v205
	v_add_f32_e32 v2, v2, v4
	v_add_f32_e32 v3, v3, v170
	v_mul_f32_e32 v4, v149, v161
	v_fma_f32 v5, v146, v191, -v5
	v_fmac_f32_e32 v166, v135, v204
	v_add_f32_e32 v2, v2, v6
	v_add_f32_e32 v3, v3, v164
	v_mul_f32_e32 v6, v135, v12
	v_fma_f32 v4, v148, v205, -v4
	s_waitcnt lgkmcnt(0)
	v_mul_f32_e32 v157, v10, v163
	v_add_f32_e32 v2, v2, v5
	v_add_f32_e32 v3, v3, v168
	v_mul_f32_e32 v5, v137, v162
	v_fma_f32 v6, v134, v204, -v6
	v_fmac_f32_e32 v172, v137, v203
	v_add_f32_e32 v2, v2, v4
	v_add_f32_e32 v3, v3, v171
	v_mul_f32_e32 v4, v11, v163
	v_fma_f32 v5, v136, v203, -v5
	v_fmac_f32_e32 v157, v11, v202
	v_add_f32_e32 v2, v2, v6
	v_add_f32_e32 v3, v3, v166
	v_fma_f32 v4, v10, v202, -v4
	v_add_f32_e32 v2, v2, v5
	v_add_f32_e32 v3, v3, v172
	;; [unrolled: 1-line block ×4, first 2 shown]
	s_waitcnt vmcnt(0)
	v_sub_f32_e32 v2, v206, v2
	v_sub_f32_e32 v3, v189, v3
	buffer_store_dword v2, off, s[0:3], 0 offset:144
	buffer_store_dword v3, off, s[0:3], 0 offset:148
	v_cmpx_lt_u32_e32 17, v0
	s_cbranch_execz .LBB57_327
; %bb.326:
	s_clause 0x1
	buffer_load_dword v2, off, s[0:3], 0 offset:136
	buffer_load_dword v3, off, s[0:3], 0 offset:140
	buffer_store_dword v1, off, s[0:3], 0 offset:136
	buffer_store_dword v1, off, s[0:3], 0 offset:140
	s_waitcnt vmcnt(0)
	ds_write_b64 v129, v[2:3]
.LBB57_327:
	s_or_b32 exec_lo, exec_lo, s4
	s_waitcnt lgkmcnt(0)
	s_waitcnt_vscnt null, 0x0
	s_barrier
	buffer_gl0_inv
	s_clause 0x23
	buffer_load_dword v10, off, s[0:3], 0 offset:148
	buffer_load_dword v11, off, s[0:3], 0 offset:156
	;; [unrolled: 1-line block ×36, first 2 shown]
	ds_read_b128 v[2:5], v1 offset:608
	s_clause 0x1
	buffer_load_dword v179, off, s[0:3], 0 offset:284
	buffer_load_dword v180, off, s[0:3], 0 offset:292
	ds_read_b128 v[6:9], v1 offset:624
	ds_read_b128 v[130:133], v1 offset:640
	s_clause 0x7
	buffer_load_dword v181, off, s[0:3], 0 offset:300
	buffer_load_dword v182, off, s[0:3], 0 offset:308
	;; [unrolled: 1-line block ×8, first 2 shown]
	ds_read_b128 v[134:137], v1 offset:656
	ds_read_b128 v[138:141], v1 offset:672
	;; [unrolled: 1-line block ×3, first 2 shown]
	buffer_load_dword v191, off, s[0:3], 0 offset:140
	s_mov_b32 s4, exec_lo
	s_waitcnt vmcnt(46) lgkmcnt(5)
	v_mul_f32_e32 v189, v3, v10
	v_mul_f32_e32 v10, v2, v10
	s_waitcnt vmcnt(45)
	v_mul_f32_e32 v190, v4, v11
	v_mul_f32_e32 v11, v5, v11
	s_waitcnt vmcnt(42)
	v_fma_f32 v189, v2, v147, -v189
	v_fmac_f32_e32 v10, v3, v147
	v_fmac_f32_e32 v190, v5, v146
	v_fma_f32 v11, v4, v146, -v11
	s_waitcnt vmcnt(41) lgkmcnt(4)
	v_mul_f32_e32 v146, v6, v148
	v_mul_f32_e32 v147, v7, v148
	s_waitcnt vmcnt(40)
	v_mul_f32_e32 v148, v8, v149
	v_mul_f32_e32 v149, v9, v149
	s_waitcnt vmcnt(39) lgkmcnt(3)
	v_mul_f32_e32 v192, v130, v150
	v_mul_f32_e32 v150, v131, v150
	v_fmac_f32_e32 v146, v7, v12
	v_fma_f32 v12, v6, v12, -v147
	s_waitcnt vmcnt(38)
	v_mul_f32_e32 v147, v132, v151
	v_mul_f32_e32 v6, v133, v151
	ds_read_b128 v[2:5], v1 offset:704
	s_waitcnt vmcnt(34)
	v_fmac_f32_e32 v148, v9, v155
	v_fma_f32 v149, v8, v155, -v149
	v_fmac_f32_e32 v192, v131, v154
	v_fma_f32 v130, v130, v154, -v150
	;; [unrolled: 2-line block ×3, first 2 shown]
	s_clause 0x7
	buffer_load_dword v150, off, s[0:3], 0 offset:332
	buffer_load_dword v151, off, s[0:3], 0 offset:340
	;; [unrolled: 1-line block ×8, first 2 shown]
	s_waitcnt vmcnt(41) lgkmcnt(3)
	v_mul_f32_e32 v6, v135, v156
	s_waitcnt vmcnt(40)
	v_mul_f32_e32 v7, v137, v157
	v_mul_f32_e32 v132, v134, v156
	;; [unrolled: 1-line block ×3, first 2 shown]
	s_waitcnt vmcnt(39) lgkmcnt(2)
	v_mul_f32_e32 v156, v138, v158
	v_fma_f32 v134, v134, v152, -v6
	s_waitcnt vmcnt(34)
	v_fma_f32 v136, v136, v163, -v7
	ds_read_b128 v[6:9], v1 offset:720
	v_mul_f32_e32 v157, v139, v158
	v_fmac_f32_e32 v132, v135, v152
	v_mul_f32_e32 v135, v140, v159
	v_mul_f32_e32 v152, v141, v159
	v_fmac_f32_e32 v133, v137, v163
	v_fmac_f32_e32 v156, v139, v162
	v_fma_f32 v137, v138, v162, -v157
	v_fmac_f32_e32 v135, v141, v161
	v_fma_f32 v138, v140, v161, -v152
	s_waitcnt vmcnt(33) lgkmcnt(2)
	v_mul_f32_e32 v139, v142, v164
	v_mul_f32_e32 v140, v143, v164
	s_waitcnt vmcnt(32)
	v_mul_f32_e32 v141, v144, v165
	s_waitcnt vmcnt(31) lgkmcnt(1)
	v_mul_f32_e32 v162, v2, v166
	v_mul_f32_e32 v163, v3, v166
	;; [unrolled: 1-line block ×3, first 2 shown]
	v_fmac_f32_e32 v139, v143, v160
	v_fma_f32 v140, v142, v160, -v140
	s_waitcnt vmcnt(30)
	v_mul_f32_e32 v142, v4, v167
	v_mul_f32_e32 v143, v5, v167
	s_waitcnt vmcnt(26)
	v_fmac_f32_e32 v141, v145, v171
	v_fmac_f32_e32 v162, v3, v170
	v_fma_f32 v145, v2, v170, -v163
	s_waitcnt vmcnt(25) lgkmcnt(0)
	v_mul_f32_e32 v170, v6, v172
	v_mul_f32_e32 v2, v7, v172
	v_add_f32_e32 v3, 0, v189
	s_clause 0x3
	buffer_load_dword v152, off, s[0:3], 0 offset:364
	buffer_load_dword v157, off, s[0:3], 0 offset:372
	;; [unrolled: 1-line block ×4, first 2 shown]
	v_fma_f32 v144, v144, v171, -v161
	s_clause 0x3
	buffer_load_dword v160, off, s[0:3], 0 offset:396
	buffer_load_dword v161, off, s[0:3], 0 offset:404
	;; [unrolled: 1-line block ×4, first 2 shown]
	v_fmac_f32_e32 v142, v5, v169
	v_fma_f32 v143, v4, v169, -v143
	s_clause 0x3
	buffer_load_dword v163, off, s[0:3], 0 offset:428
	buffer_load_dword v166, off, s[0:3], 0 offset:436
	buffer_load_dword v167, off, s[0:3], 0 offset:444
	buffer_load_dword v169, off, s[0:3], 0 offset:452
	v_add_f32_e32 v4, 0, v10
	buffer_load_dword v10, off, s[0:3], 0 offset:460
	v_fmac_f32_e32 v170, v7, v168
	v_fma_f32 v168, v6, v168, -v2
	v_add_f32_e32 v2, v3, v11
	s_clause 0x3
	buffer_load_dword v11, off, s[0:3], 0 offset:384
	buffer_load_dword v171, off, s[0:3], 0 offset:376
	;; [unrolled: 1-line block ×4, first 2 shown]
	v_add_f32_e32 v6, v4, v190
	v_add_f32_e32 v7, v2, v12
	s_waitcnt vmcnt(41)
	v_mul_f32_e32 v2, v9, v173
	v_mul_f32_e32 v12, v8, v173
	v_add_f32_e32 v6, v6, v146
	v_add_f32_e32 v7, v7, v149
	s_waitcnt vmcnt(37)
	v_fma_f32 v173, v8, v177, -v2
	ds_read_b128 v[2:5], v1 offset:736
	v_fmac_f32_e32 v12, v9, v177
	s_clause 0x3
	buffer_load_dword v177, off, s[0:3], 0 offset:416
	buffer_load_dword v190, off, s[0:3], 0 offset:408
	;; [unrolled: 1-line block ×4, first 2 shown]
	v_add_f32_e32 v7, v7, v130
	v_add_f32_e32 v6, v6, v148
	;; [unrolled: 1-line block ×6, first 2 shown]
	ds_read_b128 v[6:9], v1 offset:752
	v_add_f32_e32 v131, v131, v132
	s_waitcnt vmcnt(40) lgkmcnt(1)
	v_mul_f32_e32 v146, v2, v178
	v_mul_f32_e32 v134, v3, v178
	s_waitcnt vmcnt(39)
	v_mul_f32_e32 v148, v4, v179
	v_fmac_f32_e32 v146, v3, v176
	v_fma_f32 v147, v2, v176, -v134
	s_clause 0x4
	buffer_load_dword v176, off, s[0:3], 0 offset:448
	buffer_load_dword v178, off, s[0:3], 0 offset:440
	;; [unrolled: 1-line block ×5, first 2 shown]
	v_add_f32_e32 v3, v131, v133
	v_add_f32_e32 v2, v130, v136
	v_mul_f32_e32 v130, v5, v179
	v_fmac_f32_e32 v148, v5, v175
	v_add_f32_e32 v3, v3, v156
	buffer_load_dword v156, off, s[0:3], 0 offset:136
	v_add_f32_e32 v2, v2, v137
	v_fma_f32 v149, v4, v175, -v130
	s_waitcnt vmcnt(44) lgkmcnt(0)
	v_mul_f32_e32 v175, v6, v180
	v_add_f32_e32 v131, v3, v135
	v_mul_f32_e32 v136, v7, v180
	v_add_f32_e32 v2, v2, v138
	s_waitcnt vmcnt(43)
	v_mul_f32_e32 v179, v8, v181
	v_mul_f32_e32 v137, v9, v181
	v_add_f32_e32 v135, v131, v139
	ds_read_b128 v[130:133], v1 offset:784
	v_add_f32_e32 v134, v2, v140
	ds_read_b128 v[2:5], v1 offset:768
	v_fmac_f32_e32 v175, v7, v174
	v_add_f32_e32 v135, v135, v141
	v_fma_f32 v174, v6, v174, -v136
	v_add_f32_e32 v134, v134, v144
	s_waitcnt vmcnt(36)
	v_fmac_f32_e32 v179, v9, v188
	v_fma_f32 v180, v8, v188, -v137
	v_add_f32_e32 v139, v135, v162
	v_add_f32_e32 v138, v134, v145
	ds_read_b128 v[6:9], v1 offset:800
	ds_read_b128 v[134:137], v1 offset:816
	v_add_f32_e32 v139, v139, v142
	v_add_f32_e32 v138, v138, v143
	;; [unrolled: 1-line block ×3, first 2 shown]
	s_waitcnt lgkmcnt(3)
	v_mul_f32_e32 v142, v131, v184
	v_add_f32_e32 v138, v138, v168
	v_mul_f32_e32 v168, v130, v184
	s_waitcnt lgkmcnt(2)
	v_mul_f32_e32 v140, v3, v182
	v_add_f32_e32 v12, v139, v12
	v_mul_f32_e32 v162, v2, v182
	v_add_f32_e32 v143, v138, v173
	v_mul_f32_e32 v141, v5, v183
	v_fma_f32 v182, v2, v187, -v140
	v_add_f32_e32 v12, v12, v146
	v_mul_f32_e32 v181, v4, v183
	v_add_f32_e32 v147, v143, v147
	v_fmac_f32_e32 v162, v3, v187
	v_fma_f32 v183, v4, v186, -v141
	v_add_f32_e32 v12, v12, v148
	v_fmac_f32_e32 v181, v5, v186
	v_add_f32_e32 v146, v147, v149
	v_fmac_f32_e32 v168, v131, v185
	ds_read_b128 v[2:5], v1 offset:832
	ds_read_b128 v[138:141], v1 offset:848
	v_add_f32_e32 v12, v12, v175
	v_add_f32_e32 v12, v12, v179
	;; [unrolled: 1-line block ×5, first 2 shown]
	s_waitcnt vmcnt(34)
	v_mul_f32_e32 v170, v132, v150
	s_waitcnt vmcnt(33) lgkmcnt(3)
	v_mul_f32_e32 v184, v6, v151
	v_mul_f32_e32 v147, v7, v151
	;; [unrolled: 1-line block ×3, first 2 shown]
	v_fma_f32 v150, v130, v185, -v142
	s_waitcnt vmcnt(32)
	v_mul_f32_e32 v185, v8, v153
	s_waitcnt vmcnt(28)
	v_fmac_f32_e32 v184, v7, v194
	v_add_f32_e32 v7, v146, v174
	s_waitcnt vmcnt(27)
	v_fma_f32 v173, v132, v195, -v144
	v_fmac_f32_e32 v170, v133, v195
	v_mul_f32_e32 v148, v9, v153
	v_fma_f32 v151, v6, v194, -v147
	v_add_f32_e32 v174, v7, v180
	ds_read_b128 v[130:133], v1 offset:864
	ds_read_b128 v[142:145], v1 offset:880
	v_add_f32_e32 v12, v12, v170
	v_fmac_f32_e32 v185, v9, v193
	v_fma_f32 v153, v8, v193, -v148
	v_add_f32_e32 v174, v174, v182
	ds_read_b128 v[6:9], v1 offset:896
	ds_read_b128 v[146:149], v1 offset:912
	s_waitcnt lgkmcnt(6)
	v_mul_f32_e32 v1, v134, v154
	v_mul_f32_e32 v154, v135, v154
	v_add_f32_e32 v12, v12, v184
	v_add_f32_e32 v174, v174, v183
	v_fmac_f32_e32 v1, v135, v155
	v_fma_f32 v134, v134, v155, -v154
	v_add_f32_e32 v12, v12, v185
	v_add_f32_e32 v150, v174, v150
	;; [unrolled: 1-line block ×5, first 2 shown]
	s_waitcnt vmcnt(26)
	v_mul_f32_e32 v162, v136, v152
	v_mul_f32_e32 v152, v137, v152
	s_waitcnt vmcnt(25) lgkmcnt(5)
	v_mul_f32_e32 v175, v2, v157
	s_waitcnt vmcnt(24)
	v_mul_f32_e32 v12, v5, v158
	v_add_f32_e32 v150, v150, v153
	v_mul_f32_e32 v153, v3, v157
	v_mul_f32_e32 v179, v4, v158
	s_waitcnt vmcnt(23) lgkmcnt(4)
	v_mul_f32_e32 v180, v138, v159
	s_waitcnt vmcnt(22)
	v_mul_f32_e32 v174, v140, v160
	v_add_f32_e32 v134, v150, v134
	s_waitcnt vmcnt(21) lgkmcnt(3)
	v_mul_f32_e32 v168, v130, v161
	s_waitcnt vmcnt(20)
	v_mul_f32_e32 v181, v132, v164
	s_waitcnt vmcnt(12)
	v_fma_f32 v4, v4, v171, -v12
	s_waitcnt vmcnt(11)
	v_fmac_f32_e32 v175, v3, v172
	s_waitcnt vmcnt(10)
	v_fma_f32 v136, v136, v189, -v152
	v_fmac_f32_e32 v162, v137, v189
	v_fma_f32 v2, v2, v172, -v153
	v_fmac_f32_e32 v179, v5, v171
	v_fmac_f32_e32 v180, v139, v11
	v_add_f32_e32 v3, v134, v136
	v_add_f32_e32 v1, v1, v162
	v_mul_f32_e32 v134, v139, v159
	s_waitcnt lgkmcnt(2)
	v_mul_f32_e32 v173, v142, v165
	v_mul_f32_e32 v170, v144, v163
	v_add_f32_e32 v2, v3, v2
	v_add_f32_e32 v1, v1, v175
	v_mul_f32_e32 v3, v141, v160
	v_fma_f32 v5, v138, v11, -v134
	s_waitcnt vmcnt(6)
	v_fmac_f32_e32 v174, v141, v197
	v_add_f32_e32 v2, v2, v4
	v_add_f32_e32 v1, v1, v179
	v_mul_f32_e32 v4, v131, v161
	v_fma_f32 v3, v140, v197, -v3
	v_fmac_f32_e32 v168, v131, v196
	v_add_f32_e32 v2, v2, v5
	v_add_f32_e32 v1, v1, v180
	v_mul_f32_e32 v5, v133, v164
	v_fma_f32 v4, v130, v196, -v4
	;; [unrolled: 5-line block ×4, first 2 shown]
	s_waitcnt lgkmcnt(1)
	v_mul_f32_e32 v182, v6, v166
	v_add_f32_e32 v2, v2, v5
	v_add_f32_e32 v1, v1, v181
	v_mul_f32_e32 v5, v7, v166
	s_waitcnt vmcnt(2)
	v_fma_f32 v4, v144, v198, -v4
	v_fmac_f32_e32 v170, v145, v198
	v_add_f32_e32 v2, v2, v3
	v_add_f32_e32 v1, v1, v173
	v_mul_f32_e32 v3, v9, v167
	v_fma_f32 v5, v6, v192, -v5
	v_mul_f32_e32 v151, v8, v167
	v_add_f32_e32 v2, v2, v4
	v_fmac_f32_e32 v182, v7, v192
	v_add_f32_e32 v1, v1, v170
	s_waitcnt lgkmcnt(0)
	v_mul_f32_e32 v4, v147, v169
	v_fma_f32 v3, v8, v178, -v3
	v_add_f32_e32 v2, v2, v5
	v_mul_f32_e32 v183, v146, v169
	v_fmac_f32_e32 v151, v9, v178
	v_add_f32_e32 v1, v1, v182
	v_mul_f32_e32 v5, v149, v10
	v_fma_f32 v4, v146, v176, -v4
	v_add_f32_e32 v2, v2, v3
	v_mul_f32_e32 v135, v148, v10
	v_fmac_f32_e32 v183, v147, v176
	v_add_f32_e32 v1, v1, v151
	s_waitcnt vmcnt(1)
	v_fma_f32 v3, v148, v199, -v5
	v_add_f32_e32 v2, v2, v4
	v_fmac_f32_e32 v135, v149, v199
	v_add_f32_e32 v1, v1, v183
	v_add_f32_e32 v2, v2, v3
	;; [unrolled: 1-line block ×3, first 2 shown]
	s_waitcnt vmcnt(0)
	v_sub_f32_e32 v2, v156, v2
	v_sub_f32_e32 v1, v191, v1
	buffer_store_dword v2, off, s[0:3], 0 offset:136
	buffer_store_dword v1, off, s[0:3], 0 offset:140
	v_cmpx_lt_u32_e32 16, v0
	s_cbranch_execz .LBB57_329
; %bb.328:
	s_clause 0x1
	buffer_load_dword v1, off, s[0:3], 0 offset:128
	buffer_load_dword v2, off, s[0:3], 0 offset:132
	v_mov_b32_e32 v3, 0
	buffer_store_dword v3, off, s[0:3], 0 offset:128
	buffer_store_dword v3, off, s[0:3], 0 offset:132
	s_waitcnt vmcnt(0)
	ds_write_b64 v129, v[1:2]
.LBB57_329:
	s_or_b32 exec_lo, exec_lo, s4
	s_waitcnt lgkmcnt(0)
	s_waitcnt_vscnt null, 0x0
	s_barrier
	buffer_gl0_inv
	s_clause 0x23
	buffer_load_dword v3, off, s[0:3], 0 offset:140
	buffer_load_dword v2, off, s[0:3], 0 offset:148
	;; [unrolled: 1-line block ×36, first 2 shown]
	v_mov_b32_e32 v1, 0
	s_mov_b32 s4, exec_lo
	ds_read2_b64 v[4:7], v1 offset0:75 offset1:76
	s_clause 0x1
	buffer_load_dword v179, off, s[0:3], 0 offset:276
	buffer_load_dword v180, off, s[0:3], 0 offset:284
	ds_read2_b64 v[8:11], v1 offset0:77 offset1:78
	s_clause 0x8
	buffer_load_dword v181, off, s[0:3], 0 offset:292
	buffer_load_dword v182, off, s[0:3], 0 offset:300
	;; [unrolled: 1-line block ×9, first 2 shown]
	ds_read2_b64 v[130:133], v1 offset0:79 offset1:80
	ds_read2_b64 v[134:137], v1 offset0:81 offset1:82
	buffer_load_dword v190, off, s[0:3], 0 offset:132
	ds_read2_b64 v[138:141], v1 offset0:83 offset1:84
	ds_read2_b64 v[142:145], v1 offset0:85 offset1:86
	s_waitcnt vmcnt(47) lgkmcnt(5)
	v_mul_f32_e32 v191, v5, v3
	v_mul_f32_e32 v192, v4, v3
	s_waitcnt vmcnt(46)
	v_mul_f32_e32 v193, v6, v2
	v_mul_f32_e32 v2, v7, v2
	s_waitcnt vmcnt(43)
	v_fma_f32 v191, v4, v147, -v191
	v_fmac_f32_e32 v192, v5, v147
	s_waitcnt vmcnt(42) lgkmcnt(4)
	v_mul_f32_e32 v147, v8, v148
	v_mul_f32_e32 v148, v9, v148
	v_fmac_f32_e32 v193, v7, v146
	v_fma_f32 v146, v6, v146, -v2
	s_waitcnt vmcnt(41)
	v_mul_f32_e32 v194, v10, v149
	v_mul_f32_e32 v6, v11, v149
	v_fmac_f32_e32 v147, v9, v12
	v_fma_f32 v12, v8, v12, -v148
	s_waitcnt vmcnt(40) lgkmcnt(3)
	v_mul_f32_e32 v148, v130, v150
	v_mul_f32_e32 v7, v131, v150
	s_waitcnt vmcnt(36)
	v_fmac_f32_e32 v194, v11, v154
	v_fma_f32 v10, v10, v154, -v6
	s_waitcnt vmcnt(35)
	v_mul_f32_e32 v11, v132, v155
	v_mul_f32_e32 v6, v133, v155
	ds_read2_b64 v[2:5], v1 offset0:87 offset1:88
	s_waitcnt vmcnt(34) lgkmcnt(3)
	v_mul_f32_e32 v149, v134, v156
	v_mul_f32_e32 v8, v135, v156
	s_waitcnt vmcnt(33)
	v_mul_f32_e32 v150, v136, v157
	v_mul_f32_e32 v9, v137, v157
	v_fmac_f32_e32 v148, v131, v153
	v_fma_f32 v130, v130, v153, -v7
	v_fmac_f32_e32 v11, v133, v152
	v_fma_f32 v131, v132, v152, -v6
	s_clause 0x6
	buffer_load_dword v152, off, s[0:3], 0 offset:332
	buffer_load_dword v153, off, s[0:3], 0 offset:340
	;; [unrolled: 1-line block ×7, first 2 shown]
	v_fma_f32 v132, v134, v151, -v8
	s_waitcnt vmcnt(36)
	v_fma_f32 v133, v136, v161, -v9
	ds_read2_b64 v[6:9], v1 offset0:89 offset1:90
	v_fmac_f32_e32 v149, v135, v151
	v_fmac_f32_e32 v150, v137, v161
	s_waitcnt vmcnt(35) lgkmcnt(3)
	v_mul_f32_e32 v135, v139, v162
	s_waitcnt vmcnt(34)
	v_mul_f32_e32 v136, v140, v163
	v_mul_f32_e32 v137, v141, v163
	;; [unrolled: 1-line block ×3, first 2 shown]
	s_waitcnt vmcnt(33) lgkmcnt(2)
	v_mul_f32_e32 v151, v142, v164
	v_mul_f32_e32 v161, v143, v164
	v_fma_f32 v135, v138, v160, -v135
	s_waitcnt vmcnt(32)
	v_mul_f32_e32 v138, v144, v165
	v_fmac_f32_e32 v136, v141, v159
	v_fma_f32 v137, v140, v159, -v137
	s_waitcnt vmcnt(31) lgkmcnt(1)
	v_mul_f32_e32 v140, v2, v166
	v_mul_f32_e32 v141, v3, v166
	v_fmac_f32_e32 v134, v139, v160
	v_mul_f32_e32 v139, v145, v165
	v_fmac_f32_e32 v151, v143, v158
	v_fma_f32 v142, v142, v158, -v161
	s_waitcnt vmcnt(27)
	v_fmac_f32_e32 v138, v145, v170
	s_clause 0x7
	buffer_load_dword v158, off, s[0:3], 0 offset:356
	buffer_load_dword v159, off, s[0:3], 0 offset:364
	;; [unrolled: 1-line block ×8, first 2 shown]
	v_fmac_f32_e32 v140, v3, v169
	v_fma_f32 v141, v2, v169, -v141
	s_waitcnt vmcnt(33) lgkmcnt(0)
	v_mul_f32_e32 v145, v6, v172
	v_mul_f32_e32 v2, v7, v172
	v_add_f32_e32 v3, 0, v191
	v_fma_f32 v139, v144, v170, -v139
	v_mul_f32_e32 v143, v4, v171
	v_fmac_f32_e32 v145, v7, v167
	v_fma_f32 v167, v6, v167, -v2
	v_add_f32_e32 v2, 0, v192
	v_add_f32_e32 v3, v3, v146
	v_mul_f32_e32 v144, v5, v171
	s_clause 0x1
	buffer_load_dword v166, off, s[0:3], 0 offset:388
	buffer_load_dword v169, off, s[0:3], 0 offset:396
	v_fmac_f32_e32 v143, v5, v168
	v_add_f32_e32 v2, v2, v193
	v_add_f32_e32 v6, v3, v12
	s_waitcnt vmcnt(34)
	v_mul_f32_e32 v3, v9, v173
	v_fma_f32 v144, v4, v168, -v144
	s_clause 0x5
	buffer_load_dword v168, off, s[0:3], 0 offset:404
	buffer_load_dword v170, off, s[0:3], 0 offset:412
	;; [unrolled: 1-line block ×6, first 2 shown]
	v_mul_f32_e32 v12, v8, v173
	v_add_f32_e32 v7, v2, v147
	s_waitcnt vmcnt(36)
	v_fma_f32 v146, v8, v177, -v3
	ds_read2_b64 v[2:5], v1 offset0:91 offset1:92
	s_clause 0x1
	buffer_load_dword v193, off, s[0:3], 0 offset:452
	buffer_load_dword v173, off, s[0:3], 0 offset:460
	v_fmac_f32_e32 v12, v9, v177
	v_add_f32_e32 v7, v7, v194
	s_clause 0x3
	buffer_load_dword v177, off, s[0:3], 0 offset:408
	buffer_load_dword v194, off, s[0:3], 0 offset:400
	buffer_load_dword v196, off, s[0:3], 0 offset:392
	buffer_load_dword v197, off, s[0:3], 0 offset:384
	v_add_f32_e32 v6, v6, v10
	v_add_f32_e32 v7, v7, v148
	;; [unrolled: 1-line block ×6, first 2 shown]
	s_waitcnt vmcnt(41) lgkmcnt(0)
	v_mul_f32_e32 v147, v2, v178
	v_mul_f32_e32 v130, v3, v178
	v_add_f32_e32 v11, v6, v132
	ds_read2_b64 v[6:9], v1 offset0:93 offset1:94
	v_fmac_f32_e32 v147, v3, v176
	v_fma_f32 v148, v2, v176, -v130
	v_add_f32_e32 v2, v10, v150
	s_clause 0x6
	buffer_load_dword v150, off, s[0:3], 0 offset:440
	buffer_load_dword v176, off, s[0:3], 0 offset:432
	;; [unrolled: 1-line block ×7, first 2 shown]
	v_add_f32_e32 v11, v11, v133
	v_add_f32_e32 v2, v2, v134
	s_waitcnt vmcnt(47)
	v_mul_f32_e32 v10, v4, v179
	v_add_f32_e32 v3, v11, v135
	v_add_f32_e32 v2, v2, v136
	v_mul_f32_e32 v11, v5, v179
	v_fmac_f32_e32 v10, v5, v175
	v_add_f32_e32 v3, v3, v137
	v_add_f32_e32 v130, v2, v151
	s_waitcnt vmcnt(46) lgkmcnt(0)
	v_mul_f32_e32 v149, v6, v180
	v_mul_f32_e32 v136, v7, v180
	s_waitcnt vmcnt(45)
	v_mul_f32_e32 v151, v8, v181
	v_add_f32_e32 v3, v3, v142
	v_add_f32_e32 v135, v130, v138
	v_mul_f32_e32 v137, v9, v181
	v_fma_f32 v11, v4, v175, -v11
	ds_read2_b64 v[130:133], v1 offset0:97 offset1:98
	v_add_f32_e32 v134, v3, v139
	v_add_f32_e32 v135, v135, v140
	ds_read2_b64 v[2:5], v1 offset0:95 offset1:96
	v_fmac_f32_e32 v149, v7, v174
	v_fma_f32 v174, v6, v174, -v136
	v_add_f32_e32 v134, v134, v141
	v_add_f32_e32 v139, v135, v143
	s_waitcnt vmcnt(38)
	v_fmac_f32_e32 v151, v9, v188
	v_fma_f32 v175, v8, v188, -v137
	v_add_f32_e32 v138, v134, v144
	ds_read2_b64 v[6:9], v1 offset0:99 offset1:100
	ds_read2_b64 v[134:137], v1 offset0:101 offset1:102
	v_add_f32_e32 v139, v139, v145
	v_add_f32_e32 v138, v138, v167
	;; [unrolled: 1-line block ×3, first 2 shown]
	s_waitcnt lgkmcnt(3)
	v_mul_f32_e32 v142, v131, v184
	v_add_f32_e32 v138, v138, v146
	v_mul_f32_e32 v180, v130, v184
	v_add_f32_e32 v12, v12, v147
	s_waitcnt lgkmcnt(2)
	v_mul_f32_e32 v140, v3, v182
	v_mul_f32_e32 v167, v2, v182
	v_add_f32_e32 v143, v138, v148
	v_mul_f32_e32 v141, v5, v183
	v_add_f32_e32 v10, v12, v10
	v_fma_f32 v146, v2, v187, -v140
	v_mul_f32_e32 v179, v4, v183
	v_add_f32_e32 v11, v143, v11
	v_fmac_f32_e32 v167, v3, v187
	v_add_f32_e32 v10, v10, v149
	v_fma_f32 v182, v4, v186, -v141
	v_fmac_f32_e32 v179, v5, v186
	v_add_f32_e32 v11, v11, v174
	s_waitcnt vmcnt(37)
	v_mul_f32_e32 v144, v133, v189
	v_add_f32_e32 v10, v10, v151
	v_fma_f32 v183, v130, v185, -v142
	v_mul_f32_e32 v181, v132, v189
	v_fmac_f32_e32 v180, v131, v185
	ds_read2_b64 v[2:5], v1 offset0:103 offset1:104
	ds_read2_b64 v[138:141], v1 offset0:105 offset1:106
	s_waitcnt vmcnt(35) lgkmcnt(3)
	v_mul_f32_e32 v12, v6, v152
	v_mul_f32_e32 v147, v7, v152
	s_waitcnt vmcnt(34)
	v_mul_f32_e32 v174, v8, v153
	v_mul_f32_e32 v148, v9, v153
	s_waitcnt vmcnt(30)
	v_fmac_f32_e32 v12, v7, v157
	v_add_f32_e32 v7, v11, v175
	v_fmac_f32_e32 v174, v9, v156
	v_fma_f32 v152, v8, v156, -v148
	v_add_f32_e32 v156, v10, v167
	s_waitcnt vmcnt(29)
	v_fma_f32 v184, v132, v195, -v144
	v_add_f32_e32 v153, v7, v146
	v_fmac_f32_e32 v181, v133, v195
	v_fma_f32 v151, v6, v157, -v147
	v_add_f32_e32 v156, v156, v179
	s_waitcnt lgkmcnt(2)
	v_mul_f32_e32 v157, v134, v154
	v_add_f32_e32 v153, v153, v182
	v_mul_f32_e32 v154, v135, v154
	ds_read2_b64 v[130:133], v1 offset0:107 offset1:108
	ds_read2_b64 v[142:145], v1 offset0:109 offset1:110
	v_add_f32_e32 v156, v156, v180
	v_fmac_f32_e32 v157, v135, v155
	v_add_f32_e32 v153, v153, v183
	v_fma_f32 v134, v134, v155, -v154
	s_waitcnt vmcnt(28)
	v_mul_f32_e32 v167, v136, v158
	v_add_f32_e32 v155, v156, v181
	v_mul_f32_e32 v158, v137, v158
	v_add_f32_e32 v153, v153, v184
	s_waitcnt vmcnt(27) lgkmcnt(3)
	v_mul_f32_e32 v175, v2, v159
	v_mul_f32_e32 v159, v3, v159
	v_add_f32_e32 v12, v155, v12
	s_waitcnt vmcnt(21)
	v_fma_f32 v136, v136, v165, -v158
	v_add_f32_e32 v151, v153, v151
	v_fmac_f32_e32 v167, v137, v165
	v_fmac_f32_e32 v175, v3, v164
	v_add_f32_e32 v12, v12, v174
	v_fma_f32 v2, v2, v164, -v159
	v_add_f32_e32 v151, v151, v152
	v_mul_f32_e32 v152, v5, v160
	v_mul_f32_e32 v179, v4, v160
	v_add_f32_e32 v12, v12, v157
	s_waitcnt lgkmcnt(2)
	v_mul_f32_e32 v135, v138, v161
	v_add_f32_e32 v134, v151, v134
	v_fma_f32 v4, v4, v163, -v152
	v_fmac_f32_e32 v179, v5, v163
	v_add_f32_e32 v12, v12, v167
	s_waitcnt vmcnt(20)
	v_mul_f32_e32 v5, v141, v166
	v_add_f32_e32 v3, v134, v136
	v_mul_f32_e32 v134, v139, v161
	v_mul_f32_e32 v154, v140, v166
	v_fmac_f32_e32 v135, v139, v162
	s_waitcnt vmcnt(19) lgkmcnt(1)
	v_mul_f32_e32 v156, v130, v169
	v_add_f32_e32 v2, v3, v2
	v_add_f32_e32 v3, v12, v175
	v_fma_f32 v12, v138, v162, -v134
	ds_read2_b64 v[6:9], v1 offset0:111 offset1:112
	ds_read2_b64 v[146:149], v1 offset0:113 offset1:114
	ds_read_b64 v[10:11], v1 offset:920
	s_waitcnt vmcnt(18)
	v_mul_f32_e32 v137, v132, v168
	v_add_f32_e32 v2, v2, v4
	v_add_f32_e32 v3, v3, v179
	v_mul_f32_e32 v4, v131, v169
	s_waitcnt vmcnt(7)
	v_fma_f32 v5, v140, v197, -v5
	v_fmac_f32_e32 v154, v141, v197
	v_add_f32_e32 v2, v2, v12
	v_add_f32_e32 v3, v3, v135
	v_mul_f32_e32 v12, v133, v168
	v_fma_f32 v4, v130, v196, -v4
	v_fmac_f32_e32 v156, v131, v196
	v_add_f32_e32 v2, v2, v5
	v_add_f32_e32 v3, v3, v154
	s_waitcnt lgkmcnt(3)
	v_mul_f32_e32 v5, v143, v170
	v_fma_f32 v12, v132, v194, -v12
	v_mul_f32_e32 v158, v142, v170
	v_add_f32_e32 v2, v2, v4
	v_fmac_f32_e32 v137, v133, v194
	v_add_f32_e32 v3, v3, v156
	v_mul_f32_e32 v4, v145, v171
	v_fma_f32 v5, v142, v177, -v5
	v_add_f32_e32 v2, v2, v12
	v_mul_f32_e32 v153, v144, v171
	v_fmac_f32_e32 v158, v143, v177
	v_add_f32_e32 v3, v3, v137
	s_waitcnt lgkmcnt(2)
	v_mul_f32_e32 v12, v7, v172
	s_waitcnt vmcnt(3)
	v_fma_f32 v4, v144, v198, -v4
	v_add_f32_e32 v2, v2, v5
	v_mul_f32_e32 v155, v6, v172
	v_fmac_f32_e32 v153, v145, v198
	v_add_f32_e32 v3, v3, v158
	v_mul_f32_e32 v5, v9, v191
	v_fma_f32 v6, v6, v178, -v12
	v_add_f32_e32 v2, v2, v4
	v_mul_f32_e32 v165, v8, v191
	v_fmac_f32_e32 v155, v7, v178
	v_add_f32_e32 v3, v3, v153
	s_waitcnt lgkmcnt(1)
	v_mul_f32_e32 v4, v147, v192
	v_fma_f32 v5, v8, v176, -v5
	v_add_f32_e32 v2, v2, v6
	v_mul_f32_e32 v160, v146, v192
	v_fmac_f32_e32 v165, v9, v176
	v_add_f32_e32 v3, v3, v155
	v_mul_f32_e32 v6, v149, v193
	v_fma_f32 v4, v146, v150, -v4
	v_add_f32_e32 v2, v2, v5
	v_mul_f32_e32 v174, v148, v193
	v_fmac_f32_e32 v160, v147, v150
	v_add_f32_e32 v3, v3, v165
	s_waitcnt lgkmcnt(0)
	v_mul_f32_e32 v5, v11, v173
	s_waitcnt vmcnt(1)
	v_fma_f32 v6, v148, v200, -v6
	v_add_f32_e32 v2, v2, v4
	v_mul_f32_e32 v151, v10, v173
	v_fmac_f32_e32 v174, v149, v200
	v_add_f32_e32 v3, v3, v160
	v_fma_f32 v4, v10, v199, -v5
	v_add_f32_e32 v2, v2, v6
	v_fmac_f32_e32 v151, v11, v199
	v_add_f32_e32 v3, v3, v174
	v_add_f32_e32 v2, v2, v4
	;; [unrolled: 1-line block ×3, first 2 shown]
	s_waitcnt vmcnt(0)
	v_sub_f32_e32 v2, v201, v2
	v_sub_f32_e32 v3, v190, v3
	buffer_store_dword v2, off, s[0:3], 0 offset:128
	buffer_store_dword v3, off, s[0:3], 0 offset:132
	v_cmpx_lt_u32_e32 15, v0
	s_cbranch_execz .LBB57_331
; %bb.330:
	s_clause 0x1
	buffer_load_dword v2, off, s[0:3], 0 offset:120
	buffer_load_dword v3, off, s[0:3], 0 offset:124
	buffer_store_dword v1, off, s[0:3], 0 offset:120
	buffer_store_dword v1, off, s[0:3], 0 offset:124
	s_waitcnt vmcnt(0)
	ds_write_b64 v129, v[2:3]
.LBB57_331:
	s_or_b32 exec_lo, exec_lo, s4
	s_waitcnt lgkmcnt(0)
	s_waitcnt_vscnt null, 0x0
	s_barrier
	buffer_gl0_inv
	s_clause 0x24
	buffer_load_dword v2, off, s[0:3], 0 offset:132
	buffer_load_dword v3, off, s[0:3], 0 offset:140
	;; [unrolled: 1-line block ×37, first 2 shown]
	ds_read_b128 v[6:9], v1 offset:592
	ds_read_b128 v[130:133], v1 offset:608
	s_clause 0x8
	buffer_load_dword v182, off, s[0:3], 0 offset:276
	buffer_load_dword v183, off, s[0:3], 0 offset:284
	;; [unrolled: 1-line block ×9, first 2 shown]
	ds_read_b128 v[134:137], v1 offset:624
	ds_read_b128 v[138:141], v1 offset:640
	;; [unrolled: 1-line block ×4, first 2 shown]
	buffer_load_dword v189, off, s[0:3], 0 offset:124
	s_mov_b32 s4, exec_lo
	s_waitcnt vmcnt(46) lgkmcnt(5)
	v_mul_f32_e32 v190, v7, v2
	v_mul_f32_e32 v2, v6, v2
	s_waitcnt vmcnt(45)
	v_mul_f32_e32 v191, v8, v3
	v_mul_f32_e32 v3, v9, v3
	s_waitcnt vmcnt(44) lgkmcnt(4)
	v_mul_f32_e32 v192, v130, v10
	v_mul_f32_e32 v10, v131, v10
	s_waitcnt vmcnt(41)
	v_fma_f32 v190, v6, v150, -v190
	v_fmac_f32_e32 v2, v7, v150
	s_waitcnt vmcnt(40)
	v_mul_f32_e32 v150, v132, v151
	v_mul_f32_e32 v6, v133, v151
	v_fmac_f32_e32 v191, v9, v12
	v_fma_f32 v3, v8, v12, -v3
	s_waitcnt vmcnt(35) lgkmcnt(3)
	v_mul_f32_e32 v12, v134, v156
	v_mul_f32_e32 v151, v135, v156
	v_fmac_f32_e32 v192, v131, v11
	v_fma_f32 v10, v130, v11, -v10
	v_fmac_f32_e32 v150, v133, v155
	v_fma_f32 v11, v132, v155, -v6
	s_waitcnt vmcnt(34)
	v_mul_f32_e32 v155, v136, v157
	v_mul_f32_e32 v156, v137, v157
	s_waitcnt vmcnt(33) lgkmcnt(2)
	v_mul_f32_e32 v157, v138, v158
	v_mul_f32_e32 v158, v139, v158
	v_fmac_f32_e32 v12, v135, v154
	v_fma_f32 v151, v134, v154, -v151
	s_waitcnt vmcnt(32)
	v_mul_f32_e32 v154, v140, v159
	v_mul_f32_e32 v134, v141, v159
	ds_read_b128 v[6:9], v1 offset:688
	ds_read_b128 v[130:133], v1 offset:704
	v_fmac_f32_e32 v155, v137, v153
	v_fma_f32 v153, v136, v153, -v156
	s_waitcnt vmcnt(31) lgkmcnt(3)
	v_mul_f32_e32 v156, v142, v160
	v_mul_f32_e32 v135, v143, v160
	s_waitcnt vmcnt(30)
	v_mul_f32_e32 v159, v144, v161
	v_mul_f32_e32 v136, v145, v161
	v_fmac_f32_e32 v157, v139, v152
	v_fma_f32 v138, v138, v152, -v158
	s_waitcnt vmcnt(26)
	v_fmac_f32_e32 v154, v141, v165
	v_fma_f32 v139, v140, v165, -v134
	s_clause 0x7
	buffer_load_dword v152, off, s[0:3], 0 offset:316
	buffer_load_dword v158, off, s[0:3], 0 offset:324
	;; [unrolled: 1-line block ×8, first 2 shown]
	v_fmac_f32_e32 v156, v143, v164
	v_fma_f32 v140, v142, v164, -v135
	v_fmac_f32_e32 v159, v145, v163
	v_fma_f32 v141, v144, v163, -v136
	s_waitcnt vmcnt(33) lgkmcnt(2)
	v_mul_f32_e32 v142, v146, v166
	v_mul_f32_e32 v143, v147, v166
	s_waitcnt vmcnt(32)
	v_mul_f32_e32 v144, v148, v167
	v_mul_f32_e32 v145, v149, v167
	ds_read_b128 v[134:137], v1 offset:720
	buffer_load_dword v163, off, s[0:3], 0 offset:348
	v_fmac_f32_e32 v142, v147, v162
	v_fma_f32 v143, v146, v162, -v143
	s_waitcnt vmcnt(32) lgkmcnt(2)
	v_mul_f32_e32 v146, v6, v168
	v_mul_f32_e32 v147, v7, v168
	s_waitcnt vmcnt(28)
	v_fmac_f32_e32 v144, v149, v172
	v_fma_f32 v145, v148, v172, -v145
	s_waitcnt vmcnt(27)
	v_mul_f32_e32 v148, v8, v173
	v_mul_f32_e32 v149, v9, v173
	v_fmac_f32_e32 v146, v7, v171
	v_fma_f32 v147, v6, v171, -v147
	s_waitcnt vmcnt(26) lgkmcnt(1)
	v_mul_f32_e32 v162, v130, v174
	v_fmac_f32_e32 v148, v9, v170
	v_fma_f32 v149, v8, v170, -v149
	s_clause 0x4
	buffer_load_dword v166, off, s[0:3], 0 offset:356
	buffer_load_dword v167, off, s[0:3], 0 offset:368
	;; [unrolled: 1-line block ×5, first 2 shown]
	v_mul_f32_e32 v164, v131, v174
	s_waitcnt vmcnt(30)
	v_mul_f32_e32 v173, v133, v175
	v_fmac_f32_e32 v162, v131, v169
	v_add_f32_e32 v2, 0, v2
	v_mul_f32_e32 v172, v132, v175
	v_fma_f32 v164, v130, v169, -v164
	s_waitcnt vmcnt(26)
	v_fma_f32 v169, v132, v179, -v173
	s_waitcnt vmcnt(25) lgkmcnt(0)
	v_mul_f32_e32 v173, v134, v180
	v_mul_f32_e32 v130, v135, v180
	v_add_f32_e32 v2, v2, v191
	ds_read_b128 v[6:9], v1 offset:736
	s_clause 0x1
	buffer_load_dword v174, off, s[0:3], 0 offset:364
	buffer_load_dword v175, off, s[0:3], 0 offset:372
	v_fmac_f32_e32 v173, v135, v178
	v_fma_f32 v178, v134, v178, -v130
	v_add_f32_e32 v130, 0, v190
	v_add_f32_e32 v2, v2, v192
	v_fmac_f32_e32 v172, v133, v179
	s_waitcnt vmcnt(26)
	v_mul_f32_e32 v179, v136, v181
	v_mul_f32_e32 v131, v137, v181
	v_add_f32_e32 v3, v130, v3
	v_add_f32_e32 v2, v2, v150
	s_clause 0x4
	buffer_load_dword v180, off, s[0:3], 0 offset:380
	buffer_load_dword v181, off, s[0:3], 0 offset:388
	;; [unrolled: 1-line block ×5, first 2 shown]
	v_add_f32_e32 v3, v3, v10
	s_clause 0x5
	buffer_load_dword v198, off, s[0:3], 0 offset:420
	buffer_load_dword v199, off, s[0:3], 0 offset:428
	;; [unrolled: 1-line block ×6, first 2 shown]
	v_add_f32_e32 v3, v3, v11
	v_add_f32_e32 v2, v2, v12
	s_waitcnt vmcnt(36) lgkmcnt(0)
	v_mul_f32_e32 v204, v6, v182
	v_mul_f32_e32 v130, v7, v182
	v_fmac_f32_e32 v179, v137, v177
	v_add_f32_e32 v3, v3, v151
	s_clause 0x3
	buffer_load_dword v11, off, s[0:3], 0 offset:400
	buffer_load_dword v12, off, s[0:3], 0 offset:392
	;; [unrolled: 1-line block ×4, first 2 shown]
	v_add_f32_e32 v2, v2, v155
	v_fma_f32 v177, v136, v177, -v131
	v_fmac_f32_e32 v204, v7, v176
	v_add_f32_e32 v3, v3, v153
	v_add_f32_e32 v2, v2, v157
	s_clause 0x3
	buffer_load_dword v153, off, s[0:3], 0 offset:432
	buffer_load_dword v155, off, s[0:3], 0 offset:424
	;; [unrolled: 1-line block ×4, first 2 shown]
	v_add_f32_e32 v3, v3, v138
	v_add_f32_e32 v2, v2, v154
	s_clause 0x2
	buffer_load_dword v154, off, s[0:3], 0 offset:456
	buffer_load_dword v202, off, s[0:3], 0 offset:448
	;; [unrolled: 1-line block ×3, first 2 shown]
	ds_read_b128 v[134:137], v1 offset:784
	v_add_f32_e32 v3, v3, v139
	v_add_f32_e32 v2, v2, v156
	buffer_load_dword v156, off, s[0:3], 0 offset:120
	v_add_f32_e32 v3, v3, v140
	v_add_f32_e32 v2, v2, v159
	v_fma_f32 v159, v6, v176, -v130
	ds_read_b128 v[130:133], v1 offset:752
	v_add_f32_e32 v3, v3, v141
	s_waitcnt vmcnt(47)
	v_mul_f32_e32 v176, v8, v183
	v_add_f32_e32 v2, v2, v142
	v_mul_f32_e32 v6, v9, v183
	v_add_f32_e32 v3, v3, v143
	s_waitcnt vmcnt(40)
	v_fmac_f32_e32 v176, v9, v188
	v_add_f32_e32 v2, v2, v144
	v_fma_f32 v182, v8, v188, -v6
	ds_read_b128 v[6:9], v1 offset:768
	v_add_f32_e32 v3, v3, v145
	v_add_f32_e32 v2, v2, v146
	;; [unrolled: 1-line block ×4, first 2 shown]
	s_waitcnt lgkmcnt(1)
	v_mul_f32_e32 v146, v130, v184
	v_add_f32_e32 v3, v3, v149
	v_mul_f32_e32 v138, v131, v184
	v_add_f32_e32 v2, v2, v162
	v_mul_f32_e32 v162, v132, v185
	v_fmac_f32_e32 v146, v131, v187
	v_add_f32_e32 v3, v3, v164
	v_fma_f32 v147, v130, v187, -v138
	ds_read_b128 v[138:141], v1 offset:800
	v_add_f32_e32 v2, v2, v172
	s_waitcnt lgkmcnt(1)
	v_mul_f32_e32 v131, v7, v186
	v_add_f32_e32 v3, v3, v169
	v_mul_f32_e32 v164, v6, v186
	v_mul_f32_e32 v130, v133, v185
	v_add_f32_e32 v2, v2, v173
	v_fma_f32 v172, v6, v4, -v131
	v_add_f32_e32 v3, v3, v178
	v_fmac_f32_e32 v164, v7, v4
	v_fma_f32 v148, v132, v5, -v130
	v_add_f32_e32 v7, v2, v179
	v_fmac_f32_e32 v162, v133, v5
	v_add_f32_e32 v6, v3, v177
	ds_read_b128 v[2:5], v1 offset:816
	ds_read_b128 v[130:133], v1 offset:832
	s_waitcnt vmcnt(38)
	v_mul_f32_e32 v169, v8, v152
	v_mul_f32_e32 v142, v9, v152
	s_waitcnt vmcnt(37)
	v_mul_f32_e32 v152, v134, v158
	v_mul_f32_e32 v143, v135, v158
	;; [unrolled: 3-line block ×3, first 2 shown]
	s_waitcnt vmcnt(35) lgkmcnt(2)
	v_mul_f32_e32 v160, v138, v161
	s_waitcnt vmcnt(32)
	v_fmac_f32_e32 v152, v135, v194
	v_add_f32_e32 v135, v6, v159
	v_fma_f32 v159, v134, v194, -v143
	v_add_f32_e32 v134, v7, v204
	v_fmac_f32_e32 v160, v139, v165
	s_waitcnt vmcnt(31)
	v_fma_f32 v158, v8, v195, -v142
	v_add_f32_e32 v135, v135, v182
	v_fmac_f32_e32 v169, v9, v195
	v_add_f32_e32 v134, v134, v176
	v_fmac_f32_e32 v173, v137, v193
	s_waitcnt vmcnt(30)
	v_mul_f32_e32 v176, v140, v163
	v_add_f32_e32 v135, v135, v147
	v_mul_f32_e32 v147, v139, v161
	v_mul_f32_e32 v161, v141, v163
	v_fma_f32 v163, v136, v193, -v149
	ds_read_b128 v[6:9], v1 offset:848
	ds_read_b128 v[142:145], v1 offset:864
	v_add_f32_e32 v177, v135, v148
	v_fma_f32 v165, v138, v165, -v147
	v_add_f32_e32 v138, v134, v146
	ds_read_b128 v[134:137], v1 offset:880
	ds_read_b128 v[146:149], v1 offset:896
	v_add_f32_e32 v162, v138, v162
	s_waitcnt vmcnt(25)
	v_fmac_f32_e32 v176, v141, v171
	v_fma_f32 v161, v140, v171, -v161
	v_add_f32_e32 v171, v177, v172
	ds_read_b128 v[138:141], v1 offset:912
	v_add_f32_e32 v162, v162, v164
	s_waitcnt lgkmcnt(6)
	v_mul_f32_e32 v1, v2, v166
	v_mul_f32_e32 v166, v3, v166
	v_add_f32_e32 v158, v171, v158
	v_add_f32_e32 v162, v162, v169
	v_fmac_f32_e32 v1, v3, v170
	s_waitcnt vmcnt(24)
	v_mul_f32_e32 v172, v5, v174
	v_add_f32_e32 v158, v158, v159
	v_fma_f32 v2, v2, v170, -v166
	v_add_f32_e32 v152, v162, v152
	v_mul_f32_e32 v164, v4, v174
	v_fma_f32 v4, v4, v168, -v172
	v_add_f32_e32 v158, v158, v163
	s_waitcnt vmcnt(23) lgkmcnt(5)
	v_mul_f32_e32 v171, v130, v175
	v_add_f32_e32 v152, v152, v173
	v_fmac_f32_e32 v164, v5, v168
	s_waitcnt vmcnt(22)
	v_mul_f32_e32 v5, v133, v180
	v_add_f32_e32 v158, v158, v165
	v_mul_f32_e32 v169, v132, v180
	v_add_f32_e32 v152, v152, v160
	v_fmac_f32_e32 v171, v131, v167
	s_waitcnt vmcnt(21) lgkmcnt(4)
	v_mul_f32_e32 v174, v6, v181
	v_add_f32_e32 v158, v158, v161
	v_mul_f32_e32 v161, v131, v175
	v_add_f32_e32 v152, v152, v176
	s_waitcnt vmcnt(20)
	v_mul_f32_e32 v159, v8, v196
	s_waitcnt vmcnt(19) lgkmcnt(3)
	v_mul_f32_e32 v162, v142, v190
	v_add_f32_e32 v2, v158, v2
	v_fma_f32 v130, v130, v167, -v161
	v_add_f32_e32 v1, v152, v1
	s_waitcnt vmcnt(10)
	v_fmac_f32_e32 v159, v9, v12
	s_waitcnt vmcnt(9)
	v_fmac_f32_e32 v174, v7, v150
	v_add_f32_e32 v2, v2, v4
	v_mul_f32_e32 v4, v7, v181
	v_add_f32_e32 v1, v1, v164
	s_waitcnt vmcnt(8)
	v_fma_f32 v5, v132, v151, -v5
	v_fmac_f32_e32 v169, v133, v151
	v_add_f32_e32 v2, v2, v130
	v_mul_f32_e32 v130, v9, v196
	v_add_f32_e32 v1, v1, v171
	v_fma_f32 v4, v6, v150, -v4
	v_mul_f32_e32 v177, v144, v197
	v_add_f32_e32 v2, v2, v5
	v_mul_f32_e32 v5, v143, v190
	v_add_f32_e32 v1, v1, v169
	v_fma_f32 v6, v8, v12, -v130
	v_fmac_f32_e32 v162, v143, v11
	v_add_f32_e32 v2, v2, v4
	v_mul_f32_e32 v4, v145, v197
	v_add_f32_e32 v1, v1, v174
	v_fma_f32 v5, v142, v11, -v5
	s_waitcnt lgkmcnt(2)
	v_mul_f32_e32 v163, v134, v198
	v_add_f32_e32 v2, v2, v6
	v_mul_f32_e32 v6, v135, v198
	v_add_f32_e32 v1, v1, v159
	s_waitcnt vmcnt(4)
	v_fma_f32 v4, v144, v201, -v4
	v_fmac_f32_e32 v177, v145, v201
	v_add_f32_e32 v2, v2, v5
	v_mul_f32_e32 v5, v137, v199
	v_add_f32_e32 v1, v1, v162
	v_fma_f32 v6, v134, v157, -v6
	v_mul_f32_e32 v173, v136, v199
	v_add_f32_e32 v2, v2, v4
	v_fmac_f32_e32 v163, v135, v157
	v_add_f32_e32 v1, v1, v177
	s_waitcnt lgkmcnt(1)
	v_mul_f32_e32 v4, v147, v200
	v_fma_f32 v5, v136, v155, -v5
	v_add_f32_e32 v2, v2, v6
	v_mul_f32_e32 v178, v146, v200
	v_fmac_f32_e32 v173, v137, v155
	v_add_f32_e32 v1, v1, v163
	v_mul_f32_e32 v6, v149, v191
	v_fma_f32 v4, v146, v153, -v4
	v_add_f32_e32 v2, v2, v5
	v_mul_f32_e32 v165, v148, v191
	v_fmac_f32_e32 v178, v147, v153
	v_add_f32_e32 v1, v1, v173
	s_waitcnt lgkmcnt(0)
	v_mul_f32_e32 v5, v139, v10
	s_waitcnt vmcnt(1)
	v_fma_f32 v6, v148, v203, -v6
	v_add_f32_e32 v2, v2, v4
	v_mul_f32_e32 v160, v138, v10
	v_fmac_f32_e32 v165, v149, v203
	v_add_f32_e32 v1, v1, v178
	v_mul_f32_e32 v4, v141, v192
	v_fma_f32 v5, v138, v202, -v5
	v_add_f32_e32 v2, v2, v6
	v_mul_f32_e32 v3, v140, v192
	v_fmac_f32_e32 v160, v139, v202
	v_add_f32_e32 v1, v1, v165
	v_fma_f32 v4, v140, v154, -v4
	v_add_f32_e32 v2, v2, v5
	v_fmac_f32_e32 v3, v141, v154
	v_add_f32_e32 v1, v1, v160
	v_add_f32_e32 v2, v2, v4
	;; [unrolled: 1-line block ×3, first 2 shown]
	s_waitcnt vmcnt(0)
	v_sub_f32_e32 v2, v156, v2
	v_sub_f32_e32 v1, v189, v1
	buffer_store_dword v2, off, s[0:3], 0 offset:120
	buffer_store_dword v1, off, s[0:3], 0 offset:124
	v_cmpx_lt_u32_e32 14, v0
	s_cbranch_execz .LBB57_333
; %bb.332:
	s_clause 0x1
	buffer_load_dword v1, off, s[0:3], 0 offset:112
	buffer_load_dword v2, off, s[0:3], 0 offset:116
	v_mov_b32_e32 v3, 0
	buffer_store_dword v3, off, s[0:3], 0 offset:112
	buffer_store_dword v3, off, s[0:3], 0 offset:116
	s_waitcnt vmcnt(0)
	ds_write_b64 v129, v[1:2]
.LBB57_333:
	s_or_b32 exec_lo, exec_lo, s4
	s_waitcnt lgkmcnt(0)
	s_waitcnt_vscnt null, 0x0
	s_barrier
	buffer_gl0_inv
	s_clause 0x25
	buffer_load_dword v132, off, s[0:3], 0 offset:124
	buffer_load_dword v133, off, s[0:3], 0 offset:132
	;; [unrolled: 1-line block ×38, first 2 shown]
	v_mov_b32_e32 v130, 0
	ds_read2_b64 v[9:12], v130 offset0:73 offset1:74
	ds_read2_b64 v[1:4], v130 offset0:75 offset1:76
	s_clause 0x7
	buffer_load_dword v173, off, s[0:3], 0 offset:276
	buffer_load_dword v170, off, s[0:3], 0 offset:284
	;; [unrolled: 1-line block ×8, first 2 shown]
	ds_read2_b64 v[5:8], v130 offset0:77 offset1:78
	s_clause 0x9
	buffer_load_dword v168, off, s[0:3], 0 offset:308
	buffer_load_dword v155, off, s[0:3], 0 offset:312
	buffer_load_dword v184, off, s[0:3], 0 offset:316
	buffer_load_dword v185, off, s[0:3], 0 offset:320
	buffer_load_dword v186, off, s[0:3], 0 offset:324
	buffer_load_dword v187, off, s[0:3], 0 offset:332
	buffer_load_dword v188, off, s[0:3], 0 offset:328
	buffer_load_dword v189, off, s[0:3], 0 offset:304
	buffer_load_dword v190, off, s[0:3], 0 offset:340
	buffer_load_dword v179, off, s[0:3], 0 offset:116
	ds_read2_b64 v[180:183], v130 offset0:79 offset1:80
	s_mov_b32 s4, exec_lo
	s_waitcnt vmcnt(55) lgkmcnt(3)
	v_mul_f32_e32 v191, v9, v132
	v_mul_f32_e32 v132, v10, v132
	s_waitcnt vmcnt(54)
	v_mul_f32_e32 v192, v11, v133
	v_mul_f32_e32 v133, v12, v133
	s_waitcnt vmcnt(51)
	v_fmac_f32_e32 v191, v10, v138
	v_fma_f32 v138, v9, v138, -v132
	s_waitcnt vmcnt(50) lgkmcnt(2)
	v_mul_f32_e32 v193, v1, v137
	v_mul_f32_e32 v132, v2, v137
	v_fmac_f32_e32 v192, v12, v135
	v_fma_f32 v135, v11, v135, -v133
	ds_read2_b64 v[9:12], v130 offset0:81 offset1:82
	s_waitcnt vmcnt(49)
	v_mul_f32_e32 v137, v3, v136
	v_mul_f32_e32 v133, v4, v136
	v_fmac_f32_e32 v193, v2, v131
	v_fma_f32 v136, v1, v131, -v132
	s_waitcnt vmcnt(48) lgkmcnt(2)
	v_mul_f32_e32 v194, v5, v134
	v_mul_f32_e32 v131, v6, v134
	s_waitcnt vmcnt(44)
	v_fmac_f32_e32 v137, v4, v146
	v_fma_f32 v146, v3, v146, -v133
	ds_read2_b64 v[1:4], v130 offset0:83 offset1:84
	s_waitcnt vmcnt(43)
	v_mul_f32_e32 v195, v7, v144
	v_mul_f32_e32 v132, v8, v144
	v_fmac_f32_e32 v194, v6, v142
	v_fma_f32 v142, v5, v142, -v131
	s_waitcnt vmcnt(42) lgkmcnt(2)
	v_mul_f32_e32 v144, v180, v143
	v_fmac_f32_e32 v195, v8, v140
	v_fma_f32 v140, v7, v140, -v132
	ds_read2_b64 v[5:8], v130 offset0:85 offset1:86
	v_mul_f32_e32 v131, v181, v143
	s_waitcnt vmcnt(41)
	v_mul_f32_e32 v143, v182, v141
	v_mul_f32_e32 v132, v183, v141
	s_waitcnt vmcnt(40) lgkmcnt(2)
	v_mul_f32_e32 v141, v9, v145
	v_mul_f32_e32 v145, v10, v145
	v_fmac_f32_e32 v144, v181, v139
	v_fma_f32 v139, v180, v139, -v131
	s_waitcnt vmcnt(36)
	v_fmac_f32_e32 v143, v183, v154
	v_fma_f32 v154, v182, v154, -v132
	ds_read2_b64 v[131:134], v130 offset0:87 offset1:88
	s_waitcnt vmcnt(35)
	v_mul_f32_e32 v180, v11, v153
	v_mul_f32_e32 v153, v12, v153
	v_fmac_f32_e32 v141, v10, v150
	v_fma_f32 v145, v9, v150, -v145
	s_waitcnt vmcnt(34) lgkmcnt(2)
	v_mul_f32_e32 v150, v1, v151
	v_mul_f32_e32 v151, v2, v151
	v_fmac_f32_e32 v180, v12, v148
	v_fma_f32 v148, v11, v148, -v153
	ds_read2_b64 v[9:12], v130 offset0:89 offset1:90
	v_fmac_f32_e32 v150, v2, v147
	v_fma_f32 v147, v1, v147, -v151
	s_waitcnt vmcnt(32) lgkmcnt(2)
	v_mul_f32_e32 v151, v5, v152
	v_mul_f32_e32 v1, v6, v152
	;; [unrolled: 1-line block ×4, first 2 shown]
	s_waitcnt vmcnt(27)
	v_mul_f32_e32 v2, v8, v164
	v_fmac_f32_e32 v151, v6, v161
	v_add_f32_e32 v6, 0, v191
	v_fmac_f32_e32 v153, v4, v165
	v_fma_f32 v149, v3, v165, -v149
	v_mul_f32_e32 v165, v7, v164
	s_waitcnt vmcnt(26) lgkmcnt(1)
	v_mul_f32_e32 v152, v131, v163
	v_add_f32_e32 v6, v6, v192
	v_mul_f32_e32 v3, v132, v163
	s_waitcnt vmcnt(25)
	v_mul_f32_e32 v163, v133, v162
	v_mul_f32_e32 v4, v134, v162
	s_clause 0x6
	buffer_load_dword v162, off, s[0:3], 0 offset:348
	buffer_load_dword v164, off, s[0:3], 0 offset:360
	;; [unrolled: 1-line block ×7, first 2 shown]
	v_add_f32_e32 v6, v6, v193
	v_fma_f32 v161, v5, v161, -v1
	v_fmac_f32_e32 v152, v132, v158
	v_fma_f32 v131, v131, v158, -v3
	s_waitcnt vmcnt(27) lgkmcnt(0)
	v_mul_f32_e32 v158, v9, v177
	v_mul_f32_e32 v5, v10, v177
	v_add_f32_e32 v6, v6, v137
	v_fmac_f32_e32 v165, v8, v160
	v_fma_f32 v160, v7, v160, -v2
	v_fmac_f32_e32 v163, v134, v178
	v_fma_f32 v132, v133, v178, -v4
	buffer_load_dword v177, off, s[0:3], 0 offset:372
	s_waitcnt vmcnt(27)
	v_mul_f32_e32 v178, v11, v172
	v_fmac_f32_e32 v158, v10, v174
	v_fma_f32 v174, v9, v174, -v5
	v_add_f32_e32 v5, 0, v138
	v_mul_f32_e32 v7, v12, v172
	v_add_f32_e32 v6, v6, v194
	ds_read2_b64 v[1:4], v130 offset0:91 offset1:92
	s_clause 0x1
	buffer_load_dword v191, off, s[0:3], 0 offset:380
	buffer_load_dword v192, off, s[0:3], 0 offset:388
	v_add_f32_e32 v5, v5, v135
	buffer_load_dword v172, off, s[0:3], 0 offset:396
	v_fmac_f32_e32 v178, v12, v169
	v_fma_f32 v135, v11, v169, -v7
	s_clause 0x7
	buffer_load_dword v169, off, s[0:3], 0 offset:404
	buffer_load_dword v193, off, s[0:3], 0 offset:412
	;; [unrolled: 1-line block ×8, first 2 shown]
	v_add_f32_e32 v6, v6, v195
	s_clause 0x3
	buffer_load_dword v195, off, s[0:3], 0 offset:392
	buffer_load_dword v203, off, s[0:3], 0 offset:384
	;; [unrolled: 1-line block ×4, first 2 shown]
	v_add_f32_e32 v5, v5, v136
	s_clause 0x3
	buffer_load_dword v206, off, s[0:3], 0 offset:424
	buffer_load_dword v207, off, s[0:3], 0 offset:416
	;; [unrolled: 1-line block ×4, first 2 shown]
	v_add_f32_e32 v6, v6, v144
	v_add_f32_e32 v5, v5, v146
	;; [unrolled: 1-line block ×3, first 2 shown]
	s_waitcnt vmcnt(45) lgkmcnt(0)
	v_mul_f32_e32 v136, v1, v176
	v_add_f32_e32 v5, v5, v142
	v_mul_f32_e32 v7, v2, v176
	v_add_f32_e32 v6, v6, v141
	v_fmac_f32_e32 v136, v2, v156
	v_add_f32_e32 v5, v5, v140
	v_fma_f32 v137, v1, v156, -v7
	v_add_f32_e32 v6, v6, v180
	v_add_f32_e32 v5, v5, v139
	s_waitcnt vmcnt(44)
	v_mul_f32_e32 v139, v3, v173
	v_add_f32_e32 v6, v6, v150
	v_add_f32_e32 v5, v5, v154
	s_clause 0x4
	buffer_load_dword v154, off, s[0:3], 0 offset:456
	buffer_load_dword v180, off, s[0:3], 0 offset:448
	;; [unrolled: 1-line block ×5, first 2 shown]
	v_add_f32_e32 v1, v6, v153
	s_waitcnt vmcnt(42)
	v_fmac_f32_e32 v139, v4, v175
	v_add_f32_e32 v5, v5, v145
	v_add_f32_e32 v9, v1, v151
	v_mul_f32_e32 v1, v4, v173
	v_add_f32_e32 v5, v5, v148
	v_add_f32_e32 v133, v9, v165
	v_fma_f32 v140, v3, v175, -v1
	v_add_f32_e32 v5, v5, v147
	v_add_f32_e32 v133, v133, v152
	;; [unrolled: 1-line block ×3, first 2 shown]
	ds_read2_b64 v[5:8], v130 offset0:93 offset1:94
	v_add_f32_e32 v141, v133, v163
	v_add_f32_e32 v10, v2, v161
	ds_read2_b64 v[1:4], v130 offset0:95 offset1:96
	v_add_f32_e32 v134, v10, v160
	ds_read2_b64 v[9:12], v130 offset0:97 offset1:98
	v_add_f32_e32 v131, v134, v131
	s_waitcnt lgkmcnt(2)
	v_mul_f32_e32 v138, v6, v170
	v_mul_f32_e32 v143, v5, v170
	;; [unrolled: 1-line block ×3, first 2 shown]
	v_fma_f32 v144, v5, v171, -v138
	v_add_f32_e32 v5, v131, v132
	ds_read2_b64 v[131:134], v130 offset0:99 offset1:100
	v_fmac_f32_e32 v143, v6, v171
	v_add_f32_e32 v6, v141, v158
	s_waitcnt lgkmcnt(2)
	v_mul_f32_e32 v146, v1, v166
	v_add_f32_e32 v5, v5, v174
	v_mul_f32_e32 v141, v2, v166
	s_waitcnt vmcnt(39) lgkmcnt(1)
	v_mul_f32_e32 v150, v9, v184
	v_add_f32_e32 v6, v6, v178
	v_fmac_f32_e32 v146, v2, v157
	v_add_f32_e32 v5, v5, v135
	v_fma_f32 v148, v1, v157, -v141
	v_mul_f32_e32 v141, v10, v184
	v_add_f32_e32 v1, v6, v136
	v_mul_f32_e32 v138, v8, v167
	v_add_f32_e32 v2, v5, v137
	v_fmac_f32_e32 v150, v10, v155
	v_fma_f32 v152, v9, v155, -v141
	v_add_f32_e32 v10, v1, v139
	v_fma_f32 v147, v7, v159, -v138
	v_add_f32_e32 v9, v2, v140
	v_fmac_f32_e32 v145, v8, v159
	v_mul_f32_e32 v142, v4, v168
	v_add_f32_e32 v10, v10, v143
	s_waitcnt vmcnt(36) lgkmcnt(0)
	v_mul_f32_e32 v155, v131, v187
	v_add_f32_e32 v9, v9, v144
	v_mul_f32_e32 v144, v132, v187
	v_mul_f32_e32 v149, v3, v168
	v_add_f32_e32 v10, v10, v145
	s_waitcnt vmcnt(34)
	v_fma_f32 v151, v3, v189, -v142
	ds_read2_b64 v[5:8], v130 offset0:101 offset1:102
	ds_read2_b64 v[135:138], v130 offset0:103 offset1:104
	v_fma_f32 v159, v131, v188, -v144
	v_add_f32_e32 v131, v9, v147
	v_fmac_f32_e32 v149, v4, v189
	v_add_f32_e32 v160, v10, v146
	v_mul_f32_e32 v143, v12, v186
	v_mul_f32_e32 v153, v11, v186
	v_add_f32_e32 v161, v131, v148
	s_waitcnt vmcnt(33)
	v_mul_f32_e32 v157, v134, v190
	v_add_f32_e32 v149, v160, v149
	v_fma_f32 v158, v11, v185, -v143
	v_fmac_f32_e32 v153, v12, v185
	v_add_f32_e32 v151, v161, v151
	v_mul_f32_e32 v156, v133, v190
	v_add_f32_e32 v149, v149, v150
	v_fmac_f32_e32 v155, v132, v188
	ds_read2_b64 v[1:4], v130 offset0:105 offset1:106
	ds_read2_b64 v[139:142], v130 offset0:107 offset1:108
	v_add_f32_e32 v151, v151, v152
	ds_read2_b64 v[9:12], v130 offset0:109 offset1:110
	ds_read2_b64 v[143:146], v130 offset0:111 offset1:112
	v_add_f32_e32 v149, v149, v153
	v_add_f32_e32 v151, v151, v158
	;; [unrolled: 1-line block ×4, first 2 shown]
	s_waitcnt vmcnt(31) lgkmcnt(5)
	v_mul_f32_e32 v160, v5, v162
	v_mul_f32_e32 v162, v6, v162
	s_waitcnt vmcnt(27)
	v_fma_f32 v157, v133, v183, -v157
	v_fmac_f32_e32 v156, v134, v183
	s_waitcnt vmcnt(26)
	v_mul_f32_e32 v163, v8, v196
	v_fma_f32 v5, v5, v182, -v162
	v_mul_f32_e32 v161, v7, v196
	v_add_f32_e32 v151, v151, v157
	v_fmac_f32_e32 v160, v6, v182
	v_add_f32_e32 v149, v149, v156
	s_waitcnt vmcnt(25) lgkmcnt(4)
	v_mul_f32_e32 v162, v136, v197
	v_fma_f32 v7, v7, v181, -v163
	v_add_f32_e32 v5, v151, v5
	v_mul_f32_e32 v150, v135, v197
	v_fmac_f32_e32 v161, v8, v181
	v_add_f32_e32 v149, v149, v160
	s_waitcnt vmcnt(24)
	v_mul_f32_e32 v156, v138, v177
	v_fma_f32 v135, v135, v164, -v162
	v_add_f32_e32 v5, v5, v7
	v_mul_f32_e32 v152, v137, v177
	v_fmac_f32_e32 v150, v136, v164
	v_add_f32_e32 v7, v149, v161
	ds_read2_b64 v[131:134], v130 offset0:113 offset1:114
	ds_read_b64 v[147:148], v130 offset:920
	s_waitcnt vmcnt(23) lgkmcnt(5)
	v_mul_f32_e32 v6, v1, v191
	v_mul_f32_e32 v136, v2, v191
	v_add_f32_e32 v5, v5, v135
	v_add_f32_e32 v7, v7, v150
	s_waitcnt vmcnt(22)
	v_mul_f32_e32 v135, v4, v192
	v_mul_f32_e32 v153, v3, v192
	s_waitcnt vmcnt(21) lgkmcnt(4)
	v_mul_f32_e32 v158, v139, v172
	s_waitcnt vmcnt(20)
	v_mul_f32_e32 v8, v141, v169
	s_waitcnt vmcnt(19) lgkmcnt(3)
	v_mul_f32_e32 v163, v9, v193
	s_waitcnt vmcnt(10)
	v_fmac_f32_e32 v6, v2, v204
	s_waitcnt vmcnt(9)
	v_fma_f32 v137, v137, v205, -v156
	v_fmac_f32_e32 v152, v138, v205
	v_fma_f32 v1, v1, v204, -v136
	v_fma_f32 v3, v3, v203, -v135
	v_fmac_f32_e32 v153, v4, v203
	v_add_f32_e32 v2, v5, v137
	v_add_f32_e32 v5, v7, v152
	v_mul_f32_e32 v7, v140, v172
	v_mul_f32_e32 v4, v142, v169
	v_fmac_f32_e32 v158, v140, v195
	v_add_f32_e32 v1, v2, v1
	v_add_f32_e32 v2, v5, v6
	v_fma_f32 v5, v139, v195, -v7
	s_waitcnt vmcnt(5)
	v_fma_f32 v4, v141, v209, -v4
	v_fmac_f32_e32 v8, v142, v209
	v_add_f32_e32 v1, v1, v3
	v_add_f32_e32 v2, v2, v153
	v_mul_f32_e32 v3, v10, v193
	v_mul_f32_e32 v155, v11, v198
	v_fmac_f32_e32 v163, v10, v208
	v_add_f32_e32 v1, v1, v5
	v_add_f32_e32 v2, v2, v158
	v_mul_f32_e32 v5, v12, v198
	v_fma_f32 v3, v9, v208, -v3
	s_waitcnt lgkmcnt(2)
	v_mul_f32_e32 v159, v143, v199
	v_add_f32_e32 v1, v1, v4
	v_add_f32_e32 v2, v2, v8
	v_mul_f32_e32 v4, v144, v199
	v_fma_f32 v5, v11, v207, -v5
	v_fmac_f32_e32 v155, v12, v207
	v_add_f32_e32 v1, v1, v3
	v_add_f32_e32 v2, v2, v163
	v_mul_f32_e32 v3, v146, v200
	v_fma_f32 v4, v143, v206, -v4
	v_mul_f32_e32 v165, v145, v200
	v_add_f32_e32 v1, v1, v5
	v_fmac_f32_e32 v159, v144, v206
	v_add_f32_e32 v2, v2, v155
	s_waitcnt lgkmcnt(1)
	v_mul_f32_e32 v5, v132, v194
	s_waitcnt vmcnt(1)
	v_fma_f32 v3, v145, v211, -v3
	v_add_f32_e32 v1, v1, v4
	v_mul_f32_e32 v157, v131, v194
	v_fmac_f32_e32 v165, v146, v211
	v_add_f32_e32 v2, v2, v159
	v_mul_f32_e32 v4, v134, v201
	v_fma_f32 v5, v131, v210, -v5
	v_add_f32_e32 v1, v1, v3
	v_mul_f32_e32 v166, v133, v201
	v_fmac_f32_e32 v157, v132, v210
	v_add_f32_e32 v2, v2, v165
	s_waitcnt lgkmcnt(0)
	v_mul_f32_e32 v3, v148, v202
	v_fma_f32 v4, v133, v180, -v4
	v_add_f32_e32 v1, v1, v5
	v_mul_f32_e32 v151, v147, v202
	v_fmac_f32_e32 v166, v134, v180
	v_add_f32_e32 v2, v2, v157
	v_fma_f32 v3, v147, v154, -v3
	v_add_f32_e32 v1, v1, v4
	v_fmac_f32_e32 v151, v148, v154
	v_add_f32_e32 v2, v2, v166
	v_add_f32_e32 v1, v1, v3
	v_add_f32_e32 v2, v2, v151
	s_waitcnt vmcnt(0)
	v_sub_f32_e32 v1, v212, v1
	v_sub_f32_e32 v2, v179, v2
	buffer_store_dword v1, off, s[0:3], 0 offset:112
	buffer_store_dword v2, off, s[0:3], 0 offset:116
	v_cmpx_lt_u32_e32 13, v0
	s_cbranch_execz .LBB57_335
; %bb.334:
	s_clause 0x1
	buffer_load_dword v1, off, s[0:3], 0 offset:104
	buffer_load_dword v2, off, s[0:3], 0 offset:108
	buffer_store_dword v130, off, s[0:3], 0 offset:104
	buffer_store_dword v130, off, s[0:3], 0 offset:108
	s_waitcnt vmcnt(0)
	ds_write_b64 v129, v[1:2]
.LBB57_335:
	s_or_b32 exec_lo, exec_lo, s4
	s_waitcnt lgkmcnt(0)
	s_waitcnt_vscnt null, 0x0
	s_barrier
	buffer_gl0_inv
	s_clause 0x2b
	buffer_load_dword v153, off, s[0:3], 0 offset:116
	buffer_load_dword v154, off, s[0:3], 0 offset:124
	;; [unrolled: 1-line block ×44, first 2 shown]
	ds_read_b128 v[9:12], v130 offset:576
	s_clause 0x1
	buffer_load_dword v179, off, s[0:3], 0 offset:284
	buffer_load_dword v173, off, s[0:3], 0 offset:292
	ds_read_b128 v[5:8], v130 offset:592
	ds_read_b128 v[1:4], v130 offset:608
	s_clause 0x7
	buffer_load_dword v174, off, s[0:3], 0 offset:300
	buffer_load_dword v163, off, s[0:3], 0 offset:308
	;; [unrolled: 1-line block ×8, first 2 shown]
	ds_read_b128 v[180:183], v130 offset:624
	buffer_load_dword v191, off, s[0:3], 0 offset:108
	s_mov_b32 s4, exec_lo
	s_waitcnt vmcnt(54) lgkmcnt(3)
	v_mul_f32_e32 v189, v9, v153
	s_waitcnt vmcnt(53)
	v_mul_f32_e32 v190, v11, v154
	v_mul_f32_e32 v153, v10, v153
	;; [unrolled: 1-line block ×3, first 2 shown]
	s_waitcnt vmcnt(50)
	v_fmac_f32_e32 v189, v10, v137
	v_fmac_f32_e32 v190, v12, v136
	v_fma_f32 v137, v9, v137, -v153
	v_fma_f32 v136, v11, v136, -v154
	ds_read_b128 v[9:12], v130 offset:640
	s_waitcnt vmcnt(49) lgkmcnt(3)
	v_mul_f32_e32 v153, v5, v134
	v_mul_f32_e32 v134, v6, v134
	s_waitcnt vmcnt(48)
	v_mul_f32_e32 v154, v7, v133
	v_mul_f32_e32 v133, v8, v133
	s_waitcnt vmcnt(47) lgkmcnt(2)
	v_mul_f32_e32 v192, v1, v132
	v_fmac_f32_e32 v153, v6, v131
	v_fma_f32 v193, v5, v131, -v134
	s_waitcnt vmcnt(46)
	v_mul_f32_e32 v194, v3, v135
	v_mul_f32_e32 v131, v2, v132
	;; [unrolled: 1-line block ×3, first 2 shown]
	s_waitcnt vmcnt(42)
	v_fmac_f32_e32 v154, v8, v143
	v_fma_f32 v135, v7, v143, -v133
	ds_read_b128 v[5:8], v130 offset:656
	v_fmac_f32_e32 v192, v2, v142
	v_fmac_f32_e32 v194, v4, v140
	v_fma_f32 v142, v1, v142, -v131
	v_fma_f32 v140, v3, v140, -v132
	ds_read_b128 v[1:4], v130 offset:672
	s_waitcnt vmcnt(41) lgkmcnt(3)
	v_mul_f32_e32 v143, v180, v141
	v_mul_f32_e32 v131, v181, v141
	s_waitcnt vmcnt(40)
	v_mul_f32_e32 v141, v182, v139
	v_mul_f32_e32 v132, v183, v139
	s_waitcnt vmcnt(39) lgkmcnt(2)
	v_mul_f32_e32 v139, v9, v144
	v_fmac_f32_e32 v143, v181, v138
	v_fma_f32 v138, v180, v138, -v131
	s_waitcnt vmcnt(34)
	v_fmac_f32_e32 v141, v183, v151
	v_fma_f32 v151, v182, v151, -v132
	ds_read_b128 v[131:134], v130 offset:688
	v_mul_f32_e32 v180, v11, v145
	v_mul_f32_e32 v145, v12, v145
	;; [unrolled: 1-line block ×3, first 2 shown]
	v_fmac_f32_e32 v139, v10, v150
	s_waitcnt vmcnt(32) lgkmcnt(2)
	v_mul_f32_e32 v181, v7, v147
	v_fmac_f32_e32 v180, v12, v148
	v_fma_f32 v145, v11, v148, -v145
	v_mul_f32_e32 v148, v5, v149
	v_mul_f32_e32 v149, v6, v149
	;; [unrolled: 1-line block ×3, first 2 shown]
	v_fma_f32 v144, v9, v150, -v144
	ds_read_b128 v[9:12], v130 offset:704
	v_fmac_f32_e32 v148, v6, v146
	v_fma_f32 v146, v5, v146, -v149
	s_waitcnt vmcnt(31) lgkmcnt(2)
	v_mul_f32_e32 v149, v1, v152
	v_mul_f32_e32 v5, v2, v152
	buffer_load_dword v150, off, s[0:3], 0 offset:332
	s_waitcnt vmcnt(28)
	v_fmac_f32_e32 v181, v8, v167
	v_fma_f32 v147, v7, v167, -v147
	s_clause 0x3
	buffer_load_dword v152, off, s[0:3], 0 offset:352
	buffer_load_dword v167, off, s[0:3], 0 offset:344
	;; [unrolled: 1-line block ×4, first 2 shown]
	s_waitcnt vmcnt(31)
	v_mul_f32_e32 v195, v3, v166
	v_mul_f32_e32 v6, v4, v166
	v_fmac_f32_e32 v149, v2, v161
	v_fma_f32 v161, v1, v161, -v5
	s_waitcnt vmcnt(30) lgkmcnt(1)
	v_mul_f32_e32 v166, v131, v158
	s_waitcnt vmcnt(29)
	v_mul_f32_e32 v196, v133, v159
	v_mul_f32_e32 v1, v132, v158
	;; [unrolled: 1-line block ×3, first 2 shown]
	s_clause 0x2
	buffer_load_dword v158, off, s[0:3], 0 offset:340
	buffer_load_dword v159, off, s[0:3], 0 offset:348
	;; [unrolled: 1-line block ×3, first 2 shown]
	v_fmac_f32_e32 v195, v4, v157
	v_fma_f32 v157, v3, v157, -v6
	v_fmac_f32_e32 v166, v132, v155
	v_fma_f32 v131, v131, v155, -v1
	s_waitcnt vmcnt(28)
	v_fma_f32 v132, v133, v178, -v2
	ds_read_b128 v[1:4], v130 offset:720
	s_waitcnt vmcnt(27) lgkmcnt(1)
	v_mul_f32_e32 v5, v10, v176
	v_add_f32_e32 v6, 0, v189
	v_fmac_f32_e32 v196, v134, v178
	v_add_f32_e32 v7, 0, v137
	v_mul_f32_e32 v133, v9, v176
	v_fma_f32 v134, v9, v172, -v5
	v_add_f32_e32 v5, v6, v190
	s_waitcnt vmcnt(26)
	v_mul_f32_e32 v155, v11, v175
	v_add_f32_e32 v6, v7, v136
	v_mul_f32_e32 v8, v12, v175
	v_fmac_f32_e32 v133, v10, v172
	v_add_f32_e32 v5, v5, v153
	s_clause 0x3
	buffer_load_dword v172, off, s[0:3], 0 offset:364
	buffer_load_dword v175, off, s[0:3], 0 offset:372
	;; [unrolled: 1-line block ×4, first 2 shown]
	v_add_f32_e32 v6, v6, v193
	v_fmac_f32_e32 v155, v12, v170
	v_fma_f32 v136, v11, v170, -v8
	v_add_f32_e32 v5, v5, v154
	s_clause 0x3
	buffer_load_dword v153, off, s[0:3], 0 offset:396
	buffer_load_dword v170, off, s[0:3], 0 offset:404
	;; [unrolled: 1-line block ×4, first 2 shown]
	v_add_f32_e32 v6, v6, v135
	s_waitcnt vmcnt(33) lgkmcnt(0)
	v_mul_f32_e32 v135, v1, v168
	v_mul_f32_e32 v7, v2, v168
	v_add_f32_e32 v5, v5, v192
	s_clause 0x3
	buffer_load_dword v154, off, s[0:3], 0 offset:428
	buffer_load_dword v193, off, s[0:3], 0 offset:436
	;; [unrolled: 1-line block ×4, first 2 shown]
	v_add_f32_e32 v6, v6, v142
	buffer_load_dword v168, off, s[0:3], 0 offset:460
	v_fmac_f32_e32 v135, v2, v164
	v_fma_f32 v137, v1, v164, -v7
	v_add_f32_e32 v5, v5, v194
	s_clause 0x3
	buffer_load_dword v164, off, s[0:3], 0 offset:384
	buffer_load_dword v192, off, s[0:3], 0 offset:376
	;; [unrolled: 1-line block ×4, first 2 shown]
	v_add_f32_e32 v1, v6, v140
	v_add_f32_e32 v5, v5, v143
	;; [unrolled: 1-line block ×3, first 2 shown]
	s_waitcnt vmcnt(41)
	v_mul_f32_e32 v138, v3, v162
	v_mul_f32_e32 v1, v4, v162
	v_add_f32_e32 v5, v5, v141
	v_add_f32_e32 v6, v6, v151
	s_waitcnt vmcnt(37)
	v_fmac_f32_e32 v138, v4, v177
	v_fma_f32 v140, v3, v177, -v1
	ds_read_b128 v[1:4], v130 offset:736
	s_clause 0x3
	buffer_load_dword v151, off, s[0:3], 0 offset:416
	buffer_load_dword v162, off, s[0:3], 0 offset:408
	;; [unrolled: 1-line block ×4, first 2 shown]
	v_add_f32_e32 v6, v6, v144
	v_add_f32_e32 v5, v5, v139
	;; [unrolled: 1-line block ×4, first 2 shown]
	ds_read_b128 v[5:8], v130 offset:752
	v_add_f32_e32 v9, v9, v146
	v_add_f32_e32 v10, v10, v148
	s_waitcnt vmcnt(40) lgkmcnt(1)
	v_mul_f32_e32 v139, v1, v171
	v_mul_f32_e32 v11, v2, v171
	s_waitcnt vmcnt(39)
	v_mul_f32_e32 v143, v3, v179
	v_fmac_f32_e32 v139, v2, v169
	v_fma_f32 v141, v1, v169, -v11
	v_add_f32_e32 v1, v9, v147
	s_clause 0x3
	buffer_load_dword v147, off, s[0:3], 0 offset:448
	buffer_load_dword v148, off, s[0:3], 0 offset:440
	;; [unrolled: 1-line block ×4, first 2 shown]
	v_add_f32_e32 v2, v10, v181
	v_mul_f32_e32 v9, v4, v179
	v_fmac_f32_e32 v143, v4, v165
	v_add_f32_e32 v1, v1, v161
	buffer_load_dword v161, off, s[0:3], 0 offset:456
	v_add_f32_e32 v2, v2, v149
	buffer_load_dword v149, off, s[0:3], 0 offset:104
	v_fma_f32 v144, v3, v165, -v9
	v_add_f32_e32 v1, v1, v157
	s_waitcnt vmcnt(44) lgkmcnt(0)
	v_mul_f32_e32 v145, v5, v173
	v_add_f32_e32 v10, v2, v195
	s_waitcnt vmcnt(43)
	v_mul_f32_e32 v146, v7, v174
	v_mul_f32_e32 v157, v8, v174
	v_add_f32_e32 v131, v1, v131
	ds_read_b128 v[1:4], v130 offset:768
	v_add_f32_e32 v142, v10, v166
	ds_read_b128 v[9:12], v130 offset:784
	v_fmac_f32_e32 v145, v6, v156
	v_add_f32_e32 v131, v131, v132
	v_mul_f32_e32 v132, v6, v173
	v_add_f32_e32 v142, v142, v196
	s_waitcnt vmcnt(36)
	v_fmac_f32_e32 v146, v8, v188
	v_fma_f32 v157, v7, v188, -v157
	v_add_f32_e32 v165, v131, v134
	v_fma_f32 v156, v5, v156, -v132
	v_add_f32_e32 v142, v142, v133
	ds_read_b128 v[5:8], v130 offset:800
	ds_read_b128 v[131:134], v130 offset:816
	v_add_f32_e32 v136, v165, v136
	v_add_f32_e32 v142, v142, v155
	;; [unrolled: 1-line block ×3, first 2 shown]
	s_waitcnt lgkmcnt(3)
	v_mul_f32_e32 v165, v1, v163
	v_add_f32_e32 v135, v142, v135
	v_mul_f32_e32 v163, v2, v163
	v_mul_f32_e32 v155, v3, v160
	v_add_f32_e32 v140, v136, v140
	v_mul_f32_e32 v160, v4, v160
	v_add_f32_e32 v174, v135, v138
	v_fma_f32 v163, v1, v187, -v163
	v_fmac_f32_e32 v165, v2, v187
	v_add_f32_e32 v180, v140, v141
	s_waitcnt lgkmcnt(2)
	v_mul_f32_e32 v142, v10, v184
	v_add_f32_e32 v174, v174, v139
	v_fma_f32 v160, v3, v186, -v160
	v_mul_f32_e32 v166, v9, v184
	v_add_f32_e32 v144, v180, v144
	v_fmac_f32_e32 v155, v4, v186
	v_add_f32_e32 v143, v174, v143
	v_fma_f32 v179, v9, v185, -v142
	v_fmac_f32_e32 v166, v10, v185
	ds_read_b128 v[1:4], v130 offset:832
	ds_read_b128 v[135:138], v130 offset:848
	v_add_f32_e32 v143, v143, v145
	s_waitcnt vmcnt(34)
	v_mul_f32_e32 v173, v11, v150
	v_mul_f32_e32 v150, v12, v150
	s_waitcnt vmcnt(30)
	v_fmac_f32_e32 v173, v12, v183
	v_fma_f32 v150, v11, v183, -v150
	ds_read_b128 v[9:12], v130 offset:864
	ds_read_b128 v[139:142], v130 offset:880
	s_waitcnt vmcnt(29) lgkmcnt(5)
	v_mul_f32_e32 v180, v5, v158
	v_mul_f32_e32 v158, v6, v158
	s_waitcnt vmcnt(28)
	v_mul_f32_e32 v174, v7, v159
	v_mul_f32_e32 v159, v8, v159
	v_fmac_f32_e32 v180, v6, v182
	v_add_f32_e32 v6, v144, v156
	v_fma_f32 v156, v5, v182, -v158
	v_fma_f32 v158, v7, v167, -v159
	v_add_f32_e32 v159, v143, v146
	v_fmac_f32_e32 v174, v8, v167
	v_add_f32_e32 v157, v6, v157
	ds_read_b128 v[5:8], v130 offset:896
	ds_read_b128 v[143:146], v130 offset:912
	s_waitcnt vmcnt(27) lgkmcnt(6)
	v_mul_f32_e32 v130, v131, v197
	v_add_f32_e32 v159, v159, v165
	v_add_f32_e32 v157, v157, v163
	v_mul_f32_e32 v163, v132, v197
	s_waitcnt vmcnt(26)
	v_mul_f32_e32 v167, v134, v172
	v_add_f32_e32 v155, v159, v155
	v_mul_f32_e32 v165, v133, v172
	v_add_f32_e32 v157, v157, v160
	v_fma_f32 v131, v131, v152, -v163
	v_fmac_f32_e32 v130, v132, v152
	v_add_f32_e32 v155, v155, v166
	s_waitcnt vmcnt(25) lgkmcnt(5)
	v_mul_f32_e32 v160, v1, v175
	v_add_f32_e32 v157, v157, v179
	s_waitcnt vmcnt(24)
	v_mul_f32_e32 v159, v3, v176
	s_waitcnt vmcnt(23) lgkmcnt(4)
	v_mul_f32_e32 v172, v135, v178
	v_add_f32_e32 v155, v155, v173
	s_waitcnt vmcnt(22)
	v_mul_f32_e32 v179, v137, v153
	v_add_f32_e32 v150, v157, v150
	s_waitcnt vmcnt(21) lgkmcnt(3)
	v_mul_f32_e32 v166, v9, v170
	s_waitcnt vmcnt(20)
	v_mul_f32_e32 v181, v11, v189
	v_add_f32_e32 v155, v155, v180
	s_waitcnt vmcnt(12)
	v_fmac_f32_e32 v159, v4, v192
	v_add_f32_e32 v150, v150, v156
	s_waitcnt vmcnt(10)
	v_fma_f32 v133, v133, v200, -v167
	v_fmac_f32_e32 v165, v134, v200
	v_add_f32_e32 v152, v155, v174
	v_mul_f32_e32 v155, v2, v175
	v_add_f32_e32 v150, v150, v158
	v_mul_f32_e32 v134, v4, v176
	v_fmac_f32_e32 v160, v2, v194
	v_add_f32_e32 v130, v152, v130
	v_fma_f32 v1, v1, v194, -v155
	v_add_f32_e32 v131, v150, v131
	v_fma_f32 v3, v3, v192, -v134
	v_mul_f32_e32 v4, v138, v153
	v_add_f32_e32 v130, v130, v165
	v_fmac_f32_e32 v172, v136, v164
	v_add_f32_e32 v2, v131, v133
	v_mul_f32_e32 v131, v136, v178
	s_waitcnt vmcnt(6)
	v_fma_f32 v4, v137, v201, -v4
	v_fmac_f32_e32 v179, v138, v201
	v_fmac_f32_e32 v166, v10, v177
	v_add_f32_e32 v1, v2, v1
	v_add_f32_e32 v2, v130, v160
	v_fma_f32 v130, v135, v164, -v131
	s_waitcnt lgkmcnt(2)
	v_mul_f32_e32 v157, v139, v190
	v_fmac_f32_e32 v181, v12, v162
	v_add_f32_e32 v1, v1, v3
	v_add_f32_e32 v2, v2, v159
	v_mul_f32_e32 v3, v10, v170
	v_mul_f32_e32 v173, v141, v154
	v_fmac_f32_e32 v157, v140, v151
	v_add_f32_e32 v1, v1, v130
	v_add_f32_e32 v2, v2, v172
	v_mul_f32_e32 v130, v12, v189
	v_fma_f32 v3, v9, v177, -v3
	s_waitcnt lgkmcnt(1)
	v_mul_f32_e32 v182, v5, v193
	v_add_f32_e32 v1, v1, v4
	v_add_f32_e32 v2, v2, v179
	v_mul_f32_e32 v4, v140, v190
	v_fma_f32 v9, v11, v162, -v130
	v_mul_f32_e32 v156, v7, v198
	v_add_f32_e32 v1, v1, v3
	v_add_f32_e32 v2, v2, v166
	v_mul_f32_e32 v3, v142, v154
	v_fma_f32 v4, v139, v151, -v4
	s_waitcnt vmcnt(2)
	v_fmac_f32_e32 v173, v142, v171
	v_add_f32_e32 v1, v1, v9
	v_add_f32_e32 v2, v2, v181
	v_mul_f32_e32 v9, v6, v193
	v_fma_f32 v3, v141, v171, -v3
	v_fmac_f32_e32 v182, v6, v169
	v_add_f32_e32 v1, v1, v4
	v_add_f32_e32 v2, v2, v157
	v_mul_f32_e32 v4, v8, v198
	v_fma_f32 v5, v5, v169, -v9
	s_waitcnt lgkmcnt(0)
	v_mul_f32_e32 v180, v143, v199
	v_add_f32_e32 v1, v1, v3
	v_add_f32_e32 v2, v2, v173
	v_mul_f32_e32 v3, v144, v199
	v_fma_f32 v4, v7, v148, -v4
	v_fmac_f32_e32 v156, v8, v148
	v_add_f32_e32 v1, v1, v5
	v_add_f32_e32 v2, v2, v182
	v_mul_f32_e32 v5, v146, v168
	v_fma_f32 v3, v143, v147, -v3
	v_mul_f32_e32 v132, v145, v168
	v_add_f32_e32 v1, v1, v4
	v_fmac_f32_e32 v180, v144, v147
	v_add_f32_e32 v2, v2, v156
	s_waitcnt vmcnt(1)
	v_fma_f32 v4, v145, v161, -v5
	v_fmac_f32_e32 v132, v146, v161
	v_add_f32_e32 v1, v1, v3
	v_add_f32_e32 v2, v2, v180
	;; [unrolled: 1-line block ×4, first 2 shown]
	s_waitcnt vmcnt(0)
	v_sub_f32_e32 v1, v149, v1
	v_sub_f32_e32 v2, v191, v2
	buffer_store_dword v1, off, s[0:3], 0 offset:104
	buffer_store_dword v2, off, s[0:3], 0 offset:108
	v_cmpx_lt_u32_e32 12, v0
	s_cbranch_execz .LBB57_337
; %bb.336:
	s_clause 0x1
	buffer_load_dword v1, off, s[0:3], 0 offset:96
	buffer_load_dword v2, off, s[0:3], 0 offset:100
	v_mov_b32_e32 v3, 0
	buffer_store_dword v3, off, s[0:3], 0 offset:96
	buffer_store_dword v3, off, s[0:3], 0 offset:100
	s_waitcnt vmcnt(0)
	ds_write_b64 v129, v[1:2]
.LBB57_337:
	s_or_b32 exec_lo, exec_lo, s4
	s_waitcnt lgkmcnt(0)
	s_waitcnt_vscnt null, 0x0
	s_barrier
	buffer_gl0_inv
	s_clause 0x2b
	buffer_load_dword v132, off, s[0:3], 0 offset:108
	buffer_load_dword v133, off, s[0:3], 0 offset:116
	;; [unrolled: 1-line block ×44, first 2 shown]
	v_mov_b32_e32 v130, 0
	ds_read2_b64 v[9:12], v130 offset0:71 offset1:72
	ds_read2_b64 v[5:8], v130 offset0:73 offset1:74
	s_clause 0x1
	buffer_load_dword v179, off, s[0:3], 0 offset:276
	buffer_load_dword v174, off, s[0:3], 0 offset:284
	ds_read2_b64 v[1:4], v130 offset0:75 offset1:76
	s_clause 0x9
	buffer_load_dword v173, off, s[0:3], 0 offset:292
	buffer_load_dword v161, off, s[0:3], 0 offset:300
	;; [unrolled: 1-line block ×10, first 2 shown]
	ds_read2_b64 v[181:184], v130 offset0:77 offset1:78
	s_mov_b32 s4, exec_lo
	s_waitcnt vmcnt(55) lgkmcnt(3)
	v_mul_f32_e32 v191, v9, v132
	v_mul_f32_e32 v132, v10, v132
	s_waitcnt vmcnt(54)
	v_mul_f32_e32 v192, v11, v133
	v_mul_f32_e32 v133, v12, v133
	s_waitcnt vmcnt(51)
	v_fmac_f32_e32 v191, v10, v138
	v_fma_f32 v138, v9, v138, -v132
	s_waitcnt vmcnt(50) lgkmcnt(2)
	v_mul_f32_e32 v193, v5, v137
	v_mul_f32_e32 v132, v6, v137
	v_fmac_f32_e32 v192, v12, v134
	v_fma_f32 v137, v11, v134, -v133
	ds_read2_b64 v[9:12], v130 offset0:79 offset1:80
	s_waitcnt vmcnt(49)
	v_mul_f32_e32 v194, v7, v135
	v_mul_f32_e32 v133, v8, v135
	v_fmac_f32_e32 v193, v6, v131
	v_fma_f32 v135, v5, v131, -v132
	s_waitcnt vmcnt(48) lgkmcnt(2)
	v_mul_f32_e32 v195, v1, v136
	v_mul_f32_e32 v131, v2, v136
	s_waitcnt vmcnt(44)
	v_fmac_f32_e32 v194, v8, v145
	v_fma_f32 v136, v7, v145, -v133
	ds_read2_b64 v[5:8], v130 offset0:81 offset1:82
	s_waitcnt vmcnt(43)
	v_mul_f32_e32 v145, v3, v144
	v_mul_f32_e32 v132, v4, v144
	v_fmac_f32_e32 v195, v2, v142
	v_fma_f32 v142, v1, v142, -v131
	s_waitcnt vmcnt(42) lgkmcnt(2)
	v_mul_f32_e32 v144, v181, v143
	v_mul_f32_e32 v131, v182, v143
	v_fmac_f32_e32 v145, v4, v140
	v_fma_f32 v140, v3, v140, -v132
	ds_read2_b64 v[1:4], v130 offset0:83 offset1:84
	s_waitcnt vmcnt(41)
	v_mul_f32_e32 v143, v183, v141
	v_mul_f32_e32 v132, v184, v141
	v_fmac_f32_e32 v144, v182, v139
	v_fma_f32 v139, v181, v139, -v131
	s_waitcnt vmcnt(40) lgkmcnt(2)
	v_mul_f32_e32 v141, v9, v146
	s_waitcnt vmcnt(36)
	v_fmac_f32_e32 v143, v184, v153
	v_fma_f32 v153, v183, v153, -v132
	ds_read2_b64 v[131:134], v130 offset0:85 offset1:86
	v_mul_f32_e32 v146, v10, v146
	s_waitcnt vmcnt(35)
	v_mul_f32_e32 v181, v11, v152
	v_mul_f32_e32 v152, v12, v152
	v_fmac_f32_e32 v141, v10, v150
	v_fma_f32 v146, v9, v150, -v146
	s_waitcnt vmcnt(34) lgkmcnt(2)
	v_mul_f32_e32 v150, v5, v151
	v_mul_f32_e32 v151, v6, v151
	v_fmac_f32_e32 v181, v12, v148
	v_fma_f32 v148, v11, v148, -v152
	s_waitcnt vmcnt(33)
	v_mul_f32_e32 v152, v7, v149
	v_mul_f32_e32 v149, v8, v149
	v_fmac_f32_e32 v150, v6, v147
	v_fma_f32 v147, v5, v147, -v151
	s_waitcnt vmcnt(32) lgkmcnt(1)
	v_mul_f32_e32 v151, v1, v154
	v_mul_f32_e32 v5, v2, v154
	ds_read2_b64 v[9:12], v130 offset0:87 offset1:88
	s_waitcnt vmcnt(28)
	v_fmac_f32_e32 v152, v8, v167
	v_fma_f32 v149, v7, v167, -v149
	s_clause 0x3
	buffer_load_dword v154, off, s[0:3], 0 offset:344
	buffer_load_dword v167, off, s[0:3], 0 offset:336
	;; [unrolled: 1-line block ×4, first 2 shown]
	s_waitcnt vmcnt(31)
	v_mul_f32_e32 v184, v3, v165
	v_mul_f32_e32 v6, v4, v165
	v_fmac_f32_e32 v151, v2, v163
	v_fma_f32 v163, v1, v163, -v5
	s_waitcnt vmcnt(30) lgkmcnt(1)
	v_mul_f32_e32 v165, v131, v159
	s_waitcnt vmcnt(29)
	v_mul_f32_e32 v196, v133, v160
	v_mul_f32_e32 v1, v132, v159
	;; [unrolled: 1-line block ×3, first 2 shown]
	s_clause 0x2
	buffer_load_dword v159, off, s[0:3], 0 offset:332
	buffer_load_dword v160, off, s[0:3], 0 offset:340
	;; [unrolled: 1-line block ×3, first 2 shown]
	v_fmac_f32_e32 v184, v4, v157
	v_fma_f32 v157, v3, v157, -v6
	v_fmac_f32_e32 v165, v132, v156
	v_fma_f32 v131, v131, v156, -v1
	s_waitcnt vmcnt(28)
	v_fma_f32 v132, v133, v178, -v2
	ds_read2_b64 v[1:4], v130 offset0:89 offset1:90
	v_add_f32_e32 v5, 0, v191
	s_waitcnt vmcnt(27) lgkmcnt(1)
	v_mul_f32_e32 v6, v10, v175
	v_add_f32_e32 v8, 0, v138
	v_fmac_f32_e32 v196, v134, v178
	v_mul_f32_e32 v133, v9, v175
	v_add_f32_e32 v5, v5, v192
	v_fma_f32 v138, v9, v172, -v6
	v_add_f32_e32 v6, v8, v137
	s_waitcnt vmcnt(26)
	v_mul_f32_e32 v134, v11, v176
	v_mul_f32_e32 v7, v12, v176
	v_add_f32_e32 v5, v5, v193
	v_fmac_f32_e32 v133, v10, v172
	v_add_f32_e32 v6, v6, v135
	v_fmac_f32_e32 v134, v12, v171
	v_fma_f32 v156, v11, v171, -v7
	v_add_f32_e32 v5, v5, v194
	s_clause 0x7
	buffer_load_dword v171, off, s[0:3], 0 offset:356
	buffer_load_dword v172, off, s[0:3], 0 offset:364
	;; [unrolled: 1-line block ×8, first 2 shown]
	v_add_f32_e32 v6, v6, v136
	s_clause 0x1
	buffer_load_dword v194, off, s[0:3], 0 offset:388
	buffer_load_dword v198, off, s[0:3], 0 offset:396
	s_waitcnt vmcnt(35) lgkmcnt(0)
	v_mul_f32_e32 v135, v1, v168
	v_mul_f32_e32 v7, v2, v168
	v_add_f32_e32 v5, v5, v195
	s_waitcnt vmcnt(34)
	v_mul_f32_e32 v137, v3, v164
	s_clause 0x1
	buffer_load_dword v168, off, s[0:3], 0 offset:404
	buffer_load_dword v195, off, s[0:3], 0 offset:412
	v_fmac_f32_e32 v135, v2, v166
	v_fma_f32 v136, v1, v166, -v7
	v_add_f32_e32 v1, v6, v142
	v_add_f32_e32 v2, v5, v145
	s_clause 0x3
	buffer_load_dword v166, off, s[0:3], 0 offset:420
	buffer_load_dword v199, off, s[0:3], 0 offset:428
	;; [unrolled: 1-line block ×4, first 2 shown]
	s_waitcnt vmcnt(36)
	v_fmac_f32_e32 v137, v4, v177
	buffer_load_dword v202, off, s[0:3], 0 offset:452
	v_add_f32_e32 v1, v1, v140
	v_add_f32_e32 v5, v2, v144
	v_mul_f32_e32 v2, v4, v164
	buffer_load_dword v164, off, s[0:3], 0 offset:460
	v_add_f32_e32 v6, v1, v139
	v_add_f32_e32 v5, v5, v143
	v_fma_f32 v139, v3, v177, -v2
	ds_read2_b64 v[1:4], v130 offset0:91 offset1:92
	v_add_f32_e32 v6, v6, v153
	v_add_f32_e32 v5, v5, v141
	s_clause 0x3
	buffer_load_dword v153, off, s[0:3], 0 offset:408
	buffer_load_dword v177, off, s[0:3], 0 offset:400
	;; [unrolled: 1-line block ×4, first 2 shown]
	v_add_f32_e32 v6, v6, v146
	v_add_f32_e32 v5, v5, v181
	;; [unrolled: 1-line block ×4, first 2 shown]
	ds_read2_b64 v[5:8], v130 offset0:93 offset1:94
	v_add_f32_e32 v9, v9, v147
	v_add_f32_e32 v10, v10, v152
	s_waitcnt vmcnt(41) lgkmcnt(1)
	v_mul_f32_e32 v140, v1, v170
	v_mul_f32_e32 v11, v2, v170
	s_waitcnt vmcnt(40)
	v_mul_f32_e32 v142, v3, v179
	v_fmac_f32_e32 v140, v2, v169
	v_fma_f32 v141, v1, v169, -v11
	v_add_f32_e32 v1, v9, v149
	v_add_f32_e32 v2, v10, v151
	s_clause 0x3
	buffer_load_dword v149, off, s[0:3], 0 offset:440
	buffer_load_dword v150, off, s[0:3], 0 offset:432
	;; [unrolled: 1-line block ×4, first 2 shown]
	v_mul_f32_e32 v9, v4, v179
	v_fmac_f32_e32 v142, v4, v162
	v_add_f32_e32 v1, v1, v163
	s_clause 0x1
	buffer_load_dword v163, off, s[0:3], 0 offset:456
	buffer_load_dword v169, off, s[0:3], 0 offset:448
	v_add_f32_e32 v2, v2, v184
	s_waitcnt vmcnt(45) lgkmcnt(0)
	v_mul_f32_e32 v144, v5, v174
	s_waitcnt vmcnt(44)
	v_mul_f32_e32 v145, v7, v173
	v_add_f32_e32 v1, v1, v157
	buffer_load_dword v157, off, s[0:3], 0 offset:96
	v_add_f32_e32 v2, v2, v165
	v_fma_f32 v143, v3, v162, -v9
	v_fmac_f32_e32 v144, v6, v155
	v_add_f32_e32 v10, v1, v131
	s_waitcnt vmcnt(38)
	v_fmac_f32_e32 v145, v8, v189
	v_add_f32_e32 v131, v2, v196
	ds_read2_b64 v[1:4], v130 offset0:95 offset1:96
	v_add_f32_e32 v132, v10, v132
	ds_read2_b64 v[9:12], v130 offset0:97 offset1:98
	v_add_f32_e32 v131, v131, v133
	v_mul_f32_e32 v133, v6, v174
	v_add_f32_e32 v132, v132, v138
	v_mul_f32_e32 v138, v8, v173
	v_add_f32_e32 v147, v131, v134
	v_fma_f32 v146, v5, v155, -v133
	v_fma_f32 v148, v7, v189, -v138
	v_add_f32_e32 v138, v132, v156
	v_add_f32_e32 v135, v147, v135
	ds_read2_b64 v[5:8], v130 offset0:99 offset1:100
	ds_read2_b64 v[131:134], v130 offset0:101 offset1:102
	v_add_f32_e32 v136, v138, v136
	v_add_f32_e32 v135, v135, v137
	s_waitcnt lgkmcnt(3)
	v_mul_f32_e32 v155, v2, v161
	v_mul_f32_e32 v147, v1, v161
	;; [unrolled: 1-line block ×3, first 2 shown]
	v_add_f32_e32 v136, v136, v139
	v_add_f32_e32 v140, v135, v140
	v_fma_f32 v155, v1, v188, -v155
	v_mul_f32_e32 v156, v3, v158
	v_fmac_f32_e32 v147, v2, v188
	v_add_f32_e32 v141, v136, v141
	v_add_f32_e32 v173, v140, v142
	s_waitcnt lgkmcnt(2)
	v_mul_f32_e32 v139, v10, v186
	v_fma_f32 v162, v3, v187, -v138
	v_mul_f32_e32 v158, v9, v186
	v_add_f32_e32 v143, v141, v143
	v_add_f32_e32 v144, v173, v144
	v_fmac_f32_e32 v156, v4, v187
	s_waitcnt vmcnt(37)
	v_mul_f32_e32 v165, v12, v190
	v_fma_f32 v170, v9, v185, -v139
	v_add_f32_e32 v143, v143, v146
	v_mul_f32_e32 v161, v11, v190
	v_fmac_f32_e32 v158, v10, v185
	ds_read2_b64 v[1:4], v130 offset0:103 offset1:104
	ds_read2_b64 v[135:138], v130 offset0:105 offset1:106
	v_add_f32_e32 v143, v143, v148
	v_add_f32_e32 v155, v143, v155
	;; [unrolled: 1-line block ×4, first 2 shown]
	s_waitcnt vmcnt(32)
	v_fma_f32 v165, v11, v183, -v165
	v_fmac_f32_e32 v161, v12, v183
	ds_read2_b64 v[9:12], v130 offset0:107 offset1:108
	ds_read2_b64 v[139:142], v130 offset0:109 offset1:110
	v_add_f32_e32 v155, v155, v165
	s_waitcnt vmcnt(31) lgkmcnt(5)
	v_mul_f32_e32 v173, v5, v159
	s_waitcnt vmcnt(30)
	v_mul_f32_e32 v174, v7, v160
	v_mul_f32_e32 v146, v6, v159
	v_mul_f32_e32 v159, v8, v160
	s_waitcnt vmcnt(29) lgkmcnt(4)
	v_mul_f32_e32 v179, v132, v197
	v_fmac_f32_e32 v173, v6, v182
	v_add_f32_e32 v6, v144, v145
	v_fmac_f32_e32 v174, v8, v167
	v_fma_f32 v159, v7, v167, -v159
	v_fma_f32 v160, v5, v182, -v146
	v_add_f32_e32 v167, v6, v147
	ds_read2_b64 v[5:8], v130 offset0:111 offset1:112
	ds_read2_b64 v[143:146], v130 offset0:113 offset1:114
	ds_read_b64 v[147:148], v130 offset:920
	v_add_f32_e32 v155, v155, v160
	v_add_f32_e32 v156, v167, v156
	v_mul_f32_e32 v167, v131, v197
	v_fma_f32 v131, v131, v154, -v179
	s_waitcnt vmcnt(28)
	v_mul_f32_e32 v162, v133, v171
	v_mul_f32_e32 v171, v134, v171
	v_add_f32_e32 v156, v156, v158
	v_fmac_f32_e32 v167, v132, v154
	v_add_f32_e32 v155, v155, v159
	s_waitcnt vmcnt(27) lgkmcnt(6)
	v_mul_f32_e32 v158, v1, v172
	v_mul_f32_e32 v165, v2, v172
	v_add_f32_e32 v154, v156, v161
	s_waitcnt vmcnt(21)
	v_fma_f32 v133, v133, v193, -v171
	v_add_f32_e32 v131, v155, v131
	v_fmac_f32_e32 v162, v134, v193
	v_mul_f32_e32 v159, v4, v175
	v_add_f32_e32 v154, v154, v173
	v_fmac_f32_e32 v158, v2, v192
	v_fma_f32 v1, v1, v192, -v165
	v_add_f32_e32 v2, v131, v133
	v_mul_f32_e32 v170, v3, v175
	v_add_f32_e32 v154, v154, v174
	s_waitcnt lgkmcnt(5)
	v_mul_f32_e32 v133, v136, v176
	v_fma_f32 v3, v3, v191, -v159
	v_add_f32_e32 v1, v2, v1
	v_mul_f32_e32 v132, v135, v176
	v_add_f32_e32 v154, v154, v167
	v_fmac_f32_e32 v170, v4, v191
	s_waitcnt vmcnt(20)
	v_mul_f32_e32 v4, v138, v194
	v_add_f32_e32 v1, v1, v3
	v_mul_f32_e32 v156, v137, v194
	v_add_f32_e32 v131, v154, v162
	v_fmac_f32_e32 v132, v136, v178
	s_waitcnt vmcnt(19) lgkmcnt(4)
	v_mul_f32_e32 v3, v10, v198
	v_mul_f32_e32 v161, v9, v198
	s_waitcnt vmcnt(18)
	v_mul_f32_e32 v134, v11, v168
	v_add_f32_e32 v2, v131, v158
	v_fma_f32 v131, v135, v178, -v133
	s_waitcnt vmcnt(7)
	v_fma_f32 v4, v137, v204, -v4
	v_fmac_f32_e32 v156, v138, v204
	v_fma_f32 v3, v9, v203, -v3
	v_add_f32_e32 v2, v2, v170
	v_add_f32_e32 v1, v1, v131
	v_mul_f32_e32 v131, v12, v168
	v_fmac_f32_e32 v161, v10, v203
	s_waitcnt lgkmcnt(3)
	v_mul_f32_e32 v171, v139, v195
	v_add_f32_e32 v2, v2, v132
	v_add_f32_e32 v1, v1, v4
	v_mul_f32_e32 v4, v140, v195
	v_fma_f32 v9, v11, v177, -v131
	v_fmac_f32_e32 v134, v12, v177
	v_add_f32_e32 v2, v2, v156
	v_add_f32_e32 v1, v1, v3
	v_mul_f32_e32 v3, v142, v166
	v_fma_f32 v4, v139, v153, -v4
	v_mul_f32_e32 v160, v141, v166
	v_add_f32_e32 v2, v2, v161
	v_add_f32_e32 v1, v1, v9
	v_fmac_f32_e32 v171, v140, v153
	s_waitcnt lgkmcnt(2)
	v_mul_f32_e32 v9, v6, v199
	v_mul_f32_e32 v172, v5, v199
	v_add_f32_e32 v2, v2, v134
	s_waitcnt vmcnt(3)
	v_fma_f32 v3, v141, v152, -v3
	v_add_f32_e32 v1, v1, v4
	v_fmac_f32_e32 v160, v142, v152
	v_mul_f32_e32 v4, v8, v200
	v_add_f32_e32 v2, v2, v171
	v_fma_f32 v5, v5, v151, -v9
	v_add_f32_e32 v1, v1, v3
	v_mul_f32_e32 v173, v7, v200
	v_fmac_f32_e32 v172, v6, v151
	v_add_f32_e32 v2, v2, v160
	s_waitcnt lgkmcnt(1)
	v_mul_f32_e32 v3, v144, v201
	v_fma_f32 v4, v7, v150, -v4
	v_add_f32_e32 v1, v1, v5
	v_mul_f32_e32 v174, v143, v201
	v_fmac_f32_e32 v173, v8, v150
	v_add_f32_e32 v2, v2, v172
	v_mul_f32_e32 v5, v146, v202
	v_fma_f32 v3, v143, v149, -v3
	v_add_f32_e32 v1, v1, v4
	v_mul_f32_e32 v175, v145, v202
	v_fmac_f32_e32 v174, v144, v149
	v_add_f32_e32 v2, v2, v173
	s_waitcnt lgkmcnt(0)
	v_mul_f32_e32 v4, v148, v164
	s_waitcnt vmcnt(1)
	v_fma_f32 v5, v145, v169, -v5
	v_add_f32_e32 v1, v1, v3
	v_mul_f32_e32 v155, v147, v164
	v_fmac_f32_e32 v175, v146, v169
	v_add_f32_e32 v2, v2, v174
	v_fma_f32 v3, v147, v163, -v4
	v_add_f32_e32 v1, v1, v5
	v_fmac_f32_e32 v155, v148, v163
	v_add_f32_e32 v2, v2, v175
	v_add_f32_e32 v1, v1, v3
	;; [unrolled: 1-line block ×3, first 2 shown]
	s_waitcnt vmcnt(0)
	v_sub_f32_e32 v1, v157, v1
	v_sub_f32_e32 v2, v180, v2
	buffer_store_dword v1, off, s[0:3], 0 offset:96
	buffer_store_dword v2, off, s[0:3], 0 offset:100
	v_cmpx_lt_u32_e32 11, v0
	s_cbranch_execz .LBB57_339
; %bb.338:
	s_clause 0x1
	buffer_load_dword v1, off, s[0:3], 0 offset:88
	buffer_load_dword v2, off, s[0:3], 0 offset:92
	buffer_store_dword v130, off, s[0:3], 0 offset:88
	buffer_store_dword v130, off, s[0:3], 0 offset:92
	s_waitcnt vmcnt(0)
	ds_write_b64 v129, v[1:2]
.LBB57_339:
	s_or_b32 exec_lo, exec_lo, s4
	s_waitcnt lgkmcnt(0)
	s_waitcnt_vscnt null, 0x0
	s_barrier
	buffer_gl0_inv
	s_clause 0x2c
	buffer_load_dword v171, off, s[0:3], 0 offset:100
	buffer_load_dword v172, off, s[0:3], 0 offset:108
	;; [unrolled: 1-line block ×45, first 2 shown]
	ds_read_b128 v[5:8], v130 offset:560
	buffer_load_dword v165, off, s[0:3], 0 offset:276
	ds_read_b128 v[1:4], v130 offset:576
	ds_read_b128 v[181:184], v130 offset:592
	s_clause 0x7
	buffer_load_dword v179, off, s[0:3], 0 offset:284
	buffer_load_dword v177, off, s[0:3], 0 offset:292
	;; [unrolled: 1-line block ×8, first 2 shown]
	ds_read_b128 v[185:188], v130 offset:608
	s_mov_b32 s4, exec_lo
	s_waitcnt vmcnt(53) lgkmcnt(3)
	v_mul_f32_e32 v189, v5, v171
	s_waitcnt vmcnt(52)
	v_mul_f32_e32 v190, v7, v172
	v_mul_f32_e32 v191, v6, v171
	;; [unrolled: 1-line block ×3, first 2 shown]
	buffer_load_dword v171, off, s[0:3], 0 offset:92
	s_waitcnt vmcnt(50)
	v_fmac_f32_e32 v189, v6, v133
	v_fmac_f32_e32 v190, v8, v132
	v_fma_f32 v191, v5, v133, -v191
	v_fma_f32 v172, v7, v132, -v172
	ds_read_b128 v[5:8], v130 offset:624
	s_waitcnt vmcnt(49) lgkmcnt(3)
	v_mul_f32_e32 v192, v1, v12
	v_mul_f32_e32 v12, v2, v12
	s_waitcnt vmcnt(48)
	v_mul_f32_e32 v193, v3, v11
	v_mul_f32_e32 v11, v4, v11
	s_waitcnt vmcnt(47) lgkmcnt(2)
	v_mul_f32_e32 v194, v181, v10
	v_fmac_f32_e32 v192, v2, v9
	v_fma_f32 v195, v1, v9, -v12
	s_waitcnt vmcnt(46)
	v_mul_f32_e32 v196, v183, v131
	v_mul_f32_e32 v9, v182, v10
	;; [unrolled: 1-line block ×3, first 2 shown]
	s_waitcnt vmcnt(42)
	v_fmac_f32_e32 v193, v4, v139
	v_fma_f32 v139, v3, v139, -v11
	ds_read_b128 v[1:4], v130 offset:640
	v_fmac_f32_e32 v194, v182, v138
	v_fmac_f32_e32 v196, v184, v136
	v_fma_f32 v138, v181, v138, -v9
	v_fma_f32 v136, v183, v136, -v10
	ds_read_b128 v[9:12], v130 offset:656
	s_waitcnt vmcnt(41) lgkmcnt(3)
	v_mul_f32_e32 v181, v185, v137
	v_mul_f32_e32 v131, v186, v137
	s_waitcnt vmcnt(40)
	v_mul_f32_e32 v137, v187, v135
	v_mul_f32_e32 v132, v188, v135
	s_waitcnt vmcnt(39) lgkmcnt(2)
	v_mul_f32_e32 v135, v5, v140
	v_fmac_f32_e32 v181, v186, v134
	v_fma_f32 v182, v185, v134, -v131
	s_waitcnt vmcnt(34)
	v_fmac_f32_e32 v137, v188, v147
	v_fma_f32 v147, v187, v147, -v132
	ds_read_b128 v[131:134], v130 offset:672
	v_mul_f32_e32 v183, v7, v141
	v_mul_f32_e32 v140, v6, v140
	;; [unrolled: 1-line block ×3, first 2 shown]
	v_fmac_f32_e32 v135, v6, v146
	v_fmac_f32_e32 v183, v8, v144
	v_fma_f32 v140, v5, v146, -v140
	v_fma_f32 v141, v7, v144, -v141
	ds_read_b128 v[5:8], v130 offset:688
	s_waitcnt vmcnt(33) lgkmcnt(3)
	v_mul_f32_e32 v144, v1, v145
	v_mul_f32_e32 v145, v2, v145
	s_waitcnt vmcnt(32)
	v_mul_f32_e32 v146, v3, v143
	v_mul_f32_e32 v143, v4, v143
	s_waitcnt vmcnt(31) lgkmcnt(2)
	v_mul_f32_e32 v184, v9, v148
	v_fmac_f32_e32 v144, v2, v142
	v_fma_f32 v142, v1, v142, -v145
	s_waitcnt vmcnt(30)
	v_mul_f32_e32 v145, v11, v149
	v_mul_f32_e32 v149, v12, v149
	s_waitcnt vmcnt(26)
	v_fmac_f32_e32 v146, v4, v156
	v_fma_f32 v143, v3, v156, -v143
	ds_read_b128 v[1:4], v130 offset:704
	v_mul_f32_e32 v148, v10, v148
	v_fmac_f32_e32 v145, v12, v153
	v_fma_f32 v149, v11, v153, -v149
	s_waitcnt vmcnt(25) lgkmcnt(2)
	v_mul_f32_e32 v153, v131, v151
	v_mul_f32_e32 v151, v132, v151
	v_fmac_f32_e32 v184, v10, v155
	v_fma_f32 v148, v9, v155, -v148
	ds_read_b128 v[9:12], v130 offset:720
	v_fmac_f32_e32 v153, v132, v150
	v_fma_f32 v131, v131, v150, -v151
	s_clause 0x1
	buffer_load_dword v150, off, s[0:3], 0 offset:316
	buffer_load_dword v151, off, s[0:3], 0 offset:324
	s_waitcnt vmcnt(26)
	v_mul_f32_e32 v155, v133, v152
	v_mul_f32_e32 v152, v134, v152
	s_waitcnt vmcnt(25) lgkmcnt(2)
	v_mul_f32_e32 v156, v5, v157
	v_mul_f32_e32 v157, v6, v157
	s_waitcnt vmcnt(21)
	v_fmac_f32_e32 v155, v134, v164
	v_fma_f32 v132, v133, v164, -v152
	s_waitcnt vmcnt(20)
	v_mul_f32_e32 v133, v7, v163
	v_mul_f32_e32 v134, v8, v163
	v_fmac_f32_e32 v156, v6, v162
	v_fma_f32 v152, v5, v162, -v157
	s_clause 0x3
	buffer_load_dword v157, off, s[0:3], 0 offset:336
	buffer_load_dword v162, off, s[0:3], 0 offset:328
	;; [unrolled: 1-line block ×4, first 2 shown]
	v_fmac_f32_e32 v133, v8, v159
	v_fma_f32 v134, v7, v159, -v134
	s_waitcnt vmcnt(23) lgkmcnt(1)
	v_mul_f32_e32 v159, v1, v160
	s_waitcnt vmcnt(22)
	v_mul_f32_e32 v185, v3, v161
	v_mul_f32_e32 v5, v2, v160
	;; [unrolled: 1-line block ×3, first 2 shown]
	s_clause 0x1
	buffer_load_dword v160, off, s[0:3], 0 offset:332
	buffer_load_dword v161, off, s[0:3], 0 offset:340
	s_waitcnt vmcnt(18) lgkmcnt(0)
	v_mul_f32_e32 v188, v11, v169
	v_fmac_f32_e32 v185, v4, v170
	v_fmac_f32_e32 v159, v2, v158
	v_fma_f32 v170, v3, v170, -v6
	v_mul_f32_e32 v6, v12, v169
	v_fma_f32 v158, v1, v158, -v5
	v_mul_f32_e32 v187, v9, v168
	v_mul_f32_e32 v5, v10, v168
	v_fmac_f32_e32 v188, v12, v166
	v_fma_f32 v166, v11, v166, -v6
	v_add_f32_e32 v6, 0, v191
	v_fmac_f32_e32 v187, v10, v167
	v_fma_f32 v167, v9, v167, -v5
	v_add_f32_e32 v5, 0, v189
	buffer_load_dword v186, off, s[0:3], 0 offset:348
	v_add_f32_e32 v6, v6, v172
	ds_read_b128 v[1:4], v130 offset:736
	s_clause 0x3
	buffer_load_dword v168, off, s[0:3], 0 offset:368
	buffer_load_dword v169, off, s[0:3], 0 offset:360
	;; [unrolled: 1-line block ×4, first 2 shown]
	v_add_f32_e32 v5, v5, v190
	s_clause 0x2
	buffer_load_dword v190, off, s[0:3], 0 offset:356
	buffer_load_dword v172, off, s[0:3], 0 offset:364
	;; [unrolled: 1-line block ×3, first 2 shown]
	v_add_f32_e32 v6, v6, v195
	v_add_f32_e32 v5, v5, v192
	;; [unrolled: 1-line block ×4, first 2 shown]
	s_clause 0x2
	buffer_load_dword v192, off, s[0:3], 0 offset:380
	buffer_load_dword v193, off, s[0:3], 0 offset:388
	;; [unrolled: 1-line block ×3, first 2 shown]
	v_add_f32_e32 v6, v6, v138
	v_add_f32_e32 v5, v5, v194
	s_clause 0x2
	buffer_load_dword v194, off, s[0:3], 0 offset:404
	buffer_load_dword v198, off, s[0:3], 0 offset:412
	buffer_load_dword v199, off, s[0:3], 0 offset:420
	s_waitcnt vmcnt(31) lgkmcnt(0)
	v_mul_f32_e32 v139, v1, v165
	v_add_f32_e32 v6, v6, v136
	v_add_f32_e32 v5, v5, v196
	s_clause 0x2
	buffer_load_dword v196, off, s[0:3], 0 offset:428
	buffer_load_dword v200, off, s[0:3], 0 offset:436
	buffer_load_dword v201, off, s[0:3], 0 offset:444
	v_mul_f32_e32 v7, v2, v165
	v_add_f32_e32 v6, v6, v182
	v_add_f32_e32 v5, v5, v181
	s_clause 0x1
	buffer_load_dword v181, off, s[0:3], 0 offset:452
	buffer_load_dword v182, off, s[0:3], 0 offset:460
	v_fmac_f32_e32 v139, v2, v154
	v_add_f32_e32 v6, v6, v147
	s_clause 0x3
	buffer_load_dword v147, off, s[0:3], 0 offset:400
	buffer_load_dword v202, off, s[0:3], 0 offset:392
	;; [unrolled: 1-line block ×4, first 2 shown]
	v_add_f32_e32 v5, v5, v137
	v_add_f32_e32 v6, v6, v140
	v_fma_f32 v140, v1, v154, -v7
	v_add_f32_e32 v5, v5, v135
	v_add_f32_e32 v6, v6, v141
	;; [unrolled: 1-line block ×3, first 2 shown]
	s_clause 0x3
	buffer_load_dword v183, off, s[0:3], 0 offset:432
	buffer_load_dword v205, off, s[0:3], 0 offset:424
	;; [unrolled: 1-line block ×4, first 2 shown]
	v_add_f32_e32 v6, v6, v142
	v_add_f32_e32 v5, v5, v144
	v_add_f32_e32 v6, v6, v143
	s_waitcnt vmcnt(43)
	v_mul_f32_e32 v143, v3, v179
	v_add_f32_e32 v5, v5, v146
	v_add_f32_e32 v6, v6, v148
	s_waitcnt vmcnt(36)
	v_fmac_f32_e32 v143, v4, v180
	v_add_f32_e32 v5, v5, v184
	s_clause 0x3
	buffer_load_dword v184, off, s[0:3], 0 offset:456
	buffer_load_dword v208, off, s[0:3], 0 offset:448
	;; [unrolled: 1-line block ×4, first 2 shown]
	v_add_f32_e32 v6, v6, v149
	v_add_f32_e32 v5, v5, v145
	;; [unrolled: 1-line block ×4, first 2 shown]
	ds_read_b128 v[5:8], v130 offset:752
	v_add_f32_e32 v9, v1, v132
	v_mul_f32_e32 v1, v4, v179
	v_add_f32_e32 v10, v2, v155
	v_add_f32_e32 v131, v9, v152
	v_fma_f32 v144, v3, v180, -v1
	ds_read_b128 v[1:4], v130 offset:768
	v_add_f32_e32 v132, v10, v156
	ds_read_b128 v[9:12], v130 offset:784
	v_add_f32_e32 v131, v131, v134
	v_add_f32_e32 v132, v132, v133
	;; [unrolled: 1-line block ×3, first 2 shown]
	s_waitcnt lgkmcnt(2)
	v_mul_f32_e32 v134, v6, v177
	v_mul_f32_e32 v145, v5, v177
	;; [unrolled: 1-line block ×3, first 2 shown]
	v_fma_f32 v146, v5, v178, -v134
	v_add_f32_e32 v5, v132, v159
	v_fmac_f32_e32 v145, v6, v178
	v_add_f32_e32 v6, v135, v170
	ds_read_b128 v[131:134], v130 offset:800
	s_waitcnt lgkmcnt(2)
	v_mul_f32_e32 v136, v2, v175
	v_add_f32_e32 v5, v5, v185
	v_mul_f32_e32 v152, v1, v175
	v_add_f32_e32 v6, v6, v167
	v_mul_f32_e32 v135, v8, v176
	v_fma_f32 v155, v1, v173, -v136
	v_add_f32_e32 v5, v5, v187
	v_fmac_f32_e32 v152, v2, v173
	v_add_f32_e32 v1, v6, v166
	v_fma_f32 v154, v7, v174, -v135
	v_fmac_f32_e32 v149, v8, v174
	v_add_f32_e32 v2, v5, v188
	ds_read_b128 v[5:8], v130 offset:816
	ds_read_b128 v[135:138], v130 offset:832
	s_waitcnt vmcnt(38)
	v_mul_f32_e32 v153, v3, v150
	v_mul_f32_e32 v141, v4, v150
	s_waitcnt vmcnt(37) lgkmcnt(3)
	v_mul_f32_e32 v150, v9, v151
	v_mul_f32_e32 v142, v10, v151
	s_waitcnt vmcnt(34)
	v_fmac_f32_e32 v150, v10, v163
	v_add_f32_e32 v10, v1, v140
	v_fma_f32 v156, v9, v163, -v142
	v_add_f32_e32 v9, v2, v139
	s_waitcnt vmcnt(33)
	v_fma_f32 v151, v3, v164, -v141
	v_fmac_f32_e32 v153, v4, v164
	v_add_f32_e32 v10, v10, v144
	s_waitcnt vmcnt(32)
	v_mul_f32_e32 v158, v11, v160
	v_add_f32_e32 v9, v9, v143
	s_waitcnt vmcnt(31) lgkmcnt(2)
	v_mul_f32_e32 v159, v131, v161
	v_mul_f32_e32 v143, v132, v161
	v_add_f32_e32 v10, v10, v146
	v_mul_f32_e32 v144, v12, v160
	v_fmac_f32_e32 v158, v12, v162
	v_fmac_f32_e32 v159, v132, v157
	v_fma_f32 v157, v131, v157, -v143
	v_add_f32_e32 v131, v9, v145
	v_add_f32_e32 v154, v10, v154
	v_fma_f32 v162, v11, v162, -v144
	ds_read_b128 v[1:4], v130 offset:848
	ds_read_b128 v[139:142], v130 offset:864
	;; [unrolled: 1-line block ×4, first 2 shown]
	v_add_f32_e32 v149, v131, v149
	v_add_f32_e32 v154, v154, v155
	s_waitcnt vmcnt(30)
	v_mul_f32_e32 v160, v133, v186
	v_mul_f32_e32 v161, v134, v186
	v_add_f32_e32 v149, v149, v152
	v_add_f32_e32 v151, v154, v151
	s_waitcnt vmcnt(26)
	v_fmac_f32_e32 v160, v134, v197
	v_fma_f32 v134, v133, v197, -v161
	s_waitcnt vmcnt(25) lgkmcnt(5)
	v_mul_f32_e32 v155, v6, v190
	v_add_f32_e32 v149, v149, v153
	v_add_f32_e32 v151, v151, v156
	v_mul_f32_e32 v161, v5, v190
	s_waitcnt vmcnt(24)
	v_mul_f32_e32 v163, v8, v172
	v_fma_f32 v5, v5, v189, -v155
	v_add_f32_e32 v149, v149, v150
	v_add_f32_e32 v151, v151, v162
	v_mul_f32_e32 v152, v7, v172
	v_fmac_f32_e32 v161, v6, v189
	v_fma_f32 v7, v7, v169, -v163
	v_add_f32_e32 v149, v149, v158
	v_add_f32_e32 v151, v151, v157
	s_waitcnt vmcnt(23) lgkmcnt(4)
	v_mul_f32_e32 v154, v135, v191
	v_fmac_f32_e32 v152, v8, v169
	s_waitcnt vmcnt(22)
	v_mul_f32_e32 v153, v137, v192
	v_add_f32_e32 v149, v149, v159
	v_add_f32_e32 v134, v151, v134
	v_mul_f32_e32 v151, v136, v191
	v_fmac_f32_e32 v154, v136, v168
	s_waitcnt vmcnt(21) lgkmcnt(3)
	v_mul_f32_e32 v164, v1, v193
	v_add_f32_e32 v149, v149, v160
	v_add_f32_e32 v5, v134, v5
	v_mul_f32_e32 v134, v138, v192
	v_fma_f32 v135, v135, v168, -v151
	s_waitcnt vmcnt(20)
	v_mul_f32_e32 v156, v3, v195
	v_add_f32_e32 v8, v149, v161
	v_add_f32_e32 v5, v5, v7
	s_waitcnt vmcnt(8)
	v_fma_f32 v134, v137, v204, -v134
	v_fmac_f32_e32 v153, v138, v204
	v_fmac_f32_e32 v164, v2, v203
	v_add_f32_e32 v7, v8, v152
	v_mul_f32_e32 v8, v2, v193
	v_add_f32_e32 v5, v5, v135
	v_mul_f32_e32 v135, v4, v195
	s_waitcnt lgkmcnt(2)
	v_mul_f32_e32 v150, v139, v194
	v_add_f32_e32 v7, v7, v154
	v_fma_f32 v1, v1, v203, -v8
	v_add_f32_e32 v2, v5, v134
	v_fma_f32 v3, v3, v202, -v135
	v_fmac_f32_e32 v156, v4, v202
	v_add_f32_e32 v5, v7, v153
	v_mul_f32_e32 v7, v140, v194
	v_add_f32_e32 v1, v2, v1
	v_mul_f32_e32 v4, v142, v198
	v_mul_f32_e32 v165, v141, v198
	v_add_f32_e32 v2, v5, v164
	v_fma_f32 v5, v139, v147, -v7
	v_add_f32_e32 v1, v1, v3
	v_fmac_f32_e32 v150, v140, v147
	ds_read_b128 v[130:133], v130 offset:912
	v_add_f32_e32 v2, v2, v156
	s_waitcnt lgkmcnt(2)
	v_mul_f32_e32 v3, v10, v199
	s_waitcnt vmcnt(4)
	v_fma_f32 v4, v141, v207, -v4
	v_add_f32_e32 v1, v1, v5
	v_mul_f32_e32 v162, v9, v199
	v_fmac_f32_e32 v165, v142, v207
	v_add_f32_e32 v2, v2, v150
	v_mul_f32_e32 v5, v12, v196
	v_fma_f32 v3, v9, v206, -v3
	v_add_f32_e32 v1, v1, v4
	v_mul_f32_e32 v158, v11, v196
	v_fmac_f32_e32 v162, v10, v206
	v_add_f32_e32 v2, v2, v165
	s_waitcnt lgkmcnt(1)
	v_mul_f32_e32 v4, v144, v200
	v_fma_f32 v5, v11, v205, -v5
	v_add_f32_e32 v1, v1, v3
	v_mul_f32_e32 v166, v143, v200
	v_fmac_f32_e32 v158, v12, v205
	v_add_f32_e32 v2, v2, v162
	v_mul_f32_e32 v3, v146, v201
	v_fma_f32 v4, v143, v183, -v4
	v_add_f32_e32 v1, v1, v5
	v_mul_f32_e32 v157, v145, v201
	v_fmac_f32_e32 v166, v144, v183
	v_add_f32_e32 v2, v2, v158
	s_waitcnt lgkmcnt(0)
	v_mul_f32_e32 v5, v131, v181
	s_waitcnt vmcnt(1)
	v_fma_f32 v3, v145, v209, -v3
	v_add_f32_e32 v1, v1, v4
	v_mul_f32_e32 v159, v130, v181
	v_fmac_f32_e32 v157, v146, v209
	v_add_f32_e32 v2, v2, v166
	v_mul_f32_e32 v4, v133, v182
	v_fma_f32 v5, v130, v208, -v5
	v_add_f32_e32 v1, v1, v3
	v_mul_f32_e32 v6, v132, v182
	v_fmac_f32_e32 v159, v131, v208
	v_add_f32_e32 v2, v2, v157
	v_fma_f32 v3, v132, v184, -v4
	v_add_f32_e32 v1, v1, v5
	v_fmac_f32_e32 v6, v133, v184
	v_add_f32_e32 v2, v2, v159
	v_add_f32_e32 v1, v1, v3
	;; [unrolled: 1-line block ×3, first 2 shown]
	s_waitcnt vmcnt(0)
	v_sub_f32_e32 v1, v148, v1
	v_sub_f32_e32 v2, v171, v2
	buffer_store_dword v1, off, s[0:3], 0 offset:88
	buffer_store_dword v2, off, s[0:3], 0 offset:92
	v_cmpx_lt_u32_e32 10, v0
	s_cbranch_execz .LBB57_341
; %bb.340:
	s_clause 0x1
	buffer_load_dword v1, off, s[0:3], 0 offset:80
	buffer_load_dword v2, off, s[0:3], 0 offset:84
	v_mov_b32_e32 v3, 0
	buffer_store_dword v3, off, s[0:3], 0 offset:80
	buffer_store_dword v3, off, s[0:3], 0 offset:84
	s_waitcnt vmcnt(0)
	ds_write_b64 v129, v[1:2]
.LBB57_341:
	s_or_b32 exec_lo, exec_lo, s4
	s_waitcnt lgkmcnt(0)
	s_waitcnt_vscnt null, 0x0
	s_barrier
	buffer_gl0_inv
	s_clause 0x2c
	buffer_load_dword v11, off, s[0:3], 0 offset:92
	buffer_load_dword v12, off, s[0:3], 0 offset:100
	;; [unrolled: 1-line block ×45, first 2 shown]
	v_mov_b32_e32 v9, 0
	ds_read2_b64 v[5:8], v9 offset0:69 offset1:70
	ds_read2_b64 v[1:4], v9 offset0:71 offset1:72
	s_clause 0x9
	buffer_load_dword v178, off, s[0:3], 0 offset:268
	buffer_load_dword v175, off, s[0:3], 0 offset:276
	buffer_load_dword v171, off, s[0:3], 0 offset:284
	buffer_load_dword v167, off, s[0:3], 0 offset:292
	buffer_load_dword v165, off, s[0:3], 0 offset:300
	buffer_load_dword v156, off, s[0:3], 0 offset:296
	buffer_load_dword v159, off, s[0:3], 0 offset:288
	buffer_load_dword v172, off, s[0:3], 0 offset:280
	buffer_load_dword v177, off, s[0:3], 0 offset:272
	buffer_load_dword v181, off, s[0:3], 0 offset:84
	ds_read2_b64 v[182:185], v9 offset0:73 offset1:74
	ds_read2_b64 v[186:189], v9 offset0:75 offset1:76
	s_mov_b32 s4, exec_lo
	s_waitcnt vmcnt(54) lgkmcnt(3)
	v_mul_f32_e32 v190, v5, v11
	v_mul_f32_e32 v11, v6, v11
	s_waitcnt vmcnt(53)
	v_mul_f32_e32 v191, v7, v12
	v_mul_f32_e32 v12, v8, v12
	s_waitcnt vmcnt(52) lgkmcnt(2)
	v_mul_f32_e32 v192, v1, v130
	s_waitcnt vmcnt(49)
	v_fmac_f32_e32 v190, v6, v133
	v_fma_f32 v11, v5, v133, -v11
	s_waitcnt vmcnt(48)
	v_mul_f32_e32 v193, v3, v132
	v_mul_f32_e32 v5, v2, v130
	;; [unrolled: 1-line block ×3, first 2 shown]
	v_fmac_f32_e32 v191, v8, v131
	s_waitcnt vmcnt(43) lgkmcnt(1)
	v_mul_f32_e32 v194, v182, v140
	v_mul_f32_e32 v130, v183, v140
	v_fma_f32 v12, v7, v131, -v12
	v_fmac_f32_e32 v192, v2, v10
	v_fmac_f32_e32 v193, v4, v141
	v_fma_f32 v10, v1, v10, -v5
	v_fma_f32 v141, v3, v141, -v6
	ds_read2_b64 v[1:4], v9 offset0:77 offset1:78
	ds_read2_b64 v[5:8], v9 offset0:79 offset1:80
	s_waitcnt vmcnt(42)
	v_mul_f32_e32 v140, v184, v139
	v_mul_f32_e32 v131, v185, v139
	s_waitcnt vmcnt(41) lgkmcnt(2)
	v_mul_f32_e32 v139, v186, v137
	v_fmac_f32_e32 v194, v183, v136
	v_fma_f32 v182, v182, v136, -v130
	s_waitcnt vmcnt(40)
	v_mul_f32_e32 v183, v188, v138
	v_mul_f32_e32 v130, v187, v137
	;; [unrolled: 1-line block ×3, first 2 shown]
	v_fmac_f32_e32 v140, v185, v135
	v_fma_f32 v138, v184, v135, -v131
	v_fmac_f32_e32 v139, v187, v134
	s_waitcnt vmcnt(36)
	v_fmac_f32_e32 v183, v189, v149
	v_fma_f32 v184, v186, v134, -v130
	v_fma_f32 v149, v188, v149, -v132
	ds_read2_b64 v[130:133], v9 offset0:81 offset1:82
	ds_read2_b64 v[134:137], v9 offset0:83 offset1:84
	s_waitcnt vmcnt(35) lgkmcnt(3)
	v_mul_f32_e32 v185, v1, v147
	s_waitcnt vmcnt(34)
	v_mul_f32_e32 v186, v3, v148
	v_mul_f32_e32 v147, v2, v147
	;; [unrolled: 1-line block ×3, first 2 shown]
	s_waitcnt vmcnt(33) lgkmcnt(2)
	v_mul_f32_e32 v187, v5, v146
	v_mul_f32_e32 v146, v6, v146
	v_fmac_f32_e32 v185, v2, v144
	v_fmac_f32_e32 v186, v4, v143
	v_fma_f32 v144, v1, v144, -v147
	v_fma_f32 v143, v3, v143, -v148
	s_clause 0x1
	buffer_load_dword v147, off, s[0:3], 0 offset:308
	buffer_load_dword v148, off, s[0:3], 0 offset:316
	s_waitcnt vmcnt(34)
	v_mul_f32_e32 v188, v7, v145
	v_mul_f32_e32 v145, v8, v145
	v_fmac_f32_e32 v187, v6, v142
	v_fma_f32 v142, v5, v142, -v146
	ds_read2_b64 v[1:4], v9 offset0:85 offset1:86
	s_waitcnt vmcnt(29) lgkmcnt(2)
	v_mul_f32_e32 v146, v130, v157
	v_mul_f32_e32 v5, v131, v157
	s_waitcnt vmcnt(28)
	v_mul_f32_e32 v6, v133, v158
	v_fmac_f32_e32 v188, v8, v160
	v_fma_f32 v145, v7, v160, -v145
	v_fmac_f32_e32 v146, v131, v152
	v_fma_f32 v130, v130, v152, -v5
	v_fma_f32 v131, v132, v151, -v6
	ds_read2_b64 v[5:8], v9 offset0:87 offset1:88
	v_mul_f32_e32 v160, v132, v158
	s_waitcnt vmcnt(27) lgkmcnt(2)
	v_mul_f32_e32 v157, v134, v154
	s_waitcnt vmcnt(26)
	v_mul_f32_e32 v158, v136, v155
	v_mul_f32_e32 v154, v135, v154
	v_mul_f32_e32 v155, v137, v155
	v_fmac_f32_e32 v160, v133, v151
	v_fmac_f32_e32 v157, v135, v150
	s_waitcnt vmcnt(22)
	v_fmac_f32_e32 v158, v137, v173
	v_fma_f32 v132, v134, v150, -v154
	v_fma_f32 v133, v136, v173, -v155
	s_clause 0x5
	buffer_load_dword v150, off, s[0:3], 0 offset:324
	buffer_load_dword v151, off, s[0:3], 0 offset:332
	;; [unrolled: 1-line block ×6, first 2 shown]
	s_waitcnt vmcnt(27) lgkmcnt(1)
	v_mul_f32_e32 v134, v1, v168
	s_waitcnt vmcnt(26)
	v_mul_f32_e32 v135, v3, v169
	v_mul_f32_e32 v136, v2, v168
	;; [unrolled: 1-line block ×3, first 2 shown]
	v_add_f32_e32 v169, 0, v190
	v_fmac_f32_e32 v134, v2, v166
	v_fmac_f32_e32 v135, v4, v162
	v_fma_f32 v136, v1, v166, -v136
	v_fma_f32 v137, v3, v162, -v137
	ds_read2_b64 v[1:4], v9 offset0:89 offset1:90
	s_waitcnt vmcnt(25) lgkmcnt(1)
	v_mul_f32_e32 v162, v5, v163
	v_mul_f32_e32 v163, v6, v163
	buffer_load_dword v168, off, s[0:3], 0 offset:340
	s_waitcnt vmcnt(25)
	v_mul_f32_e32 v166, v7, v164
	v_mul_f32_e32 v164, v8, v164
	v_fmac_f32_e32 v162, v6, v161
	v_add_f32_e32 v6, 0, v11
	v_add_f32_e32 v11, v169, v191
	v_fma_f32 v161, v5, v161, -v163
	s_waitcnt vmcnt(21)
	v_fmac_f32_e32 v166, v8, v180
	v_fma_f32 v163, v7, v180, -v164
	v_add_f32_e32 v5, v6, v12
	v_add_f32_e32 v11, v11, v192
	s_clause 0x4
	buffer_load_dword v12, off, s[0:3], 0 offset:360
	buffer_load_dword v164, off, s[0:3], 0 offset:352
	;; [unrolled: 1-line block ×5, first 2 shown]
	v_add_f32_e32 v10, v5, v10
	v_add_f32_e32 v11, v11, v193
	ds_read2_b64 v[5:8], v9 offset0:91 offset1:92
	s_waitcnt vmcnt(25) lgkmcnt(1)
	v_mul_f32_e32 v190, v1, v179
	v_mul_f32_e32 v179, v2, v179
	v_add_f32_e32 v10, v10, v141
	v_add_f32_e32 v11, v11, v194
	s_clause 0x1
	buffer_load_dword v191, off, s[0:3], 0 offset:356
	buffer_load_dword v192, off, s[0:3], 0 offset:364
	v_fmac_f32_e32 v190, v2, v176
	v_fma_f32 v141, v1, v176, -v179
	v_add_f32_e32 v1, v10, v182
	v_add_f32_e32 v2, v11, v140
	buffer_load_dword v193, off, s[0:3], 0 offset:372
	s_waitcnt vmcnt(27)
	v_mul_f32_e32 v176, v3, v174
	v_mul_f32_e32 v10, v4, v174
	v_add_f32_e32 v1, v1, v138
	v_add_f32_e32 v2, v2, v139
	s_clause 0x2
	buffer_load_dword v179, off, s[0:3], 0 offset:380
	buffer_load_dword v182, off, s[0:3], 0 offset:388
	;; [unrolled: 1-line block ×3, first 2 shown]
	v_fmac_f32_e32 v176, v4, v170
	v_fma_f32 v10, v3, v170, -v10
	v_add_f32_e32 v2, v2, v183
	s_clause 0x1
	buffer_load_dword v170, off, s[0:3], 0 offset:404
	buffer_load_dword v194, off, s[0:3], 0 offset:412
	v_add_f32_e32 v1, v1, v184
	s_clause 0x2
	buffer_load_dword v183, off, s[0:3], 0 offset:420
	buffer_load_dword v184, off, s[0:3], 0 offset:428
	;; [unrolled: 1-line block ×3, first 2 shown]
	s_waitcnt vmcnt(34) lgkmcnt(0)
	v_mul_f32_e32 v11, v5, v178
	v_add_f32_e32 v2, v2, v185
	s_clause 0x2
	buffer_load_dword v185, off, s[0:3], 0 offset:444
	buffer_load_dword v196, off, s[0:3], 0 offset:452
	;; [unrolled: 1-line block ×3, first 2 shown]
	v_add_f32_e32 v1, v1, v149
	v_mul_f32_e32 v3, v6, v178
	v_fmac_f32_e32 v11, v6, v153
	v_add_f32_e32 v2, v2, v186
	s_clause 0x3
	buffer_load_dword v186, off, s[0:3], 0 offset:392
	buffer_load_dword v198, off, s[0:3], 0 offset:384
	;; [unrolled: 1-line block ×4, first 2 shown]
	v_add_f32_e32 v1, v1, v144
	v_fma_f32 v138, v5, v153, -v3
	v_add_f32_e32 v2, v2, v187
	v_add_f32_e32 v1, v1, v143
	;; [unrolled: 1-line block ×3, first 2 shown]
	s_clause 0x3
	buffer_load_dword v187, off, s[0:3], 0 offset:424
	buffer_load_dword v188, off, s[0:3], 0 offset:416
	;; [unrolled: 1-line block ×4, first 2 shown]
	v_add_f32_e32 v1, v1, v142
	s_waitcnt vmcnt(44)
	v_mul_f32_e32 v142, v7, v175
	v_add_f32_e32 v2, v2, v146
	v_add_f32_e32 v1, v1, v145
	s_waitcnt vmcnt(37)
	v_fmac_f32_e32 v142, v8, v177
	v_add_f32_e32 v2, v2, v160
	s_clause 0x4
	buffer_load_dword v160, off, s[0:3], 0 offset:456
	buffer_load_dword v203, off, s[0:3], 0 offset:448
	;; [unrolled: 1-line block ×5, first 2 shown]
	v_add_f32_e32 v1, v1, v130
	v_add_f32_e32 v2, v2, v157
	v_add_f32_e32 v1, v1, v131
	v_add_f32_e32 v5, v2, v158
	v_add_f32_e32 v1, v1, v132
	v_add_f32_e32 v130, v5, v134
	v_mul_f32_e32 v5, v8, v175
	v_add_f32_e32 v6, v1, v133
	ds_read2_b64 v[1:4], v9 offset0:93 offset1:94
	v_add_f32_e32 v134, v130, v135
	v_fma_f32 v143, v7, v177, -v5
	v_add_f32_e32 v131, v6, v136
	ds_read2_b64 v[5:8], v9 offset0:95 offset1:96
	v_add_f32_e32 v134, v134, v162
	v_add_f32_e32 v135, v131, v137
	ds_read2_b64 v[130:133], v9 offset0:97 offset1:98
	v_add_f32_e32 v139, v134, v166
	v_add_f32_e32 v135, v135, v161
	s_waitcnt lgkmcnt(2)
	v_mul_f32_e32 v136, v2, v171
	v_mul_f32_e32 v146, v1, v171
	;; [unrolled: 1-line block ×3, first 2 shown]
	v_fma_f32 v149, v1, v172, -v136
	v_add_f32_e32 v1, v135, v163
	v_fmac_f32_e32 v146, v2, v172
	v_add_f32_e32 v2, v139, v190
	s_waitcnt lgkmcnt(1)
	v_mul_f32_e32 v157, v5, v165
	v_mul_f32_e32 v140, v6, v165
	v_add_f32_e32 v1, v1, v141
	ds_read2_b64 v[134:137], v9 offset0:99 offset1:100
	v_add_f32_e32 v2, v2, v176
	v_fmac_f32_e32 v157, v6, v156
	v_fma_f32 v156, v5, v156, -v140
	v_add_f32_e32 v1, v1, v10
	v_mul_f32_e32 v139, v4, v167
	v_add_f32_e32 v5, v2, v11
	v_fmac_f32_e32 v153, v4, v159
	v_add_f32_e32 v6, v1, v138
	v_fma_f32 v10, v3, v159, -v139
	ds_read2_b64 v[1:4], v9 offset0:101 offset1:102
	ds_read2_b64 v[138:141], v9 offset0:103 offset1:104
	s_waitcnt vmcnt(40)
	v_mul_f32_e32 v144, v8, v147
	s_waitcnt vmcnt(39) lgkmcnt(3)
	v_mul_f32_e32 v161, v130, v148
	v_mul_f32_e32 v11, v131, v148
	;; [unrolled: 1-line block ×3, first 2 shown]
	s_waitcnt vmcnt(38)
	v_mul_f32_e32 v162, v132, v150
	s_waitcnt vmcnt(34)
	v_fmac_f32_e32 v161, v131, v155
	v_fma_f32 v155, v130, v155, -v11
	v_add_f32_e32 v11, v6, v143
	v_add_f32_e32 v131, v5, v142
	s_waitcnt vmcnt(33)
	v_fma_f32 v159, v7, v173, -v144
	v_fmac_f32_e32 v158, v8, v173
	v_fmac_f32_e32 v162, v133, v154
	v_add_f32_e32 v11, v11, v149
	v_add_f32_e32 v130, v131, v146
	v_mul_f32_e32 v131, v133, v150
	s_waitcnt lgkmcnt(2)
	v_mul_f32_e32 v150, v134, v151
	v_mul_f32_e32 v146, v135, v151
	v_add_f32_e32 v10, v11, v10
	v_add_f32_e32 v130, v130, v153
	v_fma_f32 v154, v132, v154, -v131
	s_waitcnt vmcnt(32)
	v_mul_f32_e32 v151, v137, v168
	v_fmac_f32_e32 v150, v135, v152
	v_add_f32_e32 v156, v10, v156
	v_add_f32_e32 v157, v130, v157
	v_fma_f32 v152, v134, v152, -v146
	v_mul_f32_e32 v153, v136, v168
	ds_read2_b64 v[5:8], v9 offset0:105 offset1:106
	ds_read2_b64 v[142:145], v9 offset0:107 offset1:108
	v_add_f32_e32 v156, v156, v159
	v_add_f32_e32 v157, v157, v158
	s_waitcnt vmcnt(28)
	v_fma_f32 v151, v136, v180, -v151
	s_waitcnt vmcnt(27) lgkmcnt(3)
	v_mul_f32_e32 v163, v2, v189
	v_fmac_f32_e32 v153, v137, v180
	v_add_f32_e32 v155, v156, v155
	v_add_f32_e32 v157, v157, v161
	v_mul_f32_e32 v158, v1, v189
	v_fma_f32 v1, v1, v169, -v163
	ds_read2_b64 v[130:133], v9 offset0:109 offset1:110
	ds_read2_b64 v[146:149], v9 offset0:111 offset1:112
	v_add_f32_e32 v154, v155, v154
	v_add_f32_e32 v157, v157, v162
	s_waitcnt vmcnt(26)
	v_mul_f32_e32 v165, v4, v191
	v_mul_f32_e32 v159, v3, v191
	v_fmac_f32_e32 v158, v2, v169
	v_add_f32_e32 v152, v154, v152
	v_add_f32_e32 v150, v157, v150
	s_waitcnt vmcnt(25) lgkmcnt(4)
	v_mul_f32_e32 v161, v138, v192
	v_mul_f32_e32 v163, v139, v192
	v_fma_f32 v3, v3, v164, -v165
	v_add_f32_e32 v151, v152, v151
	v_add_f32_e32 v150, v150, v153
	v_fmac_f32_e32 v159, v4, v164
	s_waitcnt vmcnt(24)
	v_mul_f32_e32 v152, v141, v193
	v_fmac_f32_e32 v161, v139, v12
	v_add_f32_e32 v1, v151, v1
	v_add_f32_e32 v150, v150, v158
	v_fma_f32 v12, v138, v12, -v163
	v_mul_f32_e32 v156, v140, v193
	s_waitcnt vmcnt(23) lgkmcnt(3)
	v_mul_f32_e32 v138, v6, v179
	v_add_f32_e32 v1, v1, v3
	v_add_f32_e32 v3, v150, v159
	v_mul_f32_e32 v2, v5, v179
	s_waitcnt vmcnt(22)
	v_mul_f32_e32 v162, v7, v182
	s_waitcnt vmcnt(21) lgkmcnt(2)
	v_mul_f32_e32 v155, v142, v174
	v_add_f32_e32 v1, v1, v12
	v_add_f32_e32 v3, v3, v161
	v_mul_f32_e32 v12, v8, v182
	s_waitcnt vmcnt(9)
	v_fma_f32 v139, v140, v200, -v152
	v_fmac_f32_e32 v156, v141, v200
	v_fma_f32 v5, v5, v199, -v138
	v_fmac_f32_e32 v2, v6, v199
	v_mul_f32_e32 v6, v143, v174
	v_add_f32_e32 v1, v1, v139
	v_add_f32_e32 v3, v3, v156
	v_fma_f32 v7, v7, v198, -v12
	v_fmac_f32_e32 v162, v8, v198
	v_mul_f32_e32 v4, v144, v170
	v_add_f32_e32 v1, v1, v5
	v_add_f32_e32 v2, v3, v2
	v_mul_f32_e32 v3, v145, v170
	v_fma_f32 v5, v142, v186, -v6
	v_fmac_f32_e32 v155, v143, v186
	v_add_f32_e32 v1, v1, v7
	v_add_f32_e32 v2, v2, v162
	s_waitcnt lgkmcnt(1)
	v_mul_f32_e32 v6, v131, v194
	s_waitcnt vmcnt(5)
	v_fma_f32 v3, v144, v202, -v3
	ds_read2_b64 v[134:137], v9 offset0:113 offset1:114
	ds_read_b64 v[10:11], v9 offset:920
	v_add_f32_e32 v1, v1, v5
	v_mul_f32_e32 v164, v130, v194
	v_fmac_f32_e32 v4, v145, v202
	v_add_f32_e32 v2, v2, v155
	v_mul_f32_e32 v5, v133, v183
	v_fma_f32 v6, v130, v201, -v6
	v_add_f32_e32 v1, v1, v3
	v_mul_f32_e32 v154, v132, v183
	v_fmac_f32_e32 v164, v131, v201
	v_add_f32_e32 v2, v2, v4
	s_waitcnt lgkmcnt(2)
	v_mul_f32_e32 v3, v147, v184
	v_fma_f32 v4, v132, v188, -v5
	v_add_f32_e32 v1, v1, v6
	v_mul_f32_e32 v157, v146, v184
	v_fmac_f32_e32 v154, v133, v188
	v_add_f32_e32 v2, v2, v164
	v_mul_f32_e32 v5, v149, v195
	v_fma_f32 v3, v146, v187, -v3
	v_add_f32_e32 v1, v1, v4
	v_mul_f32_e32 v165, v148, v195
	v_fmac_f32_e32 v157, v147, v187
	v_add_f32_e32 v2, v2, v154
	s_waitcnt lgkmcnt(1)
	v_mul_f32_e32 v4, v135, v185
	s_waitcnt vmcnt(1)
	v_fma_f32 v5, v148, v205, -v5
	v_add_f32_e32 v1, v1, v3
	v_mul_f32_e32 v153, v134, v185
	v_fmac_f32_e32 v165, v149, v205
	v_add_f32_e32 v2, v2, v157
	v_mul_f32_e32 v3, v137, v196
	v_fma_f32 v4, v134, v204, -v4
	v_add_f32_e32 v1, v1, v5
	v_mul_f32_e32 v166, v136, v196
	v_fmac_f32_e32 v153, v135, v204
	v_add_f32_e32 v2, v2, v165
	s_waitcnt lgkmcnt(0)
	v_mul_f32_e32 v5, v11, v197
	v_fma_f32 v3, v136, v203, -v3
	v_add_f32_e32 v1, v1, v4
	v_mul_f32_e32 v151, v10, v197
	v_fmac_f32_e32 v166, v137, v203
	v_add_f32_e32 v2, v2, v153
	v_fma_f32 v4, v10, v160, -v5
	v_add_f32_e32 v1, v1, v3
	v_fmac_f32_e32 v151, v11, v160
	v_add_f32_e32 v2, v2, v166
	v_add_f32_e32 v1, v1, v4
	;; [unrolled: 1-line block ×3, first 2 shown]
	s_waitcnt vmcnt(0)
	v_sub_f32_e32 v1, v206, v1
	v_sub_f32_e32 v2, v181, v2
	buffer_store_dword v1, off, s[0:3], 0 offset:80
	buffer_store_dword v2, off, s[0:3], 0 offset:84
	v_cmpx_lt_u32_e32 9, v0
	s_cbranch_execz .LBB57_343
; %bb.342:
	s_clause 0x1
	buffer_load_dword v1, off, s[0:3], 0 offset:72
	buffer_load_dword v2, off, s[0:3], 0 offset:76
	buffer_store_dword v9, off, s[0:3], 0 offset:72
	buffer_store_dword v9, off, s[0:3], 0 offset:76
	s_waitcnt vmcnt(0)
	ds_write_b64 v129, v[1:2]
.LBB57_343:
	s_or_b32 exec_lo, exec_lo, s4
	s_waitcnt lgkmcnt(0)
	s_waitcnt_vscnt null, 0x0
	s_barrier
	buffer_gl0_inv
	s_clause 0x33
	buffer_load_dword v164, off, s[0:3], 0 offset:84
	buffer_load_dword v165, off, s[0:3], 0 offset:92
	;; [unrolled: 1-line block ×52, first 2 shown]
	ds_read_b128 v[173:176], v9 offset:544
	ds_read_b128 v[177:180], v9 offset:560
	;; [unrolled: 1-line block ×3, first 2 shown]
	s_clause 0x1
	buffer_load_dword v170, off, s[0:3], 0 offset:276
	buffer_load_dword v171, off, s[0:3], 0 offset:284
	ds_read_b128 v[185:188], v9 offset:592
	s_mov_b32 s4, exec_lo
	s_waitcnt vmcnt(53) lgkmcnt(3)
	v_mul_f32_e32 v189, v173, v164
	v_mul_f32_e32 v190, v174, v164
	s_waitcnt vmcnt(52)
	v_mul_f32_e32 v191, v175, v165
	v_mul_f32_e32 v165, v176, v165
	buffer_load_dword v164, off, s[0:3], 0 offset:76
	s_waitcnt vmcnt(50)
	v_fmac_f32_e32 v189, v174, v7
	v_fma_f32 v190, v173, v7, -v190
	v_fmac_f32_e32 v191, v176, v5
	v_fma_f32 v165, v175, v5, -v165
	ds_read_b128 v[173:176], v9 offset:608
	s_waitcnt vmcnt(49) lgkmcnt(3)
	v_mul_f32_e32 v192, v177, v2
	s_waitcnt vmcnt(48)
	v_mul_f32_e32 v193, v179, v3
	v_mul_f32_e32 v2, v178, v2
	;; [unrolled: 1-line block ×3, first 2 shown]
	s_waitcnt vmcnt(47) lgkmcnt(2)
	v_mul_f32_e32 v194, v181, v6
	v_mul_f32_e32 v5, v182, v6
	v_fmac_f32_e32 v192, v178, v1
	v_fma_f32 v195, v177, v1, -v2
	s_waitcnt vmcnt(46)
	v_mul_f32_e32 v196, v183, v4
	v_mul_f32_e32 v6, v184, v4
	s_waitcnt vmcnt(42)
	v_fma_f32 v197, v179, v131, -v3
	ds_read_b128 v[1:4], v9 offset:624
	v_fmac_f32_e32 v193, v180, v131
	v_fmac_f32_e32 v194, v182, v130
	v_fma_f32 v181, v181, v130, -v5
	v_fmac_f32_e32 v196, v184, v11
	v_fma_f32 v11, v183, v11, -v6
	ds_read_b128 v[177:180], v9 offset:640
	s_waitcnt vmcnt(41) lgkmcnt(3)
	v_mul_f32_e32 v182, v185, v12
	v_mul_f32_e32 v5, v186, v12
	s_waitcnt vmcnt(40)
	v_mul_f32_e32 v12, v187, v10
	v_mul_f32_e32 v6, v188, v10
	s_waitcnt vmcnt(39) lgkmcnt(2)
	v_mul_f32_e32 v10, v173, v132
	v_fmac_f32_e32 v182, v186, v8
	v_fma_f32 v183, v185, v8, -v5
	v_mul_f32_e32 v130, v174, v132
	s_waitcnt vmcnt(38)
	v_mul_f32_e32 v131, v176, v133
	s_waitcnt vmcnt(34)
	v_fmac_f32_e32 v12, v188, v139
	v_fma_f32 v139, v187, v139, -v6
	ds_read_b128 v[5:8], v9 offset:656
	v_mul_f32_e32 v184, v175, v133
	v_fmac_f32_e32 v10, v174, v138
	v_fma_f32 v138, v173, v138, -v130
	v_fma_f32 v173, v175, v136, -v131
	ds_read_b128 v[130:133], v9 offset:672
	v_fmac_f32_e32 v184, v176, v136
	s_waitcnt vmcnt(33) lgkmcnt(3)
	v_mul_f32_e32 v174, v1, v137
	v_mul_f32_e32 v136, v2, v137
	s_waitcnt vmcnt(32)
	v_mul_f32_e32 v175, v3, v135
	v_mul_f32_e32 v135, v4, v135
	s_waitcnt vmcnt(31) lgkmcnt(2)
	v_mul_f32_e32 v176, v177, v140
	v_fmac_f32_e32 v174, v2, v134
	v_fma_f32 v185, v1, v134, -v136
	v_mul_f32_e32 v134, v178, v140
	s_waitcnt vmcnt(30)
	v_mul_f32_e32 v186, v179, v141
	v_mul_f32_e32 v136, v180, v141
	s_waitcnt vmcnt(26)
	v_fmac_f32_e32 v175, v4, v147
	v_fma_f32 v140, v3, v147, -v135
	ds_read_b128 v[1:4], v9 offset:688
	v_fmac_f32_e32 v176, v178, v146
	v_fma_f32 v141, v177, v146, -v134
	s_waitcnt vmcnt(25) lgkmcnt(2)
	v_mul_f32_e32 v146, v5, v145
	v_fmac_f32_e32 v186, v180, v144
	v_fma_f32 v144, v179, v144, -v136
	ds_read_b128 v[134:137], v9 offset:704
	v_mul_f32_e32 v145, v6, v145
	s_waitcnt vmcnt(24)
	v_mul_f32_e32 v147, v7, v143
	v_mul_f32_e32 v143, v8, v143
	s_waitcnt vmcnt(23) lgkmcnt(2)
	v_mul_f32_e32 v177, v130, v148
	v_fmac_f32_e32 v146, v6, v142
	v_mul_f32_e32 v6, v131, v148
	v_fma_f32 v5, v5, v142, -v145
	s_waitcnt vmcnt(22)
	v_mul_f32_e32 v142, v132, v149
	v_mul_f32_e32 v145, v133, v149
	s_waitcnt vmcnt(18)
	v_fmac_f32_e32 v147, v8, v156
	v_fma_f32 v7, v7, v156, -v143
	v_fmac_f32_e32 v177, v131, v155
	v_fma_f32 v6, v130, v155, -v6
	s_clause 0x5
	buffer_load_dword v143, off, s[0:3], 0 offset:300
	buffer_load_dword v148, off, s[0:3], 0 offset:304
	;; [unrolled: 1-line block ×6, first 2 shown]
	v_fma_f32 v130, v132, v151, -v145
	s_waitcnt vmcnt(23) lgkmcnt(1)
	v_mul_f32_e32 v131, v1, v152
	s_waitcnt vmcnt(22)
	v_mul_f32_e32 v145, v3, v153
	v_mul_f32_e32 v8, v2, v152
	;; [unrolled: 1-line block ×3, first 2 shown]
	v_fmac_f32_e32 v142, v133, v151
	v_fmac_f32_e32 v131, v2, v150
	s_waitcnt vmcnt(18)
	v_fmac_f32_e32 v145, v4, v163
	v_fma_f32 v133, v1, v150, -v8
	v_fma_f32 v150, v3, v163, -v132
	s_waitcnt vmcnt(17) lgkmcnt(0)
	v_mul_f32_e32 v163, v134, v161
	v_mul_f32_e32 v8, v135, v161
	s_clause 0x1
	buffer_load_dword v151, off, s[0:3], 0 offset:316
	buffer_load_dword v152, off, s[0:3], 0 offset:324
	ds_read_b128 v[1:4], v9 offset:720
	buffer_load_dword v153, off, s[0:3], 0 offset:332
	s_waitcnt vmcnt(19)
	v_mul_f32_e32 v179, v136, v162
	v_mul_f32_e32 v132, v137, v162
	v_fmac_f32_e32 v163, v135, v160
	v_fma_f32 v134, v134, v160, -v8
	s_clause 0x5
	buffer_load_dword v160, off, s[0:3], 0 offset:352
	buffer_load_dword v161, off, s[0:3], 0 offset:344
	;; [unrolled: 1-line block ×6, first 2 shown]
	v_fmac_f32_e32 v179, v137, v159
	v_fma_f32 v159, v136, v159, -v132
	v_add_f32_e32 v8, 0, v189
	v_add_f32_e32 v132, 0, v190
	;; [unrolled: 1-line block ×4, first 2 shown]
	buffer_load_dword v165, off, s[0:3], 0 offset:356
	s_waitcnt vmcnt(25) lgkmcnt(0)
	v_mul_f32_e32 v135, v2, v158
	v_add_f32_e32 v8, v8, v192
	v_add_f32_e32 v132, v132, v195
	s_waitcnt vmcnt(24)
	v_mul_f32_e32 v136, v4, v157
	s_clause 0x3
	buffer_load_dword v189, off, s[0:3], 0 offset:364
	buffer_load_dword v190, off, s[0:3], 0 offset:372
	;; [unrolled: 1-line block ×4, first 2 shown]
	v_add_f32_e32 v8, v8, v193
	v_add_f32_e32 v132, v132, v197
	v_mul_f32_e32 v193, v1, v158
	v_mul_f32_e32 v158, v3, v157
	v_add_f32_e32 v8, v8, v194
	v_add_f32_e32 v132, v132, v181
	v_fmac_f32_e32 v193, v2, v154
	v_fma_f32 v154, v1, v154, -v135
	s_clause 0x3
	buffer_load_dword v157, off, s[0:3], 0 offset:396
	buffer_load_dword v181, off, s[0:3], 0 offset:404
	;; [unrolled: 1-line block ×4, first 2 shown]
	v_add_f32_e32 v1, v8, v196
	v_add_f32_e32 v2, v132, v11
	s_waitcnt vmcnt(27)
	v_fmac_f32_e32 v158, v4, v172
	v_fma_f32 v11, v3, v172, -v136
	s_clause 0x1
	buffer_load_dword v172, off, s[0:3], 0 offset:428
	buffer_load_dword v196, off, s[0:3], 0 offset:436
	v_add_f32_e32 v1, v1, v182
	v_add_f32_e32 v2, v2, v183
	s_clause 0x6
	buffer_load_dword v182, off, s[0:3], 0 offset:444
	buffer_load_dword v183, off, s[0:3], 0 offset:452
	;; [unrolled: 1-line block ×7, first 2 shown]
	v_add_f32_e32 v1, v1, v12
	v_add_f32_e32 v2, v2, v139
	;; [unrolled: 1-line block ×6, first 2 shown]
	s_clause 0x3
	buffer_load_dword v173, off, s[0:3], 0 offset:416
	buffer_load_dword v184, off, s[0:3], 0 offset:408
	;; [unrolled: 1-line block ×4, first 2 shown]
	v_add_f32_e32 v1, v1, v174
	v_add_f32_e32 v2, v2, v185
	;; [unrolled: 1-line block ×3, first 2 shown]
	s_clause 0x4
	buffer_load_dword v174, off, s[0:3], 0 offset:448
	buffer_load_dword v175, off, s[0:3], 0 offset:440
	;; [unrolled: 1-line block ×5, first 2 shown]
	v_add_f32_e32 v2, v2, v140
	v_add_f32_e32 v1, v1, v176
	buffer_load_dword v176, off, s[0:3], 0 offset:456
	v_add_f32_e32 v2, v2, v141
	v_add_f32_e32 v1, v1, v186
	;; [unrolled: 1-line block ×5, first 2 shown]
	ds_read_b128 v[1:4], v9 offset:736
	v_add_f32_e32 v5, v5, v7
	v_add_f32_e32 v7, v8, v147
	;; [unrolled: 1-line block ×4, first 2 shown]
	ds_read_b128 v[5:8], v9 offset:752
	v_add_f32_e32 v10, v10, v130
	v_add_f32_e32 v12, v12, v142
	;; [unrolled: 1-line block ×4, first 2 shown]
	s_waitcnt vmcnt(44) lgkmcnt(1)
	v_mul_f32_e32 v146, v3, v171
	v_mul_f32_e32 v132, v4, v171
	v_mul_f32_e32 v144, v1, v170
	v_add_f32_e32 v10, v10, v150
	v_add_f32_e32 v12, v12, v145
	v_mul_f32_e32 v130, v2, v170
	v_fmac_f32_e32 v146, v4, v168
	v_fma_f32 v147, v3, v168, -v132
	v_add_f32_e32 v10, v10, v134
	v_add_f32_e32 v12, v12, v163
	s_waitcnt lgkmcnt(0)
	v_mul_f32_e32 v150, v5, v167
	v_mul_f32_e32 v135, v6, v167
	v_fmac_f32_e32 v144, v2, v169
	v_fma_f32 v142, v1, v169, -v130
	ds_read_b128 v[1:4], v9 offset:768
	ds_read_b128 v[130:133], v9 offset:784
	v_add_f32_e32 v10, v10, v159
	v_fmac_f32_e32 v150, v6, v166
	v_fma_f32 v166, v5, v166, -v135
	v_add_f32_e32 v12, v12, v179
	v_add_f32_e32 v10, v10, v154
	;; [unrolled: 1-line block ×9, first 2 shown]
	s_waitcnt vmcnt(42)
	v_mul_f32_e32 v168, v7, v143
	v_mul_f32_e32 v136, v8, v143
	s_waitcnt vmcnt(40) lgkmcnt(1)
	v_mul_f32_e32 v159, v1, v149
	v_mul_f32_e32 v138, v2, v149
	s_waitcnt vmcnt(37)
	v_fmac_f32_e32 v168, v8, v178
	v_fma_f32 v167, v7, v178, -v136
	ds_read_b128 v[5:8], v9 offset:800
	ds_read_b128 v[134:137], v9 offset:816
	v_fmac_f32_e32 v159, v2, v148
	v_fma_f32 v148, v1, v148, -v138
	s_waitcnt vmcnt(36)
	v_mul_f32_e32 v149, v3, v151
	v_mul_f32_e32 v139, v4, v151
	s_waitcnt vmcnt(35) lgkmcnt(2)
	v_mul_f32_e32 v151, v130, v152
	v_mul_f32_e32 v143, v131, v152
	s_waitcnt vmcnt(34)
	v_mul_f32_e32 v12, v133, v153
	v_mul_f32_e32 v154, v132, v153
	v_fmac_f32_e32 v149, v4, v156
	v_fmac_f32_e32 v151, v131, v155
	v_fma_f32 v153, v130, v155, -v143
	s_waitcnt vmcnt(29) lgkmcnt(1)
	v_mul_f32_e32 v147, v5, v187
	v_fma_f32 v155, v132, v180, -v12
	v_mul_f32_e32 v12, v6, v187
	v_fma_f32 v152, v3, v156, -v139
	s_waitcnt vmcnt(28)
	v_mul_f32_e32 v146, v7, v188
	v_fmac_f32_e32 v147, v6, v162
	v_add_f32_e32 v6, v10, v166
	v_mul_f32_e32 v156, v8, v188
	v_add_f32_e32 v10, v11, v150
	v_fmac_f32_e32 v146, v8, v161
	ds_read_b128 v[1:4], v9 offset:832
	ds_read_b128 v[138:141], v9 offset:848
	v_add_f32_e32 v158, v6, v167
	v_fma_f32 v156, v7, v161, -v156
	v_add_f32_e32 v161, v10, v168
	v_fmac_f32_e32 v154, v133, v180
	v_fma_f32 v150, v5, v162, -v12
	v_add_f32_e32 v148, v158, v148
	s_waitcnt vmcnt(27) lgkmcnt(2)
	v_mul_f32_e32 v158, v135, v165
	v_add_f32_e32 v159, v161, v159
	v_mul_f32_e32 v162, v134, v165
	s_waitcnt vmcnt(26)
	v_mul_f32_e32 v163, v137, v189
	v_add_f32_e32 v148, v148, v152
	v_fma_f32 v134, v134, v160, -v158
	v_add_f32_e32 v149, v159, v149
	v_mul_f32_e32 v161, v136, v189
	v_fmac_f32_e32 v162, v135, v160
	v_add_f32_e32 v148, v148, v153
	ds_read_b128 v[130:133], v9 offset:864
	ds_read_b128 v[142:145], v9 offset:880
	v_add_f32_e32 v149, v149, v151
	s_waitcnt vmcnt(25) lgkmcnt(3)
	v_mul_f32_e32 v152, v1, v190
	s_waitcnt vmcnt(24)
	v_mul_f32_e32 v159, v3, v191
	v_add_f32_e32 v148, v148, v155
	s_waitcnt vmcnt(23) lgkmcnt(2)
	v_mul_f32_e32 v165, v138, v192
	v_add_f32_e32 v149, v149, v154
	s_waitcnt vmcnt(22)
	v_mul_f32_e32 v153, v140, v157
	s_waitcnt vmcnt(12)
	v_fmac_f32_e32 v159, v4, v199
	v_add_f32_e32 v148, v148, v150
	s_waitcnt vmcnt(10)
	v_fma_f32 v136, v136, v201, -v163
	v_add_f32_e32 v147, v149, v147
	v_fmac_f32_e32 v161, v137, v201
	v_fmac_f32_e32 v152, v2, v200
	v_add_f32_e32 v148, v148, v156
	v_fmac_f32_e32 v165, v139, v198
	v_add_f32_e32 v146, v147, v146
	v_mul_f32_e32 v147, v2, v190
	ds_read_b128 v[5:8], v9 offset:896
	ds_read_b128 v[9:12], v9 offset:912
	v_add_f32_e32 v134, v148, v134
	s_waitcnt lgkmcnt(3)
	v_mul_f32_e32 v151, v130, v181
	v_add_f32_e32 v137, v146, v162
	v_mul_f32_e32 v146, v4, v191
	v_fma_f32 v1, v1, v200, -v147
	v_add_f32_e32 v2, v134, v136
	v_mul_f32_e32 v136, v139, v192
	v_add_f32_e32 v134, v137, v161
	v_fma_f32 v3, v3, v199, -v146
	v_mul_f32_e32 v4, v141, v157
	v_add_f32_e32 v1, v2, v1
	s_waitcnt vmcnt(6)
	v_fmac_f32_e32 v153, v141, v203
	v_add_f32_e32 v2, v134, v152
	v_fma_f32 v134, v138, v198, -v136
	v_fma_f32 v4, v140, v203, -v4
	v_add_f32_e32 v1, v1, v3
	v_mul_f32_e32 v3, v131, v181
	v_add_f32_e32 v2, v2, v159
	v_mul_f32_e32 v166, v132, v194
	v_fmac_f32_e32 v151, v131, v202
	v_add_f32_e32 v1, v1, v134
	v_mul_f32_e32 v134, v133, v194
	v_add_f32_e32 v2, v2, v165
	v_fma_f32 v3, v130, v202, -v3
	s_waitcnt lgkmcnt(2)
	v_mul_f32_e32 v155, v142, v195
	v_add_f32_e32 v1, v1, v4
	v_mul_f32_e32 v4, v143, v195
	v_add_f32_e32 v2, v2, v153
	v_fma_f32 v130, v132, v184, -v134
	v_fmac_f32_e32 v166, v133, v184
	v_add_f32_e32 v1, v1, v3
	v_mul_f32_e32 v3, v145, v172
	v_add_f32_e32 v2, v2, v151
	v_fma_f32 v4, v142, v173, -v4
	v_mul_f32_e32 v154, v144, v172
	v_add_f32_e32 v1, v1, v130
	v_fmac_f32_e32 v155, v143, v173
	v_add_f32_e32 v2, v2, v166
	s_waitcnt lgkmcnt(1)
	v_mul_f32_e32 v130, v6, v196
	s_waitcnt vmcnt(2)
	v_fma_f32 v3, v144, v204, -v3
	v_add_f32_e32 v1, v1, v4
	v_mul_f32_e32 v167, v5, v196
	v_fmac_f32_e32 v154, v145, v204
	v_add_f32_e32 v2, v2, v155
	v_mul_f32_e32 v4, v8, v182
	v_fma_f32 v5, v5, v185, -v130
	v_add_f32_e32 v1, v1, v3
	v_mul_f32_e32 v150, v7, v182
	v_fmac_f32_e32 v167, v6, v185
	v_add_f32_e32 v2, v2, v154
	s_waitcnt lgkmcnt(0)
	v_mul_f32_e32 v3, v10, v183
	v_fma_f32 v4, v7, v175, -v4
	v_add_f32_e32 v1, v1, v5
	v_mul_f32_e32 v149, v9, v183
	v_fmac_f32_e32 v150, v8, v175
	v_add_f32_e32 v2, v2, v167
	v_mul_f32_e32 v5, v12, v197
	v_fma_f32 v3, v9, v174, -v3
	v_add_f32_e32 v1, v1, v4
	v_mul_f32_e32 v135, v11, v197
	v_fmac_f32_e32 v149, v10, v174
	v_add_f32_e32 v2, v2, v150
	s_waitcnt vmcnt(0)
	v_fma_f32 v4, v11, v176, -v5
	v_add_f32_e32 v1, v1, v3
	v_fmac_f32_e32 v135, v12, v176
	v_add_f32_e32 v2, v2, v149
	v_add_f32_e32 v1, v1, v4
	;; [unrolled: 1-line block ×3, first 2 shown]
	v_sub_f32_e32 v1, v205, v1
	v_sub_f32_e32 v2, v164, v2
	buffer_store_dword v1, off, s[0:3], 0 offset:72
	buffer_store_dword v2, off, s[0:3], 0 offset:76
	v_cmpx_lt_u32_e32 8, v0
	s_cbranch_execz .LBB57_345
; %bb.344:
	s_clause 0x1
	buffer_load_dword v1, off, s[0:3], 0 offset:64
	buffer_load_dword v2, off, s[0:3], 0 offset:68
	v_mov_b32_e32 v3, 0
	buffer_store_dword v3, off, s[0:3], 0 offset:64
	buffer_store_dword v3, off, s[0:3], 0 offset:68
	s_waitcnt vmcnt(0)
	ds_write_b64 v129, v[1:2]
.LBB57_345:
	s_or_b32 exec_lo, exec_lo, s4
	s_waitcnt lgkmcnt(0)
	s_waitcnt_vscnt null, 0x0
	s_barrier
	buffer_gl0_inv
	s_clause 0x33
	buffer_load_dword v11, off, s[0:3], 0 offset:76
	buffer_load_dword v12, off, s[0:3], 0 offset:84
	;; [unrolled: 1-line block ×52, first 2 shown]
	v_mov_b32_e32 v9, 0
	ds_read2_b64 v[5:8], v9 offset0:67 offset1:68
	ds_read2_b64 v[1:4], v9 offset0:69 offset1:70
	;; [unrolled: 1-line block ×3, first 2 shown]
	s_clause 0x2
	buffer_load_dword v179, off, s[0:3], 0 offset:268
	buffer_load_dword v180, off, s[0:3], 0 offset:276
	;; [unrolled: 1-line block ×3, first 2 shown]
	ds_read2_b64 v[186:189], v9 offset0:73 offset1:74
	s_mov_b32 s4, exec_lo
	s_waitcnt vmcnt(54) lgkmcnt(3)
	v_mul_f32_e32 v190, v5, v11
	s_waitcnt vmcnt(53)
	v_mul_f32_e32 v191, v7, v12
	v_mul_f32_e32 v11, v6, v11
	;; [unrolled: 1-line block ×3, first 2 shown]
	s_waitcnt vmcnt(50)
	v_fmac_f32_e32 v190, v6, v135
	v_fmac_f32_e32 v191, v8, v133
	v_fma_f32 v11, v5, v135, -v11
	v_fma_f32 v12, v7, v133, -v12
	ds_read2_b64 v[5:8], v9 offset0:75 offset1:76
	s_waitcnt vmcnt(49) lgkmcnt(3)
	v_mul_f32_e32 v192, v1, v130
	s_waitcnt vmcnt(48)
	v_mul_f32_e32 v193, v3, v131
	v_mul_f32_e32 v130, v2, v130
	;; [unrolled: 1-line block ×3, first 2 shown]
	s_waitcnt vmcnt(47) lgkmcnt(2)
	v_mul_f32_e32 v194, v182, v134
	v_mul_f32_e32 v133, v183, v134
	v_fmac_f32_e32 v192, v2, v10
	v_fma_f32 v10, v1, v10, -v130
	s_waitcnt vmcnt(46)
	v_mul_f32_e32 v195, v184, v132
	v_mul_f32_e32 v130, v185, v132
	s_waitcnt vmcnt(42)
	v_fmac_f32_e32 v193, v4, v141
	v_fma_f32 v141, v3, v141, -v131
	ds_read2_b64 v[1:4], v9 offset0:77 offset1:78
	v_fmac_f32_e32 v194, v183, v140
	v_fma_f32 v140, v182, v140, -v133
	v_fmac_f32_e32 v195, v185, v138
	v_fma_f32 v138, v184, v138, -v130
	ds_read2_b64 v[130:133], v9 offset0:79 offset1:80
	s_waitcnt vmcnt(41) lgkmcnt(3)
	v_mul_f32_e32 v182, v186, v139
	v_mul_f32_e32 v134, v187, v139
	s_waitcnt vmcnt(40)
	v_mul_f32_e32 v139, v188, v137
	v_mul_f32_e32 v135, v189, v137
	s_waitcnt vmcnt(39) lgkmcnt(2)
	v_mul_f32_e32 v183, v5, v142
	v_fmac_f32_e32 v182, v187, v136
	v_fma_f32 v184, v186, v136, -v134
	s_waitcnt vmcnt(38)
	v_mul_f32_e32 v185, v7, v143
	v_mul_f32_e32 v142, v6, v142
	;; [unrolled: 1-line block ×3, first 2 shown]
	s_waitcnt vmcnt(34)
	v_fmac_f32_e32 v139, v189, v149
	v_fma_f32 v149, v188, v149, -v135
	ds_read2_b64 v[134:137], v9 offset0:81 offset1:82
	v_fmac_f32_e32 v183, v6, v148
	v_fmac_f32_e32 v185, v8, v146
	v_fma_f32 v142, v5, v148, -v142
	v_fma_f32 v143, v7, v146, -v143
	ds_read2_b64 v[5:8], v9 offset0:83 offset1:84
	s_waitcnt vmcnt(33) lgkmcnt(3)
	v_mul_f32_e32 v146, v1, v147
	v_mul_f32_e32 v147, v2, v147
	s_waitcnt vmcnt(32)
	v_mul_f32_e32 v148, v3, v145
	v_mul_f32_e32 v145, v4, v145
	s_waitcnt vmcnt(31) lgkmcnt(2)
	v_mul_f32_e32 v186, v130, v150
	v_fmac_f32_e32 v146, v2, v144
	v_fma_f32 v144, v1, v144, -v147
	s_waitcnt vmcnt(30)
	v_mul_f32_e32 v147, v132, v151
	v_mul_f32_e32 v151, v133, v151
	;; [unrolled: 1-line block ×3, first 2 shown]
	s_waitcnt vmcnt(26)
	v_fmac_f32_e32 v148, v4, v158
	v_fma_f32 v145, v3, v158, -v145
	v_fmac_f32_e32 v147, v133, v155
	v_fma_f32 v151, v132, v155, -v151
	s_waitcnt vmcnt(25) lgkmcnt(1)
	v_mul_f32_e32 v155, v134, v156
	v_mul_f32_e32 v156, v135, v156
	ds_read2_b64 v[1:4], v9 offset0:85 offset1:86
	v_fmac_f32_e32 v186, v131, v157
	v_fma_f32 v150, v130, v157, -v150
	s_waitcnt vmcnt(24)
	v_mul_f32_e32 v157, v136, v154
	v_mul_f32_e32 v154, v137, v154
	s_waitcnt vmcnt(23) lgkmcnt(1)
	v_mul_f32_e32 v158, v5, v159
	v_fmac_f32_e32 v155, v135, v152
	v_fma_f32 v134, v134, v152, -v156
	v_mul_f32_e32 v152, v6, v159
	ds_read2_b64 v[130:133], v9 offset0:87 offset1:88
	s_waitcnt vmcnt(22)
	v_mul_f32_e32 v135, v7, v161
	v_mul_f32_e32 v156, v8, v161
	s_waitcnt vmcnt(18)
	v_fmac_f32_e32 v157, v137, v169
	v_fma_f32 v136, v136, v169, -v154
	v_fmac_f32_e32 v158, v6, v168
	v_fma_f32 v5, v5, v168, -v152
	s_clause 0x5
	buffer_load_dword v137, off, s[0:3], 0 offset:292
	buffer_load_dword v152, off, s[0:3], 0 offset:296
	;; [unrolled: 1-line block ×6, first 2 shown]
	v_fmac_f32_e32 v135, v8, v167
	v_fma_f32 v6, v7, v167, -v156
	s_clause 0x1
	buffer_load_dword v156, off, s[0:3], 0 offset:308
	buffer_load_dword v167, off, s[0:3], 0 offset:316
	s_waitcnt vmcnt(25) lgkmcnt(1)
	v_mul_f32_e32 v169, v1, v165
	s_waitcnt vmcnt(24)
	v_mul_f32_e32 v187, v3, v166
	v_mul_f32_e32 v7, v2, v165
	;; [unrolled: 1-line block ×3, first 2 shown]
	buffer_load_dword v165, off, s[0:3], 0 offset:324
	v_fmac_f32_e32 v169, v2, v163
	s_waitcnt vmcnt(21)
	v_fmac_f32_e32 v187, v4, v177
	v_fma_f32 v163, v1, v163, -v7
	v_fma_f32 v166, v3, v177, -v8
	ds_read2_b64 v[1:4], v9 offset0:89 offset1:90
	s_waitcnt vmcnt(20) lgkmcnt(1)
	v_mul_f32_e32 v177, v130, v175
	s_waitcnt vmcnt(19)
	v_mul_f32_e32 v188, v132, v176
	v_mul_f32_e32 v7, v131, v175
	;; [unrolled: 1-line block ×3, first 2 shown]
	s_clause 0x4
	buffer_load_dword v175, off, s[0:3], 0 offset:344
	buffer_load_dword v176, off, s[0:3], 0 offset:336
	buffer_load_dword v189, off, s[0:3], 0 offset:328
	buffer_load_dword v196, off, s[0:3], 0 offset:320
	buffer_load_dword v197, off, s[0:3], 0 offset:332
	v_fmac_f32_e32 v177, v131, v174
	v_fmac_f32_e32 v188, v133, v173
	v_fma_f32 v174, v130, v174, -v7
	v_add_f32_e32 v7, 0, v190
	v_fma_f32 v173, v132, v173, -v8
	buffer_load_dword v190, off, s[0:3], 0 offset:340
	v_add_f32_e32 v8, 0, v11
	v_add_f32_e32 v7, v7, v191
	buffer_load_dword v191, off, s[0:3], 0 offset:348
	v_add_f32_e32 v8, v8, v12
	v_add_f32_e32 v7, v7, v192
	s_waitcnt vmcnt(25) lgkmcnt(0)
	v_mul_f32_e32 v11, v1, v172
	v_mul_f32_e32 v12, v2, v172
	s_waitcnt vmcnt(24)
	v_mul_f32_e32 v172, v3, v171
	v_mul_f32_e32 v130, v4, v171
	v_fmac_f32_e32 v11, v2, v170
	v_add_f32_e32 v2, v7, v193
	v_fma_f32 v12, v1, v170, -v12
	s_clause 0x2
	buffer_load_dword v170, off, s[0:3], 0 offset:356
	buffer_load_dword v171, off, s[0:3], 0 offset:364
	;; [unrolled: 1-line block ×3, first 2 shown]
	v_add_f32_e32 v1, v8, v10
	buffer_load_dword v193, off, s[0:3], 0 offset:388
	v_add_f32_e32 v2, v2, v194
	s_waitcnt vmcnt(23)
	v_fmac_f32_e32 v172, v4, v178
	v_fma_f32 v10, v3, v178, -v130
	s_clause 0x5
	buffer_load_dword v178, off, s[0:3], 0 offset:380
	buffer_load_dword v194, off, s[0:3], 0 offset:376
	;; [unrolled: 1-line block ×6, first 2 shown]
	v_add_f32_e32 v1, v1, v141
	v_add_f32_e32 v2, v2, v195
	s_clause 0x1
	buffer_load_dword v195, off, s[0:3], 0 offset:404
	buffer_load_dword v202, off, s[0:3], 0 offset:412
	v_add_f32_e32 v1, v1, v140
	v_add_f32_e32 v2, v2, v182
	v_add_f32_e32 v1, v1, v138
	v_add_f32_e32 v2, v2, v139
	v_add_f32_e32 v1, v1, v184
	v_add_f32_e32 v2, v2, v183
	s_clause 0x5
	buffer_load_dword v182, off, s[0:3], 0 offset:420
	buffer_load_dword v184, off, s[0:3], 0 offset:428
	;; [unrolled: 1-line block ×6, first 2 shown]
	v_add_f32_e32 v2, v2, v185
	s_clause 0x3
	buffer_load_dword v185, off, s[0:3], 0 offset:408
	buffer_load_dword v206, off, s[0:3], 0 offset:400
	;; [unrolled: 1-line block ×4, first 2 shown]
	v_add_f32_e32 v1, v1, v149
	v_add_f32_e32 v2, v2, v146
	;; [unrolled: 1-line block ×6, first 2 shown]
	s_clause 0x3
	buffer_load_dword v186, off, s[0:3], 0 offset:440
	buffer_load_dword v209, off, s[0:3], 0 offset:432
	;; [unrolled: 1-line block ×4, first 2 shown]
	v_add_f32_e32 v1, v1, v144
	v_add_f32_e32 v2, v2, v147
	;; [unrolled: 1-line block ×5, first 2 shown]
	s_clause 0x1
	buffer_load_dword v150, off, s[0:3], 0 offset:456
	buffer_load_dword v212, off, s[0:3], 0 offset:448
	v_add_f32_e32 v7, v2, v157
	v_add_f32_e32 v1, v1, v151
	buffer_load_dword v151, off, s[0:3], 0 offset:64
	v_add_f32_e32 v7, v7, v158
	v_add_f32_e32 v1, v1, v134
	v_add_f32_e32 v130, v7, v135
	v_add_f32_e32 v8, v1, v136
	ds_read2_b64 v[1:4], v9 offset0:91 offset1:92
	v_add_f32_e32 v130, v130, v169
	v_add_f32_e32 v5, v8, v5
	;; [unrolled: 1-line block ×4, first 2 shown]
	ds_read2_b64 v[5:8], v9 offset0:93 offset1:94
	v_add_f32_e32 v134, v134, v177
	v_add_f32_e32 v131, v131, v163
	;; [unrolled: 1-line block ×4, first 2 shown]
	s_waitcnt vmcnt(47) lgkmcnt(1)
	v_mul_f32_e32 v138, v1, v179
	s_waitcnt vmcnt(46)
	v_mul_f32_e32 v142, v3, v180
	v_mul_f32_e32 v132, v2, v179
	;; [unrolled: 1-line block ×3, first 2 shown]
	v_add_f32_e32 v135, v135, v174
	v_fmac_f32_e32 v138, v2, v164
	v_fmac_f32_e32 v142, v4, v162
	v_fma_f32 v139, v1, v164, -v132
	v_fma_f32 v143, v3, v162, -v133
	v_add_f32_e32 v141, v135, v173
	ds_read2_b64 v[1:4], v9 offset0:95 offset1:96
	ds_read2_b64 v[130:133], v9 offset0:97 offset1:98
	s_waitcnt lgkmcnt(2)
	v_mul_f32_e32 v146, v5, v160
	v_mul_f32_e32 v136, v6, v160
	v_add_f32_e32 v12, v141, v12
	v_add_f32_e32 v11, v140, v11
	v_fmac_f32_e32 v146, v6, v153
	v_fma_f32 v148, v5, v153, -v136
	v_add_f32_e32 v10, v12, v10
	v_add_f32_e32 v11, v11, v172
	;; [unrolled: 1-line block ×8, first 2 shown]
	s_waitcnt vmcnt(44)
	v_mul_f32_e32 v147, v7, v137
	v_mul_f32_e32 v137, v8, v137
	s_waitcnt vmcnt(42) lgkmcnt(1)
	v_mul_f32_e32 v153, v1, v154
	v_mul_f32_e32 v140, v2, v154
	s_waitcnt vmcnt(39)
	v_fmac_f32_e32 v147, v8, v168
	v_fma_f32 v149, v7, v168, -v137
	ds_read2_b64 v[5:8], v9 offset0:99 offset1:100
	ds_read2_b64 v[134:137], v9 offset0:101 offset1:102
	s_waitcnt vmcnt(37) lgkmcnt(2)
	v_mul_f32_e32 v155, v130, v167
	v_mul_f32_e32 v144, v131, v167
	;; [unrolled: 1-line block ×3, first 2 shown]
	v_fmac_f32_e32 v153, v2, v152
	v_fma_f32 v152, v1, v152, -v140
	v_fmac_f32_e32 v155, v131, v159
	v_fma_f32 v157, v130, v159, -v144
	v_add_f32_e32 v10, v10, v149
	v_mul_f32_e32 v154, v3, v156
	v_fma_f32 v156, v3, v161, -v141
	s_waitcnt vmcnt(36)
	v_mul_f32_e32 v145, v133, v165
	v_mul_f32_e32 v12, v132, v165
	v_add_f32_e32 v152, v10, v152
	v_fmac_f32_e32 v154, v4, v161
	ds_read2_b64 v[1:4], v9 offset0:103 offset1:104
	ds_read2_b64 v[138:141], v9 offset0:105 offset1:106
	s_waitcnt vmcnt(32)
	v_fma_f32 v158, v132, v196, -v145
	v_fmac_f32_e32 v12, v133, v196
	v_add_f32_e32 v152, v152, v156
	s_waitcnt vmcnt(31) lgkmcnt(3)
	v_mul_f32_e32 v159, v5, v197
	v_mul_f32_e32 v146, v6, v197
	ds_read2_b64 v[130:133], v9 offset0:107 offset1:108
	ds_read2_b64 v[142:145], v9 offset0:109 offset1:110
	s_waitcnt vmcnt(30)
	v_mul_f32_e32 v148, v8, v190
	v_add_f32_e32 v152, v152, v157
	v_fmac_f32_e32 v159, v6, v189
	v_add_f32_e32 v6, v11, v147
	v_fma_f32 v161, v5, v189, -v146
	v_mul_f32_e32 v160, v7, v190
	v_add_f32_e32 v152, v152, v158
	v_fma_f32 v162, v7, v176, -v148
	v_add_f32_e32 v153, v6, v153
	s_waitcnt vmcnt(29) lgkmcnt(4)
	v_mul_f32_e32 v163, v135, v191
	v_fmac_f32_e32 v160, v8, v176
	v_add_f32_e32 v152, v152, v161
	ds_read2_b64 v[5:8], v9 offset0:111 offset1:112
	ds_read2_b64 v[146:149], v9 offset0:113 offset1:114
	ds_read_b64 v[10:11], v9 offset:920
	v_add_f32_e32 v153, v153, v154
	v_mul_f32_e32 v154, v134, v191
	s_waitcnt vmcnt(28)
	v_mul_f32_e32 v164, v137, v170
	v_fma_f32 v134, v134, v175, -v163
	v_add_f32_e32 v152, v152, v162
	v_add_f32_e32 v153, v153, v155
	v_mul_f32_e32 v156, v136, v170
	v_fmac_f32_e32 v154, v135, v175
	s_waitcnt vmcnt(27) lgkmcnt(6)
	v_mul_f32_e32 v155, v1, v171
	v_mul_f32_e32 v163, v2, v171
	v_add_f32_e32 v12, v153, v12
	s_waitcnt vmcnt(20)
	v_fma_f32 v136, v136, v200, -v164
	v_add_f32_e32 v134, v152, v134
	v_fmac_f32_e32 v156, v137, v200
	v_fmac_f32_e32 v155, v2, v199
	v_add_f32_e32 v12, v12, v159
	v_fma_f32 v1, v1, v199, -v163
	v_add_f32_e32 v2, v134, v136
	v_mul_f32_e32 v157, v3, v192
	s_waitcnt lgkmcnt(5)
	v_mul_f32_e32 v134, v139, v178
	v_add_f32_e32 v12, v12, v160
	v_mul_f32_e32 v160, v4, v192
	v_add_f32_e32 v1, v2, v1
	v_mul_f32_e32 v135, v138, v178
	v_fmac_f32_e32 v157, v4, v198
	v_add_f32_e32 v12, v12, v154
	v_fma_f32 v3, v3, v198, -v160
	v_mul_f32_e32 v4, v141, v193
	v_mul_f32_e32 v153, v140, v193
	v_fmac_f32_e32 v135, v139, v194
	v_add_f32_e32 v12, v12, v156
	v_add_f32_e32 v1, v1, v3
	s_waitcnt vmcnt(19) lgkmcnt(4)
	v_mul_f32_e32 v3, v131, v201
	s_waitcnt vmcnt(7)
	v_fma_f32 v4, v140, v208, -v4
	v_mul_f32_e32 v158, v130, v201
	v_add_f32_e32 v2, v12, v155
	v_fma_f32 v12, v138, v194, -v134
	v_fmac_f32_e32 v153, v141, v208
	v_fma_f32 v3, v130, v207, -v3
	v_mul_f32_e32 v137, v132, v195
	v_add_f32_e32 v2, v2, v157
	v_add_f32_e32 v1, v1, v12
	v_mul_f32_e32 v12, v133, v195
	v_fmac_f32_e32 v158, v131, v207
	s_waitcnt lgkmcnt(3)
	v_mul_f32_e32 v164, v142, v202
	v_add_f32_e32 v2, v2, v135
	v_add_f32_e32 v1, v1, v4
	v_mul_f32_e32 v4, v143, v202
	v_fma_f32 v12, v132, v206, -v12
	v_fmac_f32_e32 v137, v133, v206
	v_add_f32_e32 v2, v2, v153
	v_add_f32_e32 v1, v1, v3
	v_mul_f32_e32 v3, v145, v182
	v_fma_f32 v4, v142, v185, -v4
	v_mul_f32_e32 v159, v144, v182
	v_add_f32_e32 v2, v2, v158
	v_add_f32_e32 v1, v1, v12
	v_fmac_f32_e32 v164, v143, v185
	s_waitcnt lgkmcnt(2)
	v_mul_f32_e32 v12, v6, v184
	s_waitcnt vmcnt(3)
	v_fma_f32 v3, v144, v211, -v3
	v_add_f32_e32 v2, v2, v137
	v_add_f32_e32 v1, v1, v4
	v_mul_f32_e32 v161, v5, v184
	v_fmac_f32_e32 v159, v145, v211
	v_mul_f32_e32 v4, v8, v203
	v_add_f32_e32 v2, v2, v164
	v_fma_f32 v5, v5, v210, -v12
	v_add_f32_e32 v1, v1, v3
	v_mul_f32_e32 v165, v7, v203
	v_fmac_f32_e32 v161, v6, v210
	v_add_f32_e32 v2, v2, v159
	s_waitcnt lgkmcnt(1)
	v_mul_f32_e32 v3, v147, v204
	v_fma_f32 v4, v7, v209, -v4
	v_add_f32_e32 v1, v1, v5
	v_mul_f32_e32 v162, v146, v204
	v_fmac_f32_e32 v165, v8, v209
	v_add_f32_e32 v2, v2, v161
	v_mul_f32_e32 v5, v149, v205
	v_fma_f32 v3, v146, v186, -v3
	v_add_f32_e32 v1, v1, v4
	v_mul_f32_e32 v166, v148, v205
	v_fmac_f32_e32 v162, v147, v186
	v_add_f32_e32 v2, v2, v165
	s_waitcnt lgkmcnt(0)
	v_mul_f32_e32 v4, v11, v183
	s_waitcnt vmcnt(1)
	v_fma_f32 v5, v148, v212, -v5
	v_add_f32_e32 v1, v1, v3
	v_mul_f32_e32 v152, v10, v183
	v_fmac_f32_e32 v166, v149, v212
	v_add_f32_e32 v2, v2, v162
	v_fma_f32 v3, v10, v150, -v4
	v_add_f32_e32 v1, v1, v5
	v_fmac_f32_e32 v152, v11, v150
	v_add_f32_e32 v2, v2, v166
	v_add_f32_e32 v1, v1, v3
	;; [unrolled: 1-line block ×3, first 2 shown]
	s_waitcnt vmcnt(0)
	v_sub_f32_e32 v1, v151, v1
	v_sub_f32_e32 v2, v181, v2
	buffer_store_dword v1, off, s[0:3], 0 offset:64
	buffer_store_dword v2, off, s[0:3], 0 offset:68
	v_cmpx_lt_u32_e32 7, v0
	s_cbranch_execz .LBB57_347
; %bb.346:
	s_clause 0x1
	buffer_load_dword v1, off, s[0:3], 0 offset:56
	buffer_load_dword v2, off, s[0:3], 0 offset:60
	buffer_store_dword v9, off, s[0:3], 0 offset:56
	buffer_store_dword v9, off, s[0:3], 0 offset:60
	s_waitcnt vmcnt(0)
	ds_write_b64 v129, v[1:2]
.LBB57_347:
	s_or_b32 exec_lo, exec_lo, s4
	s_waitcnt lgkmcnt(0)
	s_waitcnt_vscnt null, 0x0
	s_barrier
	buffer_gl0_inv
	s_clause 0x35
	buffer_load_dword v1, off, s[0:3], 0 offset:68
	buffer_load_dword v3, off, s[0:3], 0 offset:76
	;; [unrolled: 1-line block ×54, first 2 shown]
	ds_read_b128 v[174:177], v9 offset:528
	ds_read_b128 v[178:181], v9 offset:544
	;; [unrolled: 1-line block ×4, first 2 shown]
	buffer_load_dword v168, off, s[0:3], 0 offset:60
	s_mov_b32 s4, exec_lo
	s_waitcnt vmcnt(54) lgkmcnt(3)
	v_mul_f32_e32 v190, v174, v1
	v_mul_f32_e32 v1, v175, v1
	s_waitcnt vmcnt(53)
	v_mul_f32_e32 v191, v176, v3
	v_mul_f32_e32 v3, v177, v3
	s_waitcnt vmcnt(52) lgkmcnt(2)
	v_mul_f32_e32 v192, v178, v5
	v_mul_f32_e32 v5, v179, v5
	s_waitcnt vmcnt(49)
	v_fma_f32 v193, v174, v7, -v1
	s_waitcnt vmcnt(48)
	v_mul_f32_e32 v1, v181, v6
	v_fmac_f32_e32 v190, v175, v7
	v_fmac_f32_e32 v191, v177, v4
	v_fma_f32 v195, v176, v4, -v3
	v_fmac_f32_e32 v192, v179, v2
	v_fma_f32 v178, v178, v2, -v5
	s_waitcnt vmcnt(44)
	v_fma_f32 v179, v180, v133, -v1
	ds_read_b128 v[1:4], v9 offset:592
	ds_read_b128 v[174:177], v9 offset:608
	v_mul_f32_e32 v194, v180, v6
	s_waitcnt vmcnt(43) lgkmcnt(3)
	v_mul_f32_e32 v180, v182, v132
	v_mul_f32_e32 v5, v183, v132
	s_waitcnt vmcnt(42)
	v_mul_f32_e32 v6, v185, v131
	s_waitcnt vmcnt(41) lgkmcnt(2)
	v_mul_f32_e32 v196, v186, v12
	v_fmac_f32_e32 v194, v181, v133
	v_mul_f32_e32 v181, v184, v131
	v_fmac_f32_e32 v180, v183, v11
	v_fma_f32 v11, v182, v11, -v5
	s_waitcnt vmcnt(40)
	v_mul_f32_e32 v182, v188, v130
	v_mul_f32_e32 v5, v187, v12
	;; [unrolled: 1-line block ×3, first 2 shown]
	v_fmac_f32_e32 v181, v185, v10
	v_fma_f32 v10, v184, v10, -v6
	v_fmac_f32_e32 v196, v187, v8
	s_waitcnt vmcnt(36)
	v_fmac_f32_e32 v182, v189, v141
	v_fma_f32 v12, v186, v8, -v5
	v_fma_f32 v141, v188, v141, -v7
	ds_read_b128 v[5:8], v9 offset:624
	ds_read_b128 v[130:133], v9 offset:640
	s_waitcnt vmcnt(35) lgkmcnt(3)
	v_mul_f32_e32 v183, v1, v140
	v_mul_f32_e32 v140, v2, v140
	s_waitcnt vmcnt(34)
	v_mul_f32_e32 v184, v3, v139
	v_mul_f32_e32 v139, v4, v139
	s_waitcnt vmcnt(33) lgkmcnt(2)
	v_mul_f32_e32 v185, v174, v137
	v_fmac_f32_e32 v183, v2, v136
	v_fma_f32 v140, v1, v136, -v140
	s_waitcnt vmcnt(32)
	v_mul_f32_e32 v186, v176, v138
	v_mul_f32_e32 v1, v175, v137
	;; [unrolled: 1-line block ×3, first 2 shown]
	v_fmac_f32_e32 v184, v4, v135
	v_fma_f32 v138, v3, v135, -v139
	v_fmac_f32_e32 v185, v175, v134
	s_waitcnt vmcnt(28)
	v_fmac_f32_e32 v186, v177, v148
	v_fma_f32 v139, v174, v134, -v1
	v_fma_f32 v148, v176, v148, -v2
	ds_read_b128 v[1:4], v9 offset:656
	ds_read_b128 v[134:137], v9 offset:672
	s_waitcnt vmcnt(27) lgkmcnt(3)
	v_mul_f32_e32 v174, v5, v147
	v_mul_f32_e32 v147, v6, v147
	s_waitcnt vmcnt(26)
	v_mul_f32_e32 v175, v7, v146
	v_mul_f32_e32 v146, v8, v146
	s_waitcnt vmcnt(25) lgkmcnt(2)
	v_mul_f32_e32 v176, v130, v145
	v_mul_f32_e32 v145, v131, v145
	v_fmac_f32_e32 v174, v6, v144
	v_fma_f32 v144, v5, v144, -v147
	s_waitcnt vmcnt(24)
	v_mul_f32_e32 v147, v132, v149
	v_mul_f32_e32 v5, v133, v149
	v_fmac_f32_e32 v175, v8, v143
	v_fma_f32 v143, v7, v143, -v146
	v_fmac_f32_e32 v176, v131, v142
	v_fma_f32 v142, v130, v142, -v145
	s_waitcnt vmcnt(20)
	v_fmac_f32_e32 v147, v133, v156
	v_fma_f32 v145, v132, v156, -v5
	ds_read_b128 v[5:8], v9 offset:688
	ds_read_b128 v[130:133], v9 offset:704
	s_waitcnt vmcnt(19) lgkmcnt(3)
	v_mul_f32_e32 v149, v2, v155
	v_mul_f32_e32 v146, v1, v155
	s_waitcnt vmcnt(18)
	v_mul_f32_e32 v155, v3, v154
	v_mul_f32_e32 v154, v4, v154
	s_waitcnt vmcnt(17) lgkmcnt(2)
	v_mul_f32_e32 v156, v134, v153
	v_fma_f32 v149, v1, v152, -v149
	s_waitcnt vmcnt(16)
	v_mul_f32_e32 v1, v137, v157
	v_mul_f32_e32 v153, v135, v153
	v_fmac_f32_e32 v146, v2, v152
	v_mul_f32_e32 v152, v136, v157
	v_fmac_f32_e32 v155, v4, v151
	v_fma_f32 v151, v3, v151, -v154
	s_clause 0x4
	buffer_load_dword v154, off, s[0:3], 0 offset:284
	buffer_load_dword v157, off, s[0:3], 0 offset:304
	;; [unrolled: 1-line block ×5, first 2 shown]
	v_fmac_f32_e32 v156, v135, v150
	s_waitcnt vmcnt(17)
	v_fma_f32 v135, v136, v165, -v1
	ds_read_b128 v[1:4], v9 offset:720
	v_fmac_f32_e32 v152, v137, v165
	v_fma_f32 v134, v134, v150, -v153
	s_waitcnt vmcnt(16) lgkmcnt(2)
	v_mul_f32_e32 v136, v5, v163
	v_mul_f32_e32 v137, v6, v163
	s_waitcnt vmcnt(15)
	v_mul_f32_e32 v150, v7, v162
	v_mul_f32_e32 v153, v8, v162
	buffer_load_dword v162, off, s[0:3], 0 offset:300
	v_fmac_f32_e32 v136, v6, v161
	v_fma_f32 v137, v5, v161, -v137
	buffer_load_dword v161, off, s[0:3], 0 offset:292
	v_fmac_f32_e32 v150, v8, v159
	v_fma_f32 v153, v7, v159, -v153
	s_waitcnt vmcnt(16) lgkmcnt(1)
	v_mul_f32_e32 v159, v130, v160
	v_mul_f32_e32 v5, v131, v160
	s_waitcnt vmcnt(15)
	v_mul_f32_e32 v6, v133, v164
	v_mul_f32_e32 v160, v132, v164
	v_fmac_f32_e32 v159, v131, v158
	v_fma_f32 v158, v130, v158, -v5
	s_waitcnt vmcnt(10)
	v_fma_f32 v163, v132, v173, -v6
	ds_read_b128 v[5:8], v9 offset:736
	s_waitcnt vmcnt(9) lgkmcnt(1)
	v_mul_f32_e32 v164, v1, v172
	v_mul_f32_e32 v130, v2, v172
	s_waitcnt vmcnt(8)
	v_mul_f32_e32 v189, v3, v171
	v_fmac_f32_e32 v160, v133, v173
	s_clause 0x2
	buffer_load_dword v165, off, s[0:3], 0 offset:308
	buffer_load_dword v172, off, s[0:3], 0 offset:316
	buffer_load_dword v173, off, s[0:3], 0 offset:324
	v_fmac_f32_e32 v164, v2, v170
	v_fma_f32 v170, v1, v170, -v130
	v_mul_f32_e32 v1, v4, v171
	v_fmac_f32_e32 v189, v4, v169
	v_add_f32_e32 v2, 0, v193
	s_clause 0x3
	buffer_load_dword v171, off, s[0:3], 0 offset:336
	buffer_load_dword v197, off, s[0:3], 0 offset:328
	buffer_load_dword v198, off, s[0:3], 0 offset:320
	buffer_load_dword v199, off, s[0:3], 0 offset:312
	v_fma_f32 v169, v3, v169, -v1
	v_add_f32_e32 v1, 0, v190
	v_add_f32_e32 v2, v2, v195
	buffer_load_dword v190, off, s[0:3], 0 offset:332
	v_add_f32_e32 v1, v1, v191
	v_add_f32_e32 v2, v2, v178
	s_waitcnt lgkmcnt(0)
	v_mul_f32_e32 v3, v6, v167
	v_add_f32_e32 v1, v1, v192
	s_clause 0x1
	buffer_load_dword v191, off, s[0:3], 0 offset:340
	buffer_load_dword v192, off, s[0:3], 0 offset:348
	v_add_f32_e32 v2, v2, v179
	v_add_f32_e32 v1, v1, v194
	;; [unrolled: 1-line block ×3, first 2 shown]
	v_fma_f32 v11, v5, v166, -v3
	v_add_f32_e32 v1, v1, v180
	s_clause 0x5
	buffer_load_dword v178, off, s[0:3], 0 offset:368
	buffer_load_dword v179, off, s[0:3], 0 offset:360
	;; [unrolled: 1-line block ×6, first 2 shown]
	v_add_f32_e32 v2, v2, v10
	v_add_f32_e32 v1, v1, v181
	buffer_load_dword v181, off, s[0:3], 0 offset:356
	v_mul_f32_e32 v10, v5, v167
	v_add_f32_e32 v2, v2, v12
	v_add_f32_e32 v1, v1, v196
	v_fmac_f32_e32 v10, v6, v166
	v_add_f32_e32 v2, v2, v141
	v_add_f32_e32 v1, v1, v182
	s_clause 0x2
	buffer_load_dword v182, off, s[0:3], 0 offset:380
	buffer_load_dword v196, off, s[0:3], 0 offset:388
	buffer_load_dword v200, off, s[0:3], 0 offset:396
	v_add_f32_e32 v2, v2, v140
	v_add_f32_e32 v1, v1, v183
	s_clause 0x2
	buffer_load_dword v183, off, s[0:3], 0 offset:404
	buffer_load_dword v201, off, s[0:3], 0 offset:412
	buffer_load_dword v202, off, s[0:3], 0 offset:420
	v_add_f32_e32 v2, v2, v138
	v_add_f32_e32 v1, v1, v184
	s_clause 0x3
	buffer_load_dword v184, off, s[0:3], 0 offset:428
	buffer_load_dword v203, off, s[0:3], 0 offset:436
	buffer_load_dword v204, off, s[0:3], 0 offset:444
	buffer_load_dword v205, off, s[0:3], 0 offset:460
	v_add_f32_e32 v2, v2, v139
	v_add_f32_e32 v1, v1, v185
	buffer_load_dword v185, off, s[0:3], 0 offset:452
	v_add_f32_e32 v2, v2, v148
	v_add_f32_e32 v1, v1, v186
	;; [unrolled: 1-line block ×4, first 2 shown]
	s_clause 0x3
	buffer_load_dword v174, off, s[0:3], 0 offset:400
	buffer_load_dword v186, off, s[0:3], 0 offset:392
	;; [unrolled: 1-line block ×4, first 2 shown]
	v_add_f32_e32 v2, v2, v143
	v_add_f32_e32 v1, v1, v175
	;; [unrolled: 1-line block ×4, first 2 shown]
	s_clause 0x7
	buffer_load_dword v175, off, s[0:3], 0 offset:432
	buffer_load_dword v176, off, s[0:3], 0 offset:424
	buffer_load_dword v208, off, s[0:3], 0 offset:416
	buffer_load_dword v209, off, s[0:3], 0 offset:408
	buffer_load_dword v210, off, s[0:3], 0 offset:456
	buffer_load_dword v211, off, s[0:3], 0 offset:448
	buffer_load_dword v212, off, s[0:3], 0 offset:440
	buffer_load_dword v213, off, s[0:3], 0 offset:56
	v_add_f32_e32 v2, v2, v145
	v_add_f32_e32 v1, v1, v147
	;; [unrolled: 1-line block ×8, first 2 shown]
	ds_read_b128 v[1:4], v9 offset:752
	v_add_f32_e32 v12, v5, v135
	v_add_f32_e32 v130, v6, v152
	;; [unrolled: 1-line block ×4, first 2 shown]
	ds_read_b128 v[130:133], v9 offset:784
	v_add_f32_e32 v12, v12, v153
	v_add_f32_e32 v134, v134, v150
	;; [unrolled: 1-line block ×3, first 2 shown]
	s_waitcnt vmcnt(46)
	v_mul_f32_e32 v146, v7, v154
	v_mul_f32_e32 v5, v8, v154
	s_waitcnt vmcnt(42)
	v_fmac_f32_e32 v146, v8, v188
	v_fma_f32 v147, v7, v188, -v5
	ds_read_b128 v[5:8], v9 offset:768
	s_waitcnt vmcnt(41) lgkmcnt(2)
	v_mul_f32_e32 v138, v4, v162
	s_waitcnt vmcnt(40)
	v_mul_f32_e32 v135, v2, v161
	v_mul_f32_e32 v148, v1, v161
	v_fma_f32 v153, v3, v177, -v138
	v_fma_f32 v149, v1, v187, -v135
	v_add_f32_e32 v1, v134, v159
	v_fmac_f32_e32 v148, v2, v187
	v_add_f32_e32 v2, v12, v163
	ds_read_b128 v[134:137], v9 offset:800
	v_mul_f32_e32 v12, v3, v162
	v_add_f32_e32 v1, v1, v160
	v_add_f32_e32 v2, v2, v170
	s_waitcnt vmcnt(39) lgkmcnt(1)
	v_mul_f32_e32 v139, v6, v165
	v_mul_f32_e32 v150, v5, v165
	v_add_f32_e32 v1, v1, v164
	s_waitcnt vmcnt(37)
	v_mul_f32_e32 v152, v130, v173
	v_fmac_f32_e32 v12, v4, v177
	v_fma_f32 v154, v5, v157, -v139
	v_add_f32_e32 v5, v2, v169
	v_fmac_f32_e32 v150, v6, v157
	v_add_f32_e32 v6, v1, v189
	v_mul_f32_e32 v142, v8, v172
	v_mul_f32_e32 v143, v131, v173
	v_add_f32_e32 v11, v5, v11
	s_waitcnt vmcnt(34)
	v_fmac_f32_e32 v152, v131, v198
	v_add_f32_e32 v10, v6, v10
	v_mul_f32_e32 v151, v7, v172
	s_waitcnt vmcnt(33)
	v_fma_f32 v155, v7, v199, -v142
	v_add_f32_e32 v11, v11, v147
	ds_read_b128 v[1:4], v9 offset:816
	ds_read_b128 v[138:141], v9 offset:832
	v_add_f32_e32 v10, v10, v146
	v_fmac_f32_e32 v151, v8, v199
	v_fma_f32 v156, v130, v198, -v143
	s_waitcnt vmcnt(31) lgkmcnt(2)
	v_mul_f32_e32 v158, v134, v191
	v_add_f32_e32 v11, v11, v149
	s_waitcnt vmcnt(30)
	v_mul_f32_e32 v159, v136, v192
	v_add_f32_e32 v10, v10, v148
	v_mul_f32_e32 v131, v135, v191
	v_fmac_f32_e32 v158, v135, v171
	v_add_f32_e32 v135, v11, v153
	v_mul_f32_e32 v160, v137, v192
	v_mul_f32_e32 v130, v133, v190
	;; [unrolled: 1-line block ×3, first 2 shown]
	v_fma_f32 v134, v134, v171, -v131
	s_waitcnt vmcnt(26)
	v_fmac_f32_e32 v159, v137, v193
	v_add_f32_e32 v137, v10, v12
	v_add_f32_e32 v135, v135, v154
	v_fma_f32 v161, v132, v197, -v130
	v_fmac_f32_e32 v157, v133, v197
	v_fma_f32 v136, v136, v193, -v160
	v_add_f32_e32 v137, v137, v150
	v_add_f32_e32 v135, v135, v155
	s_waitcnt vmcnt(23) lgkmcnt(1)
	v_mul_f32_e32 v154, v2, v181
	ds_read_b128 v[5:8], v9 offset:848
	ds_read_b128 v[142:145], v9 offset:864
	v_mul_f32_e32 v153, v1, v181
	v_add_f32_e32 v137, v137, v151
	v_add_f32_e32 v135, v135, v156
	v_mul_f32_e32 v160, v4, v194
	v_fma_f32 v1, v1, v180, -v154
	v_mul_f32_e32 v150, v3, v194
	v_add_f32_e32 v137, v137, v152
	v_add_f32_e32 v135, v135, v161
	v_fmac_f32_e32 v153, v2, v180
	v_fma_f32 v3, v3, v179, -v160
	s_waitcnt lgkmcnt(2)
	v_mul_f32_e32 v155, v138, v195
	v_add_f32_e32 v137, v137, v157
	v_add_f32_e32 v134, v135, v134
	v_fmac_f32_e32 v150, v4, v179
	s_waitcnt vmcnt(22)
	v_mul_f32_e32 v151, v140, v182
	v_fmac_f32_e32 v155, v139, v178
	v_add_f32_e32 v137, v137, v158
	v_add_f32_e32 v134, v134, v136
	ds_read_b128 v[130:133], v9 offset:880
	ds_read_b128 v[146:149], v9 offset:896
	s_waitcnt vmcnt(21) lgkmcnt(3)
	v_mul_f32_e32 v162, v5, v196
	s_waitcnt vmcnt(20)
	v_mul_f32_e32 v156, v7, v200
	v_add_f32_e32 v136, v137, v159
	v_mul_f32_e32 v137, v139, v195
	v_add_f32_e32 v1, v134, v1
	v_mul_f32_e32 v134, v141, v182
	s_waitcnt vmcnt(19) lgkmcnt(2)
	v_mul_f32_e32 v152, v142, v183
	v_add_f32_e32 v4, v136, v153
	v_fma_f32 v136, v138, v178, -v137
	v_add_f32_e32 v1, v1, v3
	s_waitcnt vmcnt(9)
	v_fmac_f32_e32 v162, v6, v206
	s_waitcnt vmcnt(8)
	v_fma_f32 v134, v140, v207, -v134
	v_add_f32_e32 v3, v4, v150
	v_mul_f32_e32 v4, v6, v196
	v_add_f32_e32 v1, v1, v136
	v_fmac_f32_e32 v151, v141, v207
	v_mul_f32_e32 v136, v8, v200
	v_add_f32_e32 v3, v3, v155
	v_fma_f32 v4, v5, v206, -v4
	v_add_f32_e32 v1, v1, v134
	v_mul_f32_e32 v5, v143, v183
	v_fma_f32 v6, v7, v186, -v136
	v_add_f32_e32 v3, v3, v151
	v_fmac_f32_e32 v156, v8, v186
	v_add_f32_e32 v1, v1, v4
	v_mul_f32_e32 v4, v145, v201
	v_fma_f32 v5, v142, v174, -v5
	v_add_f32_e32 v3, v3, v162
	v_mul_f32_e32 v163, v144, v201
	v_add_f32_e32 v1, v1, v6
	v_fmac_f32_e32 v152, v143, v174
	ds_read_b128 v[9:12], v9 offset:912
	v_add_f32_e32 v3, v3, v156
	s_waitcnt lgkmcnt(2)
	v_mul_f32_e32 v6, v131, v202
	s_waitcnt vmcnt(4)
	v_fma_f32 v4, v144, v209, -v4
	v_add_f32_e32 v1, v1, v5
	v_mul_f32_e32 v161, v130, v202
	v_fmac_f32_e32 v163, v145, v209
	v_add_f32_e32 v3, v3, v152
	v_mul_f32_e32 v5, v133, v184
	v_fma_f32 v6, v130, v208, -v6
	v_add_f32_e32 v1, v1, v4
	v_mul_f32_e32 v157, v132, v184
	v_fmac_f32_e32 v161, v131, v208
	v_add_f32_e32 v3, v3, v163
	s_waitcnt lgkmcnt(1)
	v_mul_f32_e32 v4, v147, v203
	v_fma_f32 v5, v132, v176, -v5
	v_add_f32_e32 v1, v1, v6
	v_mul_f32_e32 v164, v146, v203
	v_fmac_f32_e32 v157, v133, v176
	v_add_f32_e32 v3, v3, v161
	v_mul_f32_e32 v6, v149, v204
	v_fma_f32 v4, v146, v175, -v4
	v_add_f32_e32 v1, v1, v5
	v_mul_f32_e32 v135, v148, v204
	v_fmac_f32_e32 v164, v147, v175
	v_add_f32_e32 v3, v3, v157
	s_waitcnt lgkmcnt(0)
	v_mul_f32_e32 v5, v10, v185
	s_waitcnt vmcnt(1)
	v_fma_f32 v6, v148, v212, -v6
	v_add_f32_e32 v1, v1, v4
	v_mul_f32_e32 v158, v9, v185
	v_fmac_f32_e32 v135, v149, v212
	v_add_f32_e32 v3, v3, v164
	v_mul_f32_e32 v4, v12, v205
	v_fma_f32 v5, v9, v211, -v5
	v_add_f32_e32 v1, v1, v6
	v_mul_f32_e32 v2, v11, v205
	v_fmac_f32_e32 v158, v10, v211
	v_add_f32_e32 v3, v3, v135
	v_fma_f32 v4, v11, v210, -v4
	v_add_f32_e32 v1, v1, v5
	v_fmac_f32_e32 v2, v12, v210
	v_add_f32_e32 v3, v3, v158
	v_add_f32_e32 v1, v1, v4
	v_add_f32_e32 v2, v3, v2
	s_waitcnt vmcnt(0)
	v_sub_f32_e32 v1, v213, v1
	v_sub_f32_e32 v2, v168, v2
	buffer_store_dword v1, off, s[0:3], 0 offset:56
	buffer_store_dword v2, off, s[0:3], 0 offset:60
	v_cmpx_lt_u32_e32 6, v0
	s_cbranch_execz .LBB57_349
; %bb.348:
	s_clause 0x1
	buffer_load_dword v1, off, s[0:3], 0 offset:48
	buffer_load_dword v2, off, s[0:3], 0 offset:52
	v_mov_b32_e32 v3, 0
	buffer_store_dword v3, off, s[0:3], 0 offset:48
	buffer_store_dword v3, off, s[0:3], 0 offset:52
	s_waitcnt vmcnt(0)
	ds_write_b64 v129, v[1:2]
.LBB57_349:
	s_or_b32 exec_lo, exec_lo, s4
	s_waitcnt lgkmcnt(0)
	s_waitcnt_vscnt null, 0x0
	s_barrier
	buffer_gl0_inv
	s_clause 0x35
	buffer_load_dword v2, off, s[0:3], 0 offset:60
	buffer_load_dword v4, off, s[0:3], 0 offset:68
	;; [unrolled: 1-line block ×54, first 2 shown]
	v_mov_b32_e32 v1, 0
	ds_read2_b64 v[174:177], v1 offset0:65 offset1:66
	ds_read2_b64 v[178:181], v1 offset0:67 offset1:68
	buffer_load_dword v171, off, s[0:3], 0 offset:52
	ds_read2_b64 v[182:185], v1 offset0:69 offset1:70
	ds_read2_b64 v[186:189], v1 offset0:71 offset1:72
	s_mov_b32 s4, exec_lo
	s_waitcnt vmcnt(54) lgkmcnt(3)
	v_mul_f32_e32 v190, v174, v2
	v_mul_f32_e32 v2, v175, v2
	s_waitcnt vmcnt(53)
	v_mul_f32_e32 v191, v176, v4
	v_mul_f32_e32 v4, v177, v4
	s_waitcnt vmcnt(52) lgkmcnt(2)
	v_mul_f32_e32 v192, v178, v6
	v_mul_f32_e32 v6, v179, v6
	s_waitcnt vmcnt(49)
	v_fma_f32 v193, v174, v8, -v2
	s_waitcnt vmcnt(48)
	v_mul_f32_e32 v2, v181, v7
	v_fmac_f32_e32 v190, v175, v8
	v_fmac_f32_e32 v191, v177, v5
	v_fma_f32 v195, v176, v5, -v4
	v_fmac_f32_e32 v192, v179, v3
	v_fma_f32 v178, v178, v3, -v6
	s_waitcnt vmcnt(44)
	v_fma_f32 v179, v180, v133, -v2
	ds_read2_b64 v[2:5], v1 offset0:73 offset1:74
	ds_read2_b64 v[174:177], v1 offset0:75 offset1:76
	v_mul_f32_e32 v194, v180, v7
	s_waitcnt vmcnt(43) lgkmcnt(3)
	v_mul_f32_e32 v180, v182, v131
	v_mul_f32_e32 v6, v183, v131
	s_waitcnt vmcnt(42)
	v_mul_f32_e32 v7, v185, v132
	s_waitcnt vmcnt(41) lgkmcnt(2)
	v_mul_f32_e32 v196, v186, v130
	v_fmac_f32_e32 v194, v181, v133
	v_mul_f32_e32 v181, v184, v132
	v_mul_f32_e32 v8, v187, v130
	v_fmac_f32_e32 v180, v183, v11
	v_fma_f32 v11, v182, v11, -v6
	s_waitcnt vmcnt(40)
	v_mul_f32_e32 v182, v188, v12
	v_mul_f32_e32 v6, v189, v12
	v_fmac_f32_e32 v181, v185, v10
	v_fma_f32 v10, v184, v10, -v7
	v_fmac_f32_e32 v196, v187, v9
	v_fma_f32 v12, v186, v9, -v8
	s_waitcnt vmcnt(36)
	v_fmac_f32_e32 v182, v189, v141
	v_fma_f32 v141, v188, v141, -v6
	ds_read2_b64 v[6:9], v1 offset0:77 offset1:78
	ds_read2_b64 v[130:133], v1 offset0:79 offset1:80
	s_waitcnt vmcnt(35) lgkmcnt(3)
	v_mul_f32_e32 v183, v2, v140
	v_mul_f32_e32 v140, v3, v140
	s_waitcnt vmcnt(34)
	v_mul_f32_e32 v184, v4, v139
	v_mul_f32_e32 v139, v5, v139
	s_waitcnt vmcnt(33) lgkmcnt(2)
	v_mul_f32_e32 v185, v174, v137
	v_fmac_f32_e32 v183, v3, v136
	v_fma_f32 v140, v2, v136, -v140
	s_waitcnt vmcnt(32)
	v_mul_f32_e32 v186, v176, v138
	v_mul_f32_e32 v2, v175, v137
	;; [unrolled: 1-line block ×3, first 2 shown]
	v_fmac_f32_e32 v184, v5, v135
	v_fma_f32 v138, v4, v135, -v139
	v_fmac_f32_e32 v185, v175, v134
	s_waitcnt vmcnt(28)
	v_fmac_f32_e32 v186, v177, v149
	v_fma_f32 v139, v174, v134, -v2
	v_fma_f32 v149, v176, v149, -v3
	ds_read2_b64 v[2:5], v1 offset0:81 offset1:82
	ds_read2_b64 v[134:137], v1 offset0:83 offset1:84
	s_waitcnt vmcnt(27) lgkmcnt(3)
	v_mul_f32_e32 v174, v6, v148
	v_mul_f32_e32 v148, v7, v148
	s_waitcnt vmcnt(26)
	v_mul_f32_e32 v175, v8, v147
	v_mul_f32_e32 v147, v9, v147
	s_waitcnt vmcnt(25) lgkmcnt(2)
	v_mul_f32_e32 v176, v130, v146
	v_fmac_f32_e32 v174, v7, v144
	v_fma_f32 v144, v6, v144, -v148
	v_fmac_f32_e32 v175, v9, v143
	v_fma_f32 v143, v8, v143, -v147
	s_clause 0x4
	buffer_load_dword v147, off, s[0:3], 0 offset:276
	buffer_load_dword v148, off, s[0:3], 0 offset:296
	;; [unrolled: 1-line block ×5, first 2 shown]
	v_mul_f32_e32 v146, v131, v146
	s_waitcnt vmcnt(29)
	v_mul_f32_e32 v6, v133, v145
	v_mul_f32_e32 v189, v132, v145
	v_fmac_f32_e32 v176, v131, v142
	v_fma_f32 v130, v130, v142, -v146
	s_waitcnt vmcnt(24)
	v_fma_f32 v132, v132, v158, -v6
	ds_read2_b64 v[6:9], v1 offset0:85 offset1:86
	buffer_load_dword v146, off, s[0:3], 0 offset:284
	s_waitcnt lgkmcnt(2)
	v_mul_f32_e32 v131, v2, v150
	v_mul_f32_e32 v142, v3, v150
	v_fmac_f32_e32 v189, v133, v158
	s_waitcnt vmcnt(24)
	v_mul_f32_e32 v133, v4, v156
	v_mul_f32_e32 v145, v5, v156
	v_fmac_f32_e32 v131, v3, v154
	v_fma_f32 v142, v2, v154, -v142
	s_waitcnt vmcnt(23) lgkmcnt(1)
	v_mul_f32_e32 v150, v134, v153
	v_mul_f32_e32 v2, v135, v153
	s_waitcnt vmcnt(22)
	v_mul_f32_e32 v3, v137, v157
	v_fmac_f32_e32 v133, v5, v152
	v_fma_f32 v145, v4, v152, -v145
	s_clause 0x1
	buffer_load_dword v152, off, s[0:3], 0 offset:292
	buffer_load_dword v153, off, s[0:3], 0 offset:300
	v_mul_f32_e32 v154, v136, v157
	v_fmac_f32_e32 v150, v135, v151
	v_fma_f32 v134, v134, v151, -v2
	s_clause 0x1
	buffer_load_dword v151, off, s[0:3], 0 offset:308
	buffer_load_dword v156, off, s[0:3], 0 offset:316
	v_add_f32_e32 v135, 0, v190
	s_waitcnt vmcnt(22)
	v_fma_f32 v136, v136, v165, -v3
	ds_read2_b64 v[2:5], v1 offset0:87 offset1:88
	v_fmac_f32_e32 v154, v137, v165
	s_waitcnt vmcnt(21) lgkmcnt(1)
	v_mul_f32_e32 v137, v6, v164
	v_mul_f32_e32 v157, v7, v164
	v_add_f32_e32 v135, v135, v191
	v_add_f32_e32 v164, 0, v193
	s_waitcnt vmcnt(20)
	v_mul_f32_e32 v158, v8, v163
	v_mul_f32_e32 v163, v9, v163
	v_fmac_f32_e32 v137, v7, v162
	v_fma_f32 v157, v6, v162, -v157
	v_add_f32_e32 v6, v164, v195
	v_add_f32_e32 v7, v135, v192
	v_fmac_f32_e32 v158, v9, v161
	v_fma_f32 v161, v8, v161, -v163
	s_clause 0x3
	buffer_load_dword v162, off, s[0:3], 0 offset:328
	buffer_load_dword v163, off, s[0:3], 0 offset:320
	buffer_load_dword v164, off, s[0:3], 0 offset:312
	buffer_load_dword v165, off, s[0:3], 0 offset:304
	v_add_f32_e32 v6, v6, v178
	v_add_f32_e32 v135, v7, v194
	s_clause 0x2
	buffer_load_dword v178, off, s[0:3], 0 offset:324
	buffer_load_dword v190, off, s[0:3], 0 offset:332
	buffer_load_dword v191, off, s[0:3], 0 offset:340
	v_add_f32_e32 v179, v6, v179
	ds_read2_b64 v[6:9], v1 offset0:89 offset1:90
	v_add_f32_e32 v135, v135, v180
	s_waitcnt vmcnt(26) lgkmcnt(1)
	v_mul_f32_e32 v180, v2, v159
	v_mul_f32_e32 v159, v3, v159
	v_add_f32_e32 v11, v179, v11
	s_waitcnt vmcnt(25)
	v_mul_f32_e32 v179, v4, v160
	v_mul_f32_e32 v160, v5, v160
	v_fmac_f32_e32 v180, v3, v155
	v_add_f32_e32 v3, v135, v181
	v_fma_f32 v135, v2, v155, -v159
	v_add_f32_e32 v2, v11, v10
	s_waitcnt vmcnt(20)
	v_fmac_f32_e32 v179, v5, v173
	v_fma_f32 v155, v4, v173, -v160
	v_add_f32_e32 v10, v3, v196
	s_clause 0x4
	buffer_load_dword v159, off, s[0:3], 0 offset:360
	buffer_load_dword v160, off, s[0:3], 0 offset:352
	;; [unrolled: 1-line block ×5, first 2 shown]
	v_add_f32_e32 v12, v2, v12
	ds_read2_b64 v[2:5], v1 offset0:91 offset1:92
	v_add_f32_e32 v10, v10, v182
	s_clause 0x1
	buffer_load_dword v182, off, s[0:3], 0 offset:356
	buffer_load_dword v193, off, s[0:3], 0 offset:364
	s_waitcnt vmcnt(26) lgkmcnt(1)
	v_mul_f32_e32 v192, v6, v172
	v_mul_f32_e32 v172, v7, v172
	v_add_f32_e32 v12, v12, v141
	v_add_f32_e32 v10, v10, v183
	buffer_load_dword v183, off, s[0:3], 0 offset:372
	v_fmac_f32_e32 v192, v7, v170
	v_fma_f32 v141, v6, v170, -v172
	s_waitcnt vmcnt(26)
	v_mul_f32_e32 v170, v8, v169
	v_add_f32_e32 v7, v10, v184
	v_mul_f32_e32 v10, v9, v169
	v_add_f32_e32 v6, v12, v140
	s_clause 0x2
	buffer_load_dword v12, off, s[0:3], 0 offset:380
	buffer_load_dword v172, off, s[0:3], 0 offset:388
	;; [unrolled: 1-line block ×3, first 2 shown]
	v_add_f32_e32 v7, v7, v185
	v_fmac_f32_e32 v170, v9, v168
	v_fma_f32 v10, v8, v168, -v10
	s_clause 0x1
	buffer_load_dword v168, off, s[0:3], 0 offset:404
	buffer_load_dword v184, off, s[0:3], 0 offset:412
	v_add_f32_e32 v6, v6, v138
	v_add_f32_e32 v7, v7, v186
	s_clause 0x2
	buffer_load_dword v185, off, s[0:3], 0 offset:420
	buffer_load_dword v186, off, s[0:3], 0 offset:428
	;; [unrolled: 1-line block ×3, first 2 shown]
	s_waitcnt lgkmcnt(0)
	v_mul_f32_e32 v138, v2, v167
	v_mul_f32_e32 v8, v3, v167
	v_add_f32_e32 v6, v6, v139
	v_add_f32_e32 v7, v7, v174
	s_clause 0x2
	buffer_load_dword v174, off, s[0:3], 0 offset:444
	buffer_load_dword v195, off, s[0:3], 0 offset:452
	;; [unrolled: 1-line block ×3, first 2 shown]
	v_fmac_f32_e32 v138, v3, v166
	v_fma_f32 v139, v2, v166, -v8
	v_add_f32_e32 v6, v6, v149
	v_add_f32_e32 v7, v7, v175
	s_clause 0x3
	buffer_load_dword v175, off, s[0:3], 0 offset:392
	buffer_load_dword v197, off, s[0:3], 0 offset:384
	;; [unrolled: 1-line block ×4, first 2 shown]
	v_add_f32_e32 v6, v6, v144
	v_add_f32_e32 v7, v7, v176
	v_add_f32_e32 v6, v6, v143
	v_add_f32_e32 v7, v7, v189
	s_clause 0x8
	buffer_load_dword v176, off, s[0:3], 0 offset:424
	buffer_load_dword v189, off, s[0:3], 0 offset:416
	;; [unrolled: 1-line block ×9, first 2 shown]
	v_add_f32_e32 v6, v6, v130
	v_add_f32_e32 v7, v7, v131
	;; [unrolled: 1-line block ×11, first 2 shown]
	ds_read2_b64 v[6:9], v1 offset0:93 offset1:94
	v_add_f32_e32 v134, v130, v158
	v_add_f32_e32 v131, v3, v157
	;; [unrolled: 1-line block ×4, first 2 shown]
	ds_read2_b64 v[130:133], v1 offset0:97 offset1:98
	v_add_f32_e32 v140, v134, v179
	v_add_f32_e32 v135, v136, v135
	s_waitcnt vmcnt(48)
	v_mul_f32_e32 v142, v4, v147
	v_mul_f32_e32 v2, v5, v147
	s_waitcnt vmcnt(44)
	v_fmac_f32_e32 v142, v5, v188
	v_fma_f32 v143, v4, v188, -v2
	ds_read2_b64 v[2:5], v1 offset0:95 offset1:96
	s_waitcnt vmcnt(43) lgkmcnt(2)
	v_mul_f32_e32 v137, v7, v146
	v_mul_f32_e32 v147, v6, v146
	v_fma_f32 v146, v6, v187, -v137
	v_add_f32_e32 v6, v135, v155
	v_fmac_f32_e32 v147, v7, v187
	v_add_f32_e32 v7, v140, v192
	ds_read2_b64 v[134:137], v1 offset0:99 offset1:100
	v_add_f32_e32 v6, v6, v141
	s_waitcnt vmcnt(42)
	v_mul_f32_e32 v149, v8, v152
	v_add_f32_e32 v7, v7, v170
	s_waitcnt vmcnt(41) lgkmcnt(1)
	v_mul_f32_e32 v150, v2, v153
	v_mul_f32_e32 v141, v3, v153
	v_add_f32_e32 v6, v6, v10
	s_waitcnt vmcnt(39)
	v_mul_f32_e32 v145, v131, v156
	v_mul_f32_e32 v140, v9, v152
	v_fmac_f32_e32 v150, v3, v148
	v_mul_f32_e32 v152, v4, v151
	v_add_f32_e32 v3, v6, v139
	v_mul_f32_e32 v144, v5, v151
	v_mul_f32_e32 v151, v130, v156
	v_fma_f32 v153, v2, v148, -v141
	v_add_f32_e32 v2, v7, v138
	v_fma_f32 v10, v8, v177, -v140
	v_fmac_f32_e32 v149, v9, v177
	ds_read2_b64 v[6:9], v1 offset0:101 offset1:102
	ds_read2_b64 v[138:141], v1 offset0:103 offset1:104
	s_waitcnt vmcnt(36)
	v_fma_f32 v155, v130, v164, -v145
	v_add_f32_e32 v130, v3, v143
	v_fmac_f32_e32 v151, v131, v164
	v_add_f32_e32 v131, v2, v142
	s_waitcnt vmcnt(35)
	v_fma_f32 v154, v4, v165, -v144
	v_fmac_f32_e32 v152, v5, v165
	v_add_f32_e32 v130, v130, v146
	s_waitcnt vmcnt(34)
	v_mul_f32_e32 v156, v132, v178
	v_add_f32_e32 v131, v131, v147
	v_mul_f32_e32 v147, v133, v178
	s_waitcnt vmcnt(33) lgkmcnt(2)
	v_mul_f32_e32 v157, v134, v190
	v_add_f32_e32 v10, v130, v10
	v_mul_f32_e32 v146, v135, v190
	v_add_f32_e32 v131, v131, v149
	v_fmac_f32_e32 v156, v133, v163
	v_fma_f32 v163, v132, v163, -v147
	v_add_f32_e32 v153, v10, v153
	s_waitcnt vmcnt(32)
	v_mul_f32_e32 v161, v137, v191
	v_add_f32_e32 v150, v131, v150
	v_fmac_f32_e32 v157, v135, v162
	v_fma_f32 v162, v134, v162, -v146
	v_add_f32_e32 v153, v153, v154
	v_mul_f32_e32 v158, v136, v191
	v_add_f32_e32 v150, v150, v152
	s_waitcnt vmcnt(28)
	v_fma_f32 v161, v136, v11, -v161
	s_waitcnt vmcnt(27) lgkmcnt(1)
	v_mul_f32_e32 v164, v7, v181
	v_add_f32_e32 v153, v153, v155
	ds_read2_b64 v[2:5], v1 offset0:105 offset1:106
	ds_read2_b64 v[142:145], v1 offset0:107 offset1:108
	v_add_f32_e32 v150, v150, v151
	v_fmac_f32_e32 v158, v137, v11
	v_mul_f32_e32 v152, v6, v181
	v_add_f32_e32 v153, v153, v163
	s_waitcnt vmcnt(26)
	v_mul_f32_e32 v165, v9, v182
	v_add_f32_e32 v150, v150, v156
	v_fma_f32 v6, v6, v173, -v164
	v_mul_f32_e32 v154, v8, v182
	v_add_f32_e32 v153, v153, v162
	v_fmac_f32_e32 v152, v7, v173
	v_add_f32_e32 v150, v150, v157
	s_waitcnt vmcnt(25) lgkmcnt(2)
	v_mul_f32_e32 v164, v139, v193
	v_fma_f32 v8, v8, v160, -v165
	v_add_f32_e32 v153, v153, v161
	v_mul_f32_e32 v151, v138, v193
	v_add_f32_e32 v150, v150, v158
	v_fmac_f32_e32 v154, v9, v160
	s_waitcnt vmcnt(24)
	v_mul_f32_e32 v158, v141, v183
	v_add_f32_e32 v6, v153, v6
	v_fma_f32 v138, v138, v159, -v164
	v_add_f32_e32 v150, v150, v152
	v_mul_f32_e32 v155, v140, v183
	v_fmac_f32_e32 v151, v139, v159
	v_add_f32_e32 v6, v6, v8
	s_waitcnt vmcnt(23) lgkmcnt(1)
	v_mul_f32_e32 v7, v2, v12
	v_add_f32_e32 v8, v150, v154
	v_mul_f32_e32 v12, v3, v12
	ds_read2_b64 v[130:133], v1 offset0:109 offset1:110
	ds_read2_b64 v[146:149], v1 offset0:111 offset1:112
	v_add_f32_e32 v6, v6, v138
	s_waitcnt vmcnt(9)
	v_fma_f32 v139, v140, v199, -v158
	v_fmac_f32_e32 v155, v141, v199
	v_add_f32_e32 v8, v8, v151
	v_mul_f32_e32 v138, v5, v172
	v_fmac_f32_e32 v7, v3, v198
	v_fma_f32 v2, v2, v198, -v12
	v_add_f32_e32 v3, v6, v139
	v_mul_f32_e32 v156, v4, v172
	v_add_f32_e32 v6, v8, v155
	s_waitcnt lgkmcnt(2)
	v_mul_f32_e32 v8, v143, v169
	v_fma_f32 v4, v4, v197, -v138
	v_add_f32_e32 v2, v3, v2
	v_mul_f32_e32 v163, v142, v169
	v_fmac_f32_e32 v156, v5, v197
	v_add_f32_e32 v3, v6, v7
	v_mul_f32_e32 v5, v145, v168
	v_fma_f32 v6, v142, v175, -v8
	v_add_f32_e32 v2, v2, v4
	v_mul_f32_e32 v9, v144, v168
	v_fmac_f32_e32 v163, v143, v175
	v_add_f32_e32 v3, v3, v156
	s_waitcnt lgkmcnt(1)
	v_mul_f32_e32 v4, v131, v184
	s_waitcnt vmcnt(5)
	v_fma_f32 v5, v144, v201, -v5
	v_add_f32_e32 v2, v2, v6
	ds_read2_b64 v[134:137], v1 offset0:113 offset1:114
	ds_read_b64 v[10:11], v1 offset:920
	v_mul_f32_e32 v160, v130, v184
	v_fmac_f32_e32 v9, v145, v201
	v_add_f32_e32 v3, v3, v163
	v_mul_f32_e32 v6, v133, v185
	v_fma_f32 v4, v130, v200, -v4
	v_add_f32_e32 v2, v2, v5
	v_mul_f32_e32 v157, v132, v185
	v_fmac_f32_e32 v160, v131, v200
	v_add_f32_e32 v3, v3, v9
	s_waitcnt lgkmcnt(2)
	v_mul_f32_e32 v5, v147, v186
	v_fma_f32 v6, v132, v189, -v6
	v_add_f32_e32 v2, v2, v4
	v_mul_f32_e32 v162, v146, v186
	v_fmac_f32_e32 v157, v133, v189
	v_add_f32_e32 v3, v3, v160
	v_mul_f32_e32 v4, v149, v194
	v_fma_f32 v5, v146, v176, -v5
	v_add_f32_e32 v2, v2, v6
	v_mul_f32_e32 v165, v148, v194
	v_fmac_f32_e32 v162, v147, v176
	v_add_f32_e32 v3, v3, v157
	s_waitcnt lgkmcnt(1)
	v_mul_f32_e32 v6, v135, v174
	s_waitcnt vmcnt(1)
	v_fma_f32 v4, v148, v205, -v4
	v_add_f32_e32 v2, v2, v5
	v_mul_f32_e32 v161, v134, v174
	v_fmac_f32_e32 v165, v149, v205
	v_add_f32_e32 v3, v3, v162
	v_mul_f32_e32 v5, v137, v195
	v_fma_f32 v6, v134, v204, -v6
	v_add_f32_e32 v2, v2, v4
	v_mul_f32_e32 v166, v136, v195
	v_fmac_f32_e32 v161, v135, v204
	v_add_f32_e32 v3, v3, v165
	s_waitcnt lgkmcnt(0)
	v_mul_f32_e32 v4, v11, v196
	v_fma_f32 v5, v136, v203, -v5
	v_add_f32_e32 v2, v2, v6
	v_mul_f32_e32 v152, v10, v196
	v_fmac_f32_e32 v166, v137, v203
	v_add_f32_e32 v3, v3, v161
	v_fma_f32 v4, v10, v202, -v4
	v_add_f32_e32 v2, v2, v5
	v_fmac_f32_e32 v152, v11, v202
	v_add_f32_e32 v3, v3, v166
	v_add_f32_e32 v2, v2, v4
	;; [unrolled: 1-line block ×3, first 2 shown]
	s_waitcnt vmcnt(0)
	v_sub_f32_e32 v2, v206, v2
	v_sub_f32_e32 v3, v171, v3
	buffer_store_dword v2, off, s[0:3], 0 offset:48
	buffer_store_dword v3, off, s[0:3], 0 offset:52
	v_cmpx_lt_u32_e32 5, v0
	s_cbranch_execz .LBB57_351
; %bb.350:
	s_clause 0x1
	buffer_load_dword v2, off, s[0:3], 0 offset:40
	buffer_load_dword v3, off, s[0:3], 0 offset:44
	buffer_store_dword v1, off, s[0:3], 0 offset:40
	buffer_store_dword v1, off, s[0:3], 0 offset:44
	s_waitcnt vmcnt(0)
	ds_write_b64 v129, v[2:3]
.LBB57_351:
	s_or_b32 exec_lo, exec_lo, s4
	s_waitcnt lgkmcnt(0)
	s_waitcnt_vscnt null, 0x0
	s_barrier
	buffer_gl0_inv
	s_clause 0x3b
	buffer_load_dword v165, off, s[0:3], 0 offset:52
	buffer_load_dword v2, off, s[0:3], 0 offset:64
	;; [unrolled: 1-line block ×60, first 2 shown]
	ds_read_b128 v[179:182], v1 offset:512
	ds_read_b128 v[183:186], v1 offset:528
	;; [unrolled: 1-line block ×3, first 2 shown]
	s_mov_b32 s4, exec_lo
	s_waitcnt vmcnt(59) lgkmcnt(2)
	v_mul_f32_e32 v191, v179, v165
	v_mul_f32_e32 v192, v180, v165
	buffer_load_dword v165, off, s[0:3], 0 offset:44
	s_waitcnt vmcnt(56)
	v_mul_f32_e32 v193, v181, v6
	v_mul_f32_e32 v6, v182, v6
	v_fmac_f32_e32 v191, v180, v7
	v_fma_f32 v192, v179, v7, -v192
	s_waitcnt vmcnt(55) lgkmcnt(1)
	v_mul_f32_e32 v195, v183, v5
	v_fmac_f32_e32 v193, v182, v4
	v_fma_f32 v194, v181, v4, -v6
	v_mul_f32_e32 v179, v184, v5
	ds_read_b128 v[4:7], v1 offset:560
	v_fmac_f32_e32 v195, v184, v2
	s_waitcnt vmcnt(49) lgkmcnt(1)
	v_mul_f32_e32 v199, v187, v131
	v_mul_f32_e32 v197, v185, v3
	v_fma_f32 v196, v183, v2, -v179
	v_mul_f32_e32 v2, v186, v3
	ds_read_b128 v[179:182], v1 offset:576
	v_fmac_f32_e32 v199, v188, v12
	v_fmac_f32_e32 v197, v186, v132
	v_fma_f32 v198, v185, v132, -v2
	v_mul_f32_e32 v2, v188, v131
	ds_read_b128 v[183:186], v1 offset:592
	v_fma_f32 v12, v187, v12, -v2
	s_waitcnt vmcnt(48)
	v_mul_f32_e32 v187, v189, v130
	v_mul_f32_e32 v2, v190, v130
	s_waitcnt vmcnt(47) lgkmcnt(2)
	v_mul_f32_e32 v188, v4, v11
	v_fmac_f32_e32 v187, v190, v10
	v_fma_f32 v10, v189, v10, -v2
	v_mul_f32_e32 v2, v5, v11
	s_waitcnt vmcnt(46)
	v_mul_f32_e32 v189, v6, v9
	v_fmac_f32_e32 v188, v5, v8
	s_waitcnt vmcnt(41) lgkmcnt(1)
	v_mul_f32_e32 v190, v179, v139
	v_fma_f32 v11, v4, v8, -v2
	v_mul_f32_e32 v2, v7, v9
	v_fmac_f32_e32 v189, v7, v140
	v_fmac_f32_e32 v190, v180, v137
	s_waitcnt vmcnt(39) lgkmcnt(0)
	v_mul_f32_e32 v130, v184, v136
	v_fma_f32 v140, v6, v140, -v2
	v_mul_f32_e32 v6, v180, v139
	ds_read_b128 v[2:5], v1 offset:608
	v_mul_f32_e32 v139, v181, v138
	v_fma_f32 v137, v179, v137, -v6
	v_mul_f32_e32 v6, v182, v138
	v_fmac_f32_e32 v139, v182, v135
	v_mul_f32_e32 v138, v183, v136
	v_fma_f32 v136, v183, v133, -v130
	s_waitcnt vmcnt(38)
	v_mul_f32_e32 v179, v185, v134
	v_fma_f32 v135, v181, v135, -v6
	ds_read_b128 v[6:9], v1 offset:624
	v_mul_f32_e32 v130, v186, v134
	v_fmac_f32_e32 v138, v184, v133
	s_waitcnt vmcnt(34)
	v_fmac_f32_e32 v179, v186, v147
	v_fma_f32 v134, v185, v147, -v130
	ds_read_b128 v[130:133], v1 offset:640
	s_waitcnt vmcnt(33) lgkmcnt(2)
	v_mul_f32_e32 v147, v2, v146
	v_mul_f32_e32 v146, v3, v146
	v_fmac_f32_e32 v147, v3, v144
	v_fma_f32 v144, v2, v144, -v146
	s_waitcnt vmcnt(32)
	v_mul_f32_e32 v146, v4, v145
	v_mul_f32_e32 v2, v5, v145
	s_waitcnt vmcnt(31) lgkmcnt(1)
	v_mul_f32_e32 v145, v6, v143
	v_fmac_f32_e32 v146, v5, v142
	v_fma_f32 v142, v4, v142, -v2
	v_mul_f32_e32 v2, v7, v143
	s_waitcnt vmcnt(30)
	v_mul_f32_e32 v143, v8, v148
	v_mul_f32_e32 v148, v9, v148
	v_fmac_f32_e32 v145, v7, v141
	v_fma_f32 v141, v6, v141, -v2
	ds_read_b128 v[2:5], v1 offset:656
	s_waitcnt vmcnt(26)
	v_fmac_f32_e32 v143, v9, v156
	v_fma_f32 v148, v8, v156, -v148
	ds_read_b128 v[6:9], v1 offset:672
	s_waitcnt vmcnt(25) lgkmcnt(2)
	v_mul_f32_e32 v156, v130, v154
	v_mul_f32_e32 v154, v131, v154
	v_fmac_f32_e32 v156, v131, v152
	s_waitcnt vmcnt(24)
	v_mul_f32_e32 v131, v132, v153
	v_fma_f32 v130, v130, v152, -v154
	v_mul_f32_e32 v152, v133, v153
	buffer_load_dword v154, off, s[0:3], 0 offset:292
	v_fmac_f32_e32 v131, v133, v150
	buffer_load_dword v133, off, s[0:3], 0 offset:284
	v_fma_f32 v132, v132, v150, -v152
	s_waitcnt vmcnt(25) lgkmcnt(1)
	v_mul_f32_e32 v150, v2, v151
	v_mul_f32_e32 v151, v3, v151
	s_waitcnt vmcnt(24)
	v_mul_f32_e32 v152, v4, v155
	v_mul_f32_e32 v153, v5, v155
	v_fmac_f32_e32 v150, v3, v149
	v_fma_f32 v149, v2, v149, -v151
	s_waitcnt vmcnt(20)
	v_fmac_f32_e32 v152, v5, v164
	v_fma_f32 v151, v4, v164, -v153
	ds_read_b128 v[2:5], v1 offset:688
	s_waitcnt vmcnt(19) lgkmcnt(1)
	v_mul_f32_e32 v153, v6, v163
	v_mul_f32_e32 v155, v7, v163
	s_waitcnt vmcnt(18)
	v_mul_f32_e32 v163, v8, v162
	v_mul_f32_e32 v162, v9, v162
	buffer_load_dword v164, off, s[0:3], 0 offset:300
	v_fmac_f32_e32 v153, v7, v161
	v_fma_f32 v155, v6, v161, -v155
	v_add_f32_e32 v6, 0, v191
	v_add_f32_e32 v7, 0, v192
	v_fmac_f32_e32 v163, v9, v160
	v_fma_f32 v160, v8, v160, -v162
	s_clause 0x3
	buffer_load_dword v161, off, s[0:3], 0 offset:320
	buffer_load_dword v162, off, s[0:3], 0 offset:312
	;; [unrolled: 1-line block ×4, first 2 shown]
	v_add_f32_e32 v6, v6, v193
	v_add_f32_e32 v7, v7, v194
	s_clause 0x3
	buffer_load_dword v182, off, s[0:3], 0 offset:308
	buffer_load_dword v183, off, s[0:3], 0 offset:316
	;; [unrolled: 1-line block ×4, first 2 shown]
	v_add_f32_e32 v6, v6, v195
	v_add_f32_e32 v7, v7, v196
	s_waitcnt vmcnt(26) lgkmcnt(0)
	v_mul_f32_e32 v186, v2, v158
	v_mul_f32_e32 v8, v3, v158
	s_waitcnt vmcnt(25)
	v_mul_f32_e32 v158, v4, v159
	v_add_f32_e32 v6, v6, v197
	v_add_f32_e32 v7, v7, v198
	v_mul_f32_e32 v9, v5, v159
	v_fmac_f32_e32 v186, v3, v157
	v_fma_f32 v157, v2, v157, -v8
	v_add_f32_e32 v6, v6, v199
	v_add_f32_e32 v7, v7, v12
	s_waitcnt vmcnt(20)
	v_fmac_f32_e32 v158, v5, v173
	v_fma_f32 v159, v4, v173, -v9
	ds_read_b128 v[2:5], v1 offset:704
	v_add_f32_e32 v6, v6, v187
	v_add_f32_e32 v7, v7, v10
	s_clause 0x3
	buffer_load_dword v12, off, s[0:3], 0 offset:352
	buffer_load_dword v173, off, s[0:3], 0 offset:344
	;; [unrolled: 1-line block ×4, first 2 shown]
	v_add_f32_e32 v6, v6, v188
	v_add_f32_e32 v10, v7, v11
	s_clause 0x2
	buffer_load_dword v11, off, s[0:3], 0 offset:340
	buffer_load_dword v187, off, s[0:3], 0 offset:348
	;; [unrolled: 1-line block ×3, first 2 shown]
	v_add_f32_e32 v189, v6, v189
	ds_read_b128 v[6:9], v1 offset:720
	v_add_f32_e32 v10, v10, v140
	v_add_f32_e32 v189, v189, v190
	v_add_f32_e32 v10, v10, v137
	s_waitcnt vmcnt(26) lgkmcnt(1)
	v_mul_f32_e32 v140, v2, v172
	v_mul_f32_e32 v172, v3, v172
	s_waitcnt vmcnt(25)
	v_mul_f32_e32 v137, v5, v171
	v_mul_f32_e32 v190, v4, v171
	v_fmac_f32_e32 v140, v3, v170
	v_fma_f32 v170, v2, v170, -v172
	v_add_f32_e32 v2, v189, v139
	v_add_f32_e32 v3, v10, v135
	v_fma_f32 v139, v4, v168, -v137
	s_clause 0x3
	buffer_load_dword v10, off, s[0:3], 0 offset:364
	buffer_load_dword v171, off, s[0:3], 0 offset:372
	;; [unrolled: 1-line block ×4, first 2 shown]
	v_fmac_f32_e32 v190, v5, v168
	v_add_f32_e32 v2, v2, v138
	v_add_f32_e32 v3, v3, v136
	s_waitcnt lgkmcnt(0)
	v_mul_f32_e32 v138, v6, v167
	v_mul_f32_e32 v4, v7, v167
	s_clause 0x3
	buffer_load_dword v168, off, s[0:3], 0 offset:396
	buffer_load_dword v193, off, s[0:3], 0 offset:404
	buffer_load_dword v194, off, s[0:3], 0 offset:412
	buffer_load_dword v195, off, s[0:3], 0 offset:420
	v_add_f32_e32 v2, v2, v179
	v_add_f32_e32 v3, v3, v134
	s_clause 0x4
	buffer_load_dword v179, off, s[0:3], 0 offset:428
	buffer_load_dword v196, off, s[0:3], 0 offset:436
	;; [unrolled: 1-line block ×5, first 2 shown]
	v_fmac_f32_e32 v138, v7, v166
	v_add_f32_e32 v2, v2, v147
	v_add_f32_e32 v3, v3, v144
	v_fma_f32 v144, v6, v166, -v4
	s_clause 0x3
	buffer_load_dword v166, off, s[0:3], 0 offset:384
	buffer_load_dword v199, off, s[0:3], 0 offset:376
	;; [unrolled: 1-line block ×4, first 2 shown]
	v_add_f32_e32 v6, v2, v146
	v_add_f32_e32 v2, v3, v142
	;; [unrolled: 1-line block ×4, first 2 shown]
	s_waitcnt vmcnt(41)
	v_mul_f32_e32 v2, v9, v169
	v_mul_f32_e32 v141, v8, v169
	v_add_f32_e32 v6, v6, v143
	v_add_f32_e32 v7, v7, v148
	s_waitcnt vmcnt(37)
	v_fma_f32 v142, v8, v178, -v2
	ds_read_b128 v[2:5], v1 offset:736
	v_fmac_f32_e32 v141, v9, v178
	s_clause 0x3
	buffer_load_dword v169, off, s[0:3], 0 offset:416
	buffer_load_dword v178, off, s[0:3], 0 offset:408
	buffer_load_dword v202, off, s[0:3], 0 offset:400
	buffer_load_dword v203, off, s[0:3], 0 offset:392
	v_add_f32_e32 v7, v7, v130
	v_add_f32_e32 v6, v6, v156
	;; [unrolled: 1-line block ×4, first 2 shown]
	ds_read_b128 v[6:9], v1 offset:752
	v_add_f32_e32 v130, v130, v149
	v_add_f32_e32 v131, v131, v150
	s_waitcnt vmcnt(40) lgkmcnt(1)
	v_mul_f32_e32 v143, v2, v177
	v_mul_f32_e32 v132, v3, v177
	v_fmac_f32_e32 v143, v3, v176
	v_fma_f32 v145, v2, v176, -v132
	v_add_f32_e32 v2, v130, v151
	v_add_f32_e32 v3, v131, v152
	s_clause 0x3
	buffer_load_dword v150, off, s[0:3], 0 offset:448
	buffer_load_dword v151, off, s[0:3], 0 offset:440
	buffer_load_dword v152, off, s[0:3], 0 offset:432
	buffer_load_dword v156, off, s[0:3], 0 offset:424
	v_add_f32_e32 v2, v2, v155
	buffer_load_dword v155, off, s[0:3], 0 offset:456
	v_add_f32_e32 v3, v3, v153
	buffer_load_dword v153, off, s[0:3], 0 offset:40
	v_add_f32_e32 v2, v2, v160
	v_add_f32_e32 v131, v3, v163
	;; [unrolled: 1-line block ×13, first 2 shown]
	s_waitcnt vmcnt(44) lgkmcnt(0)
	v_mul_f32_e32 v148, v6, v154
	v_mul_f32_e32 v136, v7, v154
	s_waitcnt vmcnt(43)
	v_mul_f32_e32 v146, v4, v133
	v_mul_f32_e32 v130, v5, v133
	v_fmac_f32_e32 v148, v7, v174
	v_fma_f32 v154, v6, v174, -v136
	v_fmac_f32_e32 v146, v5, v175
	v_fma_f32 v147, v4, v175, -v130
	ds_read_b128 v[2:5], v1 offset:768
	ds_read_b128 v[130:133], v1 offset:784
	v_add_f32_e32 v175, v142, v145
	v_add_f32_e32 v147, v175, v147
	s_waitcnt vmcnt(42)
	v_mul_f32_e32 v149, v8, v164
	v_mul_f32_e32 v137, v9, v164
	s_waitcnt vmcnt(38)
	v_fmac_f32_e32 v149, v9, v181
	v_fma_f32 v158, v8, v181, -v137
	ds_read_b128 v[6:9], v1 offset:800
	ds_read_b128 v[134:137], v1 offset:816
	s_waitcnt vmcnt(36) lgkmcnt(3)
	v_mul_f32_e32 v160, v4, v183
	v_mul_f32_e32 v163, v5, v183
	;; [unrolled: 1-line block ×4, first 2 shown]
	s_waitcnt vmcnt(35) lgkmcnt(2)
	v_mul_f32_e32 v164, v130, v184
	v_fmac_f32_e32 v160, v5, v162
	v_fma_f32 v162, v4, v162, -v163
	v_add_f32_e32 v163, v138, v141
	v_fma_f32 v159, v2, v180, -v159
	v_fmac_f32_e32 v157, v3, v180
	v_mul_f32_e32 v144, v131, v184
	s_waitcnt vmcnt(34)
	v_mul_f32_e32 v174, v133, v185
	v_add_f32_e32 v163, v163, v143
	v_fmac_f32_e32 v164, v131, v161
	v_mul_f32_e32 v170, v132, v185
	v_fma_f32 v161, v130, v161, -v144
	ds_read_b128 v[2:5], v1 offset:832
	ds_read_b128 v[138:141], v1 offset:848
	v_add_f32_e32 v146, v163, v146
	s_waitcnt vmcnt(30)
	v_fma_f32 v174, v132, v192, -v174
	v_fmac_f32_e32 v170, v133, v192
	v_add_f32_e32 v146, v146, v148
	s_waitcnt vmcnt(29) lgkmcnt(3)
	v_mul_f32_e32 v175, v6, v11
	v_mul_f32_e32 v11, v7, v11
	s_waitcnt vmcnt(28)
	v_mul_f32_e32 v163, v8, v187
	v_mul_f32_e32 v176, v9, v187
	ds_read_b128 v[130:133], v1 offset:864
	ds_read_b128 v[142:145], v1 offset:880
	v_fmac_f32_e32 v175, v7, v191
	v_add_f32_e32 v7, v147, v154
	v_fmac_f32_e32 v163, v9, v173
	v_fma_f32 v154, v8, v173, -v176
	v_add_f32_e32 v173, v146, v149
	v_fma_f32 v11, v6, v191, -v11
	v_add_f32_e32 v158, v7, v158
	ds_read_b128 v[6:9], v1 offset:896
	ds_read_b128 v[146:149], v1 offset:912
	s_waitcnt vmcnt(27) lgkmcnt(6)
	v_mul_f32_e32 v1, v134, v188
	v_add_f32_e32 v157, v173, v157
	v_add_f32_e32 v158, v158, v159
	v_mul_f32_e32 v159, v135, v188
	v_fmac_f32_e32 v1, v135, v12
	v_add_f32_e32 v157, v157, v160
	v_add_f32_e32 v158, v158, v162
	s_waitcnt vmcnt(26)
	v_mul_f32_e32 v173, v136, v10
	v_mul_f32_e32 v10, v137, v10
	v_add_f32_e32 v157, v157, v164
	v_fma_f32 v12, v134, v12, -v159
	v_add_f32_e32 v158, v158, v161
	s_waitcnt vmcnt(25) lgkmcnt(5)
	v_mul_f32_e32 v162, v2, v171
	s_waitcnt vmcnt(24)
	v_mul_f32_e32 v160, v4, v172
	v_add_f32_e32 v157, v157, v170
	s_waitcnt vmcnt(23) lgkmcnt(4)
	v_mul_f32_e32 v176, v138, v189
	v_add_f32_e32 v158, v158, v174
	s_waitcnt vmcnt(22)
	v_mul_f32_e32 v161, v140, v168
	s_waitcnt vmcnt(21) lgkmcnt(3)
	v_mul_f32_e32 v164, v130, v193
	v_add_f32_e32 v157, v157, v175
	s_waitcnt vmcnt(20)
	v_mul_f32_e32 v177, v132, v194
	v_add_f32_e32 v11, v158, v11
	s_waitcnt vmcnt(12)
	v_fmac_f32_e32 v160, v5, v199
	s_waitcnt vmcnt(11)
	v_fmac_f32_e32 v162, v3, v200
	v_add_f32_e32 v135, v157, v163
	s_waitcnt vmcnt(10)
	v_fma_f32 v10, v136, v201, -v10
	v_add_f32_e32 v11, v11, v154
	v_mul_f32_e32 v154, v3, v171
	v_fmac_f32_e32 v173, v137, v201
	v_add_f32_e32 v1, v135, v1
	v_fmac_f32_e32 v176, v139, v166
	v_add_f32_e32 v11, v11, v12
	v_mul_f32_e32 v12, v5, v172
	v_fma_f32 v2, v2, v200, -v154
	v_add_f32_e32 v1, v1, v173
	s_waitcnt lgkmcnt(2)
	v_mul_f32_e32 v174, v142, v195
	v_add_f32_e32 v3, v11, v10
	v_mul_f32_e32 v10, v139, v189
	v_fma_f32 v4, v4, v199, -v12
	v_add_f32_e32 v1, v1, v162
	s_waitcnt vmcnt(7)
	v_fmac_f32_e32 v164, v131, v202
	v_add_f32_e32 v2, v3, v2
	v_mul_f32_e32 v3, v141, v168
	v_fma_f32 v5, v138, v166, -v10
	v_add_f32_e32 v1, v1, v160
	s_waitcnt vmcnt(6)
	v_fmac_f32_e32 v161, v141, v203
	v_add_f32_e32 v2, v2, v4
	v_mul_f32_e32 v4, v131, v193
	v_fma_f32 v3, v140, v203, -v3
	v_add_f32_e32 v1, v1, v176
	v_fmac_f32_e32 v177, v133, v178
	v_add_f32_e32 v2, v2, v5
	v_mul_f32_e32 v5, v133, v194
	v_fma_f32 v4, v130, v202, -v4
	v_add_f32_e32 v1, v1, v161
	v_mul_f32_e32 v170, v144, v179
	v_add_f32_e32 v2, v2, v3
	v_mul_f32_e32 v3, v143, v195
	v_fma_f32 v5, v132, v178, -v5
	v_add_f32_e32 v1, v1, v164
	v_fmac_f32_e32 v174, v143, v169
	v_add_f32_e32 v2, v2, v4
	v_mul_f32_e32 v4, v145, v179
	v_fma_f32 v3, v142, v169, -v3
	v_add_f32_e32 v1, v1, v177
	s_waitcnt lgkmcnt(1)
	v_mul_f32_e32 v180, v6, v196
	v_add_f32_e32 v2, v2, v5
	v_mul_f32_e32 v5, v7, v196
	s_waitcnt vmcnt(2)
	v_fma_f32 v4, v144, v156, -v4
	v_fmac_f32_e32 v170, v145, v156
	v_add_f32_e32 v1, v1, v174
	v_add_f32_e32 v2, v2, v3
	v_mul_f32_e32 v3, v9, v197
	v_fma_f32 v5, v6, v152, -v5
	v_mul_f32_e32 v158, v8, v197
	v_fmac_f32_e32 v180, v7, v152
	v_add_f32_e32 v2, v2, v4
	v_add_f32_e32 v1, v1, v170
	s_waitcnt lgkmcnt(0)
	v_mul_f32_e32 v4, v147, v198
	v_fma_f32 v3, v8, v151, -v3
	v_mul_f32_e32 v175, v146, v198
	v_add_f32_e32 v2, v2, v5
	v_fmac_f32_e32 v158, v9, v151
	v_add_f32_e32 v1, v1, v180
	v_mul_f32_e32 v5, v149, v167
	v_fma_f32 v4, v146, v150, -v4
	v_add_f32_e32 v2, v2, v3
	v_mul_f32_e32 v134, v148, v167
	v_fmac_f32_e32 v175, v147, v150
	v_add_f32_e32 v1, v1, v158
	s_waitcnt vmcnt(1)
	v_fma_f32 v3, v148, v155, -v5
	v_add_f32_e32 v2, v2, v4
	v_fmac_f32_e32 v134, v149, v155
	v_add_f32_e32 v1, v1, v175
	v_add_f32_e32 v2, v2, v3
	;; [unrolled: 1-line block ×3, first 2 shown]
	s_waitcnt vmcnt(0)
	v_sub_f32_e32 v2, v153, v2
	v_sub_f32_e32 v1, v165, v1
	buffer_store_dword v2, off, s[0:3], 0 offset:40
	buffer_store_dword v1, off, s[0:3], 0 offset:44
	v_cmpx_lt_u32_e32 4, v0
	s_cbranch_execz .LBB57_353
; %bb.352:
	s_clause 0x1
	buffer_load_dword v1, off, s[0:3], 0 offset:32
	buffer_load_dword v2, off, s[0:3], 0 offset:36
	v_mov_b32_e32 v3, 0
	buffer_store_dword v3, off, s[0:3], 0 offset:32
	buffer_store_dword v3, off, s[0:3], 0 offset:36
	s_waitcnt vmcnt(0)
	ds_write_b64 v129, v[1:2]
.LBB57_353:
	s_or_b32 exec_lo, exec_lo, s4
	s_waitcnt lgkmcnt(0)
	s_waitcnt_vscnt null, 0x0
	s_barrier
	buffer_gl0_inv
	s_clause 0x3b
	buffer_load_dword v165, off, s[0:3], 0 offset:44
	buffer_load_dword v2, off, s[0:3], 0 offset:56
	;; [unrolled: 1-line block ×60, first 2 shown]
	v_mov_b32_e32 v1, 0
	ds_read2_b64 v[179:182], v1 offset0:63 offset1:64
	ds_read2_b64 v[183:186], v1 offset0:65 offset1:66
	;; [unrolled: 1-line block ×3, first 2 shown]
	s_mov_b32 s4, exec_lo
	s_waitcnt vmcnt(59) lgkmcnt(2)
	v_mul_f32_e32 v191, v179, v165
	v_mul_f32_e32 v192, v180, v165
	buffer_load_dword v165, off, s[0:3], 0 offset:36
	s_waitcnt vmcnt(56)
	v_mul_f32_e32 v193, v181, v6
	v_mul_f32_e32 v6, v182, v6
	v_fmac_f32_e32 v191, v180, v7
	v_fma_f32 v192, v179, v7, -v192
	s_waitcnt vmcnt(55) lgkmcnt(1)
	v_mul_f32_e32 v195, v183, v5
	v_fmac_f32_e32 v193, v182, v4
	v_fma_f32 v194, v181, v4, -v6
	v_mul_f32_e32 v179, v184, v5
	ds_read2_b64 v[4:7], v1 offset0:69 offset1:70
	v_fmac_f32_e32 v195, v184, v2
	s_waitcnt vmcnt(49) lgkmcnt(1)
	v_mul_f32_e32 v199, v187, v131
	v_mul_f32_e32 v197, v185, v3
	v_fma_f32 v196, v183, v2, -v179
	v_mul_f32_e32 v2, v186, v3
	ds_read2_b64 v[179:182], v1 offset0:71 offset1:72
	v_fmac_f32_e32 v199, v188, v12
	v_fmac_f32_e32 v197, v186, v132
	v_fma_f32 v198, v185, v132, -v2
	v_mul_f32_e32 v2, v188, v131
	ds_read2_b64 v[183:186], v1 offset0:73 offset1:74
	v_fma_f32 v12, v187, v12, -v2
	s_waitcnt vmcnt(48)
	v_mul_f32_e32 v187, v189, v130
	v_mul_f32_e32 v2, v190, v130
	s_waitcnt vmcnt(47) lgkmcnt(2)
	v_mul_f32_e32 v188, v4, v11
	v_fmac_f32_e32 v187, v190, v10
	v_fma_f32 v10, v189, v10, -v2
	v_mul_f32_e32 v2, v5, v11
	s_waitcnt vmcnt(46)
	v_mul_f32_e32 v189, v6, v9
	v_fmac_f32_e32 v188, v5, v8
	s_waitcnt vmcnt(41) lgkmcnt(1)
	v_mul_f32_e32 v190, v179, v139
	v_fma_f32 v11, v4, v8, -v2
	v_mul_f32_e32 v2, v7, v9
	v_fmac_f32_e32 v189, v7, v140
	v_fmac_f32_e32 v190, v180, v137
	s_waitcnt vmcnt(39) lgkmcnt(0)
	v_mul_f32_e32 v130, v184, v136
	v_fma_f32 v140, v6, v140, -v2
	v_mul_f32_e32 v6, v180, v139
	ds_read2_b64 v[2:5], v1 offset0:75 offset1:76
	v_mul_f32_e32 v139, v181, v138
	v_fma_f32 v137, v179, v137, -v6
	v_mul_f32_e32 v6, v182, v138
	v_fmac_f32_e32 v139, v182, v135
	v_mul_f32_e32 v138, v183, v136
	v_fma_f32 v136, v183, v133, -v130
	s_waitcnt vmcnt(38)
	v_mul_f32_e32 v179, v185, v134
	v_fma_f32 v135, v181, v135, -v6
	ds_read2_b64 v[6:9], v1 offset0:77 offset1:78
	v_mul_f32_e32 v130, v186, v134
	v_fmac_f32_e32 v138, v184, v133
	s_waitcnt vmcnt(34)
	v_fmac_f32_e32 v179, v186, v147
	v_fma_f32 v134, v185, v147, -v130
	ds_read2_b64 v[130:133], v1 offset0:79 offset1:80
	s_waitcnt vmcnt(33) lgkmcnt(2)
	v_mul_f32_e32 v147, v2, v146
	v_mul_f32_e32 v146, v3, v146
	v_fmac_f32_e32 v147, v3, v144
	v_fma_f32 v144, v2, v144, -v146
	s_waitcnt vmcnt(32)
	v_mul_f32_e32 v146, v4, v145
	v_mul_f32_e32 v2, v5, v145
	s_waitcnt vmcnt(31) lgkmcnt(1)
	v_mul_f32_e32 v145, v6, v143
	v_fmac_f32_e32 v146, v5, v142
	v_fma_f32 v142, v4, v142, -v2
	v_mul_f32_e32 v2, v7, v143
	s_waitcnt vmcnt(30)
	v_mul_f32_e32 v143, v8, v148
	v_mul_f32_e32 v148, v9, v148
	v_fmac_f32_e32 v145, v7, v141
	v_fma_f32 v141, v6, v141, -v2
	ds_read2_b64 v[2:5], v1 offset0:81 offset1:82
	s_waitcnt vmcnt(26)
	v_fmac_f32_e32 v143, v9, v156
	v_fma_f32 v148, v8, v156, -v148
	ds_read2_b64 v[6:9], v1 offset0:83 offset1:84
	s_waitcnt vmcnt(25) lgkmcnt(2)
	v_mul_f32_e32 v156, v130, v154
	v_mul_f32_e32 v154, v131, v154
	v_fmac_f32_e32 v156, v131, v152
	v_fma_f32 v130, v130, v152, -v154
	s_waitcnt vmcnt(24)
	v_mul_f32_e32 v131, v132, v153
	v_mul_f32_e32 v152, v133, v153
	buffer_load_dword v154, off, s[0:3], 0 offset:284
	v_fmac_f32_e32 v131, v133, v150
	v_fma_f32 v132, v132, v150, -v152
	buffer_load_dword v133, off, s[0:3], 0 offset:276
	s_waitcnt vmcnt(25) lgkmcnt(1)
	v_mul_f32_e32 v150, v2, v151
	v_mul_f32_e32 v151, v3, v151
	s_waitcnt vmcnt(24)
	v_mul_f32_e32 v152, v4, v155
	v_mul_f32_e32 v153, v5, v155
	v_fmac_f32_e32 v150, v3, v149
	v_fma_f32 v149, v2, v149, -v151
	s_waitcnt vmcnt(20)
	v_fmac_f32_e32 v152, v5, v164
	v_fma_f32 v151, v4, v164, -v153
	ds_read2_b64 v[2:5], v1 offset0:85 offset1:86
	s_waitcnt vmcnt(19) lgkmcnt(1)
	v_mul_f32_e32 v153, v6, v163
	v_mul_f32_e32 v155, v7, v163
	s_waitcnt vmcnt(18)
	v_mul_f32_e32 v163, v8, v162
	v_mul_f32_e32 v162, v9, v162
	buffer_load_dword v164, off, s[0:3], 0 offset:292
	v_fmac_f32_e32 v153, v7, v161
	v_fma_f32 v155, v6, v161, -v155
	v_add_f32_e32 v6, 0, v191
	v_add_f32_e32 v7, 0, v192
	v_fmac_f32_e32 v163, v9, v160
	v_fma_f32 v160, v8, v160, -v162
	s_clause 0x3
	buffer_load_dword v161, off, s[0:3], 0 offset:312
	buffer_load_dword v162, off, s[0:3], 0 offset:304
	;; [unrolled: 1-line block ×4, first 2 shown]
	v_add_f32_e32 v6, v6, v193
	v_add_f32_e32 v7, v7, v194
	s_clause 0x3
	buffer_load_dword v182, off, s[0:3], 0 offset:300
	buffer_load_dword v183, off, s[0:3], 0 offset:308
	buffer_load_dword v184, off, s[0:3], 0 offset:316
	buffer_load_dword v185, off, s[0:3], 0 offset:324
	v_add_f32_e32 v6, v6, v195
	v_add_f32_e32 v7, v7, v196
	s_waitcnt vmcnt(26) lgkmcnt(0)
	v_mul_f32_e32 v186, v2, v158
	v_mul_f32_e32 v8, v3, v158
	s_waitcnt vmcnt(25)
	v_mul_f32_e32 v158, v4, v159
	v_add_f32_e32 v6, v6, v197
	v_add_f32_e32 v7, v7, v198
	v_mul_f32_e32 v9, v5, v159
	v_fmac_f32_e32 v186, v3, v157
	v_fma_f32 v157, v2, v157, -v8
	v_add_f32_e32 v6, v6, v199
	v_add_f32_e32 v7, v7, v12
	s_waitcnt vmcnt(20)
	v_fmac_f32_e32 v158, v5, v173
	v_fma_f32 v159, v4, v173, -v9
	ds_read2_b64 v[2:5], v1 offset0:87 offset1:88
	v_add_f32_e32 v6, v6, v187
	v_add_f32_e32 v7, v7, v10
	s_clause 0x3
	buffer_load_dword v12, off, s[0:3], 0 offset:344
	buffer_load_dword v173, off, s[0:3], 0 offset:336
	;; [unrolled: 1-line block ×4, first 2 shown]
	v_add_f32_e32 v6, v6, v188
	v_add_f32_e32 v10, v7, v11
	s_clause 0x2
	buffer_load_dword v11, off, s[0:3], 0 offset:332
	buffer_load_dword v187, off, s[0:3], 0 offset:340
	buffer_load_dword v188, off, s[0:3], 0 offset:348
	v_add_f32_e32 v189, v6, v189
	v_add_f32_e32 v10, v10, v140
	ds_read2_b64 v[6:9], v1 offset0:89 offset1:90
	v_add_f32_e32 v189, v189, v190
	s_waitcnt vmcnt(26) lgkmcnt(1)
	v_mul_f32_e32 v140, v2, v171
	v_mul_f32_e32 v171, v3, v171
	s_waitcnt vmcnt(25)
	v_mul_f32_e32 v190, v4, v170
	v_mul_f32_e32 v170, v5, v170
	v_fmac_f32_e32 v140, v3, v169
	v_add_f32_e32 v3, v10, v137
	v_add_f32_e32 v10, v189, v139
	v_fma_f32 v137, v2, v169, -v171
	v_fmac_f32_e32 v190, v5, v168
	v_fma_f32 v139, v4, v168, -v170
	v_add_f32_e32 v2, v3, v135
	v_add_f32_e32 v3, v10, v138
	s_clause 0x7
	buffer_load_dword v168, off, s[0:3], 0 offset:356
	buffer_load_dword v169, off, s[0:3], 0 offset:364
	;; [unrolled: 1-line block ×8, first 2 shown]
	s_waitcnt lgkmcnt(0)
	v_mul_f32_e32 v4, v7, v167
	v_mul_f32_e32 v10, v6, v167
	v_add_f32_e32 v2, v2, v136
	v_add_f32_e32 v3, v3, v179
	s_clause 0x1
	buffer_load_dword v179, off, s[0:3], 0 offset:388
	buffer_load_dword v196, off, s[0:3], 0 offset:396
	v_fma_f32 v138, v6, v166, -v4
	s_clause 0x1
	buffer_load_dword v167, off, s[0:3], 0 offset:404
	buffer_load_dword v197, off, s[0:3], 0 offset:412
	v_add_f32_e32 v2, v2, v134
	v_add_f32_e32 v3, v3, v147
	v_fmac_f32_e32 v10, v7, v166
	s_clause 0x4
	buffer_load_dword v166, off, s[0:3], 0 offset:420
	buffer_load_dword v198, off, s[0:3], 0 offset:428
	;; [unrolled: 1-line block ×5, first 2 shown]
	v_add_f32_e32 v2, v2, v144
	v_add_f32_e32 v3, v3, v146
	;; [unrolled: 1-line block ×4, first 2 shown]
	s_waitcnt vmcnt(41)
	v_mul_f32_e32 v3, v9, v172
	v_mul_f32_e32 v142, v8, v172
	buffer_load_dword v172, off, s[0:3], 0 offset:460
	v_add_f32_e32 v7, v2, v141
	v_add_f32_e32 v6, v6, v143
	s_waitcnt vmcnt(38)
	v_fma_f32 v141, v8, v178, -v3
	ds_read2_b64 v[2:5], v1 offset0:91 offset1:92
	v_fmac_f32_e32 v142, v9, v178
	v_add_f32_e32 v7, v7, v148
	v_add_f32_e32 v6, v6, v156
	s_clause 0x3
	buffer_load_dword v156, off, s[0:3], 0 offset:408
	buffer_load_dword v178, off, s[0:3], 0 offset:400
	;; [unrolled: 1-line block ×4, first 2 shown]
	v_add_f32_e32 v7, v7, v130
	v_add_f32_e32 v6, v6, v131
	;; [unrolled: 1-line block ×4, first 2 shown]
	ds_read2_b64 v[6:9], v1 offset0:93 offset1:94
	v_add_f32_e32 v130, v130, v149
	v_add_f32_e32 v131, v131, v152
	s_waitcnt vmcnt(41) lgkmcnt(1)
	v_mul_f32_e32 v143, v2, v177
	v_mul_f32_e32 v132, v3, v177
	v_fmac_f32_e32 v143, v3, v176
	v_fma_f32 v144, v2, v176, -v132
	v_add_f32_e32 v2, v130, v151
	v_add_f32_e32 v3, v131, v153
	s_clause 0x3
	buffer_load_dword v150, off, s[0:3], 0 offset:440
	buffer_load_dword v151, off, s[0:3], 0 offset:432
	;; [unrolled: 1-line block ×4, first 2 shown]
	v_add_f32_e32 v2, v2, v155
	v_add_f32_e32 v3, v3, v163
	s_clause 0x1
	buffer_load_dword v155, off, s[0:3], 0 offset:456
	buffer_load_dword v163, off, s[0:3], 0 offset:448
	v_add_f32_e32 v2, v2, v160
	buffer_load_dword v160, off, s[0:3], 0 offset:32
	v_add_f32_e32 v3, v3, v186
	v_add_f32_e32 v131, v2, v157
	;; [unrolled: 1-line block ×14, first 2 shown]
	s_waitcnt vmcnt(46) lgkmcnt(0)
	v_mul_f32_e32 v147, v6, v154
	v_mul_f32_e32 v136, v7, v154
	s_waitcnt vmcnt(45)
	v_mul_f32_e32 v145, v4, v133
	v_mul_f32_e32 v130, v5, v133
	v_fmac_f32_e32 v147, v7, v174
	v_fma_f32 v149, v6, v174, -v136
	v_fmac_f32_e32 v145, v5, v175
	v_fma_f32 v146, v4, v175, -v130
	ds_read2_b64 v[2:5], v1 offset0:95 offset1:96
	ds_read2_b64 v[130:133], v1 offset0:97 offset1:98
	v_add_f32_e32 v10, v10, v145
	v_add_f32_e32 v146, v143, v146
	;; [unrolled: 1-line block ×3, first 2 shown]
	s_waitcnt vmcnt(44)
	v_mul_f32_e32 v148, v8, v164
	v_mul_f32_e32 v137, v9, v164
	v_add_f32_e32 v146, v146, v149
	s_waitcnt vmcnt(40)
	v_fmac_f32_e32 v148, v9, v181
	v_fma_f32 v154, v8, v181, -v137
	ds_read2_b64 v[6:9], v1 offset0:99 offset1:100
	ds_read2_b64 v[134:137], v1 offset0:101 offset1:102
	s_waitcnt vmcnt(39) lgkmcnt(3)
	v_mul_f32_e32 v140, v3, v182
	v_mul_f32_e32 v157, v2, v182
	s_waitcnt vmcnt(38)
	v_mul_f32_e32 v158, v4, v183
	v_mul_f32_e32 v139, v5, v183
	s_waitcnt vmcnt(37) lgkmcnt(2)
	v_mul_f32_e32 v159, v130, v184
	v_fma_f32 v174, v2, v180, -v140
	v_fmac_f32_e32 v157, v3, v180
	v_mul_f32_e32 v142, v131, v184
	v_fmac_f32_e32 v158, v5, v162
	v_fma_f32 v162, v4, v162, -v139
	s_waitcnt vmcnt(36)
	v_mul_f32_e32 v144, v133, v185
	v_fmac_f32_e32 v159, v131, v161
	v_fma_f32 v161, v130, v161, -v142
	v_mul_f32_e32 v164, v132, v185
	ds_read2_b64 v[2:5], v1 offset0:103 offset1:104
	ds_read2_b64 v[138:141], v1 offset0:105 offset1:106
	s_waitcnt vmcnt(32)
	v_fma_f32 v175, v132, v192, -v144
	v_fmac_f32_e32 v164, v133, v192
	ds_read2_b64 v[130:133], v1 offset0:107 offset1:108
	ds_read2_b64 v[142:145], v1 offset0:109 offset1:110
	s_waitcnt vmcnt(31) lgkmcnt(5)
	v_mul_f32_e32 v176, v6, v11
	v_mul_f32_e32 v11, v7, v11
	s_waitcnt vmcnt(30)
	v_mul_f32_e32 v177, v8, v187
	v_mul_f32_e32 v147, v9, v187
	s_waitcnt vmcnt(29) lgkmcnt(4)
	v_mul_f32_e32 v180, v135, v188
	v_fmac_f32_e32 v176, v7, v191
	v_add_f32_e32 v7, v10, v148
	v_add_f32_e32 v10, v146, v154
	v_fma_f32 v154, v6, v191, -v11
	v_fmac_f32_e32 v177, v9, v173
	v_fma_f32 v173, v8, v173, -v147
	v_add_f32_e32 v157, v7, v157
	v_add_f32_e32 v174, v10, v174
	ds_read2_b64 v[6:9], v1 offset0:111 offset1:112
	ds_read2_b64 v[146:149], v1 offset0:113 offset1:114
	ds_read_b64 v[10:11], v1 offset:920
	v_add_f32_e32 v157, v157, v158
	v_add_f32_e32 v162, v174, v162
	v_mul_f32_e32 v158, v134, v188
	s_waitcnt vmcnt(28)
	v_mul_f32_e32 v174, v136, v168
	v_add_f32_e32 v157, v157, v159
	v_add_f32_e32 v161, v162, v161
	v_fmac_f32_e32 v158, v135, v12
	v_mul_f32_e32 v168, v137, v168
	v_fma_f32 v12, v134, v12, -v180
	v_add_f32_e32 v135, v157, v164
	v_add_f32_e32 v161, v161, v175
	s_waitcnt vmcnt(27) lgkmcnt(6)
	v_mul_f32_e32 v159, v2, v169
	v_mul_f32_e32 v169, v3, v169
	s_waitcnt vmcnt(21)
	v_fma_f32 v136, v136, v195, -v168
	v_add_f32_e32 v135, v135, v176
	v_add_f32_e32 v154, v161, v154
	v_fmac_f32_e32 v174, v137, v195
	v_mul_f32_e32 v162, v4, v170
	v_mul_f32_e32 v170, v5, v170
	v_add_f32_e32 v135, v135, v177
	v_add_f32_e32 v154, v154, v173
	v_fmac_f32_e32 v159, v3, v194
	v_fma_f32 v2, v2, v194, -v169
	v_fma_f32 v4, v4, v193, -v170
	v_add_f32_e32 v135, v135, v158
	v_add_f32_e32 v12, v154, v12
	s_waitcnt lgkmcnt(5)
	v_mul_f32_e32 v134, v138, v171
	v_fmac_f32_e32 v162, v5, v193
	s_waitcnt vmcnt(20)
	v_mul_f32_e32 v5, v141, v179
	v_mul_f32_e32 v157, v140, v179
	v_add_f32_e32 v3, v12, v136
	v_add_f32_e32 v12, v135, v174
	v_mul_f32_e32 v135, v139, v171
	v_fmac_f32_e32 v134, v139, v189
	s_waitcnt vmcnt(19) lgkmcnt(4)
	v_mul_f32_e32 v164, v130, v196
	v_add_f32_e32 v2, v3, v2
	v_add_f32_e32 v3, v12, v159
	v_fma_f32 v12, v138, v189, -v135
	s_waitcnt vmcnt(18)
	v_mul_f32_e32 v137, v132, v167
	s_waitcnt vmcnt(8)
	v_fmac_f32_e32 v164, v131, v202
	v_add_f32_e32 v2, v2, v4
	v_add_f32_e32 v3, v3, v162
	v_mul_f32_e32 v4, v131, v196
	s_waitcnt vmcnt(7)
	v_fma_f32 v5, v140, v203, -v5
	v_fmac_f32_e32 v157, v141, v203
	v_add_f32_e32 v2, v2, v12
	v_add_f32_e32 v3, v3, v134
	v_mul_f32_e32 v12, v133, v167
	v_fma_f32 v4, v130, v202, -v4
	s_waitcnt lgkmcnt(3)
	v_mul_f32_e32 v168, v142, v197
	v_add_f32_e32 v2, v2, v5
	v_add_f32_e32 v3, v3, v157
	v_mul_f32_e32 v5, v143, v197
	v_fma_f32 v12, v132, v178, -v12
	v_fmac_f32_e32 v137, v133, v178
	v_add_f32_e32 v2, v2, v4
	v_add_f32_e32 v3, v3, v164
	v_mul_f32_e32 v4, v145, v166
	v_fma_f32 v5, v142, v156, -v5
	v_mul_f32_e32 v161, v144, v166
	v_add_f32_e32 v2, v2, v12
	v_fmac_f32_e32 v168, v143, v156
	v_add_f32_e32 v3, v3, v137
	s_waitcnt lgkmcnt(2)
	v_mul_f32_e32 v12, v7, v198
	v_mul_f32_e32 v175, v6, v198
	s_waitcnt vmcnt(3)
	v_fma_f32 v4, v144, v153, -v4
	v_add_f32_e32 v2, v2, v5
	v_fmac_f32_e32 v161, v145, v153
	v_add_f32_e32 v3, v3, v168
	v_mul_f32_e32 v5, v9, v199
	v_fma_f32 v6, v6, v152, -v12
	v_add_f32_e32 v2, v2, v4
	v_mul_f32_e32 v176, v8, v199
	v_fmac_f32_e32 v175, v7, v152
	v_add_f32_e32 v3, v3, v161
	s_waitcnt lgkmcnt(1)
	v_mul_f32_e32 v4, v147, v200
	v_fma_f32 v5, v8, v151, -v5
	v_add_f32_e32 v2, v2, v6
	v_mul_f32_e32 v173, v146, v200
	v_fmac_f32_e32 v176, v9, v151
	v_add_f32_e32 v3, v3, v175
	v_mul_f32_e32 v6, v149, v201
	v_fma_f32 v4, v146, v150, -v4
	v_add_f32_e32 v2, v2, v5
	v_mul_f32_e32 v177, v148, v201
	v_fmac_f32_e32 v173, v147, v150
	v_add_f32_e32 v3, v3, v176
	s_waitcnt lgkmcnt(0)
	v_mul_f32_e32 v5, v11, v172
	s_waitcnt vmcnt(1)
	v_fma_f32 v6, v148, v163, -v6
	v_add_f32_e32 v2, v2, v4
	v_mul_f32_e32 v154, v10, v172
	v_fmac_f32_e32 v177, v149, v163
	v_add_f32_e32 v3, v3, v173
	v_fma_f32 v4, v10, v155, -v5
	v_add_f32_e32 v2, v2, v6
	v_fmac_f32_e32 v154, v11, v155
	v_add_f32_e32 v3, v3, v177
	v_add_f32_e32 v2, v2, v4
	;; [unrolled: 1-line block ×3, first 2 shown]
	s_waitcnt vmcnt(0)
	v_sub_f32_e32 v2, v160, v2
	v_sub_f32_e32 v3, v165, v3
	buffer_store_dword v2, off, s[0:3], 0 offset:32
	buffer_store_dword v3, off, s[0:3], 0 offset:36
	v_cmpx_lt_u32_e32 3, v0
	s_cbranch_execz .LBB57_355
; %bb.354:
	s_clause 0x1
	buffer_load_dword v2, off, s[0:3], 0 offset:24
	buffer_load_dword v3, off, s[0:3], 0 offset:28
	buffer_store_dword v1, off, s[0:3], 0 offset:24
	buffer_store_dword v1, off, s[0:3], 0 offset:28
	s_waitcnt vmcnt(0)
	ds_write_b64 v129, v[2:3]
.LBB57_355:
	s_or_b32 exec_lo, exec_lo, s4
	s_waitcnt lgkmcnt(0)
	s_waitcnt_vscnt null, 0x0
	s_barrier
	buffer_gl0_inv
	s_clause 0x3c
	buffer_load_dword v9, off, s[0:3], 0 offset:36
	buffer_load_dword v10, off, s[0:3], 0 offset:44
	;; [unrolled: 1-line block ×61, first 2 shown]
	ds_read_b128 v[175:178], v1 offset:496
	ds_read_b128 v[179:182], v1 offset:512
	buffer_load_dword v190, off, s[0:3], 0 offset:28
	s_mov_b32 s4, exec_lo
	s_waitcnt vmcnt(61) lgkmcnt(1)
	v_mul_f32_e32 v188, v175, v9
	v_mul_f32_e32 v9, v176, v9
	s_waitcnt vmcnt(60)
	v_mul_f32_e32 v189, v177, v10
	v_mul_f32_e32 v10, v178, v10
	s_waitcnt vmcnt(57)
	v_fmac_f32_e32 v188, v176, v6
	v_fma_f32 v191, v175, v6, -v9
	v_fmac_f32_e32 v189, v178, v5
	v_fma_f32 v192, v177, v5, -v10
	ds_read_b128 v[175:178], v1 offset:528
	s_waitcnt vmcnt(56) lgkmcnt(1)
	v_mul_f32_e32 v193, v179, v4
	v_mul_f32_e32 v4, v180, v4
	s_waitcnt vmcnt(55)
	v_mul_f32_e32 v194, v181, v3
	v_mul_f32_e32 v3, v182, v3
	v_fmac_f32_e32 v193, v180, v2
	v_fma_f32 v179, v179, v2, -v4
	s_waitcnt vmcnt(51)
	v_fmac_f32_e32 v194, v182, v165
	v_fma_f32 v165, v181, v165, -v3
	ds_read_b128 v[2:5], v1 offset:544
	s_waitcnt vmcnt(50) lgkmcnt(1)
	v_mul_f32_e32 v180, v175, v164
	v_mul_f32_e32 v6, v176, v164
	s_waitcnt vmcnt(49)
	v_mul_f32_e32 v164, v177, v162
	v_mul_f32_e32 v9, v178, v162
	v_fmac_f32_e32 v180, v176, v158
	v_fma_f32 v158, v175, v158, -v6
	v_fmac_f32_e32 v164, v178, v151
	v_fma_f32 v151, v177, v151, -v9
	ds_read_b128 v[175:178], v1 offset:560
	s_waitcnt vmcnt(48) lgkmcnt(1)
	v_mul_f32_e32 v181, v2, v156
	v_mul_f32_e32 v6, v3, v156
	s_waitcnt vmcnt(47)
	v_mul_f32_e32 v182, v4, v154
	v_mul_f32_e32 v9, v5, v154
	v_fmac_f32_e32 v181, v3, v137
	v_fma_f32 v137, v2, v137, -v6
	s_waitcnt vmcnt(43)
	v_fmac_f32_e32 v182, v5, v163
	v_fma_f32 v195, v4, v163, -v9
	ds_read_b128 v[2:5], v1 offset:576
	s_waitcnt vmcnt(42) lgkmcnt(1)
	v_mul_f32_e32 v196, v175, v161
	v_mul_f32_e32 v6, v176, v161
	s_waitcnt vmcnt(41)
	v_mul_f32_e32 v197, v177, v160
	v_mul_f32_e32 v9, v178, v160
	ds_read_b128 v[160:163], v1 offset:592
	v_fmac_f32_e32 v196, v176, v152
	v_fma_f32 v152, v175, v152, -v6
	v_fmac_f32_e32 v197, v178, v146
	v_fma_f32 v175, v177, v146, -v9
	s_waitcnt vmcnt(40) lgkmcnt(1)
	v_mul_f32_e32 v176, v2, v150
	v_mul_f32_e32 v6, v3, v150
	s_waitcnt vmcnt(39)
	v_mul_f32_e32 v150, v4, v148
	v_mul_f32_e32 v9, v5, v148
	v_fmac_f32_e32 v176, v3, v133
	v_fma_f32 v133, v2, v133, -v6
	s_waitcnt vmcnt(35)
	v_fmac_f32_e32 v150, v5, v159
	v_fma_f32 v159, v4, v159, -v9
	ds_read_b128 v[2:5], v1 offset:608
	s_waitcnt vmcnt(34) lgkmcnt(1)
	v_mul_f32_e32 v177, v160, v157
	v_mul_f32_e32 v6, v161, v157
	s_waitcnt vmcnt(33)
	v_mul_f32_e32 v178, v162, v155
	v_mul_f32_e32 v9, v163, v155
	ds_read_b128 v[154:157], v1 offset:624
	v_fmac_f32_e32 v177, v161, v144
	v_fma_f32 v144, v160, v144, -v6
	v_fmac_f32_e32 v178, v163, v139
	v_fma_f32 v139, v162, v139, -v9
	;; [unrolled: 23-line block ×3, first 2 shown]
	s_waitcnt vmcnt(24) lgkmcnt(1)
	v_mul_f32_e32 v154, v2, v136
	v_mul_f32_e32 v6, v3, v136
	s_waitcnt vmcnt(23)
	v_mul_f32_e32 v136, v4, v135
	v_mul_f32_e32 v9, v5, v135
	v_fmac_f32_e32 v154, v3, v8
	v_fma_f32 v135, v2, v8, -v6
	s_waitcnt vmcnt(19)
	v_fmac_f32_e32 v136, v5, v145
	v_fma_f32 v145, v4, v145, -v9
	ds_read_b128 v[2:5], v1 offset:672
	s_waitcnt vmcnt(18) lgkmcnt(1)
	v_mul_f32_e32 v155, v146, v142
	v_mul_f32_e32 v6, v147, v142
	s_waitcnt vmcnt(17)
	v_mul_f32_e32 v142, v148, v140
	v_mul_f32_e32 v8, v149, v140
	v_fmac_f32_e32 v155, v147, v132
	v_fma_f32 v132, v146, v132, -v6
	v_fmac_f32_e32 v142, v149, v12
	v_fma_f32 v12, v148, v12, -v8
	ds_read_b128 v[8:11], v1 offset:688
	s_waitcnt vmcnt(16) lgkmcnt(1)
	v_mul_f32_e32 v140, v2, v131
	v_mul_f32_e32 v6, v3, v131
	s_waitcnt vmcnt(15)
	v_mul_f32_e32 v131, v4, v130
	v_mul_f32_e32 v130, v5, v130
	v_fmac_f32_e32 v140, v3, v7
	v_fma_f32 v146, v2, v7, -v6
	s_waitcnt vmcnt(11)
	v_fmac_f32_e32 v131, v5, v174
	v_fma_f32 v130, v4, v174, -v130
	ds_read_b128 v[2:5], v1 offset:704
	s_waitcnt vmcnt(10) lgkmcnt(1)
	v_mul_f32_e32 v147, v8, v173
	v_mul_f32_e32 v6, v9, v173
	s_waitcnt vmcnt(9)
	v_mul_f32_e32 v7, v11, v172
	v_mul_f32_e32 v148, v10, v172
	buffer_load_dword v172, off, s[0:3], 0 offset:284
	v_fmac_f32_e32 v147, v9, v171
	v_fma_f32 v149, v8, v171, -v6
	v_fma_f32 v10, v10, v168, -v7
	ds_read_b128 v[6:9], v1 offset:720
	v_fmac_f32_e32 v148, v11, v168
	buffer_load_dword v11, off, s[0:3], 0 offset:276
	s_waitcnt vmcnt(10) lgkmcnt(1)
	v_mul_f32_e32 v156, v2, v170
	v_mul_f32_e32 v157, v3, v170
	s_waitcnt vmcnt(9)
	v_mul_f32_e32 v163, v4, v169
	v_mul_f32_e32 v168, v5, v169
	v_fmac_f32_e32 v156, v3, v167
	v_fma_f32 v157, v2, v167, -v157
	s_waitcnt vmcnt(5)
	v_fmac_f32_e32 v163, v5, v185
	v_fma_f32 v167, v4, v185, -v168
	ds_read_b128 v[2:5], v1 offset:736
	s_waitcnt vmcnt(4) lgkmcnt(1)
	v_mul_f32_e32 v168, v6, v186
	v_mul_f32_e32 v169, v7, v186
	s_waitcnt vmcnt(3)
	v_mul_f32_e32 v170, v8, v187
	v_mul_f32_e32 v171, v9, v187
	v_fmac_f32_e32 v168, v7, v184
	v_fma_f32 v169, v6, v184, -v169
	v_fmac_f32_e32 v170, v9, v183
	v_fma_f32 v171, v8, v183, -v171
	s_clause 0x4
	buffer_load_dword v173, off, s[0:3], 0 offset:304
	buffer_load_dword v174, off, s[0:3], 0 offset:296
	;; [unrolled: 1-line block ×5, first 2 shown]
	v_add_f32_e32 v7, 0, v188
	v_add_f32_e32 v6, 0, v191
	s_clause 0x1
	buffer_load_dword v186, off, s[0:3], 0 offset:300
	buffer_load_dword v187, off, s[0:3], 0 offset:308
	v_add_f32_e32 v7, v7, v189
	v_add_f32_e32 v6, v6, v192
	;; [unrolled: 1-line block ×4, first 2 shown]
	s_clause 0x1
	buffer_load_dword v179, off, s[0:3], 0 offset:316
	buffer_load_dword v188, off, s[0:3], 0 offset:324
	v_add_f32_e32 v7, v7, v194
	v_add_f32_e32 v6, v6, v165
	;; [unrolled: 1-line block ×4, first 2 shown]
	s_clause 0x3
	buffer_load_dword v158, off, s[0:3], 0 offset:336
	buffer_load_dword v165, off, s[0:3], 0 offset:328
	;; [unrolled: 1-line block ×4, first 2 shown]
	v_add_f32_e32 v7, v7, v164
	v_add_f32_e32 v6, v6, v151
	s_clause 0x2
	buffer_load_dword v151, off, s[0:3], 0 offset:332
	buffer_load_dword v164, off, s[0:3], 0 offset:340
	;; [unrolled: 1-line block ×3, first 2 shown]
	v_add_f32_e32 v7, v7, v181
	v_add_f32_e32 v6, v6, v137
	;; [unrolled: 1-line block ×6, first 2 shown]
	s_clause 0x4
	buffer_load_dword v152, off, s[0:3], 0 offset:368
	buffer_load_dword v181, off, s[0:3], 0 offset:360
	;; [unrolled: 1-line block ×5, first 2 shown]
	v_add_f32_e32 v7, v7, v197
	v_add_f32_e32 v6, v6, v175
	buffer_load_dword v175, off, s[0:3], 0 offset:356
	v_add_f32_e32 v7, v7, v176
	v_add_f32_e32 v6, v6, v133
	buffer_load_dword v176, off, s[0:3], 0 offset:372
	v_add_f32_e32 v7, v7, v150
	v_add_f32_e32 v6, v6, v159
	s_clause 0x4
	buffer_load_dword v159, off, s[0:3], 0 offset:380
	buffer_load_dword v194, off, s[0:3], 0 offset:388
	;; [unrolled: 1-line block ×5, first 2 shown]
	v_add_f32_e32 v7, v7, v177
	v_add_f32_e32 v6, v6, v144
	s_clause 0x3
	buffer_load_dword v177, off, s[0:3], 0 offset:420
	buffer_load_dword v197, off, s[0:3], 0 offset:428
	;; [unrolled: 1-line block ×4, first 2 shown]
	v_add_f32_e32 v7, v7, v178
	v_add_f32_e32 v6, v6, v139
	buffer_load_dword v178, off, s[0:3], 0 offset:444
	v_add_f32_e32 v7, v7, v160
	v_add_f32_e32 v6, v6, v141
	buffer_load_dword v160, off, s[0:3], 0 offset:460
	v_add_f32_e32 v7, v7, v143
	v_add_f32_e32 v6, v6, v153
	;; [unrolled: 1-line block ×3, first 2 shown]
	s_clause 0x3
	buffer_load_dword v153, off, s[0:3], 0 offset:400
	buffer_load_dword v161, off, s[0:3], 0 offset:392
	;; [unrolled: 1-line block ×4, first 2 shown]
	v_add_f32_e32 v6, v6, v138
	v_add_f32_e32 v7, v7, v162
	;; [unrolled: 1-line block ×4, first 2 shown]
	s_clause 0x6
	buffer_load_dword v154, off, s[0:3], 0 offset:432
	buffer_load_dword v162, off, s[0:3], 0 offset:424
	;; [unrolled: 1-line block ×7, first 2 shown]
	v_add_f32_e32 v6, v6, v135
	v_add_f32_e32 v7, v7, v136
	;; [unrolled: 1-line block ×4, first 2 shown]
	buffer_load_dword v155, off, s[0:3], 0 offset:24
	v_add_f32_e32 v6, v6, v132
	v_add_f32_e32 v7, v7, v142
	v_add_f32_e32 v6, v6, v12
	s_waitcnt vmcnt(46) lgkmcnt(0)
	v_mul_f32_e32 v12, v2, v11
	v_mul_f32_e32 v8, v3, v11
	v_fmac_f32_e32 v12, v3, v166
	v_fma_f32 v11, v2, v166, -v8
	v_add_f32_e32 v2, v6, v146
	v_add_f32_e32 v3, v7, v140
	ds_read_b128 v[6:9], v1 offset:752
	v_mul_f32_e32 v146, v4, v172
	v_add_f32_e32 v130, v2, v130
	v_mul_f32_e32 v2, v5, v172
	v_add_f32_e32 v131, v3, v131
	v_add_f32_e32 v134, v130, v149
	;; [unrolled: 1-line block ×3, first 2 shown]
	ds_read_b128 v[130:133], v1 offset:784
	v_add_f32_e32 v10, v134, v10
	v_add_f32_e32 v135, v135, v148
	s_waitcnt vmcnt(42)
	v_fmac_f32_e32 v146, v5, v184
	v_fma_f32 v166, v4, v184, -v2
	ds_read_b128 v[2:5], v1 offset:768
	s_waitcnt vmcnt(41) lgkmcnt(2)
	v_mul_f32_e32 v134, v7, v185
	v_mul_f32_e32 v147, v6, v185
	v_add_f32_e32 v10, v10, v157
	s_waitcnt vmcnt(40)
	v_mul_f32_e32 v138, v9, v186
	v_fma_f32 v148, v6, v183, -v134
	v_add_f32_e32 v6, v135, v156
	v_fmac_f32_e32 v147, v7, v183
	v_add_f32_e32 v7, v10, v167
	v_mul_f32_e32 v10, v8, v186
	ds_read_b128 v[134:137], v1 offset:800
	v_add_f32_e32 v6, v6, v163
	v_fma_f32 v149, v8, v174, -v138
	v_add_f32_e32 v7, v7, v169
	v_fmac_f32_e32 v10, v9, v174
	s_waitcnt vmcnt(37) lgkmcnt(2)
	v_mul_f32_e32 v143, v131, v188
	v_add_f32_e32 v6, v6, v168
	v_mul_f32_e32 v163, v130, v188
	s_waitcnt lgkmcnt(1)
	v_mul_f32_e32 v139, v3, v187
	v_mul_f32_e32 v156, v2, v187
	;; [unrolled: 1-line block ×4, first 2 shown]
	s_waitcnt vmcnt(34)
	v_fma_f32 v169, v130, v189, -v143
	v_fma_f32 v167, v2, v173, -v139
	v_add_f32_e32 v2, v7, v171
	v_fmac_f32_e32 v156, v3, v173
	v_add_f32_e32 v3, v6, v170
	s_waitcnt vmcnt(33)
	v_fma_f32 v168, v4, v191, -v142
	ds_read_b128 v[6:9], v1 offset:816
	ds_read_b128 v[138:141], v1 offset:832
	v_add_f32_e32 v11, v2, v11
	v_fmac_f32_e32 v157, v5, v191
	v_add_f32_e32 v12, v3, v12
	s_waitcnt vmcnt(32)
	v_mul_f32_e32 v130, v133, v151
	v_fmac_f32_e32 v163, v131, v189
	v_add_f32_e32 v11, v11, v166
	v_mul_f32_e32 v166, v132, v151
	v_add_f32_e32 v12, v12, v146
	s_waitcnt vmcnt(31) lgkmcnt(2)
	v_mul_f32_e32 v151, v134, v164
	v_mul_f32_e32 v131, v135, v164
	v_add_f32_e32 v11, v11, v148
	v_fmac_f32_e32 v166, v133, v165
	v_add_f32_e32 v12, v12, v147
	v_fma_f32 v165, v132, v165, -v130
	s_waitcnt vmcnt(30)
	v_mul_f32_e32 v164, v137, v180
	v_add_f32_e32 v11, v11, v149
	v_fmac_f32_e32 v151, v135, v158
	v_add_f32_e32 v10, v12, v10
	v_fma_f32 v158, v134, v158, -v131
	v_mul_f32_e32 v170, v136, v180
	v_add_f32_e32 v11, v11, v167
	s_waitcnt vmcnt(26)
	v_fma_f32 v164, v136, v192, -v164
	v_add_f32_e32 v10, v10, v156
	s_waitcnt vmcnt(24) lgkmcnt(1)
	v_mul_f32_e32 v12, v7, v175
	ds_read_b128 v[2:5], v1 offset:848
	ds_read_b128 v[142:145], v1 offset:864
	v_add_f32_e32 v11, v11, v168
	ds_read_b128 v[130:133], v1 offset:880
	ds_read_b128 v[146:149], v1 offset:896
	v_add_f32_e32 v10, v10, v157
	v_fmac_f32_e32 v170, v137, v192
	ds_read_b128 v[134:137], v1 offset:912
	v_add_f32_e32 v11, v11, v169
	v_mul_f32_e32 v1, v6, v175
	v_add_f32_e32 v10, v10, v163
	v_mul_f32_e32 v167, v9, v193
	v_fma_f32 v6, v6, v182, -v12
	v_add_f32_e32 v11, v11, v165
	v_mul_f32_e32 v156, v8, v193
	v_add_f32_e32 v10, v10, v166
	v_fmac_f32_e32 v1, v7, v182
	s_waitcnt vmcnt(23) lgkmcnt(5)
	v_mul_f32_e32 v12, v139, v176
	v_add_f32_e32 v11, v11, v158
	v_fma_f32 v8, v8, v181, -v167
	v_add_f32_e32 v10, v10, v151
	v_mul_f32_e32 v168, v138, v176
	v_fmac_f32_e32 v156, v9, v181
	v_add_f32_e32 v11, v11, v164
	s_waitcnt vmcnt(22)
	v_mul_f32_e32 v9, v141, v159
	v_add_f32_e32 v10, v10, v170
	v_mul_f32_e32 v157, v140, v159
	v_fmac_f32_e32 v168, v139, v152
	v_add_f32_e32 v6, v11, v6
	s_waitcnt vmcnt(21) lgkmcnt(4)
	v_mul_f32_e32 v171, v2, v194
	v_add_f32_e32 v1, v10, v1
	v_fma_f32 v10, v138, v152, -v12
	s_waitcnt vmcnt(8)
	v_fma_f32 v9, v140, v201, -v9
	v_add_f32_e32 v6, v6, v8
	v_mul_f32_e32 v8, v3, v194
	v_add_f32_e32 v1, v1, v156
	v_fmac_f32_e32 v157, v141, v201
	v_fmac_f32_e32 v171, v3, v200
	v_add_f32_e32 v6, v6, v10
	v_mul_f32_e32 v10, v5, v150
	v_add_f32_e32 v1, v1, v168
	v_fma_f32 v2, v2, v200, -v8
	v_mul_f32_e32 v169, v4, v150
	v_add_f32_e32 v3, v6, v9
	s_waitcnt lgkmcnt(3)
	v_mul_f32_e32 v6, v143, v195
	v_add_f32_e32 v1, v1, v157
	v_fma_f32 v4, v4, v161, -v10
	v_mul_f32_e32 v163, v142, v195
	v_add_f32_e32 v2, v3, v2
	v_fmac_f32_e32 v169, v5, v161
	v_add_f32_e32 v1, v1, v171
	v_mul_f32_e32 v3, v145, v196
	v_fma_f32 v5, v142, v153, -v6
	v_add_f32_e32 v2, v2, v4
	v_mul_f32_e32 v172, v144, v196
	v_fmac_f32_e32 v163, v143, v153
	v_add_f32_e32 v1, v1, v169
	s_waitcnt lgkmcnt(2)
	v_mul_f32_e32 v4, v131, v177
	s_waitcnt vmcnt(4)
	v_fma_f32 v3, v144, v203, -v3
	v_add_f32_e32 v2, v2, v5
	v_mul_f32_e32 v165, v130, v177
	v_fmac_f32_e32 v172, v145, v203
	v_add_f32_e32 v1, v1, v163
	v_mul_f32_e32 v5, v133, v197
	v_fma_f32 v4, v130, v202, -v4
	v_add_f32_e32 v2, v2, v3
	v_mul_f32_e32 v166, v132, v197
	v_fmac_f32_e32 v165, v131, v202
	v_add_f32_e32 v1, v1, v172
	s_waitcnt lgkmcnt(1)
	v_mul_f32_e32 v3, v147, v198
	v_fma_f32 v5, v132, v162, -v5
	v_add_f32_e32 v2, v2, v4
	v_mul_f32_e32 v173, v146, v198
	v_fmac_f32_e32 v166, v133, v162
	v_add_f32_e32 v1, v1, v165
	v_mul_f32_e32 v4, v149, v178
	v_fma_f32 v3, v146, v154, -v3
	v_add_f32_e32 v2, v2, v5
	v_mul_f32_e32 v158, v148, v178
	v_fmac_f32_e32 v173, v147, v154
	v_add_f32_e32 v1, v1, v166
	s_waitcnt lgkmcnt(0)
	v_mul_f32_e32 v5, v135, v199
	s_waitcnt vmcnt(1)
	v_fma_f32 v4, v148, v206, -v4
	v_add_f32_e32 v2, v2, v3
	v_mul_f32_e32 v151, v134, v199
	v_fmac_f32_e32 v158, v149, v206
	v_add_f32_e32 v1, v1, v173
	v_mul_f32_e32 v3, v137, v160
	v_fma_f32 v5, v134, v205, -v5
	v_add_f32_e32 v2, v2, v4
	v_mul_f32_e32 v7, v136, v160
	v_fmac_f32_e32 v151, v135, v205
	v_add_f32_e32 v1, v1, v158
	v_fma_f32 v3, v136, v204, -v3
	v_add_f32_e32 v2, v2, v5
	v_fmac_f32_e32 v7, v137, v204
	v_add_f32_e32 v1, v1, v151
	v_add_f32_e32 v2, v2, v3
	;; [unrolled: 1-line block ×3, first 2 shown]
	s_waitcnt vmcnt(0)
	v_sub_f32_e32 v2, v155, v2
	v_sub_f32_e32 v1, v190, v1
	buffer_store_dword v2, off, s[0:3], 0 offset:24
	buffer_store_dword v1, off, s[0:3], 0 offset:28
	v_cmpx_lt_u32_e32 2, v0
	s_cbranch_execz .LBB57_357
; %bb.356:
	s_clause 0x1
	buffer_load_dword v1, off, s[0:3], 0 offset:16
	buffer_load_dword v2, off, s[0:3], 0 offset:20
	v_mov_b32_e32 v3, 0
	buffer_store_dword v3, off, s[0:3], 0 offset:16
	buffer_store_dword v3, off, s[0:3], 0 offset:20
	s_waitcnt vmcnt(0)
	ds_write_b64 v129, v[1:2]
.LBB57_357:
	s_or_b32 exec_lo, exec_lo, s4
	s_waitcnt lgkmcnt(0)
	s_waitcnt_vscnt null, 0x0
	s_barrier
	buffer_gl0_inv
	s_clause 0x3c
	buffer_load_dword v2, off, s[0:3], 0 offset:28
	buffer_load_dword v3, off, s[0:3], 0 offset:36
	;; [unrolled: 1-line block ×61, first 2 shown]
	v_mov_b32_e32 v1, 0
	ds_read2_b64 v[178:181], v1 offset0:61 offset1:62
	ds_read2_b64 v[182:185], v1 offset0:63 offset1:64
	buffer_load_dword v176, off, s[0:3], 0 offset:20
	s_mov_b32 s4, exec_lo
	s_waitcnt vmcnt(61) lgkmcnt(1)
	v_mul_f32_e32 v189, v178, v2
	v_mul_f32_e32 v2, v179, v2
	s_waitcnt vmcnt(60)
	v_mul_f32_e32 v190, v180, v3
	v_mul_f32_e32 v3, v181, v3
	s_waitcnt vmcnt(59) lgkmcnt(0)
	v_mul_f32_e32 v191, v182, v4
	v_mul_f32_e32 v192, v183, v4
	s_waitcnt vmcnt(58)
	v_mul_f32_e32 v193, v184, v5
	v_mul_f32_e32 v194, v185, v5
	s_waitcnt vmcnt(55)
	v_fmac_f32_e32 v189, v179, v8
	v_fma_f32 v8, v178, v8, -v2
	v_fmac_f32_e32 v190, v181, v7
	v_fma_f32 v7, v180, v7, -v3
	ds_read2_b64 v[2:5], v1 offset0:65 offset1:66
	ds_read2_b64 v[178:181], v1 offset0:67 offset1:68
	v_fmac_f32_e32 v191, v183, v6
	v_fma_f32 v6, v182, v6, -v192
	s_waitcnt vmcnt(51)
	v_fma_f32 v182, v184, v160, -v194
	v_fmac_f32_e32 v193, v185, v160
	v_add_f32_e32 v8, 0, v8
	v_add_f32_e32 v7, v8, v7
	;; [unrolled: 1-line block ×3, first 2 shown]
	s_waitcnt vmcnt(50) lgkmcnt(1)
	v_mul_f32_e32 v183, v2, v157
	v_mul_f32_e32 v157, v3, v157
	s_waitcnt vmcnt(49)
	v_mul_f32_e32 v184, v4, v155
	v_mul_f32_e32 v155, v5, v155
	s_waitcnt vmcnt(48) lgkmcnt(0)
	v_mul_f32_e32 v185, v178, v152
	v_fmac_f32_e32 v183, v3, v139
	v_fma_f32 v139, v2, v139, -v157
	v_fmac_f32_e32 v184, v5, v135
	v_fma_f32 v155, v4, v135, -v155
	ds_read2_b64 v[2:5], v1 offset0:69 offset1:70
	v_mul_f32_e32 v152, v179, v152
	s_waitcnt vmcnt(47)
	v_mul_f32_e32 v192, v180, v150
	v_mul_f32_e32 v150, v181, v150
	v_fmac_f32_e32 v185, v179, v130
	v_fma_f32 v130, v178, v130, -v152
	s_waitcnt vmcnt(43)
	v_fmac_f32_e32 v192, v181, v165
	v_fma_f32 v157, v180, v165, -v150
	ds_read2_b64 v[178:181], v1 offset0:71 offset1:72
	s_waitcnt vmcnt(42) lgkmcnt(1)
	v_mul_f32_e32 v165, v2, v164
	v_mul_f32_e32 v135, v3, v164
	s_waitcnt vmcnt(41)
	v_mul_f32_e32 v164, v4, v163
	v_mul_f32_e32 v150, v5, v163
	v_fmac_f32_e32 v165, v3, v145
	v_fma_f32 v145, v2, v145, -v135
	v_fmac_f32_e32 v164, v5, v142
	v_fma_f32 v142, v4, v142, -v150
	ds_read2_b64 v[2:5], v1 offset0:73 offset1:74
	s_waitcnt vmcnt(40) lgkmcnt(1)
	v_mul_f32_e32 v163, v178, v161
	s_waitcnt vmcnt(39)
	v_mul_f32_e32 v194, v180, v159
	v_mul_f32_e32 v159, v181, v159
	;; [unrolled: 1-line block ×3, first 2 shown]
	v_fmac_f32_e32 v163, v179, v136
	s_waitcnt vmcnt(35)
	v_fmac_f32_e32 v194, v181, v162
	v_fma_f32 v179, v180, v162, -v159
	ds_read2_b64 v[159:162], v1 offset0:75 offset1:76
	v_fma_f32 v178, v178, v136, -v152
	s_waitcnt vmcnt(34) lgkmcnt(1)
	v_mul_f32_e32 v180, v2, v158
	v_mul_f32_e32 v135, v3, v158
	s_waitcnt vmcnt(33)
	v_mul_f32_e32 v158, v4, v156
	v_mul_f32_e32 v136, v5, v156
	v_fmac_f32_e32 v180, v3, v140
	v_fma_f32 v140, v2, v140, -v135
	v_fmac_f32_e32 v158, v5, v137
	v_fma_f32 v195, v4, v137, -v136
	ds_read2_b64 v[2:5], v1 offset0:77 offset1:78
	s_waitcnt vmcnt(32) lgkmcnt(1)
	v_mul_f32_e32 v156, v159, v153
	v_mul_f32_e32 v150, v160, v153
	s_waitcnt vmcnt(31)
	v_mul_f32_e32 v181, v161, v151
	v_mul_f32_e32 v151, v162, v151
	v_fmac_f32_e32 v156, v160, v131
	v_fma_f32 v131, v159, v131, -v150
	s_waitcnt vmcnt(27)
	v_fmac_f32_e32 v181, v162, v154
	v_fma_f32 v154, v161, v154, -v151
	ds_read2_b64 v[150:153], v1 offset0:79 offset1:80
	s_waitcnt vmcnt(26) lgkmcnt(1)
	v_mul_f32_e32 v159, v2, v149
	v_mul_f32_e32 v135, v3, v149
	s_waitcnt vmcnt(25)
	v_mul_f32_e32 v149, v4, v148
	v_mul_f32_e32 v136, v5, v148
	v_fmac_f32_e32 v159, v3, v134
	v_fma_f32 v160, v2, v134, -v135
	v_fmac_f32_e32 v149, v5, v132
	v_fma_f32 v132, v4, v132, -v136
	ds_read2_b64 v[2:5], v1 offset0:81 offset1:82
	s_waitcnt vmcnt(24) lgkmcnt(1)
	v_mul_f32_e32 v148, v150, v146
	v_mul_f32_e32 v137, v151, v146
	s_waitcnt vmcnt(23)
	v_mul_f32_e32 v146, v152, v144
	v_mul_f32_e32 v144, v153, v144
	v_fmac_f32_e32 v148, v151, v10
	v_fma_f32 v10, v150, v10, -v137
	ds_read2_b64 v[134:137], v1 offset0:83 offset1:84
	s_waitcnt vmcnt(19)
	v_fmac_f32_e32 v146, v153, v147
	v_fma_f32 v144, v152, v147, -v144
	buffer_load_dword v147, off, s[0:3], 0 offset:268
	s_waitcnt vmcnt(18) lgkmcnt(1)
	v_mul_f32_e32 v151, v4, v141
	v_mul_f32_e32 v141, v5, v141
	;; [unrolled: 1-line block ×4, first 2 shown]
	v_fmac_f32_e32 v151, v5, v11
	v_fma_f32 v11, v4, v11, -v141
	s_clause 0x4
	buffer_load_dword v141, off, s[0:3], 0 offset:276
	buffer_load_dword v153, off, s[0:3], 0 offset:296
	;; [unrolled: 1-line block ×5, first 2 shown]
	s_waitcnt vmcnt(22) lgkmcnt(0)
	v_mul_f32_e32 v152, v134, v138
	v_mul_f32_e32 v138, v135, v138
	v_fmac_f32_e32 v150, v3, v133
	v_fma_f32 v133, v2, v133, -v143
	s_waitcnt vmcnt(21)
	v_mul_f32_e32 v2, v137, v12
	v_mul_f32_e32 v143, v136, v12
	v_fmac_f32_e32 v152, v135, v9
	v_fma_f32 v12, v134, v9, -v138
	v_add_f32_e32 v9, 0, v189
	s_waitcnt vmcnt(17)
	v_fma_f32 v134, v136, v174, -v2
	ds_read2_b64 v[2:5], v1 offset0:85 offset1:86
	buffer_load_dword v135, off, s[0:3], 0 offset:284
	v_add_f32_e32 v136, v6, v182
	v_add_f32_e32 v8, v9, v190
	v_fmac_f32_e32 v143, v137, v174
	s_clause 0x2
	buffer_load_dword v138, off, s[0:3], 0 offset:292
	buffer_load_dword v174, off, s[0:3], 0 offset:300
	;; [unrolled: 1-line block ×3, first 2 shown]
	v_add_f32_e32 v136, v136, v139
	v_add_f32_e32 v7, v8, v191
	;; [unrolled: 1-line block ×4, first 2 shown]
	ds_read2_b64 v[6:9], v1 offset0:87 offset1:88
	buffer_load_dword v155, off, s[0:3], 0 offset:316
	v_add_f32_e32 v137, v137, v183
	s_waitcnt vmcnt(21) lgkmcnt(1)
	v_mul_f32_e32 v139, v2, v173
	v_mul_f32_e32 v173, v3, v173
	s_waitcnt vmcnt(20)
	v_mul_f32_e32 v183, v4, v172
	v_mul_f32_e32 v172, v5, v172
	v_fmac_f32_e32 v139, v3, v171
	v_fma_f32 v171, v2, v171, -v173
	v_add_f32_e32 v2, v137, v184
	v_fmac_f32_e32 v183, v5, v170
	v_fma_f32 v170, v4, v170, -v172
	s_clause 0x3
	buffer_load_dword v172, off, s[0:3], 0 offset:328
	buffer_load_dword v173, off, s[0:3], 0 offset:320
	;; [unrolled: 1-line block ×4, first 2 shown]
	v_add_f32_e32 v3, v136, v130
	v_add_f32_e32 v2, v2, v185
	s_waitcnt vmcnt(23) lgkmcnt(0)
	v_mul_f32_e32 v137, v6, v168
	v_add_f32_e32 v130, v3, v157
	s_clause 0x2
	buffer_load_dword v157, off, s[0:3], 0 offset:324
	buffer_load_dword v185, off, s[0:3], 0 offset:332
	;; [unrolled: 1-line block ×3, first 2 shown]
	v_add_f32_e32 v136, v2, v192
	ds_read2_b64 v[2:5], v1 offset0:89 offset1:90
	v_fmac_f32_e32 v137, v7, v166
	v_add_f32_e32 v130, v130, v145
	v_mul_f32_e32 v145, v7, v168
	v_add_f32_e32 v136, v136, v165
	s_waitcnt vmcnt(25)
	v_mul_f32_e32 v165, v8, v167
	v_mul_f32_e32 v167, v9, v167
	v_add_f32_e32 v7, v130, v142
	v_fma_f32 v142, v6, v166, -v145
	v_add_f32_e32 v6, v136, v164
	s_waitcnt vmcnt(21)
	v_fmac_f32_e32 v165, v9, v187
	v_fma_f32 v145, v8, v187, -v167
	v_add_f32_e32 v130, v7, v178
	s_clause 0x4
	buffer_load_dword v164, off, s[0:3], 0 offset:360
	buffer_load_dword v166, off, s[0:3], 0 offset:352
	;; [unrolled: 1-line block ×5, first 2 shown]
	v_add_f32_e32 v136, v6, v163
	ds_read2_b64 v[6:9], v1 offset0:91 offset1:92
	v_add_f32_e32 v130, v130, v179
	v_add_f32_e32 v136, v136, v194
	s_waitcnt vmcnt(25) lgkmcnt(1)
	v_mul_f32_e32 v179, v3, v188
	v_mul_f32_e32 v163, v2, v188
	v_add_f32_e32 v130, v130, v140
	s_clause 0x2
	buffer_load_dword v187, off, s[0:3], 0 offset:356
	buffer_load_dword v188, off, s[0:3], 0 offset:364
	;; [unrolled: 1-line block ×3, first 2 shown]
	v_fma_f32 v140, v2, v186, -v179
	v_add_f32_e32 v2, v136, v180
	v_fmac_f32_e32 v163, v3, v186
	v_add_f32_e32 v3, v130, v195
	s_waitcnt vmcnt(27)
	v_mul_f32_e32 v179, v4, v177
	s_clause 0x1
	buffer_load_dword v180, off, s[0:3], 0 offset:380
	buffer_load_dword v186, off, s[0:3], 0 offset:388
	v_add_f32_e32 v2, v2, v158
	v_mul_f32_e32 v130, v5, v177
	v_add_f32_e32 v3, v3, v131
	s_clause 0x2
	buffer_load_dword v158, off, s[0:3], 0 offset:396
	buffer_load_dword v177, off, s[0:3], 0 offset:404
	;; [unrolled: 1-line block ×3, first 2 shown]
	v_add_f32_e32 v2, v2, v156
	v_fmac_f32_e32 v179, v5, v175
	v_add_f32_e32 v3, v3, v154
	s_clause 0x2
	buffer_load_dword v154, off, s[0:3], 0 offset:420
	buffer_load_dword v156, off, s[0:3], 0 offset:428
	;; [unrolled: 1-line block ×3, first 2 shown]
	v_fma_f32 v175, v4, v175, -v130
	v_add_f32_e32 v2, v2, v181
	v_add_f32_e32 v3, v3, v160
	s_clause 0x2
	buffer_load_dword v160, off, s[0:3], 0 offset:444
	buffer_load_dword v181, off, s[0:3], 0 offset:452
	;; [unrolled: 1-line block ×3, first 2 shown]
	v_add_f32_e32 v2, v2, v159
	s_clause 0x7
	buffer_load_dword v159, off, s[0:3], 0 offset:392
	buffer_load_dword v195, off, s[0:3], 0 offset:384
	;; [unrolled: 1-line block ×8, first 2 shown]
	v_add_f32_e32 v3, v3, v132
	v_add_f32_e32 v2, v2, v149
	;; [unrolled: 1-line block ×8, first 2 shown]
	s_clause 0x3
	buffer_load_dword v150, off, s[0:3], 0 offset:456
	buffer_load_dword v203, off, s[0:3], 0 offset:448
	;; [unrolled: 1-line block ×4, first 2 shown]
	v_add_f32_e32 v3, v3, v11
	v_add_f32_e32 v2, v2, v151
	buffer_load_dword v151, off, s[0:3], 0 offset:16
	v_add_f32_e32 v3, v3, v12
	v_add_f32_e32 v2, v2, v152
	s_waitcnt vmcnt(49) lgkmcnt(0)
	v_mul_f32_e32 v10, v6, v147
	v_mul_f32_e32 v4, v7, v147
	v_fmac_f32_e32 v10, v7, v169
	v_fma_f32 v11, v6, v169, -v4
	v_add_f32_e32 v6, v3, v134
	v_add_f32_e32 v7, v2, v143
	ds_read2_b64 v[2:5], v1 offset0:93 offset1:94
	v_add_f32_e32 v12, v6, v171
	s_waitcnt vmcnt(48)
	v_mul_f32_e32 v143, v8, v141
	v_mul_f32_e32 v6, v9, v141
	v_add_f32_e32 v130, v7, v139
	v_add_f32_e32 v12, v12, v170
	s_waitcnt vmcnt(44)
	v_fmac_f32_e32 v143, v9, v196
	v_fma_f32 v144, v8, v196, -v6
	ds_read2_b64 v[6:9], v1 offset0:95 offset1:96
	v_add_f32_e32 v134, v130, v183
	v_add_f32_e32 v12, v12, v142
	ds_read2_b64 v[130:133], v1 offset0:97 offset1:98
	v_add_f32_e32 v134, v134, v137
	v_add_f32_e32 v12, v12, v145
	s_waitcnt vmcnt(43) lgkmcnt(2)
	v_mul_f32_e32 v146, v2, v135
	v_mul_f32_e32 v135, v3, v135
	v_fmac_f32_e32 v146, v3, v162
	v_fma_f32 v147, v2, v162, -v135
	v_add_f32_e32 v2, v134, v165
	v_add_f32_e32 v3, v12, v140
	ds_read2_b64 v[134:137], v1 offset0:99 offset1:100
	s_waitcnt vmcnt(42)
	v_mul_f32_e32 v12, v4, v138
	s_waitcnt vmcnt(41) lgkmcnt(2)
	v_mul_f32_e32 v139, v7, v174
	v_add_f32_e32 v2, v2, v163
	v_add_f32_e32 v3, v3, v175
	v_mul_f32_e32 v152, v6, v174
	v_mul_f32_e32 v138, v5, v138
	v_fma_f32 v149, v6, v153, -v139
	v_add_f32_e32 v2, v2, v179
	v_add_f32_e32 v6, v3, v11
	v_fmac_f32_e32 v152, v7, v153
	s_waitcnt vmcnt(39) lgkmcnt(1)
	v_mul_f32_e32 v163, v130, v155
	v_fma_f32 v148, v4, v161, -v138
	v_add_f32_e32 v7, v2, v10
	v_mul_f32_e32 v10, v131, v155
	v_add_f32_e32 v11, v6, v144
	v_fmac_f32_e32 v12, v5, v161
	v_mul_f32_e32 v142, v9, v182
	v_mul_f32_e32 v162, v8, v182
	s_waitcnt vmcnt(36)
	v_fma_f32 v155, v130, v184, -v10
	v_add_f32_e32 v10, v7, v143
	v_add_f32_e32 v11, v11, v147
	s_waitcnt vmcnt(35)
	v_fma_f32 v153, v8, v189, -v142
	ds_read2_b64 v[2:5], v1 offset0:101 offset1:102
	ds_read2_b64 v[138:141], v1 offset0:103 offset1:104
	v_fmac_f32_e32 v162, v9, v189
	v_add_f32_e32 v10, v10, v146
	v_add_f32_e32 v11, v11, v148
	s_waitcnt vmcnt(34)
	v_mul_f32_e32 v130, v133, v157
	v_fmac_f32_e32 v163, v131, v184
	v_mul_f32_e32 v161, v132, v157
	v_add_f32_e32 v10, v10, v12
	v_add_f32_e32 v12, v11, v149
	s_waitcnt vmcnt(33) lgkmcnt(2)
	v_mul_f32_e32 v131, v135, v185
	v_fma_f32 v170, v132, v173, -v130
	v_mul_f32_e32 v157, v134, v185
	v_add_f32_e32 v152, v10, v152
	v_add_f32_e32 v12, v12, v153
	v_fmac_f32_e32 v161, v133, v173
	s_waitcnt vmcnt(32)
	v_mul_f32_e32 v165, v136, v190
	v_mul_f32_e32 v169, v137, v190
	v_add_f32_e32 v152, v152, v162
	v_add_f32_e32 v12, v12, v155
	v_fma_f32 v171, v134, v172, -v131
	v_fmac_f32_e32 v157, v135, v172
	s_waitcnt vmcnt(28)
	v_fmac_f32_e32 v165, v137, v168
	v_add_f32_e32 v152, v152, v163
	v_add_f32_e32 v12, v12, v170
	v_fma_f32 v168, v136, v168, -v169
	s_waitcnt vmcnt(27) lgkmcnt(1)
	v_mul_f32_e32 v169, v3, v178
	ds_read2_b64 v[6:9], v1 offset0:105 offset1:106
	ds_read2_b64 v[142:145], v1 offset0:107 offset1:108
	v_add_f32_e32 v152, v152, v161
	v_add_f32_e32 v12, v12, v171
	v_mul_f32_e32 v153, v2, v178
	s_waitcnt vmcnt(26)
	v_mul_f32_e32 v172, v5, v187
	v_fma_f32 v2, v2, v167, -v169
	v_add_f32_e32 v152, v152, v157
	v_add_f32_e32 v12, v12, v168
	v_mul_f32_e32 v162, v4, v187
	v_fmac_f32_e32 v153, v3, v167
	s_waitcnt vmcnt(25) lgkmcnt(2)
	v_mul_f32_e32 v169, v139, v188
	v_add_f32_e32 v152, v152, v165
	v_fma_f32 v4, v4, v166, -v172
	v_add_f32_e32 v2, v12, v2
	v_mul_f32_e32 v155, v138, v188
	v_fmac_f32_e32 v162, v5, v166
	v_add_f32_e32 v12, v152, v153
	s_waitcnt vmcnt(24)
	v_mul_f32_e32 v165, v141, v191
	v_fma_f32 v138, v138, v164, -v169
	v_add_f32_e32 v2, v2, v4
	v_mul_f32_e32 v163, v140, v191
	v_fmac_f32_e32 v155, v139, v164
	v_add_f32_e32 v4, v12, v162
	s_waitcnt vmcnt(23) lgkmcnt(1)
	v_mul_f32_e32 v12, v7, v180
	v_add_f32_e32 v2, v2, v138
	ds_read2_b64 v[130:133], v1 offset0:109 offset1:110
	ds_read2_b64 v[146:149], v1 offset0:111 offset1:112
	s_waitcnt vmcnt(9)
	v_fma_f32 v139, v140, v198, -v165
	v_mul_f32_e32 v3, v6, v180
	v_fmac_f32_e32 v163, v141, v198
	v_add_f32_e32 v4, v4, v155
	v_mul_f32_e32 v138, v9, v186
	v_fma_f32 v6, v6, v197, -v12
	v_add_f32_e32 v2, v2, v139
	v_mul_f32_e32 v167, v8, v186
	v_fmac_f32_e32 v3, v7, v197
	v_add_f32_e32 v4, v4, v163
	s_waitcnt lgkmcnt(2)
	v_mul_f32_e32 v7, v143, v158
	v_fma_f32 v8, v8, v195, -v138
	v_add_f32_e32 v2, v2, v6
	v_mul_f32_e32 v161, v142, v158
	v_fmac_f32_e32 v167, v9, v195
	v_add_f32_e32 v3, v4, v3
	v_mul_f32_e32 v4, v145, v177
	v_fma_f32 v6, v142, v159, -v7
	v_add_f32_e32 v2, v2, v8
	v_mul_f32_e32 v5, v144, v177
	v_fmac_f32_e32 v161, v143, v159
	v_add_f32_e32 v3, v3, v167
	s_waitcnt lgkmcnt(1)
	v_mul_f32_e32 v7, v131, v192
	s_waitcnt vmcnt(5)
	v_fma_f32 v4, v144, v202, -v4
	v_add_f32_e32 v2, v2, v6
	ds_read2_b64 v[134:137], v1 offset0:113 offset1:114
	ds_read_b64 v[10:11], v1 offset:920
	v_mul_f32_e32 v166, v130, v192
	v_fmac_f32_e32 v5, v145, v202
	v_add_f32_e32 v3, v3, v161
	v_mul_f32_e32 v6, v133, v154
	v_fma_f32 v7, v130, v201, -v7
	v_add_f32_e32 v2, v2, v4
	v_mul_f32_e32 v157, v132, v154
	v_fmac_f32_e32 v166, v131, v201
	v_add_f32_e32 v3, v3, v5
	s_waitcnt lgkmcnt(2)
	v_mul_f32_e32 v4, v147, v156
	v_fma_f32 v5, v132, v200, -v6
	v_add_f32_e32 v2, v2, v7
	v_mul_f32_e32 v170, v146, v156
	v_fmac_f32_e32 v157, v133, v200
	v_add_f32_e32 v3, v3, v166
	v_mul_f32_e32 v6, v149, v193
	v_fma_f32 v4, v146, v199, -v4
	v_add_f32_e32 v2, v2, v5
	v_mul_f32_e32 v171, v148, v193
	v_fmac_f32_e32 v170, v147, v199
	v_add_f32_e32 v3, v3, v157
	s_waitcnt lgkmcnt(1)
	v_mul_f32_e32 v5, v135, v160
	s_waitcnt vmcnt(1)
	v_fma_f32 v6, v148, v205, -v6
	v_add_f32_e32 v2, v2, v4
	v_mul_f32_e32 v168, v134, v160
	v_fmac_f32_e32 v171, v149, v205
	v_add_f32_e32 v3, v3, v170
	v_mul_f32_e32 v4, v137, v181
	v_fma_f32 v5, v134, v204, -v5
	v_add_f32_e32 v2, v2, v6
	v_mul_f32_e32 v172, v136, v181
	v_fmac_f32_e32 v168, v135, v204
	v_add_f32_e32 v3, v3, v171
	s_waitcnt lgkmcnt(0)
	v_mul_f32_e32 v6, v11, v194
	v_fma_f32 v4, v136, v203, -v4
	v_add_f32_e32 v2, v2, v5
	v_mul_f32_e32 v152, v10, v194
	v_fmac_f32_e32 v172, v137, v203
	v_add_f32_e32 v3, v3, v168
	v_fma_f32 v5, v10, v150, -v6
	v_add_f32_e32 v2, v2, v4
	v_fmac_f32_e32 v152, v11, v150
	v_add_f32_e32 v3, v3, v172
	v_add_f32_e32 v2, v2, v5
	;; [unrolled: 1-line block ×3, first 2 shown]
	s_waitcnt vmcnt(0)
	v_sub_f32_e32 v2, v151, v2
	v_sub_f32_e32 v3, v176, v3
	buffer_store_dword v2, off, s[0:3], 0 offset:16
	buffer_store_dword v3, off, s[0:3], 0 offset:20
	v_cmpx_lt_u32_e32 1, v0
	s_cbranch_execz .LBB57_359
; %bb.358:
	s_clause 0x1
	buffer_load_dword v2, off, s[0:3], 0 offset:8
	buffer_load_dword v3, off, s[0:3], 0 offset:12
	buffer_store_dword v1, off, s[0:3], 0 offset:8
	buffer_store_dword v1, off, s[0:3], 0 offset:12
	s_waitcnt vmcnt(0)
	ds_write_b64 v129, v[2:3]
.LBB57_359:
	s_or_b32 exec_lo, exec_lo, s4
	s_waitcnt lgkmcnt(0)
	s_waitcnt_vscnt null, 0x0
	s_barrier
	buffer_gl0_inv
	s_clause 0x34
	buffer_load_dword v165, off, s[0:3], 0 offset:20
	buffer_load_dword v166, off, s[0:3], 0 offset:28
	;; [unrolled: 1-line block ×53, first 2 shown]
	ds_read_b128 v[173:176], v1 offset:480
	ds_read_b128 v[177:180], v1 offset:496
	;; [unrolled: 1-line block ×4, first 2 shown]
	s_mov_b32 s4, exec_lo
	s_waitcnt vmcnt(52) lgkmcnt(3)
	v_mul_f32_e32 v168, v173, v165
	v_mul_f32_e32 v189, v174, v165
	s_waitcnt vmcnt(51)
	v_mul_f32_e32 v165, v175, v166
	v_mul_f32_e32 v190, v176, v166
	buffer_load_dword v166, off, s[0:3], 0 offset:12
	s_waitcnt vmcnt(49)
	v_fmac_f32_e32 v168, v174, v6
	v_fma_f32 v189, v173, v6, -v189
	v_fmac_f32_e32 v165, v176, v5
	v_fma_f32 v190, v175, v5, -v190
	ds_read_b128 v[173:176], v1 offset:544
	s_waitcnt vmcnt(48) lgkmcnt(3)
	v_mul_f32_e32 v191, v177, v4
	v_mul_f32_e32 v4, v178, v4
	s_waitcnt vmcnt(47)
	v_mul_f32_e32 v192, v179, v3
	v_mul_f32_e32 v3, v180, v3
	s_waitcnt vmcnt(46) lgkmcnt(2)
	v_mul_f32_e32 v193, v181, v8
	v_fmac_f32_e32 v191, v178, v2
	v_fma_f32 v195, v177, v2, -v4
	s_waitcnt vmcnt(41)
	v_fmac_f32_e32 v192, v180, v131
	v_fma_f32 v131, v179, v131, -v3
	ds_read_b128 v[2:5], v1 offset:560
	ds_read_b128 v[177:180], v1 offset:576
	v_mul_f32_e32 v6, v182, v8
	v_mul_f32_e32 v194, v183, v7
	;; [unrolled: 1-line block ×3, first 2 shown]
	v_fmac_f32_e32 v193, v182, v130
	v_fma_f32 v130, v181, v130, -v6
	v_fmac_f32_e32 v194, v184, v11
	v_fma_f32 v11, v183, v11, -v7
	s_waitcnt vmcnt(40) lgkmcnt(3)
	v_mul_f32_e32 v181, v185, v12
	v_mul_f32_e32 v6, v186, v12
	s_waitcnt vmcnt(39)
	v_mul_f32_e32 v12, v187, v10
	v_mul_f32_e32 v7, v188, v10
	s_waitcnt vmcnt(34) lgkmcnt(2)
	v_mul_f32_e32 v183, v173, v162
	v_fmac_f32_e32 v181, v186, v9
	v_fma_f32 v182, v185, v9, -v6
	v_fmac_f32_e32 v12, v188, v163
	v_fma_f32 v163, v187, v163, -v7
	ds_read_b128 v[6:9], v1 offset:592
	v_mul_f32_e32 v162, v174, v162
	s_waitcnt vmcnt(33)
	v_mul_f32_e32 v184, v175, v161
	v_mul_f32_e32 v161, v176, v161
	s_waitcnt vmcnt(32) lgkmcnt(2)
	v_mul_f32_e32 v185, v2, v160
	v_mul_f32_e32 v160, v3, v160
	v_fmac_f32_e32 v183, v174, v155
	v_fma_f32 v162, v173, v155, -v162
	s_waitcnt vmcnt(31)
	v_mul_f32_e32 v173, v4, v159
	v_mul_f32_e32 v155, v5, v159
	v_fmac_f32_e32 v184, v176, v151
	v_fma_f32 v151, v175, v151, -v161
	s_waitcnt vmcnt(30) lgkmcnt(1)
	v_mul_f32_e32 v159, v177, v156
	v_mul_f32_e32 v161, v178, v156
	s_waitcnt vmcnt(29)
	v_mul_f32_e32 v174, v179, v157
	v_mul_f32_e32 v175, v180, v157
	buffer_load_dword v10, off, s[0:3], 0 offset:228
	v_fmac_f32_e32 v185, v3, v141
	v_fma_f32 v141, v2, v141, -v160
	s_waitcnt vmcnt(26)
	v_fmac_f32_e32 v173, v5, v158
	v_fma_f32 v160, v4, v158, -v155
	ds_read_b128 v[2:5], v1 offset:608
	ds_read_b128 v[155:158], v1 offset:624
	v_fmac_f32_e32 v159, v178, v154
	v_fma_f32 v154, v177, v154, -v161
	v_fmac_f32_e32 v174, v180, v152
	v_fma_f32 v152, v179, v152, -v175
	s_clause 0x4
	buffer_load_dword v161, off, s[0:3], 0 offset:236
	buffer_load_dword v175, off, s[0:3], 0 offset:256
	;; [unrolled: 1-line block ×5, first 2 shown]
	s_waitcnt vmcnt(30) lgkmcnt(2)
	v_mul_f32_e32 v179, v6, v147
	v_mul_f32_e32 v147, v7, v147
	s_waitcnt vmcnt(29)
	v_mul_f32_e32 v180, v8, v145
	v_mul_f32_e32 v145, v9, v145
	v_fmac_f32_e32 v179, v7, v137
	v_fma_f32 v137, v6, v137, -v147
	s_waitcnt vmcnt(25)
	v_fmac_f32_e32 v180, v9, v153
	v_fma_f32 v145, v8, v153, -v145
	ds_read_b128 v[6:9], v1 offset:640
	s_waitcnt vmcnt(24) lgkmcnt(2)
	v_mul_f32_e32 v147, v2, v150
	v_mul_f32_e32 v150, v3, v150
	s_waitcnt vmcnt(23)
	v_mul_f32_e32 v153, v4, v149
	v_mul_f32_e32 v149, v5, v149
	v_fmac_f32_e32 v147, v3, v142
	v_fma_f32 v142, v2, v142, -v150
	s_waitcnt vmcnt(22) lgkmcnt(1)
	v_mul_f32_e32 v150, v155, v146
	v_mul_f32_e32 v2, v156, v146
	v_fmac_f32_e32 v153, v5, v138
	v_fma_f32 v138, v4, v138, -v149
	s_waitcnt vmcnt(21)
	v_mul_f32_e32 v146, v157, v140
	v_mul_f32_e32 v3, v158, v140
	s_clause 0x1
	buffer_load_dword v140, off, s[0:3], 0 offset:244
	buffer_load_dword v149, off, s[0:3], 0 offset:252
	v_fmac_f32_e32 v150, v156, v133
	v_fma_f32 v133, v155, v133, -v2
	s_waitcnt vmcnt(19)
	v_fmac_f32_e32 v146, v158, v148
	v_fma_f32 v148, v157, v148, -v3
	ds_read_b128 v[2:5], v1 offset:656
	s_waitcnt vmcnt(18) lgkmcnt(1)
	v_mul_f32_e32 v155, v6, v144
	v_mul_f32_e32 v144, v7, v144
	s_waitcnt vmcnt(17)
	v_mul_f32_e32 v156, v8, v143
	v_mul_f32_e32 v143, v9, v143
	v_fmac_f32_e32 v155, v7, v139
	v_fma_f32 v139, v6, v139, -v144
	v_fmac_f32_e32 v156, v9, v134
	v_fma_f32 v134, v8, v134, -v143
	ds_read_b128 v[6:9], v1 offset:672
	buffer_load_dword v143, off, s[0:3], 0 offset:260
	s_waitcnt vmcnt(16) lgkmcnt(1)
	v_mul_f32_e32 v157, v4, v135
	v_mul_f32_e32 v135, v5, v135
	;; [unrolled: 1-line block ×4, first 2 shown]
	s_waitcnt vmcnt(12)
	v_fmac_f32_e32 v157, v5, v172
	v_fma_f32 v135, v4, v172, -v135
	buffer_load_dword v172, off, s[0:3], 0 offset:268
	v_fmac_f32_e32 v144, v3, v132
	v_fma_f32 v132, v2, v132, -v136
	s_waitcnt vmcnt(12) lgkmcnt(0)
	v_mul_f32_e32 v136, v6, v171
	v_mul_f32_e32 v158, v7, v171
	s_waitcnt vmcnt(11)
	v_mul_f32_e32 v171, v8, v170
	v_mul_f32_e32 v170, v9, v170
	ds_read_b128 v[2:5], v1 offset:688
	v_fmac_f32_e32 v136, v7, v169
	v_fma_f32 v158, v6, v169, -v158
	v_fmac_f32_e32 v171, v9, v167
	v_fma_f32 v167, v8, v167, -v170
	s_clause 0x4
	buffer_load_dword v169, off, s[0:3], 0 offset:288
	buffer_load_dword v170, off, s[0:3], 0 offset:280
	;; [unrolled: 1-line block ×5, first 2 shown]
	v_add_f32_e32 v6, 0, v189
	v_add_f32_e32 v7, 0, v168
	buffer_load_dword v189, off, s[0:3], 0 offset:284
	v_add_f32_e32 v6, v6, v190
	v_add_f32_e32 v7, v7, v165
	s_clause 0x1
	buffer_load_dword v165, off, s[0:3], 0 offset:292
	buffer_load_dword v168, off, s[0:3], 0 offset:300
	v_add_f32_e32 v6, v6, v195
	v_add_f32_e32 v7, v7, v191
	;; [unrolled: 1-line block ×4, first 2 shown]
	s_clause 0x3
	buffer_load_dword v190, off, s[0:3], 0 offset:320
	buffer_load_dword v191, off, s[0:3], 0 offset:312
	;; [unrolled: 1-line block ×4, first 2 shown]
	v_add_f32_e32 v6, v6, v130
	v_add_f32_e32 v7, v7, v193
	v_add_f32_e32 v6, v6, v11
	v_add_f32_e32 v7, v7, v194
	s_clause 0x3
	buffer_load_dword v11, off, s[0:3], 0 offset:308
	buffer_load_dword v193, off, s[0:3], 0 offset:316
	buffer_load_dword v196, off, s[0:3], 0 offset:324
	buffer_load_dword v194, off, s[0:3], 0 offset:332
	v_add_f32_e32 v6, v6, v182
	v_add_f32_e32 v7, v7, v181
	;; [unrolled: 1-line block ×14, first 2 shown]
	s_waitcnt vmcnt(25) lgkmcnt(0)
	v_mul_f32_e32 v130, v2, v10
	v_mul_f32_e32 v8, v3, v10
	v_fmac_f32_e32 v130, v3, v164
	s_waitcnt vmcnt(24)
	v_mul_f32_e32 v10, v4, v161
	v_mul_f32_e32 v9, v5, v161
	v_fma_f32 v131, v2, v164, -v8
	s_waitcnt vmcnt(20)
	v_fmac_f32_e32 v10, v5, v178
	v_fma_f32 v12, v4, v178, -v9
	ds_read_b128 v[2:5], v1 offset:704
	s_clause 0x6
	buffer_load_dword v161, off, s[0:3], 0 offset:352
	buffer_load_dword v162, off, s[0:3], 0 offset:344
	;; [unrolled: 1-line block ×7, first 2 shown]
	ds_read_b128 v[6:9], v1 offset:720
	s_waitcnt vmcnt(26) lgkmcnt(1)
	v_mul_f32_e32 v173, v2, v140
	v_mul_f32_e32 v140, v3, v140
	s_waitcnt vmcnt(25)
	v_mul_f32_e32 v160, v4, v149
	v_mul_f32_e32 v149, v5, v149
	v_fmac_f32_e32 v173, v3, v177
	v_add_f32_e32 v3, v141, v174
	v_fma_f32 v140, v2, v177, -v140
	v_add_f32_e32 v2, v154, v152
	v_fma_f32 v141, v4, v176, -v149
	s_clause 0x3
	buffer_load_dword v152, off, s[0:3], 0 offset:364
	buffer_load_dword v154, off, s[0:3], 0 offset:372
	;; [unrolled: 1-line block ×4, first 2 shown]
	v_add_f32_e32 v3, v3, v179
	v_fmac_f32_e32 v160, v5, v176
	v_add_f32_e32 v2, v2, v137
	s_clause 0x3
	buffer_load_dword v176, off, s[0:3], 0 offset:396
	buffer_load_dword v177, off, s[0:3], 0 offset:404
	;; [unrolled: 1-line block ×4, first 2 shown]
	v_add_f32_e32 v3, v3, v180
	s_waitcnt vmcnt(32) lgkmcnt(0)
	v_mul_f32_e32 v4, v7, v143
	v_add_f32_e32 v2, v2, v145
	v_mul_f32_e32 v145, v6, v143
	s_clause 0x3
	buffer_load_dword v180, off, s[0:3], 0 offset:428
	buffer_load_dword v183, off, s[0:3], 0 offset:436
	;; [unrolled: 1-line block ×4, first 2 shown]
	v_add_f32_e32 v3, v3, v147
	buffer_load_dword v197, off, s[0:3], 0 offset:460
	v_add_f32_e32 v2, v2, v142
	v_fmac_f32_e32 v145, v7, v175
	v_fma_f32 v142, v6, v175, -v4
	v_add_f32_e32 v6, v3, v153
	s_clause 0x3
	buffer_load_dword v153, off, s[0:3], 0 offset:384
	buffer_load_dword v175, off, s[0:3], 0 offset:376
	;; [unrolled: 1-line block ×4, first 2 shown]
	v_add_f32_e32 v2, v2, v138
	v_add_f32_e32 v6, v6, v150
	;; [unrolled: 1-line block ×3, first 2 shown]
	s_waitcnt vmcnt(40)
	v_mul_f32_e32 v2, v9, v172
	v_mul_f32_e32 v138, v8, v172
	v_add_f32_e32 v6, v6, v146
	v_add_f32_e32 v7, v7, v148
	;; [unrolled: 1-line block ×4, first 2 shown]
	s_waitcnt vmcnt(36)
	v_fma_f32 v143, v8, v187, -v2
	ds_read_b128 v[2:5], v1 offset:736
	v_fmac_f32_e32 v138, v9, v187
	s_clause 0x3
	buffer_load_dword v150, off, s[0:3], 0 offset:416
	buffer_load_dword v172, off, s[0:3], 0 offset:408
	;; [unrolled: 1-line block ×4, first 2 shown]
	v_add_f32_e32 v133, v7, v134
	v_add_f32_e32 v134, v6, v156
	ds_read_b128 v[6:9], v1 offset:752
	v_add_f32_e32 v132, v133, v132
	v_add_f32_e32 v134, v134, v144
	s_waitcnt vmcnt(39) lgkmcnt(1)
	v_mul_f32_e32 v146, v2, v188
	v_mul_f32_e32 v133, v3, v188
	s_waitcnt vmcnt(38)
	v_mul_f32_e32 v147, v4, v189
	v_fmac_f32_e32 v146, v3, v186
	v_fma_f32 v144, v2, v186, -v133
	v_add_f32_e32 v3, v134, v157
	s_clause 0x3
	buffer_load_dword v155, off, s[0:3], 0 offset:448
	buffer_load_dword v156, off, s[0:3], 0 offset:440
	;; [unrolled: 1-line block ×4, first 2 shown]
	v_add_f32_e32 v2, v132, v135
	buffer_load_dword v188, off, s[0:3], 0 offset:8
	v_mul_f32_e32 v132, v5, v189
	v_add_f32_e32 v3, v3, v136
	v_fmac_f32_e32 v147, v5, v170
	v_add_f32_e32 v2, v2, v158
	buffer_load_dword v158, off, s[0:3], 0 offset:456
	v_fma_f32 v148, v4, v170, -v132
	v_add_f32_e32 v133, v3, v171
	s_waitcnt vmcnt(43) lgkmcnt(0)
	v_mul_f32_e32 v149, v6, v165
	v_add_f32_e32 v2, v2, v167
	v_add_f32_e32 v135, v133, v130
	v_fmac_f32_e32 v149, v7, v169
	v_add_f32_e32 v134, v2, v131
	ds_read_b128 v[2:5], v1 offset:768
	ds_read_b128 v[130:133], v1 offset:784
	v_add_f32_e32 v10, v135, v10
	s_waitcnt vmcnt(42)
	v_mul_f32_e32 v135, v9, v168
	v_add_f32_e32 v12, v134, v12
	v_mul_f32_e32 v134, v7, v165
	v_mul_f32_e32 v165, v8, v168
	v_add_f32_e32 v10, v10, v173
	s_waitcnt vmcnt(38)
	v_fma_f32 v168, v8, v195, -v135
	v_add_f32_e32 v12, v12, v140
	v_fma_f32 v167, v6, v169, -v134
	v_fmac_f32_e32 v165, v9, v195
	ds_read_b128 v[6:9], v1 offset:800
	ds_read_b128 v[134:137], v1 offset:816
	v_add_f32_e32 v10, v10, v160
	v_add_f32_e32 v12, v12, v141
	;; [unrolled: 1-line block ×4, first 2 shown]
	s_waitcnt vmcnt(36) lgkmcnt(3)
	v_mul_f32_e32 v160, v4, v193
	s_waitcnt vmcnt(35) lgkmcnt(2)
	v_mul_f32_e32 v170, v130, v196
	v_mul_f32_e32 v142, v131, v196
	v_add_f32_e32 v10, v10, v138
	v_add_f32_e32 v12, v12, v143
	v_mul_f32_e32 v139, v5, v193
	v_fmac_f32_e32 v170, v131, v190
	v_fma_f32 v189, v130, v190, -v142
	v_add_f32_e32 v10, v10, v146
	v_add_f32_e32 v12, v12, v144
	v_mul_f32_e32 v169, v2, v11
	v_mul_f32_e32 v11, v3, v11
	v_fmac_f32_e32 v160, v5, v191
	v_add_f32_e32 v10, v10, v147
	v_add_f32_e32 v12, v12, v148
	v_fma_f32 v173, v4, v191, -v139
	v_fma_f32 v11, v2, v192, -v11
	v_fmac_f32_e32 v169, v3, v192
	v_add_f32_e32 v10, v10, v149
	s_waitcnt vmcnt(34)
	v_mul_f32_e32 v171, v132, v194
	v_mul_f32_e32 v143, v133, v194
	ds_read_b128 v[2:5], v1 offset:832
	ds_read_b128 v[138:141], v1 offset:848
	v_add_f32_e32 v10, v10, v165
	v_add_f32_e32 v10, v10, v169
	;; [unrolled: 1-line block ×4, first 2 shown]
	s_waitcnt vmcnt(29) lgkmcnt(3)
	v_mul_f32_e32 v190, v6, v151
	s_waitcnt vmcnt(28)
	v_mul_f32_e32 v191, v8, v178
	v_mul_f32_e32 v146, v7, v151
	v_mul_f32_e32 v147, v9, v178
	v_fmac_f32_e32 v171, v133, v164
	v_fmac_f32_e32 v190, v7, v163
	v_add_f32_e32 v7, v12, v167
	v_fmac_f32_e32 v191, v9, v162
	v_fma_f32 v151, v8, v162, -v147
	v_fma_f32 v164, v132, v164, -v143
	;; [unrolled: 1-line block ×3, first 2 shown]
	v_add_f32_e32 v162, v7, v168
	v_add_f32_e32 v10, v10, v171
	ds_read_b128 v[130:133], v1 offset:864
	ds_read_b128 v[142:145], v1 offset:880
	;; [unrolled: 1-line block ×4, first 2 shown]
	s_waitcnt vmcnt(27) lgkmcnt(6)
	v_mul_f32_e32 v1, v134, v181
	v_add_f32_e32 v11, v162, v11
	v_mul_f32_e32 v162, v135, v181
	v_add_f32_e32 v10, v10, v190
	v_fmac_f32_e32 v1, v135, v161
	v_add_f32_e32 v11, v11, v173
	v_fma_f32 v134, v134, v161, -v162
	v_add_f32_e32 v10, v10, v191
	v_add_f32_e32 v11, v11, v189
	;; [unrolled: 1-line block ×3, first 2 shown]
	s_waitcnt vmcnt(26)
	v_mul_f32_e32 v163, v136, v152
	v_add_f32_e32 v11, v11, v164
	v_mul_f32_e32 v152, v137, v152
	s_waitcnt vmcnt(25) lgkmcnt(5)
	v_mul_f32_e32 v165, v2, v154
	s_waitcnt vmcnt(24)
	v_mul_f32_e32 v10, v5, v159
	v_mul_f32_e32 v160, v4, v159
	v_add_f32_e32 v11, v11, v12
	s_waitcnt vmcnt(23) lgkmcnt(4)
	v_mul_f32_e32 v167, v138, v174
	s_waitcnt vmcnt(22)
	v_mul_f32_e32 v168, v140, v176
	s_waitcnt vmcnt(21) lgkmcnt(3)
	v_mul_f32_e32 v169, v130, v177
	s_waitcnt vmcnt(20)
	v_mul_f32_e32 v170, v132, v179
	v_add_f32_e32 v11, v11, v151
	v_mul_f32_e32 v151, v3, v154
	s_waitcnt vmcnt(19) lgkmcnt(2)
	v_mul_f32_e32 v164, v142, v182
	s_waitcnt vmcnt(18)
	v_mul_f32_e32 v171, v144, v180
	s_waitcnt vmcnt(17) lgkmcnt(1)
	v_mul_f32_e32 v173, v6, v183
	v_add_f32_e32 v11, v11, v134
	s_waitcnt vmcnt(13)
	v_fmac_f32_e32 v167, v139, v153
	s_waitcnt vmcnt(12)
	v_fma_f32 v4, v4, v175, -v10
	s_waitcnt vmcnt(11)
	v_fmac_f32_e32 v165, v3, v198
	s_waitcnt vmcnt(10)
	v_fma_f32 v136, v136, v199, -v152
	v_fmac_f32_e32 v163, v137, v199
	v_fma_f32 v2, v2, v198, -v151
	v_fmac_f32_e32 v160, v5, v175
	v_mul_f32_e32 v12, v8, v184
	v_add_f32_e32 v3, v11, v136
	v_add_f32_e32 v1, v1, v163
	v_mul_f32_e32 v11, v139, v174
	s_waitcnt lgkmcnt(0)
	v_mul_f32_e32 v178, v146, v185
	v_mul_f32_e32 v135, v148, v197
	v_add_f32_e32 v2, v3, v2
	v_add_f32_e32 v1, v1, v165
	v_mul_f32_e32 v3, v141, v176
	v_fma_f32 v5, v138, v153, -v11
	v_add_f32_e32 v2, v2, v4
	v_add_f32_e32 v1, v1, v160
	v_mul_f32_e32 v4, v131, v177
	s_waitcnt vmcnt(8)
	v_fmac_f32_e32 v170, v133, v172
	s_waitcnt vmcnt(7)
	v_fmac_f32_e32 v169, v131, v187
	s_waitcnt vmcnt(6)
	v_fma_f32 v3, v140, v200, -v3
	v_add_f32_e32 v2, v2, v5
	v_fmac_f32_e32 v168, v141, v200
	v_add_f32_e32 v1, v1, v167
	v_mul_f32_e32 v5, v133, v179
	v_fma_f32 v4, v130, v187, -v4
	v_add_f32_e32 v2, v2, v3
	v_mul_f32_e32 v3, v143, v182
	v_add_f32_e32 v1, v1, v168
	v_fma_f32 v5, v132, v172, -v5
	v_fmac_f32_e32 v164, v143, v150
	v_add_f32_e32 v2, v2, v4
	v_mul_f32_e32 v4, v145, v180
	v_add_f32_e32 v1, v1, v169
	v_fma_f32 v3, v142, v150, -v3
	v_add_f32_e32 v2, v2, v5
	v_mul_f32_e32 v5, v7, v183
	v_add_f32_e32 v1, v1, v170
	v_add_f32_e32 v2, v2, v3
	v_mul_f32_e32 v3, v9, v184
	v_add_f32_e32 v1, v1, v164
	s_waitcnt vmcnt(4)
	v_fmac_f32_e32 v12, v9, v156
	s_waitcnt vmcnt(3)
	v_fma_f32 v5, v6, v157, -v5
	s_waitcnt vmcnt(2)
	v_fma_f32 v4, v144, v186, -v4
	v_fmac_f32_e32 v171, v145, v186
	v_fmac_f32_e32 v173, v7, v157
	v_fma_f32 v3, v8, v156, -v3
	v_fmac_f32_e32 v178, v147, v155
	v_add_f32_e32 v2, v2, v4
	v_add_f32_e32 v1, v1, v171
	v_mul_f32_e32 v4, v147, v185
	s_waitcnt vmcnt(0)
	v_fmac_f32_e32 v135, v149, v158
	v_add_f32_e32 v2, v2, v5
	v_add_f32_e32 v1, v1, v173
	v_mul_f32_e32 v5, v149, v197
	v_fma_f32 v4, v146, v155, -v4
	v_add_f32_e32 v2, v2, v3
	v_add_f32_e32 v1, v1, v12
	v_fma_f32 v3, v148, v158, -v5
	v_add_f32_e32 v2, v2, v4
	v_add_f32_e32 v1, v1, v178
	;; [unrolled: 1-line block ×4, first 2 shown]
	v_sub_f32_e32 v2, v188, v2
	v_sub_f32_e32 v1, v166, v1
	buffer_store_dword v2, off, s[0:3], 0 offset:8
	buffer_store_dword v1, off, s[0:3], 0 offset:12
	v_cmpx_ne_u32_e32 0, v0
	s_cbranch_execz .LBB57_361
; %bb.360:
	s_clause 0x1
	buffer_load_dword v0, off, s[0:3], 0
	buffer_load_dword v1, off, s[0:3], 0 offset:4
	v_mov_b32_e32 v2, 0
	buffer_store_dword v2, off, s[0:3], 0
	buffer_store_dword v2, off, s[0:3], 0 offset:4
	s_waitcnt vmcnt(0)
	ds_write_b64 v129, v[0:1]
.LBB57_361:
	s_or_b32 exec_lo, exec_lo, s4
	s_waitcnt lgkmcnt(0)
	s_waitcnt_vscnt null, 0x0
	s_barrier
	buffer_gl0_inv
	s_clause 0x34
	buffer_load_dword v0, off, s[0:3], 0 offset:12
	buffer_load_dword v1, off, s[0:3], 0 offset:20
	;; [unrolled: 1-line block ×53, first 2 shown]
	v_mov_b32_e32 v2, 0
	ds_read2_b64 v[172:175], v2 offset0:59 offset1:60
	ds_read2_b64 v[176:179], v2 offset0:61 offset1:62
	ds_read2_b64 v[180:183], v2 offset0:63 offset1:64
	s_clause 0x1
	buffer_load_dword v165, off, s[0:3], 0 offset:220
	buffer_load_dword v171, off, s[0:3], 0 offset:4
	ds_read2_b64 v[184:187], v2 offset0:65 offset1:66
	s_and_b32 vcc_lo, exec_lo, s22
	s_waitcnt vmcnt(54) lgkmcnt(3)
	v_mul_f32_e32 v188, v172, v0
	v_mul_f32_e32 v0, v173, v0
	s_waitcnt vmcnt(53)
	v_mul_f32_e32 v189, v174, v1
	v_mul_f32_e32 v1, v175, v1
	s_waitcnt vmcnt(50)
	v_fmac_f32_e32 v188, v173, v7
	v_fma_f32 v0, v172, v7, -v0
	v_fmac_f32_e32 v189, v175, v6
	v_fma_f32 v1, v174, v6, -v1
	ds_read2_b64 v[172:175], v2 offset0:67 offset1:68
	s_waitcnt vmcnt(49) lgkmcnt(3)
	v_mul_f32_e32 v190, v176, v5
	v_mul_f32_e32 v5, v177, v5
	s_waitcnt vmcnt(48)
	v_mul_f32_e32 v191, v178, v4
	v_mul_f32_e32 v4, v179, v4
	s_waitcnt vmcnt(47) lgkmcnt(2)
	v_mul_f32_e32 v192, v180, v9
	v_mul_f32_e32 v7, v181, v9
	s_waitcnt vmcnt(46)
	v_mul_f32_e32 v193, v182, v8
	v_mul_f32_e32 v8, v183, v8
	v_fmac_f32_e32 v190, v177, v3
	v_fma_f32 v194, v176, v3, -v5
	s_waitcnt vmcnt(42)
	v_fmac_f32_e32 v191, v179, v131
	v_fma_f32 v131, v178, v131, -v4
	ds_read2_b64 v[3:6], v2 offset0:69 offset1:70
	ds_read2_b64 v[176:179], v2 offset0:71 offset1:72
	v_fmac_f32_e32 v192, v181, v130
	v_fma_f32 v130, v180, v130, -v7
	v_fmac_f32_e32 v193, v183, v12
	v_fma_f32 v12, v182, v12, -v8
	s_waitcnt vmcnt(41) lgkmcnt(3)
	v_mul_f32_e32 v180, v184, v129
	v_mul_f32_e32 v7, v185, v129
	s_waitcnt vmcnt(40)
	v_mul_f32_e32 v129, v186, v11
	v_mul_f32_e32 v8, v187, v11
	s_waitcnt vmcnt(35) lgkmcnt(2)
	v_mul_f32_e32 v182, v172, v162
	v_fmac_f32_e32 v180, v185, v10
	v_fma_f32 v181, v184, v10, -v7
	v_fmac_f32_e32 v129, v187, v163
	v_fma_f32 v163, v186, v163, -v8
	ds_read2_b64 v[7:10], v2 offset0:73 offset1:74
	v_mul_f32_e32 v162, v173, v162
	s_waitcnt vmcnt(34)
	v_mul_f32_e32 v183, v174, v161
	v_mul_f32_e32 v161, v175, v161
	v_fmac_f32_e32 v182, v173, v155
	s_waitcnt vmcnt(33) lgkmcnt(2)
	v_mul_f32_e32 v184, v3, v160
	v_mul_f32_e32 v160, v4, v160
	v_fma_f32 v162, v172, v155, -v162
	s_waitcnt vmcnt(32)
	v_mul_f32_e32 v172, v5, v159
	v_mul_f32_e32 v155, v6, v159
	buffer_load_dword v11, off, s[0:3], 0 offset:228
	v_fmac_f32_e32 v183, v175, v150
	v_fma_f32 v150, v174, v150, -v161
	s_waitcnt vmcnt(32) lgkmcnt(1)
	v_mul_f32_e32 v159, v176, v156
	v_mul_f32_e32 v161, v177, v156
	s_waitcnt vmcnt(31)
	v_mul_f32_e32 v173, v178, v157
	v_mul_f32_e32 v174, v179, v157
	v_fmac_f32_e32 v184, v4, v143
	v_fma_f32 v160, v3, v143, -v160
	s_waitcnt vmcnt(27)
	v_fmac_f32_e32 v172, v6, v158
	v_fma_f32 v175, v5, v158, -v155
	ds_read2_b64 v[3:6], v2 offset0:75 offset1:76
	ds_read2_b64 v[155:158], v2 offset0:77 offset1:78
	v_fmac_f32_e32 v159, v177, v154
	v_fma_f32 v154, v176, v154, -v161
	v_fmac_f32_e32 v173, v179, v151
	v_fma_f32 v151, v178, v151, -v174
	s_clause 0x3
	buffer_load_dword v161, off, s[0:3], 0 offset:248
	buffer_load_dword v174, off, s[0:3], 0 offset:240
	buffer_load_dword v176, off, s[0:3], 0 offset:232
	buffer_load_dword v177, off, s[0:3], 0 offset:224
	s_waitcnt vmcnt(30) lgkmcnt(2)
	v_mul_f32_e32 v178, v7, v147
	v_mul_f32_e32 v143, v8, v147
	s_waitcnt vmcnt(29)
	v_mul_f32_e32 v147, v9, v145
	v_mul_f32_e32 v145, v10, v145
	v_add_f32_e32 v0, 0, v0
	v_fmac_f32_e32 v178, v8, v137
	v_fma_f32 v137, v7, v137, -v143
	s_waitcnt vmcnt(25)
	v_fmac_f32_e32 v147, v10, v153
	v_fma_f32 v153, v9, v153, -v145
	ds_read2_b64 v[7:10], v2 offset0:79 offset1:80
	s_clause 0x1
	buffer_load_dword v186, off, s[0:3], 0 offset:236
	buffer_load_dword v187, off, s[0:3], 0 offset:244
	v_add_f32_e32 v0, v0, v1
	s_waitcnt vmcnt(26) lgkmcnt(2)
	v_mul_f32_e32 v179, v3, v152
	v_mul_f32_e32 v143, v4, v152
	s_waitcnt vmcnt(25)
	v_mul_f32_e32 v152, v5, v149
	v_mul_f32_e32 v145, v6, v149
	s_waitcnt vmcnt(24) lgkmcnt(1)
	v_mul_f32_e32 v149, v155, v148
	v_mul_f32_e32 v148, v156, v148
	v_fmac_f32_e32 v179, v4, v142
	v_fma_f32 v185, v3, v142, -v143
	v_fmac_f32_e32 v152, v6, v138
	v_fma_f32 v138, v5, v138, -v145
	s_waitcnt vmcnt(23)
	v_mul_f32_e32 v195, v157, v140
	v_mul_f32_e32 v140, v158, v140
	ds_read2_b64 v[3:6], v2 offset0:81 offset1:82
	v_fmac_f32_e32 v149, v156, v133
	v_fma_f32 v133, v155, v133, -v148
	s_waitcnt vmcnt(19)
	v_fmac_f32_e32 v195, v158, v146
	v_fma_f32 v140, v157, v146, -v140
	s_waitcnt vmcnt(18) lgkmcnt(1)
	v_mul_f32_e32 v146, v7, v144
	v_mul_f32_e32 v148, v8, v144
	ds_read2_b64 v[142:145], v2 offset0:83 offset1:84
	buffer_load_dword v158, off, s[0:3], 0 offset:260
	v_add_f32_e32 v0, v0, v194
	v_fmac_f32_e32 v146, v8, v139
	v_fma_f32 v139, v7, v139, -v148
	s_waitcnt vmcnt(18)
	v_mul_f32_e32 v148, v9, v141
	v_mul_f32_e32 v7, v10, v141
	buffer_load_dword v141, off, s[0:3], 0 offset:252
	v_add_f32_e32 v0, v0, v131
	v_fmac_f32_e32 v148, v10, v134
	v_fma_f32 v134, v9, v134, -v7
	s_waitcnt vmcnt(18) lgkmcnt(1)
	v_mul_f32_e32 v155, v3, v136
	v_mul_f32_e32 v7, v4, v136
	s_waitcnt vmcnt(17)
	v_mul_f32_e32 v8, v6, v135
	v_mul_f32_e32 v136, v5, v135
	v_add_f32_e32 v0, v0, v130
	v_fmac_f32_e32 v155, v4, v132
	v_fma_f32 v132, v3, v132, -v7
	s_waitcnt vmcnt(13)
	v_fma_f32 v135, v5, v170, -v8
	s_waitcnt vmcnt(12) lgkmcnt(0)
	v_mul_f32_e32 v156, v142, v169
	v_mul_f32_e32 v7, v143, v169
	s_waitcnt vmcnt(11)
	v_mul_f32_e32 v157, v144, v168
	v_mul_f32_e32 v8, v145, v168
	v_fmac_f32_e32 v136, v6, v170
	ds_read2_b64 v[3:6], v2 offset0:85 offset1:86
	v_fmac_f32_e32 v156, v143, v167
	v_fma_f32 v142, v142, v167, -v7
	v_fmac_f32_e32 v157, v145, v166
	v_fma_f32 v143, v144, v166, -v8
	s_clause 0x5
	buffer_load_dword v144, off, s[0:3], 0 offset:280
	buffer_load_dword v145, off, s[0:3], 0 offset:272
	;; [unrolled: 1-line block ×6, first 2 shown]
	v_add_f32_e32 v7, 0, v188
	s_clause 0x1
	buffer_load_dword v170, off, s[0:3], 0 offset:284
	buffer_load_dword v188, off, s[0:3], 0 offset:292
	v_add_f32_e32 v0, v0, v12
	v_add_f32_e32 v7, v7, v189
	;; [unrolled: 1-line block ×5, first 2 shown]
	s_waitcnt vmcnt(18) lgkmcnt(0)
	v_mul_f32_e32 v130, v3, v165
	v_add_f32_e32 v1, v1, v191
	s_clause 0x3
	buffer_load_dword v189, off, s[0:3], 0 offset:312
	buffer_load_dword v190, off, s[0:3], 0 offset:304
	;; [unrolled: 1-line block ×4, first 2 shown]
	v_add_f32_e32 v0, v0, v162
	v_mul_f32_e32 v7, v4, v165
	v_fmac_f32_e32 v130, v4, v164
	v_add_f32_e32 v1, v1, v192
	s_clause 0x2
	buffer_load_dword v192, off, s[0:3], 0 offset:300
	buffer_load_dword v196, off, s[0:3], 0 offset:308
	;; [unrolled: 1-line block ×3, first 2 shown]
	v_add_f32_e32 v0, v0, v150
	buffer_load_dword v12, off, s[0:3], 0 offset:324
	v_add_f32_e32 v1, v1, v193
	v_add_f32_e32 v0, v0, v160
	;; [unrolled: 1-line block ×38, first 2 shown]
	s_waitcnt vmcnt(24)
	v_mul_f32_e32 v165, v5, v11
	v_mul_f32_e32 v8, v6, v11
	v_fma_f32 v11, v3, v164, -v7
	v_add_f32_e32 v0, v0, v11
	s_waitcnt vmcnt(20)
	v_fmac_f32_e32 v165, v6, v177
	v_fma_f32 v131, v5, v177, -v8
	ds_read2_b64 v[3:6], v2 offset0:87 offset1:88
	s_clause 0x6
	buffer_load_dword v162, off, s[0:3], 0 offset:344
	buffer_load_dword v163, off, s[0:3], 0 offset:336
	;; [unrolled: 1-line block ×7, first 2 shown]
	ds_read2_b64 v[7:10], v2 offset0:89 offset1:90
	v_add_f32_e32 v0, v0, v131
	v_add_f32_e32 v1, v1, v165
	s_waitcnt vmcnt(26) lgkmcnt(1)
	v_mul_f32_e32 v175, v3, v186
	v_mul_f32_e32 v129, v4, v186
	s_waitcnt vmcnt(25)
	v_mul_f32_e32 v172, v5, v187
	v_mul_f32_e32 v181, v6, v187
	v_fmac_f32_e32 v175, v4, v176
	v_fma_f32 v154, v3, v176, -v129
	v_fmac_f32_e32 v172, v6, v174
	v_fma_f32 v174, v5, v174, -v181
	s_clause 0xc
	buffer_load_dword v151, off, s[0:3], 0 offset:356
	buffer_load_dword v159, off, s[0:3], 0 offset:364
	;; [unrolled: 1-line block ×13, first 2 shown]
	s_waitcnt vmcnt(37) lgkmcnt(0)
	v_mul_f32_e32 v138, v9, v158
	v_add_f32_e32 v0, v0, v154
	v_add_f32_e32 v1, v1, v175
	s_waitcnt vmcnt(36)
	v_mul_f32_e32 v3, v8, v141
	v_mul_f32_e32 v137, v7, v141
	v_add_f32_e32 v0, v0, v174
	v_add_f32_e32 v1, v1, v172
	v_fma_f32 v141, v7, v161, -v3
	v_mul_f32_e32 v3, v10, v158
	v_fmac_f32_e32 v137, v8, v161
	s_clause 0x4
	buffer_load_dword v161, off, s[0:3], 0 offset:428
	buffer_load_dword v179, off, s[0:3], 0 offset:436
	;; [unrolled: 1-line block ×5, first 2 shown]
	v_add_f32_e32 v0, v0, v141
	v_add_f32_e32 v1, v1, v137
	s_waitcnt vmcnt(37)
	v_fma_f32 v147, v9, v167, -v3
	ds_read2_b64 v[3:6], v2 offset0:91 offset1:92
	v_fmac_f32_e32 v138, v10, v167
	s_clause 0x3
	buffer_load_dword v149, off, s[0:3], 0 offset:408
	buffer_load_dword v158, off, s[0:3], 0 offset:400
	;; [unrolled: 1-line block ×4, first 2 shown]
	ds_read2_b64 v[7:10], v2 offset0:93 offset1:94
	v_add_f32_e32 v0, v0, v147
	v_add_f32_e32 v1, v1, v138
	s_waitcnt vmcnt(40) lgkmcnt(1)
	v_mul_f32_e32 v146, v3, v168
	v_mul_f32_e32 v129, v4, v168
	s_waitcnt vmcnt(39)
	v_mul_f32_e32 v148, v5, v169
	s_waitcnt vmcnt(38) lgkmcnt(0)
	v_mul_f32_e32 v133, v8, v170
	s_waitcnt vmcnt(37)
	v_mul_f32_e32 v154, v9, v188
	v_fmac_f32_e32 v146, v4, v166
	v_fma_f32 v139, v3, v166, -v129
	s_clause 0x6
	buffer_load_dword v155, off, s[0:3], 0 offset:440
	buffer_load_dword v166, off, s[0:3], 0 offset:432
	;; [unrolled: 1-line block ×6, first 2 shown]
	buffer_load_dword v201, off, s[0:3], 0
	v_mul_f32_e32 v3, v6, v169
	v_fmac_f32_e32 v148, v6, v145
	v_mul_f32_e32 v134, v10, v188
	ds_read2_b64 v[129:132], v2 offset0:97 offset1:98
	v_fma_f32 v157, v7, v144, -v133
	v_fma_f32 v11, v5, v145, -v3
	ds_read2_b64 v[3:6], v2 offset0:95 offset1:96
	v_mul_f32_e32 v145, v7, v170
	s_waitcnt vmcnt(40)
	v_fmac_f32_e32 v154, v10, v194
	v_fma_f32 v165, v9, v194, -v134
	v_add_f32_e32 v0, v0, v139
	v_add_f32_e32 v1, v1, v146
	v_fmac_f32_e32 v145, v8, v144
	ds_read2_b64 v[7:10], v2 offset0:99 offset1:100
	ds_read2_b64 v[133:136], v2 offset0:101 offset1:102
	v_add_f32_e32 v0, v0, v11
	v_add_f32_e32 v1, v1, v148
	;; [unrolled: 1-line block ×4, first 2 shown]
	s_waitcnt vmcnt(37) lgkmcnt(3)
	v_mul_f32_e32 v142, v130, v197
	v_mul_f32_e32 v172, v129, v197
	v_add_f32_e32 v0, v0, v165
	s_waitcnt lgkmcnt(2)
	v_mul_f32_e32 v140, v4, v192
	v_mul_f32_e32 v169, v3, v192
	;; [unrolled: 1-line block ×4, first 2 shown]
	v_add_f32_e32 v154, v1, v154
	v_fma_f32 v147, v3, v191, -v140
	v_fmac_f32_e32 v169, v4, v191
	v_fma_f32 v175, v5, v190, -v141
	v_fmac_f32_e32 v170, v6, v190
	s_waitcnt vmcnt(36)
	v_mul_f32_e32 v174, v131, v12
	v_mul_f32_e32 v12, v132, v12
	v_add_f32_e32 v154, v154, v169
	v_fma_f32 v188, v129, v189, -v142
	v_fmac_f32_e32 v172, v130, v189
	ds_read2_b64 v[3:6], v2 offset0:103 offset1:104
	ds_read2_b64 v[137:140], v2 offset0:105 offset1:106
	v_add_f32_e32 v154, v154, v170
	v_add_f32_e32 v154, v154, v172
	s_waitcnt vmcnt(31) lgkmcnt(3)
	v_mul_f32_e32 v11, v7, v150
	v_mul_f32_e32 v146, v8, v150
	s_waitcnt vmcnt(30)
	v_mul_f32_e32 v150, v9, v160
	v_mul_f32_e32 v148, v10, v160
	v_fma_f32 v12, v131, v177, -v12
	v_fmac_f32_e32 v174, v132, v177
	v_fma_f32 v157, v7, v164, -v146
	v_fmac_f32_e32 v150, v10, v163
	v_fma_f32 v160, v9, v163, -v148
	v_add_f32_e32 v163, v0, v147
	v_fmac_f32_e32 v11, v8, v164
	v_add_f32_e32 v154, v154, v174
	s_waitcnt vmcnt(29) lgkmcnt(2)
	v_mul_f32_e32 v169, v134, v180
	v_mul_f32_e32 v164, v133, v180
	v_add_f32_e32 v163, v163, v175
	ds_read2_b64 v[129:132], v2 offset0:107 offset1:108
	ds_read2_b64 v[141:144], v2 offset0:109 offset1:110
	v_add_f32_e32 v11, v154, v11
	v_fma_f32 v133, v133, v162, -v169
	v_fmac_f32_e32 v164, v134, v162
	v_add_f32_e32 v163, v163, v188
	ds_read2_b64 v[7:10], v2 offset0:111 offset1:112
	ds_read2_b64 v[145:148], v2 offset0:113 offset1:114
	ds_read_b64 v[0:1], v2 offset:920
	v_add_f32_e32 v11, v11, v150
	s_waitcnt vmcnt(28)
	v_mul_f32_e32 v165, v135, v151
	v_mul_f32_e32 v151, v136, v151
	v_add_f32_e32 v12, v163, v12
	s_waitcnt vmcnt(27) lgkmcnt(6)
	v_mul_f32_e32 v170, v3, v159
	v_mul_f32_e32 v159, v4, v159
	v_add_f32_e32 v11, v11, v164
	s_waitcnt vmcnt(26)
	v_mul_f32_e32 v169, v6, v176
	v_add_f32_e32 v12, v12, v157
	s_waitcnt vmcnt(21)
	v_fma_f32 v135, v135, v186, -v151
	v_fmac_f32_e32 v165, v136, v186
	v_fmac_f32_e32 v170, v4, v184
	v_fma_f32 v3, v3, v184, -v159
	v_add_f32_e32 v12, v12, v160
	v_mul_f32_e32 v175, v5, v176
	v_add_f32_e32 v11, v11, v165
	v_fma_f32 v5, v5, v183, -v169
	s_waitcnt lgkmcnt(5)
	v_mul_f32_e32 v172, v137, v181
	v_add_f32_e32 v12, v12, v133
	v_fmac_f32_e32 v175, v6, v183
	s_waitcnt vmcnt(20)
	v_mul_f32_e32 v6, v140, v173
	v_mul_f32_e32 v163, v139, v173
	v_fmac_f32_e32 v172, v138, v182
	v_add_f32_e32 v4, v12, v135
	v_mul_f32_e32 v12, v138, v181
	s_waitcnt vmcnt(19) lgkmcnt(4)
	v_mul_f32_e32 v134, v129, v187
	s_waitcnt vmcnt(18)
	v_mul_f32_e32 v162, v131, v153
	s_waitcnt vmcnt(17) lgkmcnt(3)
	v_mul_f32_e32 v157, v141, v178
	v_add_f32_e32 v3, v4, v3
	v_add_f32_e32 v4, v11, v170
	v_fma_f32 v11, v137, v182, -v12
	s_waitcnt vmcnt(16)
	v_mul_f32_e32 v154, v143, v193
	s_waitcnt vmcnt(15) lgkmcnt(2)
	v_mul_f32_e32 v136, v7, v161
	v_add_f32_e32 v3, v3, v5
	v_add_f32_e32 v4, v4, v175
	v_mul_f32_e32 v5, v130, v187
	s_waitcnt vmcnt(14)
	v_mul_f32_e32 v151, v9, v179
	s_waitcnt vmcnt(13) lgkmcnt(1)
	v_mul_f32_e32 v150, v145, v185
	v_add_f32_e32 v3, v3, v11
	v_add_f32_e32 v4, v4, v172
	v_mul_f32_e32 v11, v132, v153
	s_waitcnt vmcnt(8)
	v_fma_f32 v5, v129, v167, -v5
	s_waitcnt vmcnt(7)
	v_fma_f32 v6, v139, v195, -v6
	v_fmac_f32_e32 v163, v140, v195
	v_fmac_f32_e32 v134, v130, v167
	v_fma_f32 v11, v131, v158, -v11
	v_fmac_f32_e32 v162, v132, v158
	v_add_f32_e32 v3, v3, v6
	v_add_f32_e32 v4, v4, v163
	v_mul_f32_e32 v6, v142, v178
	v_fmac_f32_e32 v157, v142, v149
	v_mul_f32_e32 v160, v147, v198
	v_add_f32_e32 v3, v3, v5
	v_add_f32_e32 v4, v4, v134
	v_mul_f32_e32 v5, v144, v193
	v_fma_f32 v6, v141, v149, -v6
	s_waitcnt lgkmcnt(0)
	v_mul_f32_e32 v133, v0, v152
	v_add_f32_e32 v3, v3, v11
	v_add_f32_e32 v4, v4, v162
	v_mul_f32_e32 v11, v8, v161
	v_add_f32_e32 v3, v3, v6
	v_add_f32_e32 v4, v4, v157
	v_mul_f32_e32 v6, v10, v179
	s_waitcnt vmcnt(5)
	v_fmac_f32_e32 v151, v10, v166
	s_waitcnt vmcnt(4)
	v_fma_f32 v7, v7, v168, -v11
	s_waitcnt vmcnt(3)
	v_fma_f32 v5, v143, v199, -v5
	v_fmac_f32_e32 v154, v144, v199
	v_fmac_f32_e32 v136, v8, v168
	v_fma_f32 v6, v9, v166, -v6
	v_fmac_f32_e32 v150, v146, v155
	v_add_f32_e32 v3, v3, v5
	v_add_f32_e32 v4, v4, v154
	v_mul_f32_e32 v5, v146, v185
	s_waitcnt vmcnt(1)
	v_fmac_f32_e32 v160, v148, v200
	v_fmac_f32_e32 v133, v1, v156
	v_add_f32_e32 v3, v3, v7
	v_add_f32_e32 v4, v4, v136
	v_mul_f32_e32 v7, v148, v198
	v_fma_f32 v5, v145, v155, -v5
	v_add_f32_e32 v3, v3, v6
	v_add_f32_e32 v4, v4, v151
	v_mul_f32_e32 v6, v1, v152
	v_fma_f32 v7, v147, v200, -v7
	v_add_f32_e32 v3, v3, v5
	v_add_f32_e32 v4, v4, v150
	v_fma_f32 v0, v0, v156, -v6
	v_add_f32_e32 v1, v3, v7
	v_add_f32_e32 v3, v4, v160
	;; [unrolled: 1-line block ×4, first 2 shown]
	s_waitcnt vmcnt(0)
	v_sub_f32_e32 v0, v201, v0
	v_sub_f32_e32 v1, v171, v1
	buffer_store_dword v0, off, s[0:3], 0
	buffer_store_dword v1, off, s[0:3], 0 offset:4
	s_cbranch_vccz .LBB57_476
; %bb.362:
	global_load_dword v0, v2, s[20:21] offset:224
	s_waitcnt vmcnt(0)
	v_add_nc_u32_e32 v0, -1, v0
	v_cmp_ne_u32_e32 vcc_lo, 56, v0
	s_cbranch_vccz .LBB57_364
; %bb.363:
	v_lshlrev_b32_e32 v0, 3, v0
	s_clause 0x3
	buffer_load_dword v1, v0, s[0:3], 0 offen
	buffer_load_dword v2, v0, s[0:3], 0 offen offset:4
	buffer_load_dword v3, off, s[0:3], 0 offset:452
	buffer_load_dword v4, off, s[0:3], 0 offset:448
	s_waitcnt vmcnt(3)
	buffer_store_dword v1, off, s[0:3], 0 offset:448
	s_waitcnt vmcnt(2)
	buffer_store_dword v2, off, s[0:3], 0 offset:452
	s_waitcnt vmcnt(1)
	buffer_store_dword v3, v0, s[0:3], 0 offen offset:4
	s_waitcnt vmcnt(0)
	buffer_store_dword v4, v0, s[0:3], 0 offen
.LBB57_364:
	v_mov_b32_e32 v0, 0
	global_load_dword v1, v0, s[20:21] offset:220
	s_waitcnt vmcnt(0)
	v_add_nc_u32_e32 v1, -1, v1
	v_cmp_eq_u32_e32 vcc_lo, 55, v1
	s_cbranch_vccnz .LBB57_366
; %bb.365:
	v_lshlrev_b32_e32 v1, 3, v1
	s_clause 0x3
	buffer_load_dword v2, v1, s[0:3], 0 offen
	buffer_load_dword v3, v1, s[0:3], 0 offen offset:4
	buffer_load_dword v4, off, s[0:3], 0 offset:440
	buffer_load_dword v5, off, s[0:3], 0 offset:444
	s_waitcnt vmcnt(3)
	buffer_store_dword v2, off, s[0:3], 0 offset:440
	s_waitcnt vmcnt(2)
	buffer_store_dword v3, off, s[0:3], 0 offset:444
	s_waitcnt vmcnt(1)
	buffer_store_dword v4, v1, s[0:3], 0 offen
	s_waitcnt vmcnt(0)
	buffer_store_dword v5, v1, s[0:3], 0 offen offset:4
.LBB57_366:
	global_load_dword v0, v0, s[20:21] offset:216
	s_waitcnt vmcnt(0)
	v_add_nc_u32_e32 v0, -1, v0
	v_cmp_eq_u32_e32 vcc_lo, 54, v0
	s_cbranch_vccnz .LBB57_368
; %bb.367:
	v_lshlrev_b32_e32 v0, 3, v0
	s_clause 0x3
	buffer_load_dword v1, v0, s[0:3], 0 offen
	buffer_load_dword v2, v0, s[0:3], 0 offen offset:4
	buffer_load_dword v3, off, s[0:3], 0 offset:436
	buffer_load_dword v4, off, s[0:3], 0 offset:432
	s_waitcnt vmcnt(3)
	buffer_store_dword v1, off, s[0:3], 0 offset:432
	s_waitcnt vmcnt(2)
	buffer_store_dword v2, off, s[0:3], 0 offset:436
	s_waitcnt vmcnt(1)
	buffer_store_dword v3, v0, s[0:3], 0 offen offset:4
	s_waitcnt vmcnt(0)
	buffer_store_dword v4, v0, s[0:3], 0 offen
.LBB57_368:
	v_mov_b32_e32 v0, 0
	global_load_dword v1, v0, s[20:21] offset:212
	s_waitcnt vmcnt(0)
	v_add_nc_u32_e32 v1, -1, v1
	v_cmp_eq_u32_e32 vcc_lo, 53, v1
	s_cbranch_vccnz .LBB57_370
; %bb.369:
	v_lshlrev_b32_e32 v1, 3, v1
	s_clause 0x3
	buffer_load_dword v2, v1, s[0:3], 0 offen
	buffer_load_dword v3, v1, s[0:3], 0 offen offset:4
	buffer_load_dword v4, off, s[0:3], 0 offset:424
	buffer_load_dword v5, off, s[0:3], 0 offset:428
	s_waitcnt vmcnt(3)
	buffer_store_dword v2, off, s[0:3], 0 offset:424
	s_waitcnt vmcnt(2)
	buffer_store_dword v3, off, s[0:3], 0 offset:428
	s_waitcnt vmcnt(1)
	buffer_store_dword v4, v1, s[0:3], 0 offen
	s_waitcnt vmcnt(0)
	buffer_store_dword v5, v1, s[0:3], 0 offen offset:4
.LBB57_370:
	global_load_dword v0, v0, s[20:21] offset:208
	s_waitcnt vmcnt(0)
	v_add_nc_u32_e32 v0, -1, v0
	v_cmp_eq_u32_e32 vcc_lo, 52, v0
	s_cbranch_vccnz .LBB57_372
; %bb.371:
	v_lshlrev_b32_e32 v0, 3, v0
	s_clause 0x3
	buffer_load_dword v1, v0, s[0:3], 0 offen
	buffer_load_dword v2, v0, s[0:3], 0 offen offset:4
	buffer_load_dword v3, off, s[0:3], 0 offset:420
	buffer_load_dword v4, off, s[0:3], 0 offset:416
	s_waitcnt vmcnt(3)
	buffer_store_dword v1, off, s[0:3], 0 offset:416
	s_waitcnt vmcnt(2)
	buffer_store_dword v2, off, s[0:3], 0 offset:420
	s_waitcnt vmcnt(1)
	buffer_store_dword v3, v0, s[0:3], 0 offen offset:4
	s_waitcnt vmcnt(0)
	buffer_store_dword v4, v0, s[0:3], 0 offen
.LBB57_372:
	v_mov_b32_e32 v0, 0
	global_load_dword v1, v0, s[20:21] offset:204
	s_waitcnt vmcnt(0)
	v_add_nc_u32_e32 v1, -1, v1
	v_cmp_eq_u32_e32 vcc_lo, 51, v1
	s_cbranch_vccnz .LBB57_374
; %bb.373:
	v_lshlrev_b32_e32 v1, 3, v1
	s_clause 0x3
	buffer_load_dword v2, v1, s[0:3], 0 offen
	buffer_load_dword v3, v1, s[0:3], 0 offen offset:4
	buffer_load_dword v4, off, s[0:3], 0 offset:408
	buffer_load_dword v5, off, s[0:3], 0 offset:412
	s_waitcnt vmcnt(3)
	buffer_store_dword v2, off, s[0:3], 0 offset:408
	s_waitcnt vmcnt(2)
	buffer_store_dword v3, off, s[0:3], 0 offset:412
	s_waitcnt vmcnt(1)
	buffer_store_dword v4, v1, s[0:3], 0 offen
	s_waitcnt vmcnt(0)
	buffer_store_dword v5, v1, s[0:3], 0 offen offset:4
.LBB57_374:
	global_load_dword v0, v0, s[20:21] offset:200
	s_waitcnt vmcnt(0)
	v_add_nc_u32_e32 v0, -1, v0
	v_cmp_eq_u32_e32 vcc_lo, 50, v0
	s_cbranch_vccnz .LBB57_376
; %bb.375:
	v_lshlrev_b32_e32 v0, 3, v0
	s_clause 0x3
	buffer_load_dword v1, v0, s[0:3], 0 offen
	buffer_load_dword v2, v0, s[0:3], 0 offen offset:4
	buffer_load_dword v3, off, s[0:3], 0 offset:404
	buffer_load_dword v4, off, s[0:3], 0 offset:400
	s_waitcnt vmcnt(3)
	buffer_store_dword v1, off, s[0:3], 0 offset:400
	s_waitcnt vmcnt(2)
	buffer_store_dword v2, off, s[0:3], 0 offset:404
	s_waitcnt vmcnt(1)
	buffer_store_dword v3, v0, s[0:3], 0 offen offset:4
	s_waitcnt vmcnt(0)
	buffer_store_dword v4, v0, s[0:3], 0 offen
.LBB57_376:
	v_mov_b32_e32 v0, 0
	global_load_dword v1, v0, s[20:21] offset:196
	s_waitcnt vmcnt(0)
	v_add_nc_u32_e32 v1, -1, v1
	v_cmp_eq_u32_e32 vcc_lo, 49, v1
	s_cbranch_vccnz .LBB57_378
; %bb.377:
	v_lshlrev_b32_e32 v1, 3, v1
	s_clause 0x3
	buffer_load_dword v2, v1, s[0:3], 0 offen
	buffer_load_dword v3, v1, s[0:3], 0 offen offset:4
	buffer_load_dword v4, off, s[0:3], 0 offset:392
	buffer_load_dword v5, off, s[0:3], 0 offset:396
	s_waitcnt vmcnt(3)
	buffer_store_dword v2, off, s[0:3], 0 offset:392
	s_waitcnt vmcnt(2)
	buffer_store_dword v3, off, s[0:3], 0 offset:396
	s_waitcnt vmcnt(1)
	buffer_store_dword v4, v1, s[0:3], 0 offen
	s_waitcnt vmcnt(0)
	buffer_store_dword v5, v1, s[0:3], 0 offen offset:4
.LBB57_378:
	global_load_dword v0, v0, s[20:21] offset:192
	s_waitcnt vmcnt(0)
	v_add_nc_u32_e32 v0, -1, v0
	v_cmp_eq_u32_e32 vcc_lo, 48, v0
	s_cbranch_vccnz .LBB57_380
; %bb.379:
	v_lshlrev_b32_e32 v0, 3, v0
	s_clause 0x3
	buffer_load_dword v1, v0, s[0:3], 0 offen
	buffer_load_dword v2, v0, s[0:3], 0 offen offset:4
	buffer_load_dword v3, off, s[0:3], 0 offset:388
	buffer_load_dword v4, off, s[0:3], 0 offset:384
	s_waitcnt vmcnt(3)
	buffer_store_dword v1, off, s[0:3], 0 offset:384
	s_waitcnt vmcnt(2)
	buffer_store_dword v2, off, s[0:3], 0 offset:388
	s_waitcnt vmcnt(1)
	buffer_store_dword v3, v0, s[0:3], 0 offen offset:4
	s_waitcnt vmcnt(0)
	buffer_store_dword v4, v0, s[0:3], 0 offen
.LBB57_380:
	v_mov_b32_e32 v0, 0
	global_load_dword v1, v0, s[20:21] offset:188
	s_waitcnt vmcnt(0)
	v_add_nc_u32_e32 v1, -1, v1
	v_cmp_eq_u32_e32 vcc_lo, 47, v1
	s_cbranch_vccnz .LBB57_382
; %bb.381:
	v_lshlrev_b32_e32 v1, 3, v1
	s_clause 0x3
	buffer_load_dword v2, v1, s[0:3], 0 offen
	buffer_load_dword v3, v1, s[0:3], 0 offen offset:4
	buffer_load_dword v4, off, s[0:3], 0 offset:376
	buffer_load_dword v5, off, s[0:3], 0 offset:380
	s_waitcnt vmcnt(3)
	buffer_store_dword v2, off, s[0:3], 0 offset:376
	s_waitcnt vmcnt(2)
	buffer_store_dword v3, off, s[0:3], 0 offset:380
	s_waitcnt vmcnt(1)
	buffer_store_dword v4, v1, s[0:3], 0 offen
	s_waitcnt vmcnt(0)
	buffer_store_dword v5, v1, s[0:3], 0 offen offset:4
.LBB57_382:
	global_load_dword v0, v0, s[20:21] offset:184
	s_waitcnt vmcnt(0)
	v_add_nc_u32_e32 v0, -1, v0
	v_cmp_eq_u32_e32 vcc_lo, 46, v0
	s_cbranch_vccnz .LBB57_384
; %bb.383:
	v_lshlrev_b32_e32 v0, 3, v0
	s_clause 0x3
	buffer_load_dword v1, v0, s[0:3], 0 offen
	buffer_load_dword v2, v0, s[0:3], 0 offen offset:4
	buffer_load_dword v3, off, s[0:3], 0 offset:372
	buffer_load_dword v4, off, s[0:3], 0 offset:368
	s_waitcnt vmcnt(3)
	buffer_store_dword v1, off, s[0:3], 0 offset:368
	s_waitcnt vmcnt(2)
	buffer_store_dword v2, off, s[0:3], 0 offset:372
	s_waitcnt vmcnt(1)
	buffer_store_dword v3, v0, s[0:3], 0 offen offset:4
	s_waitcnt vmcnt(0)
	buffer_store_dword v4, v0, s[0:3], 0 offen
.LBB57_384:
	v_mov_b32_e32 v0, 0
	global_load_dword v1, v0, s[20:21] offset:180
	s_waitcnt vmcnt(0)
	v_add_nc_u32_e32 v1, -1, v1
	v_cmp_eq_u32_e32 vcc_lo, 45, v1
	s_cbranch_vccnz .LBB57_386
; %bb.385:
	v_lshlrev_b32_e32 v1, 3, v1
	s_clause 0x3
	buffer_load_dword v2, v1, s[0:3], 0 offen
	buffer_load_dword v3, v1, s[0:3], 0 offen offset:4
	buffer_load_dword v4, off, s[0:3], 0 offset:360
	buffer_load_dword v5, off, s[0:3], 0 offset:364
	s_waitcnt vmcnt(3)
	buffer_store_dword v2, off, s[0:3], 0 offset:360
	s_waitcnt vmcnt(2)
	buffer_store_dword v3, off, s[0:3], 0 offset:364
	s_waitcnt vmcnt(1)
	buffer_store_dword v4, v1, s[0:3], 0 offen
	s_waitcnt vmcnt(0)
	buffer_store_dword v5, v1, s[0:3], 0 offen offset:4
.LBB57_386:
	global_load_dword v0, v0, s[20:21] offset:176
	s_waitcnt vmcnt(0)
	v_add_nc_u32_e32 v0, -1, v0
	v_cmp_eq_u32_e32 vcc_lo, 44, v0
	s_cbranch_vccnz .LBB57_388
; %bb.387:
	v_lshlrev_b32_e32 v0, 3, v0
	s_clause 0x3
	buffer_load_dword v1, v0, s[0:3], 0 offen
	buffer_load_dword v2, v0, s[0:3], 0 offen offset:4
	buffer_load_dword v3, off, s[0:3], 0 offset:356
	buffer_load_dword v4, off, s[0:3], 0 offset:352
	s_waitcnt vmcnt(3)
	buffer_store_dword v1, off, s[0:3], 0 offset:352
	s_waitcnt vmcnt(2)
	buffer_store_dword v2, off, s[0:3], 0 offset:356
	s_waitcnt vmcnt(1)
	buffer_store_dword v3, v0, s[0:3], 0 offen offset:4
	s_waitcnt vmcnt(0)
	buffer_store_dword v4, v0, s[0:3], 0 offen
.LBB57_388:
	v_mov_b32_e32 v0, 0
	global_load_dword v1, v0, s[20:21] offset:172
	s_waitcnt vmcnt(0)
	v_add_nc_u32_e32 v1, -1, v1
	v_cmp_eq_u32_e32 vcc_lo, 43, v1
	s_cbranch_vccnz .LBB57_390
; %bb.389:
	v_lshlrev_b32_e32 v1, 3, v1
	s_clause 0x3
	buffer_load_dword v2, v1, s[0:3], 0 offen
	buffer_load_dword v3, v1, s[0:3], 0 offen offset:4
	buffer_load_dword v4, off, s[0:3], 0 offset:344
	buffer_load_dword v5, off, s[0:3], 0 offset:348
	s_waitcnt vmcnt(3)
	buffer_store_dword v2, off, s[0:3], 0 offset:344
	s_waitcnt vmcnt(2)
	buffer_store_dword v3, off, s[0:3], 0 offset:348
	s_waitcnt vmcnt(1)
	buffer_store_dword v4, v1, s[0:3], 0 offen
	s_waitcnt vmcnt(0)
	buffer_store_dword v5, v1, s[0:3], 0 offen offset:4
.LBB57_390:
	global_load_dword v0, v0, s[20:21] offset:168
	s_waitcnt vmcnt(0)
	v_add_nc_u32_e32 v0, -1, v0
	v_cmp_eq_u32_e32 vcc_lo, 42, v0
	s_cbranch_vccnz .LBB57_392
; %bb.391:
	v_lshlrev_b32_e32 v0, 3, v0
	s_clause 0x3
	buffer_load_dword v1, v0, s[0:3], 0 offen
	buffer_load_dword v2, v0, s[0:3], 0 offen offset:4
	buffer_load_dword v3, off, s[0:3], 0 offset:340
	buffer_load_dword v4, off, s[0:3], 0 offset:336
	s_waitcnt vmcnt(3)
	buffer_store_dword v1, off, s[0:3], 0 offset:336
	s_waitcnt vmcnt(2)
	buffer_store_dword v2, off, s[0:3], 0 offset:340
	s_waitcnt vmcnt(1)
	buffer_store_dword v3, v0, s[0:3], 0 offen offset:4
	s_waitcnt vmcnt(0)
	buffer_store_dword v4, v0, s[0:3], 0 offen
.LBB57_392:
	v_mov_b32_e32 v0, 0
	global_load_dword v1, v0, s[20:21] offset:164
	s_waitcnt vmcnt(0)
	v_add_nc_u32_e32 v1, -1, v1
	v_cmp_eq_u32_e32 vcc_lo, 41, v1
	s_cbranch_vccnz .LBB57_394
; %bb.393:
	v_lshlrev_b32_e32 v1, 3, v1
	s_clause 0x3
	buffer_load_dword v2, v1, s[0:3], 0 offen
	buffer_load_dword v3, v1, s[0:3], 0 offen offset:4
	buffer_load_dword v4, off, s[0:3], 0 offset:328
	buffer_load_dword v5, off, s[0:3], 0 offset:332
	s_waitcnt vmcnt(3)
	buffer_store_dword v2, off, s[0:3], 0 offset:328
	s_waitcnt vmcnt(2)
	buffer_store_dword v3, off, s[0:3], 0 offset:332
	s_waitcnt vmcnt(1)
	buffer_store_dword v4, v1, s[0:3], 0 offen
	s_waitcnt vmcnt(0)
	buffer_store_dword v5, v1, s[0:3], 0 offen offset:4
.LBB57_394:
	global_load_dword v0, v0, s[20:21] offset:160
	s_waitcnt vmcnt(0)
	v_add_nc_u32_e32 v0, -1, v0
	v_cmp_eq_u32_e32 vcc_lo, 40, v0
	s_cbranch_vccnz .LBB57_396
; %bb.395:
	v_lshlrev_b32_e32 v0, 3, v0
	s_clause 0x3
	buffer_load_dword v1, v0, s[0:3], 0 offen
	buffer_load_dword v2, v0, s[0:3], 0 offen offset:4
	buffer_load_dword v3, off, s[0:3], 0 offset:324
	buffer_load_dword v4, off, s[0:3], 0 offset:320
	s_waitcnt vmcnt(3)
	buffer_store_dword v1, off, s[0:3], 0 offset:320
	s_waitcnt vmcnt(2)
	buffer_store_dword v2, off, s[0:3], 0 offset:324
	s_waitcnt vmcnt(1)
	buffer_store_dword v3, v0, s[0:3], 0 offen offset:4
	s_waitcnt vmcnt(0)
	buffer_store_dword v4, v0, s[0:3], 0 offen
.LBB57_396:
	v_mov_b32_e32 v0, 0
	global_load_dword v1, v0, s[20:21] offset:156
	s_waitcnt vmcnt(0)
	v_add_nc_u32_e32 v1, -1, v1
	v_cmp_eq_u32_e32 vcc_lo, 39, v1
	s_cbranch_vccnz .LBB57_398
; %bb.397:
	v_lshlrev_b32_e32 v1, 3, v1
	s_clause 0x3
	buffer_load_dword v2, v1, s[0:3], 0 offen
	buffer_load_dword v3, v1, s[0:3], 0 offen offset:4
	buffer_load_dword v4, off, s[0:3], 0 offset:312
	buffer_load_dword v5, off, s[0:3], 0 offset:316
	s_waitcnt vmcnt(3)
	buffer_store_dword v2, off, s[0:3], 0 offset:312
	s_waitcnt vmcnt(2)
	buffer_store_dword v3, off, s[0:3], 0 offset:316
	s_waitcnt vmcnt(1)
	buffer_store_dword v4, v1, s[0:3], 0 offen
	s_waitcnt vmcnt(0)
	buffer_store_dword v5, v1, s[0:3], 0 offen offset:4
.LBB57_398:
	global_load_dword v0, v0, s[20:21] offset:152
	s_waitcnt vmcnt(0)
	v_add_nc_u32_e32 v0, -1, v0
	v_cmp_eq_u32_e32 vcc_lo, 38, v0
	s_cbranch_vccnz .LBB57_400
; %bb.399:
	v_lshlrev_b32_e32 v0, 3, v0
	s_clause 0x3
	buffer_load_dword v1, v0, s[0:3], 0 offen
	buffer_load_dword v2, v0, s[0:3], 0 offen offset:4
	buffer_load_dword v3, off, s[0:3], 0 offset:308
	buffer_load_dword v4, off, s[0:3], 0 offset:304
	s_waitcnt vmcnt(3)
	buffer_store_dword v1, off, s[0:3], 0 offset:304
	s_waitcnt vmcnt(2)
	buffer_store_dword v2, off, s[0:3], 0 offset:308
	s_waitcnt vmcnt(1)
	buffer_store_dword v3, v0, s[0:3], 0 offen offset:4
	s_waitcnt vmcnt(0)
	buffer_store_dword v4, v0, s[0:3], 0 offen
.LBB57_400:
	v_mov_b32_e32 v0, 0
	global_load_dword v1, v0, s[20:21] offset:148
	s_waitcnt vmcnt(0)
	v_add_nc_u32_e32 v1, -1, v1
	v_cmp_eq_u32_e32 vcc_lo, 37, v1
	s_cbranch_vccnz .LBB57_402
; %bb.401:
	v_lshlrev_b32_e32 v1, 3, v1
	s_clause 0x3
	buffer_load_dword v2, v1, s[0:3], 0 offen
	buffer_load_dword v3, v1, s[0:3], 0 offen offset:4
	buffer_load_dword v4, off, s[0:3], 0 offset:296
	buffer_load_dword v5, off, s[0:3], 0 offset:300
	s_waitcnt vmcnt(3)
	buffer_store_dword v2, off, s[0:3], 0 offset:296
	s_waitcnt vmcnt(2)
	buffer_store_dword v3, off, s[0:3], 0 offset:300
	s_waitcnt vmcnt(1)
	buffer_store_dword v4, v1, s[0:3], 0 offen
	s_waitcnt vmcnt(0)
	buffer_store_dword v5, v1, s[0:3], 0 offen offset:4
.LBB57_402:
	global_load_dword v0, v0, s[20:21] offset:144
	s_waitcnt vmcnt(0)
	v_add_nc_u32_e32 v0, -1, v0
	v_cmp_eq_u32_e32 vcc_lo, 36, v0
	s_cbranch_vccnz .LBB57_404
; %bb.403:
	v_lshlrev_b32_e32 v0, 3, v0
	s_clause 0x3
	buffer_load_dword v1, v0, s[0:3], 0 offen
	buffer_load_dword v2, v0, s[0:3], 0 offen offset:4
	buffer_load_dword v3, off, s[0:3], 0 offset:292
	buffer_load_dword v4, off, s[0:3], 0 offset:288
	s_waitcnt vmcnt(3)
	buffer_store_dword v1, off, s[0:3], 0 offset:288
	s_waitcnt vmcnt(2)
	buffer_store_dword v2, off, s[0:3], 0 offset:292
	s_waitcnt vmcnt(1)
	buffer_store_dword v3, v0, s[0:3], 0 offen offset:4
	s_waitcnt vmcnt(0)
	buffer_store_dword v4, v0, s[0:3], 0 offen
.LBB57_404:
	v_mov_b32_e32 v0, 0
	global_load_dword v1, v0, s[20:21] offset:140
	s_waitcnt vmcnt(0)
	v_add_nc_u32_e32 v1, -1, v1
	v_cmp_eq_u32_e32 vcc_lo, 35, v1
	s_cbranch_vccnz .LBB57_406
; %bb.405:
	v_lshlrev_b32_e32 v1, 3, v1
	s_clause 0x3
	buffer_load_dword v2, v1, s[0:3], 0 offen
	buffer_load_dword v3, v1, s[0:3], 0 offen offset:4
	buffer_load_dword v4, off, s[0:3], 0 offset:280
	buffer_load_dword v5, off, s[0:3], 0 offset:284
	s_waitcnt vmcnt(3)
	buffer_store_dword v2, off, s[0:3], 0 offset:280
	s_waitcnt vmcnt(2)
	buffer_store_dword v3, off, s[0:3], 0 offset:284
	s_waitcnt vmcnt(1)
	buffer_store_dword v4, v1, s[0:3], 0 offen
	s_waitcnt vmcnt(0)
	buffer_store_dword v5, v1, s[0:3], 0 offen offset:4
.LBB57_406:
	global_load_dword v0, v0, s[20:21] offset:136
	s_waitcnt vmcnt(0)
	v_add_nc_u32_e32 v0, -1, v0
	v_cmp_eq_u32_e32 vcc_lo, 34, v0
	s_cbranch_vccnz .LBB57_408
; %bb.407:
	v_lshlrev_b32_e32 v0, 3, v0
	s_clause 0x3
	buffer_load_dword v1, v0, s[0:3], 0 offen
	buffer_load_dword v2, v0, s[0:3], 0 offen offset:4
	buffer_load_dword v3, off, s[0:3], 0 offset:276
	buffer_load_dword v4, off, s[0:3], 0 offset:272
	s_waitcnt vmcnt(3)
	buffer_store_dword v1, off, s[0:3], 0 offset:272
	s_waitcnt vmcnt(2)
	buffer_store_dword v2, off, s[0:3], 0 offset:276
	s_waitcnt vmcnt(1)
	buffer_store_dword v3, v0, s[0:3], 0 offen offset:4
	s_waitcnt vmcnt(0)
	buffer_store_dword v4, v0, s[0:3], 0 offen
.LBB57_408:
	v_mov_b32_e32 v0, 0
	global_load_dword v1, v0, s[20:21] offset:132
	s_waitcnt vmcnt(0)
	v_add_nc_u32_e32 v1, -1, v1
	v_cmp_eq_u32_e32 vcc_lo, 33, v1
	s_cbranch_vccnz .LBB57_410
; %bb.409:
	v_lshlrev_b32_e32 v1, 3, v1
	s_clause 0x3
	buffer_load_dword v2, v1, s[0:3], 0 offen
	buffer_load_dword v3, v1, s[0:3], 0 offen offset:4
	buffer_load_dword v4, off, s[0:3], 0 offset:264
	buffer_load_dword v5, off, s[0:3], 0 offset:268
	s_waitcnt vmcnt(3)
	buffer_store_dword v2, off, s[0:3], 0 offset:264
	s_waitcnt vmcnt(2)
	buffer_store_dword v3, off, s[0:3], 0 offset:268
	s_waitcnt vmcnt(1)
	buffer_store_dword v4, v1, s[0:3], 0 offen
	s_waitcnt vmcnt(0)
	buffer_store_dword v5, v1, s[0:3], 0 offen offset:4
.LBB57_410:
	global_load_dword v0, v0, s[20:21] offset:128
	s_waitcnt vmcnt(0)
	v_add_nc_u32_e32 v0, -1, v0
	v_cmp_eq_u32_e32 vcc_lo, 32, v0
	s_cbranch_vccnz .LBB57_412
; %bb.411:
	v_lshlrev_b32_e32 v0, 3, v0
	s_clause 0x3
	buffer_load_dword v1, v0, s[0:3], 0 offen
	buffer_load_dword v2, v0, s[0:3], 0 offen offset:4
	buffer_load_dword v3, off, s[0:3], 0 offset:260
	buffer_load_dword v4, off, s[0:3], 0 offset:256
	s_waitcnt vmcnt(3)
	buffer_store_dword v1, off, s[0:3], 0 offset:256
	s_waitcnt vmcnt(2)
	buffer_store_dword v2, off, s[0:3], 0 offset:260
	s_waitcnt vmcnt(1)
	buffer_store_dword v3, v0, s[0:3], 0 offen offset:4
	s_waitcnt vmcnt(0)
	buffer_store_dword v4, v0, s[0:3], 0 offen
.LBB57_412:
	v_mov_b32_e32 v0, 0
	global_load_dword v1, v0, s[20:21] offset:124
	s_waitcnt vmcnt(0)
	v_add_nc_u32_e32 v1, -1, v1
	v_cmp_eq_u32_e32 vcc_lo, 31, v1
	s_cbranch_vccnz .LBB57_414
; %bb.413:
	v_lshlrev_b32_e32 v1, 3, v1
	s_clause 0x3
	buffer_load_dword v2, v1, s[0:3], 0 offen
	buffer_load_dword v3, v1, s[0:3], 0 offen offset:4
	buffer_load_dword v4, off, s[0:3], 0 offset:248
	buffer_load_dword v5, off, s[0:3], 0 offset:252
	s_waitcnt vmcnt(3)
	buffer_store_dword v2, off, s[0:3], 0 offset:248
	s_waitcnt vmcnt(2)
	buffer_store_dword v3, off, s[0:3], 0 offset:252
	s_waitcnt vmcnt(1)
	buffer_store_dword v4, v1, s[0:3], 0 offen
	s_waitcnt vmcnt(0)
	buffer_store_dword v5, v1, s[0:3], 0 offen offset:4
.LBB57_414:
	global_load_dword v0, v0, s[20:21] offset:120
	s_waitcnt vmcnt(0)
	v_add_nc_u32_e32 v0, -1, v0
	v_cmp_eq_u32_e32 vcc_lo, 30, v0
	s_cbranch_vccnz .LBB57_416
; %bb.415:
	v_lshlrev_b32_e32 v0, 3, v0
	s_clause 0x3
	buffer_load_dword v1, v0, s[0:3], 0 offen
	buffer_load_dword v2, v0, s[0:3], 0 offen offset:4
	buffer_load_dword v3, off, s[0:3], 0 offset:244
	buffer_load_dword v4, off, s[0:3], 0 offset:240
	s_waitcnt vmcnt(3)
	buffer_store_dword v1, off, s[0:3], 0 offset:240
	s_waitcnt vmcnt(2)
	buffer_store_dword v2, off, s[0:3], 0 offset:244
	s_waitcnt vmcnt(1)
	buffer_store_dword v3, v0, s[0:3], 0 offen offset:4
	s_waitcnt vmcnt(0)
	buffer_store_dword v4, v0, s[0:3], 0 offen
.LBB57_416:
	v_mov_b32_e32 v0, 0
	global_load_dword v1, v0, s[20:21] offset:116
	s_waitcnt vmcnt(0)
	v_add_nc_u32_e32 v1, -1, v1
	v_cmp_eq_u32_e32 vcc_lo, 29, v1
	s_cbranch_vccnz .LBB57_418
; %bb.417:
	v_lshlrev_b32_e32 v1, 3, v1
	s_clause 0x3
	buffer_load_dword v2, v1, s[0:3], 0 offen
	buffer_load_dword v3, v1, s[0:3], 0 offen offset:4
	buffer_load_dword v4, off, s[0:3], 0 offset:232
	buffer_load_dword v5, off, s[0:3], 0 offset:236
	s_waitcnt vmcnt(3)
	buffer_store_dword v2, off, s[0:3], 0 offset:232
	s_waitcnt vmcnt(2)
	buffer_store_dword v3, off, s[0:3], 0 offset:236
	s_waitcnt vmcnt(1)
	buffer_store_dword v4, v1, s[0:3], 0 offen
	s_waitcnt vmcnt(0)
	buffer_store_dword v5, v1, s[0:3], 0 offen offset:4
.LBB57_418:
	global_load_dword v0, v0, s[20:21] offset:112
	s_waitcnt vmcnt(0)
	v_add_nc_u32_e32 v0, -1, v0
	v_cmp_eq_u32_e32 vcc_lo, 28, v0
	s_cbranch_vccnz .LBB57_420
; %bb.419:
	v_lshlrev_b32_e32 v0, 3, v0
	s_clause 0x3
	buffer_load_dword v1, v0, s[0:3], 0 offen
	buffer_load_dword v2, v0, s[0:3], 0 offen offset:4
	buffer_load_dword v3, off, s[0:3], 0 offset:228
	buffer_load_dword v4, off, s[0:3], 0 offset:224
	s_waitcnt vmcnt(3)
	buffer_store_dword v1, off, s[0:3], 0 offset:224
	s_waitcnt vmcnt(2)
	buffer_store_dword v2, off, s[0:3], 0 offset:228
	s_waitcnt vmcnt(1)
	buffer_store_dword v3, v0, s[0:3], 0 offen offset:4
	s_waitcnt vmcnt(0)
	buffer_store_dword v4, v0, s[0:3], 0 offen
.LBB57_420:
	v_mov_b32_e32 v0, 0
	global_load_dword v1, v0, s[20:21] offset:108
	s_waitcnt vmcnt(0)
	v_add_nc_u32_e32 v1, -1, v1
	v_cmp_eq_u32_e32 vcc_lo, 27, v1
	s_cbranch_vccnz .LBB57_422
; %bb.421:
	v_lshlrev_b32_e32 v1, 3, v1
	s_clause 0x3
	buffer_load_dword v2, v1, s[0:3], 0 offen
	buffer_load_dword v3, v1, s[0:3], 0 offen offset:4
	buffer_load_dword v4, off, s[0:3], 0 offset:216
	buffer_load_dword v5, off, s[0:3], 0 offset:220
	s_waitcnt vmcnt(3)
	buffer_store_dword v2, off, s[0:3], 0 offset:216
	s_waitcnt vmcnt(2)
	buffer_store_dword v3, off, s[0:3], 0 offset:220
	s_waitcnt vmcnt(1)
	buffer_store_dword v4, v1, s[0:3], 0 offen
	s_waitcnt vmcnt(0)
	buffer_store_dword v5, v1, s[0:3], 0 offen offset:4
.LBB57_422:
	global_load_dword v0, v0, s[20:21] offset:104
	s_waitcnt vmcnt(0)
	v_add_nc_u32_e32 v0, -1, v0
	v_cmp_eq_u32_e32 vcc_lo, 26, v0
	s_cbranch_vccnz .LBB57_424
; %bb.423:
	v_lshlrev_b32_e32 v0, 3, v0
	s_clause 0x3
	buffer_load_dword v1, v0, s[0:3], 0 offen
	buffer_load_dword v2, v0, s[0:3], 0 offen offset:4
	buffer_load_dword v3, off, s[0:3], 0 offset:212
	buffer_load_dword v4, off, s[0:3], 0 offset:208
	s_waitcnt vmcnt(3)
	buffer_store_dword v1, off, s[0:3], 0 offset:208
	s_waitcnt vmcnt(2)
	buffer_store_dword v2, off, s[0:3], 0 offset:212
	s_waitcnt vmcnt(1)
	buffer_store_dword v3, v0, s[0:3], 0 offen offset:4
	s_waitcnt vmcnt(0)
	buffer_store_dword v4, v0, s[0:3], 0 offen
.LBB57_424:
	v_mov_b32_e32 v0, 0
	global_load_dword v1, v0, s[20:21] offset:100
	s_waitcnt vmcnt(0)
	v_add_nc_u32_e32 v1, -1, v1
	v_cmp_eq_u32_e32 vcc_lo, 25, v1
	s_cbranch_vccnz .LBB57_426
; %bb.425:
	v_lshlrev_b32_e32 v1, 3, v1
	s_clause 0x3
	buffer_load_dword v2, v1, s[0:3], 0 offen
	buffer_load_dword v3, v1, s[0:3], 0 offen offset:4
	buffer_load_dword v4, off, s[0:3], 0 offset:200
	buffer_load_dword v5, off, s[0:3], 0 offset:204
	s_waitcnt vmcnt(3)
	buffer_store_dword v2, off, s[0:3], 0 offset:200
	s_waitcnt vmcnt(2)
	buffer_store_dword v3, off, s[0:3], 0 offset:204
	s_waitcnt vmcnt(1)
	buffer_store_dword v4, v1, s[0:3], 0 offen
	s_waitcnt vmcnt(0)
	buffer_store_dword v5, v1, s[0:3], 0 offen offset:4
.LBB57_426:
	global_load_dword v0, v0, s[20:21] offset:96
	s_waitcnt vmcnt(0)
	v_add_nc_u32_e32 v0, -1, v0
	v_cmp_eq_u32_e32 vcc_lo, 24, v0
	s_cbranch_vccnz .LBB57_428
; %bb.427:
	v_lshlrev_b32_e32 v0, 3, v0
	s_clause 0x3
	buffer_load_dword v1, v0, s[0:3], 0 offen
	buffer_load_dword v2, v0, s[0:3], 0 offen offset:4
	buffer_load_dword v3, off, s[0:3], 0 offset:196
	buffer_load_dword v4, off, s[0:3], 0 offset:192
	s_waitcnt vmcnt(3)
	buffer_store_dword v1, off, s[0:3], 0 offset:192
	s_waitcnt vmcnt(2)
	buffer_store_dword v2, off, s[0:3], 0 offset:196
	s_waitcnt vmcnt(1)
	buffer_store_dword v3, v0, s[0:3], 0 offen offset:4
	s_waitcnt vmcnt(0)
	buffer_store_dword v4, v0, s[0:3], 0 offen
.LBB57_428:
	v_mov_b32_e32 v0, 0
	global_load_dword v1, v0, s[20:21] offset:92
	s_waitcnt vmcnt(0)
	v_add_nc_u32_e32 v1, -1, v1
	v_cmp_eq_u32_e32 vcc_lo, 23, v1
	s_cbranch_vccnz .LBB57_430
; %bb.429:
	v_lshlrev_b32_e32 v1, 3, v1
	s_clause 0x3
	buffer_load_dword v2, v1, s[0:3], 0 offen
	buffer_load_dword v3, v1, s[0:3], 0 offen offset:4
	buffer_load_dword v4, off, s[0:3], 0 offset:184
	buffer_load_dword v5, off, s[0:3], 0 offset:188
	s_waitcnt vmcnt(3)
	buffer_store_dword v2, off, s[0:3], 0 offset:184
	s_waitcnt vmcnt(2)
	buffer_store_dword v3, off, s[0:3], 0 offset:188
	s_waitcnt vmcnt(1)
	buffer_store_dword v4, v1, s[0:3], 0 offen
	s_waitcnt vmcnt(0)
	buffer_store_dword v5, v1, s[0:3], 0 offen offset:4
.LBB57_430:
	global_load_dword v0, v0, s[20:21] offset:88
	s_waitcnt vmcnt(0)
	v_add_nc_u32_e32 v0, -1, v0
	v_cmp_eq_u32_e32 vcc_lo, 22, v0
	s_cbranch_vccnz .LBB57_432
; %bb.431:
	v_lshlrev_b32_e32 v0, 3, v0
	s_clause 0x3
	buffer_load_dword v1, v0, s[0:3], 0 offen
	buffer_load_dword v2, v0, s[0:3], 0 offen offset:4
	buffer_load_dword v3, off, s[0:3], 0 offset:180
	buffer_load_dword v4, off, s[0:3], 0 offset:176
	s_waitcnt vmcnt(3)
	buffer_store_dword v1, off, s[0:3], 0 offset:176
	s_waitcnt vmcnt(2)
	buffer_store_dword v2, off, s[0:3], 0 offset:180
	s_waitcnt vmcnt(1)
	buffer_store_dword v3, v0, s[0:3], 0 offen offset:4
	s_waitcnt vmcnt(0)
	buffer_store_dword v4, v0, s[0:3], 0 offen
.LBB57_432:
	v_mov_b32_e32 v0, 0
	global_load_dword v1, v0, s[20:21] offset:84
	s_waitcnt vmcnt(0)
	v_add_nc_u32_e32 v1, -1, v1
	v_cmp_eq_u32_e32 vcc_lo, 21, v1
	s_cbranch_vccnz .LBB57_434
; %bb.433:
	v_lshlrev_b32_e32 v1, 3, v1
	s_clause 0x3
	buffer_load_dword v2, v1, s[0:3], 0 offen
	buffer_load_dword v3, v1, s[0:3], 0 offen offset:4
	buffer_load_dword v4, off, s[0:3], 0 offset:168
	buffer_load_dword v5, off, s[0:3], 0 offset:172
	s_waitcnt vmcnt(3)
	buffer_store_dword v2, off, s[0:3], 0 offset:168
	s_waitcnt vmcnt(2)
	buffer_store_dword v3, off, s[0:3], 0 offset:172
	s_waitcnt vmcnt(1)
	buffer_store_dword v4, v1, s[0:3], 0 offen
	s_waitcnt vmcnt(0)
	buffer_store_dword v5, v1, s[0:3], 0 offen offset:4
.LBB57_434:
	global_load_dword v0, v0, s[20:21] offset:80
	s_waitcnt vmcnt(0)
	v_add_nc_u32_e32 v0, -1, v0
	v_cmp_eq_u32_e32 vcc_lo, 20, v0
	s_cbranch_vccnz .LBB57_436
; %bb.435:
	v_lshlrev_b32_e32 v0, 3, v0
	s_clause 0x3
	buffer_load_dword v1, v0, s[0:3], 0 offen
	buffer_load_dword v2, v0, s[0:3], 0 offen offset:4
	buffer_load_dword v3, off, s[0:3], 0 offset:164
	buffer_load_dword v4, off, s[0:3], 0 offset:160
	s_waitcnt vmcnt(3)
	buffer_store_dword v1, off, s[0:3], 0 offset:160
	s_waitcnt vmcnt(2)
	buffer_store_dword v2, off, s[0:3], 0 offset:164
	s_waitcnt vmcnt(1)
	buffer_store_dword v3, v0, s[0:3], 0 offen offset:4
	s_waitcnt vmcnt(0)
	buffer_store_dword v4, v0, s[0:3], 0 offen
.LBB57_436:
	v_mov_b32_e32 v0, 0
	global_load_dword v1, v0, s[20:21] offset:76
	s_waitcnt vmcnt(0)
	v_add_nc_u32_e32 v1, -1, v1
	v_cmp_eq_u32_e32 vcc_lo, 19, v1
	s_cbranch_vccnz .LBB57_438
; %bb.437:
	v_lshlrev_b32_e32 v1, 3, v1
	s_clause 0x3
	buffer_load_dword v2, v1, s[0:3], 0 offen
	buffer_load_dword v3, v1, s[0:3], 0 offen offset:4
	buffer_load_dword v4, off, s[0:3], 0 offset:152
	buffer_load_dword v5, off, s[0:3], 0 offset:156
	s_waitcnt vmcnt(3)
	buffer_store_dword v2, off, s[0:3], 0 offset:152
	s_waitcnt vmcnt(2)
	buffer_store_dword v3, off, s[0:3], 0 offset:156
	s_waitcnt vmcnt(1)
	buffer_store_dword v4, v1, s[0:3], 0 offen
	s_waitcnt vmcnt(0)
	buffer_store_dword v5, v1, s[0:3], 0 offen offset:4
.LBB57_438:
	global_load_dword v0, v0, s[20:21] offset:72
	s_waitcnt vmcnt(0)
	v_add_nc_u32_e32 v0, -1, v0
	v_cmp_eq_u32_e32 vcc_lo, 18, v0
	s_cbranch_vccnz .LBB57_440
; %bb.439:
	v_lshlrev_b32_e32 v0, 3, v0
	s_clause 0x3
	buffer_load_dword v1, v0, s[0:3], 0 offen
	buffer_load_dword v2, v0, s[0:3], 0 offen offset:4
	buffer_load_dword v3, off, s[0:3], 0 offset:148
	buffer_load_dword v4, off, s[0:3], 0 offset:144
	s_waitcnt vmcnt(3)
	buffer_store_dword v1, off, s[0:3], 0 offset:144
	s_waitcnt vmcnt(2)
	buffer_store_dword v2, off, s[0:3], 0 offset:148
	s_waitcnt vmcnt(1)
	buffer_store_dword v3, v0, s[0:3], 0 offen offset:4
	s_waitcnt vmcnt(0)
	buffer_store_dword v4, v0, s[0:3], 0 offen
.LBB57_440:
	v_mov_b32_e32 v0, 0
	global_load_dword v1, v0, s[20:21] offset:68
	s_waitcnt vmcnt(0)
	v_add_nc_u32_e32 v1, -1, v1
	v_cmp_eq_u32_e32 vcc_lo, 17, v1
	s_cbranch_vccnz .LBB57_442
; %bb.441:
	v_lshlrev_b32_e32 v1, 3, v1
	s_clause 0x3
	buffer_load_dword v2, v1, s[0:3], 0 offen
	buffer_load_dword v3, v1, s[0:3], 0 offen offset:4
	buffer_load_dword v4, off, s[0:3], 0 offset:136
	buffer_load_dword v5, off, s[0:3], 0 offset:140
	s_waitcnt vmcnt(3)
	buffer_store_dword v2, off, s[0:3], 0 offset:136
	s_waitcnt vmcnt(2)
	buffer_store_dword v3, off, s[0:3], 0 offset:140
	s_waitcnt vmcnt(1)
	buffer_store_dword v4, v1, s[0:3], 0 offen
	s_waitcnt vmcnt(0)
	buffer_store_dword v5, v1, s[0:3], 0 offen offset:4
.LBB57_442:
	global_load_dword v0, v0, s[20:21] offset:64
	s_waitcnt vmcnt(0)
	v_add_nc_u32_e32 v0, -1, v0
	v_cmp_eq_u32_e32 vcc_lo, 16, v0
	s_cbranch_vccnz .LBB57_444
; %bb.443:
	v_lshlrev_b32_e32 v0, 3, v0
	s_clause 0x3
	buffer_load_dword v1, v0, s[0:3], 0 offen
	buffer_load_dword v2, v0, s[0:3], 0 offen offset:4
	buffer_load_dword v3, off, s[0:3], 0 offset:132
	buffer_load_dword v4, off, s[0:3], 0 offset:128
	s_waitcnt vmcnt(3)
	buffer_store_dword v1, off, s[0:3], 0 offset:128
	s_waitcnt vmcnt(2)
	buffer_store_dword v2, off, s[0:3], 0 offset:132
	s_waitcnt vmcnt(1)
	buffer_store_dword v3, v0, s[0:3], 0 offen offset:4
	s_waitcnt vmcnt(0)
	buffer_store_dword v4, v0, s[0:3], 0 offen
.LBB57_444:
	v_mov_b32_e32 v0, 0
	global_load_dword v1, v0, s[20:21] offset:60
	s_waitcnt vmcnt(0)
	v_add_nc_u32_e32 v1, -1, v1
	v_cmp_eq_u32_e32 vcc_lo, 15, v1
	s_cbranch_vccnz .LBB57_446
; %bb.445:
	v_lshlrev_b32_e32 v1, 3, v1
	s_clause 0x3
	buffer_load_dword v2, v1, s[0:3], 0 offen
	buffer_load_dword v3, v1, s[0:3], 0 offen offset:4
	buffer_load_dword v4, off, s[0:3], 0 offset:120
	buffer_load_dword v5, off, s[0:3], 0 offset:124
	s_waitcnt vmcnt(3)
	buffer_store_dword v2, off, s[0:3], 0 offset:120
	s_waitcnt vmcnt(2)
	buffer_store_dword v3, off, s[0:3], 0 offset:124
	s_waitcnt vmcnt(1)
	buffer_store_dword v4, v1, s[0:3], 0 offen
	s_waitcnt vmcnt(0)
	buffer_store_dword v5, v1, s[0:3], 0 offen offset:4
.LBB57_446:
	global_load_dword v0, v0, s[20:21] offset:56
	s_waitcnt vmcnt(0)
	v_add_nc_u32_e32 v0, -1, v0
	v_cmp_eq_u32_e32 vcc_lo, 14, v0
	s_cbranch_vccnz .LBB57_448
; %bb.447:
	v_lshlrev_b32_e32 v0, 3, v0
	s_clause 0x3
	buffer_load_dword v1, v0, s[0:3], 0 offen
	buffer_load_dword v2, v0, s[0:3], 0 offen offset:4
	buffer_load_dword v3, off, s[0:3], 0 offset:116
	buffer_load_dword v4, off, s[0:3], 0 offset:112
	s_waitcnt vmcnt(3)
	buffer_store_dword v1, off, s[0:3], 0 offset:112
	s_waitcnt vmcnt(2)
	buffer_store_dword v2, off, s[0:3], 0 offset:116
	s_waitcnt vmcnt(1)
	buffer_store_dword v3, v0, s[0:3], 0 offen offset:4
	s_waitcnt vmcnt(0)
	buffer_store_dword v4, v0, s[0:3], 0 offen
.LBB57_448:
	v_mov_b32_e32 v0, 0
	global_load_dword v1, v0, s[20:21] offset:52
	s_waitcnt vmcnt(0)
	v_add_nc_u32_e32 v1, -1, v1
	v_cmp_eq_u32_e32 vcc_lo, 13, v1
	s_cbranch_vccnz .LBB57_450
; %bb.449:
	v_lshlrev_b32_e32 v1, 3, v1
	s_clause 0x3
	buffer_load_dword v2, v1, s[0:3], 0 offen
	buffer_load_dword v3, v1, s[0:3], 0 offen offset:4
	buffer_load_dword v4, off, s[0:3], 0 offset:104
	buffer_load_dword v5, off, s[0:3], 0 offset:108
	s_waitcnt vmcnt(3)
	buffer_store_dword v2, off, s[0:3], 0 offset:104
	s_waitcnt vmcnt(2)
	buffer_store_dword v3, off, s[0:3], 0 offset:108
	s_waitcnt vmcnt(1)
	buffer_store_dword v4, v1, s[0:3], 0 offen
	s_waitcnt vmcnt(0)
	buffer_store_dword v5, v1, s[0:3], 0 offen offset:4
.LBB57_450:
	global_load_dword v0, v0, s[20:21] offset:48
	s_waitcnt vmcnt(0)
	v_add_nc_u32_e32 v0, -1, v0
	v_cmp_eq_u32_e32 vcc_lo, 12, v0
	s_cbranch_vccnz .LBB57_452
; %bb.451:
	v_lshlrev_b32_e32 v0, 3, v0
	s_clause 0x3
	buffer_load_dword v1, v0, s[0:3], 0 offen
	buffer_load_dword v2, v0, s[0:3], 0 offen offset:4
	buffer_load_dword v3, off, s[0:3], 0 offset:100
	buffer_load_dword v4, off, s[0:3], 0 offset:96
	s_waitcnt vmcnt(3)
	buffer_store_dword v1, off, s[0:3], 0 offset:96
	s_waitcnt vmcnt(2)
	buffer_store_dword v2, off, s[0:3], 0 offset:100
	s_waitcnt vmcnt(1)
	buffer_store_dword v3, v0, s[0:3], 0 offen offset:4
	s_waitcnt vmcnt(0)
	buffer_store_dword v4, v0, s[0:3], 0 offen
.LBB57_452:
	v_mov_b32_e32 v0, 0
	global_load_dword v1, v0, s[20:21] offset:44
	s_waitcnt vmcnt(0)
	v_add_nc_u32_e32 v1, -1, v1
	v_cmp_eq_u32_e32 vcc_lo, 11, v1
	s_cbranch_vccnz .LBB57_454
; %bb.453:
	v_lshlrev_b32_e32 v1, 3, v1
	s_clause 0x3
	buffer_load_dword v2, v1, s[0:3], 0 offen
	buffer_load_dword v3, v1, s[0:3], 0 offen offset:4
	buffer_load_dword v4, off, s[0:3], 0 offset:88
	buffer_load_dword v5, off, s[0:3], 0 offset:92
	s_waitcnt vmcnt(3)
	buffer_store_dword v2, off, s[0:3], 0 offset:88
	s_waitcnt vmcnt(2)
	buffer_store_dword v3, off, s[0:3], 0 offset:92
	s_waitcnt vmcnt(1)
	buffer_store_dword v4, v1, s[0:3], 0 offen
	s_waitcnt vmcnt(0)
	buffer_store_dword v5, v1, s[0:3], 0 offen offset:4
.LBB57_454:
	global_load_dword v0, v0, s[20:21] offset:40
	s_waitcnt vmcnt(0)
	v_add_nc_u32_e32 v0, -1, v0
	v_cmp_eq_u32_e32 vcc_lo, 10, v0
	s_cbranch_vccnz .LBB57_456
; %bb.455:
	v_lshlrev_b32_e32 v0, 3, v0
	s_clause 0x3
	buffer_load_dword v1, v0, s[0:3], 0 offen
	buffer_load_dword v2, v0, s[0:3], 0 offen offset:4
	buffer_load_dword v3, off, s[0:3], 0 offset:84
	buffer_load_dword v4, off, s[0:3], 0 offset:80
	s_waitcnt vmcnt(3)
	buffer_store_dword v1, off, s[0:3], 0 offset:80
	s_waitcnt vmcnt(2)
	buffer_store_dword v2, off, s[0:3], 0 offset:84
	s_waitcnt vmcnt(1)
	buffer_store_dword v3, v0, s[0:3], 0 offen offset:4
	s_waitcnt vmcnt(0)
	buffer_store_dword v4, v0, s[0:3], 0 offen
.LBB57_456:
	v_mov_b32_e32 v0, 0
	global_load_dword v1, v0, s[20:21] offset:36
	s_waitcnt vmcnt(0)
	v_add_nc_u32_e32 v1, -1, v1
	v_cmp_eq_u32_e32 vcc_lo, 9, v1
	s_cbranch_vccnz .LBB57_458
; %bb.457:
	v_lshlrev_b32_e32 v1, 3, v1
	s_clause 0x3
	buffer_load_dword v2, v1, s[0:3], 0 offen
	buffer_load_dword v3, v1, s[0:3], 0 offen offset:4
	buffer_load_dword v4, off, s[0:3], 0 offset:72
	buffer_load_dword v5, off, s[0:3], 0 offset:76
	s_waitcnt vmcnt(3)
	buffer_store_dword v2, off, s[0:3], 0 offset:72
	s_waitcnt vmcnt(2)
	buffer_store_dword v3, off, s[0:3], 0 offset:76
	s_waitcnt vmcnt(1)
	buffer_store_dword v4, v1, s[0:3], 0 offen
	s_waitcnt vmcnt(0)
	buffer_store_dword v5, v1, s[0:3], 0 offen offset:4
.LBB57_458:
	global_load_dword v0, v0, s[20:21] offset:32
	s_waitcnt vmcnt(0)
	v_add_nc_u32_e32 v0, -1, v0
	v_cmp_eq_u32_e32 vcc_lo, 8, v0
	s_cbranch_vccnz .LBB57_460
; %bb.459:
	v_lshlrev_b32_e32 v0, 3, v0
	s_clause 0x3
	buffer_load_dword v1, v0, s[0:3], 0 offen
	buffer_load_dword v2, v0, s[0:3], 0 offen offset:4
	buffer_load_dword v3, off, s[0:3], 0 offset:68
	buffer_load_dword v4, off, s[0:3], 0 offset:64
	s_waitcnt vmcnt(3)
	buffer_store_dword v1, off, s[0:3], 0 offset:64
	s_waitcnt vmcnt(2)
	buffer_store_dword v2, off, s[0:3], 0 offset:68
	s_waitcnt vmcnt(1)
	buffer_store_dword v3, v0, s[0:3], 0 offen offset:4
	s_waitcnt vmcnt(0)
	buffer_store_dword v4, v0, s[0:3], 0 offen
.LBB57_460:
	v_mov_b32_e32 v0, 0
	global_load_dword v1, v0, s[20:21] offset:28
	s_waitcnt vmcnt(0)
	v_add_nc_u32_e32 v1, -1, v1
	v_cmp_eq_u32_e32 vcc_lo, 7, v1
	s_cbranch_vccnz .LBB57_462
; %bb.461:
	v_lshlrev_b32_e32 v1, 3, v1
	s_clause 0x3
	buffer_load_dword v2, v1, s[0:3], 0 offen
	buffer_load_dword v3, v1, s[0:3], 0 offen offset:4
	buffer_load_dword v4, off, s[0:3], 0 offset:56
	buffer_load_dword v5, off, s[0:3], 0 offset:60
	s_waitcnt vmcnt(3)
	buffer_store_dword v2, off, s[0:3], 0 offset:56
	s_waitcnt vmcnt(2)
	buffer_store_dword v3, off, s[0:3], 0 offset:60
	s_waitcnt vmcnt(1)
	buffer_store_dword v4, v1, s[0:3], 0 offen
	s_waitcnt vmcnt(0)
	buffer_store_dword v5, v1, s[0:3], 0 offen offset:4
.LBB57_462:
	global_load_dword v0, v0, s[20:21] offset:24
	s_waitcnt vmcnt(0)
	v_add_nc_u32_e32 v0, -1, v0
	v_cmp_eq_u32_e32 vcc_lo, 6, v0
	s_cbranch_vccnz .LBB57_464
; %bb.463:
	v_lshlrev_b32_e32 v0, 3, v0
	s_clause 0x3
	buffer_load_dword v1, v0, s[0:3], 0 offen
	buffer_load_dword v2, v0, s[0:3], 0 offen offset:4
	buffer_load_dword v3, off, s[0:3], 0 offset:52
	buffer_load_dword v4, off, s[0:3], 0 offset:48
	s_waitcnt vmcnt(3)
	buffer_store_dword v1, off, s[0:3], 0 offset:48
	s_waitcnt vmcnt(2)
	buffer_store_dword v2, off, s[0:3], 0 offset:52
	s_waitcnt vmcnt(1)
	buffer_store_dword v3, v0, s[0:3], 0 offen offset:4
	s_waitcnt vmcnt(0)
	buffer_store_dword v4, v0, s[0:3], 0 offen
.LBB57_464:
	v_mov_b32_e32 v0, 0
	global_load_dword v1, v0, s[20:21] offset:20
	s_waitcnt vmcnt(0)
	v_add_nc_u32_e32 v1, -1, v1
	v_cmp_eq_u32_e32 vcc_lo, 5, v1
	s_cbranch_vccnz .LBB57_466
; %bb.465:
	v_lshlrev_b32_e32 v1, 3, v1
	s_clause 0x3
	buffer_load_dword v2, v1, s[0:3], 0 offen
	buffer_load_dword v3, v1, s[0:3], 0 offen offset:4
	buffer_load_dword v4, off, s[0:3], 0 offset:40
	buffer_load_dword v5, off, s[0:3], 0 offset:44
	s_waitcnt vmcnt(3)
	buffer_store_dword v2, off, s[0:3], 0 offset:40
	s_waitcnt vmcnt(2)
	buffer_store_dword v3, off, s[0:3], 0 offset:44
	s_waitcnt vmcnt(1)
	buffer_store_dword v4, v1, s[0:3], 0 offen
	s_waitcnt vmcnt(0)
	buffer_store_dword v5, v1, s[0:3], 0 offen offset:4
.LBB57_466:
	global_load_dword v0, v0, s[20:21] offset:16
	s_waitcnt vmcnt(0)
	v_add_nc_u32_e32 v0, -1, v0
	v_cmp_eq_u32_e32 vcc_lo, 4, v0
	s_cbranch_vccnz .LBB57_468
; %bb.467:
	v_lshlrev_b32_e32 v0, 3, v0
	s_clause 0x3
	buffer_load_dword v1, v0, s[0:3], 0 offen
	buffer_load_dword v2, v0, s[0:3], 0 offen offset:4
	buffer_load_dword v3, off, s[0:3], 0 offset:36
	buffer_load_dword v4, off, s[0:3], 0 offset:32
	s_waitcnt vmcnt(3)
	buffer_store_dword v1, off, s[0:3], 0 offset:32
	s_waitcnt vmcnt(2)
	buffer_store_dword v2, off, s[0:3], 0 offset:36
	s_waitcnt vmcnt(1)
	buffer_store_dword v3, v0, s[0:3], 0 offen offset:4
	s_waitcnt vmcnt(0)
	buffer_store_dword v4, v0, s[0:3], 0 offen
.LBB57_468:
	v_mov_b32_e32 v0, 0
	global_load_dword v1, v0, s[20:21] offset:12
	s_waitcnt vmcnt(0)
	v_add_nc_u32_e32 v1, -1, v1
	v_cmp_eq_u32_e32 vcc_lo, 3, v1
	s_cbranch_vccnz .LBB57_470
; %bb.469:
	v_lshlrev_b32_e32 v1, 3, v1
	s_clause 0x3
	buffer_load_dword v2, v1, s[0:3], 0 offen
	buffer_load_dword v3, v1, s[0:3], 0 offen offset:4
	buffer_load_dword v4, off, s[0:3], 0 offset:24
	buffer_load_dword v5, off, s[0:3], 0 offset:28
	s_waitcnt vmcnt(3)
	buffer_store_dword v2, off, s[0:3], 0 offset:24
	s_waitcnt vmcnt(2)
	buffer_store_dword v3, off, s[0:3], 0 offset:28
	s_waitcnt vmcnt(1)
	buffer_store_dword v4, v1, s[0:3], 0 offen
	s_waitcnt vmcnt(0)
	buffer_store_dword v5, v1, s[0:3], 0 offen offset:4
.LBB57_470:
	global_load_dword v0, v0, s[20:21] offset:8
	s_waitcnt vmcnt(0)
	v_add_nc_u32_e32 v0, -1, v0
	v_cmp_eq_u32_e32 vcc_lo, 2, v0
	s_cbranch_vccnz .LBB57_472
; %bb.471:
	v_lshlrev_b32_e32 v0, 3, v0
	s_clause 0x3
	buffer_load_dword v1, v0, s[0:3], 0 offen
	buffer_load_dword v2, v0, s[0:3], 0 offen offset:4
	buffer_load_dword v3, off, s[0:3], 0 offset:20
	buffer_load_dword v4, off, s[0:3], 0 offset:16
	s_waitcnt vmcnt(3)
	buffer_store_dword v1, off, s[0:3], 0 offset:16
	s_waitcnt vmcnt(2)
	buffer_store_dword v2, off, s[0:3], 0 offset:20
	s_waitcnt vmcnt(1)
	buffer_store_dword v3, v0, s[0:3], 0 offen offset:4
	s_waitcnt vmcnt(0)
	buffer_store_dword v4, v0, s[0:3], 0 offen
.LBB57_472:
	v_mov_b32_e32 v0, 0
	global_load_dword v1, v0, s[20:21] offset:4
	s_waitcnt vmcnt(0)
	v_add_nc_u32_e32 v1, -1, v1
	v_cmp_eq_u32_e32 vcc_lo, 1, v1
	s_cbranch_vccnz .LBB57_474
; %bb.473:
	v_lshlrev_b32_e32 v1, 3, v1
	s_clause 0x3
	buffer_load_dword v2, v1, s[0:3], 0 offen
	buffer_load_dword v3, v1, s[0:3], 0 offen offset:4
	buffer_load_dword v4, off, s[0:3], 0 offset:8
	buffer_load_dword v5, off, s[0:3], 0 offset:12
	s_waitcnt vmcnt(3)
	buffer_store_dword v2, off, s[0:3], 0 offset:8
	s_waitcnt vmcnt(2)
	buffer_store_dword v3, off, s[0:3], 0 offset:12
	s_waitcnt vmcnt(1)
	buffer_store_dword v4, v1, s[0:3], 0 offen
	s_waitcnt vmcnt(0)
	buffer_store_dword v5, v1, s[0:3], 0 offen offset:4
.LBB57_474:
	global_load_dword v0, v0, s[20:21]
	s_waitcnt vmcnt(0)
	v_add_nc_u32_e32 v0, -1, v0
	v_cmp_eq_u32_e32 vcc_lo, 0, v0
	s_cbranch_vccnz .LBB57_476
; %bb.475:
	v_lshlrev_b32_e32 v0, 3, v0
	s_clause 0x3
	buffer_load_dword v1, v0, s[0:3], 0 offen
	buffer_load_dword v2, v0, s[0:3], 0 offen offset:4
	buffer_load_dword v3, off, s[0:3], 0 offset:4
	buffer_load_dword v4, off, s[0:3], 0
	s_waitcnt vmcnt(3)
	buffer_store_dword v1, off, s[0:3], 0
	s_waitcnt vmcnt(2)
	buffer_store_dword v2, off, s[0:3], 0 offset:4
	s_waitcnt vmcnt(1)
	buffer_store_dword v3, v0, s[0:3], 0 offen offset:4
	s_waitcnt vmcnt(0)
	buffer_store_dword v4, v0, s[0:3], 0 offen
.LBB57_476:
	s_clause 0x3e
	buffer_load_dword v0, off, s[0:3], 0
	buffer_load_dword v1, off, s[0:3], 0 offset:4
	buffer_load_dword v2, off, s[0:3], 0 offset:8
	;; [unrolled: 1-line block ×62, first 2 shown]
	s_clause 0x34
	buffer_load_dword v180, off, s[0:3], 0 offset:252
	buffer_load_dword v181, off, s[0:3], 0 offset:256
	;; [unrolled: 1-line block ×53, first 2 shown]
	s_waitcnt vmcnt(62)
	global_store_dwordx2 v[107:108], v[0:1], off
	global_store_dwordx2 v[111:112], v[2:3], off
	;; [unrolled: 1-line block ×27, first 2 shown]
	s_waitcnt vmcnt(60)
	global_store_dwordx2 v[63:64], v[171:172], off
	s_waitcnt vmcnt(58)
	global_store_dwordx2 v[65:66], v[173:174], off
	;; [unrolled: 2-line block ×31, first 2 shown]
	s_endpgm
	.section	.rodata,"a",@progbits
	.p2align	6, 0x0
	.amdhsa_kernel _ZN9rocsolver6v33100L18getri_kernel_smallILi58E19rocblas_complex_numIfEPS3_EEvT1_iilPiilS6_bb
		.amdhsa_group_segment_fixed_size 932
		.amdhsa_private_segment_fixed_size 480
		.amdhsa_kernarg_size 60
		.amdhsa_user_sgpr_count 6
		.amdhsa_user_sgpr_private_segment_buffer 1
		.amdhsa_user_sgpr_dispatch_ptr 0
		.amdhsa_user_sgpr_queue_ptr 0
		.amdhsa_user_sgpr_kernarg_segment_ptr 1
		.amdhsa_user_sgpr_dispatch_id 0
		.amdhsa_user_sgpr_flat_scratch_init 0
		.amdhsa_user_sgpr_private_segment_size 0
		.amdhsa_wavefront_size32 1
		.amdhsa_uses_dynamic_stack 0
		.amdhsa_system_sgpr_private_segment_wavefront_offset 1
		.amdhsa_system_sgpr_workgroup_id_x 1
		.amdhsa_system_sgpr_workgroup_id_y 0
		.amdhsa_system_sgpr_workgroup_id_z 0
		.amdhsa_system_sgpr_workgroup_info 0
		.amdhsa_system_vgpr_workitem_id 0
		.amdhsa_next_free_vgpr 250
		.amdhsa_next_free_sgpr 23
		.amdhsa_reserve_vcc 1
		.amdhsa_reserve_flat_scratch 0
		.amdhsa_float_round_mode_32 0
		.amdhsa_float_round_mode_16_64 0
		.amdhsa_float_denorm_mode_32 3
		.amdhsa_float_denorm_mode_16_64 3
		.amdhsa_dx10_clamp 1
		.amdhsa_ieee_mode 1
		.amdhsa_fp16_overflow 0
		.amdhsa_workgroup_processor_mode 1
		.amdhsa_memory_ordered 1
		.amdhsa_forward_progress 1
		.amdhsa_shared_vgpr_count 0
		.amdhsa_exception_fp_ieee_invalid_op 0
		.amdhsa_exception_fp_denorm_src 0
		.amdhsa_exception_fp_ieee_div_zero 0
		.amdhsa_exception_fp_ieee_overflow 0
		.amdhsa_exception_fp_ieee_underflow 0
		.amdhsa_exception_fp_ieee_inexact 0
		.amdhsa_exception_int_div_zero 0
	.end_amdhsa_kernel
	.section	.text._ZN9rocsolver6v33100L18getri_kernel_smallILi58E19rocblas_complex_numIfEPS3_EEvT1_iilPiilS6_bb,"axG",@progbits,_ZN9rocsolver6v33100L18getri_kernel_smallILi58E19rocblas_complex_numIfEPS3_EEvT1_iilPiilS6_bb,comdat
.Lfunc_end57:
	.size	_ZN9rocsolver6v33100L18getri_kernel_smallILi58E19rocblas_complex_numIfEPS3_EEvT1_iilPiilS6_bb, .Lfunc_end57-_ZN9rocsolver6v33100L18getri_kernel_smallILi58E19rocblas_complex_numIfEPS3_EEvT1_iilPiilS6_bb
                                        ; -- End function
	.set _ZN9rocsolver6v33100L18getri_kernel_smallILi58E19rocblas_complex_numIfEPS3_EEvT1_iilPiilS6_bb.num_vgpr, 250
	.set _ZN9rocsolver6v33100L18getri_kernel_smallILi58E19rocblas_complex_numIfEPS3_EEvT1_iilPiilS6_bb.num_agpr, 0
	.set _ZN9rocsolver6v33100L18getri_kernel_smallILi58E19rocblas_complex_numIfEPS3_EEvT1_iilPiilS6_bb.numbered_sgpr, 23
	.set _ZN9rocsolver6v33100L18getri_kernel_smallILi58E19rocblas_complex_numIfEPS3_EEvT1_iilPiilS6_bb.num_named_barrier, 0
	.set _ZN9rocsolver6v33100L18getri_kernel_smallILi58E19rocblas_complex_numIfEPS3_EEvT1_iilPiilS6_bb.private_seg_size, 480
	.set _ZN9rocsolver6v33100L18getri_kernel_smallILi58E19rocblas_complex_numIfEPS3_EEvT1_iilPiilS6_bb.uses_vcc, 1
	.set _ZN9rocsolver6v33100L18getri_kernel_smallILi58E19rocblas_complex_numIfEPS3_EEvT1_iilPiilS6_bb.uses_flat_scratch, 0
	.set _ZN9rocsolver6v33100L18getri_kernel_smallILi58E19rocblas_complex_numIfEPS3_EEvT1_iilPiilS6_bb.has_dyn_sized_stack, 0
	.set _ZN9rocsolver6v33100L18getri_kernel_smallILi58E19rocblas_complex_numIfEPS3_EEvT1_iilPiilS6_bb.has_recursion, 0
	.set _ZN9rocsolver6v33100L18getri_kernel_smallILi58E19rocblas_complex_numIfEPS3_EEvT1_iilPiilS6_bb.has_indirect_call, 0
	.section	.AMDGPU.csdata,"",@progbits
; Kernel info:
; codeLenInByte = 124132
; TotalNumSgprs: 25
; NumVgprs: 250
; ScratchSize: 480
; MemoryBound: 0
; FloatMode: 240
; IeeeMode: 1
; LDSByteSize: 932 bytes/workgroup (compile time only)
; SGPRBlocks: 0
; VGPRBlocks: 31
; NumSGPRsForWavesPerEU: 25
; NumVGPRsForWavesPerEU: 250
; Occupancy: 4
; WaveLimiterHint : 1
; COMPUTE_PGM_RSRC2:SCRATCH_EN: 1
; COMPUTE_PGM_RSRC2:USER_SGPR: 6
; COMPUTE_PGM_RSRC2:TRAP_HANDLER: 0
; COMPUTE_PGM_RSRC2:TGID_X_EN: 1
; COMPUTE_PGM_RSRC2:TGID_Y_EN: 0
; COMPUTE_PGM_RSRC2:TGID_Z_EN: 0
; COMPUTE_PGM_RSRC2:TIDIG_COMP_CNT: 0
	.section	.text._ZN9rocsolver6v33100L18getri_kernel_smallILi59E19rocblas_complex_numIfEPS3_EEvT1_iilPiilS6_bb,"axG",@progbits,_ZN9rocsolver6v33100L18getri_kernel_smallILi59E19rocblas_complex_numIfEPS3_EEvT1_iilPiilS6_bb,comdat
	.globl	_ZN9rocsolver6v33100L18getri_kernel_smallILi59E19rocblas_complex_numIfEPS3_EEvT1_iilPiilS6_bb ; -- Begin function _ZN9rocsolver6v33100L18getri_kernel_smallILi59E19rocblas_complex_numIfEPS3_EEvT1_iilPiilS6_bb
	.p2align	8
	.type	_ZN9rocsolver6v33100L18getri_kernel_smallILi59E19rocblas_complex_numIfEPS3_EEvT1_iilPiilS6_bb,@function
_ZN9rocsolver6v33100L18getri_kernel_smallILi59E19rocblas_complex_numIfEPS3_EEvT1_iilPiilS6_bb: ; @_ZN9rocsolver6v33100L18getri_kernel_smallILi59E19rocblas_complex_numIfEPS3_EEvT1_iilPiilS6_bb
; %bb.0:
	s_add_u32 s0, s0, s7
	s_addc_u32 s1, s1, 0
	s_mov_b32 s7, exec_lo
	v_cmpx_gt_u32_e32 59, v0
	s_cbranch_execz .LBB58_250
; %bb.1:
	s_clause 0x2
	s_load_dword s7, s[4:5], 0x38
	s_load_dwordx4 s[16:19], s[4:5], 0x10
	s_load_dwordx4 s[8:11], s[4:5], 0x28
                                        ; implicit-def: $sgpr20_sgpr21
	s_waitcnt lgkmcnt(0)
	s_bitcmp1_b32 s7, 8
	s_cselect_b32 s22, -1, 0
	s_bfe_u32 s12, s7, 0x10008
	s_ashr_i32 s7, s6, 31
	s_cmp_eq_u32 s12, 0
	s_cbranch_scc1 .LBB58_3
; %bb.2:
	s_load_dword s12, s[4:5], 0x20
	s_mul_i32 s13, s8, s7
	s_mul_hi_u32 s14, s8, s6
	s_mul_i32 s9, s9, s6
	s_add_i32 s13, s14, s13
	s_mul_i32 s8, s8, s6
	s_add_i32 s9, s13, s9
	s_lshl_b64 s[8:9], s[8:9], 2
	s_waitcnt lgkmcnt(0)
	s_ashr_i32 s13, s12, 31
	s_add_u32 s14, s18, s8
	s_addc_u32 s15, s19, s9
	s_lshl_b64 s[8:9], s[12:13], 2
	s_add_u32 s20, s14, s8
	s_addc_u32 s21, s15, s9
.LBB58_3:
	s_clause 0x1
	s_load_dwordx4 s[12:15], s[4:5], 0x0
	s_load_dword s8, s[4:5], 0x38
	s_mul_i32 s4, s16, s7
	s_mul_hi_u32 s5, s16, s6
	s_mul_i32 s9, s17, s6
	s_add_i32 s5, s5, s4
	s_mul_i32 s4, s16, s6
	s_add_i32 s5, s5, s9
	s_lshl_b64 s[4:5], s[4:5], 3
	s_waitcnt lgkmcnt(0)
	v_add3_u32 v1, s15, s15, v0
	s_ashr_i32 s17, s14, 31
	s_mov_b32 s16, s14
	s_add_u32 s9, s12, s4
	s_addc_u32 s12, s13, s5
	v_add_nc_u32_e32 v3, s15, v1
	v_ashrrev_i32_e32 v2, 31, v1
	s_lshl_b64 s[4:5], s[16:17], 3
	s_add_u32 s4, s9, s4
	v_add_nc_u32_e32 v5, s15, v3
	v_ashrrev_i32_e32 v4, 31, v3
	v_lshlrev_b64 v[1:2], 3, v[1:2]
	s_addc_u32 s5, s12, s5
	s_ashr_i32 s13, s15, 31
	v_ashrrev_i32_e32 v6, 31, v5
	v_add_nc_u32_e32 v7, s15, v5
	v_lshlrev_b64 v[3:4], 3, v[3:4]
	v_add_co_u32 v13, vcc_lo, s4, v1
	v_add_co_ci_u32_e64 v14, null, s5, v2, vcc_lo
	v_lshlrev_b64 v[1:2], 3, v[5:6]
	v_ashrrev_i32_e32 v8, 31, v7
	v_add_nc_u32_e32 v5, s15, v7
	v_add_co_u32 v15, vcc_lo, s4, v3
	v_add_co_ci_u32_e64 v16, null, s5, v4, vcc_lo
	v_lshlrev_b64 v[3:4], 3, v[7:8]
	v_ashrrev_i32_e32 v6, 31, v5
	v_add_nc_u32_e32 v7, s15, v5
	;; [unrolled: 5-line block ×41, first 2 shown]
	v_add_co_u32 v95, vcc_lo, s4, v3
	v_add_co_ci_u32_e64 v96, null, s5, v4, vcc_lo
	v_lshlrev_b64 v[3:4], 3, v[7:8]
	v_add_nc_u32_e32 v7, s15, v5
	v_ashrrev_i32_e32 v6, 31, v5
	v_add_co_u32 v97, vcc_lo, s4, v1
	v_add_co_ci_u32_e64 v98, null, s5, v2, vcc_lo
	v_ashrrev_i32_e32 v8, 31, v7
	v_lshlrev_b64 v[1:2], 3, v[5:6]
	v_add_co_u32 v99, vcc_lo, s4, v3
	v_add_nc_u32_e32 v6, s15, v7
	v_add_co_ci_u32_e64 v100, null, s5, v4, vcc_lo
	v_lshlrev_b64 v[4:5], 3, v[7:8]
	v_add_co_u32 v101, vcc_lo, s4, v1
	v_ashrrev_i32_e32 v7, 31, v6
	v_lshlrev_b32_e32 v3, 3, v0
	v_add_co_ci_u32_e64 v102, null, s5, v2, vcc_lo
	v_add_co_u32 v103, vcc_lo, s4, v4
	v_add_co_ci_u32_e64 v104, null, s5, v5, vcc_lo
	v_lshlrev_b64 v[4:5], 3, v[6:7]
	v_add_nc_u32_e32 v6, s15, v6
	v_add_co_u32 v107, s9, s4, v3
	s_mov_b32 s12, s15
	v_add_co_ci_u32_e64 v108, null, s5, 0, s9
	s_lshl_b64 s[12:13], s[12:13], 3
	v_ashrrev_i32_e32 v7, 31, v6
	v_add_co_u32 v111, vcc_lo, v107, s12
	v_add_co_ci_u32_e64 v112, null, s13, v108, vcc_lo
	v_add_co_u32 v105, vcc_lo, s4, v4
	v_add_co_ci_u32_e64 v106, null, s5, v5, vcc_lo
	v_lshlrev_b64 v[4:5], 3, v[6:7]
	v_add_nc_u32_e32 v6, s15, v6
	s_clause 0xc
	global_load_dwordx2 v[1:2], v3, s[4:5]
	global_load_dwordx2 v[8:9], v[111:112], off
	global_load_dwordx2 v[10:11], v[13:14], off
	;; [unrolled: 1-line block ×12, first 2 shown]
	v_ashrrev_i32_e32 v7, 31, v6
	v_add_co_u32 v109, vcc_lo, s4, v4
	v_add_co_ci_u32_e64 v110, null, s5, v5, vcc_lo
	v_lshlrev_b64 v[4:5], 3, v[6:7]
	v_add_nc_u32_e32 v6, s15, v6
	s_clause 0x3
	global_load_dwordx2 v[151:152], v[35:36], off
	global_load_dwordx2 v[153:154], v[37:38], off
	;; [unrolled: 1-line block ×4, first 2 shown]
	s_bitcmp0_b32 s8, 0
	v_ashrrev_i32_e32 v7, 31, v6
	v_add_co_u32 v113, vcc_lo, s4, v4
	v_add_co_ci_u32_e64 v114, null, s5, v5, vcc_lo
	v_lshlrev_b64 v[4:5], 3, v[6:7]
	v_add_nc_u32_e32 v6, s15, v6
	v_ashrrev_i32_e32 v7, 31, v6
	v_add_co_u32 v115, vcc_lo, s4, v4
	v_add_co_ci_u32_e64 v116, null, s5, v5, vcc_lo
	v_lshlrev_b64 v[4:5], 3, v[6:7]
	v_add_nc_u32_e32 v6, s15, v6
	;; [unrolled: 5-line block ×3, first 2 shown]
	s_clause 0xb
	global_load_dwordx2 v[4:5], v[43:44], off
	global_load_dwordx2 v[159:160], v[45:46], off
	;; [unrolled: 1-line block ×12, first 2 shown]
	v_ashrrev_i32_e32 v7, 31, v6
	v_add_co_u32 v119, vcc_lo, s4, v119
	v_add_co_ci_u32_e64 v120, null, s5, v120, vcc_lo
	v_lshlrev_b64 v[121:122], 3, v[6:7]
	v_add_nc_u32_e32 v6, s15, v6
	s_clause 0x4
	global_load_dwordx2 v[181:182], v[67:68], off
	global_load_dwordx2 v[183:184], v[69:70], off
	;; [unrolled: 1-line block ×5, first 2 shown]
	v_add_nc_u32_e32 v125, s15, v6
	v_ashrrev_i32_e32 v7, 31, v6
	v_add_co_u32 v121, vcc_lo, s4, v121
	v_add_co_ci_u32_e64 v122, null, s5, v122, vcc_lo
	v_add_nc_u32_e32 v127, s15, v125
	v_ashrrev_i32_e32 v126, 31, v125
	v_lshlrev_b64 v[6:7], 3, v[6:7]
	s_clause 0x5
	global_load_dwordx2 v[191:192], v[77:78], off
	global_load_dwordx2 v[193:194], v[79:80], off
	;; [unrolled: 1-line block ×6, first 2 shown]
	v_add_nc_u32_e32 v129, s15, v127
	v_ashrrev_i32_e32 v128, 31, v127
	v_lshlrev_b64 v[125:126], 3, v[125:126]
	v_add_co_u32 v123, vcc_lo, s4, v6
	v_ashrrev_i32_e32 v130, 31, v129
	v_lshlrev_b64 v[127:128], 3, v[127:128]
	v_add_co_ci_u32_e64 v124, null, s5, v7, vcc_lo
	v_add_co_u32 v125, vcc_lo, s4, v125
	v_lshlrev_b64 v[129:130], 3, v[129:130]
	v_add_co_ci_u32_e64 v126, null, s5, v126, vcc_lo
	v_add_co_u32 v127, vcc_lo, s4, v127
	v_add_co_ci_u32_e64 v128, null, s5, v128, vcc_lo
	v_add_co_u32 v129, vcc_lo, s4, v129
	v_add_co_ci_u32_e64 v130, null, s5, v130, vcc_lo
	s_clause 0x12
	global_load_dwordx2 v[6:7], v[85:86], off
	global_load_dwordx2 v[203:204], v[91:92], off
	;; [unrolled: 1-line block ×19, first 2 shown]
	s_mov_b32 s5, -1
	s_waitcnt vmcnt(58)
	buffer_store_dword v2, off, s[0:3], 0 offset:4
	buffer_store_dword v1, off, s[0:3], 0
	s_waitcnt vmcnt(57)
	buffer_store_dword v9, off, s[0:3], 0 offset:12
	buffer_store_dword v8, off, s[0:3], 0 offset:8
	s_waitcnt vmcnt(56)
	buffer_store_dword v11, off, s[0:3], 0 offset:20
	buffer_store_dword v10, off, s[0:3], 0 offset:16
	;; [unrolled: 3-line block ×38, first 2 shown]
	buffer_store_dword v199, off, s[0:3], 0 offset:312
	buffer_store_dword v200, off, s[0:3], 0 offset:316
	buffer_store_dword v201, off, s[0:3], 0 offset:320
	buffer_store_dword v202, off, s[0:3], 0 offset:324
	s_waitcnt vmcnt(17)
	buffer_store_dword v203, off, s[0:3], 0 offset:328
	buffer_store_dword v204, off, s[0:3], 0 offset:332
	s_waitcnt vmcnt(16)
	buffer_store_dword v205, off, s[0:3], 0 offset:336
	buffer_store_dword v206, off, s[0:3], 0 offset:340
	;; [unrolled: 3-line block ×18, first 2 shown]
	s_cbranch_scc1 .LBB58_248
; %bb.4:
	v_cmp_eq_u32_e64 s4, 0, v0
	s_and_saveexec_b32 s5, s4
; %bb.5:
	v_mov_b32_e32 v1, 0
	ds_write_b32 v1, v1 offset:472
; %bb.6:
	s_or_b32 exec_lo, exec_lo, s5
	v_lshl_add_u32 v5, v0, 3, 0
	s_waitcnt lgkmcnt(0)
	s_waitcnt_vscnt null, 0x0
	s_barrier
	buffer_gl0_inv
	s_clause 0x1
	buffer_load_dword v1, v5, s[0:3], 0 offen
	buffer_load_dword v2, v5, s[0:3], 0 offen offset:4
	s_waitcnt vmcnt(1)
	v_cmp_eq_f32_e32 vcc_lo, 0, v1
	s_waitcnt vmcnt(0)
	v_cmp_eq_f32_e64 s5, 0, v2
	s_and_b32 s5, vcc_lo, s5
	s_and_saveexec_b32 s8, s5
	s_cbranch_execz .LBB58_10
; %bb.7:
	v_mov_b32_e32 v1, 0
	s_mov_b32 s9, 0
	ds_read_b32 v2, v1 offset:472
	s_waitcnt lgkmcnt(0)
	v_readfirstlane_b32 s5, v2
	v_add_nc_u32_e32 v2, 1, v0
	s_cmp_eq_u32 s5, 0
	v_cmp_gt_i32_e32 vcc_lo, s5, v2
	s_cselect_b32 s12, -1, 0
	s_or_b32 s12, s12, vcc_lo
	s_and_b32 exec_lo, exec_lo, s12
	s_cbranch_execz .LBB58_10
; %bb.8:
	v_mov_b32_e32 v4, s5
.LBB58_9:                               ; =>This Inner Loop Header: Depth=1
	ds_cmpst_rtn_b32 v4, v1, v4, v2 offset:472
	s_waitcnt lgkmcnt(0)
	v_cmp_ne_u32_e32 vcc_lo, 0, v4
	v_cmp_le_i32_e64 s5, v4, v2
	s_and_b32 s5, vcc_lo, s5
	s_and_b32 s5, exec_lo, s5
	s_or_b32 s9, s5, s9
	s_andn2_b32 exec_lo, exec_lo, s9
	s_cbranch_execnz .LBB58_9
.LBB58_10:
	s_or_b32 exec_lo, exec_lo, s8
	v_mov_b32_e32 v1, 0
	s_barrier
	buffer_gl0_inv
	ds_read_b32 v2, v1 offset:472
	s_and_saveexec_b32 s5, s4
	s_cbranch_execz .LBB58_12
; %bb.11:
	s_lshl_b64 s[8:9], s[6:7], 2
	s_add_u32 s8, s10, s8
	s_addc_u32 s9, s11, s9
	s_waitcnt lgkmcnt(0)
	global_store_dword v1, v2, s[8:9]
.LBB58_12:
	s_or_b32 exec_lo, exec_lo, s5
	s_waitcnt lgkmcnt(0)
	v_cmp_ne_u32_e32 vcc_lo, 0, v2
	s_mov_b32 s5, 0
	s_cbranch_vccnz .LBB58_248
; %bb.13:
	s_clause 0x1
	buffer_load_dword v2, v5, s[0:3], 0 offen
	buffer_load_dword v4, v5, s[0:3], 0 offen offset:4
                                        ; implicit-def: $vgpr7
                                        ; implicit-def: $vgpr6
                                        ; implicit-def: $vgpr1
	s_waitcnt vmcnt(0)
	v_cmp_ngt_f32_e64 s5, |v2|, |v4|
	s_and_saveexec_b32 s8, s5
	s_xor_b32 s5, exec_lo, s8
	s_cbranch_execz .LBB58_15
; %bb.14:
	v_div_scale_f32 v1, null, v4, v4, v2
	v_div_scale_f32 v8, vcc_lo, v2, v4, v2
	v_rcp_f32_e32 v6, v1
	v_fma_f32 v7, -v1, v6, 1.0
	v_fmac_f32_e32 v6, v7, v6
	v_mul_f32_e32 v7, v8, v6
	v_fma_f32 v9, -v1, v7, v8
	v_fmac_f32_e32 v7, v9, v6
	v_fma_f32 v1, -v1, v7, v8
	v_div_fmas_f32 v1, v1, v6, v7
	v_div_fixup_f32 v1, v1, v4, v2
	v_fmac_f32_e32 v4, v2, v1
	v_div_scale_f32 v2, null, v4, v4, 1.0
	v_rcp_f32_e32 v6, v2
	v_fma_f32 v7, -v2, v6, 1.0
	v_fmac_f32_e32 v6, v7, v6
	v_div_scale_f32 v7, vcc_lo, 1.0, v4, 1.0
	v_mul_f32_e32 v8, v7, v6
	v_fma_f32 v9, -v2, v8, v7
	v_fmac_f32_e32 v8, v9, v6
	v_fma_f32 v2, -v2, v8, v7
	v_div_fmas_f32 v2, v2, v6, v8
	v_div_fixup_f32 v2, v2, v4, 1.0
                                        ; implicit-def: $vgpr4
	v_mul_f32_e32 v7, v1, v2
	v_xor_b32_e32 v6, 0x80000000, v2
                                        ; implicit-def: $vgpr2
	v_xor_b32_e32 v1, 0x80000000, v7
.LBB58_15:
	s_andn2_saveexec_b32 s5, s5
	s_cbranch_execz .LBB58_17
; %bb.16:
	v_div_scale_f32 v1, null, v2, v2, v4
	v_div_scale_f32 v8, vcc_lo, v4, v2, v4
	v_rcp_f32_e32 v6, v1
	v_fma_f32 v7, -v1, v6, 1.0
	v_fmac_f32_e32 v6, v7, v6
	v_mul_f32_e32 v7, v8, v6
	v_fma_f32 v9, -v1, v7, v8
	v_fmac_f32_e32 v7, v9, v6
	v_fma_f32 v1, -v1, v7, v8
	v_div_fmas_f32 v1, v1, v6, v7
	v_div_fixup_f32 v6, v1, v2, v4
	v_fmac_f32_e32 v2, v4, v6
	v_div_scale_f32 v1, null, v2, v2, 1.0
	v_div_scale_f32 v8, vcc_lo, 1.0, v2, 1.0
	v_rcp_f32_e32 v4, v1
	v_fma_f32 v7, -v1, v4, 1.0
	v_fmac_f32_e32 v4, v7, v4
	v_mul_f32_e32 v7, v8, v4
	v_fma_f32 v9, -v1, v7, v8
	v_fmac_f32_e32 v7, v9, v4
	v_fma_f32 v1, -v1, v7, v8
	v_div_fmas_f32 v1, v1, v4, v7
	v_div_fixup_f32 v7, v1, v2, 1.0
	v_xor_b32_e32 v1, 0x80000000, v7
	v_mul_f32_e64 v6, v6, -v7
.LBB58_17:
	s_or_b32 exec_lo, exec_lo, s5
	buffer_store_dword v7, v5, s[0:3], 0 offen
	buffer_store_dword v6, v5, s[0:3], 0 offen offset:4
	s_clause 0x1
	buffer_load_dword v8, off, s[0:3], 0 offset:12
	buffer_load_dword v7, off, s[0:3], 0 offset:8
	v_xor_b32_e32 v2, 0x80000000, v6
	v_add_nc_u32_e32 v4, 0x1e0, v3
	s_waitcnt vmcnt(0)
	ds_write2_b64 v3, v[1:2], v[7:8] offset1:60
	s_waitcnt lgkmcnt(0)
	s_waitcnt_vscnt null, 0x0
	s_barrier
	buffer_gl0_inv
	s_and_saveexec_b32 s5, s4
	s_cbranch_execz .LBB58_19
; %bb.18:
	s_clause 0x1
	buffer_load_dword v8, v5, s[0:3], 0 offen offset:4
	buffer_load_dword v9, v5, s[0:3], 0 offen
	ds_read_b64 v[1:2], v4
	v_mov_b32_e32 v6, 0
	ds_read_b64 v[6:7], v6 offset:8
	s_waitcnt vmcnt(1) lgkmcnt(1)
	v_mul_f32_e32 v10, v1, v8
	v_mul_f32_e32 v8, v2, v8
	s_waitcnt vmcnt(0)
	v_fmac_f32_e32 v10, v2, v9
	v_fma_f32 v1, v1, v9, -v8
	v_add_f32_e32 v2, 0, v10
	v_add_f32_e32 v1, 0, v1
	s_waitcnt lgkmcnt(0)
	v_mul_f32_e32 v8, v2, v7
	v_mul_f32_e32 v7, v1, v7
	v_fma_f32 v1, v1, v6, -v8
	v_fmac_f32_e32 v7, v2, v6
	buffer_store_dword v1, off, s[0:3], 0 offset:8
	buffer_store_dword v7, off, s[0:3], 0 offset:12
.LBB58_19:
	s_or_b32 exec_lo, exec_lo, s5
	s_waitcnt_vscnt null, 0x0
	s_barrier
	buffer_gl0_inv
	s_clause 0x1
	buffer_load_dword v1, off, s[0:3], 0 offset:16
	buffer_load_dword v2, off, s[0:3], 0 offset:20
	s_mov_b32 s5, exec_lo
	s_waitcnt vmcnt(0)
	ds_write_b64 v4, v[1:2]
	s_waitcnt lgkmcnt(0)
	s_barrier
	buffer_gl0_inv
	v_cmpx_gt_u32_e32 2, v0
	s_cbranch_execz .LBB58_23
; %bb.20:
	s_clause 0x1
	buffer_load_dword v6, v5, s[0:3], 0 offen offset:4
	buffer_load_dword v5, v5, s[0:3], 0 offen
	ds_read_b64 v[1:2], v4
	s_waitcnt vmcnt(1) lgkmcnt(0)
	v_mul_f32_e32 v7, v2, v6
	v_mul_f32_e32 v6, v1, v6
	s_waitcnt vmcnt(0)
	v_fma_f32 v1, v1, v5, -v7
	v_fmac_f32_e32 v6, v2, v5
	v_add_f32_e32 v2, 0, v1
	v_add_f32_e32 v1, 0, v6
	s_and_saveexec_b32 s8, s4
	s_cbranch_execz .LBB58_22
; %bb.21:
	s_clause 0x1
	buffer_load_dword v7, off, s[0:3], 0 offset:12
	buffer_load_dword v8, off, s[0:3], 0 offset:8
	v_mov_b32_e32 v5, 0
	ds_read_b64 v[5:6], v5 offset:488
	s_waitcnt vmcnt(1) lgkmcnt(0)
	v_mul_f32_e32 v9, v5, v7
	v_mul_f32_e32 v7, v6, v7
	s_waitcnt vmcnt(0)
	v_fmac_f32_e32 v9, v6, v8
	v_fma_f32 v5, v5, v8, -v7
	v_add_f32_e32 v1, v1, v9
	v_add_f32_e32 v2, v2, v5
.LBB58_22:
	s_or_b32 exec_lo, exec_lo, s8
	v_mov_b32_e32 v5, 0
	ds_read_b64 v[5:6], v5 offset:16
	s_waitcnt lgkmcnt(0)
	v_mul_f32_e32 v7, v1, v6
	v_mul_f32_e32 v6, v2, v6
	v_fma_f32 v2, v2, v5, -v7
	v_fmac_f32_e32 v6, v1, v5
	buffer_store_dword v2, off, s[0:3], 0 offset:16
	buffer_store_dword v6, off, s[0:3], 0 offset:20
.LBB58_23:
	s_or_b32 exec_lo, exec_lo, s5
	s_waitcnt_vscnt null, 0x0
	s_barrier
	buffer_gl0_inv
	s_clause 0x1
	buffer_load_dword v5, off, s[0:3], 0 offset:24
	buffer_load_dword v6, off, s[0:3], 0 offset:28
	v_add_nc_u32_e32 v1, -1, v0
	s_mov_b32 s4, exec_lo
	s_waitcnt vmcnt(0)
	ds_write_b64 v4, v[5:6]
	s_waitcnt lgkmcnt(0)
	s_barrier
	buffer_gl0_inv
	v_cmpx_gt_u32_e32 3, v0
	s_cbranch_execz .LBB58_27
; %bb.24:
	v_add_nc_u32_e32 v5, -1, v0
	v_add_nc_u32_e32 v6, 0x1e0, v3
	v_mov_b32_e32 v7, v3
	v_mov_b32_e32 v2, 0
	;; [unrolled: 1-line block ×3, first 2 shown]
	s_mov_b32 s5, 0
	.p2align	6
.LBB58_25:                              ; =>This Inner Loop Header: Depth=1
	s_clause 0x1
	buffer_load_dword v11, v7, s[0:3], 0 offen offset:4
	buffer_load_dword v12, v7, s[0:3], 0 offen
	ds_read_b64 v[9:10], v6
	v_add_nc_u32_e32 v5, 1, v5
	v_add_nc_u32_e32 v6, 8, v6
	;; [unrolled: 1-line block ×3, first 2 shown]
	v_cmp_lt_u32_e32 vcc_lo, 1, v5
	s_or_b32 s5, vcc_lo, s5
	s_waitcnt vmcnt(1) lgkmcnt(0)
	v_mul_f32_e32 v131, v10, v11
	v_mul_f32_e32 v11, v9, v11
	s_waitcnt vmcnt(0)
	v_fma_f32 v9, v9, v12, -v131
	v_fmac_f32_e32 v11, v10, v12
	v_add_f32_e32 v8, v8, v9
	v_add_f32_e32 v2, v2, v11
	s_andn2_b32 exec_lo, exec_lo, s5
	s_cbranch_execnz .LBB58_25
; %bb.26:
	s_or_b32 exec_lo, exec_lo, s5
	v_mov_b32_e32 v5, 0
	ds_read_b64 v[5:6], v5 offset:24
	s_waitcnt lgkmcnt(0)
	v_mul_f32_e32 v7, v2, v6
	v_mul_f32_e32 v6, v8, v6
	v_fma_f32 v7, v8, v5, -v7
	v_fmac_f32_e32 v6, v2, v5
	buffer_store_dword v7, off, s[0:3], 0 offset:24
	buffer_store_dword v6, off, s[0:3], 0 offset:28
.LBB58_27:
	s_or_b32 exec_lo, exec_lo, s4
	s_waitcnt_vscnt null, 0x0
	s_barrier
	buffer_gl0_inv
	s_clause 0x1
	buffer_load_dword v5, off, s[0:3], 0 offset:32
	buffer_load_dword v6, off, s[0:3], 0 offset:36
	s_mov_b32 s4, exec_lo
	s_waitcnt vmcnt(0)
	ds_write_b64 v4, v[5:6]
	s_waitcnt lgkmcnt(0)
	s_barrier
	buffer_gl0_inv
	v_cmpx_gt_u32_e32 4, v0
	s_cbranch_execz .LBB58_31
; %bb.28:
	v_add_nc_u32_e32 v5, -1, v0
	v_add_nc_u32_e32 v6, 0x1e0, v3
	v_mov_b32_e32 v7, v3
	v_mov_b32_e32 v2, 0
	;; [unrolled: 1-line block ×3, first 2 shown]
	s_mov_b32 s5, 0
	.p2align	6
.LBB58_29:                              ; =>This Inner Loop Header: Depth=1
	s_clause 0x1
	buffer_load_dword v11, v7, s[0:3], 0 offen offset:4
	buffer_load_dword v12, v7, s[0:3], 0 offen
	ds_read_b64 v[9:10], v6
	v_add_nc_u32_e32 v5, 1, v5
	v_add_nc_u32_e32 v6, 8, v6
	;; [unrolled: 1-line block ×3, first 2 shown]
	v_cmp_lt_u32_e32 vcc_lo, 2, v5
	s_or_b32 s5, vcc_lo, s5
	s_waitcnt vmcnt(1) lgkmcnt(0)
	v_mul_f32_e32 v131, v10, v11
	v_mul_f32_e32 v11, v9, v11
	s_waitcnt vmcnt(0)
	v_fma_f32 v9, v9, v12, -v131
	v_fmac_f32_e32 v11, v10, v12
	v_add_f32_e32 v8, v8, v9
	v_add_f32_e32 v2, v2, v11
	s_andn2_b32 exec_lo, exec_lo, s5
	s_cbranch_execnz .LBB58_29
; %bb.30:
	s_or_b32 exec_lo, exec_lo, s5
	v_mov_b32_e32 v5, 0
	ds_read_b64 v[5:6], v5 offset:32
	s_waitcnt lgkmcnt(0)
	v_mul_f32_e32 v7, v2, v6
	v_mul_f32_e32 v6, v8, v6
	v_fma_f32 v7, v8, v5, -v7
	v_fmac_f32_e32 v6, v2, v5
	buffer_store_dword v7, off, s[0:3], 0 offset:32
	buffer_store_dword v6, off, s[0:3], 0 offset:36
.LBB58_31:
	s_or_b32 exec_lo, exec_lo, s4
	s_waitcnt_vscnt null, 0x0
	s_barrier
	buffer_gl0_inv
	s_clause 0x1
	buffer_load_dword v5, off, s[0:3], 0 offset:40
	buffer_load_dword v6, off, s[0:3], 0 offset:44
	s_mov_b32 s4, exec_lo
	s_waitcnt vmcnt(0)
	ds_write_b64 v4, v[5:6]
	s_waitcnt lgkmcnt(0)
	s_barrier
	buffer_gl0_inv
	v_cmpx_gt_u32_e32 5, v0
	s_cbranch_execz .LBB58_35
; %bb.32:
	v_add_nc_u32_e32 v5, -1, v0
	v_add_nc_u32_e32 v6, 0x1e0, v3
	v_mov_b32_e32 v7, v3
	v_mov_b32_e32 v2, 0
	;; [unrolled: 1-line block ×3, first 2 shown]
	s_mov_b32 s5, 0
	.p2align	6
.LBB58_33:                              ; =>This Inner Loop Header: Depth=1
	s_clause 0x1
	buffer_load_dword v11, v7, s[0:3], 0 offen offset:4
	buffer_load_dword v12, v7, s[0:3], 0 offen
	ds_read_b64 v[9:10], v6
	v_add_nc_u32_e32 v5, 1, v5
	v_add_nc_u32_e32 v6, 8, v6
	;; [unrolled: 1-line block ×3, first 2 shown]
	v_cmp_lt_u32_e32 vcc_lo, 3, v5
	s_or_b32 s5, vcc_lo, s5
	s_waitcnt vmcnt(1) lgkmcnt(0)
	v_mul_f32_e32 v131, v10, v11
	v_mul_f32_e32 v11, v9, v11
	s_waitcnt vmcnt(0)
	v_fma_f32 v9, v9, v12, -v131
	v_fmac_f32_e32 v11, v10, v12
	v_add_f32_e32 v8, v8, v9
	v_add_f32_e32 v2, v2, v11
	s_andn2_b32 exec_lo, exec_lo, s5
	s_cbranch_execnz .LBB58_33
; %bb.34:
	s_or_b32 exec_lo, exec_lo, s5
	v_mov_b32_e32 v5, 0
	ds_read_b64 v[5:6], v5 offset:40
	s_waitcnt lgkmcnt(0)
	v_mul_f32_e32 v7, v2, v6
	v_mul_f32_e32 v6, v8, v6
	v_fma_f32 v7, v8, v5, -v7
	v_fmac_f32_e32 v6, v2, v5
	buffer_store_dword v7, off, s[0:3], 0 offset:40
	buffer_store_dword v6, off, s[0:3], 0 offset:44
.LBB58_35:
	s_or_b32 exec_lo, exec_lo, s4
	s_waitcnt_vscnt null, 0x0
	s_barrier
	buffer_gl0_inv
	s_clause 0x1
	buffer_load_dword v5, off, s[0:3], 0 offset:48
	buffer_load_dword v6, off, s[0:3], 0 offset:52
	s_mov_b32 s4, exec_lo
	s_waitcnt vmcnt(0)
	ds_write_b64 v4, v[5:6]
	s_waitcnt lgkmcnt(0)
	s_barrier
	buffer_gl0_inv
	v_cmpx_gt_u32_e32 6, v0
	s_cbranch_execz .LBB58_39
; %bb.36:
	v_add_nc_u32_e32 v5, -1, v0
	v_add_nc_u32_e32 v6, 0x1e0, v3
	v_mov_b32_e32 v7, v3
	v_mov_b32_e32 v2, 0
	;; [unrolled: 1-line block ×3, first 2 shown]
	s_mov_b32 s5, 0
	.p2align	6
.LBB58_37:                              ; =>This Inner Loop Header: Depth=1
	s_clause 0x1
	buffer_load_dword v11, v7, s[0:3], 0 offen offset:4
	buffer_load_dword v12, v7, s[0:3], 0 offen
	ds_read_b64 v[9:10], v6
	v_add_nc_u32_e32 v5, 1, v5
	v_add_nc_u32_e32 v6, 8, v6
	;; [unrolled: 1-line block ×3, first 2 shown]
	v_cmp_lt_u32_e32 vcc_lo, 4, v5
	s_or_b32 s5, vcc_lo, s5
	s_waitcnt vmcnt(1) lgkmcnt(0)
	v_mul_f32_e32 v131, v10, v11
	v_mul_f32_e32 v11, v9, v11
	s_waitcnt vmcnt(0)
	v_fma_f32 v9, v9, v12, -v131
	v_fmac_f32_e32 v11, v10, v12
	v_add_f32_e32 v8, v8, v9
	v_add_f32_e32 v2, v2, v11
	s_andn2_b32 exec_lo, exec_lo, s5
	s_cbranch_execnz .LBB58_37
; %bb.38:
	s_or_b32 exec_lo, exec_lo, s5
	v_mov_b32_e32 v5, 0
	ds_read_b64 v[5:6], v5 offset:48
	s_waitcnt lgkmcnt(0)
	v_mul_f32_e32 v7, v2, v6
	v_mul_f32_e32 v6, v8, v6
	v_fma_f32 v7, v8, v5, -v7
	v_fmac_f32_e32 v6, v2, v5
	buffer_store_dword v7, off, s[0:3], 0 offset:48
	buffer_store_dword v6, off, s[0:3], 0 offset:52
.LBB58_39:
	s_or_b32 exec_lo, exec_lo, s4
	s_waitcnt_vscnt null, 0x0
	s_barrier
	buffer_gl0_inv
	s_clause 0x1
	buffer_load_dword v5, off, s[0:3], 0 offset:56
	buffer_load_dword v6, off, s[0:3], 0 offset:60
	s_mov_b32 s4, exec_lo
	s_waitcnt vmcnt(0)
	ds_write_b64 v4, v[5:6]
	s_waitcnt lgkmcnt(0)
	s_barrier
	buffer_gl0_inv
	v_cmpx_gt_u32_e32 7, v0
	s_cbranch_execz .LBB58_43
; %bb.40:
	v_add_nc_u32_e32 v5, -1, v0
	v_add_nc_u32_e32 v6, 0x1e0, v3
	v_mov_b32_e32 v7, v3
	v_mov_b32_e32 v2, 0
	;; [unrolled: 1-line block ×3, first 2 shown]
	s_mov_b32 s5, 0
	.p2align	6
.LBB58_41:                              ; =>This Inner Loop Header: Depth=1
	s_clause 0x1
	buffer_load_dword v11, v7, s[0:3], 0 offen offset:4
	buffer_load_dword v12, v7, s[0:3], 0 offen
	ds_read_b64 v[9:10], v6
	v_add_nc_u32_e32 v5, 1, v5
	v_add_nc_u32_e32 v6, 8, v6
	v_add_nc_u32_e32 v7, 8, v7
	v_cmp_lt_u32_e32 vcc_lo, 5, v5
	s_or_b32 s5, vcc_lo, s5
	s_waitcnt vmcnt(1) lgkmcnt(0)
	v_mul_f32_e32 v131, v10, v11
	v_mul_f32_e32 v11, v9, v11
	s_waitcnt vmcnt(0)
	v_fma_f32 v9, v9, v12, -v131
	v_fmac_f32_e32 v11, v10, v12
	v_add_f32_e32 v8, v8, v9
	v_add_f32_e32 v2, v2, v11
	s_andn2_b32 exec_lo, exec_lo, s5
	s_cbranch_execnz .LBB58_41
; %bb.42:
	s_or_b32 exec_lo, exec_lo, s5
	v_mov_b32_e32 v5, 0
	ds_read_b64 v[5:6], v5 offset:56
	s_waitcnt lgkmcnt(0)
	v_mul_f32_e32 v7, v2, v6
	v_mul_f32_e32 v6, v8, v6
	v_fma_f32 v7, v8, v5, -v7
	v_fmac_f32_e32 v6, v2, v5
	buffer_store_dword v7, off, s[0:3], 0 offset:56
	buffer_store_dword v6, off, s[0:3], 0 offset:60
.LBB58_43:
	s_or_b32 exec_lo, exec_lo, s4
	s_waitcnt_vscnt null, 0x0
	s_barrier
	buffer_gl0_inv
	s_clause 0x1
	buffer_load_dword v5, off, s[0:3], 0 offset:64
	buffer_load_dword v6, off, s[0:3], 0 offset:68
	s_mov_b32 s4, exec_lo
	s_waitcnt vmcnt(0)
	ds_write_b64 v4, v[5:6]
	s_waitcnt lgkmcnt(0)
	s_barrier
	buffer_gl0_inv
	v_cmpx_gt_u32_e32 8, v0
	s_cbranch_execz .LBB58_47
; %bb.44:
	v_add_nc_u32_e32 v5, -1, v0
	v_add_nc_u32_e32 v6, 0x1e0, v3
	v_mov_b32_e32 v7, v3
	v_mov_b32_e32 v2, 0
	;; [unrolled: 1-line block ×3, first 2 shown]
	s_mov_b32 s5, 0
	.p2align	6
.LBB58_45:                              ; =>This Inner Loop Header: Depth=1
	s_clause 0x1
	buffer_load_dword v11, v7, s[0:3], 0 offen offset:4
	buffer_load_dword v12, v7, s[0:3], 0 offen
	ds_read_b64 v[9:10], v6
	v_add_nc_u32_e32 v5, 1, v5
	v_add_nc_u32_e32 v6, 8, v6
	;; [unrolled: 1-line block ×3, first 2 shown]
	v_cmp_lt_u32_e32 vcc_lo, 6, v5
	s_or_b32 s5, vcc_lo, s5
	s_waitcnt vmcnt(1) lgkmcnt(0)
	v_mul_f32_e32 v131, v10, v11
	v_mul_f32_e32 v11, v9, v11
	s_waitcnt vmcnt(0)
	v_fma_f32 v9, v9, v12, -v131
	v_fmac_f32_e32 v11, v10, v12
	v_add_f32_e32 v8, v8, v9
	v_add_f32_e32 v2, v2, v11
	s_andn2_b32 exec_lo, exec_lo, s5
	s_cbranch_execnz .LBB58_45
; %bb.46:
	s_or_b32 exec_lo, exec_lo, s5
	v_mov_b32_e32 v5, 0
	ds_read_b64 v[5:6], v5 offset:64
	s_waitcnt lgkmcnt(0)
	v_mul_f32_e32 v7, v2, v6
	v_mul_f32_e32 v6, v8, v6
	v_fma_f32 v7, v8, v5, -v7
	v_fmac_f32_e32 v6, v2, v5
	buffer_store_dword v7, off, s[0:3], 0 offset:64
	buffer_store_dword v6, off, s[0:3], 0 offset:68
.LBB58_47:
	s_or_b32 exec_lo, exec_lo, s4
	s_waitcnt_vscnt null, 0x0
	s_barrier
	buffer_gl0_inv
	s_clause 0x1
	buffer_load_dword v5, off, s[0:3], 0 offset:72
	buffer_load_dword v6, off, s[0:3], 0 offset:76
	s_mov_b32 s4, exec_lo
	s_waitcnt vmcnt(0)
	ds_write_b64 v4, v[5:6]
	s_waitcnt lgkmcnt(0)
	s_barrier
	buffer_gl0_inv
	v_cmpx_gt_u32_e32 9, v0
	s_cbranch_execz .LBB58_51
; %bb.48:
	v_add_nc_u32_e32 v5, -1, v0
	v_add_nc_u32_e32 v6, 0x1e0, v3
	v_mov_b32_e32 v7, v3
	v_mov_b32_e32 v2, 0
	;; [unrolled: 1-line block ×3, first 2 shown]
	s_mov_b32 s5, 0
	.p2align	6
.LBB58_49:                              ; =>This Inner Loop Header: Depth=1
	s_clause 0x1
	buffer_load_dword v11, v7, s[0:3], 0 offen offset:4
	buffer_load_dword v12, v7, s[0:3], 0 offen
	ds_read_b64 v[9:10], v6
	v_add_nc_u32_e32 v5, 1, v5
	v_add_nc_u32_e32 v6, 8, v6
	v_add_nc_u32_e32 v7, 8, v7
	v_cmp_lt_u32_e32 vcc_lo, 7, v5
	s_or_b32 s5, vcc_lo, s5
	s_waitcnt vmcnt(1) lgkmcnt(0)
	v_mul_f32_e32 v131, v10, v11
	v_mul_f32_e32 v11, v9, v11
	s_waitcnt vmcnt(0)
	v_fma_f32 v9, v9, v12, -v131
	v_fmac_f32_e32 v11, v10, v12
	v_add_f32_e32 v8, v8, v9
	v_add_f32_e32 v2, v2, v11
	s_andn2_b32 exec_lo, exec_lo, s5
	s_cbranch_execnz .LBB58_49
; %bb.50:
	s_or_b32 exec_lo, exec_lo, s5
	v_mov_b32_e32 v5, 0
	ds_read_b64 v[5:6], v5 offset:72
	s_waitcnt lgkmcnt(0)
	v_mul_f32_e32 v7, v2, v6
	v_mul_f32_e32 v6, v8, v6
	v_fma_f32 v7, v8, v5, -v7
	v_fmac_f32_e32 v6, v2, v5
	buffer_store_dword v7, off, s[0:3], 0 offset:72
	buffer_store_dword v6, off, s[0:3], 0 offset:76
.LBB58_51:
	s_or_b32 exec_lo, exec_lo, s4
	s_waitcnt_vscnt null, 0x0
	s_barrier
	buffer_gl0_inv
	s_clause 0x1
	buffer_load_dword v5, off, s[0:3], 0 offset:80
	buffer_load_dword v6, off, s[0:3], 0 offset:84
	s_mov_b32 s4, exec_lo
	s_waitcnt vmcnt(0)
	ds_write_b64 v4, v[5:6]
	s_waitcnt lgkmcnt(0)
	s_barrier
	buffer_gl0_inv
	v_cmpx_gt_u32_e32 10, v0
	s_cbranch_execz .LBB58_55
; %bb.52:
	v_add_nc_u32_e32 v5, -1, v0
	v_add_nc_u32_e32 v6, 0x1e0, v3
	v_mov_b32_e32 v7, v3
	v_mov_b32_e32 v2, 0
	;; [unrolled: 1-line block ×3, first 2 shown]
	s_mov_b32 s5, 0
	.p2align	6
.LBB58_53:                              ; =>This Inner Loop Header: Depth=1
	s_clause 0x1
	buffer_load_dword v11, v7, s[0:3], 0 offen offset:4
	buffer_load_dword v12, v7, s[0:3], 0 offen
	ds_read_b64 v[9:10], v6
	v_add_nc_u32_e32 v5, 1, v5
	v_add_nc_u32_e32 v6, 8, v6
	;; [unrolled: 1-line block ×3, first 2 shown]
	v_cmp_lt_u32_e32 vcc_lo, 8, v5
	s_or_b32 s5, vcc_lo, s5
	s_waitcnt vmcnt(1) lgkmcnt(0)
	v_mul_f32_e32 v131, v10, v11
	v_mul_f32_e32 v11, v9, v11
	s_waitcnt vmcnt(0)
	v_fma_f32 v9, v9, v12, -v131
	v_fmac_f32_e32 v11, v10, v12
	v_add_f32_e32 v8, v8, v9
	v_add_f32_e32 v2, v2, v11
	s_andn2_b32 exec_lo, exec_lo, s5
	s_cbranch_execnz .LBB58_53
; %bb.54:
	s_or_b32 exec_lo, exec_lo, s5
	v_mov_b32_e32 v5, 0
	ds_read_b64 v[5:6], v5 offset:80
	s_waitcnt lgkmcnt(0)
	v_mul_f32_e32 v7, v2, v6
	v_mul_f32_e32 v6, v8, v6
	v_fma_f32 v7, v8, v5, -v7
	v_fmac_f32_e32 v6, v2, v5
	buffer_store_dword v7, off, s[0:3], 0 offset:80
	buffer_store_dword v6, off, s[0:3], 0 offset:84
.LBB58_55:
	s_or_b32 exec_lo, exec_lo, s4
	s_waitcnt_vscnt null, 0x0
	s_barrier
	buffer_gl0_inv
	s_clause 0x1
	buffer_load_dword v5, off, s[0:3], 0 offset:88
	buffer_load_dword v6, off, s[0:3], 0 offset:92
	s_mov_b32 s4, exec_lo
	s_waitcnt vmcnt(0)
	ds_write_b64 v4, v[5:6]
	s_waitcnt lgkmcnt(0)
	s_barrier
	buffer_gl0_inv
	v_cmpx_gt_u32_e32 11, v0
	s_cbranch_execz .LBB58_59
; %bb.56:
	v_add_nc_u32_e32 v5, -1, v0
	v_add_nc_u32_e32 v6, 0x1e0, v3
	v_mov_b32_e32 v7, v3
	v_mov_b32_e32 v2, 0
	;; [unrolled: 1-line block ×3, first 2 shown]
	s_mov_b32 s5, 0
	.p2align	6
.LBB58_57:                              ; =>This Inner Loop Header: Depth=1
	s_clause 0x1
	buffer_load_dword v11, v7, s[0:3], 0 offen offset:4
	buffer_load_dword v12, v7, s[0:3], 0 offen
	ds_read_b64 v[9:10], v6
	v_add_nc_u32_e32 v5, 1, v5
	v_add_nc_u32_e32 v6, 8, v6
	;; [unrolled: 1-line block ×3, first 2 shown]
	v_cmp_lt_u32_e32 vcc_lo, 9, v5
	s_or_b32 s5, vcc_lo, s5
	s_waitcnt vmcnt(1) lgkmcnt(0)
	v_mul_f32_e32 v131, v10, v11
	v_mul_f32_e32 v11, v9, v11
	s_waitcnt vmcnt(0)
	v_fma_f32 v9, v9, v12, -v131
	v_fmac_f32_e32 v11, v10, v12
	v_add_f32_e32 v8, v8, v9
	v_add_f32_e32 v2, v2, v11
	s_andn2_b32 exec_lo, exec_lo, s5
	s_cbranch_execnz .LBB58_57
; %bb.58:
	s_or_b32 exec_lo, exec_lo, s5
	v_mov_b32_e32 v5, 0
	ds_read_b64 v[5:6], v5 offset:88
	s_waitcnt lgkmcnt(0)
	v_mul_f32_e32 v7, v2, v6
	v_mul_f32_e32 v6, v8, v6
	v_fma_f32 v7, v8, v5, -v7
	v_fmac_f32_e32 v6, v2, v5
	buffer_store_dword v7, off, s[0:3], 0 offset:88
	buffer_store_dword v6, off, s[0:3], 0 offset:92
.LBB58_59:
	s_or_b32 exec_lo, exec_lo, s4
	s_waitcnt_vscnt null, 0x0
	s_barrier
	buffer_gl0_inv
	s_clause 0x1
	buffer_load_dword v5, off, s[0:3], 0 offset:96
	buffer_load_dword v6, off, s[0:3], 0 offset:100
	s_mov_b32 s4, exec_lo
	s_waitcnt vmcnt(0)
	ds_write_b64 v4, v[5:6]
	s_waitcnt lgkmcnt(0)
	s_barrier
	buffer_gl0_inv
	v_cmpx_gt_u32_e32 12, v0
	s_cbranch_execz .LBB58_63
; %bb.60:
	v_add_nc_u32_e32 v5, -1, v0
	v_add_nc_u32_e32 v6, 0x1e0, v3
	v_mov_b32_e32 v7, v3
	v_mov_b32_e32 v2, 0
	;; [unrolled: 1-line block ×3, first 2 shown]
	s_mov_b32 s5, 0
	.p2align	6
.LBB58_61:                              ; =>This Inner Loop Header: Depth=1
	s_clause 0x1
	buffer_load_dword v11, v7, s[0:3], 0 offen offset:4
	buffer_load_dword v12, v7, s[0:3], 0 offen
	ds_read_b64 v[9:10], v6
	v_add_nc_u32_e32 v5, 1, v5
	v_add_nc_u32_e32 v6, 8, v6
	;; [unrolled: 1-line block ×3, first 2 shown]
	v_cmp_lt_u32_e32 vcc_lo, 10, v5
	s_or_b32 s5, vcc_lo, s5
	s_waitcnt vmcnt(1) lgkmcnt(0)
	v_mul_f32_e32 v131, v10, v11
	v_mul_f32_e32 v11, v9, v11
	s_waitcnt vmcnt(0)
	v_fma_f32 v9, v9, v12, -v131
	v_fmac_f32_e32 v11, v10, v12
	v_add_f32_e32 v8, v8, v9
	v_add_f32_e32 v2, v2, v11
	s_andn2_b32 exec_lo, exec_lo, s5
	s_cbranch_execnz .LBB58_61
; %bb.62:
	s_or_b32 exec_lo, exec_lo, s5
	v_mov_b32_e32 v5, 0
	ds_read_b64 v[5:6], v5 offset:96
	s_waitcnt lgkmcnt(0)
	v_mul_f32_e32 v7, v2, v6
	v_mul_f32_e32 v6, v8, v6
	v_fma_f32 v7, v8, v5, -v7
	v_fmac_f32_e32 v6, v2, v5
	buffer_store_dword v7, off, s[0:3], 0 offset:96
	buffer_store_dword v6, off, s[0:3], 0 offset:100
.LBB58_63:
	s_or_b32 exec_lo, exec_lo, s4
	s_waitcnt_vscnt null, 0x0
	s_barrier
	buffer_gl0_inv
	s_clause 0x1
	buffer_load_dword v5, off, s[0:3], 0 offset:104
	buffer_load_dword v6, off, s[0:3], 0 offset:108
	s_mov_b32 s4, exec_lo
	s_waitcnt vmcnt(0)
	ds_write_b64 v4, v[5:6]
	s_waitcnt lgkmcnt(0)
	s_barrier
	buffer_gl0_inv
	v_cmpx_gt_u32_e32 13, v0
	s_cbranch_execz .LBB58_67
; %bb.64:
	v_add_nc_u32_e32 v5, -1, v0
	v_add_nc_u32_e32 v6, 0x1e0, v3
	v_mov_b32_e32 v7, v3
	v_mov_b32_e32 v2, 0
	;; [unrolled: 1-line block ×3, first 2 shown]
	s_mov_b32 s5, 0
	.p2align	6
.LBB58_65:                              ; =>This Inner Loop Header: Depth=1
	s_clause 0x1
	buffer_load_dword v11, v7, s[0:3], 0 offen offset:4
	buffer_load_dword v12, v7, s[0:3], 0 offen
	ds_read_b64 v[9:10], v6
	v_add_nc_u32_e32 v5, 1, v5
	v_add_nc_u32_e32 v6, 8, v6
	;; [unrolled: 1-line block ×3, first 2 shown]
	v_cmp_lt_u32_e32 vcc_lo, 11, v5
	s_or_b32 s5, vcc_lo, s5
	s_waitcnt vmcnt(1) lgkmcnt(0)
	v_mul_f32_e32 v131, v10, v11
	v_mul_f32_e32 v11, v9, v11
	s_waitcnt vmcnt(0)
	v_fma_f32 v9, v9, v12, -v131
	v_fmac_f32_e32 v11, v10, v12
	v_add_f32_e32 v8, v8, v9
	v_add_f32_e32 v2, v2, v11
	s_andn2_b32 exec_lo, exec_lo, s5
	s_cbranch_execnz .LBB58_65
; %bb.66:
	s_or_b32 exec_lo, exec_lo, s5
	v_mov_b32_e32 v5, 0
	ds_read_b64 v[5:6], v5 offset:104
	s_waitcnt lgkmcnt(0)
	v_mul_f32_e32 v7, v2, v6
	v_mul_f32_e32 v6, v8, v6
	v_fma_f32 v7, v8, v5, -v7
	v_fmac_f32_e32 v6, v2, v5
	buffer_store_dword v7, off, s[0:3], 0 offset:104
	buffer_store_dword v6, off, s[0:3], 0 offset:108
.LBB58_67:
	s_or_b32 exec_lo, exec_lo, s4
	s_waitcnt_vscnt null, 0x0
	s_barrier
	buffer_gl0_inv
	s_clause 0x1
	buffer_load_dword v5, off, s[0:3], 0 offset:112
	buffer_load_dword v6, off, s[0:3], 0 offset:116
	s_mov_b32 s4, exec_lo
	s_waitcnt vmcnt(0)
	ds_write_b64 v4, v[5:6]
	s_waitcnt lgkmcnt(0)
	s_barrier
	buffer_gl0_inv
	v_cmpx_gt_u32_e32 14, v0
	s_cbranch_execz .LBB58_71
; %bb.68:
	v_add_nc_u32_e32 v5, -1, v0
	v_add_nc_u32_e32 v6, 0x1e0, v3
	v_mov_b32_e32 v7, v3
	v_mov_b32_e32 v2, 0
	v_mov_b32_e32 v8, 0
	s_mov_b32 s5, 0
	.p2align	6
.LBB58_69:                              ; =>This Inner Loop Header: Depth=1
	s_clause 0x1
	buffer_load_dword v11, v7, s[0:3], 0 offen offset:4
	buffer_load_dword v12, v7, s[0:3], 0 offen
	ds_read_b64 v[9:10], v6
	v_add_nc_u32_e32 v5, 1, v5
	v_add_nc_u32_e32 v6, 8, v6
	;; [unrolled: 1-line block ×3, first 2 shown]
	v_cmp_lt_u32_e32 vcc_lo, 12, v5
	s_or_b32 s5, vcc_lo, s5
	s_waitcnt vmcnt(1) lgkmcnt(0)
	v_mul_f32_e32 v131, v10, v11
	v_mul_f32_e32 v11, v9, v11
	s_waitcnt vmcnt(0)
	v_fma_f32 v9, v9, v12, -v131
	v_fmac_f32_e32 v11, v10, v12
	v_add_f32_e32 v8, v8, v9
	v_add_f32_e32 v2, v2, v11
	s_andn2_b32 exec_lo, exec_lo, s5
	s_cbranch_execnz .LBB58_69
; %bb.70:
	s_or_b32 exec_lo, exec_lo, s5
	v_mov_b32_e32 v5, 0
	ds_read_b64 v[5:6], v5 offset:112
	s_waitcnt lgkmcnt(0)
	v_mul_f32_e32 v7, v2, v6
	v_mul_f32_e32 v6, v8, v6
	v_fma_f32 v7, v8, v5, -v7
	v_fmac_f32_e32 v6, v2, v5
	buffer_store_dword v7, off, s[0:3], 0 offset:112
	buffer_store_dword v6, off, s[0:3], 0 offset:116
.LBB58_71:
	s_or_b32 exec_lo, exec_lo, s4
	s_waitcnt_vscnt null, 0x0
	s_barrier
	buffer_gl0_inv
	s_clause 0x1
	buffer_load_dword v5, off, s[0:3], 0 offset:120
	buffer_load_dword v6, off, s[0:3], 0 offset:124
	s_mov_b32 s4, exec_lo
	s_waitcnt vmcnt(0)
	ds_write_b64 v4, v[5:6]
	s_waitcnt lgkmcnt(0)
	s_barrier
	buffer_gl0_inv
	v_cmpx_gt_u32_e32 15, v0
	s_cbranch_execz .LBB58_75
; %bb.72:
	v_add_nc_u32_e32 v5, -1, v0
	v_add_nc_u32_e32 v6, 0x1e0, v3
	v_mov_b32_e32 v7, v3
	v_mov_b32_e32 v2, 0
	;; [unrolled: 1-line block ×3, first 2 shown]
	s_mov_b32 s5, 0
	.p2align	6
.LBB58_73:                              ; =>This Inner Loop Header: Depth=1
	s_clause 0x1
	buffer_load_dword v11, v7, s[0:3], 0 offen offset:4
	buffer_load_dword v12, v7, s[0:3], 0 offen
	ds_read_b64 v[9:10], v6
	v_add_nc_u32_e32 v5, 1, v5
	v_add_nc_u32_e32 v6, 8, v6
	;; [unrolled: 1-line block ×3, first 2 shown]
	v_cmp_lt_u32_e32 vcc_lo, 13, v5
	s_or_b32 s5, vcc_lo, s5
	s_waitcnt vmcnt(1) lgkmcnt(0)
	v_mul_f32_e32 v131, v10, v11
	v_mul_f32_e32 v11, v9, v11
	s_waitcnt vmcnt(0)
	v_fma_f32 v9, v9, v12, -v131
	v_fmac_f32_e32 v11, v10, v12
	v_add_f32_e32 v8, v8, v9
	v_add_f32_e32 v2, v2, v11
	s_andn2_b32 exec_lo, exec_lo, s5
	s_cbranch_execnz .LBB58_73
; %bb.74:
	s_or_b32 exec_lo, exec_lo, s5
	v_mov_b32_e32 v5, 0
	ds_read_b64 v[5:6], v5 offset:120
	s_waitcnt lgkmcnt(0)
	v_mul_f32_e32 v7, v2, v6
	v_mul_f32_e32 v6, v8, v6
	v_fma_f32 v7, v8, v5, -v7
	v_fmac_f32_e32 v6, v2, v5
	buffer_store_dword v7, off, s[0:3], 0 offset:120
	buffer_store_dword v6, off, s[0:3], 0 offset:124
.LBB58_75:
	s_or_b32 exec_lo, exec_lo, s4
	s_waitcnt_vscnt null, 0x0
	s_barrier
	buffer_gl0_inv
	s_clause 0x1
	buffer_load_dword v5, off, s[0:3], 0 offset:128
	buffer_load_dword v6, off, s[0:3], 0 offset:132
	s_mov_b32 s4, exec_lo
	s_waitcnt vmcnt(0)
	ds_write_b64 v4, v[5:6]
	s_waitcnt lgkmcnt(0)
	s_barrier
	buffer_gl0_inv
	v_cmpx_gt_u32_e32 16, v0
	s_cbranch_execz .LBB58_79
; %bb.76:
	v_add_nc_u32_e32 v5, -1, v0
	v_add_nc_u32_e32 v6, 0x1e0, v3
	v_mov_b32_e32 v7, v3
	v_mov_b32_e32 v2, 0
	;; [unrolled: 1-line block ×3, first 2 shown]
	s_mov_b32 s5, 0
	.p2align	6
.LBB58_77:                              ; =>This Inner Loop Header: Depth=1
	s_clause 0x1
	buffer_load_dword v11, v7, s[0:3], 0 offen offset:4
	buffer_load_dword v12, v7, s[0:3], 0 offen
	ds_read_b64 v[9:10], v6
	v_add_nc_u32_e32 v5, 1, v5
	v_add_nc_u32_e32 v6, 8, v6
	;; [unrolled: 1-line block ×3, first 2 shown]
	v_cmp_lt_u32_e32 vcc_lo, 14, v5
	s_or_b32 s5, vcc_lo, s5
	s_waitcnt vmcnt(1) lgkmcnt(0)
	v_mul_f32_e32 v131, v10, v11
	v_mul_f32_e32 v11, v9, v11
	s_waitcnt vmcnt(0)
	v_fma_f32 v9, v9, v12, -v131
	v_fmac_f32_e32 v11, v10, v12
	v_add_f32_e32 v8, v8, v9
	v_add_f32_e32 v2, v2, v11
	s_andn2_b32 exec_lo, exec_lo, s5
	s_cbranch_execnz .LBB58_77
; %bb.78:
	s_or_b32 exec_lo, exec_lo, s5
	v_mov_b32_e32 v5, 0
	ds_read_b64 v[5:6], v5 offset:128
	s_waitcnt lgkmcnt(0)
	v_mul_f32_e32 v7, v2, v6
	v_mul_f32_e32 v6, v8, v6
	v_fma_f32 v7, v8, v5, -v7
	v_fmac_f32_e32 v6, v2, v5
	buffer_store_dword v7, off, s[0:3], 0 offset:128
	buffer_store_dword v6, off, s[0:3], 0 offset:132
.LBB58_79:
	s_or_b32 exec_lo, exec_lo, s4
	s_waitcnt_vscnt null, 0x0
	s_barrier
	buffer_gl0_inv
	s_clause 0x1
	buffer_load_dword v5, off, s[0:3], 0 offset:136
	buffer_load_dword v6, off, s[0:3], 0 offset:140
	s_mov_b32 s4, exec_lo
	s_waitcnt vmcnt(0)
	ds_write_b64 v4, v[5:6]
	s_waitcnt lgkmcnt(0)
	s_barrier
	buffer_gl0_inv
	v_cmpx_gt_u32_e32 17, v0
	s_cbranch_execz .LBB58_83
; %bb.80:
	v_add_nc_u32_e32 v5, -1, v0
	v_add_nc_u32_e32 v6, 0x1e0, v3
	v_mov_b32_e32 v7, v3
	v_mov_b32_e32 v2, 0
	;; [unrolled: 1-line block ×3, first 2 shown]
	s_mov_b32 s5, 0
	.p2align	6
.LBB58_81:                              ; =>This Inner Loop Header: Depth=1
	s_clause 0x1
	buffer_load_dword v11, v7, s[0:3], 0 offen offset:4
	buffer_load_dword v12, v7, s[0:3], 0 offen
	ds_read_b64 v[9:10], v6
	v_add_nc_u32_e32 v5, 1, v5
	v_add_nc_u32_e32 v6, 8, v6
	;; [unrolled: 1-line block ×3, first 2 shown]
	v_cmp_lt_u32_e32 vcc_lo, 15, v5
	s_or_b32 s5, vcc_lo, s5
	s_waitcnt vmcnt(1) lgkmcnt(0)
	v_mul_f32_e32 v131, v10, v11
	v_mul_f32_e32 v11, v9, v11
	s_waitcnt vmcnt(0)
	v_fma_f32 v9, v9, v12, -v131
	v_fmac_f32_e32 v11, v10, v12
	v_add_f32_e32 v8, v8, v9
	v_add_f32_e32 v2, v2, v11
	s_andn2_b32 exec_lo, exec_lo, s5
	s_cbranch_execnz .LBB58_81
; %bb.82:
	s_or_b32 exec_lo, exec_lo, s5
	v_mov_b32_e32 v5, 0
	ds_read_b64 v[5:6], v5 offset:136
	s_waitcnt lgkmcnt(0)
	v_mul_f32_e32 v7, v2, v6
	v_mul_f32_e32 v6, v8, v6
	v_fma_f32 v7, v8, v5, -v7
	v_fmac_f32_e32 v6, v2, v5
	buffer_store_dword v7, off, s[0:3], 0 offset:136
	buffer_store_dword v6, off, s[0:3], 0 offset:140
.LBB58_83:
	s_or_b32 exec_lo, exec_lo, s4
	s_waitcnt_vscnt null, 0x0
	s_barrier
	buffer_gl0_inv
	s_clause 0x1
	buffer_load_dword v5, off, s[0:3], 0 offset:144
	buffer_load_dword v6, off, s[0:3], 0 offset:148
	s_mov_b32 s4, exec_lo
	s_waitcnt vmcnt(0)
	ds_write_b64 v4, v[5:6]
	s_waitcnt lgkmcnt(0)
	s_barrier
	buffer_gl0_inv
	v_cmpx_gt_u32_e32 18, v0
	s_cbranch_execz .LBB58_87
; %bb.84:
	v_add_nc_u32_e32 v5, -1, v0
	v_add_nc_u32_e32 v6, 0x1e0, v3
	v_mov_b32_e32 v7, v3
	v_mov_b32_e32 v2, 0
	;; [unrolled: 1-line block ×3, first 2 shown]
	s_mov_b32 s5, 0
	.p2align	6
.LBB58_85:                              ; =>This Inner Loop Header: Depth=1
	s_clause 0x1
	buffer_load_dword v11, v7, s[0:3], 0 offen offset:4
	buffer_load_dword v12, v7, s[0:3], 0 offen
	ds_read_b64 v[9:10], v6
	v_add_nc_u32_e32 v5, 1, v5
	v_add_nc_u32_e32 v6, 8, v6
	;; [unrolled: 1-line block ×3, first 2 shown]
	v_cmp_lt_u32_e32 vcc_lo, 16, v5
	s_or_b32 s5, vcc_lo, s5
	s_waitcnt vmcnt(1) lgkmcnt(0)
	v_mul_f32_e32 v131, v10, v11
	v_mul_f32_e32 v11, v9, v11
	s_waitcnt vmcnt(0)
	v_fma_f32 v9, v9, v12, -v131
	v_fmac_f32_e32 v11, v10, v12
	v_add_f32_e32 v8, v8, v9
	v_add_f32_e32 v2, v2, v11
	s_andn2_b32 exec_lo, exec_lo, s5
	s_cbranch_execnz .LBB58_85
; %bb.86:
	s_or_b32 exec_lo, exec_lo, s5
	v_mov_b32_e32 v5, 0
	ds_read_b64 v[5:6], v5 offset:144
	s_waitcnt lgkmcnt(0)
	v_mul_f32_e32 v7, v2, v6
	v_mul_f32_e32 v6, v8, v6
	v_fma_f32 v7, v8, v5, -v7
	v_fmac_f32_e32 v6, v2, v5
	buffer_store_dword v7, off, s[0:3], 0 offset:144
	buffer_store_dword v6, off, s[0:3], 0 offset:148
.LBB58_87:
	s_or_b32 exec_lo, exec_lo, s4
	s_waitcnt_vscnt null, 0x0
	s_barrier
	buffer_gl0_inv
	s_clause 0x1
	buffer_load_dword v5, off, s[0:3], 0 offset:152
	buffer_load_dword v6, off, s[0:3], 0 offset:156
	s_mov_b32 s4, exec_lo
	s_waitcnt vmcnt(0)
	ds_write_b64 v4, v[5:6]
	s_waitcnt lgkmcnt(0)
	s_barrier
	buffer_gl0_inv
	v_cmpx_gt_u32_e32 19, v0
	s_cbranch_execz .LBB58_91
; %bb.88:
	v_add_nc_u32_e32 v5, -1, v0
	v_add_nc_u32_e32 v6, 0x1e0, v3
	v_mov_b32_e32 v7, v3
	v_mov_b32_e32 v2, 0
	;; [unrolled: 1-line block ×3, first 2 shown]
	s_mov_b32 s5, 0
	.p2align	6
.LBB58_89:                              ; =>This Inner Loop Header: Depth=1
	s_clause 0x1
	buffer_load_dword v11, v7, s[0:3], 0 offen offset:4
	buffer_load_dword v12, v7, s[0:3], 0 offen
	ds_read_b64 v[9:10], v6
	v_add_nc_u32_e32 v5, 1, v5
	v_add_nc_u32_e32 v6, 8, v6
	;; [unrolled: 1-line block ×3, first 2 shown]
	v_cmp_lt_u32_e32 vcc_lo, 17, v5
	s_or_b32 s5, vcc_lo, s5
	s_waitcnt vmcnt(1) lgkmcnt(0)
	v_mul_f32_e32 v131, v10, v11
	v_mul_f32_e32 v11, v9, v11
	s_waitcnt vmcnt(0)
	v_fma_f32 v9, v9, v12, -v131
	v_fmac_f32_e32 v11, v10, v12
	v_add_f32_e32 v8, v8, v9
	v_add_f32_e32 v2, v2, v11
	s_andn2_b32 exec_lo, exec_lo, s5
	s_cbranch_execnz .LBB58_89
; %bb.90:
	s_or_b32 exec_lo, exec_lo, s5
	v_mov_b32_e32 v5, 0
	ds_read_b64 v[5:6], v5 offset:152
	s_waitcnt lgkmcnt(0)
	v_mul_f32_e32 v7, v2, v6
	v_mul_f32_e32 v6, v8, v6
	v_fma_f32 v7, v8, v5, -v7
	v_fmac_f32_e32 v6, v2, v5
	buffer_store_dword v7, off, s[0:3], 0 offset:152
	buffer_store_dword v6, off, s[0:3], 0 offset:156
.LBB58_91:
	s_or_b32 exec_lo, exec_lo, s4
	s_waitcnt_vscnt null, 0x0
	s_barrier
	buffer_gl0_inv
	s_clause 0x1
	buffer_load_dword v5, off, s[0:3], 0 offset:160
	buffer_load_dword v6, off, s[0:3], 0 offset:164
	s_mov_b32 s4, exec_lo
	s_waitcnt vmcnt(0)
	ds_write_b64 v4, v[5:6]
	s_waitcnt lgkmcnt(0)
	s_barrier
	buffer_gl0_inv
	v_cmpx_gt_u32_e32 20, v0
	s_cbranch_execz .LBB58_95
; %bb.92:
	v_add_nc_u32_e32 v5, -1, v0
	v_add_nc_u32_e32 v6, 0x1e0, v3
	v_mov_b32_e32 v7, v3
	v_mov_b32_e32 v2, 0
	;; [unrolled: 1-line block ×3, first 2 shown]
	s_mov_b32 s5, 0
	.p2align	6
.LBB58_93:                              ; =>This Inner Loop Header: Depth=1
	s_clause 0x1
	buffer_load_dword v11, v7, s[0:3], 0 offen offset:4
	buffer_load_dword v12, v7, s[0:3], 0 offen
	ds_read_b64 v[9:10], v6
	v_add_nc_u32_e32 v5, 1, v5
	v_add_nc_u32_e32 v6, 8, v6
	;; [unrolled: 1-line block ×3, first 2 shown]
	v_cmp_lt_u32_e32 vcc_lo, 18, v5
	s_or_b32 s5, vcc_lo, s5
	s_waitcnt vmcnt(1) lgkmcnt(0)
	v_mul_f32_e32 v131, v10, v11
	v_mul_f32_e32 v11, v9, v11
	s_waitcnt vmcnt(0)
	v_fma_f32 v9, v9, v12, -v131
	v_fmac_f32_e32 v11, v10, v12
	v_add_f32_e32 v8, v8, v9
	v_add_f32_e32 v2, v2, v11
	s_andn2_b32 exec_lo, exec_lo, s5
	s_cbranch_execnz .LBB58_93
; %bb.94:
	s_or_b32 exec_lo, exec_lo, s5
	v_mov_b32_e32 v5, 0
	ds_read_b64 v[5:6], v5 offset:160
	s_waitcnt lgkmcnt(0)
	v_mul_f32_e32 v7, v2, v6
	v_mul_f32_e32 v6, v8, v6
	v_fma_f32 v7, v8, v5, -v7
	v_fmac_f32_e32 v6, v2, v5
	buffer_store_dword v7, off, s[0:3], 0 offset:160
	buffer_store_dword v6, off, s[0:3], 0 offset:164
.LBB58_95:
	s_or_b32 exec_lo, exec_lo, s4
	s_waitcnt_vscnt null, 0x0
	s_barrier
	buffer_gl0_inv
	s_clause 0x1
	buffer_load_dword v5, off, s[0:3], 0 offset:168
	buffer_load_dword v6, off, s[0:3], 0 offset:172
	s_mov_b32 s4, exec_lo
	s_waitcnt vmcnt(0)
	ds_write_b64 v4, v[5:6]
	s_waitcnt lgkmcnt(0)
	s_barrier
	buffer_gl0_inv
	v_cmpx_gt_u32_e32 21, v0
	s_cbranch_execz .LBB58_99
; %bb.96:
	v_add_nc_u32_e32 v5, -1, v0
	v_add_nc_u32_e32 v6, 0x1e0, v3
	v_mov_b32_e32 v7, v3
	v_mov_b32_e32 v2, 0
	;; [unrolled: 1-line block ×3, first 2 shown]
	s_mov_b32 s5, 0
	.p2align	6
.LBB58_97:                              ; =>This Inner Loop Header: Depth=1
	s_clause 0x1
	buffer_load_dword v11, v7, s[0:3], 0 offen offset:4
	buffer_load_dword v12, v7, s[0:3], 0 offen
	ds_read_b64 v[9:10], v6
	v_add_nc_u32_e32 v5, 1, v5
	v_add_nc_u32_e32 v6, 8, v6
	;; [unrolled: 1-line block ×3, first 2 shown]
	v_cmp_lt_u32_e32 vcc_lo, 19, v5
	s_or_b32 s5, vcc_lo, s5
	s_waitcnt vmcnt(1) lgkmcnt(0)
	v_mul_f32_e32 v131, v10, v11
	v_mul_f32_e32 v11, v9, v11
	s_waitcnt vmcnt(0)
	v_fma_f32 v9, v9, v12, -v131
	v_fmac_f32_e32 v11, v10, v12
	v_add_f32_e32 v8, v8, v9
	v_add_f32_e32 v2, v2, v11
	s_andn2_b32 exec_lo, exec_lo, s5
	s_cbranch_execnz .LBB58_97
; %bb.98:
	s_or_b32 exec_lo, exec_lo, s5
	v_mov_b32_e32 v5, 0
	ds_read_b64 v[5:6], v5 offset:168
	s_waitcnt lgkmcnt(0)
	v_mul_f32_e32 v7, v2, v6
	v_mul_f32_e32 v6, v8, v6
	v_fma_f32 v7, v8, v5, -v7
	v_fmac_f32_e32 v6, v2, v5
	buffer_store_dword v7, off, s[0:3], 0 offset:168
	buffer_store_dword v6, off, s[0:3], 0 offset:172
.LBB58_99:
	s_or_b32 exec_lo, exec_lo, s4
	s_waitcnt_vscnt null, 0x0
	s_barrier
	buffer_gl0_inv
	s_clause 0x1
	buffer_load_dword v5, off, s[0:3], 0 offset:176
	buffer_load_dword v6, off, s[0:3], 0 offset:180
	s_mov_b32 s4, exec_lo
	s_waitcnt vmcnt(0)
	ds_write_b64 v4, v[5:6]
	s_waitcnt lgkmcnt(0)
	s_barrier
	buffer_gl0_inv
	v_cmpx_gt_u32_e32 22, v0
	s_cbranch_execz .LBB58_103
; %bb.100:
	v_add_nc_u32_e32 v5, -1, v0
	v_add_nc_u32_e32 v6, 0x1e0, v3
	v_mov_b32_e32 v7, v3
	v_mov_b32_e32 v2, 0
	;; [unrolled: 1-line block ×3, first 2 shown]
	s_mov_b32 s5, 0
	.p2align	6
.LBB58_101:                             ; =>This Inner Loop Header: Depth=1
	s_clause 0x1
	buffer_load_dword v11, v7, s[0:3], 0 offen offset:4
	buffer_load_dword v12, v7, s[0:3], 0 offen
	ds_read_b64 v[9:10], v6
	v_add_nc_u32_e32 v5, 1, v5
	v_add_nc_u32_e32 v6, 8, v6
	;; [unrolled: 1-line block ×3, first 2 shown]
	v_cmp_lt_u32_e32 vcc_lo, 20, v5
	s_or_b32 s5, vcc_lo, s5
	s_waitcnt vmcnt(1) lgkmcnt(0)
	v_mul_f32_e32 v131, v10, v11
	v_mul_f32_e32 v11, v9, v11
	s_waitcnt vmcnt(0)
	v_fma_f32 v9, v9, v12, -v131
	v_fmac_f32_e32 v11, v10, v12
	v_add_f32_e32 v8, v8, v9
	v_add_f32_e32 v2, v2, v11
	s_andn2_b32 exec_lo, exec_lo, s5
	s_cbranch_execnz .LBB58_101
; %bb.102:
	s_or_b32 exec_lo, exec_lo, s5
	v_mov_b32_e32 v5, 0
	ds_read_b64 v[5:6], v5 offset:176
	s_waitcnt lgkmcnt(0)
	v_mul_f32_e32 v7, v2, v6
	v_mul_f32_e32 v6, v8, v6
	v_fma_f32 v7, v8, v5, -v7
	v_fmac_f32_e32 v6, v2, v5
	buffer_store_dword v7, off, s[0:3], 0 offset:176
	buffer_store_dword v6, off, s[0:3], 0 offset:180
.LBB58_103:
	s_or_b32 exec_lo, exec_lo, s4
	s_waitcnt_vscnt null, 0x0
	s_barrier
	buffer_gl0_inv
	s_clause 0x1
	buffer_load_dword v5, off, s[0:3], 0 offset:184
	buffer_load_dword v6, off, s[0:3], 0 offset:188
	s_mov_b32 s4, exec_lo
	s_waitcnt vmcnt(0)
	ds_write_b64 v4, v[5:6]
	s_waitcnt lgkmcnt(0)
	s_barrier
	buffer_gl0_inv
	v_cmpx_gt_u32_e32 23, v0
	s_cbranch_execz .LBB58_107
; %bb.104:
	v_add_nc_u32_e32 v5, -1, v0
	v_add_nc_u32_e32 v6, 0x1e0, v3
	v_mov_b32_e32 v7, v3
	v_mov_b32_e32 v2, 0
	;; [unrolled: 1-line block ×3, first 2 shown]
	s_mov_b32 s5, 0
	.p2align	6
.LBB58_105:                             ; =>This Inner Loop Header: Depth=1
	s_clause 0x1
	buffer_load_dword v11, v7, s[0:3], 0 offen offset:4
	buffer_load_dword v12, v7, s[0:3], 0 offen
	ds_read_b64 v[9:10], v6
	v_add_nc_u32_e32 v5, 1, v5
	v_add_nc_u32_e32 v6, 8, v6
	;; [unrolled: 1-line block ×3, first 2 shown]
	v_cmp_lt_u32_e32 vcc_lo, 21, v5
	s_or_b32 s5, vcc_lo, s5
	s_waitcnt vmcnt(1) lgkmcnt(0)
	v_mul_f32_e32 v131, v10, v11
	v_mul_f32_e32 v11, v9, v11
	s_waitcnt vmcnt(0)
	v_fma_f32 v9, v9, v12, -v131
	v_fmac_f32_e32 v11, v10, v12
	v_add_f32_e32 v8, v8, v9
	v_add_f32_e32 v2, v2, v11
	s_andn2_b32 exec_lo, exec_lo, s5
	s_cbranch_execnz .LBB58_105
; %bb.106:
	s_or_b32 exec_lo, exec_lo, s5
	v_mov_b32_e32 v5, 0
	ds_read_b64 v[5:6], v5 offset:184
	s_waitcnt lgkmcnt(0)
	v_mul_f32_e32 v7, v2, v6
	v_mul_f32_e32 v6, v8, v6
	v_fma_f32 v7, v8, v5, -v7
	v_fmac_f32_e32 v6, v2, v5
	buffer_store_dword v7, off, s[0:3], 0 offset:184
	buffer_store_dword v6, off, s[0:3], 0 offset:188
.LBB58_107:
	s_or_b32 exec_lo, exec_lo, s4
	s_waitcnt_vscnt null, 0x0
	s_barrier
	buffer_gl0_inv
	s_clause 0x1
	buffer_load_dword v5, off, s[0:3], 0 offset:192
	buffer_load_dword v6, off, s[0:3], 0 offset:196
	s_mov_b32 s4, exec_lo
	s_waitcnt vmcnt(0)
	ds_write_b64 v4, v[5:6]
	s_waitcnt lgkmcnt(0)
	s_barrier
	buffer_gl0_inv
	v_cmpx_gt_u32_e32 24, v0
	s_cbranch_execz .LBB58_111
; %bb.108:
	v_add_nc_u32_e32 v5, -1, v0
	v_add_nc_u32_e32 v6, 0x1e0, v3
	v_mov_b32_e32 v7, v3
	v_mov_b32_e32 v2, 0
	;; [unrolled: 1-line block ×3, first 2 shown]
	s_mov_b32 s5, 0
	.p2align	6
.LBB58_109:                             ; =>This Inner Loop Header: Depth=1
	s_clause 0x1
	buffer_load_dword v11, v7, s[0:3], 0 offen offset:4
	buffer_load_dword v12, v7, s[0:3], 0 offen
	ds_read_b64 v[9:10], v6
	v_add_nc_u32_e32 v5, 1, v5
	v_add_nc_u32_e32 v6, 8, v6
	;; [unrolled: 1-line block ×3, first 2 shown]
	v_cmp_lt_u32_e32 vcc_lo, 22, v5
	s_or_b32 s5, vcc_lo, s5
	s_waitcnt vmcnt(1) lgkmcnt(0)
	v_mul_f32_e32 v131, v10, v11
	v_mul_f32_e32 v11, v9, v11
	s_waitcnt vmcnt(0)
	v_fma_f32 v9, v9, v12, -v131
	v_fmac_f32_e32 v11, v10, v12
	v_add_f32_e32 v8, v8, v9
	v_add_f32_e32 v2, v2, v11
	s_andn2_b32 exec_lo, exec_lo, s5
	s_cbranch_execnz .LBB58_109
; %bb.110:
	s_or_b32 exec_lo, exec_lo, s5
	v_mov_b32_e32 v5, 0
	ds_read_b64 v[5:6], v5 offset:192
	s_waitcnt lgkmcnt(0)
	v_mul_f32_e32 v7, v2, v6
	v_mul_f32_e32 v6, v8, v6
	v_fma_f32 v7, v8, v5, -v7
	v_fmac_f32_e32 v6, v2, v5
	buffer_store_dword v7, off, s[0:3], 0 offset:192
	buffer_store_dword v6, off, s[0:3], 0 offset:196
.LBB58_111:
	s_or_b32 exec_lo, exec_lo, s4
	s_waitcnt_vscnt null, 0x0
	s_barrier
	buffer_gl0_inv
	s_clause 0x1
	buffer_load_dword v5, off, s[0:3], 0 offset:200
	buffer_load_dword v6, off, s[0:3], 0 offset:204
	s_mov_b32 s4, exec_lo
	s_waitcnt vmcnt(0)
	ds_write_b64 v4, v[5:6]
	s_waitcnt lgkmcnt(0)
	s_barrier
	buffer_gl0_inv
	v_cmpx_gt_u32_e32 25, v0
	s_cbranch_execz .LBB58_115
; %bb.112:
	v_add_nc_u32_e32 v5, -1, v0
	v_add_nc_u32_e32 v6, 0x1e0, v3
	v_mov_b32_e32 v7, v3
	v_mov_b32_e32 v2, 0
	;; [unrolled: 1-line block ×3, first 2 shown]
	s_mov_b32 s5, 0
	.p2align	6
.LBB58_113:                             ; =>This Inner Loop Header: Depth=1
	s_clause 0x1
	buffer_load_dword v11, v7, s[0:3], 0 offen offset:4
	buffer_load_dword v12, v7, s[0:3], 0 offen
	ds_read_b64 v[9:10], v6
	v_add_nc_u32_e32 v5, 1, v5
	v_add_nc_u32_e32 v6, 8, v6
	;; [unrolled: 1-line block ×3, first 2 shown]
	v_cmp_lt_u32_e32 vcc_lo, 23, v5
	s_or_b32 s5, vcc_lo, s5
	s_waitcnt vmcnt(1) lgkmcnt(0)
	v_mul_f32_e32 v131, v10, v11
	v_mul_f32_e32 v11, v9, v11
	s_waitcnt vmcnt(0)
	v_fma_f32 v9, v9, v12, -v131
	v_fmac_f32_e32 v11, v10, v12
	v_add_f32_e32 v8, v8, v9
	v_add_f32_e32 v2, v2, v11
	s_andn2_b32 exec_lo, exec_lo, s5
	s_cbranch_execnz .LBB58_113
; %bb.114:
	s_or_b32 exec_lo, exec_lo, s5
	v_mov_b32_e32 v5, 0
	ds_read_b64 v[5:6], v5 offset:200
	s_waitcnt lgkmcnt(0)
	v_mul_f32_e32 v7, v2, v6
	v_mul_f32_e32 v6, v8, v6
	v_fma_f32 v7, v8, v5, -v7
	v_fmac_f32_e32 v6, v2, v5
	buffer_store_dword v7, off, s[0:3], 0 offset:200
	buffer_store_dword v6, off, s[0:3], 0 offset:204
.LBB58_115:
	s_or_b32 exec_lo, exec_lo, s4
	s_waitcnt_vscnt null, 0x0
	s_barrier
	buffer_gl0_inv
	s_clause 0x1
	buffer_load_dword v5, off, s[0:3], 0 offset:208
	buffer_load_dword v6, off, s[0:3], 0 offset:212
	s_mov_b32 s4, exec_lo
	s_waitcnt vmcnt(0)
	ds_write_b64 v4, v[5:6]
	s_waitcnt lgkmcnt(0)
	s_barrier
	buffer_gl0_inv
	v_cmpx_gt_u32_e32 26, v0
	s_cbranch_execz .LBB58_119
; %bb.116:
	v_add_nc_u32_e32 v5, -1, v0
	v_add_nc_u32_e32 v6, 0x1e0, v3
	v_mov_b32_e32 v7, v3
	v_mov_b32_e32 v2, 0
	;; [unrolled: 1-line block ×3, first 2 shown]
	s_mov_b32 s5, 0
	.p2align	6
.LBB58_117:                             ; =>This Inner Loop Header: Depth=1
	s_clause 0x1
	buffer_load_dword v11, v7, s[0:3], 0 offen offset:4
	buffer_load_dword v12, v7, s[0:3], 0 offen
	ds_read_b64 v[9:10], v6
	v_add_nc_u32_e32 v5, 1, v5
	v_add_nc_u32_e32 v6, 8, v6
	;; [unrolled: 1-line block ×3, first 2 shown]
	v_cmp_lt_u32_e32 vcc_lo, 24, v5
	s_or_b32 s5, vcc_lo, s5
	s_waitcnt vmcnt(1) lgkmcnt(0)
	v_mul_f32_e32 v131, v10, v11
	v_mul_f32_e32 v11, v9, v11
	s_waitcnt vmcnt(0)
	v_fma_f32 v9, v9, v12, -v131
	v_fmac_f32_e32 v11, v10, v12
	v_add_f32_e32 v8, v8, v9
	v_add_f32_e32 v2, v2, v11
	s_andn2_b32 exec_lo, exec_lo, s5
	s_cbranch_execnz .LBB58_117
; %bb.118:
	s_or_b32 exec_lo, exec_lo, s5
	v_mov_b32_e32 v5, 0
	ds_read_b64 v[5:6], v5 offset:208
	s_waitcnt lgkmcnt(0)
	v_mul_f32_e32 v7, v2, v6
	v_mul_f32_e32 v6, v8, v6
	v_fma_f32 v7, v8, v5, -v7
	v_fmac_f32_e32 v6, v2, v5
	buffer_store_dword v7, off, s[0:3], 0 offset:208
	buffer_store_dword v6, off, s[0:3], 0 offset:212
.LBB58_119:
	s_or_b32 exec_lo, exec_lo, s4
	s_waitcnt_vscnt null, 0x0
	s_barrier
	buffer_gl0_inv
	s_clause 0x1
	buffer_load_dword v5, off, s[0:3], 0 offset:216
	buffer_load_dword v6, off, s[0:3], 0 offset:220
	s_mov_b32 s4, exec_lo
	s_waitcnt vmcnt(0)
	ds_write_b64 v4, v[5:6]
	s_waitcnt lgkmcnt(0)
	s_barrier
	buffer_gl0_inv
	v_cmpx_gt_u32_e32 27, v0
	s_cbranch_execz .LBB58_123
; %bb.120:
	v_add_nc_u32_e32 v5, -1, v0
	v_add_nc_u32_e32 v6, 0x1e0, v3
	v_mov_b32_e32 v7, v3
	v_mov_b32_e32 v2, 0
	v_mov_b32_e32 v8, 0
	s_mov_b32 s5, 0
	.p2align	6
.LBB58_121:                             ; =>This Inner Loop Header: Depth=1
	s_clause 0x1
	buffer_load_dword v11, v7, s[0:3], 0 offen offset:4
	buffer_load_dword v12, v7, s[0:3], 0 offen
	ds_read_b64 v[9:10], v6
	v_add_nc_u32_e32 v5, 1, v5
	v_add_nc_u32_e32 v6, 8, v6
	;; [unrolled: 1-line block ×3, first 2 shown]
	v_cmp_lt_u32_e32 vcc_lo, 25, v5
	s_or_b32 s5, vcc_lo, s5
	s_waitcnt vmcnt(1) lgkmcnt(0)
	v_mul_f32_e32 v131, v10, v11
	v_mul_f32_e32 v11, v9, v11
	s_waitcnt vmcnt(0)
	v_fma_f32 v9, v9, v12, -v131
	v_fmac_f32_e32 v11, v10, v12
	v_add_f32_e32 v8, v8, v9
	v_add_f32_e32 v2, v2, v11
	s_andn2_b32 exec_lo, exec_lo, s5
	s_cbranch_execnz .LBB58_121
; %bb.122:
	s_or_b32 exec_lo, exec_lo, s5
	v_mov_b32_e32 v5, 0
	ds_read_b64 v[5:6], v5 offset:216
	s_waitcnt lgkmcnt(0)
	v_mul_f32_e32 v7, v2, v6
	v_mul_f32_e32 v6, v8, v6
	v_fma_f32 v7, v8, v5, -v7
	v_fmac_f32_e32 v6, v2, v5
	buffer_store_dword v7, off, s[0:3], 0 offset:216
	buffer_store_dword v6, off, s[0:3], 0 offset:220
.LBB58_123:
	s_or_b32 exec_lo, exec_lo, s4
	s_waitcnt_vscnt null, 0x0
	s_barrier
	buffer_gl0_inv
	s_clause 0x1
	buffer_load_dword v5, off, s[0:3], 0 offset:224
	buffer_load_dword v6, off, s[0:3], 0 offset:228
	s_mov_b32 s4, exec_lo
	s_waitcnt vmcnt(0)
	ds_write_b64 v4, v[5:6]
	s_waitcnt lgkmcnt(0)
	s_barrier
	buffer_gl0_inv
	v_cmpx_gt_u32_e32 28, v0
	s_cbranch_execz .LBB58_127
; %bb.124:
	v_add_nc_u32_e32 v5, -1, v0
	v_add_nc_u32_e32 v6, 0x1e0, v3
	v_mov_b32_e32 v7, v3
	v_mov_b32_e32 v2, 0
	;; [unrolled: 1-line block ×3, first 2 shown]
	s_mov_b32 s5, 0
	.p2align	6
.LBB58_125:                             ; =>This Inner Loop Header: Depth=1
	s_clause 0x1
	buffer_load_dword v11, v7, s[0:3], 0 offen offset:4
	buffer_load_dword v12, v7, s[0:3], 0 offen
	ds_read_b64 v[9:10], v6
	v_add_nc_u32_e32 v5, 1, v5
	v_add_nc_u32_e32 v6, 8, v6
	;; [unrolled: 1-line block ×3, first 2 shown]
	v_cmp_lt_u32_e32 vcc_lo, 26, v5
	s_or_b32 s5, vcc_lo, s5
	s_waitcnt vmcnt(1) lgkmcnt(0)
	v_mul_f32_e32 v131, v10, v11
	v_mul_f32_e32 v11, v9, v11
	s_waitcnt vmcnt(0)
	v_fma_f32 v9, v9, v12, -v131
	v_fmac_f32_e32 v11, v10, v12
	v_add_f32_e32 v8, v8, v9
	v_add_f32_e32 v2, v2, v11
	s_andn2_b32 exec_lo, exec_lo, s5
	s_cbranch_execnz .LBB58_125
; %bb.126:
	s_or_b32 exec_lo, exec_lo, s5
	v_mov_b32_e32 v5, 0
	ds_read_b64 v[5:6], v5 offset:224
	s_waitcnt lgkmcnt(0)
	v_mul_f32_e32 v7, v2, v6
	v_mul_f32_e32 v6, v8, v6
	v_fma_f32 v7, v8, v5, -v7
	v_fmac_f32_e32 v6, v2, v5
	buffer_store_dword v7, off, s[0:3], 0 offset:224
	buffer_store_dword v6, off, s[0:3], 0 offset:228
.LBB58_127:
	s_or_b32 exec_lo, exec_lo, s4
	s_waitcnt_vscnt null, 0x0
	s_barrier
	buffer_gl0_inv
	s_clause 0x1
	buffer_load_dword v5, off, s[0:3], 0 offset:232
	buffer_load_dword v6, off, s[0:3], 0 offset:236
	s_mov_b32 s4, exec_lo
	s_waitcnt vmcnt(0)
	ds_write_b64 v4, v[5:6]
	s_waitcnt lgkmcnt(0)
	s_barrier
	buffer_gl0_inv
	v_cmpx_gt_u32_e32 29, v0
	s_cbranch_execz .LBB58_131
; %bb.128:
	v_add_nc_u32_e32 v5, -1, v0
	v_add_nc_u32_e32 v6, 0x1e0, v3
	v_mov_b32_e32 v7, v3
	v_mov_b32_e32 v2, 0
	;; [unrolled: 1-line block ×3, first 2 shown]
	s_mov_b32 s5, 0
	.p2align	6
.LBB58_129:                             ; =>This Inner Loop Header: Depth=1
	s_clause 0x1
	buffer_load_dword v11, v7, s[0:3], 0 offen offset:4
	buffer_load_dword v12, v7, s[0:3], 0 offen
	ds_read_b64 v[9:10], v6
	v_add_nc_u32_e32 v5, 1, v5
	v_add_nc_u32_e32 v6, 8, v6
	;; [unrolled: 1-line block ×3, first 2 shown]
	v_cmp_lt_u32_e32 vcc_lo, 27, v5
	s_or_b32 s5, vcc_lo, s5
	s_waitcnt vmcnt(1) lgkmcnt(0)
	v_mul_f32_e32 v131, v10, v11
	v_mul_f32_e32 v11, v9, v11
	s_waitcnt vmcnt(0)
	v_fma_f32 v9, v9, v12, -v131
	v_fmac_f32_e32 v11, v10, v12
	v_add_f32_e32 v8, v8, v9
	v_add_f32_e32 v2, v2, v11
	s_andn2_b32 exec_lo, exec_lo, s5
	s_cbranch_execnz .LBB58_129
; %bb.130:
	s_or_b32 exec_lo, exec_lo, s5
	v_mov_b32_e32 v5, 0
	ds_read_b64 v[5:6], v5 offset:232
	s_waitcnt lgkmcnt(0)
	v_mul_f32_e32 v7, v2, v6
	v_mul_f32_e32 v6, v8, v6
	v_fma_f32 v7, v8, v5, -v7
	v_fmac_f32_e32 v6, v2, v5
	buffer_store_dword v7, off, s[0:3], 0 offset:232
	buffer_store_dword v6, off, s[0:3], 0 offset:236
.LBB58_131:
	s_or_b32 exec_lo, exec_lo, s4
	s_waitcnt_vscnt null, 0x0
	s_barrier
	buffer_gl0_inv
	s_clause 0x1
	buffer_load_dword v5, off, s[0:3], 0 offset:240
	buffer_load_dword v6, off, s[0:3], 0 offset:244
	s_mov_b32 s4, exec_lo
	s_waitcnt vmcnt(0)
	ds_write_b64 v4, v[5:6]
	s_waitcnt lgkmcnt(0)
	s_barrier
	buffer_gl0_inv
	v_cmpx_gt_u32_e32 30, v0
	s_cbranch_execz .LBB58_135
; %bb.132:
	v_add_nc_u32_e32 v5, -1, v0
	v_add_nc_u32_e32 v6, 0x1e0, v3
	v_mov_b32_e32 v7, v3
	v_mov_b32_e32 v2, 0
	;; [unrolled: 1-line block ×3, first 2 shown]
	s_mov_b32 s5, 0
	.p2align	6
.LBB58_133:                             ; =>This Inner Loop Header: Depth=1
	s_clause 0x1
	buffer_load_dword v11, v7, s[0:3], 0 offen offset:4
	buffer_load_dword v12, v7, s[0:3], 0 offen
	ds_read_b64 v[9:10], v6
	v_add_nc_u32_e32 v5, 1, v5
	v_add_nc_u32_e32 v6, 8, v6
	;; [unrolled: 1-line block ×3, first 2 shown]
	v_cmp_lt_u32_e32 vcc_lo, 28, v5
	s_or_b32 s5, vcc_lo, s5
	s_waitcnt vmcnt(1) lgkmcnt(0)
	v_mul_f32_e32 v131, v10, v11
	v_mul_f32_e32 v11, v9, v11
	s_waitcnt vmcnt(0)
	v_fma_f32 v9, v9, v12, -v131
	v_fmac_f32_e32 v11, v10, v12
	v_add_f32_e32 v8, v8, v9
	v_add_f32_e32 v2, v2, v11
	s_andn2_b32 exec_lo, exec_lo, s5
	s_cbranch_execnz .LBB58_133
; %bb.134:
	s_or_b32 exec_lo, exec_lo, s5
	v_mov_b32_e32 v5, 0
	ds_read_b64 v[5:6], v5 offset:240
	s_waitcnt lgkmcnt(0)
	v_mul_f32_e32 v7, v2, v6
	v_mul_f32_e32 v6, v8, v6
	v_fma_f32 v7, v8, v5, -v7
	v_fmac_f32_e32 v6, v2, v5
	buffer_store_dword v7, off, s[0:3], 0 offset:240
	buffer_store_dword v6, off, s[0:3], 0 offset:244
.LBB58_135:
	s_or_b32 exec_lo, exec_lo, s4
	s_waitcnt_vscnt null, 0x0
	s_barrier
	buffer_gl0_inv
	s_clause 0x1
	buffer_load_dword v5, off, s[0:3], 0 offset:248
	buffer_load_dword v6, off, s[0:3], 0 offset:252
	s_mov_b32 s4, exec_lo
	s_waitcnt vmcnt(0)
	ds_write_b64 v4, v[5:6]
	s_waitcnt lgkmcnt(0)
	s_barrier
	buffer_gl0_inv
	v_cmpx_gt_u32_e32 31, v0
	s_cbranch_execz .LBB58_139
; %bb.136:
	v_add_nc_u32_e32 v5, -1, v0
	v_add_nc_u32_e32 v6, 0x1e0, v3
	v_mov_b32_e32 v7, v3
	v_mov_b32_e32 v2, 0
	;; [unrolled: 1-line block ×3, first 2 shown]
	s_mov_b32 s5, 0
	.p2align	6
.LBB58_137:                             ; =>This Inner Loop Header: Depth=1
	s_clause 0x1
	buffer_load_dword v11, v7, s[0:3], 0 offen offset:4
	buffer_load_dword v12, v7, s[0:3], 0 offen
	ds_read_b64 v[9:10], v6
	v_add_nc_u32_e32 v5, 1, v5
	v_add_nc_u32_e32 v6, 8, v6
	v_add_nc_u32_e32 v7, 8, v7
	v_cmp_lt_u32_e32 vcc_lo, 29, v5
	s_or_b32 s5, vcc_lo, s5
	s_waitcnt vmcnt(1) lgkmcnt(0)
	v_mul_f32_e32 v131, v10, v11
	v_mul_f32_e32 v11, v9, v11
	s_waitcnt vmcnt(0)
	v_fma_f32 v9, v9, v12, -v131
	v_fmac_f32_e32 v11, v10, v12
	v_add_f32_e32 v8, v8, v9
	v_add_f32_e32 v2, v2, v11
	s_andn2_b32 exec_lo, exec_lo, s5
	s_cbranch_execnz .LBB58_137
; %bb.138:
	s_or_b32 exec_lo, exec_lo, s5
	v_mov_b32_e32 v5, 0
	ds_read_b64 v[5:6], v5 offset:248
	s_waitcnt lgkmcnt(0)
	v_mul_f32_e32 v7, v2, v6
	v_mul_f32_e32 v6, v8, v6
	v_fma_f32 v7, v8, v5, -v7
	v_fmac_f32_e32 v6, v2, v5
	buffer_store_dword v7, off, s[0:3], 0 offset:248
	buffer_store_dword v6, off, s[0:3], 0 offset:252
.LBB58_139:
	s_or_b32 exec_lo, exec_lo, s4
	s_waitcnt_vscnt null, 0x0
	s_barrier
	buffer_gl0_inv
	s_clause 0x1
	buffer_load_dword v5, off, s[0:3], 0 offset:256
	buffer_load_dword v6, off, s[0:3], 0 offset:260
	s_mov_b32 s4, exec_lo
	s_waitcnt vmcnt(0)
	ds_write_b64 v4, v[5:6]
	s_waitcnt lgkmcnt(0)
	s_barrier
	buffer_gl0_inv
	v_cmpx_gt_u32_e32 32, v0
	s_cbranch_execz .LBB58_143
; %bb.140:
	v_add_nc_u32_e32 v5, -1, v0
	v_add_nc_u32_e32 v6, 0x1e0, v3
	v_mov_b32_e32 v7, v3
	v_mov_b32_e32 v2, 0
	;; [unrolled: 1-line block ×3, first 2 shown]
	s_mov_b32 s5, 0
	.p2align	6
.LBB58_141:                             ; =>This Inner Loop Header: Depth=1
	s_clause 0x1
	buffer_load_dword v11, v7, s[0:3], 0 offen offset:4
	buffer_load_dword v12, v7, s[0:3], 0 offen
	ds_read_b64 v[9:10], v6
	v_add_nc_u32_e32 v5, 1, v5
	v_add_nc_u32_e32 v6, 8, v6
	;; [unrolled: 1-line block ×3, first 2 shown]
	v_cmp_lt_u32_e32 vcc_lo, 30, v5
	s_or_b32 s5, vcc_lo, s5
	s_waitcnt vmcnt(1) lgkmcnt(0)
	v_mul_f32_e32 v131, v10, v11
	v_mul_f32_e32 v11, v9, v11
	s_waitcnt vmcnt(0)
	v_fma_f32 v9, v9, v12, -v131
	v_fmac_f32_e32 v11, v10, v12
	v_add_f32_e32 v8, v8, v9
	v_add_f32_e32 v2, v2, v11
	s_andn2_b32 exec_lo, exec_lo, s5
	s_cbranch_execnz .LBB58_141
; %bb.142:
	s_or_b32 exec_lo, exec_lo, s5
	v_mov_b32_e32 v5, 0
	ds_read_b64 v[5:6], v5 offset:256
	s_waitcnt lgkmcnt(0)
	v_mul_f32_e32 v7, v2, v6
	v_mul_f32_e32 v6, v8, v6
	v_fma_f32 v7, v8, v5, -v7
	v_fmac_f32_e32 v6, v2, v5
	buffer_store_dword v7, off, s[0:3], 0 offset:256
	buffer_store_dword v6, off, s[0:3], 0 offset:260
.LBB58_143:
	s_or_b32 exec_lo, exec_lo, s4
	s_waitcnt_vscnt null, 0x0
	s_barrier
	buffer_gl0_inv
	s_clause 0x1
	buffer_load_dword v5, off, s[0:3], 0 offset:264
	buffer_load_dword v6, off, s[0:3], 0 offset:268
	s_mov_b32 s4, exec_lo
	s_waitcnt vmcnt(0)
	ds_write_b64 v4, v[5:6]
	s_waitcnt lgkmcnt(0)
	s_barrier
	buffer_gl0_inv
	v_cmpx_gt_u32_e32 33, v0
	s_cbranch_execz .LBB58_147
; %bb.144:
	v_add_nc_u32_e32 v5, -1, v0
	v_add_nc_u32_e32 v6, 0x1e0, v3
	v_mov_b32_e32 v7, v3
	v_mov_b32_e32 v2, 0
	;; [unrolled: 1-line block ×3, first 2 shown]
	s_mov_b32 s5, 0
	.p2align	6
.LBB58_145:                             ; =>This Inner Loop Header: Depth=1
	s_clause 0x1
	buffer_load_dword v11, v7, s[0:3], 0 offen offset:4
	buffer_load_dword v12, v7, s[0:3], 0 offen
	ds_read_b64 v[9:10], v6
	v_add_nc_u32_e32 v5, 1, v5
	v_add_nc_u32_e32 v6, 8, v6
	v_add_nc_u32_e32 v7, 8, v7
	v_cmp_lt_u32_e32 vcc_lo, 31, v5
	s_or_b32 s5, vcc_lo, s5
	s_waitcnt vmcnt(1) lgkmcnt(0)
	v_mul_f32_e32 v131, v10, v11
	v_mul_f32_e32 v11, v9, v11
	s_waitcnt vmcnt(0)
	v_fma_f32 v9, v9, v12, -v131
	v_fmac_f32_e32 v11, v10, v12
	v_add_f32_e32 v8, v8, v9
	v_add_f32_e32 v2, v2, v11
	s_andn2_b32 exec_lo, exec_lo, s5
	s_cbranch_execnz .LBB58_145
; %bb.146:
	s_or_b32 exec_lo, exec_lo, s5
	v_mov_b32_e32 v5, 0
	ds_read_b64 v[5:6], v5 offset:264
	s_waitcnt lgkmcnt(0)
	v_mul_f32_e32 v7, v2, v6
	v_mul_f32_e32 v6, v8, v6
	v_fma_f32 v7, v8, v5, -v7
	v_fmac_f32_e32 v6, v2, v5
	buffer_store_dword v7, off, s[0:3], 0 offset:264
	buffer_store_dword v6, off, s[0:3], 0 offset:268
.LBB58_147:
	s_or_b32 exec_lo, exec_lo, s4
	s_waitcnt_vscnt null, 0x0
	s_barrier
	buffer_gl0_inv
	s_clause 0x1
	buffer_load_dword v5, off, s[0:3], 0 offset:272
	buffer_load_dword v6, off, s[0:3], 0 offset:276
	s_mov_b32 s4, exec_lo
	s_waitcnt vmcnt(0)
	ds_write_b64 v4, v[5:6]
	s_waitcnt lgkmcnt(0)
	s_barrier
	buffer_gl0_inv
	v_cmpx_gt_u32_e32 34, v0
	s_cbranch_execz .LBB58_151
; %bb.148:
	v_add_nc_u32_e32 v5, -1, v0
	v_add_nc_u32_e32 v6, 0x1e0, v3
	v_mov_b32_e32 v7, v3
	v_mov_b32_e32 v2, 0
	;; [unrolled: 1-line block ×3, first 2 shown]
	s_mov_b32 s5, 0
	.p2align	6
.LBB58_149:                             ; =>This Inner Loop Header: Depth=1
	s_clause 0x1
	buffer_load_dword v11, v7, s[0:3], 0 offen offset:4
	buffer_load_dword v12, v7, s[0:3], 0 offen
	ds_read_b64 v[9:10], v6
	v_add_nc_u32_e32 v5, 1, v5
	v_add_nc_u32_e32 v6, 8, v6
	;; [unrolled: 1-line block ×3, first 2 shown]
	v_cmp_lt_u32_e32 vcc_lo, 32, v5
	s_or_b32 s5, vcc_lo, s5
	s_waitcnt vmcnt(1) lgkmcnt(0)
	v_mul_f32_e32 v131, v10, v11
	v_mul_f32_e32 v11, v9, v11
	s_waitcnt vmcnt(0)
	v_fma_f32 v9, v9, v12, -v131
	v_fmac_f32_e32 v11, v10, v12
	v_add_f32_e32 v8, v8, v9
	v_add_f32_e32 v2, v2, v11
	s_andn2_b32 exec_lo, exec_lo, s5
	s_cbranch_execnz .LBB58_149
; %bb.150:
	s_or_b32 exec_lo, exec_lo, s5
	v_mov_b32_e32 v5, 0
	ds_read_b64 v[5:6], v5 offset:272
	s_waitcnt lgkmcnt(0)
	v_mul_f32_e32 v7, v2, v6
	v_mul_f32_e32 v6, v8, v6
	v_fma_f32 v7, v8, v5, -v7
	v_fmac_f32_e32 v6, v2, v5
	buffer_store_dword v7, off, s[0:3], 0 offset:272
	buffer_store_dword v6, off, s[0:3], 0 offset:276
.LBB58_151:
	s_or_b32 exec_lo, exec_lo, s4
	s_waitcnt_vscnt null, 0x0
	s_barrier
	buffer_gl0_inv
	s_clause 0x1
	buffer_load_dword v5, off, s[0:3], 0 offset:280
	buffer_load_dword v6, off, s[0:3], 0 offset:284
	s_mov_b32 s4, exec_lo
	s_waitcnt vmcnt(0)
	ds_write_b64 v4, v[5:6]
	s_waitcnt lgkmcnt(0)
	s_barrier
	buffer_gl0_inv
	v_cmpx_gt_u32_e32 35, v0
	s_cbranch_execz .LBB58_155
; %bb.152:
	v_add_nc_u32_e32 v5, -1, v0
	v_add_nc_u32_e32 v6, 0x1e0, v3
	v_mov_b32_e32 v7, v3
	v_mov_b32_e32 v2, 0
	;; [unrolled: 1-line block ×3, first 2 shown]
	s_mov_b32 s5, 0
	.p2align	6
.LBB58_153:                             ; =>This Inner Loop Header: Depth=1
	s_clause 0x1
	buffer_load_dword v11, v7, s[0:3], 0 offen offset:4
	buffer_load_dword v12, v7, s[0:3], 0 offen
	ds_read_b64 v[9:10], v6
	v_add_nc_u32_e32 v5, 1, v5
	v_add_nc_u32_e32 v6, 8, v6
	;; [unrolled: 1-line block ×3, first 2 shown]
	v_cmp_lt_u32_e32 vcc_lo, 33, v5
	s_or_b32 s5, vcc_lo, s5
	s_waitcnt vmcnt(1) lgkmcnt(0)
	v_mul_f32_e32 v131, v10, v11
	v_mul_f32_e32 v11, v9, v11
	s_waitcnt vmcnt(0)
	v_fma_f32 v9, v9, v12, -v131
	v_fmac_f32_e32 v11, v10, v12
	v_add_f32_e32 v8, v8, v9
	v_add_f32_e32 v2, v2, v11
	s_andn2_b32 exec_lo, exec_lo, s5
	s_cbranch_execnz .LBB58_153
; %bb.154:
	s_or_b32 exec_lo, exec_lo, s5
	v_mov_b32_e32 v5, 0
	ds_read_b64 v[5:6], v5 offset:280
	s_waitcnt lgkmcnt(0)
	v_mul_f32_e32 v7, v2, v6
	v_mul_f32_e32 v6, v8, v6
	v_fma_f32 v7, v8, v5, -v7
	v_fmac_f32_e32 v6, v2, v5
	buffer_store_dword v7, off, s[0:3], 0 offset:280
	buffer_store_dword v6, off, s[0:3], 0 offset:284
.LBB58_155:
	s_or_b32 exec_lo, exec_lo, s4
	s_waitcnt_vscnt null, 0x0
	s_barrier
	buffer_gl0_inv
	s_clause 0x1
	buffer_load_dword v5, off, s[0:3], 0 offset:288
	buffer_load_dword v6, off, s[0:3], 0 offset:292
	s_mov_b32 s4, exec_lo
	s_waitcnt vmcnt(0)
	ds_write_b64 v4, v[5:6]
	s_waitcnt lgkmcnt(0)
	s_barrier
	buffer_gl0_inv
	v_cmpx_gt_u32_e32 36, v0
	s_cbranch_execz .LBB58_159
; %bb.156:
	v_add_nc_u32_e32 v5, -1, v0
	v_add_nc_u32_e32 v6, 0x1e0, v3
	v_mov_b32_e32 v7, v3
	v_mov_b32_e32 v2, 0
	v_mov_b32_e32 v8, 0
	s_mov_b32 s5, 0
	.p2align	6
.LBB58_157:                             ; =>This Inner Loop Header: Depth=1
	s_clause 0x1
	buffer_load_dword v11, v7, s[0:3], 0 offen offset:4
	buffer_load_dword v12, v7, s[0:3], 0 offen
	ds_read_b64 v[9:10], v6
	v_add_nc_u32_e32 v5, 1, v5
	v_add_nc_u32_e32 v6, 8, v6
	v_add_nc_u32_e32 v7, 8, v7
	v_cmp_lt_u32_e32 vcc_lo, 34, v5
	s_or_b32 s5, vcc_lo, s5
	s_waitcnt vmcnt(1) lgkmcnt(0)
	v_mul_f32_e32 v131, v10, v11
	v_mul_f32_e32 v11, v9, v11
	s_waitcnt vmcnt(0)
	v_fma_f32 v9, v9, v12, -v131
	v_fmac_f32_e32 v11, v10, v12
	v_add_f32_e32 v8, v8, v9
	v_add_f32_e32 v2, v2, v11
	s_andn2_b32 exec_lo, exec_lo, s5
	s_cbranch_execnz .LBB58_157
; %bb.158:
	s_or_b32 exec_lo, exec_lo, s5
	v_mov_b32_e32 v5, 0
	ds_read_b64 v[5:6], v5 offset:288
	s_waitcnt lgkmcnt(0)
	v_mul_f32_e32 v7, v2, v6
	v_mul_f32_e32 v6, v8, v6
	v_fma_f32 v7, v8, v5, -v7
	v_fmac_f32_e32 v6, v2, v5
	buffer_store_dword v7, off, s[0:3], 0 offset:288
	buffer_store_dword v6, off, s[0:3], 0 offset:292
.LBB58_159:
	s_or_b32 exec_lo, exec_lo, s4
	s_waitcnt_vscnt null, 0x0
	s_barrier
	buffer_gl0_inv
	s_clause 0x1
	buffer_load_dword v5, off, s[0:3], 0 offset:296
	buffer_load_dword v6, off, s[0:3], 0 offset:300
	s_mov_b32 s4, exec_lo
	s_waitcnt vmcnt(0)
	ds_write_b64 v4, v[5:6]
	s_waitcnt lgkmcnt(0)
	s_barrier
	buffer_gl0_inv
	v_cmpx_gt_u32_e32 37, v0
	s_cbranch_execz .LBB58_163
; %bb.160:
	v_add_nc_u32_e32 v5, -1, v0
	v_add_nc_u32_e32 v6, 0x1e0, v3
	v_mov_b32_e32 v7, v3
	v_mov_b32_e32 v2, 0
	;; [unrolled: 1-line block ×3, first 2 shown]
	s_mov_b32 s5, 0
	.p2align	6
.LBB58_161:                             ; =>This Inner Loop Header: Depth=1
	s_clause 0x1
	buffer_load_dword v11, v7, s[0:3], 0 offen offset:4
	buffer_load_dword v12, v7, s[0:3], 0 offen
	ds_read_b64 v[9:10], v6
	v_add_nc_u32_e32 v5, 1, v5
	v_add_nc_u32_e32 v6, 8, v6
	;; [unrolled: 1-line block ×3, first 2 shown]
	v_cmp_lt_u32_e32 vcc_lo, 35, v5
	s_or_b32 s5, vcc_lo, s5
	s_waitcnt vmcnt(1) lgkmcnt(0)
	v_mul_f32_e32 v131, v10, v11
	v_mul_f32_e32 v11, v9, v11
	s_waitcnt vmcnt(0)
	v_fma_f32 v9, v9, v12, -v131
	v_fmac_f32_e32 v11, v10, v12
	v_add_f32_e32 v8, v8, v9
	v_add_f32_e32 v2, v2, v11
	s_andn2_b32 exec_lo, exec_lo, s5
	s_cbranch_execnz .LBB58_161
; %bb.162:
	s_or_b32 exec_lo, exec_lo, s5
	v_mov_b32_e32 v5, 0
	ds_read_b64 v[5:6], v5 offset:296
	s_waitcnt lgkmcnt(0)
	v_mul_f32_e32 v7, v2, v6
	v_mul_f32_e32 v6, v8, v6
	v_fma_f32 v7, v8, v5, -v7
	v_fmac_f32_e32 v6, v2, v5
	buffer_store_dword v7, off, s[0:3], 0 offset:296
	buffer_store_dword v6, off, s[0:3], 0 offset:300
.LBB58_163:
	s_or_b32 exec_lo, exec_lo, s4
	s_waitcnt_vscnt null, 0x0
	s_barrier
	buffer_gl0_inv
	s_clause 0x1
	buffer_load_dword v5, off, s[0:3], 0 offset:304
	buffer_load_dword v6, off, s[0:3], 0 offset:308
	s_mov_b32 s4, exec_lo
	s_waitcnt vmcnt(0)
	ds_write_b64 v4, v[5:6]
	s_waitcnt lgkmcnt(0)
	s_barrier
	buffer_gl0_inv
	v_cmpx_gt_u32_e32 38, v0
	s_cbranch_execz .LBB58_167
; %bb.164:
	v_add_nc_u32_e32 v5, -1, v0
	v_add_nc_u32_e32 v6, 0x1e0, v3
	v_mov_b32_e32 v7, v3
	v_mov_b32_e32 v2, 0
	;; [unrolled: 1-line block ×3, first 2 shown]
	s_mov_b32 s5, 0
	.p2align	6
.LBB58_165:                             ; =>This Inner Loop Header: Depth=1
	s_clause 0x1
	buffer_load_dword v11, v7, s[0:3], 0 offen offset:4
	buffer_load_dword v12, v7, s[0:3], 0 offen
	ds_read_b64 v[9:10], v6
	v_add_nc_u32_e32 v5, 1, v5
	v_add_nc_u32_e32 v6, 8, v6
	;; [unrolled: 1-line block ×3, first 2 shown]
	v_cmp_lt_u32_e32 vcc_lo, 36, v5
	s_or_b32 s5, vcc_lo, s5
	s_waitcnt vmcnt(1) lgkmcnt(0)
	v_mul_f32_e32 v131, v10, v11
	v_mul_f32_e32 v11, v9, v11
	s_waitcnt vmcnt(0)
	v_fma_f32 v9, v9, v12, -v131
	v_fmac_f32_e32 v11, v10, v12
	v_add_f32_e32 v8, v8, v9
	v_add_f32_e32 v2, v2, v11
	s_andn2_b32 exec_lo, exec_lo, s5
	s_cbranch_execnz .LBB58_165
; %bb.166:
	s_or_b32 exec_lo, exec_lo, s5
	v_mov_b32_e32 v5, 0
	ds_read_b64 v[5:6], v5 offset:304
	s_waitcnt lgkmcnt(0)
	v_mul_f32_e32 v7, v2, v6
	v_mul_f32_e32 v6, v8, v6
	v_fma_f32 v7, v8, v5, -v7
	v_fmac_f32_e32 v6, v2, v5
	buffer_store_dword v7, off, s[0:3], 0 offset:304
	buffer_store_dword v6, off, s[0:3], 0 offset:308
.LBB58_167:
	s_or_b32 exec_lo, exec_lo, s4
	s_waitcnt_vscnt null, 0x0
	s_barrier
	buffer_gl0_inv
	s_clause 0x1
	buffer_load_dword v5, off, s[0:3], 0 offset:312
	buffer_load_dword v6, off, s[0:3], 0 offset:316
	s_mov_b32 s4, exec_lo
	s_waitcnt vmcnt(0)
	ds_write_b64 v4, v[5:6]
	s_waitcnt lgkmcnt(0)
	s_barrier
	buffer_gl0_inv
	v_cmpx_gt_u32_e32 39, v0
	s_cbranch_execz .LBB58_171
; %bb.168:
	v_add_nc_u32_e32 v5, -1, v0
	v_add_nc_u32_e32 v6, 0x1e0, v3
	v_mov_b32_e32 v7, v3
	v_mov_b32_e32 v2, 0
	;; [unrolled: 1-line block ×3, first 2 shown]
	s_mov_b32 s5, 0
	.p2align	6
.LBB58_169:                             ; =>This Inner Loop Header: Depth=1
	s_clause 0x1
	buffer_load_dword v11, v7, s[0:3], 0 offen offset:4
	buffer_load_dword v12, v7, s[0:3], 0 offen
	ds_read_b64 v[9:10], v6
	v_add_nc_u32_e32 v5, 1, v5
	v_add_nc_u32_e32 v6, 8, v6
	;; [unrolled: 1-line block ×3, first 2 shown]
	v_cmp_lt_u32_e32 vcc_lo, 37, v5
	s_or_b32 s5, vcc_lo, s5
	s_waitcnt vmcnt(1) lgkmcnt(0)
	v_mul_f32_e32 v131, v10, v11
	v_mul_f32_e32 v11, v9, v11
	s_waitcnt vmcnt(0)
	v_fma_f32 v9, v9, v12, -v131
	v_fmac_f32_e32 v11, v10, v12
	v_add_f32_e32 v8, v8, v9
	v_add_f32_e32 v2, v2, v11
	s_andn2_b32 exec_lo, exec_lo, s5
	s_cbranch_execnz .LBB58_169
; %bb.170:
	s_or_b32 exec_lo, exec_lo, s5
	v_mov_b32_e32 v5, 0
	ds_read_b64 v[5:6], v5 offset:312
	s_waitcnt lgkmcnt(0)
	v_mul_f32_e32 v7, v2, v6
	v_mul_f32_e32 v6, v8, v6
	v_fma_f32 v7, v8, v5, -v7
	v_fmac_f32_e32 v6, v2, v5
	buffer_store_dword v7, off, s[0:3], 0 offset:312
	buffer_store_dword v6, off, s[0:3], 0 offset:316
.LBB58_171:
	s_or_b32 exec_lo, exec_lo, s4
	s_waitcnt_vscnt null, 0x0
	s_barrier
	buffer_gl0_inv
	s_clause 0x1
	buffer_load_dword v5, off, s[0:3], 0 offset:320
	buffer_load_dword v6, off, s[0:3], 0 offset:324
	s_mov_b32 s4, exec_lo
	s_waitcnt vmcnt(0)
	ds_write_b64 v4, v[5:6]
	s_waitcnt lgkmcnt(0)
	s_barrier
	buffer_gl0_inv
	v_cmpx_gt_u32_e32 40, v0
	s_cbranch_execz .LBB58_175
; %bb.172:
	v_add_nc_u32_e32 v5, -1, v0
	v_add_nc_u32_e32 v6, 0x1e0, v3
	v_mov_b32_e32 v7, v3
	v_mov_b32_e32 v2, 0
	;; [unrolled: 1-line block ×3, first 2 shown]
	s_mov_b32 s5, 0
	.p2align	6
.LBB58_173:                             ; =>This Inner Loop Header: Depth=1
	s_clause 0x1
	buffer_load_dword v11, v7, s[0:3], 0 offen offset:4
	buffer_load_dword v12, v7, s[0:3], 0 offen
	ds_read_b64 v[9:10], v6
	v_add_nc_u32_e32 v5, 1, v5
	v_add_nc_u32_e32 v6, 8, v6
	;; [unrolled: 1-line block ×3, first 2 shown]
	v_cmp_lt_u32_e32 vcc_lo, 38, v5
	s_or_b32 s5, vcc_lo, s5
	s_waitcnt vmcnt(1) lgkmcnt(0)
	v_mul_f32_e32 v131, v10, v11
	v_mul_f32_e32 v11, v9, v11
	s_waitcnt vmcnt(0)
	v_fma_f32 v9, v9, v12, -v131
	v_fmac_f32_e32 v11, v10, v12
	v_add_f32_e32 v8, v8, v9
	v_add_f32_e32 v2, v2, v11
	s_andn2_b32 exec_lo, exec_lo, s5
	s_cbranch_execnz .LBB58_173
; %bb.174:
	s_or_b32 exec_lo, exec_lo, s5
	v_mov_b32_e32 v5, 0
	ds_read_b64 v[5:6], v5 offset:320
	s_waitcnt lgkmcnt(0)
	v_mul_f32_e32 v7, v2, v6
	v_mul_f32_e32 v6, v8, v6
	v_fma_f32 v7, v8, v5, -v7
	v_fmac_f32_e32 v6, v2, v5
	buffer_store_dword v7, off, s[0:3], 0 offset:320
	buffer_store_dword v6, off, s[0:3], 0 offset:324
.LBB58_175:
	s_or_b32 exec_lo, exec_lo, s4
	s_waitcnt_vscnt null, 0x0
	s_barrier
	buffer_gl0_inv
	s_clause 0x1
	buffer_load_dword v5, off, s[0:3], 0 offset:328
	buffer_load_dword v6, off, s[0:3], 0 offset:332
	s_mov_b32 s4, exec_lo
	s_waitcnt vmcnt(0)
	ds_write_b64 v4, v[5:6]
	s_waitcnt lgkmcnt(0)
	s_barrier
	buffer_gl0_inv
	v_cmpx_gt_u32_e32 41, v0
	s_cbranch_execz .LBB58_179
; %bb.176:
	v_add_nc_u32_e32 v5, -1, v0
	v_add_nc_u32_e32 v6, 0x1e0, v3
	v_mov_b32_e32 v7, v3
	v_mov_b32_e32 v2, 0
	v_mov_b32_e32 v8, 0
	s_mov_b32 s5, 0
	.p2align	6
.LBB58_177:                             ; =>This Inner Loop Header: Depth=1
	s_clause 0x1
	buffer_load_dword v11, v7, s[0:3], 0 offen offset:4
	buffer_load_dword v12, v7, s[0:3], 0 offen
	ds_read_b64 v[9:10], v6
	v_add_nc_u32_e32 v5, 1, v5
	v_add_nc_u32_e32 v6, 8, v6
	;; [unrolled: 1-line block ×3, first 2 shown]
	v_cmp_lt_u32_e32 vcc_lo, 39, v5
	s_or_b32 s5, vcc_lo, s5
	s_waitcnt vmcnt(1) lgkmcnt(0)
	v_mul_f32_e32 v131, v10, v11
	v_mul_f32_e32 v11, v9, v11
	s_waitcnt vmcnt(0)
	v_fma_f32 v9, v9, v12, -v131
	v_fmac_f32_e32 v11, v10, v12
	v_add_f32_e32 v8, v8, v9
	v_add_f32_e32 v2, v2, v11
	s_andn2_b32 exec_lo, exec_lo, s5
	s_cbranch_execnz .LBB58_177
; %bb.178:
	s_or_b32 exec_lo, exec_lo, s5
	v_mov_b32_e32 v5, 0
	ds_read_b64 v[5:6], v5 offset:328
	s_waitcnt lgkmcnt(0)
	v_mul_f32_e32 v7, v2, v6
	v_mul_f32_e32 v6, v8, v6
	v_fma_f32 v7, v8, v5, -v7
	v_fmac_f32_e32 v6, v2, v5
	buffer_store_dword v7, off, s[0:3], 0 offset:328
	buffer_store_dword v6, off, s[0:3], 0 offset:332
.LBB58_179:
	s_or_b32 exec_lo, exec_lo, s4
	s_waitcnt_vscnt null, 0x0
	s_barrier
	buffer_gl0_inv
	s_clause 0x1
	buffer_load_dword v5, off, s[0:3], 0 offset:336
	buffer_load_dword v6, off, s[0:3], 0 offset:340
	s_mov_b32 s4, exec_lo
	s_waitcnt vmcnt(0)
	ds_write_b64 v4, v[5:6]
	s_waitcnt lgkmcnt(0)
	s_barrier
	buffer_gl0_inv
	v_cmpx_gt_u32_e32 42, v0
	s_cbranch_execz .LBB58_183
; %bb.180:
	v_add_nc_u32_e32 v5, -1, v0
	v_add_nc_u32_e32 v6, 0x1e0, v3
	v_mov_b32_e32 v7, v3
	v_mov_b32_e32 v2, 0
	;; [unrolled: 1-line block ×3, first 2 shown]
	s_mov_b32 s5, 0
	.p2align	6
.LBB58_181:                             ; =>This Inner Loop Header: Depth=1
	s_clause 0x1
	buffer_load_dword v11, v7, s[0:3], 0 offen offset:4
	buffer_load_dword v12, v7, s[0:3], 0 offen
	ds_read_b64 v[9:10], v6
	v_add_nc_u32_e32 v5, 1, v5
	v_add_nc_u32_e32 v6, 8, v6
	;; [unrolled: 1-line block ×3, first 2 shown]
	v_cmp_lt_u32_e32 vcc_lo, 40, v5
	s_or_b32 s5, vcc_lo, s5
	s_waitcnt vmcnt(1) lgkmcnt(0)
	v_mul_f32_e32 v131, v10, v11
	v_mul_f32_e32 v11, v9, v11
	s_waitcnt vmcnt(0)
	v_fma_f32 v9, v9, v12, -v131
	v_fmac_f32_e32 v11, v10, v12
	v_add_f32_e32 v8, v8, v9
	v_add_f32_e32 v2, v2, v11
	s_andn2_b32 exec_lo, exec_lo, s5
	s_cbranch_execnz .LBB58_181
; %bb.182:
	s_or_b32 exec_lo, exec_lo, s5
	v_mov_b32_e32 v5, 0
	ds_read_b64 v[5:6], v5 offset:336
	s_waitcnt lgkmcnt(0)
	v_mul_f32_e32 v7, v2, v6
	v_mul_f32_e32 v6, v8, v6
	v_fma_f32 v7, v8, v5, -v7
	v_fmac_f32_e32 v6, v2, v5
	buffer_store_dword v7, off, s[0:3], 0 offset:336
	buffer_store_dword v6, off, s[0:3], 0 offset:340
.LBB58_183:
	s_or_b32 exec_lo, exec_lo, s4
	s_waitcnt_vscnt null, 0x0
	s_barrier
	buffer_gl0_inv
	s_clause 0x1
	buffer_load_dword v5, off, s[0:3], 0 offset:344
	buffer_load_dword v6, off, s[0:3], 0 offset:348
	s_mov_b32 s4, exec_lo
	s_waitcnt vmcnt(0)
	ds_write_b64 v4, v[5:6]
	s_waitcnt lgkmcnt(0)
	s_barrier
	buffer_gl0_inv
	v_cmpx_gt_u32_e32 43, v0
	s_cbranch_execz .LBB58_187
; %bb.184:
	v_add_nc_u32_e32 v5, -1, v0
	v_add_nc_u32_e32 v6, 0x1e0, v3
	v_mov_b32_e32 v7, v3
	v_mov_b32_e32 v2, 0
	;; [unrolled: 1-line block ×3, first 2 shown]
	s_mov_b32 s5, 0
	.p2align	6
.LBB58_185:                             ; =>This Inner Loop Header: Depth=1
	s_clause 0x1
	buffer_load_dword v11, v7, s[0:3], 0 offen offset:4
	buffer_load_dword v12, v7, s[0:3], 0 offen
	ds_read_b64 v[9:10], v6
	v_add_nc_u32_e32 v5, 1, v5
	v_add_nc_u32_e32 v6, 8, v6
	;; [unrolled: 1-line block ×3, first 2 shown]
	v_cmp_lt_u32_e32 vcc_lo, 41, v5
	s_or_b32 s5, vcc_lo, s5
	s_waitcnt vmcnt(1) lgkmcnt(0)
	v_mul_f32_e32 v131, v10, v11
	v_mul_f32_e32 v11, v9, v11
	s_waitcnt vmcnt(0)
	v_fma_f32 v9, v9, v12, -v131
	v_fmac_f32_e32 v11, v10, v12
	v_add_f32_e32 v8, v8, v9
	v_add_f32_e32 v2, v2, v11
	s_andn2_b32 exec_lo, exec_lo, s5
	s_cbranch_execnz .LBB58_185
; %bb.186:
	s_or_b32 exec_lo, exec_lo, s5
	v_mov_b32_e32 v5, 0
	ds_read_b64 v[5:6], v5 offset:344
	s_waitcnt lgkmcnt(0)
	v_mul_f32_e32 v7, v2, v6
	v_mul_f32_e32 v6, v8, v6
	v_fma_f32 v7, v8, v5, -v7
	v_fmac_f32_e32 v6, v2, v5
	buffer_store_dword v7, off, s[0:3], 0 offset:344
	buffer_store_dword v6, off, s[0:3], 0 offset:348
.LBB58_187:
	s_or_b32 exec_lo, exec_lo, s4
	s_waitcnt_vscnt null, 0x0
	s_barrier
	buffer_gl0_inv
	s_clause 0x1
	buffer_load_dword v5, off, s[0:3], 0 offset:352
	buffer_load_dword v6, off, s[0:3], 0 offset:356
	s_mov_b32 s4, exec_lo
	s_waitcnt vmcnt(0)
	ds_write_b64 v4, v[5:6]
	s_waitcnt lgkmcnt(0)
	s_barrier
	buffer_gl0_inv
	v_cmpx_gt_u32_e32 44, v0
	s_cbranch_execz .LBB58_191
; %bb.188:
	v_add_nc_u32_e32 v5, -1, v0
	v_add_nc_u32_e32 v6, 0x1e0, v3
	v_mov_b32_e32 v7, v3
	v_mov_b32_e32 v2, 0
	v_mov_b32_e32 v8, 0
	s_mov_b32 s5, 0
	.p2align	6
.LBB58_189:                             ; =>This Inner Loop Header: Depth=1
	s_clause 0x1
	buffer_load_dword v11, v7, s[0:3], 0 offen offset:4
	buffer_load_dword v12, v7, s[0:3], 0 offen
	ds_read_b64 v[9:10], v6
	v_add_nc_u32_e32 v5, 1, v5
	v_add_nc_u32_e32 v6, 8, v6
	;; [unrolled: 1-line block ×3, first 2 shown]
	v_cmp_lt_u32_e32 vcc_lo, 42, v5
	s_or_b32 s5, vcc_lo, s5
	s_waitcnt vmcnt(1) lgkmcnt(0)
	v_mul_f32_e32 v131, v10, v11
	v_mul_f32_e32 v11, v9, v11
	s_waitcnt vmcnt(0)
	v_fma_f32 v9, v9, v12, -v131
	v_fmac_f32_e32 v11, v10, v12
	v_add_f32_e32 v8, v8, v9
	v_add_f32_e32 v2, v2, v11
	s_andn2_b32 exec_lo, exec_lo, s5
	s_cbranch_execnz .LBB58_189
; %bb.190:
	s_or_b32 exec_lo, exec_lo, s5
	v_mov_b32_e32 v5, 0
	ds_read_b64 v[5:6], v5 offset:352
	s_waitcnt lgkmcnt(0)
	v_mul_f32_e32 v7, v2, v6
	v_mul_f32_e32 v6, v8, v6
	v_fma_f32 v7, v8, v5, -v7
	v_fmac_f32_e32 v6, v2, v5
	buffer_store_dword v7, off, s[0:3], 0 offset:352
	buffer_store_dword v6, off, s[0:3], 0 offset:356
.LBB58_191:
	s_or_b32 exec_lo, exec_lo, s4
	s_waitcnt_vscnt null, 0x0
	s_barrier
	buffer_gl0_inv
	s_clause 0x1
	buffer_load_dword v5, off, s[0:3], 0 offset:360
	buffer_load_dword v6, off, s[0:3], 0 offset:364
	s_mov_b32 s4, exec_lo
	s_waitcnt vmcnt(0)
	ds_write_b64 v4, v[5:6]
	s_waitcnt lgkmcnt(0)
	s_barrier
	buffer_gl0_inv
	v_cmpx_gt_u32_e32 45, v0
	s_cbranch_execz .LBB58_195
; %bb.192:
	v_add_nc_u32_e32 v5, -1, v0
	v_add_nc_u32_e32 v6, 0x1e0, v3
	v_mov_b32_e32 v7, v3
	v_mov_b32_e32 v2, 0
	;; [unrolled: 1-line block ×3, first 2 shown]
	s_mov_b32 s5, 0
	.p2align	6
.LBB58_193:                             ; =>This Inner Loop Header: Depth=1
	s_clause 0x1
	buffer_load_dword v11, v7, s[0:3], 0 offen offset:4
	buffer_load_dword v12, v7, s[0:3], 0 offen
	ds_read_b64 v[9:10], v6
	v_add_nc_u32_e32 v5, 1, v5
	v_add_nc_u32_e32 v6, 8, v6
	;; [unrolled: 1-line block ×3, first 2 shown]
	v_cmp_lt_u32_e32 vcc_lo, 43, v5
	s_or_b32 s5, vcc_lo, s5
	s_waitcnt vmcnt(1) lgkmcnt(0)
	v_mul_f32_e32 v131, v10, v11
	v_mul_f32_e32 v11, v9, v11
	s_waitcnt vmcnt(0)
	v_fma_f32 v9, v9, v12, -v131
	v_fmac_f32_e32 v11, v10, v12
	v_add_f32_e32 v8, v8, v9
	v_add_f32_e32 v2, v2, v11
	s_andn2_b32 exec_lo, exec_lo, s5
	s_cbranch_execnz .LBB58_193
; %bb.194:
	s_or_b32 exec_lo, exec_lo, s5
	v_mov_b32_e32 v5, 0
	ds_read_b64 v[5:6], v5 offset:360
	s_waitcnt lgkmcnt(0)
	v_mul_f32_e32 v7, v2, v6
	v_mul_f32_e32 v6, v8, v6
	v_fma_f32 v7, v8, v5, -v7
	v_fmac_f32_e32 v6, v2, v5
	buffer_store_dword v7, off, s[0:3], 0 offset:360
	buffer_store_dword v6, off, s[0:3], 0 offset:364
.LBB58_195:
	s_or_b32 exec_lo, exec_lo, s4
	s_waitcnt_vscnt null, 0x0
	s_barrier
	buffer_gl0_inv
	s_clause 0x1
	buffer_load_dword v5, off, s[0:3], 0 offset:368
	buffer_load_dword v6, off, s[0:3], 0 offset:372
	s_mov_b32 s4, exec_lo
	s_waitcnt vmcnt(0)
	ds_write_b64 v4, v[5:6]
	s_waitcnt lgkmcnt(0)
	s_barrier
	buffer_gl0_inv
	v_cmpx_gt_u32_e32 46, v0
	s_cbranch_execz .LBB58_199
; %bb.196:
	v_add_nc_u32_e32 v5, -1, v0
	v_add_nc_u32_e32 v6, 0x1e0, v3
	v_mov_b32_e32 v7, v3
	v_mov_b32_e32 v2, 0
	;; [unrolled: 1-line block ×3, first 2 shown]
	s_mov_b32 s5, 0
	.p2align	6
.LBB58_197:                             ; =>This Inner Loop Header: Depth=1
	s_clause 0x1
	buffer_load_dword v11, v7, s[0:3], 0 offen offset:4
	buffer_load_dword v12, v7, s[0:3], 0 offen
	ds_read_b64 v[9:10], v6
	v_add_nc_u32_e32 v5, 1, v5
	v_add_nc_u32_e32 v6, 8, v6
	;; [unrolled: 1-line block ×3, first 2 shown]
	v_cmp_lt_u32_e32 vcc_lo, 44, v5
	s_or_b32 s5, vcc_lo, s5
	s_waitcnt vmcnt(1) lgkmcnt(0)
	v_mul_f32_e32 v131, v10, v11
	v_mul_f32_e32 v11, v9, v11
	s_waitcnt vmcnt(0)
	v_fma_f32 v9, v9, v12, -v131
	v_fmac_f32_e32 v11, v10, v12
	v_add_f32_e32 v8, v8, v9
	v_add_f32_e32 v2, v2, v11
	s_andn2_b32 exec_lo, exec_lo, s5
	s_cbranch_execnz .LBB58_197
; %bb.198:
	s_or_b32 exec_lo, exec_lo, s5
	v_mov_b32_e32 v5, 0
	ds_read_b64 v[5:6], v5 offset:368
	s_waitcnt lgkmcnt(0)
	v_mul_f32_e32 v7, v2, v6
	v_mul_f32_e32 v6, v8, v6
	v_fma_f32 v7, v8, v5, -v7
	v_fmac_f32_e32 v6, v2, v5
	buffer_store_dword v7, off, s[0:3], 0 offset:368
	buffer_store_dword v6, off, s[0:3], 0 offset:372
.LBB58_199:
	s_or_b32 exec_lo, exec_lo, s4
	s_waitcnt_vscnt null, 0x0
	s_barrier
	buffer_gl0_inv
	s_clause 0x1
	buffer_load_dword v5, off, s[0:3], 0 offset:376
	buffer_load_dword v6, off, s[0:3], 0 offset:380
	s_mov_b32 s4, exec_lo
	s_waitcnt vmcnt(0)
	ds_write_b64 v4, v[5:6]
	s_waitcnt lgkmcnt(0)
	s_barrier
	buffer_gl0_inv
	v_cmpx_gt_u32_e32 47, v0
	s_cbranch_execz .LBB58_203
; %bb.200:
	v_add_nc_u32_e32 v5, -1, v0
	v_add_nc_u32_e32 v6, 0x1e0, v3
	v_mov_b32_e32 v7, v3
	v_mov_b32_e32 v2, 0
	;; [unrolled: 1-line block ×3, first 2 shown]
	s_mov_b32 s5, 0
	.p2align	6
.LBB58_201:                             ; =>This Inner Loop Header: Depth=1
	s_clause 0x1
	buffer_load_dword v11, v7, s[0:3], 0 offen offset:4
	buffer_load_dword v12, v7, s[0:3], 0 offen
	ds_read_b64 v[9:10], v6
	v_add_nc_u32_e32 v5, 1, v5
	v_add_nc_u32_e32 v6, 8, v6
	;; [unrolled: 1-line block ×3, first 2 shown]
	v_cmp_lt_u32_e32 vcc_lo, 45, v5
	s_or_b32 s5, vcc_lo, s5
	s_waitcnt vmcnt(1) lgkmcnt(0)
	v_mul_f32_e32 v131, v10, v11
	v_mul_f32_e32 v11, v9, v11
	s_waitcnt vmcnt(0)
	v_fma_f32 v9, v9, v12, -v131
	v_fmac_f32_e32 v11, v10, v12
	v_add_f32_e32 v8, v8, v9
	v_add_f32_e32 v2, v2, v11
	s_andn2_b32 exec_lo, exec_lo, s5
	s_cbranch_execnz .LBB58_201
; %bb.202:
	s_or_b32 exec_lo, exec_lo, s5
	v_mov_b32_e32 v5, 0
	ds_read_b64 v[5:6], v5 offset:376
	s_waitcnt lgkmcnt(0)
	v_mul_f32_e32 v7, v2, v6
	v_mul_f32_e32 v6, v8, v6
	v_fma_f32 v7, v8, v5, -v7
	v_fmac_f32_e32 v6, v2, v5
	buffer_store_dword v7, off, s[0:3], 0 offset:376
	buffer_store_dword v6, off, s[0:3], 0 offset:380
.LBB58_203:
	s_or_b32 exec_lo, exec_lo, s4
	s_waitcnt_vscnt null, 0x0
	s_barrier
	buffer_gl0_inv
	s_clause 0x1
	buffer_load_dword v5, off, s[0:3], 0 offset:384
	buffer_load_dword v6, off, s[0:3], 0 offset:388
	s_mov_b32 s4, exec_lo
	s_waitcnt vmcnt(0)
	ds_write_b64 v4, v[5:6]
	s_waitcnt lgkmcnt(0)
	s_barrier
	buffer_gl0_inv
	v_cmpx_gt_u32_e32 48, v0
	s_cbranch_execz .LBB58_207
; %bb.204:
	v_add_nc_u32_e32 v5, -1, v0
	v_add_nc_u32_e32 v6, 0x1e0, v3
	v_mov_b32_e32 v7, v3
	v_mov_b32_e32 v2, 0
	;; [unrolled: 1-line block ×3, first 2 shown]
	s_mov_b32 s5, 0
	.p2align	6
.LBB58_205:                             ; =>This Inner Loop Header: Depth=1
	s_clause 0x1
	buffer_load_dword v11, v7, s[0:3], 0 offen offset:4
	buffer_load_dword v12, v7, s[0:3], 0 offen
	ds_read_b64 v[9:10], v6
	v_add_nc_u32_e32 v5, 1, v5
	v_add_nc_u32_e32 v6, 8, v6
	;; [unrolled: 1-line block ×3, first 2 shown]
	v_cmp_lt_u32_e32 vcc_lo, 46, v5
	s_or_b32 s5, vcc_lo, s5
	s_waitcnt vmcnt(1) lgkmcnt(0)
	v_mul_f32_e32 v131, v10, v11
	v_mul_f32_e32 v11, v9, v11
	s_waitcnt vmcnt(0)
	v_fma_f32 v9, v9, v12, -v131
	v_fmac_f32_e32 v11, v10, v12
	v_add_f32_e32 v8, v8, v9
	v_add_f32_e32 v2, v2, v11
	s_andn2_b32 exec_lo, exec_lo, s5
	s_cbranch_execnz .LBB58_205
; %bb.206:
	s_or_b32 exec_lo, exec_lo, s5
	v_mov_b32_e32 v5, 0
	ds_read_b64 v[5:6], v5 offset:384
	s_waitcnt lgkmcnt(0)
	v_mul_f32_e32 v7, v2, v6
	v_mul_f32_e32 v6, v8, v6
	v_fma_f32 v7, v8, v5, -v7
	v_fmac_f32_e32 v6, v2, v5
	buffer_store_dword v7, off, s[0:3], 0 offset:384
	buffer_store_dword v6, off, s[0:3], 0 offset:388
.LBB58_207:
	s_or_b32 exec_lo, exec_lo, s4
	s_waitcnt_vscnt null, 0x0
	s_barrier
	buffer_gl0_inv
	s_clause 0x1
	buffer_load_dword v5, off, s[0:3], 0 offset:392
	buffer_load_dword v6, off, s[0:3], 0 offset:396
	s_mov_b32 s4, exec_lo
	s_waitcnt vmcnt(0)
	ds_write_b64 v4, v[5:6]
	s_waitcnt lgkmcnt(0)
	s_barrier
	buffer_gl0_inv
	v_cmpx_gt_u32_e32 49, v0
	s_cbranch_execz .LBB58_211
; %bb.208:
	v_add_nc_u32_e32 v5, -1, v0
	v_add_nc_u32_e32 v6, 0x1e0, v3
	v_mov_b32_e32 v7, v3
	v_mov_b32_e32 v2, 0
	;; [unrolled: 1-line block ×3, first 2 shown]
	s_mov_b32 s5, 0
	.p2align	6
.LBB58_209:                             ; =>This Inner Loop Header: Depth=1
	s_clause 0x1
	buffer_load_dword v11, v7, s[0:3], 0 offen offset:4
	buffer_load_dword v12, v7, s[0:3], 0 offen
	ds_read_b64 v[9:10], v6
	v_add_nc_u32_e32 v5, 1, v5
	v_add_nc_u32_e32 v6, 8, v6
	;; [unrolled: 1-line block ×3, first 2 shown]
	v_cmp_lt_u32_e32 vcc_lo, 47, v5
	s_or_b32 s5, vcc_lo, s5
	s_waitcnt vmcnt(1) lgkmcnt(0)
	v_mul_f32_e32 v131, v10, v11
	v_mul_f32_e32 v11, v9, v11
	s_waitcnt vmcnt(0)
	v_fma_f32 v9, v9, v12, -v131
	v_fmac_f32_e32 v11, v10, v12
	v_add_f32_e32 v8, v8, v9
	v_add_f32_e32 v2, v2, v11
	s_andn2_b32 exec_lo, exec_lo, s5
	s_cbranch_execnz .LBB58_209
; %bb.210:
	s_or_b32 exec_lo, exec_lo, s5
	v_mov_b32_e32 v5, 0
	ds_read_b64 v[5:6], v5 offset:392
	s_waitcnt lgkmcnt(0)
	v_mul_f32_e32 v7, v2, v6
	v_mul_f32_e32 v6, v8, v6
	v_fma_f32 v7, v8, v5, -v7
	v_fmac_f32_e32 v6, v2, v5
	buffer_store_dword v7, off, s[0:3], 0 offset:392
	buffer_store_dword v6, off, s[0:3], 0 offset:396
.LBB58_211:
	s_or_b32 exec_lo, exec_lo, s4
	s_waitcnt_vscnt null, 0x0
	s_barrier
	buffer_gl0_inv
	s_clause 0x1
	buffer_load_dword v5, off, s[0:3], 0 offset:400
	buffer_load_dword v6, off, s[0:3], 0 offset:404
	s_mov_b32 s4, exec_lo
	s_waitcnt vmcnt(0)
	ds_write_b64 v4, v[5:6]
	s_waitcnt lgkmcnt(0)
	s_barrier
	buffer_gl0_inv
	v_cmpx_gt_u32_e32 50, v0
	s_cbranch_execz .LBB58_215
; %bb.212:
	v_add_nc_u32_e32 v5, -1, v0
	v_add_nc_u32_e32 v6, 0x1e0, v3
	v_mov_b32_e32 v7, v3
	v_mov_b32_e32 v2, 0
	;; [unrolled: 1-line block ×3, first 2 shown]
	s_mov_b32 s5, 0
	.p2align	6
.LBB58_213:                             ; =>This Inner Loop Header: Depth=1
	s_clause 0x1
	buffer_load_dword v11, v7, s[0:3], 0 offen offset:4
	buffer_load_dword v12, v7, s[0:3], 0 offen
	ds_read_b64 v[9:10], v6
	v_add_nc_u32_e32 v5, 1, v5
	v_add_nc_u32_e32 v6, 8, v6
	;; [unrolled: 1-line block ×3, first 2 shown]
	v_cmp_lt_u32_e32 vcc_lo, 48, v5
	s_or_b32 s5, vcc_lo, s5
	s_waitcnt vmcnt(1) lgkmcnt(0)
	v_mul_f32_e32 v131, v10, v11
	v_mul_f32_e32 v11, v9, v11
	s_waitcnt vmcnt(0)
	v_fma_f32 v9, v9, v12, -v131
	v_fmac_f32_e32 v11, v10, v12
	v_add_f32_e32 v8, v8, v9
	v_add_f32_e32 v2, v2, v11
	s_andn2_b32 exec_lo, exec_lo, s5
	s_cbranch_execnz .LBB58_213
; %bb.214:
	s_or_b32 exec_lo, exec_lo, s5
	v_mov_b32_e32 v5, 0
	ds_read_b64 v[5:6], v5 offset:400
	s_waitcnt lgkmcnt(0)
	v_mul_f32_e32 v7, v2, v6
	v_mul_f32_e32 v6, v8, v6
	v_fma_f32 v7, v8, v5, -v7
	v_fmac_f32_e32 v6, v2, v5
	buffer_store_dword v7, off, s[0:3], 0 offset:400
	buffer_store_dword v6, off, s[0:3], 0 offset:404
.LBB58_215:
	s_or_b32 exec_lo, exec_lo, s4
	s_waitcnt_vscnt null, 0x0
	s_barrier
	buffer_gl0_inv
	s_clause 0x1
	buffer_load_dword v5, off, s[0:3], 0 offset:408
	buffer_load_dword v6, off, s[0:3], 0 offset:412
	s_mov_b32 s4, exec_lo
	s_waitcnt vmcnt(0)
	ds_write_b64 v4, v[5:6]
	s_waitcnt lgkmcnt(0)
	s_barrier
	buffer_gl0_inv
	v_cmpx_gt_u32_e32 51, v0
	s_cbranch_execz .LBB58_219
; %bb.216:
	v_add_nc_u32_e32 v5, -1, v0
	v_add_nc_u32_e32 v6, 0x1e0, v3
	v_mov_b32_e32 v7, v3
	v_mov_b32_e32 v2, 0
	;; [unrolled: 1-line block ×3, first 2 shown]
	s_mov_b32 s5, 0
	.p2align	6
.LBB58_217:                             ; =>This Inner Loop Header: Depth=1
	s_clause 0x1
	buffer_load_dword v11, v7, s[0:3], 0 offen offset:4
	buffer_load_dword v12, v7, s[0:3], 0 offen
	ds_read_b64 v[9:10], v6
	v_add_nc_u32_e32 v5, 1, v5
	v_add_nc_u32_e32 v6, 8, v6
	;; [unrolled: 1-line block ×3, first 2 shown]
	v_cmp_lt_u32_e32 vcc_lo, 49, v5
	s_or_b32 s5, vcc_lo, s5
	s_waitcnt vmcnt(1) lgkmcnt(0)
	v_mul_f32_e32 v131, v10, v11
	v_mul_f32_e32 v11, v9, v11
	s_waitcnt vmcnt(0)
	v_fma_f32 v9, v9, v12, -v131
	v_fmac_f32_e32 v11, v10, v12
	v_add_f32_e32 v8, v8, v9
	v_add_f32_e32 v2, v2, v11
	s_andn2_b32 exec_lo, exec_lo, s5
	s_cbranch_execnz .LBB58_217
; %bb.218:
	s_or_b32 exec_lo, exec_lo, s5
	v_mov_b32_e32 v5, 0
	ds_read_b64 v[5:6], v5 offset:408
	s_waitcnt lgkmcnt(0)
	v_mul_f32_e32 v7, v2, v6
	v_mul_f32_e32 v6, v8, v6
	v_fma_f32 v7, v8, v5, -v7
	v_fmac_f32_e32 v6, v2, v5
	buffer_store_dword v7, off, s[0:3], 0 offset:408
	buffer_store_dword v6, off, s[0:3], 0 offset:412
.LBB58_219:
	s_or_b32 exec_lo, exec_lo, s4
	s_waitcnt_vscnt null, 0x0
	s_barrier
	buffer_gl0_inv
	s_clause 0x1
	buffer_load_dword v5, off, s[0:3], 0 offset:416
	buffer_load_dword v6, off, s[0:3], 0 offset:420
	s_mov_b32 s4, exec_lo
	s_waitcnt vmcnt(0)
	ds_write_b64 v4, v[5:6]
	s_waitcnt lgkmcnt(0)
	s_barrier
	buffer_gl0_inv
	v_cmpx_gt_u32_e32 52, v0
	s_cbranch_execz .LBB58_223
; %bb.220:
	v_add_nc_u32_e32 v5, -1, v0
	v_add_nc_u32_e32 v6, 0x1e0, v3
	v_mov_b32_e32 v7, v3
	v_mov_b32_e32 v2, 0
	;; [unrolled: 1-line block ×3, first 2 shown]
	s_mov_b32 s5, 0
	.p2align	6
.LBB58_221:                             ; =>This Inner Loop Header: Depth=1
	s_clause 0x1
	buffer_load_dword v11, v7, s[0:3], 0 offen offset:4
	buffer_load_dword v12, v7, s[0:3], 0 offen
	ds_read_b64 v[9:10], v6
	v_add_nc_u32_e32 v5, 1, v5
	v_add_nc_u32_e32 v6, 8, v6
	;; [unrolled: 1-line block ×3, first 2 shown]
	v_cmp_lt_u32_e32 vcc_lo, 50, v5
	s_or_b32 s5, vcc_lo, s5
	s_waitcnt vmcnt(1) lgkmcnt(0)
	v_mul_f32_e32 v131, v10, v11
	v_mul_f32_e32 v11, v9, v11
	s_waitcnt vmcnt(0)
	v_fma_f32 v9, v9, v12, -v131
	v_fmac_f32_e32 v11, v10, v12
	v_add_f32_e32 v8, v8, v9
	v_add_f32_e32 v2, v2, v11
	s_andn2_b32 exec_lo, exec_lo, s5
	s_cbranch_execnz .LBB58_221
; %bb.222:
	s_or_b32 exec_lo, exec_lo, s5
	v_mov_b32_e32 v5, 0
	ds_read_b64 v[5:6], v5 offset:416
	s_waitcnt lgkmcnt(0)
	v_mul_f32_e32 v7, v2, v6
	v_mul_f32_e32 v6, v8, v6
	v_fma_f32 v7, v8, v5, -v7
	v_fmac_f32_e32 v6, v2, v5
	buffer_store_dword v7, off, s[0:3], 0 offset:416
	buffer_store_dword v6, off, s[0:3], 0 offset:420
.LBB58_223:
	s_or_b32 exec_lo, exec_lo, s4
	s_waitcnt_vscnt null, 0x0
	s_barrier
	buffer_gl0_inv
	s_clause 0x1
	buffer_load_dword v5, off, s[0:3], 0 offset:424
	buffer_load_dword v6, off, s[0:3], 0 offset:428
	s_mov_b32 s4, exec_lo
	s_waitcnt vmcnt(0)
	ds_write_b64 v4, v[5:6]
	s_waitcnt lgkmcnt(0)
	s_barrier
	buffer_gl0_inv
	v_cmpx_gt_u32_e32 53, v0
	s_cbranch_execz .LBB58_227
; %bb.224:
	v_add_nc_u32_e32 v5, -1, v0
	v_add_nc_u32_e32 v6, 0x1e0, v3
	v_mov_b32_e32 v7, v3
	v_mov_b32_e32 v2, 0
	;; [unrolled: 1-line block ×3, first 2 shown]
	s_mov_b32 s5, 0
	.p2align	6
.LBB58_225:                             ; =>This Inner Loop Header: Depth=1
	s_clause 0x1
	buffer_load_dword v11, v7, s[0:3], 0 offen offset:4
	buffer_load_dword v12, v7, s[0:3], 0 offen
	ds_read_b64 v[9:10], v6
	v_add_nc_u32_e32 v5, 1, v5
	v_add_nc_u32_e32 v6, 8, v6
	;; [unrolled: 1-line block ×3, first 2 shown]
	v_cmp_lt_u32_e32 vcc_lo, 51, v5
	s_or_b32 s5, vcc_lo, s5
	s_waitcnt vmcnt(1) lgkmcnt(0)
	v_mul_f32_e32 v131, v10, v11
	v_mul_f32_e32 v11, v9, v11
	s_waitcnt vmcnt(0)
	v_fma_f32 v9, v9, v12, -v131
	v_fmac_f32_e32 v11, v10, v12
	v_add_f32_e32 v8, v8, v9
	v_add_f32_e32 v2, v2, v11
	s_andn2_b32 exec_lo, exec_lo, s5
	s_cbranch_execnz .LBB58_225
; %bb.226:
	s_or_b32 exec_lo, exec_lo, s5
	v_mov_b32_e32 v5, 0
	ds_read_b64 v[5:6], v5 offset:424
	s_waitcnt lgkmcnt(0)
	v_mul_f32_e32 v7, v2, v6
	v_mul_f32_e32 v6, v8, v6
	v_fma_f32 v7, v8, v5, -v7
	v_fmac_f32_e32 v6, v2, v5
	buffer_store_dword v7, off, s[0:3], 0 offset:424
	buffer_store_dword v6, off, s[0:3], 0 offset:428
.LBB58_227:
	s_or_b32 exec_lo, exec_lo, s4
	s_waitcnt_vscnt null, 0x0
	s_barrier
	buffer_gl0_inv
	s_clause 0x1
	buffer_load_dword v5, off, s[0:3], 0 offset:432
	buffer_load_dword v6, off, s[0:3], 0 offset:436
	s_mov_b32 s4, exec_lo
	s_waitcnt vmcnt(0)
	ds_write_b64 v4, v[5:6]
	s_waitcnt lgkmcnt(0)
	s_barrier
	buffer_gl0_inv
	v_cmpx_gt_u32_e32 54, v0
	s_cbranch_execz .LBB58_231
; %bb.228:
	v_add_nc_u32_e32 v5, -1, v0
	v_add_nc_u32_e32 v6, 0x1e0, v3
	v_mov_b32_e32 v7, v3
	v_mov_b32_e32 v2, 0
	;; [unrolled: 1-line block ×3, first 2 shown]
	s_mov_b32 s5, 0
	.p2align	6
.LBB58_229:                             ; =>This Inner Loop Header: Depth=1
	s_clause 0x1
	buffer_load_dword v11, v7, s[0:3], 0 offen offset:4
	buffer_load_dword v12, v7, s[0:3], 0 offen
	ds_read_b64 v[9:10], v6
	v_add_nc_u32_e32 v5, 1, v5
	v_add_nc_u32_e32 v6, 8, v6
	;; [unrolled: 1-line block ×3, first 2 shown]
	v_cmp_lt_u32_e32 vcc_lo, 52, v5
	s_or_b32 s5, vcc_lo, s5
	s_waitcnt vmcnt(1) lgkmcnt(0)
	v_mul_f32_e32 v131, v10, v11
	v_mul_f32_e32 v11, v9, v11
	s_waitcnt vmcnt(0)
	v_fma_f32 v9, v9, v12, -v131
	v_fmac_f32_e32 v11, v10, v12
	v_add_f32_e32 v8, v8, v9
	v_add_f32_e32 v2, v2, v11
	s_andn2_b32 exec_lo, exec_lo, s5
	s_cbranch_execnz .LBB58_229
; %bb.230:
	s_or_b32 exec_lo, exec_lo, s5
	v_mov_b32_e32 v5, 0
	ds_read_b64 v[5:6], v5 offset:432
	s_waitcnt lgkmcnt(0)
	v_mul_f32_e32 v7, v2, v6
	v_mul_f32_e32 v6, v8, v6
	v_fma_f32 v7, v8, v5, -v7
	v_fmac_f32_e32 v6, v2, v5
	buffer_store_dword v7, off, s[0:3], 0 offset:432
	buffer_store_dword v6, off, s[0:3], 0 offset:436
.LBB58_231:
	s_or_b32 exec_lo, exec_lo, s4
	s_waitcnt_vscnt null, 0x0
	s_barrier
	buffer_gl0_inv
	s_clause 0x1
	buffer_load_dword v5, off, s[0:3], 0 offset:440
	buffer_load_dword v6, off, s[0:3], 0 offset:444
	s_mov_b32 s4, exec_lo
	s_waitcnt vmcnt(0)
	ds_write_b64 v4, v[5:6]
	s_waitcnt lgkmcnt(0)
	s_barrier
	buffer_gl0_inv
	v_cmpx_gt_u32_e32 55, v0
	s_cbranch_execz .LBB58_235
; %bb.232:
	v_add_nc_u32_e32 v5, -1, v0
	v_add_nc_u32_e32 v6, 0x1e0, v3
	v_mov_b32_e32 v7, v3
	v_mov_b32_e32 v2, 0
	;; [unrolled: 1-line block ×3, first 2 shown]
	s_mov_b32 s5, 0
	.p2align	6
.LBB58_233:                             ; =>This Inner Loop Header: Depth=1
	s_clause 0x1
	buffer_load_dword v11, v7, s[0:3], 0 offen offset:4
	buffer_load_dword v12, v7, s[0:3], 0 offen
	ds_read_b64 v[9:10], v6
	v_add_nc_u32_e32 v5, 1, v5
	v_add_nc_u32_e32 v6, 8, v6
	;; [unrolled: 1-line block ×3, first 2 shown]
	v_cmp_lt_u32_e32 vcc_lo, 53, v5
	s_or_b32 s5, vcc_lo, s5
	s_waitcnt vmcnt(1) lgkmcnt(0)
	v_mul_f32_e32 v131, v10, v11
	v_mul_f32_e32 v11, v9, v11
	s_waitcnt vmcnt(0)
	v_fma_f32 v9, v9, v12, -v131
	v_fmac_f32_e32 v11, v10, v12
	v_add_f32_e32 v8, v8, v9
	v_add_f32_e32 v2, v2, v11
	s_andn2_b32 exec_lo, exec_lo, s5
	s_cbranch_execnz .LBB58_233
; %bb.234:
	s_or_b32 exec_lo, exec_lo, s5
	v_mov_b32_e32 v5, 0
	ds_read_b64 v[5:6], v5 offset:440
	s_waitcnt lgkmcnt(0)
	v_mul_f32_e32 v7, v2, v6
	v_mul_f32_e32 v6, v8, v6
	v_fma_f32 v7, v8, v5, -v7
	v_fmac_f32_e32 v6, v2, v5
	buffer_store_dword v7, off, s[0:3], 0 offset:440
	buffer_store_dword v6, off, s[0:3], 0 offset:444
.LBB58_235:
	s_or_b32 exec_lo, exec_lo, s4
	s_waitcnt_vscnt null, 0x0
	s_barrier
	buffer_gl0_inv
	s_clause 0x1
	buffer_load_dword v5, off, s[0:3], 0 offset:448
	buffer_load_dword v6, off, s[0:3], 0 offset:452
	s_mov_b32 s4, exec_lo
	s_waitcnt vmcnt(0)
	ds_write_b64 v4, v[5:6]
	s_waitcnt lgkmcnt(0)
	s_barrier
	buffer_gl0_inv
	v_cmpx_gt_u32_e32 56, v0
	s_cbranch_execz .LBB58_239
; %bb.236:
	v_add_nc_u32_e32 v5, -1, v0
	v_add_nc_u32_e32 v6, 0x1e0, v3
	v_mov_b32_e32 v7, v3
	v_mov_b32_e32 v2, 0
	;; [unrolled: 1-line block ×3, first 2 shown]
	s_mov_b32 s5, 0
	.p2align	6
.LBB58_237:                             ; =>This Inner Loop Header: Depth=1
	s_clause 0x1
	buffer_load_dword v11, v7, s[0:3], 0 offen offset:4
	buffer_load_dword v12, v7, s[0:3], 0 offen
	ds_read_b64 v[9:10], v6
	v_add_nc_u32_e32 v5, 1, v5
	v_add_nc_u32_e32 v6, 8, v6
	;; [unrolled: 1-line block ×3, first 2 shown]
	v_cmp_lt_u32_e32 vcc_lo, 54, v5
	s_or_b32 s5, vcc_lo, s5
	s_waitcnt vmcnt(1) lgkmcnt(0)
	v_mul_f32_e32 v131, v10, v11
	v_mul_f32_e32 v11, v9, v11
	s_waitcnt vmcnt(0)
	v_fma_f32 v9, v9, v12, -v131
	v_fmac_f32_e32 v11, v10, v12
	v_add_f32_e32 v8, v8, v9
	v_add_f32_e32 v2, v2, v11
	s_andn2_b32 exec_lo, exec_lo, s5
	s_cbranch_execnz .LBB58_237
; %bb.238:
	s_or_b32 exec_lo, exec_lo, s5
	v_mov_b32_e32 v5, 0
	ds_read_b64 v[5:6], v5 offset:448
	s_waitcnt lgkmcnt(0)
	v_mul_f32_e32 v7, v2, v6
	v_mul_f32_e32 v6, v8, v6
	v_fma_f32 v7, v8, v5, -v7
	v_fmac_f32_e32 v6, v2, v5
	buffer_store_dword v7, off, s[0:3], 0 offset:448
	buffer_store_dword v6, off, s[0:3], 0 offset:452
.LBB58_239:
	s_or_b32 exec_lo, exec_lo, s4
	s_waitcnt_vscnt null, 0x0
	s_barrier
	buffer_gl0_inv
	s_clause 0x1
	buffer_load_dword v5, off, s[0:3], 0 offset:456
	buffer_load_dword v6, off, s[0:3], 0 offset:460
	s_mov_b32 s4, exec_lo
	s_waitcnt vmcnt(0)
	ds_write_b64 v4, v[5:6]
	s_waitcnt lgkmcnt(0)
	s_barrier
	buffer_gl0_inv
	v_cmpx_gt_u32_e32 57, v0
	s_cbranch_execz .LBB58_243
; %bb.240:
	v_add_nc_u32_e32 v5, -1, v0
	v_add_nc_u32_e32 v6, 0x1e0, v3
	v_mov_b32_e32 v7, v3
	v_mov_b32_e32 v2, 0
	;; [unrolled: 1-line block ×3, first 2 shown]
	s_mov_b32 s5, 0
	.p2align	6
.LBB58_241:                             ; =>This Inner Loop Header: Depth=1
	s_clause 0x1
	buffer_load_dword v11, v7, s[0:3], 0 offen offset:4
	buffer_load_dword v12, v7, s[0:3], 0 offen
	ds_read_b64 v[9:10], v6
	v_add_nc_u32_e32 v5, 1, v5
	v_add_nc_u32_e32 v6, 8, v6
	v_add_nc_u32_e32 v7, 8, v7
	v_cmp_lt_u32_e32 vcc_lo, 55, v5
	s_or_b32 s5, vcc_lo, s5
	s_waitcnt vmcnt(1) lgkmcnt(0)
	v_mul_f32_e32 v131, v10, v11
	v_mul_f32_e32 v11, v9, v11
	s_waitcnt vmcnt(0)
	v_fma_f32 v9, v9, v12, -v131
	v_fmac_f32_e32 v11, v10, v12
	v_add_f32_e32 v8, v8, v9
	v_add_f32_e32 v2, v2, v11
	s_andn2_b32 exec_lo, exec_lo, s5
	s_cbranch_execnz .LBB58_241
; %bb.242:
	s_or_b32 exec_lo, exec_lo, s5
	v_mov_b32_e32 v5, 0
	ds_read_b64 v[5:6], v5 offset:456
	s_waitcnt lgkmcnt(0)
	v_mul_f32_e32 v7, v2, v6
	v_mul_f32_e32 v6, v8, v6
	v_fma_f32 v7, v8, v5, -v7
	v_fmac_f32_e32 v6, v2, v5
	buffer_store_dword v7, off, s[0:3], 0 offset:456
	buffer_store_dword v6, off, s[0:3], 0 offset:460
.LBB58_243:
	s_or_b32 exec_lo, exec_lo, s4
	s_waitcnt_vscnt null, 0x0
	s_barrier
	buffer_gl0_inv
	s_clause 0x1
	buffer_load_dword v5, off, s[0:3], 0 offset:464
	buffer_load_dword v6, off, s[0:3], 0 offset:468
	s_mov_b32 s4, exec_lo
	s_waitcnt vmcnt(0)
	ds_write_b64 v4, v[5:6]
	s_waitcnt lgkmcnt(0)
	s_barrier
	buffer_gl0_inv
	v_cmpx_ne_u32_e32 58, v0
	s_cbranch_execz .LBB58_247
; %bb.244:
	v_mov_b32_e32 v2, 0
	v_mov_b32_e32 v5, 0
	s_mov_b32 s5, 0
	.p2align	6
.LBB58_245:                             ; =>This Inner Loop Header: Depth=1
	s_clause 0x1
	buffer_load_dword v8, v3, s[0:3], 0 offen offset:4
	buffer_load_dword v9, v3, s[0:3], 0 offen
	ds_read_b64 v[6:7], v4
	v_add_nc_u32_e32 v1, 1, v1
	v_add_nc_u32_e32 v4, 8, v4
	;; [unrolled: 1-line block ×3, first 2 shown]
	v_cmp_lt_u32_e32 vcc_lo, 56, v1
	s_or_b32 s5, vcc_lo, s5
	s_waitcnt vmcnt(1) lgkmcnt(0)
	v_mul_f32_e32 v10, v7, v8
	v_mul_f32_e32 v8, v6, v8
	s_waitcnt vmcnt(0)
	v_fma_f32 v6, v6, v9, -v10
	v_fmac_f32_e32 v8, v7, v9
	v_add_f32_e32 v5, v5, v6
	v_add_f32_e32 v2, v2, v8
	s_andn2_b32 exec_lo, exec_lo, s5
	s_cbranch_execnz .LBB58_245
; %bb.246:
	s_or_b32 exec_lo, exec_lo, s5
	v_mov_b32_e32 v1, 0
	ds_read_b64 v[3:4], v1 offset:464
	s_waitcnt lgkmcnt(0)
	v_mul_f32_e32 v1, v2, v4
	v_mul_f32_e32 v4, v5, v4
	v_fma_f32 v1, v5, v3, -v1
	v_fmac_f32_e32 v4, v2, v3
	buffer_store_dword v1, off, s[0:3], 0 offset:464
	buffer_store_dword v4, off, s[0:3], 0 offset:468
.LBB58_247:
	s_or_b32 exec_lo, exec_lo, s4
	s_mov_b32 s5, -1
	s_waitcnt_vscnt null, 0x0
	s_barrier
	buffer_gl0_inv
.LBB58_248:
	s_and_b32 vcc_lo, exec_lo, s5
	s_cbranch_vccz .LBB58_250
; %bb.249:
	s_lshl_b64 s[4:5], s[6:7], 2
	v_mov_b32_e32 v1, 0
	s_add_u32 s4, s10, s4
	s_addc_u32 s5, s11, s5
	global_load_dword v1, v1, s[4:5]
	s_waitcnt vmcnt(0)
	v_cmp_ne_u32_e32 vcc_lo, 0, v1
	s_cbranch_vccz .LBB58_251
.LBB58_250:
	s_endpgm
.LBB58_251:
	v_lshl_add_u32 v131, v0, 3, 0x1e0
	s_mov_b32 s4, exec_lo
	v_cmpx_eq_u32_e32 58, v0
	s_cbranch_execz .LBB58_253
; %bb.252:
	s_clause 0x1
	buffer_load_dword v1, off, s[0:3], 0 offset:456
	buffer_load_dword v2, off, s[0:3], 0 offset:460
	v_mov_b32_e32 v3, 0
	buffer_store_dword v3, off, s[0:3], 0 offset:456
	buffer_store_dword v3, off, s[0:3], 0 offset:460
	s_waitcnt vmcnt(0)
	ds_write_b64 v131, v[1:2]
.LBB58_253:
	s_or_b32 exec_lo, exec_lo, s4
	s_waitcnt lgkmcnt(0)
	s_waitcnt_vscnt null, 0x0
	s_barrier
	buffer_gl0_inv
	s_clause 0x3
	buffer_load_dword v4, off, s[0:3], 0 offset:468
	buffer_load_dword v5, off, s[0:3], 0 offset:464
	;; [unrolled: 1-line block ×4, first 2 shown]
	v_mov_b32_e32 v1, 0
	s_mov_b32 s4, exec_lo
	ds_read_b64 v[2:3], v1 offset:944
	s_waitcnt vmcnt(3) lgkmcnt(0)
	v_mul_f32_e32 v8, v3, v4
	v_mul_f32_e32 v4, v2, v4
	s_waitcnt vmcnt(2)
	v_fma_f32 v2, v2, v5, -v8
	v_fmac_f32_e32 v4, v3, v5
	v_add_f32_e32 v2, 0, v2
	v_add_f32_e32 v3, 0, v4
	s_waitcnt vmcnt(1)
	v_sub_f32_e32 v2, v6, v2
	s_waitcnt vmcnt(0)
	v_sub_f32_e32 v3, v7, v3
	buffer_store_dword v2, off, s[0:3], 0 offset:456
	buffer_store_dword v3, off, s[0:3], 0 offset:460
	v_cmpx_lt_u32_e32 56, v0
	s_cbranch_execz .LBB58_255
; %bb.254:
	s_clause 0x1
	buffer_load_dword v2, off, s[0:3], 0 offset:448
	buffer_load_dword v3, off, s[0:3], 0 offset:452
	buffer_store_dword v1, off, s[0:3], 0 offset:448
	buffer_store_dword v1, off, s[0:3], 0 offset:452
	s_waitcnt vmcnt(0)
	ds_write_b64 v131, v[2:3]
.LBB58_255:
	s_or_b32 exec_lo, exec_lo, s4
	s_waitcnt lgkmcnt(0)
	s_waitcnt_vscnt null, 0x0
	s_barrier
	buffer_gl0_inv
	s_clause 0x5
	buffer_load_dword v5, off, s[0:3], 0 offset:460
	buffer_load_dword v6, off, s[0:3], 0 offset:468
	;; [unrolled: 1-line block ×6, first 2 shown]
	ds_read2_b64 v[1:4], v1 offset0:117 offset1:118
	s_mov_b32 s4, exec_lo
	s_waitcnt vmcnt(5) lgkmcnt(0)
	v_mul_f32_e32 v11, v2, v5
	v_mul_f32_e32 v5, v1, v5
	s_waitcnt vmcnt(4)
	v_mul_f32_e32 v12, v3, v6
	v_mul_f32_e32 v6, v4, v6
	s_waitcnt vmcnt(3)
	v_fma_f32 v1, v1, v7, -v11
	v_fmac_f32_e32 v5, v2, v7
	s_waitcnt vmcnt(2)
	v_fmac_f32_e32 v12, v4, v8
	v_fma_f32 v2, v3, v8, -v6
	v_add_f32_e32 v1, 0, v1
	v_add_f32_e32 v3, 0, v5
	;; [unrolled: 1-line block ×4, first 2 shown]
	s_waitcnt vmcnt(1)
	v_sub_f32_e32 v1, v9, v1
	s_waitcnt vmcnt(0)
	v_sub_f32_e32 v2, v10, v2
	buffer_store_dword v1, off, s[0:3], 0 offset:448
	buffer_store_dword v2, off, s[0:3], 0 offset:452
	v_cmpx_lt_u32_e32 55, v0
	s_cbranch_execz .LBB58_257
; %bb.256:
	s_clause 0x1
	buffer_load_dword v1, off, s[0:3], 0 offset:440
	buffer_load_dword v2, off, s[0:3], 0 offset:444
	v_mov_b32_e32 v3, 0
	buffer_store_dword v3, off, s[0:3], 0 offset:440
	buffer_store_dword v3, off, s[0:3], 0 offset:444
	s_waitcnt vmcnt(0)
	ds_write_b64 v131, v[1:2]
.LBB58_257:
	s_or_b32 exec_lo, exec_lo, s4
	s_waitcnt lgkmcnt(0)
	s_waitcnt_vscnt null, 0x0
	s_barrier
	buffer_gl0_inv
	s_clause 0x7
	buffer_load_dword v8, off, s[0:3], 0 offset:452
	buffer_load_dword v9, off, s[0:3], 0 offset:460
	;; [unrolled: 1-line block ×8, first 2 shown]
	v_mov_b32_e32 v1, 0
	ds_read_b128 v[2:5], v1 offset:928
	ds_read_b64 v[6:7], v1 offset:944
	s_mov_b32 s4, exec_lo
	s_waitcnt vmcnt(7) lgkmcnt(1)
	v_mul_f32_e32 v135, v3, v8
	v_mul_f32_e32 v8, v2, v8
	s_waitcnt vmcnt(6)
	v_mul_f32_e32 v136, v4, v9
	v_mul_f32_e32 v9, v5, v9
	s_waitcnt vmcnt(5) lgkmcnt(0)
	v_mul_f32_e32 v137, v6, v10
	s_waitcnt vmcnt(4)
	v_fma_f32 v2, v2, v11, -v135
	v_fmac_f32_e32 v8, v3, v11
	v_mul_f32_e32 v3, v7, v10
	s_waitcnt vmcnt(3)
	v_fma_f32 v4, v4, v12, -v9
	v_fmac_f32_e32 v136, v5, v12
	v_add_f32_e32 v2, 0, v2
	v_add_f32_e32 v5, 0, v8
	s_waitcnt vmcnt(2)
	v_fma_f32 v3, v6, v132, -v3
	v_fmac_f32_e32 v137, v7, v132
	v_add_f32_e32 v2, v2, v4
	v_add_f32_e32 v4, v5, v136
	;; [unrolled: 1-line block ×4, first 2 shown]
	s_waitcnt vmcnt(1)
	v_sub_f32_e32 v2, v133, v2
	s_waitcnt vmcnt(0)
	v_sub_f32_e32 v3, v134, v3
	buffer_store_dword v2, off, s[0:3], 0 offset:440
	buffer_store_dword v3, off, s[0:3], 0 offset:444
	v_cmpx_lt_u32_e32 54, v0
	s_cbranch_execz .LBB58_259
; %bb.258:
	s_clause 0x1
	buffer_load_dword v2, off, s[0:3], 0 offset:432
	buffer_load_dword v3, off, s[0:3], 0 offset:436
	buffer_store_dword v1, off, s[0:3], 0 offset:432
	buffer_store_dword v1, off, s[0:3], 0 offset:436
	s_waitcnt vmcnt(0)
	ds_write_b64 v131, v[2:3]
.LBB58_259:
	s_or_b32 exec_lo, exec_lo, s4
	s_waitcnt lgkmcnt(0)
	s_waitcnt_vscnt null, 0x0
	s_barrier
	buffer_gl0_inv
	s_clause 0x9
	buffer_load_dword v10, off, s[0:3], 0 offset:444
	buffer_load_dword v11, off, s[0:3], 0 offset:452
	;; [unrolled: 1-line block ×10, first 2 shown]
	ds_read2_b64 v[2:5], v1 offset0:115 offset1:116
	ds_read2_b64 v[6:9], v1 offset0:117 offset1:118
	s_mov_b32 s4, exec_lo
	s_waitcnt vmcnt(9) lgkmcnt(1)
	v_mul_f32_e32 v1, v2, v10
	v_mul_f32_e32 v10, v3, v10
	s_waitcnt vmcnt(8)
	v_mul_f32_e32 v139, v4, v11
	v_mul_f32_e32 v11, v5, v11
	s_waitcnt vmcnt(7) lgkmcnt(0)
	v_mul_f32_e32 v140, v6, v12
	s_waitcnt vmcnt(5)
	v_fmac_f32_e32 v1, v3, v133
	v_fma_f32 v2, v2, v133, -v10
	v_mul_f32_e32 v3, v7, v12
	s_waitcnt vmcnt(4)
	v_fma_f32 v4, v4, v134, -v11
	v_fmac_f32_e32 v139, v5, v134
	v_add_f32_e32 v1, 0, v1
	v_add_f32_e32 v2, 0, v2
	v_mul_f32_e32 v5, v9, v132
	s_waitcnt vmcnt(3)
	v_fma_f32 v3, v6, v135, -v3
	v_mul_f32_e32 v141, v8, v132
	v_fmac_f32_e32 v140, v7, v135
	v_add_f32_e32 v2, v2, v4
	v_add_f32_e32 v1, v1, v139
	s_waitcnt vmcnt(2)
	v_fma_f32 v4, v8, v136, -v5
	v_fmac_f32_e32 v141, v9, v136
	v_add_f32_e32 v2, v2, v3
	v_add_f32_e32 v1, v1, v140
	;; [unrolled: 1-line block ×4, first 2 shown]
	s_waitcnt vmcnt(1)
	v_sub_f32_e32 v2, v137, v2
	s_waitcnt vmcnt(0)
	v_sub_f32_e32 v1, v138, v1
	buffer_store_dword v2, off, s[0:3], 0 offset:432
	buffer_store_dword v1, off, s[0:3], 0 offset:436
	v_cmpx_lt_u32_e32 53, v0
	s_cbranch_execz .LBB58_261
; %bb.260:
	s_clause 0x1
	buffer_load_dword v1, off, s[0:3], 0 offset:424
	buffer_load_dword v2, off, s[0:3], 0 offset:428
	v_mov_b32_e32 v3, 0
	buffer_store_dword v3, off, s[0:3], 0 offset:424
	buffer_store_dword v3, off, s[0:3], 0 offset:428
	s_waitcnt vmcnt(0)
	ds_write_b64 v131, v[1:2]
.LBB58_261:
	s_or_b32 exec_lo, exec_lo, s4
	s_waitcnt lgkmcnt(0)
	s_waitcnt_vscnt null, 0x0
	s_barrier
	buffer_gl0_inv
	s_clause 0xb
	buffer_load_dword v12, off, s[0:3], 0 offset:436
	buffer_load_dword v132, off, s[0:3], 0 offset:444
	;; [unrolled: 1-line block ×12, first 2 shown]
	v_mov_b32_e32 v1, 0
	ds_read_b128 v[2:5], v1 offset:912
	ds_read_b128 v[6:9], v1 offset:928
	ds_read_b64 v[10:11], v1 offset:944
	s_mov_b32 s4, exec_lo
	s_waitcnt vmcnt(11) lgkmcnt(2)
	v_mul_f32_e32 v143, v2, v12
	v_mul_f32_e32 v12, v3, v12
	s_waitcnt vmcnt(10)
	v_mul_f32_e32 v144, v4, v132
	v_mul_f32_e32 v132, v5, v132
	s_waitcnt vmcnt(9) lgkmcnt(1)
	v_mul_f32_e32 v145, v6, v133
	s_waitcnt vmcnt(6)
	v_fmac_f32_e32 v143, v3, v136
	v_fma_f32 v2, v2, v136, -v12
	v_mul_f32_e32 v3, v7, v133
	s_waitcnt vmcnt(5)
	v_fma_f32 v4, v4, v137, -v132
	v_fmac_f32_e32 v144, v5, v137
	v_add_f32_e32 v5, 0, v143
	v_add_f32_e32 v2, 0, v2
	v_mul_f32_e32 v12, v9, v134
	s_waitcnt vmcnt(4)
	v_fma_f32 v3, v6, v138, -v3
	v_mul_f32_e32 v146, v8, v134
	v_fmac_f32_e32 v145, v7, v138
	v_add_f32_e32 v2, v2, v4
	v_add_f32_e32 v4, v5, v144
	s_waitcnt lgkmcnt(0)
	v_mul_f32_e32 v5, v11, v135
	s_waitcnt vmcnt(3)
	v_fma_f32 v6, v8, v139, -v12
	v_mul_f32_e32 v147, v10, v135
	v_add_f32_e32 v2, v2, v3
	v_fmac_f32_e32 v146, v9, v139
	v_add_f32_e32 v3, v4, v145
	s_waitcnt vmcnt(2)
	v_fma_f32 v4, v10, v140, -v5
	v_fmac_f32_e32 v147, v11, v140
	v_add_f32_e32 v2, v2, v6
	v_add_f32_e32 v3, v3, v146
	;; [unrolled: 1-line block ×4, first 2 shown]
	s_waitcnt vmcnt(1)
	v_sub_f32_e32 v2, v141, v2
	s_waitcnt vmcnt(0)
	v_sub_f32_e32 v3, v142, v3
	buffer_store_dword v2, off, s[0:3], 0 offset:424
	buffer_store_dword v3, off, s[0:3], 0 offset:428
	v_cmpx_lt_u32_e32 52, v0
	s_cbranch_execz .LBB58_263
; %bb.262:
	s_clause 0x1
	buffer_load_dword v2, off, s[0:3], 0 offset:416
	buffer_load_dword v3, off, s[0:3], 0 offset:420
	buffer_store_dword v1, off, s[0:3], 0 offset:416
	buffer_store_dword v1, off, s[0:3], 0 offset:420
	s_waitcnt vmcnt(0)
	ds_write_b64 v131, v[2:3]
.LBB58_263:
	s_or_b32 exec_lo, exec_lo, s4
	s_waitcnt lgkmcnt(0)
	s_waitcnt_vscnt null, 0x0
	s_barrier
	buffer_gl0_inv
	s_clause 0xd
	buffer_load_dword v10, off, s[0:3], 0 offset:428
	buffer_load_dword v11, off, s[0:3], 0 offset:436
	;; [unrolled: 1-line block ×14, first 2 shown]
	ds_read2_b64 v[2:5], v1 offset0:113 offset1:114
	ds_read2_b64 v[6:9], v1 offset0:115 offset1:116
	;; [unrolled: 1-line block ×3, first 2 shown]
	s_mov_b32 s4, exec_lo
	s_waitcnt vmcnt(13) lgkmcnt(2)
	v_mul_f32_e32 v1, v2, v10
	v_mul_f32_e32 v10, v3, v10
	s_waitcnt vmcnt(12)
	v_mul_f32_e32 v147, v4, v11
	v_mul_f32_e32 v11, v5, v11
	s_waitcnt vmcnt(11) lgkmcnt(1)
	v_mul_f32_e32 v148, v6, v12
	s_waitcnt vmcnt(10)
	v_mul_f32_e32 v149, v8, v136
	s_waitcnt vmcnt(7)
	v_fma_f32 v2, v2, v139, -v10
	v_fmac_f32_e32 v1, v3, v139
	v_mul_f32_e32 v3, v7, v12
	s_waitcnt vmcnt(6)
	v_fma_f32 v4, v4, v140, -v11
	v_fmac_f32_e32 v147, v5, v140
	v_add_f32_e32 v2, 0, v2
	v_add_f32_e32 v1, 0, v1
	v_mul_f32_e32 v5, v9, v136
	s_waitcnt vmcnt(5)
	v_fma_f32 v3, v6, v141, -v3
	v_fmac_f32_e32 v148, v7, v141
	v_add_f32_e32 v2, v2, v4
	v_add_f32_e32 v1, v1, v147
	s_waitcnt lgkmcnt(0)
	v_mul_f32_e32 v4, v133, v137
	s_waitcnt vmcnt(4)
	v_fma_f32 v5, v8, v142, -v5
	v_mul_f32_e32 v150, v132, v137
	v_add_f32_e32 v2, v2, v3
	v_fmac_f32_e32 v149, v9, v142
	v_add_f32_e32 v1, v1, v148
	v_mul_f32_e32 v3, v135, v138
	s_waitcnt vmcnt(3)
	v_fma_f32 v4, v132, v143, -v4
	v_add_f32_e32 v2, v2, v5
	v_mul_f32_e32 v151, v134, v138
	v_fmac_f32_e32 v150, v133, v143
	v_add_f32_e32 v1, v1, v149
	s_waitcnt vmcnt(2)
	v_fma_f32 v3, v134, v144, -v3
	v_add_f32_e32 v2, v2, v4
	v_fmac_f32_e32 v151, v135, v144
	v_add_f32_e32 v1, v1, v150
	v_add_f32_e32 v2, v2, v3
	;; [unrolled: 1-line block ×3, first 2 shown]
	s_waitcnt vmcnt(1)
	v_sub_f32_e32 v2, v145, v2
	s_waitcnt vmcnt(0)
	v_sub_f32_e32 v1, v146, v1
	buffer_store_dword v2, off, s[0:3], 0 offset:416
	buffer_store_dword v1, off, s[0:3], 0 offset:420
	v_cmpx_lt_u32_e32 51, v0
	s_cbranch_execz .LBB58_265
; %bb.264:
	s_clause 0x1
	buffer_load_dword v1, off, s[0:3], 0 offset:408
	buffer_load_dword v2, off, s[0:3], 0 offset:412
	v_mov_b32_e32 v3, 0
	buffer_store_dword v3, off, s[0:3], 0 offset:408
	buffer_store_dword v3, off, s[0:3], 0 offset:412
	s_waitcnt vmcnt(0)
	ds_write_b64 v131, v[1:2]
.LBB58_265:
	s_or_b32 exec_lo, exec_lo, s4
	s_waitcnt lgkmcnt(0)
	s_waitcnt_vscnt null, 0x0
	s_barrier
	buffer_gl0_inv
	s_clause 0xf
	buffer_load_dword v12, off, s[0:3], 0 offset:420
	buffer_load_dword v136, off, s[0:3], 0 offset:428
	buffer_load_dword v137, off, s[0:3], 0 offset:436
	buffer_load_dword v138, off, s[0:3], 0 offset:444
	buffer_load_dword v139, off, s[0:3], 0 offset:452
	buffer_load_dword v140, off, s[0:3], 0 offset:460
	buffer_load_dword v141, off, s[0:3], 0 offset:468
	buffer_load_dword v142, off, s[0:3], 0 offset:416
	buffer_load_dword v143, off, s[0:3], 0 offset:424
	buffer_load_dword v144, off, s[0:3], 0 offset:432
	buffer_load_dword v145, off, s[0:3], 0 offset:440
	buffer_load_dword v146, off, s[0:3], 0 offset:448
	buffer_load_dword v147, off, s[0:3], 0 offset:456
	buffer_load_dword v148, off, s[0:3], 0 offset:464
	buffer_load_dword v149, off, s[0:3], 0 offset:408
	buffer_load_dword v150, off, s[0:3], 0 offset:412
	v_mov_b32_e32 v1, 0
	ds_read_b128 v[2:5], v1 offset:896
	ds_read_b128 v[6:9], v1 offset:912
	ds_read_b128 v[132:135], v1 offset:928
	ds_read_b64 v[10:11], v1 offset:944
	s_mov_b32 s4, exec_lo
	s_waitcnt vmcnt(15) lgkmcnt(3)
	v_mul_f32_e32 v151, v2, v12
	v_mul_f32_e32 v12, v3, v12
	s_waitcnt vmcnt(14)
	v_mul_f32_e32 v152, v4, v136
	v_mul_f32_e32 v136, v5, v136
	s_waitcnt vmcnt(13) lgkmcnt(2)
	v_mul_f32_e32 v153, v6, v137
	s_waitcnt vmcnt(12)
	v_mul_f32_e32 v154, v8, v138
	s_waitcnt vmcnt(11) lgkmcnt(1)
	v_mul_f32_e32 v155, v132, v139
	s_waitcnt vmcnt(8)
	v_fma_f32 v2, v2, v142, -v12
	v_fmac_f32_e32 v151, v3, v142
	v_mul_f32_e32 v3, v7, v137
	s_waitcnt vmcnt(7)
	v_fma_f32 v4, v4, v143, -v136
	v_fmac_f32_e32 v152, v5, v143
	v_add_f32_e32 v2, 0, v2
	v_add_f32_e32 v5, 0, v151
	v_mul_f32_e32 v12, v9, v138
	s_waitcnt vmcnt(6)
	v_fma_f32 v3, v6, v144, -v3
	v_fmac_f32_e32 v153, v7, v144
	v_add_f32_e32 v2, v2, v4
	v_add_f32_e32 v4, v5, v152
	;; [unrolled: 6-line block ×3, first 2 shown]
	v_mul_f32_e32 v4, v135, v140
	s_waitcnt vmcnt(4)
	v_fma_f32 v5, v132, v146, -v5
	v_mul_f32_e32 v156, v134, v140
	v_add_f32_e32 v2, v2, v6
	v_fmac_f32_e32 v155, v133, v146
	v_add_f32_e32 v3, v3, v154
	s_waitcnt lgkmcnt(0)
	v_mul_f32_e32 v6, v11, v141
	s_waitcnt vmcnt(3)
	v_fma_f32 v4, v134, v147, -v4
	v_add_f32_e32 v2, v2, v5
	v_mul_f32_e32 v157, v10, v141
	v_fmac_f32_e32 v156, v135, v147
	v_add_f32_e32 v3, v3, v155
	s_waitcnt vmcnt(2)
	v_fma_f32 v5, v10, v148, -v6
	v_add_f32_e32 v2, v2, v4
	v_fmac_f32_e32 v157, v11, v148
	v_add_f32_e32 v3, v3, v156
	v_add_f32_e32 v2, v2, v5
	;; [unrolled: 1-line block ×3, first 2 shown]
	s_waitcnt vmcnt(1)
	v_sub_f32_e32 v2, v149, v2
	s_waitcnt vmcnt(0)
	v_sub_f32_e32 v3, v150, v3
	buffer_store_dword v2, off, s[0:3], 0 offset:408
	buffer_store_dword v3, off, s[0:3], 0 offset:412
	v_cmpx_lt_u32_e32 50, v0
	s_cbranch_execz .LBB58_267
; %bb.266:
	s_clause 0x1
	buffer_load_dword v2, off, s[0:3], 0 offset:400
	buffer_load_dword v3, off, s[0:3], 0 offset:404
	buffer_store_dword v1, off, s[0:3], 0 offset:400
	buffer_store_dword v1, off, s[0:3], 0 offset:404
	s_waitcnt vmcnt(0)
	ds_write_b64 v131, v[2:3]
.LBB58_267:
	s_or_b32 exec_lo, exec_lo, s4
	s_waitcnt lgkmcnt(0)
	s_waitcnt_vscnt null, 0x0
	s_barrier
	buffer_gl0_inv
	s_clause 0x11
	buffer_load_dword v10, off, s[0:3], 0 offset:412
	buffer_load_dword v11, off, s[0:3], 0 offset:420
	;; [unrolled: 1-line block ×18, first 2 shown]
	ds_read2_b64 v[2:5], v1 offset0:111 offset1:112
	ds_read2_b64 v[6:9], v1 offset0:113 offset1:114
	;; [unrolled: 1-line block ×4, first 2 shown]
	s_mov_b32 s4, exec_lo
	s_waitcnt vmcnt(17) lgkmcnt(3)
	v_mul_f32_e32 v1, v2, v10
	v_mul_f32_e32 v10, v3, v10
	s_waitcnt vmcnt(16)
	v_mul_f32_e32 v155, v4, v11
	v_mul_f32_e32 v11, v5, v11
	s_waitcnt vmcnt(15) lgkmcnt(2)
	v_mul_f32_e32 v156, v6, v12
	s_waitcnt vmcnt(14)
	v_mul_f32_e32 v157, v8, v140
	s_waitcnt vmcnt(13) lgkmcnt(1)
	v_mul_f32_e32 v158, v132, v141
	s_waitcnt vmcnt(12)
	v_mul_f32_e32 v159, v134, v142
	s_waitcnt vmcnt(9)
	v_fma_f32 v2, v2, v145, -v10
	v_fmac_f32_e32 v1, v3, v145
	v_mul_f32_e32 v3, v7, v12
	s_waitcnt vmcnt(8)
	v_fma_f32 v4, v4, v146, -v11
	v_fmac_f32_e32 v155, v5, v146
	v_add_f32_e32 v2, 0, v2
	v_add_f32_e32 v1, 0, v1
	v_mul_f32_e32 v5, v9, v140
	s_waitcnt vmcnt(7)
	v_fma_f32 v3, v6, v147, -v3
	v_fmac_f32_e32 v156, v7, v147
	v_add_f32_e32 v2, v2, v4
	v_add_f32_e32 v1, v1, v155
	;; [unrolled: 6-line block ×4, first 2 shown]
	s_waitcnt lgkmcnt(0)
	v_mul_f32_e32 v5, v137, v143
	s_waitcnt vmcnt(4)
	v_fma_f32 v3, v134, v150, -v3
	v_mul_f32_e32 v160, v136, v143
	v_add_f32_e32 v2, v2, v4
	v_fmac_f32_e32 v159, v135, v150
	v_add_f32_e32 v1, v1, v158
	v_mul_f32_e32 v4, v139, v144
	s_waitcnt vmcnt(3)
	v_fma_f32 v5, v136, v151, -v5
	v_add_f32_e32 v2, v2, v3
	v_mul_f32_e32 v161, v138, v144
	v_fmac_f32_e32 v160, v137, v151
	v_add_f32_e32 v1, v1, v159
	s_waitcnt vmcnt(2)
	v_fma_f32 v3, v138, v152, -v4
	v_add_f32_e32 v2, v2, v5
	v_fmac_f32_e32 v161, v139, v152
	v_add_f32_e32 v1, v1, v160
	v_add_f32_e32 v2, v2, v3
	;; [unrolled: 1-line block ×3, first 2 shown]
	s_waitcnt vmcnt(1)
	v_sub_f32_e32 v2, v153, v2
	s_waitcnt vmcnt(0)
	v_sub_f32_e32 v1, v154, v1
	buffer_store_dword v2, off, s[0:3], 0 offset:400
	buffer_store_dword v1, off, s[0:3], 0 offset:404
	v_cmpx_lt_u32_e32 49, v0
	s_cbranch_execz .LBB58_269
; %bb.268:
	s_clause 0x1
	buffer_load_dword v1, off, s[0:3], 0 offset:392
	buffer_load_dword v2, off, s[0:3], 0 offset:396
	v_mov_b32_e32 v3, 0
	buffer_store_dword v3, off, s[0:3], 0 offset:392
	buffer_store_dword v3, off, s[0:3], 0 offset:396
	s_waitcnt vmcnt(0)
	ds_write_b64 v131, v[1:2]
.LBB58_269:
	s_or_b32 exec_lo, exec_lo, s4
	s_waitcnt lgkmcnt(0)
	s_waitcnt_vscnt null, 0x0
	s_barrier
	buffer_gl0_inv
	s_clause 0x13
	buffer_load_dword v12, off, s[0:3], 0 offset:404
	buffer_load_dword v140, off, s[0:3], 0 offset:412
	;; [unrolled: 1-line block ×20, first 2 shown]
	v_mov_b32_e32 v1, 0
	ds_read_b128 v[2:5], v1 offset:880
	ds_read_b128 v[6:9], v1 offset:896
	;; [unrolled: 1-line block ×4, first 2 shown]
	ds_read_b64 v[10:11], v1 offset:944
	s_mov_b32 s4, exec_lo
	s_waitcnt vmcnt(19) lgkmcnt(4)
	v_mul_f32_e32 v159, v2, v12
	v_mul_f32_e32 v12, v3, v12
	s_waitcnt vmcnt(18)
	v_mul_f32_e32 v160, v4, v140
	v_mul_f32_e32 v140, v5, v140
	s_waitcnt vmcnt(17) lgkmcnt(3)
	v_mul_f32_e32 v161, v6, v141
	s_waitcnt vmcnt(16)
	v_mul_f32_e32 v162, v8, v142
	s_waitcnt vmcnt(15) lgkmcnt(2)
	v_mul_f32_e32 v163, v132, v143
	s_waitcnt vmcnt(14)
	;; [unrolled: 4-line block ×3, first 2 shown]
	v_fma_f32 v2, v2, v148, -v12
	v_fmac_f32_e32 v159, v3, v148
	v_mul_f32_e32 v3, v7, v141
	s_waitcnt vmcnt(9)
	v_fma_f32 v4, v4, v149, -v140
	v_fmac_f32_e32 v160, v5, v149
	v_add_f32_e32 v2, 0, v2
	v_add_f32_e32 v5, 0, v159
	v_mul_f32_e32 v12, v9, v142
	s_waitcnt vmcnt(8)
	v_fma_f32 v3, v6, v150, -v3
	v_fmac_f32_e32 v161, v7, v150
	v_add_f32_e32 v2, v2, v4
	v_add_f32_e32 v4, v5, v160
	;; [unrolled: 6-line block ×5, first 2 shown]
	v_mul_f32_e32 v5, v139, v146
	s_waitcnt vmcnt(4)
	v_fma_f32 v6, v136, v154, -v6
	v_mul_f32_e32 v166, v138, v146
	v_add_f32_e32 v2, v2, v4
	v_fmac_f32_e32 v165, v137, v154
	v_add_f32_e32 v3, v3, v164
	s_waitcnt lgkmcnt(0)
	v_mul_f32_e32 v4, v11, v147
	s_waitcnt vmcnt(3)
	v_fma_f32 v5, v138, v155, -v5
	v_add_f32_e32 v2, v2, v6
	v_mul_f32_e32 v167, v10, v147
	v_fmac_f32_e32 v166, v139, v155
	v_add_f32_e32 v3, v3, v165
	s_waitcnt vmcnt(2)
	v_fma_f32 v4, v10, v156, -v4
	v_add_f32_e32 v2, v2, v5
	v_fmac_f32_e32 v167, v11, v156
	v_add_f32_e32 v3, v3, v166
	v_add_f32_e32 v2, v2, v4
	;; [unrolled: 1-line block ×3, first 2 shown]
	s_waitcnt vmcnt(1)
	v_sub_f32_e32 v2, v157, v2
	s_waitcnt vmcnt(0)
	v_sub_f32_e32 v3, v158, v3
	buffer_store_dword v2, off, s[0:3], 0 offset:392
	buffer_store_dword v3, off, s[0:3], 0 offset:396
	v_cmpx_lt_u32_e32 48, v0
	s_cbranch_execz .LBB58_271
; %bb.270:
	s_clause 0x1
	buffer_load_dword v2, off, s[0:3], 0 offset:384
	buffer_load_dword v3, off, s[0:3], 0 offset:388
	buffer_store_dword v1, off, s[0:3], 0 offset:384
	buffer_store_dword v1, off, s[0:3], 0 offset:388
	s_waitcnt vmcnt(0)
	ds_write_b64 v131, v[2:3]
.LBB58_271:
	s_or_b32 exec_lo, exec_lo, s4
	s_waitcnt lgkmcnt(0)
	s_waitcnt_vscnt null, 0x0
	s_barrier
	buffer_gl0_inv
	s_clause 0x15
	buffer_load_dword v10, off, s[0:3], 0 offset:396
	buffer_load_dword v11, off, s[0:3], 0 offset:404
	;; [unrolled: 1-line block ×22, first 2 shown]
	ds_read2_b64 v[2:5], v1 offset0:109 offset1:110
	ds_read2_b64 v[6:9], v1 offset0:111 offset1:112
	;; [unrolled: 1-line block ×5, first 2 shown]
	s_mov_b32 s4, exec_lo
	s_waitcnt vmcnt(21) lgkmcnt(4)
	v_mul_f32_e32 v1, v2, v10
	v_mul_f32_e32 v10, v3, v10
	s_waitcnt vmcnt(20)
	v_mul_f32_e32 v163, v4, v11
	v_mul_f32_e32 v11, v5, v11
	s_waitcnt vmcnt(19) lgkmcnt(3)
	v_mul_f32_e32 v164, v6, v12
	s_waitcnt vmcnt(18)
	v_mul_f32_e32 v165, v8, v144
	s_waitcnt vmcnt(17) lgkmcnt(2)
	v_mul_f32_e32 v166, v132, v145
	s_waitcnt vmcnt(16)
	;; [unrolled: 4-line block ×3, first 2 shown]
	v_mul_f32_e32 v169, v138, v148
	s_waitcnt vmcnt(11)
	v_fma_f32 v2, v2, v151, -v10
	v_fmac_f32_e32 v1, v3, v151
	v_mul_f32_e32 v3, v7, v12
	s_waitcnt vmcnt(10)
	v_fma_f32 v4, v4, v152, -v11
	v_fmac_f32_e32 v163, v5, v152
	v_add_f32_e32 v2, 0, v2
	v_add_f32_e32 v1, 0, v1
	v_mul_f32_e32 v5, v9, v144
	s_waitcnt vmcnt(9)
	v_fma_f32 v3, v6, v153, -v3
	v_fmac_f32_e32 v164, v7, v153
	v_add_f32_e32 v2, v2, v4
	v_add_f32_e32 v1, v1, v163
	;; [unrolled: 6-line block ×6, first 2 shown]
	s_waitcnt lgkmcnt(0)
	v_mul_f32_e32 v3, v141, v149
	s_waitcnt vmcnt(4)
	v_fma_f32 v4, v138, v158, -v4
	v_mul_f32_e32 v170, v140, v149
	v_add_f32_e32 v2, v2, v5
	v_fmac_f32_e32 v169, v139, v158
	v_add_f32_e32 v1, v1, v168
	v_mul_f32_e32 v5, v143, v150
	s_waitcnt vmcnt(3)
	v_fma_f32 v3, v140, v159, -v3
	v_add_f32_e32 v2, v2, v4
	v_mul_f32_e32 v171, v142, v150
	v_fmac_f32_e32 v170, v141, v159
	v_add_f32_e32 v1, v1, v169
	s_waitcnt vmcnt(2)
	v_fma_f32 v4, v142, v160, -v5
	v_add_f32_e32 v2, v2, v3
	v_fmac_f32_e32 v171, v143, v160
	v_add_f32_e32 v1, v1, v170
	v_add_f32_e32 v2, v2, v4
	;; [unrolled: 1-line block ×3, first 2 shown]
	s_waitcnt vmcnt(1)
	v_sub_f32_e32 v2, v161, v2
	s_waitcnt vmcnt(0)
	v_sub_f32_e32 v1, v162, v1
	buffer_store_dword v2, off, s[0:3], 0 offset:384
	buffer_store_dword v1, off, s[0:3], 0 offset:388
	v_cmpx_lt_u32_e32 47, v0
	s_cbranch_execz .LBB58_273
; %bb.272:
	s_clause 0x1
	buffer_load_dword v1, off, s[0:3], 0 offset:376
	buffer_load_dword v2, off, s[0:3], 0 offset:380
	v_mov_b32_e32 v3, 0
	buffer_store_dword v3, off, s[0:3], 0 offset:376
	buffer_store_dword v3, off, s[0:3], 0 offset:380
	s_waitcnt vmcnt(0)
	ds_write_b64 v131, v[1:2]
.LBB58_273:
	s_or_b32 exec_lo, exec_lo, s4
	s_waitcnt lgkmcnt(0)
	s_waitcnt_vscnt null, 0x0
	s_barrier
	buffer_gl0_inv
	s_clause 0x17
	buffer_load_dword v12, off, s[0:3], 0 offset:388
	buffer_load_dword v144, off, s[0:3], 0 offset:396
	;; [unrolled: 1-line block ×24, first 2 shown]
	v_mov_b32_e32 v1, 0
	ds_read_b128 v[2:5], v1 offset:864
	ds_read_b128 v[6:9], v1 offset:880
	;; [unrolled: 1-line block ×5, first 2 shown]
	ds_read_b64 v[10:11], v1 offset:944
	s_mov_b32 s4, exec_lo
	s_waitcnt vmcnt(23) lgkmcnt(5)
	v_mul_f32_e32 v167, v2, v12
	v_mul_f32_e32 v12, v3, v12
	s_waitcnt vmcnt(22)
	v_mul_f32_e32 v168, v4, v144
	v_mul_f32_e32 v144, v5, v144
	s_waitcnt vmcnt(21) lgkmcnt(4)
	v_mul_f32_e32 v169, v6, v145
	s_waitcnt vmcnt(20)
	v_mul_f32_e32 v170, v8, v146
	s_waitcnt vmcnt(19) lgkmcnt(3)
	v_mul_f32_e32 v171, v132, v147
	s_waitcnt vmcnt(18)
	;; [unrolled: 4-line block ×4, first 2 shown]
	v_fma_f32 v2, v2, v154, -v12
	v_fmac_f32_e32 v167, v3, v154
	v_mul_f32_e32 v3, v7, v145
	s_waitcnt vmcnt(11)
	v_fma_f32 v4, v4, v155, -v144
	v_fmac_f32_e32 v168, v5, v155
	v_add_f32_e32 v2, 0, v2
	v_add_f32_e32 v5, 0, v167
	v_mul_f32_e32 v12, v9, v146
	s_waitcnt vmcnt(10)
	v_fma_f32 v3, v6, v156, -v3
	v_fmac_f32_e32 v169, v7, v156
	v_add_f32_e32 v2, v2, v4
	v_add_f32_e32 v4, v5, v168
	;; [unrolled: 6-line block ×7, first 2 shown]
	v_mul_f32_e32 v6, v143, v152
	s_waitcnt vmcnt(4)
	v_fma_f32 v4, v140, v162, -v4
	v_mul_f32_e32 v176, v142, v152
	v_add_f32_e32 v2, v2, v5
	v_fmac_f32_e32 v175, v141, v162
	v_add_f32_e32 v3, v3, v174
	s_waitcnt lgkmcnt(0)
	v_mul_f32_e32 v5, v11, v153
	s_waitcnt vmcnt(3)
	v_fma_f32 v6, v142, v163, -v6
	v_add_f32_e32 v2, v2, v4
	v_mul_f32_e32 v177, v10, v153
	v_fmac_f32_e32 v176, v143, v163
	v_add_f32_e32 v3, v3, v175
	s_waitcnt vmcnt(2)
	v_fma_f32 v4, v10, v164, -v5
	v_add_f32_e32 v2, v2, v6
	v_fmac_f32_e32 v177, v11, v164
	v_add_f32_e32 v3, v3, v176
	v_add_f32_e32 v2, v2, v4
	;; [unrolled: 1-line block ×3, first 2 shown]
	s_waitcnt vmcnt(1)
	v_sub_f32_e32 v2, v165, v2
	s_waitcnt vmcnt(0)
	v_sub_f32_e32 v3, v166, v3
	buffer_store_dword v2, off, s[0:3], 0 offset:376
	buffer_store_dword v3, off, s[0:3], 0 offset:380
	v_cmpx_lt_u32_e32 46, v0
	s_cbranch_execz .LBB58_275
; %bb.274:
	s_clause 0x1
	buffer_load_dword v2, off, s[0:3], 0 offset:368
	buffer_load_dword v3, off, s[0:3], 0 offset:372
	buffer_store_dword v1, off, s[0:3], 0 offset:368
	buffer_store_dword v1, off, s[0:3], 0 offset:372
	s_waitcnt vmcnt(0)
	ds_write_b64 v131, v[2:3]
.LBB58_275:
	s_or_b32 exec_lo, exec_lo, s4
	s_waitcnt lgkmcnt(0)
	s_waitcnt_vscnt null, 0x0
	s_barrier
	buffer_gl0_inv
	s_clause 0x19
	buffer_load_dword v10, off, s[0:3], 0 offset:380
	buffer_load_dword v11, off, s[0:3], 0 offset:388
	;; [unrolled: 1-line block ×26, first 2 shown]
	ds_read2_b64 v[2:5], v1 offset0:107 offset1:108
	ds_read2_b64 v[6:9], v1 offset0:109 offset1:110
	;; [unrolled: 1-line block ×6, first 2 shown]
	s_mov_b32 s4, exec_lo
	s_waitcnt vmcnt(25) lgkmcnt(5)
	v_mul_f32_e32 v1, v2, v10
	v_mul_f32_e32 v10, v3, v10
	s_waitcnt vmcnt(24)
	v_mul_f32_e32 v171, v4, v11
	v_mul_f32_e32 v11, v5, v11
	s_waitcnt vmcnt(23) lgkmcnt(4)
	v_mul_f32_e32 v172, v6, v12
	s_waitcnt vmcnt(22)
	v_mul_f32_e32 v173, v8, v148
	s_waitcnt vmcnt(21) lgkmcnt(3)
	v_mul_f32_e32 v174, v132, v149
	s_waitcnt vmcnt(20)
	;; [unrolled: 4-line block ×4, first 2 shown]
	v_mul_f32_e32 v179, v142, v154
	s_waitcnt vmcnt(13)
	v_fma_f32 v2, v2, v157, -v10
	v_fmac_f32_e32 v1, v3, v157
	v_mul_f32_e32 v3, v7, v12
	s_waitcnt vmcnt(12)
	v_fma_f32 v4, v4, v158, -v11
	v_fmac_f32_e32 v171, v5, v158
	v_add_f32_e32 v2, 0, v2
	v_add_f32_e32 v1, 0, v1
	v_mul_f32_e32 v5, v9, v148
	s_waitcnt vmcnt(11)
	v_fma_f32 v3, v6, v159, -v3
	v_fmac_f32_e32 v172, v7, v159
	v_add_f32_e32 v2, v2, v4
	v_add_f32_e32 v1, v1, v171
	;; [unrolled: 6-line block ×8, first 2 shown]
	s_waitcnt lgkmcnt(0)
	v_mul_f32_e32 v4, v145, v155
	s_waitcnt vmcnt(4)
	v_fma_f32 v5, v142, v166, -v5
	v_mul_f32_e32 v180, v144, v155
	v_add_f32_e32 v2, v2, v3
	v_fmac_f32_e32 v179, v143, v166
	v_add_f32_e32 v1, v1, v178
	v_mul_f32_e32 v3, v147, v156
	s_waitcnt vmcnt(3)
	v_fma_f32 v4, v144, v167, -v4
	v_add_f32_e32 v2, v2, v5
	v_mul_f32_e32 v181, v146, v156
	v_fmac_f32_e32 v180, v145, v167
	v_add_f32_e32 v1, v1, v179
	s_waitcnt vmcnt(2)
	v_fma_f32 v3, v146, v168, -v3
	v_add_f32_e32 v2, v2, v4
	v_fmac_f32_e32 v181, v147, v168
	v_add_f32_e32 v1, v1, v180
	v_add_f32_e32 v2, v2, v3
	;; [unrolled: 1-line block ×3, first 2 shown]
	s_waitcnt vmcnt(1)
	v_sub_f32_e32 v2, v169, v2
	s_waitcnt vmcnt(0)
	v_sub_f32_e32 v1, v170, v1
	buffer_store_dword v2, off, s[0:3], 0 offset:368
	buffer_store_dword v1, off, s[0:3], 0 offset:372
	v_cmpx_lt_u32_e32 45, v0
	s_cbranch_execz .LBB58_277
; %bb.276:
	s_clause 0x1
	buffer_load_dword v1, off, s[0:3], 0 offset:360
	buffer_load_dword v2, off, s[0:3], 0 offset:364
	v_mov_b32_e32 v3, 0
	buffer_store_dword v3, off, s[0:3], 0 offset:360
	buffer_store_dword v3, off, s[0:3], 0 offset:364
	s_waitcnt vmcnt(0)
	ds_write_b64 v131, v[1:2]
.LBB58_277:
	s_or_b32 exec_lo, exec_lo, s4
	s_waitcnt lgkmcnt(0)
	s_waitcnt_vscnt null, 0x0
	s_barrier
	buffer_gl0_inv
	s_clause 0x1b
	buffer_load_dword v12, off, s[0:3], 0 offset:372
	buffer_load_dword v148, off, s[0:3], 0 offset:380
	;; [unrolled: 1-line block ×28, first 2 shown]
	v_mov_b32_e32 v1, 0
	ds_read_b128 v[2:5], v1 offset:848
	ds_read_b128 v[6:9], v1 offset:864
	;; [unrolled: 1-line block ×6, first 2 shown]
	ds_read_b64 v[10:11], v1 offset:944
	s_mov_b32 s4, exec_lo
	s_waitcnt vmcnt(27) lgkmcnt(6)
	v_mul_f32_e32 v175, v2, v12
	v_mul_f32_e32 v12, v3, v12
	s_waitcnt vmcnt(26)
	v_mul_f32_e32 v176, v4, v148
	v_mul_f32_e32 v148, v5, v148
	s_waitcnt vmcnt(25) lgkmcnt(5)
	v_mul_f32_e32 v177, v6, v149
	s_waitcnt vmcnt(24)
	v_mul_f32_e32 v178, v8, v150
	s_waitcnt vmcnt(23) lgkmcnt(4)
	v_mul_f32_e32 v179, v132, v151
	s_waitcnt vmcnt(22)
	;; [unrolled: 4-line block ×5, first 2 shown]
	v_fma_f32 v2, v2, v160, -v12
	v_fmac_f32_e32 v175, v3, v160
	v_mul_f32_e32 v3, v7, v149
	s_waitcnt vmcnt(13)
	v_fma_f32 v4, v4, v161, -v148
	v_fmac_f32_e32 v176, v5, v161
	v_add_f32_e32 v2, 0, v2
	v_add_f32_e32 v5, 0, v175
	v_mul_f32_e32 v12, v9, v150
	s_waitcnt vmcnt(12)
	v_fma_f32 v3, v6, v162, -v3
	v_fmac_f32_e32 v177, v7, v162
	v_add_f32_e32 v2, v2, v4
	v_add_f32_e32 v4, v5, v176
	;; [unrolled: 6-line block ×9, first 2 shown]
	v_mul_f32_e32 v4, v147, v158
	s_waitcnt vmcnt(4)
	v_fma_f32 v5, v144, v170, -v5
	v_mul_f32_e32 v186, v146, v158
	v_add_f32_e32 v2, v2, v6
	v_fmac_f32_e32 v185, v145, v170
	v_add_f32_e32 v3, v3, v184
	s_waitcnt lgkmcnt(0)
	v_mul_f32_e32 v6, v11, v159
	s_waitcnt vmcnt(3)
	v_fma_f32 v4, v146, v171, -v4
	v_add_f32_e32 v2, v2, v5
	v_mul_f32_e32 v187, v10, v159
	v_fmac_f32_e32 v186, v147, v171
	v_add_f32_e32 v3, v3, v185
	s_waitcnt vmcnt(2)
	v_fma_f32 v5, v10, v172, -v6
	v_add_f32_e32 v2, v2, v4
	v_fmac_f32_e32 v187, v11, v172
	v_add_f32_e32 v3, v3, v186
	v_add_f32_e32 v2, v2, v5
	;; [unrolled: 1-line block ×3, first 2 shown]
	s_waitcnt vmcnt(1)
	v_sub_f32_e32 v2, v173, v2
	s_waitcnt vmcnt(0)
	v_sub_f32_e32 v3, v174, v3
	buffer_store_dword v2, off, s[0:3], 0 offset:360
	buffer_store_dword v3, off, s[0:3], 0 offset:364
	v_cmpx_lt_u32_e32 44, v0
	s_cbranch_execz .LBB58_279
; %bb.278:
	s_clause 0x1
	buffer_load_dword v2, off, s[0:3], 0 offset:352
	buffer_load_dword v3, off, s[0:3], 0 offset:356
	buffer_store_dword v1, off, s[0:3], 0 offset:352
	buffer_store_dword v1, off, s[0:3], 0 offset:356
	s_waitcnt vmcnt(0)
	ds_write_b64 v131, v[2:3]
.LBB58_279:
	s_or_b32 exec_lo, exec_lo, s4
	s_waitcnt lgkmcnt(0)
	s_waitcnt_vscnt null, 0x0
	s_barrier
	buffer_gl0_inv
	s_clause 0x1d
	buffer_load_dword v10, off, s[0:3], 0 offset:364
	buffer_load_dword v11, off, s[0:3], 0 offset:372
	;; [unrolled: 1-line block ×30, first 2 shown]
	ds_read2_b64 v[2:5], v1 offset0:105 offset1:106
	ds_read2_b64 v[6:9], v1 offset0:107 offset1:108
	;; [unrolled: 1-line block ×7, first 2 shown]
	s_mov_b32 s4, exec_lo
	s_waitcnt vmcnt(29) lgkmcnt(6)
	v_mul_f32_e32 v1, v2, v10
	v_mul_f32_e32 v10, v3, v10
	s_waitcnt vmcnt(28)
	v_mul_f32_e32 v179, v4, v11
	v_mul_f32_e32 v11, v5, v11
	s_waitcnt vmcnt(27) lgkmcnt(5)
	v_mul_f32_e32 v180, v6, v12
	s_waitcnt vmcnt(26)
	v_mul_f32_e32 v181, v8, v152
	s_waitcnt vmcnt(25) lgkmcnt(4)
	v_mul_f32_e32 v182, v132, v153
	s_waitcnt vmcnt(24)
	v_mul_f32_e32 v183, v134, v154
	s_waitcnt vmcnt(23) lgkmcnt(3)
	v_mul_f32_e32 v184, v136, v155
	s_waitcnt vmcnt(22)
	v_mul_f32_e32 v185, v138, v156
	s_waitcnt vmcnt(21) lgkmcnt(2)
	v_mul_f32_e32 v186, v140, v157
	s_waitcnt vmcnt(20)
	v_mul_f32_e32 v187, v142, v158
	s_waitcnt vmcnt(19) lgkmcnt(1)
	v_mul_f32_e32 v188, v144, v159
	s_waitcnt vmcnt(18)
	v_mul_f32_e32 v189, v146, v160
	s_waitcnt vmcnt(15)
	v_fma_f32 v2, v2, v163, -v10
	v_fmac_f32_e32 v1, v3, v163
	v_mul_f32_e32 v3, v7, v12
	s_waitcnt vmcnt(14)
	v_fma_f32 v4, v4, v164, -v11
	v_fmac_f32_e32 v179, v5, v164
	v_add_f32_e32 v2, 0, v2
	v_add_f32_e32 v1, 0, v1
	v_mul_f32_e32 v5, v9, v152
	s_waitcnt vmcnt(13)
	v_fma_f32 v3, v6, v165, -v3
	v_fmac_f32_e32 v180, v7, v165
	v_add_f32_e32 v2, v2, v4
	v_add_f32_e32 v1, v1, v179
	v_mul_f32_e32 v4, v133, v153
	s_waitcnt vmcnt(12)
	v_fma_f32 v5, v8, v166, -v5
	v_fmac_f32_e32 v181, v9, v166
	v_add_f32_e32 v2, v2, v3
	v_add_f32_e32 v1, v1, v180
	v_mul_f32_e32 v3, v135, v154
	s_waitcnt vmcnt(11)
	v_fma_f32 v4, v132, v167, -v4
	v_fmac_f32_e32 v182, v133, v167
	v_add_f32_e32 v2, v2, v5
	v_add_f32_e32 v1, v1, v181
	v_mul_f32_e32 v5, v137, v155
	s_waitcnt vmcnt(10)
	v_fma_f32 v3, v134, v168, -v3
	v_fmac_f32_e32 v183, v135, v168
	v_add_f32_e32 v2, v2, v4
	v_add_f32_e32 v1, v1, v182
	v_mul_f32_e32 v4, v139, v156
	s_waitcnt vmcnt(9)
	v_fma_f32 v5, v136, v169, -v5
	v_fmac_f32_e32 v184, v137, v169
	v_add_f32_e32 v2, v2, v3
	v_add_f32_e32 v1, v1, v183
	v_mul_f32_e32 v3, v141, v157
	s_waitcnt vmcnt(8)
	v_fma_f32 v4, v138, v170, -v4
	v_fmac_f32_e32 v185, v139, v170
	v_add_f32_e32 v2, v2, v5
	v_add_f32_e32 v1, v1, v184
	v_mul_f32_e32 v5, v143, v158
	s_waitcnt vmcnt(7)
	v_fma_f32 v3, v140, v171, -v3
	v_fmac_f32_e32 v186, v141, v171
	v_add_f32_e32 v2, v2, v4
	v_add_f32_e32 v1, v1, v185
	v_mul_f32_e32 v4, v145, v159
	s_waitcnt vmcnt(6)
	v_fma_f32 v5, v142, v172, -v5
	v_fmac_f32_e32 v187, v143, v172
	v_add_f32_e32 v2, v2, v3
	v_add_f32_e32 v1, v1, v186
	v_mul_f32_e32 v3, v147, v160
	s_waitcnt vmcnt(5)
	v_fma_f32 v4, v144, v173, -v4
	v_fmac_f32_e32 v188, v145, v173
	v_add_f32_e32 v2, v2, v5
	v_add_f32_e32 v1, v1, v187
	s_waitcnt lgkmcnt(0)
	v_mul_f32_e32 v5, v149, v161
	s_waitcnt vmcnt(4)
	v_fma_f32 v3, v146, v174, -v3
	v_mul_f32_e32 v190, v148, v161
	v_add_f32_e32 v2, v2, v4
	v_fmac_f32_e32 v189, v147, v174
	v_add_f32_e32 v1, v1, v188
	v_mul_f32_e32 v4, v151, v162
	s_waitcnt vmcnt(3)
	v_fma_f32 v5, v148, v175, -v5
	v_add_f32_e32 v2, v2, v3
	v_mul_f32_e32 v191, v150, v162
	v_fmac_f32_e32 v190, v149, v175
	v_add_f32_e32 v1, v1, v189
	s_waitcnt vmcnt(2)
	v_fma_f32 v3, v150, v176, -v4
	v_add_f32_e32 v2, v2, v5
	v_fmac_f32_e32 v191, v151, v176
	v_add_f32_e32 v1, v1, v190
	v_add_f32_e32 v2, v2, v3
	;; [unrolled: 1-line block ×3, first 2 shown]
	s_waitcnt vmcnt(1)
	v_sub_f32_e32 v2, v177, v2
	s_waitcnt vmcnt(0)
	v_sub_f32_e32 v1, v178, v1
	buffer_store_dword v2, off, s[0:3], 0 offset:352
	buffer_store_dword v1, off, s[0:3], 0 offset:356
	v_cmpx_lt_u32_e32 43, v0
	s_cbranch_execz .LBB58_281
; %bb.280:
	s_clause 0x1
	buffer_load_dword v1, off, s[0:3], 0 offset:344
	buffer_load_dword v2, off, s[0:3], 0 offset:348
	v_mov_b32_e32 v3, 0
	buffer_store_dword v3, off, s[0:3], 0 offset:344
	buffer_store_dword v3, off, s[0:3], 0 offset:348
	s_waitcnt vmcnt(0)
	ds_write_b64 v131, v[1:2]
.LBB58_281:
	s_or_b32 exec_lo, exec_lo, s4
	s_waitcnt lgkmcnt(0)
	s_waitcnt_vscnt null, 0x0
	s_barrier
	buffer_gl0_inv
	s_clause 0x1f
	buffer_load_dword v12, off, s[0:3], 0 offset:356
	buffer_load_dword v152, off, s[0:3], 0 offset:364
	;; [unrolled: 1-line block ×32, first 2 shown]
	v_mov_b32_e32 v1, 0
	ds_read_b128 v[2:5], v1 offset:832
	ds_read_b128 v[6:9], v1 offset:848
	;; [unrolled: 1-line block ×7, first 2 shown]
	ds_read_b64 v[10:11], v1 offset:944
	s_mov_b32 s4, exec_lo
	s_waitcnt vmcnt(31) lgkmcnt(7)
	v_mul_f32_e32 v183, v2, v12
	v_mul_f32_e32 v12, v3, v12
	s_waitcnt vmcnt(30)
	v_mul_f32_e32 v184, v4, v152
	v_mul_f32_e32 v152, v5, v152
	s_waitcnt vmcnt(29) lgkmcnt(6)
	v_mul_f32_e32 v185, v6, v153
	s_waitcnt vmcnt(28)
	v_mul_f32_e32 v186, v8, v154
	s_waitcnt vmcnt(27) lgkmcnt(5)
	v_mul_f32_e32 v187, v132, v155
	s_waitcnt vmcnt(26)
	;; [unrolled: 4-line block ×6, first 2 shown]
	v_fma_f32 v2, v2, v166, -v12
	v_fmac_f32_e32 v183, v3, v166
	v_mul_f32_e32 v3, v7, v153
	s_waitcnt vmcnt(15)
	v_fma_f32 v4, v4, v167, -v152
	v_fmac_f32_e32 v184, v5, v167
	v_add_f32_e32 v2, 0, v2
	v_add_f32_e32 v5, 0, v183
	v_mul_f32_e32 v12, v9, v154
	s_waitcnt vmcnt(14)
	v_fma_f32 v3, v6, v168, -v3
	v_fmac_f32_e32 v185, v7, v168
	v_add_f32_e32 v2, v2, v4
	v_add_f32_e32 v4, v5, v184
	;; [unrolled: 6-line block ×11, first 2 shown]
	v_mul_f32_e32 v5, v151, v164
	s_waitcnt vmcnt(4)
	v_fma_f32 v6, v148, v178, -v6
	v_mul_f32_e32 v196, v150, v164
	v_add_f32_e32 v2, v2, v4
	v_fmac_f32_e32 v195, v149, v178
	v_add_f32_e32 v3, v3, v194
	s_waitcnt lgkmcnt(0)
	v_mul_f32_e32 v4, v11, v165
	s_waitcnt vmcnt(3)
	v_fma_f32 v5, v150, v179, -v5
	v_add_f32_e32 v2, v2, v6
	v_mul_f32_e32 v197, v10, v165
	v_fmac_f32_e32 v196, v151, v179
	v_add_f32_e32 v3, v3, v195
	s_waitcnt vmcnt(2)
	v_fma_f32 v4, v10, v180, -v4
	v_add_f32_e32 v2, v2, v5
	v_fmac_f32_e32 v197, v11, v180
	v_add_f32_e32 v3, v3, v196
	v_add_f32_e32 v2, v2, v4
	;; [unrolled: 1-line block ×3, first 2 shown]
	s_waitcnt vmcnt(1)
	v_sub_f32_e32 v2, v181, v2
	s_waitcnt vmcnt(0)
	v_sub_f32_e32 v3, v182, v3
	buffer_store_dword v2, off, s[0:3], 0 offset:344
	buffer_store_dword v3, off, s[0:3], 0 offset:348
	v_cmpx_lt_u32_e32 42, v0
	s_cbranch_execz .LBB58_283
; %bb.282:
	s_clause 0x1
	buffer_load_dword v2, off, s[0:3], 0 offset:336
	buffer_load_dword v3, off, s[0:3], 0 offset:340
	buffer_store_dword v1, off, s[0:3], 0 offset:336
	buffer_store_dword v1, off, s[0:3], 0 offset:340
	s_waitcnt vmcnt(0)
	ds_write_b64 v131, v[2:3]
.LBB58_283:
	s_or_b32 exec_lo, exec_lo, s4
	s_waitcnt lgkmcnt(0)
	s_waitcnt_vscnt null, 0x0
	s_barrier
	buffer_gl0_inv
	s_clause 0x21
	buffer_load_dword v10, off, s[0:3], 0 offset:348
	buffer_load_dword v11, off, s[0:3], 0 offset:356
	;; [unrolled: 1-line block ×34, first 2 shown]
	ds_read2_b64 v[2:5], v1 offset0:103 offset1:104
	ds_read2_b64 v[6:9], v1 offset0:105 offset1:106
	ds_read2_b64 v[132:135], v1 offset0:107 offset1:108
	ds_read2_b64 v[136:139], v1 offset0:109 offset1:110
	ds_read2_b64 v[140:143], v1 offset0:111 offset1:112
	ds_read2_b64 v[144:147], v1 offset0:113 offset1:114
	ds_read2_b64 v[148:151], v1 offset0:115 offset1:116
	ds_read2_b64 v[152:155], v1 offset0:117 offset1:118
	s_mov_b32 s4, exec_lo
	s_waitcnt vmcnt(33) lgkmcnt(7)
	v_mul_f32_e32 v1, v2, v10
	v_mul_f32_e32 v10, v3, v10
	s_waitcnt vmcnt(32)
	v_mul_f32_e32 v187, v4, v11
	v_mul_f32_e32 v11, v5, v11
	s_waitcnt vmcnt(31) lgkmcnt(6)
	v_mul_f32_e32 v188, v6, v12
	s_waitcnt vmcnt(30)
	v_mul_f32_e32 v189, v8, v156
	s_waitcnt vmcnt(29) lgkmcnt(5)
	v_mul_f32_e32 v190, v132, v157
	s_waitcnt vmcnt(28)
	;; [unrolled: 4-line block ×6, first 2 shown]
	v_mul_f32_e32 v199, v150, v166
	s_waitcnt vmcnt(17)
	v_fma_f32 v2, v2, v169, -v10
	v_fmac_f32_e32 v1, v3, v169
	v_mul_f32_e32 v3, v7, v12
	s_waitcnt vmcnt(16)
	v_fma_f32 v4, v4, v170, -v11
	v_fmac_f32_e32 v187, v5, v170
	v_add_f32_e32 v2, 0, v2
	v_add_f32_e32 v1, 0, v1
	v_mul_f32_e32 v5, v9, v156
	s_waitcnt vmcnt(15)
	v_fma_f32 v3, v6, v171, -v3
	v_fmac_f32_e32 v188, v7, v171
	v_add_f32_e32 v2, v2, v4
	v_add_f32_e32 v1, v1, v187
	;; [unrolled: 6-line block ×12, first 2 shown]
	s_waitcnt lgkmcnt(0)
	v_mul_f32_e32 v3, v153, v167
	s_waitcnt vmcnt(4)
	v_fma_f32 v4, v150, v182, -v4
	v_mul_f32_e32 v200, v152, v167
	v_add_f32_e32 v2, v2, v5
	v_fmac_f32_e32 v199, v151, v182
	v_add_f32_e32 v1, v1, v198
	v_mul_f32_e32 v5, v155, v168
	s_waitcnt vmcnt(3)
	v_fma_f32 v3, v152, v183, -v3
	v_add_f32_e32 v2, v2, v4
	v_mul_f32_e32 v201, v154, v168
	v_fmac_f32_e32 v200, v153, v183
	v_add_f32_e32 v1, v1, v199
	s_waitcnt vmcnt(2)
	v_fma_f32 v4, v154, v184, -v5
	v_add_f32_e32 v2, v2, v3
	v_fmac_f32_e32 v201, v155, v184
	v_add_f32_e32 v1, v1, v200
	v_add_f32_e32 v2, v2, v4
	;; [unrolled: 1-line block ×3, first 2 shown]
	s_waitcnt vmcnt(1)
	v_sub_f32_e32 v2, v185, v2
	s_waitcnt vmcnt(0)
	v_sub_f32_e32 v1, v186, v1
	buffer_store_dword v2, off, s[0:3], 0 offset:336
	buffer_store_dword v1, off, s[0:3], 0 offset:340
	v_cmpx_lt_u32_e32 41, v0
	s_cbranch_execz .LBB58_285
; %bb.284:
	s_clause 0x1
	buffer_load_dword v1, off, s[0:3], 0 offset:328
	buffer_load_dword v2, off, s[0:3], 0 offset:332
	v_mov_b32_e32 v3, 0
	buffer_store_dword v3, off, s[0:3], 0 offset:328
	buffer_store_dword v3, off, s[0:3], 0 offset:332
	s_waitcnt vmcnt(0)
	ds_write_b64 v131, v[1:2]
.LBB58_285:
	s_or_b32 exec_lo, exec_lo, s4
	s_waitcnt lgkmcnt(0)
	s_waitcnt_vscnt null, 0x0
	s_barrier
	buffer_gl0_inv
	s_clause 0x23
	buffer_load_dword v12, off, s[0:3], 0 offset:340
	buffer_load_dword v156, off, s[0:3], 0 offset:348
	;; [unrolled: 1-line block ×36, first 2 shown]
	v_mov_b32_e32 v1, 0
	ds_read_b128 v[2:5], v1 offset:816
	ds_read_b128 v[6:9], v1 offset:832
	;; [unrolled: 1-line block ×8, first 2 shown]
	ds_read_b64 v[10:11], v1 offset:944
	s_mov_b32 s4, exec_lo
	s_waitcnt vmcnt(35) lgkmcnt(8)
	v_mul_f32_e32 v191, v2, v12
	v_mul_f32_e32 v12, v3, v12
	s_waitcnt vmcnt(34)
	v_mul_f32_e32 v192, v4, v156
	v_mul_f32_e32 v156, v5, v156
	s_waitcnt vmcnt(33) lgkmcnt(7)
	v_mul_f32_e32 v193, v6, v157
	s_waitcnt vmcnt(32)
	v_mul_f32_e32 v194, v8, v158
	s_waitcnt vmcnt(31) lgkmcnt(6)
	v_mul_f32_e32 v195, v132, v159
	s_waitcnt vmcnt(30)
	;; [unrolled: 4-line block ×7, first 2 shown]
	v_fma_f32 v2, v2, v172, -v12
	v_fmac_f32_e32 v191, v3, v172
	v_mul_f32_e32 v3, v7, v157
	s_waitcnt vmcnt(17)
	v_fma_f32 v4, v4, v173, -v156
	v_fmac_f32_e32 v192, v5, v173
	v_add_f32_e32 v2, 0, v2
	v_add_f32_e32 v5, 0, v191
	v_mul_f32_e32 v12, v9, v158
	s_waitcnt vmcnt(16)
	v_fma_f32 v3, v6, v174, -v3
	v_fmac_f32_e32 v193, v7, v174
	v_add_f32_e32 v2, v2, v4
	v_add_f32_e32 v4, v5, v192
	;; [unrolled: 6-line block ×13, first 2 shown]
	v_mul_f32_e32 v6, v155, v170
	s_waitcnt vmcnt(4)
	v_fma_f32 v4, v152, v186, -v4
	v_mul_f32_e32 v206, v154, v170
	v_add_f32_e32 v2, v2, v5
	v_fmac_f32_e32 v205, v153, v186
	v_add_f32_e32 v3, v3, v204
	s_waitcnt lgkmcnt(0)
	v_mul_f32_e32 v5, v11, v171
	s_waitcnt vmcnt(3)
	v_fma_f32 v6, v154, v187, -v6
	v_add_f32_e32 v2, v2, v4
	v_mul_f32_e32 v207, v10, v171
	v_fmac_f32_e32 v206, v155, v187
	v_add_f32_e32 v3, v3, v205
	s_waitcnt vmcnt(2)
	v_fma_f32 v4, v10, v188, -v5
	v_add_f32_e32 v2, v2, v6
	v_fmac_f32_e32 v207, v11, v188
	v_add_f32_e32 v3, v3, v206
	v_add_f32_e32 v2, v2, v4
	;; [unrolled: 1-line block ×3, first 2 shown]
	s_waitcnt vmcnt(1)
	v_sub_f32_e32 v2, v189, v2
	s_waitcnt vmcnt(0)
	v_sub_f32_e32 v3, v190, v3
	buffer_store_dword v2, off, s[0:3], 0 offset:328
	buffer_store_dword v3, off, s[0:3], 0 offset:332
	v_cmpx_lt_u32_e32 40, v0
	s_cbranch_execz .LBB58_287
; %bb.286:
	s_clause 0x1
	buffer_load_dword v2, off, s[0:3], 0 offset:320
	buffer_load_dword v3, off, s[0:3], 0 offset:324
	buffer_store_dword v1, off, s[0:3], 0 offset:320
	buffer_store_dword v1, off, s[0:3], 0 offset:324
	s_waitcnt vmcnt(0)
	ds_write_b64 v131, v[2:3]
.LBB58_287:
	s_or_b32 exec_lo, exec_lo, s4
	s_waitcnt lgkmcnt(0)
	s_waitcnt_vscnt null, 0x0
	s_barrier
	buffer_gl0_inv
	s_clause 0x25
	buffer_load_dword v10, off, s[0:3], 0 offset:332
	buffer_load_dword v11, off, s[0:3], 0 offset:340
	;; [unrolled: 1-line block ×38, first 2 shown]
	ds_read2_b64 v[2:5], v1 offset0:101 offset1:102
	ds_read2_b64 v[6:9], v1 offset0:103 offset1:104
	;; [unrolled: 1-line block ×9, first 2 shown]
	s_mov_b32 s4, exec_lo
	s_waitcnt vmcnt(37) lgkmcnt(8)
	v_mul_f32_e32 v1, v2, v10
	v_mul_f32_e32 v10, v3, v10
	s_waitcnt vmcnt(36)
	v_mul_f32_e32 v195, v4, v11
	v_mul_f32_e32 v11, v5, v11
	s_waitcnt vmcnt(35) lgkmcnt(7)
	v_mul_f32_e32 v196, v6, v12
	s_waitcnt vmcnt(34)
	v_mul_f32_e32 v197, v8, v160
	s_waitcnt vmcnt(33) lgkmcnt(6)
	v_mul_f32_e32 v198, v132, v161
	s_waitcnt vmcnt(32)
	;; [unrolled: 4-line block ×7, first 2 shown]
	v_mul_f32_e32 v209, v154, v172
	s_waitcnt vmcnt(19)
	v_fma_f32 v2, v2, v175, -v10
	v_fmac_f32_e32 v1, v3, v175
	v_mul_f32_e32 v3, v7, v12
	s_waitcnt vmcnt(18)
	v_fma_f32 v4, v4, v176, -v11
	v_fmac_f32_e32 v195, v5, v176
	v_add_f32_e32 v2, 0, v2
	v_add_f32_e32 v1, 0, v1
	v_mul_f32_e32 v5, v9, v160
	s_waitcnt vmcnt(17)
	v_fma_f32 v3, v6, v177, -v3
	v_fmac_f32_e32 v196, v7, v177
	v_add_f32_e32 v2, v2, v4
	v_add_f32_e32 v1, v1, v195
	;; [unrolled: 6-line block ×14, first 2 shown]
	s_waitcnt lgkmcnt(0)
	v_mul_f32_e32 v4, v157, v173
	s_waitcnt vmcnt(4)
	v_fma_f32 v5, v154, v190, -v5
	v_mul_f32_e32 v210, v156, v173
	v_add_f32_e32 v2, v2, v3
	v_fmac_f32_e32 v209, v155, v190
	v_add_f32_e32 v1, v1, v208
	v_mul_f32_e32 v3, v159, v174
	s_waitcnt vmcnt(3)
	v_fma_f32 v4, v156, v191, -v4
	v_add_f32_e32 v2, v2, v5
	v_mul_f32_e32 v211, v158, v174
	v_fmac_f32_e32 v210, v157, v191
	v_add_f32_e32 v1, v1, v209
	s_waitcnt vmcnt(2)
	v_fma_f32 v3, v158, v192, -v3
	v_add_f32_e32 v2, v2, v4
	v_fmac_f32_e32 v211, v159, v192
	v_add_f32_e32 v1, v1, v210
	v_add_f32_e32 v2, v2, v3
	;; [unrolled: 1-line block ×3, first 2 shown]
	s_waitcnt vmcnt(1)
	v_sub_f32_e32 v2, v193, v2
	s_waitcnt vmcnt(0)
	v_sub_f32_e32 v1, v194, v1
	buffer_store_dword v2, off, s[0:3], 0 offset:320
	buffer_store_dword v1, off, s[0:3], 0 offset:324
	v_cmpx_lt_u32_e32 39, v0
	s_cbranch_execz .LBB58_289
; %bb.288:
	s_clause 0x1
	buffer_load_dword v1, off, s[0:3], 0 offset:312
	buffer_load_dword v2, off, s[0:3], 0 offset:316
	v_mov_b32_e32 v3, 0
	buffer_store_dword v3, off, s[0:3], 0 offset:312
	buffer_store_dword v3, off, s[0:3], 0 offset:316
	s_waitcnt vmcnt(0)
	ds_write_b64 v131, v[1:2]
.LBB58_289:
	s_or_b32 exec_lo, exec_lo, s4
	s_waitcnt lgkmcnt(0)
	s_waitcnt_vscnt null, 0x0
	s_barrier
	buffer_gl0_inv
	s_clause 0x27
	buffer_load_dword v12, off, s[0:3], 0 offset:324
	buffer_load_dword v160, off, s[0:3], 0 offset:332
	buffer_load_dword v161, off, s[0:3], 0 offset:340
	buffer_load_dword v162, off, s[0:3], 0 offset:348
	buffer_load_dword v163, off, s[0:3], 0 offset:356
	buffer_load_dword v164, off, s[0:3], 0 offset:364
	buffer_load_dword v165, off, s[0:3], 0 offset:372
	buffer_load_dword v166, off, s[0:3], 0 offset:380
	buffer_load_dword v167, off, s[0:3], 0 offset:388
	buffer_load_dword v168, off, s[0:3], 0 offset:396
	buffer_load_dword v169, off, s[0:3], 0 offset:404
	buffer_load_dword v170, off, s[0:3], 0 offset:412
	buffer_load_dword v171, off, s[0:3], 0 offset:420
	buffer_load_dword v172, off, s[0:3], 0 offset:428
	buffer_load_dword v173, off, s[0:3], 0 offset:436
	buffer_load_dword v174, off, s[0:3], 0 offset:444
	buffer_load_dword v175, off, s[0:3], 0 offset:452
	buffer_load_dword v176, off, s[0:3], 0 offset:460
	buffer_load_dword v177, off, s[0:3], 0 offset:468
	buffer_load_dword v178, off, s[0:3], 0 offset:320
	buffer_load_dword v179, off, s[0:3], 0 offset:328
	buffer_load_dword v180, off, s[0:3], 0 offset:336
	buffer_load_dword v181, off, s[0:3], 0 offset:344
	buffer_load_dword v182, off, s[0:3], 0 offset:352
	buffer_load_dword v183, off, s[0:3], 0 offset:360
	buffer_load_dword v184, off, s[0:3], 0 offset:368
	buffer_load_dword v185, off, s[0:3], 0 offset:376
	buffer_load_dword v186, off, s[0:3], 0 offset:384
	buffer_load_dword v187, off, s[0:3], 0 offset:392
	buffer_load_dword v188, off, s[0:3], 0 offset:400
	buffer_load_dword v189, off, s[0:3], 0 offset:408
	buffer_load_dword v190, off, s[0:3], 0 offset:416
	buffer_load_dword v191, off, s[0:3], 0 offset:424
	buffer_load_dword v192, off, s[0:3], 0 offset:432
	buffer_load_dword v193, off, s[0:3], 0 offset:440
	buffer_load_dword v194, off, s[0:3], 0 offset:448
	buffer_load_dword v195, off, s[0:3], 0 offset:456
	buffer_load_dword v196, off, s[0:3], 0 offset:464
	buffer_load_dword v197, off, s[0:3], 0 offset:312
	buffer_load_dword v198, off, s[0:3], 0 offset:316
	v_mov_b32_e32 v1, 0
	ds_read_b128 v[2:5], v1 offset:800
	ds_read_b128 v[6:9], v1 offset:816
	;; [unrolled: 1-line block ×9, first 2 shown]
	ds_read_b64 v[10:11], v1 offset:944
	s_mov_b32 s4, exec_lo
	s_waitcnt vmcnt(39) lgkmcnt(9)
	v_mul_f32_e32 v199, v2, v12
	v_mul_f32_e32 v12, v3, v12
	s_waitcnt vmcnt(38)
	v_mul_f32_e32 v200, v4, v160
	v_mul_f32_e32 v160, v5, v160
	s_waitcnt vmcnt(37) lgkmcnt(8)
	v_mul_f32_e32 v201, v6, v161
	s_waitcnt vmcnt(36)
	v_mul_f32_e32 v202, v8, v162
	s_waitcnt vmcnt(35) lgkmcnt(7)
	v_mul_f32_e32 v203, v132, v163
	s_waitcnt vmcnt(34)
	;; [unrolled: 4-line block ×8, first 2 shown]
	v_fma_f32 v2, v2, v178, -v12
	v_fmac_f32_e32 v199, v3, v178
	v_mul_f32_e32 v3, v7, v161
	s_waitcnt vmcnt(19)
	v_fma_f32 v4, v4, v179, -v160
	v_fmac_f32_e32 v200, v5, v179
	v_add_f32_e32 v2, 0, v2
	v_add_f32_e32 v5, 0, v199
	v_mul_f32_e32 v12, v9, v162
	s_waitcnt vmcnt(18)
	v_fma_f32 v3, v6, v180, -v3
	v_fmac_f32_e32 v201, v7, v180
	v_add_f32_e32 v2, v2, v4
	v_add_f32_e32 v4, v5, v200
	;; [unrolled: 6-line block ×15, first 2 shown]
	v_mul_f32_e32 v4, v159, v176
	s_waitcnt vmcnt(4)
	v_fma_f32 v5, v156, v194, -v5
	v_mul_f32_e32 v216, v158, v176
	v_add_f32_e32 v2, v2, v6
	v_fmac_f32_e32 v215, v157, v194
	v_add_f32_e32 v3, v3, v214
	s_waitcnt lgkmcnt(0)
	v_mul_f32_e32 v6, v11, v177
	s_waitcnt vmcnt(3)
	v_fma_f32 v4, v158, v195, -v4
	v_add_f32_e32 v2, v2, v5
	v_mul_f32_e32 v217, v10, v177
	v_fmac_f32_e32 v216, v159, v195
	v_add_f32_e32 v3, v3, v215
	s_waitcnt vmcnt(2)
	v_fma_f32 v5, v10, v196, -v6
	v_add_f32_e32 v2, v2, v4
	v_fmac_f32_e32 v217, v11, v196
	v_add_f32_e32 v3, v3, v216
	v_add_f32_e32 v2, v2, v5
	;; [unrolled: 1-line block ×3, first 2 shown]
	s_waitcnt vmcnt(1)
	v_sub_f32_e32 v2, v197, v2
	s_waitcnt vmcnt(0)
	v_sub_f32_e32 v3, v198, v3
	buffer_store_dword v2, off, s[0:3], 0 offset:312
	buffer_store_dword v3, off, s[0:3], 0 offset:316
	v_cmpx_lt_u32_e32 38, v0
	s_cbranch_execz .LBB58_291
; %bb.290:
	s_clause 0x1
	buffer_load_dword v2, off, s[0:3], 0 offset:304
	buffer_load_dword v3, off, s[0:3], 0 offset:308
	buffer_store_dword v1, off, s[0:3], 0 offset:304
	buffer_store_dword v1, off, s[0:3], 0 offset:308
	s_waitcnt vmcnt(0)
	ds_write_b64 v131, v[2:3]
.LBB58_291:
	s_or_b32 exec_lo, exec_lo, s4
	s_waitcnt lgkmcnt(0)
	s_waitcnt_vscnt null, 0x0
	s_barrier
	buffer_gl0_inv
	s_clause 0x29
	buffer_load_dword v10, off, s[0:3], 0 offset:316
	buffer_load_dword v11, off, s[0:3], 0 offset:324
	;; [unrolled: 1-line block ×42, first 2 shown]
	ds_read2_b64 v[2:5], v1 offset0:99 offset1:100
	ds_read2_b64 v[6:9], v1 offset0:101 offset1:102
	;; [unrolled: 1-line block ×10, first 2 shown]
	s_mov_b32 s4, exec_lo
	s_waitcnt vmcnt(41) lgkmcnt(9)
	v_mul_f32_e32 v1, v2, v10
	v_mul_f32_e32 v10, v3, v10
	s_waitcnt vmcnt(40)
	v_mul_f32_e32 v203, v4, v11
	v_mul_f32_e32 v11, v5, v11
	s_waitcnt vmcnt(39) lgkmcnt(8)
	v_mul_f32_e32 v204, v6, v12
	s_waitcnt vmcnt(38)
	v_mul_f32_e32 v205, v8, v164
	s_waitcnt vmcnt(37) lgkmcnt(7)
	v_mul_f32_e32 v206, v132, v165
	s_waitcnt vmcnt(36)
	;; [unrolled: 4-line block ×8, first 2 shown]
	v_mul_f32_e32 v219, v158, v178
	s_waitcnt vmcnt(21)
	v_fma_f32 v2, v2, v181, -v10
	v_fmac_f32_e32 v1, v3, v181
	v_mul_f32_e32 v3, v7, v12
	s_waitcnt vmcnt(20)
	v_fma_f32 v4, v4, v182, -v11
	v_fmac_f32_e32 v203, v5, v182
	v_add_f32_e32 v2, 0, v2
	v_add_f32_e32 v1, 0, v1
	v_mul_f32_e32 v5, v9, v164
	s_waitcnt vmcnt(19)
	v_fma_f32 v3, v6, v183, -v3
	v_fmac_f32_e32 v204, v7, v183
	v_add_f32_e32 v2, v2, v4
	v_add_f32_e32 v1, v1, v203
	;; [unrolled: 6-line block ×16, first 2 shown]
	s_waitcnt lgkmcnt(0)
	v_mul_f32_e32 v5, v161, v179
	s_waitcnt vmcnt(4)
	v_fma_f32 v3, v158, v198, -v3
	v_mul_f32_e32 v220, v160, v179
	v_add_f32_e32 v2, v2, v4
	v_fmac_f32_e32 v219, v159, v198
	v_add_f32_e32 v1, v1, v218
	v_mul_f32_e32 v4, v163, v180
	s_waitcnt vmcnt(3)
	v_fma_f32 v5, v160, v199, -v5
	v_add_f32_e32 v2, v2, v3
	v_mul_f32_e32 v221, v162, v180
	v_fmac_f32_e32 v220, v161, v199
	v_add_f32_e32 v1, v1, v219
	s_waitcnt vmcnt(2)
	v_fma_f32 v3, v162, v200, -v4
	v_add_f32_e32 v2, v2, v5
	v_fmac_f32_e32 v221, v163, v200
	v_add_f32_e32 v1, v1, v220
	v_add_f32_e32 v2, v2, v3
	v_add_f32_e32 v1, v1, v221
	s_waitcnt vmcnt(1)
	v_sub_f32_e32 v2, v201, v2
	s_waitcnt vmcnt(0)
	v_sub_f32_e32 v1, v202, v1
	buffer_store_dword v2, off, s[0:3], 0 offset:304
	buffer_store_dword v1, off, s[0:3], 0 offset:308
	v_cmpx_lt_u32_e32 37, v0
	s_cbranch_execz .LBB58_293
; %bb.292:
	s_clause 0x1
	buffer_load_dword v1, off, s[0:3], 0 offset:296
	buffer_load_dword v2, off, s[0:3], 0 offset:300
	v_mov_b32_e32 v3, 0
	buffer_store_dword v3, off, s[0:3], 0 offset:296
	buffer_store_dword v3, off, s[0:3], 0 offset:300
	s_waitcnt vmcnt(0)
	ds_write_b64 v131, v[1:2]
.LBB58_293:
	s_or_b32 exec_lo, exec_lo, s4
	s_waitcnt lgkmcnt(0)
	s_waitcnt_vscnt null, 0x0
	s_barrier
	buffer_gl0_inv
	s_clause 0x2b
	buffer_load_dword v12, off, s[0:3], 0 offset:308
	buffer_load_dword v164, off, s[0:3], 0 offset:316
	;; [unrolled: 1-line block ×44, first 2 shown]
	v_mov_b32_e32 v1, 0
	ds_read_b128 v[2:5], v1 offset:784
	ds_read_b128 v[6:9], v1 offset:800
	ds_read_b128 v[132:135], v1 offset:816
	ds_read_b128 v[136:139], v1 offset:832
	ds_read_b128 v[140:143], v1 offset:848
	ds_read_b128 v[144:147], v1 offset:864
	ds_read_b128 v[148:151], v1 offset:880
	ds_read_b128 v[152:155], v1 offset:896
	ds_read_b128 v[156:159], v1 offset:912
	ds_read_b128 v[160:163], v1 offset:928
	ds_read_b64 v[10:11], v1 offset:944
	s_mov_b32 s4, exec_lo
	s_waitcnt vmcnt(43) lgkmcnt(10)
	v_mul_f32_e32 v207, v2, v12
	v_mul_f32_e32 v12, v3, v12
	s_waitcnt vmcnt(42)
	v_mul_f32_e32 v208, v4, v164
	v_mul_f32_e32 v164, v5, v164
	s_waitcnt vmcnt(41) lgkmcnt(9)
	v_mul_f32_e32 v209, v6, v165
	s_waitcnt vmcnt(40)
	v_mul_f32_e32 v210, v8, v166
	s_waitcnt vmcnt(39) lgkmcnt(8)
	v_mul_f32_e32 v211, v132, v167
	s_waitcnt vmcnt(38)
	;; [unrolled: 4-line block ×9, first 2 shown]
	v_fma_f32 v2, v2, v184, -v12
	v_fmac_f32_e32 v207, v3, v184
	v_mul_f32_e32 v3, v7, v165
	s_waitcnt vmcnt(21)
	v_fma_f32 v4, v4, v185, -v164
	v_fmac_f32_e32 v208, v5, v185
	v_add_f32_e32 v2, 0, v2
	v_add_f32_e32 v5, 0, v207
	v_mul_f32_e32 v12, v9, v166
	s_waitcnt vmcnt(20)
	v_fma_f32 v3, v6, v186, -v3
	v_fmac_f32_e32 v209, v7, v186
	v_add_f32_e32 v2, v2, v4
	v_add_f32_e32 v4, v5, v208
	v_mul_f32_e32 v5, v133, v167
	s_waitcnt vmcnt(19)
	v_fma_f32 v6, v8, v187, -v12
	v_fmac_f32_e32 v210, v9, v187
	v_add_f32_e32 v2, v2, v3
	v_add_f32_e32 v3, v4, v209
	v_mul_f32_e32 v4, v135, v168
	s_waitcnt vmcnt(18)
	v_fma_f32 v5, v132, v188, -v5
	v_fmac_f32_e32 v211, v133, v188
	v_add_f32_e32 v2, v2, v6
	v_add_f32_e32 v3, v3, v210
	v_mul_f32_e32 v6, v137, v169
	s_waitcnt vmcnt(17)
	v_fma_f32 v4, v134, v189, -v4
	v_fmac_f32_e32 v212, v135, v189
	v_add_f32_e32 v2, v2, v5
	v_add_f32_e32 v3, v3, v211
	v_mul_f32_e32 v5, v139, v170
	s_waitcnt vmcnt(16)
	v_fma_f32 v6, v136, v190, -v6
	v_fmac_f32_e32 v213, v137, v190
	v_add_f32_e32 v2, v2, v4
	v_add_f32_e32 v3, v3, v212
	v_mul_f32_e32 v4, v141, v171
	s_waitcnt vmcnt(15)
	v_fma_f32 v5, v138, v191, -v5
	v_fmac_f32_e32 v214, v139, v191
	v_add_f32_e32 v2, v2, v6
	v_add_f32_e32 v3, v3, v213
	v_mul_f32_e32 v6, v143, v172
	s_waitcnt vmcnt(14)
	v_fma_f32 v4, v140, v192, -v4
	v_fmac_f32_e32 v215, v141, v192
	v_add_f32_e32 v2, v2, v5
	v_add_f32_e32 v3, v3, v214
	v_mul_f32_e32 v5, v145, v173
	s_waitcnt vmcnt(13)
	v_fma_f32 v6, v142, v193, -v6
	v_fmac_f32_e32 v216, v143, v193
	v_add_f32_e32 v2, v2, v4
	v_add_f32_e32 v3, v3, v215
	v_mul_f32_e32 v4, v147, v174
	s_waitcnt vmcnt(12)
	v_fma_f32 v5, v144, v194, -v5
	v_fmac_f32_e32 v217, v145, v194
	v_add_f32_e32 v2, v2, v6
	v_add_f32_e32 v3, v3, v216
	v_mul_f32_e32 v6, v149, v175
	s_waitcnt vmcnt(11)
	v_fma_f32 v4, v146, v195, -v4
	v_fmac_f32_e32 v218, v147, v195
	v_add_f32_e32 v2, v2, v5
	v_add_f32_e32 v3, v3, v217
	v_mul_f32_e32 v5, v151, v176
	s_waitcnt vmcnt(10)
	v_fma_f32 v6, v148, v196, -v6
	v_fmac_f32_e32 v219, v149, v196
	v_add_f32_e32 v2, v2, v4
	v_add_f32_e32 v3, v3, v218
	v_mul_f32_e32 v4, v153, v177
	s_waitcnt vmcnt(9)
	v_fma_f32 v5, v150, v197, -v5
	v_fmac_f32_e32 v220, v151, v197
	v_add_f32_e32 v2, v2, v6
	v_add_f32_e32 v3, v3, v219
	v_mul_f32_e32 v6, v155, v178
	s_waitcnt vmcnt(8)
	v_fma_f32 v4, v152, v198, -v4
	v_fmac_f32_e32 v221, v153, v198
	v_add_f32_e32 v2, v2, v5
	v_add_f32_e32 v3, v3, v220
	v_mul_f32_e32 v5, v157, v179
	s_waitcnt vmcnt(7)
	v_fma_f32 v6, v154, v199, -v6
	v_fmac_f32_e32 v222, v155, v199
	v_add_f32_e32 v2, v2, v4
	v_add_f32_e32 v3, v3, v221
	v_mul_f32_e32 v4, v159, v180
	s_waitcnt vmcnt(6)
	v_fma_f32 v5, v156, v200, -v5
	v_fmac_f32_e32 v223, v157, v200
	v_add_f32_e32 v2, v2, v6
	v_add_f32_e32 v3, v3, v222
	v_mul_f32_e32 v6, v161, v181
	s_waitcnt vmcnt(5)
	v_fma_f32 v4, v158, v201, -v4
	v_fmac_f32_e32 v224, v159, v201
	v_add_f32_e32 v2, v2, v5
	v_add_f32_e32 v3, v3, v223
	v_mul_f32_e32 v5, v163, v182
	s_waitcnt vmcnt(4)
	v_fma_f32 v6, v160, v202, -v6
	v_mul_f32_e32 v226, v162, v182
	v_add_f32_e32 v2, v2, v4
	v_fmac_f32_e32 v225, v161, v202
	v_add_f32_e32 v3, v3, v224
	s_waitcnt lgkmcnt(0)
	v_mul_f32_e32 v4, v11, v183
	s_waitcnt vmcnt(3)
	v_fma_f32 v5, v162, v203, -v5
	v_add_f32_e32 v2, v2, v6
	v_mul_f32_e32 v227, v10, v183
	v_fmac_f32_e32 v226, v163, v203
	v_add_f32_e32 v3, v3, v225
	s_waitcnt vmcnt(2)
	v_fma_f32 v4, v10, v204, -v4
	v_add_f32_e32 v2, v2, v5
	v_fmac_f32_e32 v227, v11, v204
	v_add_f32_e32 v3, v3, v226
	v_add_f32_e32 v2, v2, v4
	;; [unrolled: 1-line block ×3, first 2 shown]
	s_waitcnt vmcnt(1)
	v_sub_f32_e32 v2, v205, v2
	s_waitcnt vmcnt(0)
	v_sub_f32_e32 v3, v206, v3
	buffer_store_dword v2, off, s[0:3], 0 offset:296
	buffer_store_dword v3, off, s[0:3], 0 offset:300
	v_cmpx_lt_u32_e32 36, v0
	s_cbranch_execz .LBB58_295
; %bb.294:
	s_clause 0x1
	buffer_load_dword v2, off, s[0:3], 0 offset:288
	buffer_load_dword v3, off, s[0:3], 0 offset:292
	buffer_store_dword v1, off, s[0:3], 0 offset:288
	buffer_store_dword v1, off, s[0:3], 0 offset:292
	s_waitcnt vmcnt(0)
	ds_write_b64 v131, v[2:3]
.LBB58_295:
	s_or_b32 exec_lo, exec_lo, s4
	s_waitcnt lgkmcnt(0)
	s_waitcnt_vscnt null, 0x0
	s_barrier
	buffer_gl0_inv
	s_clause 0x2d
	buffer_load_dword v10, off, s[0:3], 0 offset:300
	buffer_load_dword v11, off, s[0:3], 0 offset:308
	buffer_load_dword v12, off, s[0:3], 0 offset:316
	buffer_load_dword v168, off, s[0:3], 0 offset:324
	buffer_load_dword v169, off, s[0:3], 0 offset:332
	buffer_load_dword v170, off, s[0:3], 0 offset:340
	buffer_load_dword v171, off, s[0:3], 0 offset:348
	buffer_load_dword v172, off, s[0:3], 0 offset:356
	buffer_load_dword v173, off, s[0:3], 0 offset:364
	buffer_load_dword v174, off, s[0:3], 0 offset:372
	buffer_load_dword v175, off, s[0:3], 0 offset:380
	buffer_load_dword v176, off, s[0:3], 0 offset:388
	buffer_load_dword v177, off, s[0:3], 0 offset:396
	buffer_load_dword v178, off, s[0:3], 0 offset:404
	buffer_load_dword v179, off, s[0:3], 0 offset:412
	buffer_load_dword v180, off, s[0:3], 0 offset:420
	buffer_load_dword v181, off, s[0:3], 0 offset:428
	buffer_load_dword v182, off, s[0:3], 0 offset:436
	buffer_load_dword v183, off, s[0:3], 0 offset:444
	buffer_load_dword v184, off, s[0:3], 0 offset:452
	buffer_load_dword v185, off, s[0:3], 0 offset:460
	buffer_load_dword v186, off, s[0:3], 0 offset:468
	buffer_load_dword v187, off, s[0:3], 0 offset:296
	buffer_load_dword v188, off, s[0:3], 0 offset:304
	buffer_load_dword v189, off, s[0:3], 0 offset:312
	buffer_load_dword v190, off, s[0:3], 0 offset:320
	buffer_load_dword v191, off, s[0:3], 0 offset:328
	buffer_load_dword v192, off, s[0:3], 0 offset:336
	buffer_load_dword v193, off, s[0:3], 0 offset:344
	buffer_load_dword v194, off, s[0:3], 0 offset:352
	buffer_load_dword v195, off, s[0:3], 0 offset:360
	buffer_load_dword v196, off, s[0:3], 0 offset:368
	buffer_load_dword v197, off, s[0:3], 0 offset:376
	buffer_load_dword v198, off, s[0:3], 0 offset:384
	buffer_load_dword v199, off, s[0:3], 0 offset:392
	buffer_load_dword v200, off, s[0:3], 0 offset:400
	buffer_load_dword v201, off, s[0:3], 0 offset:408
	buffer_load_dword v202, off, s[0:3], 0 offset:416
	buffer_load_dword v203, off, s[0:3], 0 offset:424
	buffer_load_dword v204, off, s[0:3], 0 offset:432
	buffer_load_dword v205, off, s[0:3], 0 offset:440
	buffer_load_dword v206, off, s[0:3], 0 offset:448
	buffer_load_dword v207, off, s[0:3], 0 offset:456
	buffer_load_dword v208, off, s[0:3], 0 offset:464
	buffer_load_dword v209, off, s[0:3], 0 offset:288
	buffer_load_dword v210, off, s[0:3], 0 offset:292
	ds_read2_b64 v[2:5], v1 offset0:97 offset1:98
	ds_read2_b64 v[6:9], v1 offset0:99 offset1:100
	;; [unrolled: 1-line block ×11, first 2 shown]
	s_mov_b32 s4, exec_lo
	s_waitcnt vmcnt(45) lgkmcnt(10)
	v_mul_f32_e32 v1, v2, v10
	v_mul_f32_e32 v10, v3, v10
	s_waitcnt vmcnt(44)
	v_mul_f32_e32 v211, v4, v11
	v_mul_f32_e32 v11, v5, v11
	s_waitcnt vmcnt(43) lgkmcnt(9)
	v_mul_f32_e32 v212, v6, v12
	s_waitcnt vmcnt(42)
	v_mul_f32_e32 v213, v8, v168
	s_waitcnt vmcnt(41) lgkmcnt(8)
	v_mul_f32_e32 v214, v132, v169
	s_waitcnt vmcnt(40)
	;; [unrolled: 4-line block ×9, first 2 shown]
	v_mul_f32_e32 v229, v162, v184
	s_waitcnt vmcnt(23)
	v_fma_f32 v2, v2, v187, -v10
	v_fmac_f32_e32 v1, v3, v187
	v_mul_f32_e32 v3, v7, v12
	s_waitcnt vmcnt(22)
	v_fma_f32 v4, v4, v188, -v11
	v_fmac_f32_e32 v211, v5, v188
	v_add_f32_e32 v2, 0, v2
	v_add_f32_e32 v1, 0, v1
	v_mul_f32_e32 v5, v9, v168
	s_waitcnt vmcnt(21)
	v_fma_f32 v3, v6, v189, -v3
	v_fmac_f32_e32 v212, v7, v189
	v_add_f32_e32 v2, v2, v4
	v_add_f32_e32 v1, v1, v211
	;; [unrolled: 6-line block ×18, first 2 shown]
	s_waitcnt lgkmcnt(0)
	v_mul_f32_e32 v3, v165, v185
	s_waitcnt vmcnt(4)
	v_fma_f32 v4, v162, v206, -v4
	v_mul_f32_e32 v230, v164, v185
	v_add_f32_e32 v2, v2, v5
	v_fmac_f32_e32 v229, v163, v206
	v_add_f32_e32 v1, v1, v228
	v_mul_f32_e32 v5, v167, v186
	s_waitcnt vmcnt(3)
	v_fma_f32 v3, v164, v207, -v3
	v_add_f32_e32 v2, v2, v4
	v_mul_f32_e32 v231, v166, v186
	v_fmac_f32_e32 v230, v165, v207
	v_add_f32_e32 v1, v1, v229
	s_waitcnt vmcnt(2)
	v_fma_f32 v4, v166, v208, -v5
	v_add_f32_e32 v2, v2, v3
	v_fmac_f32_e32 v231, v167, v208
	v_add_f32_e32 v1, v1, v230
	v_add_f32_e32 v2, v2, v4
	;; [unrolled: 1-line block ×3, first 2 shown]
	s_waitcnt vmcnt(1)
	v_sub_f32_e32 v2, v209, v2
	s_waitcnt vmcnt(0)
	v_sub_f32_e32 v1, v210, v1
	buffer_store_dword v2, off, s[0:3], 0 offset:288
	buffer_store_dword v1, off, s[0:3], 0 offset:292
	v_cmpx_lt_u32_e32 35, v0
	s_cbranch_execz .LBB58_297
; %bb.296:
	s_clause 0x1
	buffer_load_dword v1, off, s[0:3], 0 offset:280
	buffer_load_dword v2, off, s[0:3], 0 offset:284
	v_mov_b32_e32 v3, 0
	buffer_store_dword v3, off, s[0:3], 0 offset:280
	buffer_store_dword v3, off, s[0:3], 0 offset:284
	s_waitcnt vmcnt(0)
	ds_write_b64 v131, v[1:2]
.LBB58_297:
	s_or_b32 exec_lo, exec_lo, s4
	s_waitcnt lgkmcnt(0)
	s_waitcnt_vscnt null, 0x0
	s_barrier
	buffer_gl0_inv
	s_clause 0x2f
	buffer_load_dword v12, off, s[0:3], 0 offset:292
	buffer_load_dword v168, off, s[0:3], 0 offset:300
	buffer_load_dword v169, off, s[0:3], 0 offset:308
	buffer_load_dword v170, off, s[0:3], 0 offset:316
	buffer_load_dword v171, off, s[0:3], 0 offset:324
	buffer_load_dword v172, off, s[0:3], 0 offset:332
	buffer_load_dword v173, off, s[0:3], 0 offset:340
	buffer_load_dword v174, off, s[0:3], 0 offset:348
	buffer_load_dword v175, off, s[0:3], 0 offset:356
	buffer_load_dword v176, off, s[0:3], 0 offset:364
	buffer_load_dword v177, off, s[0:3], 0 offset:372
	buffer_load_dword v178, off, s[0:3], 0 offset:380
	buffer_load_dword v179, off, s[0:3], 0 offset:388
	buffer_load_dword v180, off, s[0:3], 0 offset:396
	buffer_load_dword v181, off, s[0:3], 0 offset:404
	buffer_load_dword v182, off, s[0:3], 0 offset:412
	buffer_load_dword v183, off, s[0:3], 0 offset:420
	buffer_load_dword v184, off, s[0:3], 0 offset:428
	buffer_load_dword v185, off, s[0:3], 0 offset:436
	buffer_load_dword v186, off, s[0:3], 0 offset:444
	buffer_load_dword v187, off, s[0:3], 0 offset:452
	buffer_load_dword v188, off, s[0:3], 0 offset:460
	buffer_load_dword v189, off, s[0:3], 0 offset:468
	buffer_load_dword v190, off, s[0:3], 0 offset:288
	buffer_load_dword v191, off, s[0:3], 0 offset:296
	buffer_load_dword v192, off, s[0:3], 0 offset:304
	buffer_load_dword v193, off, s[0:3], 0 offset:312
	buffer_load_dword v194, off, s[0:3], 0 offset:320
	buffer_load_dword v195, off, s[0:3], 0 offset:328
	buffer_load_dword v196, off, s[0:3], 0 offset:336
	buffer_load_dword v197, off, s[0:3], 0 offset:344
	buffer_load_dword v198, off, s[0:3], 0 offset:352
	buffer_load_dword v199, off, s[0:3], 0 offset:360
	buffer_load_dword v200, off, s[0:3], 0 offset:368
	buffer_load_dword v201, off, s[0:3], 0 offset:376
	buffer_load_dword v202, off, s[0:3], 0 offset:384
	buffer_load_dword v203, off, s[0:3], 0 offset:392
	buffer_load_dword v204, off, s[0:3], 0 offset:400
	buffer_load_dword v205, off, s[0:3], 0 offset:408
	buffer_load_dword v206, off, s[0:3], 0 offset:416
	buffer_load_dword v207, off, s[0:3], 0 offset:424
	buffer_load_dword v208, off, s[0:3], 0 offset:432
	buffer_load_dword v209, off, s[0:3], 0 offset:440
	buffer_load_dword v210, off, s[0:3], 0 offset:448
	buffer_load_dword v211, off, s[0:3], 0 offset:456
	buffer_load_dword v212, off, s[0:3], 0 offset:464
	buffer_load_dword v213, off, s[0:3], 0 offset:280
	buffer_load_dword v214, off, s[0:3], 0 offset:284
	v_mov_b32_e32 v1, 0
	ds_read_b128 v[2:5], v1 offset:768
	ds_read_b128 v[6:9], v1 offset:784
	;; [unrolled: 1-line block ×11, first 2 shown]
	ds_read_b64 v[10:11], v1 offset:944
	s_mov_b32 s4, exec_lo
	s_waitcnt vmcnt(47) lgkmcnt(11)
	v_mul_f32_e32 v215, v2, v12
	v_mul_f32_e32 v12, v3, v12
	s_waitcnt vmcnt(46)
	v_mul_f32_e32 v216, v4, v168
	v_mul_f32_e32 v168, v5, v168
	s_waitcnt vmcnt(45) lgkmcnt(10)
	v_mul_f32_e32 v217, v6, v169
	s_waitcnt vmcnt(44)
	v_mul_f32_e32 v218, v8, v170
	s_waitcnt vmcnt(43) lgkmcnt(9)
	v_mul_f32_e32 v219, v132, v171
	s_waitcnt vmcnt(42)
	;; [unrolled: 4-line block ×10, first 2 shown]
	v_fma_f32 v2, v2, v190, -v12
	v_fmac_f32_e32 v215, v3, v190
	v_mul_f32_e32 v3, v7, v169
	s_waitcnt vmcnt(23)
	v_fma_f32 v4, v4, v191, -v168
	v_fmac_f32_e32 v216, v5, v191
	v_add_f32_e32 v2, 0, v2
	v_add_f32_e32 v5, 0, v215
	v_mul_f32_e32 v12, v9, v170
	s_waitcnt vmcnt(22)
	v_fma_f32 v3, v6, v192, -v3
	v_fmac_f32_e32 v217, v7, v192
	v_add_f32_e32 v2, v2, v4
	v_add_f32_e32 v4, v5, v216
	;; [unrolled: 6-line block ×19, first 2 shown]
	v_mul_f32_e32 v6, v167, v188
	s_waitcnt vmcnt(4)
	v_fma_f32 v4, v164, v210, -v4
	v_mul_f32_e32 v236, v166, v188
	v_add_f32_e32 v2, v2, v5
	v_fmac_f32_e32 v235, v165, v210
	v_add_f32_e32 v3, v3, v234
	s_waitcnt lgkmcnt(0)
	v_mul_f32_e32 v5, v11, v189
	s_waitcnt vmcnt(3)
	v_fma_f32 v6, v166, v211, -v6
	v_add_f32_e32 v2, v2, v4
	v_mul_f32_e32 v237, v10, v189
	v_fmac_f32_e32 v236, v167, v211
	v_add_f32_e32 v3, v3, v235
	s_waitcnt vmcnt(2)
	v_fma_f32 v4, v10, v212, -v5
	v_add_f32_e32 v2, v2, v6
	v_fmac_f32_e32 v237, v11, v212
	v_add_f32_e32 v3, v3, v236
	v_add_f32_e32 v2, v2, v4
	;; [unrolled: 1-line block ×3, first 2 shown]
	s_waitcnt vmcnt(1)
	v_sub_f32_e32 v2, v213, v2
	s_waitcnt vmcnt(0)
	v_sub_f32_e32 v3, v214, v3
	buffer_store_dword v2, off, s[0:3], 0 offset:280
	buffer_store_dword v3, off, s[0:3], 0 offset:284
	v_cmpx_lt_u32_e32 34, v0
	s_cbranch_execz .LBB58_299
; %bb.298:
	s_clause 0x1
	buffer_load_dword v2, off, s[0:3], 0 offset:272
	buffer_load_dword v3, off, s[0:3], 0 offset:276
	buffer_store_dword v1, off, s[0:3], 0 offset:272
	buffer_store_dword v1, off, s[0:3], 0 offset:276
	s_waitcnt vmcnt(0)
	ds_write_b64 v131, v[2:3]
.LBB58_299:
	s_or_b32 exec_lo, exec_lo, s4
	s_waitcnt lgkmcnt(0)
	s_waitcnt_vscnt null, 0x0
	s_barrier
	buffer_gl0_inv
	s_clause 0x31
	buffer_load_dword v10, off, s[0:3], 0 offset:284
	buffer_load_dword v11, off, s[0:3], 0 offset:292
	;; [unrolled: 1-line block ×50, first 2 shown]
	ds_read2_b64 v[2:5], v1 offset0:95 offset1:96
	ds_read2_b64 v[6:9], v1 offset0:97 offset1:98
	;; [unrolled: 1-line block ×12, first 2 shown]
	s_mov_b32 s4, exec_lo
	s_waitcnt vmcnt(49) lgkmcnt(11)
	v_mul_f32_e32 v1, v2, v10
	v_mul_f32_e32 v10, v3, v10
	s_waitcnt vmcnt(48)
	v_mul_f32_e32 v219, v4, v11
	v_mul_f32_e32 v11, v5, v11
	s_waitcnt vmcnt(47) lgkmcnt(10)
	v_mul_f32_e32 v220, v6, v12
	s_waitcnt vmcnt(46)
	v_mul_f32_e32 v221, v8, v172
	s_waitcnt vmcnt(45) lgkmcnt(9)
	v_mul_f32_e32 v222, v132, v173
	s_waitcnt vmcnt(44)
	;; [unrolled: 4-line block ×10, first 2 shown]
	v_mul_f32_e32 v239, v166, v190
	s_waitcnt vmcnt(25)
	v_fma_f32 v2, v2, v193, -v10
	v_fmac_f32_e32 v1, v3, v193
	v_mul_f32_e32 v3, v7, v12
	s_waitcnt vmcnt(24)
	v_fma_f32 v4, v4, v194, -v11
	v_fmac_f32_e32 v219, v5, v194
	v_add_f32_e32 v2, 0, v2
	v_add_f32_e32 v1, 0, v1
	v_mul_f32_e32 v5, v9, v172
	s_waitcnt vmcnt(23)
	v_fma_f32 v3, v6, v195, -v3
	v_fmac_f32_e32 v220, v7, v195
	v_add_f32_e32 v2, v2, v4
	v_add_f32_e32 v1, v1, v219
	;; [unrolled: 6-line block ×20, first 2 shown]
	s_waitcnt lgkmcnt(0)
	v_mul_f32_e32 v4, v169, v191
	s_waitcnt vmcnt(4)
	v_fma_f32 v5, v166, v214, -v5
	v_mul_f32_e32 v240, v168, v191
	v_add_f32_e32 v2, v2, v3
	v_fmac_f32_e32 v239, v167, v214
	v_add_f32_e32 v1, v1, v238
	v_mul_f32_e32 v3, v171, v192
	s_waitcnt vmcnt(3)
	v_fma_f32 v4, v168, v215, -v4
	v_add_f32_e32 v2, v2, v5
	v_mul_f32_e32 v241, v170, v192
	v_fmac_f32_e32 v240, v169, v215
	v_add_f32_e32 v1, v1, v239
	s_waitcnt vmcnt(2)
	v_fma_f32 v3, v170, v216, -v3
	v_add_f32_e32 v2, v2, v4
	v_fmac_f32_e32 v241, v171, v216
	v_add_f32_e32 v1, v1, v240
	v_add_f32_e32 v2, v2, v3
	v_add_f32_e32 v1, v1, v241
	s_waitcnt vmcnt(1)
	v_sub_f32_e32 v2, v217, v2
	s_waitcnt vmcnt(0)
	v_sub_f32_e32 v1, v218, v1
	buffer_store_dword v2, off, s[0:3], 0 offset:272
	buffer_store_dword v1, off, s[0:3], 0 offset:276
	v_cmpx_lt_u32_e32 33, v0
	s_cbranch_execz .LBB58_301
; %bb.300:
	s_clause 0x1
	buffer_load_dword v1, off, s[0:3], 0 offset:264
	buffer_load_dword v2, off, s[0:3], 0 offset:268
	v_mov_b32_e32 v3, 0
	buffer_store_dword v3, off, s[0:3], 0 offset:264
	buffer_store_dword v3, off, s[0:3], 0 offset:268
	s_waitcnt vmcnt(0)
	ds_write_b64 v131, v[1:2]
.LBB58_301:
	s_or_b32 exec_lo, exec_lo, s4
	s_waitcnt lgkmcnt(0)
	s_waitcnt_vscnt null, 0x0
	s_barrier
	buffer_gl0_inv
	s_clause 0x33
	buffer_load_dword v12, off, s[0:3], 0 offset:276
	buffer_load_dword v172, off, s[0:3], 0 offset:284
	;; [unrolled: 1-line block ×52, first 2 shown]
	v_mov_b32_e32 v1, 0
	ds_read_b128 v[2:5], v1 offset:752
	ds_read_b128 v[6:9], v1 offset:768
	;; [unrolled: 1-line block ×12, first 2 shown]
	ds_read_b64 v[10:11], v1 offset:944
	s_mov_b32 s4, exec_lo
	s_waitcnt vmcnt(51) lgkmcnt(12)
	v_mul_f32_e32 v223, v2, v12
	v_mul_f32_e32 v12, v3, v12
	s_waitcnt vmcnt(50)
	v_mul_f32_e32 v224, v4, v172
	v_mul_f32_e32 v172, v5, v172
	s_waitcnt vmcnt(49) lgkmcnt(11)
	v_mul_f32_e32 v225, v6, v173
	s_waitcnt vmcnt(48)
	v_mul_f32_e32 v226, v8, v174
	s_waitcnt vmcnt(47) lgkmcnt(10)
	v_mul_f32_e32 v227, v132, v175
	s_waitcnt vmcnt(46)
	v_mul_f32_e32 v228, v134, v176
	s_waitcnt vmcnt(45) lgkmcnt(9)
	v_mul_f32_e32 v229, v136, v177
	s_waitcnt vmcnt(44)
	v_mul_f32_e32 v230, v138, v178
	s_waitcnt vmcnt(43) lgkmcnt(8)
	v_mul_f32_e32 v231, v140, v179
	s_waitcnt vmcnt(42)
	v_mul_f32_e32 v232, v142, v180
	s_waitcnt vmcnt(41) lgkmcnt(7)
	v_mul_f32_e32 v233, v144, v181
	s_waitcnt vmcnt(40)
	v_mul_f32_e32 v234, v146, v182
	s_waitcnt vmcnt(39) lgkmcnt(6)
	v_mul_f32_e32 v235, v148, v183
	s_waitcnt vmcnt(38)
	v_mul_f32_e32 v236, v150, v184
	s_waitcnt vmcnt(37) lgkmcnt(5)
	v_mul_f32_e32 v237, v152, v185
	s_waitcnt vmcnt(36)
	v_mul_f32_e32 v238, v154, v186
	s_waitcnt vmcnt(35) lgkmcnt(4)
	v_mul_f32_e32 v239, v156, v187
	s_waitcnt vmcnt(34)
	v_mul_f32_e32 v240, v158, v188
	s_waitcnt vmcnt(33) lgkmcnt(3)
	v_mul_f32_e32 v241, v160, v189
	s_waitcnt vmcnt(32)
	v_mul_f32_e32 v242, v162, v190
	s_waitcnt vmcnt(31) lgkmcnt(2)
	v_mul_f32_e32 v243, v164, v191
	s_waitcnt vmcnt(30)
	v_mul_f32_e32 v244, v166, v192
	s_waitcnt vmcnt(29) lgkmcnt(1)
	v_mul_f32_e32 v245, v168, v193
	s_waitcnt vmcnt(26)
	v_fma_f32 v2, v2, v196, -v12
	v_fmac_f32_e32 v223, v3, v196
	v_mul_f32_e32 v3, v7, v173
	s_waitcnt vmcnt(25)
	v_fma_f32 v4, v4, v197, -v172
	v_fmac_f32_e32 v224, v5, v197
	v_add_f32_e32 v2, 0, v2
	v_add_f32_e32 v5, 0, v223
	v_mul_f32_e32 v12, v9, v174
	s_waitcnt vmcnt(24)
	v_fma_f32 v3, v6, v198, -v3
	v_fmac_f32_e32 v225, v7, v198
	v_add_f32_e32 v2, v2, v4
	v_add_f32_e32 v4, v5, v224
	;; [unrolled: 6-line block ×21, first 2 shown]
	v_mul_f32_e32 v4, v171, v194
	s_waitcnt vmcnt(4)
	v_fma_f32 v5, v168, v218, -v5
	v_mul_f32_e32 v246, v170, v194
	v_add_f32_e32 v2, v2, v6
	v_fmac_f32_e32 v245, v169, v218
	v_add_f32_e32 v3, v3, v244
	s_waitcnt lgkmcnt(0)
	v_mul_f32_e32 v6, v11, v195
	s_waitcnt vmcnt(3)
	v_fma_f32 v4, v170, v219, -v4
	v_add_f32_e32 v2, v2, v5
	v_mul_f32_e32 v247, v10, v195
	v_fmac_f32_e32 v246, v171, v219
	v_add_f32_e32 v3, v3, v245
	s_waitcnt vmcnt(2)
	v_fma_f32 v5, v10, v220, -v6
	v_add_f32_e32 v2, v2, v4
	v_fmac_f32_e32 v247, v11, v220
	v_add_f32_e32 v3, v3, v246
	v_add_f32_e32 v2, v2, v5
	;; [unrolled: 1-line block ×3, first 2 shown]
	s_waitcnt vmcnt(1)
	v_sub_f32_e32 v2, v221, v2
	s_waitcnt vmcnt(0)
	v_sub_f32_e32 v3, v222, v3
	buffer_store_dword v2, off, s[0:3], 0 offset:264
	buffer_store_dword v3, off, s[0:3], 0 offset:268
	v_cmpx_lt_u32_e32 32, v0
	s_cbranch_execz .LBB58_303
; %bb.302:
	s_clause 0x1
	buffer_load_dword v2, off, s[0:3], 0 offset:256
	buffer_load_dword v3, off, s[0:3], 0 offset:260
	buffer_store_dword v1, off, s[0:3], 0 offset:256
	buffer_store_dword v1, off, s[0:3], 0 offset:260
	s_waitcnt vmcnt(0)
	ds_write_b64 v131, v[2:3]
.LBB58_303:
	s_or_b32 exec_lo, exec_lo, s4
	s_waitcnt lgkmcnt(0)
	s_waitcnt_vscnt null, 0x0
	s_barrier
	buffer_gl0_inv
	s_clause 0x35
	buffer_load_dword v10, off, s[0:3], 0 offset:268
	buffer_load_dword v11, off, s[0:3], 0 offset:276
	;; [unrolled: 1-line block ×54, first 2 shown]
	ds_read2_b64 v[2:5], v1 offset0:93 offset1:94
	ds_read2_b64 v[6:9], v1 offset0:95 offset1:96
	;; [unrolled: 1-line block ×13, first 2 shown]
	s_mov_b32 s4, exec_lo
	s_waitcnt vmcnt(53) lgkmcnt(12)
	v_mul_f32_e32 v1, v2, v10
	v_mul_f32_e32 v10, v3, v10
	s_waitcnt vmcnt(52)
	v_mul_f32_e32 v227, v4, v11
	v_mul_f32_e32 v11, v5, v11
	s_waitcnt vmcnt(51) lgkmcnt(11)
	v_mul_f32_e32 v228, v6, v12
	s_waitcnt vmcnt(50)
	v_mul_f32_e32 v229, v8, v176
	s_waitcnt vmcnt(49) lgkmcnt(10)
	v_mul_f32_e32 v230, v132, v177
	s_waitcnt vmcnt(48)
	;; [unrolled: 4-line block ×11, first 2 shown]
	v_mul_f32_e32 v249, v170, v196
	s_waitcnt vmcnt(27)
	v_fma_f32 v2, v2, v199, -v10
	v_fmac_f32_e32 v1, v3, v199
	v_mul_f32_e32 v3, v7, v12
	s_waitcnt vmcnt(26)
	v_fma_f32 v4, v4, v200, -v11
	v_fmac_f32_e32 v227, v5, v200
	v_add_f32_e32 v2, 0, v2
	v_add_f32_e32 v1, 0, v1
	v_mul_f32_e32 v5, v9, v176
	s_waitcnt vmcnt(25)
	v_fma_f32 v3, v6, v201, -v3
	v_fmac_f32_e32 v228, v7, v201
	v_add_f32_e32 v2, v2, v4
	v_add_f32_e32 v1, v1, v227
	;; [unrolled: 6-line block ×22, first 2 shown]
	s_waitcnt lgkmcnt(0)
	v_mul_f32_e32 v5, v173, v197
	s_waitcnt vmcnt(4)
	v_fma_f32 v3, v170, v222, -v3
	v_mul_f32_e32 v250, v172, v197
	v_add_f32_e32 v2, v2, v4
	v_fmac_f32_e32 v249, v171, v222
	v_add_f32_e32 v1, v1, v248
	v_mul_f32_e32 v4, v175, v198
	s_waitcnt vmcnt(3)
	v_fma_f32 v5, v172, v223, -v5
	v_add_f32_e32 v2, v2, v3
	v_mul_f32_e32 v251, v174, v198
	v_fmac_f32_e32 v250, v173, v223
	v_add_f32_e32 v1, v1, v249
	s_waitcnt vmcnt(2)
	v_fma_f32 v3, v174, v224, -v4
	v_add_f32_e32 v2, v2, v5
	v_fmac_f32_e32 v251, v175, v224
	v_add_f32_e32 v1, v1, v250
	v_add_f32_e32 v2, v2, v3
	;; [unrolled: 1-line block ×3, first 2 shown]
	s_waitcnt vmcnt(1)
	v_sub_f32_e32 v2, v225, v2
	s_waitcnt vmcnt(0)
	v_sub_f32_e32 v1, v226, v1
	buffer_store_dword v2, off, s[0:3], 0 offset:256
	buffer_store_dword v1, off, s[0:3], 0 offset:260
	v_cmpx_lt_u32_e32 31, v0
	s_cbranch_execz .LBB58_305
; %bb.304:
	s_clause 0x1
	buffer_load_dword v1, off, s[0:3], 0 offset:248
	buffer_load_dword v2, off, s[0:3], 0 offset:252
	v_mov_b32_e32 v3, 0
	buffer_store_dword v3, off, s[0:3], 0 offset:248
	buffer_store_dword v3, off, s[0:3], 0 offset:252
	s_waitcnt vmcnt(0)
	ds_write_b64 v131, v[1:2]
.LBB58_305:
	s_or_b32 exec_lo, exec_lo, s4
	s_waitcnt lgkmcnt(0)
	s_waitcnt_vscnt null, 0x0
	s_barrier
	buffer_gl0_inv
	s_clause 0x37
	buffer_load_dword v145, off, s[0:3], 0 offset:260
	buffer_load_dword v149, off, s[0:3], 0 offset:268
	;; [unrolled: 1-line block ×56, first 2 shown]
	v_mov_b32_e32 v1, 0
	ds_read_b128 v[133:136], v1 offset:736
	ds_read_b128 v[137:140], v1 offset:752
	;; [unrolled: 1-line block ×3, first 2 shown]
	s_mov_b32 s4, exec_lo
	s_waitcnt vmcnt(55) lgkmcnt(2)
	v_mul_f32_e32 v192, v133, v145
	v_mul_f32_e32 v193, v134, v145
	ds_read_b128 v[145:148], v1 offset:784
	s_waitcnt vmcnt(54)
	v_mul_f32_e32 v194, v135, v149
	v_mul_f32_e32 v149, v136, v149
	s_waitcnt vmcnt(51)
	v_fmac_f32_e32 v192, v134, v152
	v_fma_f32 v152, v133, v152, -v193
	s_waitcnt vmcnt(50) lgkmcnt(2)
	v_mul_f32_e32 v193, v137, v153
	v_fmac_f32_e32 v194, v136, v151
	v_fma_f32 v149, v135, v151, -v149
	s_waitcnt vmcnt(49)
	v_mul_f32_e32 v195, v139, v154
	v_mul_f32_e32 v151, v138, v153
	;; [unrolled: 1-line block ×3, first 2 shown]
	ds_read_b128 v[133:136], v1 offset:800
	v_fmac_f32_e32 v193, v138, v150
	s_waitcnt vmcnt(45)
	v_fmac_f32_e32 v195, v140, v158
	v_fma_f32 v150, v137, v150, -v151
	v_fma_f32 v153, v139, v158, -v153
	s_waitcnt vmcnt(44) lgkmcnt(2)
	v_mul_f32_e32 v158, v141, v159
	v_mul_f32_e32 v151, v142, v159
	ds_read_b128 v[137:140], v1 offset:816
	s_waitcnt vmcnt(43)
	v_mul_f32_e32 v159, v143, v160
	v_mul_f32_e32 v154, v144, v160
	v_add_f32_e32 v160, 0, v192
	v_fmac_f32_e32 v158, v142, v157
	v_fma_f32 v157, v141, v157, -v151
	v_add_f32_e32 v141, 0, v152
	s_waitcnt vmcnt(42) lgkmcnt(2)
	v_mul_f32_e32 v192, v145, v161
	v_add_f32_e32 v142, v160, v194
	v_mul_f32_e32 v151, v146, v161
	s_waitcnt vmcnt(41)
	v_mul_f32_e32 v194, v147, v162
	v_add_f32_e32 v141, v141, v149
	v_mul_f32_e32 v160, v148, v162
	s_waitcnt vmcnt(40) lgkmcnt(1)
	v_mul_f32_e32 v196, v133, v163
	v_fma_f32 v161, v143, v156, -v154
	v_fmac_f32_e32 v192, v146, v155
	v_fma_f32 v162, v145, v155, -v151
	v_add_f32_e32 v145, v142, v193
	v_add_f32_e32 v146, v141, v150
	v_mul_f32_e32 v154, v134, v163
	s_waitcnt vmcnt(37)
	v_fmac_f32_e32 v196, v134, v166
	s_waitcnt vmcnt(36)
	v_fmac_f32_e32 v194, v148, v167
	v_add_f32_e32 v134, v145, v195
	v_fma_f32 v163, v147, v167, -v160
	v_fma_f32 v166, v133, v166, -v154
	v_add_f32_e32 v133, v146, v153
	s_waitcnt vmcnt(35)
	v_mul_f32_e32 v167, v135, v168
	v_add_f32_e32 v134, v134, v158
	v_mul_f32_e32 v158, v136, v168
	s_waitcnt vmcnt(34) lgkmcnt(0)
	v_mul_f32_e32 v168, v137, v169
	v_add_f32_e32 v133, v133, v157
	v_mul_f32_e32 v157, v138, v169
	v_fmac_f32_e32 v159, v144, v156
	s_waitcnt vmcnt(33)
	v_mul_f32_e32 v193, v139, v170
	v_mul_f32_e32 v169, v140, v170
	v_fmac_f32_e32 v168, v138, v164
	v_fma_f32 v164, v137, v164, -v157
	v_add_f32_e32 v137, v133, v161
	v_add_f32_e32 v134, v134, v159
	s_waitcnt vmcnt(29)
	v_fmac_f32_e32 v193, v140, v174
	v_fma_f32 v169, v139, v174, -v169
	ds_read_b128 v[141:144], v1 offset:832
	ds_read_b128 v[149:152], v1 offset:848
	v_add_f32_e32 v174, v137, v162
	v_add_f32_e32 v170, v134, v192
	v_fmac_f32_e32 v167, v136, v165
	v_fma_f32 v165, v135, v165, -v158
	ds_read_b128 v[145:148], v1 offset:864
	ds_read_b128 v[153:156], v1 offset:880
	v_add_f32_e32 v163, v174, v163
	v_add_f32_e32 v170, v170, v194
	ds_read_b128 v[133:136], v1 offset:896
	ds_read_b128 v[157:160], v1 offset:912
	;; [unrolled: 1-line block ×3, first 2 shown]
	ds_read_b64 v[161:162], v1 offset:944
	v_add_f32_e32 v163, v163, v166
	v_add_f32_e32 v170, v170, v196
	;; [unrolled: 1-line block ×4, first 2 shown]
	s_waitcnt vmcnt(28) lgkmcnt(7)
	v_mul_f32_e32 v192, v141, v175
	v_mul_f32_e32 v175, v142, v175
	v_add_f32_e32 v163, v163, v164
	v_add_f32_e32 v164, v167, v168
	s_waitcnt vmcnt(27)
	v_mul_f32_e32 v174, v143, v176
	v_mul_f32_e32 v176, v144, v176
	v_fma_f32 v141, v141, v173, -v175
	v_add_f32_e32 v163, v163, v169
	v_fmac_f32_e32 v192, v142, v173
	v_add_f32_e32 v164, v164, v193
	s_waitcnt vmcnt(26) lgkmcnt(6)
	v_mul_f32_e32 v173, v150, v177
	v_fma_f32 v143, v143, v172, -v176
	v_add_f32_e32 v141, v163, v141
	v_mul_f32_e32 v194, v149, v177
	v_fmac_f32_e32 v174, v144, v172
	v_add_f32_e32 v163, v164, v192
	s_waitcnt vmcnt(25)
	v_mul_f32_e32 v169, v152, v178
	v_fma_f32 v149, v149, v171, -v173
	v_add_f32_e32 v141, v141, v143
	v_mul_f32_e32 v166, v151, v178
	v_fmac_f32_e32 v194, v150, v171
	v_add_f32_e32 v143, v163, v174
	s_waitcnt vmcnt(24) lgkmcnt(5)
	v_mul_f32_e32 v150, v146, v179
	s_waitcnt vmcnt(10)
	v_fma_f32 v151, v151, v185, -v169
	v_add_f32_e32 v141, v141, v149
	v_mul_f32_e32 v142, v145, v179
	v_fmac_f32_e32 v166, v152, v185
	v_add_f32_e32 v143, v143, v194
	v_mul_f32_e32 v149, v148, v180
	v_fma_f32 v145, v145, v184, -v150
	v_add_f32_e32 v141, v141, v151
	v_mul_f32_e32 v170, v147, v180
	v_fmac_f32_e32 v142, v146, v184
	v_add_f32_e32 v143, v143, v166
	s_waitcnt lgkmcnt(4)
	v_mul_f32_e32 v146, v154, v181
	v_fma_f32 v147, v147, v183, -v149
	v_add_f32_e32 v141, v141, v145
	v_mul_f32_e32 v165, v153, v181
	v_fmac_f32_e32 v170, v148, v183
	v_add_f32_e32 v142, v143, v142
	v_mul_f32_e32 v144, v155, v132
	v_mul_f32_e32 v132, v156, v132
	v_fma_f32 v143, v153, v182, -v146
	v_add_f32_e32 v141, v141, v147
	v_fmac_f32_e32 v165, v154, v182
	v_add_f32_e32 v142, v142, v170
	s_waitcnt lgkmcnt(3)
	v_mul_f32_e32 v172, v133, v11
	v_mul_f32_e32 v11, v134, v11
	s_waitcnt vmcnt(6)
	v_fma_f32 v132, v155, v189, -v132
	v_add_f32_e32 v141, v141, v143
	v_fmac_f32_e32 v144, v156, v189
	v_add_f32_e32 v142, v142, v165
	v_mul_f32_e32 v167, v135, v10
	v_mul_f32_e32 v10, v136, v10
	v_fma_f32 v11, v133, v188, -v11
	v_add_f32_e32 v132, v141, v132
	v_fmac_f32_e32 v172, v134, v188
	v_add_f32_e32 v133, v142, v144
	s_waitcnt lgkmcnt(2)
	v_mul_f32_e32 v168, v157, v9
	v_mul_f32_e32 v9, v158, v9
	v_fma_f32 v10, v135, v187, -v10
	v_add_f32_e32 v11, v132, v11
	v_fmac_f32_e32 v167, v136, v187
	v_add_f32_e32 v132, v133, v172
	v_mul_f32_e32 v175, v159, v7
	v_mul_f32_e32 v7, v160, v7
	v_fma_f32 v9, v157, v186, -v9
	v_add_f32_e32 v10, v11, v10
	v_fmac_f32_e32 v168, v158, v186
	v_add_f32_e32 v11, v132, v167
	s_waitcnt lgkmcnt(1)
	v_mul_f32_e32 v176, v137, v6
	v_mul_f32_e32 v6, v138, v6
	s_waitcnt vmcnt(2)
	v_fma_f32 v7, v159, v191, -v7
	v_add_f32_e32 v9, v10, v9
	v_fmac_f32_e32 v175, v160, v191
	v_add_f32_e32 v10, v11, v168
	v_mul_f32_e32 v177, v139, v2
	v_mul_f32_e32 v2, v140, v2
	v_fma_f32 v6, v137, v190, -v6
	v_add_f32_e32 v7, v9, v7
	v_fmac_f32_e32 v176, v138, v190
	v_add_f32_e32 v9, v10, v175
	s_waitcnt lgkmcnt(0)
	v_mul_f32_e32 v164, v161, v3
	v_mul_f32_e32 v3, v162, v3
	v_fma_f32 v2, v139, v12, -v2
	v_add_f32_e32 v6, v7, v6
	v_fmac_f32_e32 v177, v140, v12
	v_add_f32_e32 v7, v9, v176
	v_fma_f32 v3, v161, v8, -v3
	v_fmac_f32_e32 v164, v162, v8
	v_add_f32_e32 v2, v6, v2
	v_add_f32_e32 v6, v7, v177
	;; [unrolled: 1-line block ×4, first 2 shown]
	s_waitcnt vmcnt(1)
	v_sub_f32_e32 v2, v4, v2
	s_waitcnt vmcnt(0)
	v_sub_f32_e32 v3, v5, v3
	buffer_store_dword v2, off, s[0:3], 0 offset:248
	buffer_store_dword v3, off, s[0:3], 0 offset:252
	v_cmpx_lt_u32_e32 30, v0
	s_cbranch_execz .LBB58_307
; %bb.306:
	s_clause 0x1
	buffer_load_dword v2, off, s[0:3], 0 offset:240
	buffer_load_dword v3, off, s[0:3], 0 offset:244
	buffer_store_dword v1, off, s[0:3], 0 offset:240
	buffer_store_dword v1, off, s[0:3], 0 offset:244
	s_waitcnt vmcnt(0)
	ds_write_b64 v131, v[2:3]
.LBB58_307:
	s_or_b32 exec_lo, exec_lo, s4
	s_waitcnt lgkmcnt(0)
	s_waitcnt_vscnt null, 0x0
	s_barrier
	buffer_gl0_inv
	s_clause 0x39
	buffer_load_dword v152, off, s[0:3], 0 offset:252
	buffer_load_dword v153, off, s[0:3], 0 offset:260
	buffer_load_dword v154, off, s[0:3], 0 offset:264
	buffer_load_dword v155, off, s[0:3], 0 offset:256
	buffer_load_dword v156, off, s[0:3], 0 offset:248
	buffer_load_dword v157, off, s[0:3], 0 offset:268
	buffer_load_dword v158, off, s[0:3], 0 offset:276
	buffer_load_dword v159, off, s[0:3], 0 offset:284
	buffer_load_dword v160, off, s[0:3], 0 offset:292
	buffer_load_dword v139, off, s[0:3], 0 offset:296
	buffer_load_dword v161, off, s[0:3], 0 offset:288
	buffer_load_dword v162, off, s[0:3], 0 offset:280
	buffer_load_dword v163, off, s[0:3], 0 offset:272
	buffer_load_dword v164, off, s[0:3], 0 offset:300
	buffer_load_dword v165, off, s[0:3], 0 offset:308
	buffer_load_dword v166, off, s[0:3], 0 offset:328
	buffer_load_dword v167, off, s[0:3], 0 offset:320
	buffer_load_dword v168, off, s[0:3], 0 offset:312
	buffer_load_dword v169, off, s[0:3], 0 offset:304
	buffer_load_dword v170, off, s[0:3], 0 offset:316
	buffer_load_dword v171, off, s[0:3], 0 offset:324
	buffer_load_dword v172, off, s[0:3], 0 offset:332
	buffer_load_dword v173, off, s[0:3], 0 offset:340
	buffer_load_dword v12, off, s[0:3], 0 offset:360
	buffer_load_dword v174, off, s[0:3], 0 offset:352
	buffer_load_dword v175, off, s[0:3], 0 offset:344
	buffer_load_dword v176, off, s[0:3], 0 offset:336
	buffer_load_dword v177, off, s[0:3], 0 offset:348
	buffer_load_dword v178, off, s[0:3], 0 offset:356
	buffer_load_dword v179, off, s[0:3], 0 offset:364
	buffer_load_dword v180, off, s[0:3], 0 offset:372
	buffer_load_dword v137, off, s[0:3], 0 offset:380
	buffer_load_dword v136, off, s[0:3], 0 offset:388
	buffer_load_dword v135, off, s[0:3], 0 offset:396
	buffer_load_dword v134, off, s[0:3], 0 offset:404
	buffer_load_dword v132, off, s[0:3], 0 offset:412
	buffer_load_dword v11, off, s[0:3], 0 offset:420
	buffer_load_dword v10, off, s[0:3], 0 offset:428
	buffer_load_dword v8, off, s[0:3], 0 offset:436
	buffer_load_dword v7, off, s[0:3], 0 offset:444
	buffer_load_dword v6, off, s[0:3], 0 offset:452
	buffer_load_dword v5, off, s[0:3], 0 offset:460
	buffer_load_dword v2, off, s[0:3], 0 offset:468
	buffer_load_dword v181, off, s[0:3], 0 offset:392
	buffer_load_dword v182, off, s[0:3], 0 offset:384
	buffer_load_dword v183, off, s[0:3], 0 offset:376
	buffer_load_dword v184, off, s[0:3], 0 offset:368
	buffer_load_dword v185, off, s[0:3], 0 offset:424
	buffer_load_dword v186, off, s[0:3], 0 offset:416
	buffer_load_dword v187, off, s[0:3], 0 offset:408
	buffer_load_dword v188, off, s[0:3], 0 offset:400
	buffer_load_dword v133, off, s[0:3], 0 offset:456
	buffer_load_dword v138, off, s[0:3], 0 offset:448
	buffer_load_dword v189, off, s[0:3], 0 offset:440
	buffer_load_dword v190, off, s[0:3], 0 offset:432
	buffer_load_dword v9, off, s[0:3], 0 offset:464
	buffer_load_dword v3, off, s[0:3], 0 offset:240
	buffer_load_dword v4, off, s[0:3], 0 offset:244
	ds_read2_b64 v[140:143], v1 offset0:91 offset1:92
	ds_read2_b64 v[144:147], v1 offset0:93 offset1:94
	;; [unrolled: 1-line block ×3, first 2 shown]
	s_mov_b32 s4, exec_lo
	s_waitcnt vmcnt(57) lgkmcnt(2)
	v_mul_f32_e32 v191, v140, v152
	v_mul_f32_e32 v152, v141, v152
	s_waitcnt vmcnt(56)
	v_mul_f32_e32 v192, v142, v153
	v_mul_f32_e32 v153, v143, v153
	s_waitcnt vmcnt(53)
	v_fmac_f32_e32 v191, v141, v156
	v_fma_f32 v152, v140, v156, -v152
	v_fmac_f32_e32 v192, v143, v155
	v_fma_f32 v156, v142, v155, -v153
	ds_read2_b64 v[140:143], v1 offset0:97 offset1:98
	s_waitcnt vmcnt(52) lgkmcnt(2)
	v_mul_f32_e32 v193, v144, v157
	v_mul_f32_e32 v153, v145, v157
	s_waitcnt vmcnt(51)
	v_mul_f32_e32 v157, v146, v158
	v_mul_f32_e32 v155, v147, v158
	s_waitcnt vmcnt(50) lgkmcnt(1)
	v_mul_f32_e32 v194, v148, v159
	v_mul_f32_e32 v158, v149, v159
	s_waitcnt vmcnt(49)
	v_mul_f32_e32 v195, v150, v160
	v_mul_f32_e32 v159, v151, v160
	v_fmac_f32_e32 v193, v145, v154
	v_fma_f32 v160, v144, v154, -v153
	s_waitcnt vmcnt(45)
	v_fmac_f32_e32 v157, v147, v163
	v_fma_f32 v163, v146, v163, -v155
	ds_read2_b64 v[144:147], v1 offset0:99 offset1:100
	v_fmac_f32_e32 v194, v149, v162
	v_fma_f32 v162, v148, v162, -v158
	v_fmac_f32_e32 v195, v151, v161
	v_fma_f32 v196, v150, v161, -v159
	ds_read2_b64 v[148:151], v1 offset0:101 offset1:102
	v_add_f32_e32 v158, 0, v191
	s_waitcnt vmcnt(44) lgkmcnt(2)
	v_mul_f32_e32 v197, v140, v164
	v_mul_f32_e32 v153, v141, v164
	s_waitcnt vmcnt(43)
	v_mul_f32_e32 v164, v142, v165
	v_mul_f32_e32 v154, v143, v165
	v_add_f32_e32 v158, v158, v192
	v_fmac_f32_e32 v197, v141, v139
	v_fma_f32 v165, v140, v139, -v153
	s_waitcnt vmcnt(39)
	v_fmac_f32_e32 v164, v143, v169
	v_add_f32_e32 v143, 0, v152
	v_fma_f32 v169, v142, v169, -v154
	ds_read2_b64 v[139:142], v1 offset0:103 offset1:104
	ds_read2_b64 v[152:155], v1 offset0:105 offset1:106
	v_add_f32_e32 v158, v158, v193
	v_add_f32_e32 v143, v143, v156
	s_waitcnt vmcnt(38) lgkmcnt(3)
	v_mul_f32_e32 v191, v144, v170
	v_mul_f32_e32 v156, v145, v170
	s_waitcnt vmcnt(37)
	v_mul_f32_e32 v170, v146, v171
	v_mul_f32_e32 v159, v147, v171
	v_add_f32_e32 v143, v143, v160
	s_waitcnt vmcnt(36) lgkmcnt(2)
	v_mul_f32_e32 v171, v148, v172
	s_waitcnt vmcnt(35)
	v_mul_f32_e32 v192, v150, v173
	v_mul_f32_e32 v160, v149, v172
	v_fmac_f32_e32 v170, v147, v167
	v_add_f32_e32 v147, v143, v163
	v_add_f32_e32 v161, v158, v157
	v_mul_f32_e32 v163, v151, v173
	v_fmac_f32_e32 v171, v149, v166
	s_waitcnt vmcnt(31)
	v_fmac_f32_e32 v192, v151, v176
	v_fma_f32 v151, v148, v166, -v160
	v_add_f32_e32 v166, v147, v162
	v_fma_f32 v172, v146, v167, -v159
	v_add_f32_e32 v167, v161, v194
	v_fma_f32 v173, v150, v176, -v163
	s_waitcnt vmcnt(30) lgkmcnt(1)
	v_mul_f32_e32 v176, v139, v177
	v_add_f32_e32 v166, v166, v196
	v_mul_f32_e32 v177, v140, v177
	v_add_f32_e32 v167, v167, v195
	v_fmac_f32_e32 v191, v145, v168
	v_fmac_f32_e32 v176, v140, v175
	v_add_f32_e32 v140, v166, v165
	v_fma_f32 v168, v144, v168, -v156
	v_add_f32_e32 v165, v167, v197
	v_fma_f32 v175, v139, v175, -v177
	ds_read2_b64 v[143:146], v1 offset0:107 offset1:108
	ds_read2_b64 v[156:159], v1 offset0:109 offset1:110
	v_add_f32_e32 v169, v140, v169
	s_waitcnt vmcnt(29)
	v_mul_f32_e32 v193, v141, v178
	v_add_f32_e32 v177, v165, v164
	v_mul_f32_e32 v178, v142, v178
	ds_read2_b64 v[147:150], v1 offset0:111 offset1:112
	ds_read2_b64 v[160:163], v1 offset0:113 offset1:114
	v_add_f32_e32 v168, v169, v168
	v_fmac_f32_e32 v193, v142, v174
	v_add_f32_e32 v177, v177, v191
	v_fma_f32 v174, v141, v174, -v178
	ds_read2_b64 v[139:142], v1 offset0:115 offset1:116
	ds_read2_b64 v[164:167], v1 offset0:117 offset1:118
	v_add_f32_e32 v168, v168, v172
	s_waitcnt vmcnt(28) lgkmcnt(6)
	v_mul_f32_e32 v1, v152, v179
	v_add_f32_e32 v170, v177, v170
	v_mul_f32_e32 v169, v153, v179
	s_waitcnt vmcnt(27)
	v_mul_f32_e32 v179, v155, v180
	v_add_f32_e32 v151, v168, v151
	v_fmac_f32_e32 v1, v153, v12
	v_add_f32_e32 v170, v170, v171
	v_fma_f32 v12, v152, v12, -v169
	v_mul_f32_e32 v178, v154, v180
	v_add_f32_e32 v151, v151, v173
	s_waitcnt vmcnt(26) lgkmcnt(5)
	v_mul_f32_e32 v172, v143, v137
	v_add_f32_e32 v170, v170, v192
	v_mul_f32_e32 v137, v144, v137
	s_waitcnt vmcnt(11)
	v_fma_f32 v154, v154, v184, -v179
	v_add_f32_e32 v151, v151, v175
	v_fmac_f32_e32 v178, v155, v184
	v_add_f32_e32 v170, v170, v176
	v_mul_f32_e32 v177, v145, v136
	v_mul_f32_e32 v136, v146, v136
	v_add_f32_e32 v151, v151, v174
	v_fma_f32 v137, v143, v183, -v137
	v_add_f32_e32 v153, v170, v193
	v_fmac_f32_e32 v172, v144, v183
	s_waitcnt lgkmcnt(4)
	v_mul_f32_e32 v180, v156, v135
	v_add_f32_e32 v12, v151, v12
	v_mul_f32_e32 v135, v157, v135
	v_add_f32_e32 v1, v153, v1
	v_fma_f32 v136, v145, v182, -v136
	v_fmac_f32_e32 v177, v146, v182
	v_add_f32_e32 v12, v12, v154
	v_mul_f32_e32 v168, v158, v134
	v_add_f32_e32 v1, v1, v178
	v_mul_f32_e32 v134, v159, v134
	v_fma_f32 v135, v156, v181, -v135
	v_add_f32_e32 v12, v12, v137
	v_fmac_f32_e32 v180, v157, v181
	v_add_f32_e32 v1, v1, v172
	s_waitcnt lgkmcnt(3)
	v_mul_f32_e32 v171, v147, v132
	v_mul_f32_e32 v132, v148, v132
	v_add_f32_e32 v12, v12, v136
	s_waitcnt vmcnt(7)
	v_fma_f32 v134, v158, v188, -v134
	v_add_f32_e32 v1, v1, v177
	v_fmac_f32_e32 v168, v159, v188
	v_mul_f32_e32 v191, v149, v11
	v_add_f32_e32 v12, v12, v135
	v_mul_f32_e32 v11, v150, v11
	v_add_f32_e32 v1, v1, v180
	v_fma_f32 v132, v147, v187, -v132
	v_fmac_f32_e32 v171, v148, v187
	v_add_f32_e32 v12, v12, v134
	s_waitcnt lgkmcnt(2)
	v_mul_f32_e32 v173, v160, v10
	v_add_f32_e32 v1, v1, v168
	v_mul_f32_e32 v10, v161, v10
	v_fma_f32 v11, v149, v186, -v11
	v_add_f32_e32 v12, v12, v132
	v_fmac_f32_e32 v191, v150, v186
	v_add_f32_e32 v1, v1, v171
	v_mul_f32_e32 v192, v162, v8
	v_mul_f32_e32 v8, v163, v8
	v_fma_f32 v10, v160, v185, -v10
	v_add_f32_e32 v11, v12, v11
	v_fmac_f32_e32 v173, v161, v185
	v_add_f32_e32 v1, v1, v191
	s_waitcnt lgkmcnt(1)
	v_mul_f32_e32 v194, v139, v7
	v_mul_f32_e32 v7, v140, v7
	s_waitcnt vmcnt(3)
	v_fma_f32 v8, v162, v190, -v8
	v_add_f32_e32 v10, v11, v10
	v_fmac_f32_e32 v192, v163, v190
	v_add_f32_e32 v1, v1, v173
	v_mul_f32_e32 v175, v141, v6
	v_mul_f32_e32 v6, v142, v6
	v_fma_f32 v7, v139, v189, -v7
	v_add_f32_e32 v8, v10, v8
	v_fmac_f32_e32 v194, v140, v189
	v_add_f32_e32 v1, v1, v192
	s_waitcnt lgkmcnt(0)
	v_mul_f32_e32 v176, v164, v5
	v_mul_f32_e32 v5, v165, v5
	v_fma_f32 v6, v141, v138, -v6
	v_add_f32_e32 v7, v8, v7
	v_fmac_f32_e32 v175, v142, v138
	v_add_f32_e32 v1, v1, v194
	v_mul_f32_e32 v152, v166, v2
	v_mul_f32_e32 v2, v167, v2
	v_fma_f32 v5, v164, v133, -v5
	v_add_f32_e32 v6, v7, v6
	v_fmac_f32_e32 v176, v165, v133
	v_add_f32_e32 v1, v1, v175
	s_waitcnt vmcnt(2)
	v_fma_f32 v2, v166, v9, -v2
	v_fmac_f32_e32 v152, v167, v9
	v_add_f32_e32 v5, v6, v5
	v_add_f32_e32 v1, v1, v176
	;; [unrolled: 1-line block ×4, first 2 shown]
	s_waitcnt vmcnt(1)
	v_sub_f32_e32 v2, v3, v2
	s_waitcnt vmcnt(0)
	v_sub_f32_e32 v1, v4, v1
	buffer_store_dword v2, off, s[0:3], 0 offset:240
	buffer_store_dword v1, off, s[0:3], 0 offset:244
	v_cmpx_lt_u32_e32 29, v0
	s_cbranch_execz .LBB58_309
; %bb.308:
	s_clause 0x1
	buffer_load_dword v1, off, s[0:3], 0 offset:232
	buffer_load_dword v2, off, s[0:3], 0 offset:236
	v_mov_b32_e32 v3, 0
	buffer_store_dword v3, off, s[0:3], 0 offset:232
	buffer_store_dword v3, off, s[0:3], 0 offset:236
	s_waitcnt vmcnt(0)
	ds_write_b64 v131, v[1:2]
.LBB58_309:
	s_or_b32 exec_lo, exec_lo, s4
	s_waitcnt lgkmcnt(0)
	s_waitcnt_vscnt null, 0x0
	s_barrier
	buffer_gl0_inv
	s_clause 0x3b
	buffer_load_dword v163, off, s[0:3], 0 offset:244
	buffer_load_dword v164, off, s[0:3], 0 offset:252
	;; [unrolled: 1-line block ×60, first 2 shown]
	v_mov_b32_e32 v1, 0
	ds_read_b128 v[151:154], v1 offset:720
	ds_read_b128 v[155:158], v1 offset:736
	;; [unrolled: 1-line block ×3, first 2 shown]
	s_mov_b32 s4, exec_lo
	s_waitcnt vmcnt(59) lgkmcnt(2)
	v_mul_f32_e32 v193, v151, v163
	s_waitcnt vmcnt(58)
	v_mul_f32_e32 v194, v153, v164
	v_mul_f32_e32 v163, v152, v163
	;; [unrolled: 1-line block ×3, first 2 shown]
	s_waitcnt vmcnt(55)
	v_fmac_f32_e32 v193, v152, v166
	v_fmac_f32_e32 v194, v154, v165
	v_fma_f32 v163, v151, v166, -v163
	v_fma_f32 v164, v153, v165, -v164
	ds_read_b128 v[151:154], v1 offset:768
	s_waitcnt vmcnt(54) lgkmcnt(2)
	v_mul_f32_e32 v195, v155, v150
	v_mul_f32_e32 v150, v156, v150
	s_waitcnt vmcnt(53)
	v_mul_f32_e32 v196, v157, v149
	v_mul_f32_e32 v149, v158, v149
	v_add_f32_e32 v165, 0, v193
	v_fmac_f32_e32 v195, v156, v144
	v_fma_f32 v144, v155, v144, -v150
	s_waitcnt vmcnt(48)
	v_fmac_f32_e32 v196, v158, v169
	v_fma_f32 v169, v157, v169, -v149
	s_waitcnt vmcnt(47) lgkmcnt(1)
	v_mul_f32_e32 v149, v162, v170
	ds_read_b128 v[155:158], v1 offset:784
	v_mul_f32_e32 v197, v159, v147
	v_mul_f32_e32 v147, v160, v147
	;; [unrolled: 1-line block ×3, first 2 shown]
	v_fma_f32 v199, v161, v167, -v149
	v_fmac_f32_e32 v197, v160, v168
	v_fma_f32 v147, v159, v168, -v147
	v_fmac_f32_e32 v198, v162, v167
	s_waitcnt vmcnt(46) lgkmcnt(1)
	v_mul_f32_e32 v200, v151, v171
	s_waitcnt vmcnt(45)
	v_mul_f32_e32 v201, v153, v172
	v_mul_f32_e32 v149, v152, v171
	;; [unrolled: 1-line block ×3, first 2 shown]
	ds_read_b128 v[159:162], v1 offset:800
	v_fmac_f32_e32 v200, v152, v146
	v_add_f32_e32 v152, 0, v163
	s_waitcnt vmcnt(41)
	v_fmac_f32_e32 v201, v154, v175
	v_fma_f32 v175, v153, v175, -v150
	v_add_f32_e32 v154, v165, v194
	v_fma_f32 v146, v151, v146, -v149
	v_add_f32_e32 v153, v152, v164
	s_waitcnt vmcnt(39) lgkmcnt(1)
	v_mul_f32_e32 v167, v158, v177
	v_mul_f32_e32 v194, v157, v177
	v_add_f32_e32 v154, v154, v195
	ds_read_b128 v[149:152], v1 offset:816
	ds_read_b128 v[163:166], v1 offset:832
	v_add_f32_e32 v144, v153, v144
	v_fma_f32 v202, v157, v173, -v167
	v_mul_f32_e32 v153, v156, v176
	v_add_f32_e32 v154, v154, v196
	v_mul_f32_e32 v193, v155, v176
	v_add_f32_e32 v144, v144, v169
	v_fmac_f32_e32 v194, v158, v173
	v_fma_f32 v176, v155, v174, -v153
	v_add_f32_e32 v157, v154, v197
	s_waitcnt vmcnt(37) lgkmcnt(2)
	v_mul_f32_e32 v196, v161, v142
	v_add_f32_e32 v144, v144, v147
	v_fmac_f32_e32 v193, v156, v174
	v_mul_f32_e32 v142, v162, v142
	v_add_f32_e32 v147, v157, v198
	v_mul_f32_e32 v195, v159, v178
	v_add_f32_e32 v144, v144, v199
	v_mul_f32_e32 v171, v160, v178
	s_waitcnt vmcnt(33)
	v_fmac_f32_e32 v196, v162, v181
	v_add_f32_e32 v147, v147, v200
	v_fma_f32 v142, v161, v181, -v142
	v_add_f32_e32 v144, v144, v146
	v_fmac_f32_e32 v195, v160, v139
	v_fma_f32 v139, v159, v139, -v171
	v_add_f32_e32 v147, v147, v201
	s_waitcnt vmcnt(32) lgkmcnt(1)
	v_mul_f32_e32 v161, v149, v182
	v_add_f32_e32 v144, v144, v175
	v_mul_f32_e32 v146, v150, v182
	ds_read_b128 v[153:156], v1 offset:848
	ds_read_b128 v[167:170], v1 offset:864
	v_add_f32_e32 v181, v147, v193
	s_waitcnt vmcnt(30) lgkmcnt(2)
	v_mul_f32_e32 v182, v163, v137
	v_add_f32_e32 v144, v144, v176
	v_mul_f32_e32 v137, v164, v137
	v_mul_f32_e32 v162, v151, v183
	v_add_f32_e32 v181, v181, v194
	v_mul_f32_e32 v177, v152, v183
	v_add_f32_e32 v144, v144, v202
	v_fmac_f32_e32 v161, v150, v180
	v_fma_f32 v180, v149, v180, -v146
	v_add_f32_e32 v181, v181, v195
	v_fmac_f32_e32 v182, v164, v133
	v_add_f32_e32 v139, v144, v139
	v_fma_f32 v133, v163, v133, -v137
	v_fmac_f32_e32 v162, v152, v179
	v_add_f32_e32 v163, v181, v196
	v_fma_f32 v179, v151, v179, -v177
	v_add_f32_e32 v139, v139, v142
	s_waitcnt vmcnt(29)
	v_mul_f32_e32 v183, v165, v138
	v_mul_f32_e32 v138, v166, v138
	v_add_f32_e32 v161, v163, v161
	s_waitcnt vmcnt(28) lgkmcnt(1)
	v_mul_f32_e32 v193, v153, v134
	v_add_f32_e32 v139, v139, v180
	v_mul_f32_e32 v134, v154, v134
	s_waitcnt vmcnt(20)
	v_fma_f32 v138, v165, v187, -v138
	v_add_f32_e32 v161, v161, v162
	ds_read_b128 v[157:160], v1 offset:880
	ds_read_b128 v[171:174], v1 offset:896
	v_add_f32_e32 v139, v139, v179
	v_fmac_f32_e32 v183, v166, v187
	v_mul_f32_e32 v144, v155, v10
	v_mul_f32_e32 v10, v156, v10
	v_fma_f32 v134, v153, v186, -v134
	v_add_f32_e32 v133, v139, v133
	v_add_f32_e32 v139, v161, v182
	v_fmac_f32_e32 v193, v154, v186
	s_waitcnt lgkmcnt(2)
	v_mul_f32_e32 v137, v167, v8
	v_mul_f32_e32 v8, v168, v8
	v_add_f32_e32 v133, v133, v138
	v_add_f32_e32 v138, v139, v183
	v_fma_f32 v10, v155, v185, -v10
	v_fmac_f32_e32 v144, v156, v185
	v_mul_f32_e32 v164, v169, v6
	v_add_f32_e32 v133, v133, v134
	v_add_f32_e32 v134, v138, v193
	v_mul_f32_e32 v6, v170, v6
	v_fma_f32 v8, v167, v184, -v8
	v_fmac_f32_e32 v137, v168, v184
	v_add_f32_e32 v10, v133, v10
	v_add_f32_e32 v133, v134, v144
	s_waitcnt lgkmcnt(1)
	v_mul_f32_e32 v142, v157, v5
	v_mul_f32_e32 v5, v158, v5
	s_waitcnt vmcnt(8)
	v_fma_f32 v6, v169, v192, -v6
	v_add_f32_e32 v8, v10, v8
	v_fmac_f32_e32 v164, v170, v192
	v_add_f32_e32 v10, v133, v137
	ds_read_b128 v[149:152], v1 offset:912
	ds_read_b128 v[175:178], v1 offset:928
	ds_read_b64 v[146:147], v1 offset:944
	v_mul_f32_e32 v133, v160, v188
	v_fma_f32 v5, v157, v191, -v5
	v_add_f32_e32 v6, v8, v6
	v_mul_f32_e32 v165, v159, v188
	v_fmac_f32_e32 v142, v158, v191
	v_add_f32_e32 v8, v10, v164
	s_waitcnt lgkmcnt(3)
	v_mul_f32_e32 v10, v172, v189
	v_fma_f32 v133, v159, v190, -v133
	v_add_f32_e32 v5, v6, v5
	v_mul_f32_e32 v166, v171, v189
	v_fmac_f32_e32 v165, v160, v190
	v_add_f32_e32 v6, v8, v142
	v_mul_f32_e32 v8, v174, v143
	v_fma_f32 v10, v171, v148, -v10
	v_add_f32_e32 v5, v5, v133
	v_mul_f32_e32 v163, v173, v143
	v_fmac_f32_e32 v166, v172, v148
	v_add_f32_e32 v6, v6, v165
	s_waitcnt lgkmcnt(2)
	v_mul_f32_e32 v133, v150, v140
	s_waitcnt vmcnt(4)
	v_fma_f32 v8, v173, v145, -v8
	v_add_f32_e32 v5, v5, v10
	v_mul_f32_e32 v180, v149, v140
	v_fmac_f32_e32 v163, v174, v145
	v_add_f32_e32 v6, v6, v166
	v_mul_f32_e32 v10, v152, v136
	v_fma_f32 v133, v149, v141, -v133
	v_add_f32_e32 v5, v5, v8
	v_mul_f32_e32 v181, v151, v136
	v_fmac_f32_e32 v180, v150, v141
	v_add_f32_e32 v6, v6, v163
	s_waitcnt lgkmcnt(1)
	v_mul_f32_e32 v8, v176, v132
	v_fma_f32 v10, v151, v135, -v10
	v_add_f32_e32 v5, v5, v133
	v_mul_f32_e32 v162, v175, v132
	v_fmac_f32_e32 v181, v152, v135
	v_add_f32_e32 v6, v6, v180
	v_mul_f32_e32 v179, v177, v9
	v_mul_f32_e32 v9, v178, v9
	v_fma_f32 v8, v175, v12, -v8
	v_add_f32_e32 v5, v5, v10
	v_fmac_f32_e32 v162, v176, v12
	v_add_f32_e32 v6, v6, v181
	s_waitcnt lgkmcnt(0)
	v_mul_f32_e32 v161, v146, v4
	v_mul_f32_e32 v4, v147, v4
	s_waitcnt vmcnt(2)
	v_fma_f32 v9, v177, v11, -v9
	v_add_f32_e32 v5, v5, v8
	v_fmac_f32_e32 v179, v178, v11
	v_add_f32_e32 v6, v6, v162
	v_fma_f32 v4, v146, v7, -v4
	v_fmac_f32_e32 v161, v147, v7
	v_add_f32_e32 v5, v5, v9
	v_add_f32_e32 v6, v6, v179
	;; [unrolled: 1-line block ×4, first 2 shown]
	s_waitcnt vmcnt(1)
	v_sub_f32_e32 v2, v2, v4
	s_waitcnt vmcnt(0)
	v_sub_f32_e32 v3, v3, v5
	buffer_store_dword v2, off, s[0:3], 0 offset:232
	buffer_store_dword v3, off, s[0:3], 0 offset:236
	v_cmpx_lt_u32_e32 28, v0
	s_cbranch_execz .LBB58_311
; %bb.310:
	s_clause 0x1
	buffer_load_dword v2, off, s[0:3], 0 offset:224
	buffer_load_dword v3, off, s[0:3], 0 offset:228
	buffer_store_dword v1, off, s[0:3], 0 offset:224
	buffer_store_dword v1, off, s[0:3], 0 offset:228
	s_waitcnt vmcnt(0)
	ds_write_b64 v131, v[2:3]
.LBB58_311:
	s_or_b32 exec_lo, exec_lo, s4
	s_waitcnt lgkmcnt(0)
	s_waitcnt_vscnt null, 0x0
	s_barrier
	buffer_gl0_inv
	s_clause 0x3d
	buffer_load_dword v163, off, s[0:3], 0 offset:236
	buffer_load_dword v164, off, s[0:3], 0 offset:244
	;; [unrolled: 1-line block ×62, first 2 shown]
	ds_read2_b64 v[155:158], v1 offset0:89 offset1:90
	ds_read2_b64 v[159:162], v1 offset0:91 offset1:92
	s_mov_b32 s4, exec_lo
	s_waitcnt vmcnt(61) lgkmcnt(1)
	v_mul_f32_e32 v191, v155, v163
	s_waitcnt vmcnt(60)
	v_mul_f32_e32 v192, v157, v164
	v_mul_f32_e32 v163, v156, v163
	;; [unrolled: 1-line block ×3, first 2 shown]
	s_waitcnt vmcnt(57)
	v_fmac_f32_e32 v191, v156, v166
	v_fmac_f32_e32 v192, v158, v165
	v_fma_f32 v163, v155, v166, -v163
	v_fma_f32 v193, v157, v165, -v164
	ds_read2_b64 v[155:158], v1 offset0:93 offset1:94
	s_waitcnt vmcnt(56) lgkmcnt(1)
	v_mul_f32_e32 v194, v159, v152
	v_mul_f32_e32 v152, v160, v152
	s_waitcnt vmcnt(55)
	v_mul_f32_e32 v195, v161, v153
	v_mul_f32_e32 v153, v162, v153
	v_fmac_f32_e32 v194, v160, v146
	v_fma_f32 v146, v159, v146, -v152
	s_waitcnt vmcnt(51)
	v_fmac_f32_e32 v195, v162, v167
	v_fma_f32 v167, v161, v167, -v153
	ds_read2_b64 v[159:162], v1 offset0:95 offset1:96
	v_add_f32_e32 v153, 0, v191
	v_add_f32_e32 v153, v153, v192
	s_waitcnt vmcnt(50) lgkmcnt(1)
	v_mul_f32_e32 v196, v155, v143
	v_mul_f32_e32 v143, v156, v143
	s_waitcnt vmcnt(49)
	v_mul_f32_e32 v197, v157, v142
	v_mul_f32_e32 v142, v158, v142
	v_fmac_f32_e32 v196, v156, v140
	v_fma_f32 v140, v155, v140, -v143
	v_fmac_f32_e32 v197, v158, v139
	v_fma_f32 v139, v157, v139, -v142
	ds_read2_b64 v[155:158], v1 offset0:97 offset1:98
	s_waitcnt vmcnt(48) lgkmcnt(1)
	v_mul_f32_e32 v142, v159, v9
	v_mul_f32_e32 v9, v160, v9
	s_waitcnt vmcnt(47)
	v_mul_f32_e32 v143, v161, v168
	v_mul_f32_e32 v152, v162, v168
	v_fmac_f32_e32 v142, v160, v5
	v_fma_f32 v5, v159, v5, -v9
	s_waitcnt vmcnt(43)
	v_fmac_f32_e32 v143, v162, v169
	v_fma_f32 v9, v161, v169, -v152
	ds_read2_b64 v[159:162], v1 offset0:99 offset1:100
	v_add_f32_e32 v152, 0, v163
	ds_read2_b64 v[163:166], v1 offset0:101 offset1:102
	v_add_f32_e32 v152, v152, v193
	s_waitcnt vmcnt(42) lgkmcnt(2)
	v_mul_f32_e32 v191, v155, v154
	v_mul_f32_e32 v154, v156, v154
	v_add_f32_e32 v146, v152, v146
	s_waitcnt vmcnt(41)
	v_mul_f32_e32 v193, v157, v147
	v_mul_f32_e32 v147, v158, v147
	v_fmac_f32_e32 v191, v156, v148
	v_fma_f32 v192, v155, v148, -v154
	v_add_f32_e32 v148, v153, v194
	v_add_f32_e32 v146, v146, v167
	ds_read2_b64 v[152:155], v1 offset0:103 offset1:104
	s_waitcnt vmcnt(40) lgkmcnt(2)
	v_mul_f32_e32 v194, v159, v144
	v_mul_f32_e32 v144, v160, v144
	v_add_f32_e32 v148, v148, v195
	v_add_f32_e32 v140, v146, v140
	s_waitcnt vmcnt(39)
	v_mul_f32_e32 v195, v161, v149
	v_fmac_f32_e32 v194, v160, v8
	v_fma_f32 v144, v159, v8, -v144
	v_add_f32_e32 v146, v148, v196
	v_add_f32_e32 v8, v140, v139
	v_mul_f32_e32 v167, v162, v149
	v_fmac_f32_e32 v193, v158, v10
	v_fma_f32 v10, v157, v10, -v147
	v_add_f32_e32 v139, v146, v197
	v_add_f32_e32 v5, v8, v5
	s_waitcnt vmcnt(34)
	v_fmac_f32_e32 v195, v162, v171
	v_fma_f32 v140, v161, v171, -v167
	s_waitcnt lgkmcnt(1)
	v_mul_f32_e32 v196, v163, v136
	v_add_f32_e32 v8, v139, v142
	v_add_f32_e32 v5, v5, v9
	s_waitcnt vmcnt(33)
	v_mul_f32_e32 v139, v165, v137
	v_mul_f32_e32 v9, v166, v137
	s_waitcnt vmcnt(32) lgkmcnt(0)
	v_mul_f32_e32 v142, v152, v134
	v_add_f32_e32 v8, v8, v143
	v_mul_f32_e32 v134, v153, v134
	v_add_f32_e32 v5, v5, v192
	s_waitcnt vmcnt(31)
	v_mul_f32_e32 v171, v155, v135
	v_fmac_f32_e32 v139, v166, v12
	v_fma_f32 v12, v165, v12, -v9
	v_fma_f32 v165, v152, v11, -v134
	v_add_f32_e32 v152, v8, v191
	v_add_f32_e32 v5, v5, v10
	s_waitcnt vmcnt(27)
	v_fma_f32 v166, v154, v175, -v171
	v_mul_f32_e32 v136, v164, v136
	ds_read2_b64 v[146:149], v1 offset0:105 offset1:106
	ds_read2_b64 v[156:159], v1 offset0:107 offset1:108
	v_add_f32_e32 v171, v152, v193
	v_add_f32_e32 v5, v5, v144
	v_fmac_f32_e32 v196, v164, v170
	v_fma_f32 v164, v163, v170, -v136
	v_mul_f32_e32 v143, v154, v135
	v_add_f32_e32 v171, v171, v194
	v_add_f32_e32 v5, v5, v140
	v_fmac_f32_e32 v142, v153, v11
	ds_read2_b64 v[160:163], v1 offset0:109 offset1:110
	ds_read2_b64 v[167:170], v1 offset0:111 offset1:112
	ds_read2_b64 v[8:11], v1 offset0:113 offset1:114
	ds_read2_b64 v[134:137], v1 offset0:115 offset1:116
	v_add_f32_e32 v171, v171, v195
	v_add_f32_e32 v5, v5, v164
	v_fmac_f32_e32 v143, v155, v175
	ds_read2_b64 v[152:155], v1 offset0:117 offset1:118
	v_add_f32_e32 v171, v171, v196
	v_add_f32_e32 v5, v5, v12
	s_waitcnt vmcnt(26) lgkmcnt(6)
	v_mul_f32_e32 v144, v147, v176
	v_mul_f32_e32 v1, v146, v176
	v_add_f32_e32 v139, v171, v139
	v_add_f32_e32 v5, v5, v165
	s_waitcnt vmcnt(25)
	v_mul_f32_e32 v176, v149, v177
	v_fma_f32 v144, v146, v174, -v144
	v_mul_f32_e32 v175, v148, v177
	v_add_f32_e32 v139, v139, v142
	v_add_f32_e32 v5, v5, v166
	v_fmac_f32_e32 v1, v147, v174
	v_fma_f32 v147, v148, v173, -v176
	s_waitcnt vmcnt(24) lgkmcnt(5)
	v_mul_f32_e32 v140, v156, v178
	v_add_f32_e32 v139, v139, v143
	v_mul_f32_e32 v143, v157, v178
	v_add_f32_e32 v5, v5, v144
	v_fmac_f32_e32 v175, v149, v173
	s_waitcnt vmcnt(23)
	v_mul_f32_e32 v177, v158, v179
	v_add_f32_e32 v1, v139, v1
	v_mul_f32_e32 v139, v159, v179
	v_fma_f32 v143, v156, v172, -v143
	v_add_f32_e32 v5, v5, v147
	v_fmac_f32_e32 v140, v157, v172
	v_add_f32_e32 v1, v1, v175
	s_waitcnt vmcnt(22) lgkmcnt(4)
	v_mul_f32_e32 v144, v161, v180
	s_waitcnt vmcnt(9)
	v_fma_f32 v139, v158, v185, -v139
	v_add_f32_e32 v5, v5, v143
	v_mul_f32_e32 v191, v160, v180
	v_fmac_f32_e32 v177, v159, v185
	v_add_f32_e32 v1, v1, v140
	v_mul_f32_e32 v140, v163, v181
	v_fma_f32 v143, v160, v184, -v144
	v_add_f32_e32 v5, v5, v139
	v_mul_f32_e32 v164, v162, v181
	v_fmac_f32_e32 v191, v161, v184
	v_add_f32_e32 v1, v1, v177
	s_waitcnt lgkmcnt(3)
	v_mul_f32_e32 v139, v168, v182
	v_fma_f32 v140, v162, v183, -v140
	v_add_f32_e32 v5, v5, v143
	v_mul_f32_e32 v192, v167, v182
	v_fmac_f32_e32 v164, v163, v183
	v_add_f32_e32 v1, v1, v191
	v_mul_f32_e32 v143, v170, v145
	v_fma_f32 v139, v167, v151, -v139
	v_add_f32_e32 v5, v5, v140
	v_mul_f32_e32 v193, v169, v145
	v_fmac_f32_e32 v192, v168, v151
	v_add_f32_e32 v1, v1, v164
	s_waitcnt lgkmcnt(2)
	v_mul_f32_e32 v12, v8, v138
	v_mul_f32_e32 v138, v9, v138
	s_waitcnt vmcnt(5)
	v_fma_f32 v140, v169, v150, -v143
	v_add_f32_e32 v5, v5, v139
	v_fmac_f32_e32 v193, v170, v150
	v_add_f32_e32 v1, v1, v192
	v_mul_f32_e32 v171, v10, v132
	v_mul_f32_e32 v132, v11, v132
	v_fma_f32 v8, v8, v141, -v138
	v_add_f32_e32 v5, v5, v140
	v_fmac_f32_e32 v12, v9, v141
	v_add_f32_e32 v1, v1, v193
	s_waitcnt lgkmcnt(1)
	v_mul_f32_e32 v194, v134, v7
	v_mul_f32_e32 v7, v135, v7
	v_fma_f32 v9, v10, v133, -v132
	v_add_f32_e32 v5, v5, v8
	v_fmac_f32_e32 v171, v11, v133
	v_add_f32_e32 v1, v1, v12
	v_mul_f32_e32 v165, v136, v4
	v_mul_f32_e32 v4, v137, v4
	v_fmac_f32_e32 v194, v135, v6
	v_fma_f32 v6, v134, v6, -v7
	v_add_f32_e32 v5, v5, v9
	v_add_f32_e32 v1, v1, v171
	s_waitcnt lgkmcnt(0)
	v_mul_f32_e32 v142, v152, v3
	v_mul_f32_e32 v3, v153, v3
	s_waitcnt vmcnt(2)
	v_fma_f32 v4, v136, v188, -v4
	v_add_f32_e32 v5, v5, v6
	v_fmac_f32_e32 v165, v137, v188
	v_add_f32_e32 v1, v1, v194
	v_mul_f32_e32 v146, v154, v2
	v_mul_f32_e32 v2, v155, v2
	v_fma_f32 v3, v152, v187, -v3
	v_add_f32_e32 v4, v5, v4
	v_fmac_f32_e32 v142, v153, v187
	v_add_f32_e32 v1, v1, v165
	v_fma_f32 v2, v154, v186, -v2
	v_fmac_f32_e32 v146, v155, v186
	v_add_f32_e32 v3, v4, v3
	v_add_f32_e32 v1, v1, v142
	;; [unrolled: 1-line block ×4, first 2 shown]
	s_waitcnt vmcnt(1)
	v_sub_f32_e32 v2, v189, v2
	s_waitcnt vmcnt(0)
	v_sub_f32_e32 v1, v190, v1
	buffer_store_dword v2, off, s[0:3], 0 offset:224
	buffer_store_dword v1, off, s[0:3], 0 offset:228
	v_cmpx_lt_u32_e32 27, v0
	s_cbranch_execz .LBB58_313
; %bb.312:
	s_clause 0x1
	buffer_load_dword v1, off, s[0:3], 0 offset:216
	buffer_load_dword v2, off, s[0:3], 0 offset:220
	v_mov_b32_e32 v3, 0
	buffer_store_dword v3, off, s[0:3], 0 offset:216
	buffer_store_dword v3, off, s[0:3], 0 offset:220
	s_waitcnt vmcnt(0)
	ds_write_b64 v131, v[1:2]
.LBB58_313:
	s_or_b32 exec_lo, exec_lo, s4
	s_waitcnt lgkmcnt(0)
	s_waitcnt_vscnt null, 0x0
	s_barrier
	buffer_gl0_inv
	s_clause 0x3e
	buffer_load_dword v9, off, s[0:3], 0 offset:228
	buffer_load_dword v12, off, s[0:3], 0 offset:236
	;; [unrolled: 1-line block ×64, first 2 shown]
	v_mov_b32_e32 v1, 0
	ds_read_b128 v[171:174], v1 offset:704
	ds_read_b128 v[175:178], v1 offset:720
	s_mov_b32 s4, exec_lo
	ds_read_b128 v[183:186], v1 offset:816
	s_waitcnt vmcnt(62) lgkmcnt(2)
	v_mul_f32_e32 v179, v171, v9
	v_mul_f32_e32 v180, v173, v12
	;; [unrolled: 1-line block ×4, first 2 shown]
	s_waitcnt vmcnt(59)
	v_fmac_f32_e32 v179, v172, v138
	v_fmac_f32_e32 v180, v174, v137
	v_fma_f32 v9, v171, v138, -v9
	v_fma_f32 v12, v173, v137, -v12
	ds_read_b128 v[171:174], v1 offset:736
	s_waitcnt vmcnt(58) lgkmcnt(2)
	v_mul_f32_e32 v137, v175, v134
	s_waitcnt vmcnt(57)
	v_mul_f32_e32 v138, v177, v135
	v_mul_f32_e32 v134, v176, v134
	;; [unrolled: 1-line block ×3, first 2 shown]
	v_add_f32_e32 v9, 0, v9
	v_fmac_f32_e32 v137, v176, v8
	s_waitcnt vmcnt(53)
	v_fmac_f32_e32 v138, v178, v161
	v_fma_f32 v8, v175, v8, -v134
	v_fma_f32 v134, v177, v161, -v135
	ds_read_b128 v[175:178], v1 offset:752
	v_add_f32_e32 v9, v9, v12
	v_add_f32_e32 v8, v9, v8
	s_waitcnt vmcnt(51) lgkmcnt(1)
	v_mul_f32_e32 v161, v173, v159
	v_mul_f32_e32 v159, v174, v159
	;; [unrolled: 1-line block ×4, first 2 shown]
	v_add_f32_e32 v8, v8, v134
	v_fmac_f32_e32 v161, v174, v152
	v_fma_f32 v152, v173, v152, -v159
	v_fmac_f32_e32 v135, v172, v156
	v_fma_f32 v156, v171, v156, -v160
	ds_read_b128 v[171:174], v1 offset:768
	s_waitcnt vmcnt(50) lgkmcnt(1)
	v_mul_f32_e32 v159, v175, v155
	v_mul_f32_e32 v155, v176, v155
	s_waitcnt vmcnt(49)
	v_mul_f32_e32 v201, v177, v153
	v_mul_f32_e32 v153, v178, v153
	v_add_f32_e32 v8, v8, v156
	v_fmac_f32_e32 v159, v176, v146
	v_fma_f32 v146, v175, v146, -v155
	v_add_f32_e32 v155, 0, v179
	s_waitcnt vmcnt(45)
	v_fmac_f32_e32 v201, v178, v169
	v_fma_f32 v153, v177, v169, -v153
	ds_read_b128 v[175:178], v1 offset:784
	v_add_f32_e32 v8, v8, v152
	v_add_f32_e32 v155, v155, v180
	ds_read_b128 v[179:182], v1 offset:800
	v_add_f32_e32 v8, v8, v146
	v_add_f32_e32 v12, v155, v137
	s_waitcnt vmcnt(34)
	v_mul_f32_e32 v146, v184, v150
	s_waitcnt lgkmcnt(2)
	v_mul_f32_e32 v155, v172, v167
	v_mul_f32_e32 v137, v171, v167
	v_add_f32_e32 v8, v8, v153
	v_add_f32_e32 v9, v12, v138
	v_mul_f32_e32 v134, v173, v163
	v_fma_f32 v12, v171, v164, -v155
	v_fmac_f32_e32 v137, v172, v164
	v_add_f32_e32 v9, v9, v135
	v_mul_f32_e32 v135, v174, v163
	v_add_f32_e32 v8, v8, v12
	s_waitcnt lgkmcnt(1)
	v_mul_f32_e32 v138, v175, v162
	v_mul_f32_e32 v155, v176, v162
	v_add_f32_e32 v9, v9, v161
	v_fma_f32 v135, v173, v144, -v135
	v_fmac_f32_e32 v134, v174, v144
	v_mul_f32_e32 v163, v178, v165
	v_fmac_f32_e32 v138, v176, v142
	v_add_f32_e32 v9, v9, v159
	v_fma_f32 v142, v175, v142, -v155
	v_add_f32_e32 v8, v8, v135
	v_mul_f32_e32 v156, v177, v165
	s_waitcnt lgkmcnt(0)
	v_mul_f32_e32 v144, v180, v154
	v_add_f32_e32 v9, v9, v201
	v_fma_f32 v163, v177, v170, -v163
	v_add_f32_e32 v142, v8, v142
	v_mul_f32_e32 v164, v179, v154
	ds_read_b128 v[159:162], v1 offset:832
	ds_read_b128 v[171:174], v1 offset:848
	v_add_f32_e32 v9, v9, v137
	v_fmac_f32_e32 v156, v178, v170
	v_fma_f32 v165, v179, v168, -v144
	v_mul_f32_e32 v144, v182, v157
	v_add_f32_e32 v142, v142, v163
	v_add_f32_e32 v9, v9, v134
	v_fmac_f32_e32 v164, v180, v168
	v_mul_f32_e32 v137, v181, v157
	v_mul_f32_e32 v12, v183, v150
	s_waitcnt vmcnt(33)
	v_mul_f32_e32 v134, v185, v151
	v_add_f32_e32 v135, v9, v138
	v_mul_f32_e32 v150, v186, v151
	v_fma_f32 v151, v181, v147, -v144
	v_add_f32_e32 v142, v142, v165
	v_fmac_f32_e32 v137, v182, v147
	v_add_f32_e32 v135, v135, v156
	v_fma_f32 v157, v183, v145, -v146
	v_fmac_f32_e32 v12, v184, v145
	v_add_f32_e32 v142, v142, v151
	s_waitcnt vmcnt(28)
	v_fma_f32 v138, v185, v158, -v150
	v_add_f32_e32 v135, v135, v164
	s_waitcnt vmcnt(27) lgkmcnt(1)
	v_mul_f32_e32 v150, v159, v148
	v_mul_f32_e32 v148, v160, v148
	v_add_f32_e32 v142, v142, v157
	ds_read_b128 v[152:155], v1 offset:864
	ds_read_b128 v[167:170], v1 offset:880
	v_add_f32_e32 v135, v135, v137
	v_fmac_f32_e32 v134, v186, v158
	s_waitcnt vmcnt(26)
	v_mul_f32_e32 v156, v161, v149
	v_mul_f32_e32 v149, v162, v149
	v_fmac_f32_e32 v150, v160, v143
	v_add_f32_e32 v12, v135, v12
	v_fma_f32 v143, v159, v143, -v148
	v_add_f32_e32 v138, v142, v138
	s_waitcnt lgkmcnt(2)
	v_mul_f32_e32 v158, v171, v141
	v_mul_f32_e32 v141, v172, v141
	v_add_f32_e32 v12, v12, v134
	v_fmac_f32_e32 v156, v162, v140
	v_fma_f32 v140, v161, v140, -v149
	v_add_f32_e32 v138, v138, v143
	s_waitcnt vmcnt(25)
	v_mul_f32_e32 v134, v174, v139
	v_add_f32_e32 v12, v12, v150
	v_fmac_f32_e32 v158, v172, v2
	v_fma_f32 v2, v171, v2, -v141
	v_add_f32_e32 v138, v138, v140
	v_mul_f32_e32 v163, v173, v139
	v_add_f32_e32 v12, v12, v156
	s_waitcnt vmcnt(24) lgkmcnt(1)
	v_mul_f32_e32 v148, v152, v136
	v_mul_f32_e32 v136, v153, v136
	s_waitcnt vmcnt(13)
	v_fma_f32 v134, v173, v187, -v134
	v_add_f32_e32 v2, v138, v2
	ds_read_b128 v[144:147], v1 offset:896
	ds_read_b128 v[175:178], v1 offset:912
	v_fmac_f32_e32 v163, v174, v187
	v_add_f32_e32 v12, v12, v158
	v_mul_f32_e32 v137, v154, v132
	v_mul_f32_e32 v132, v155, v132
	s_waitcnt vmcnt(10)
	v_fma_f32 v136, v152, v190, -v136
	v_add_f32_e32 v2, v2, v134
	v_fmac_f32_e32 v148, v153, v190
	v_add_f32_e32 v12, v12, v163
	s_waitcnt lgkmcnt(2)
	v_mul_f32_e32 v151, v167, v133
	v_mul_f32_e32 v133, v168, v133
	v_fma_f32 v132, v154, v189, -v132
	v_add_f32_e32 v2, v2, v136
	v_fmac_f32_e32 v137, v155, v189
	v_add_f32_e32 v12, v12, v148
	v_mul_f32_e32 v149, v169, v11
	v_mul_f32_e32 v11, v170, v11
	v_fma_f32 v133, v167, v188, -v133
	v_add_f32_e32 v2, v2, v132
	v_fmac_f32_e32 v151, v168, v188
	v_add_f32_e32 v12, v12, v137
	s_waitcnt lgkmcnt(1)
	v_mul_f32_e32 v159, v144, v10
	v_mul_f32_e32 v10, v145, v10
	s_waitcnt vmcnt(6)
	v_fma_f32 v11, v169, v194, -v11
	v_add_f32_e32 v2, v2, v133
	ds_read_b128 v[179:182], v1 offset:928
	ds_read_b64 v[8:9], v1 offset:944
	v_fmac_f32_e32 v149, v170, v194
	v_add_f32_e32 v12, v12, v151
	v_mul_f32_e32 v135, v146, v7
	v_mul_f32_e32 v7, v147, v7
	v_fma_f32 v10, v144, v193, -v10
	v_add_f32_e32 v2, v2, v11
	v_fmac_f32_e32 v159, v145, v193
	v_add_f32_e32 v11, v12, v149
	s_waitcnt lgkmcnt(2)
	v_mul_f32_e32 v157, v175, v6
	v_mul_f32_e32 v6, v176, v6
	v_fma_f32 v7, v146, v192, -v7
	v_add_f32_e32 v2, v2, v10
	v_fmac_f32_e32 v135, v147, v192
	v_add_f32_e32 v10, v11, v159
	v_mul_f32_e32 v160, v177, v5
	v_mul_f32_e32 v5, v178, v5
	v_fma_f32 v6, v175, v191, -v6
	v_add_f32_e32 v2, v2, v7
	v_fmac_f32_e32 v157, v176, v191
	v_add_f32_e32 v7, v10, v135
	s_waitcnt lgkmcnt(1)
	v_mul_f32_e32 v139, v179, v4
	v_mul_f32_e32 v4, v180, v4
	s_waitcnt vmcnt(2)
	v_fma_f32 v5, v177, v198, -v5
	v_add_f32_e32 v2, v2, v6
	v_fmac_f32_e32 v160, v178, v198
	v_add_f32_e32 v6, v7, v157
	v_mul_f32_e32 v142, v181, v3
	v_mul_f32_e32 v3, v182, v3
	v_fma_f32 v4, v179, v197, -v4
	v_add_f32_e32 v2, v2, v5
	v_fmac_f32_e32 v139, v180, v197
	v_add_f32_e32 v5, v6, v160
	s_waitcnt lgkmcnt(0)
	v_mul_f32_e32 v6, v9, v166
	v_fma_f32 v3, v181, v196, -v3
	v_add_f32_e32 v2, v2, v4
	v_mul_f32_e32 v143, v8, v166
	v_fmac_f32_e32 v142, v182, v196
	v_add_f32_e32 v4, v5, v139
	v_fma_f32 v5, v8, v195, -v6
	v_add_f32_e32 v2, v2, v3
	v_fmac_f32_e32 v143, v9, v195
	v_add_f32_e32 v3, v4, v142
	v_add_f32_e32 v2, v2, v5
	v_add_f32_e32 v3, v3, v143
	s_waitcnt vmcnt(1)
	v_sub_f32_e32 v2, v199, v2
	s_waitcnt vmcnt(0)
	v_sub_f32_e32 v3, v200, v3
	buffer_store_dword v2, off, s[0:3], 0 offset:216
	buffer_store_dword v3, off, s[0:3], 0 offset:220
	v_cmpx_lt_u32_e32 26, v0
	s_cbranch_execz .LBB58_315
; %bb.314:
	s_clause 0x1
	buffer_load_dword v2, off, s[0:3], 0 offset:208
	buffer_load_dword v3, off, s[0:3], 0 offset:212
	buffer_store_dword v1, off, s[0:3], 0 offset:208
	buffer_store_dword v1, off, s[0:3], 0 offset:212
	s_waitcnt vmcnt(0)
	ds_write_b64 v131, v[2:3]
.LBB58_315:
	s_or_b32 exec_lo, exec_lo, s4
	s_waitcnt lgkmcnt(0)
	s_waitcnt_vscnt null, 0x0
	s_barrier
	buffer_gl0_inv
	s_clause 0x31
	buffer_load_dword v133, off, s[0:3], 0 offset:220
	buffer_load_dword v3, off, s[0:3], 0 offset:228
	;; [unrolled: 1-line block ×50, first 2 shown]
	ds_read2_b64 v[165:168], v1 offset0:87 offset1:88
	s_clause 0x1
	buffer_load_dword v183, off, s[0:3], 0 offset:468
	buffer_load_dword v184, off, s[0:3], 0 offset:368
	ds_read2_b64 v[169:172], v1 offset0:89 offset1:90
	s_clause 0x2
	buffer_load_dword v185, off, s[0:3], 0 offset:392
	buffer_load_dword v186, off, s[0:3], 0 offset:384
	;; [unrolled: 1-line block ×3, first 2 shown]
	ds_read2_b64 v[173:176], v1 offset0:91 offset1:92
	s_clause 0x4
	buffer_load_dword v188, off, s[0:3], 0 offset:424
	buffer_load_dword v189, off, s[0:3], 0 offset:416
	;; [unrolled: 1-line block ×5, first 2 shown]
	s_mov_b32 s4, exec_lo
	s_waitcnt vmcnt(59) lgkmcnt(2)
	v_mul_f32_e32 v192, v165, v133
	v_mul_f32_e32 v133, v166, v133
	s_waitcnt vmcnt(58)
	v_mul_f32_e32 v194, v167, v3
	v_mul_f32_e32 v3, v168, v3
	s_waitcnt vmcnt(55)
	v_fmac_f32_e32 v192, v166, v9
	v_fma_f32 v133, v165, v9, -v133
	v_fmac_f32_e32 v194, v168, v6
	v_fma_f32 v3, v167, v6, -v3
	ds_read2_b64 v[165:168], v1 offset0:93 offset1:94
	s_clause 0x3
	buffer_load_dword v198, off, s[0:3], 0 offset:456
	buffer_load_dword v199, off, s[0:3], 0 offset:448
	;; [unrolled: 1-line block ×4, first 2 shown]
	s_waitcnt vmcnt(57) lgkmcnt(2)
	v_mul_f32_e32 v196, v171, v7
	v_mul_f32_e32 v6, v172, v7
	s_waitcnt vmcnt(51) lgkmcnt(1)
	v_mul_f32_e32 v197, v175, v143
	buffer_load_dword v202, off, s[0:3], 0 offset:208
	v_mul_f32_e32 v195, v169, v8
	v_fmac_f32_e32 v196, v172, v144
	v_fma_f32 v144, v171, v144, -v6
	v_mul_f32_e32 v6, v176, v143
	v_mul_f32_e32 v8, v170, v8
	v_fmac_f32_e32 v195, v170, v2
	v_fmac_f32_e32 v197, v176, v138
	v_fma_f32 v143, v175, v138, -v6
	buffer_load_dword v175, off, s[0:3], 0 offset:464
	v_fma_f32 v2, v169, v2, -v8
	ds_read2_b64 v[6:9], v1 offset0:95 offset1:96
	v_mul_f32_e32 v169, v173, v4
	v_mul_f32_e32 v4, v174, v4
	s_waitcnt vmcnt(52) lgkmcnt(1)
	v_mul_f32_e32 v138, v166, v140
	v_fmac_f32_e32 v169, v174, v141
	v_fma_f32 v4, v173, v141, -v4
	v_mul_f32_e32 v173, v165, v140
	s_waitcnt vmcnt(51)
	v_mul_f32_e32 v174, v167, v139
	v_mul_f32_e32 v139, v168, v139
	v_fmac_f32_e32 v173, v166, v135
	v_fma_f32 v135, v165, v135, -v138
	s_waitcnt vmcnt(47)
	v_fmac_f32_e32 v174, v168, v161
	v_fma_f32 v161, v167, v161, -v139
	ds_read2_b64 v[138:141], v1 offset0:97 offset1:98
	ds_read2_b64 v[165:168], v1 offset0:101 offset1:102
	s_waitcnt vmcnt(46) lgkmcnt(2)
	v_mul_f32_e32 v176, v6, v160
	v_mul_f32_e32 v160, v7, v160
	v_fmac_f32_e32 v176, v7, v158
	v_fma_f32 v158, v6, v158, -v160
	v_add_f32_e32 v6, 0, v133
	s_waitcnt vmcnt(45)
	v_mul_f32_e32 v133, v8, v156
	v_mul_f32_e32 v7, v9, v156
	v_add_f32_e32 v3, v6, v3
	v_add_f32_e32 v6, 0, v192
	v_fmac_f32_e32 v133, v9, v154
	v_fma_f32 v192, v8, v154, -v7
	v_add_f32_e32 v2, v3, v2
	v_add_f32_e32 v156, v6, v194
	ds_read2_b64 v[6:9], v1 offset0:99 offset1:100
	s_waitcnt vmcnt(44) lgkmcnt(2)
	v_mul_f32_e32 v194, v138, v150
	v_add_f32_e32 v2, v2, v144
	v_add_f32_e32 v3, v156, v195
	v_mul_f32_e32 v144, v139, v150
	s_waitcnt vmcnt(43)
	v_mul_f32_e32 v150, v140, v148
	v_mul_f32_e32 v148, v141, v148
	v_add_f32_e32 v2, v2, v4
	v_add_f32_e32 v3, v3, v196
	v_fmac_f32_e32 v194, v139, v145
	v_fma_f32 v195, v138, v145, -v144
	s_waitcnt vmcnt(39)
	v_fmac_f32_e32 v150, v141, v163
	v_add_f32_e32 v2, v2, v143
	v_add_f32_e32 v3, v3, v169
	v_fma_f32 v4, v140, v163, -v148
	ds_read2_b64 v[138:141], v1 offset0:103 offset1:104
	ds_read2_b64 v[169:172], v1 offset0:105 offset1:106
	s_waitcnt vmcnt(36) lgkmcnt(3)
	v_mul_f32_e32 v145, v166, v155
	v_add_f32_e32 v2, v2, v135
	v_add_f32_e32 v3, v3, v197
	v_mul_f32_e32 v135, v165, v155
	s_waitcnt lgkmcnt(2)
	v_mul_f32_e32 v143, v7, v159
	v_mul_f32_e32 v148, v6, v159
	v_add_f32_e32 v2, v2, v161
	v_add_f32_e32 v3, v3, v173
	v_fmac_f32_e32 v135, v166, v137
	v_fma_f32 v161, v165, v137, -v145
	v_mul_f32_e32 v163, v8, v157
	v_add_f32_e32 v2, v2, v158
	v_add_f32_e32 v3, v3, v174
	v_mul_f32_e32 v144, v9, v157
	v_fma_f32 v196, v6, v153, -v143
	v_fmac_f32_e32 v148, v7, v153
	v_add_f32_e32 v2, v2, v192
	v_add_f32_e32 v3, v3, v176
	s_waitcnt vmcnt(29) lgkmcnt(1)
	v_mul_f32_e32 v165, v138, v151
	v_mul_f32_e32 v137, v139, v151
	s_waitcnt vmcnt(28)
	v_mul_f32_e32 v151, v141, v152
	v_add_f32_e32 v2, v2, v195
	v_add_f32_e32 v3, v3, v133
	v_mul_f32_e32 v133, v140, v152
	v_fmac_f32_e32 v165, v139, v147
	v_fmac_f32_e32 v163, v9, v149
	v_fma_f32 v149, v8, v149, -v144
	v_add_f32_e32 v3, v3, v194
	v_fmac_f32_e32 v133, v141, v146
	v_fma_f32 v141, v138, v147, -v137
	v_add_f32_e32 v147, v2, v4
	v_mul_f32_e32 v173, v167, v142
	v_add_f32_e32 v150, v3, v150
	v_mul_f32_e32 v142, v168, v142
	ds_read2_b64 v[6:9], v1 offset0:107 offset1:108
	ds_read2_b64 v[153:156], v1 offset0:109 offset1:110
	v_add_f32_e32 v147, v147, v196
	v_fmac_f32_e32 v173, v168, v162
	v_add_f32_e32 v148, v150, v148
	v_fma_f32 v162, v167, v162, -v142
	v_fma_f32 v146, v140, v146, -v151
	v_add_f32_e32 v147, v147, v149
	s_waitcnt lgkmcnt(2)
	v_mul_f32_e32 v151, v169, v134
	v_add_f32_e32 v148, v148, v163
	v_mul_f32_e32 v134, v170, v134
	s_waitcnt vmcnt(27)
	v_mul_f32_e32 v150, v171, v136
	v_add_f32_e32 v147, v147, v161
	v_mul_f32_e32 v136, v172, v136
	v_add_f32_e32 v135, v148, v135
	v_fmac_f32_e32 v151, v170, v5
	v_fma_f32 v5, v169, v5, -v134
	v_add_f32_e32 v147, v147, v162
	ds_read2_b64 v[142:145], v1 offset0:111 offset1:112
	ds_read2_b64 v[157:160], v1 offset0:113 offset1:114
	v_add_f32_e32 v135, v135, v173
	s_waitcnt vmcnt(26) lgkmcnt(3)
	v_mul_f32_e32 v149, v6, v132
	v_mul_f32_e32 v132, v7, v132
	v_add_f32_e32 v141, v147, v141
	s_waitcnt vmcnt(14)
	v_fmac_f32_e32 v150, v172, v184
	v_add_f32_e32 v135, v135, v165
	v_mul_f32_e32 v152, v8, v12
	v_mul_f32_e32 v12, v9, v12
	v_add_f32_e32 v141, v141, v146
	s_waitcnt vmcnt(11)
	v_fma_f32 v6, v6, v187, -v132
	v_add_f32_e32 v133, v135, v133
	v_fma_f32 v135, v171, v184, -v136
	v_fmac_f32_e32 v149, v7, v187
	v_add_f32_e32 v5, v141, v5
	s_waitcnt lgkmcnt(2)
	v_mul_f32_e32 v163, v153, v11
	v_add_f32_e32 v133, v133, v151
	v_mul_f32_e32 v11, v154, v11
	v_fma_f32 v8, v8, v186, -v12
	v_add_f32_e32 v5, v5, v135
	v_fmac_f32_e32 v152, v9, v186
	v_add_f32_e32 v7, v133, v150
	v_fma_f32 v9, v153, v185, -v11
	v_mul_f32_e32 v161, v155, v10
	v_add_f32_e32 v5, v5, v6
	v_fmac_f32_e32 v163, v154, v185
	v_add_f32_e32 v6, v7, v149
	v_mul_f32_e32 v7, v156, v10
	ds_read2_b64 v[137:140], v1 offset0:115 offset1:116
	ds_read2_b64 v[1:4], v1 offset0:117 offset1:118
	v_add_f32_e32 v5, v5, v8
	s_waitcnt lgkmcnt(3)
	v_mul_f32_e32 v8, v143, v177
	v_add_f32_e32 v6, v6, v152
	s_waitcnt vmcnt(7)
	v_fma_f32 v7, v155, v191, -v7
	v_mul_f32_e32 v148, v142, v177
	v_add_f32_e32 v5, v5, v9
	v_fmac_f32_e32 v161, v156, v191
	v_add_f32_e32 v6, v6, v163
	v_mul_f32_e32 v9, v145, v178
	v_fma_f32 v8, v142, v190, -v8
	v_add_f32_e32 v5, v5, v7
	v_mul_f32_e32 v166, v144, v178
	v_fmac_f32_e32 v148, v143, v190
	v_add_f32_e32 v6, v6, v161
	s_waitcnt lgkmcnt(2)
	v_mul_f32_e32 v7, v158, v179
	v_fma_f32 v9, v144, v189, -v9
	v_add_f32_e32 v5, v5, v8
	v_mul_f32_e32 v162, v157, v179
	v_fmac_f32_e32 v166, v145, v189
	v_add_f32_e32 v6, v6, v148
	v_mul_f32_e32 v8, v160, v180
	v_fma_f32 v7, v157, v188, -v7
	v_add_f32_e32 v5, v5, v9
	v_mul_f32_e32 v167, v159, v180
	v_fmac_f32_e32 v162, v158, v188
	v_add_f32_e32 v6, v6, v166
	s_waitcnt lgkmcnt(1)
	v_mul_f32_e32 v9, v138, v181
	v_add_f32_e32 v5, v5, v7
	v_mul_f32_e32 v168, v137, v181
	v_mul_f32_e32 v7, v140, v182
	v_add_f32_e32 v6, v6, v162
	v_mul_f32_e32 v147, v139, v182
	s_waitcnt lgkmcnt(0)
	v_mul_f32_e32 v165, v1, v164
	v_mul_f32_e32 v134, v3, v183
	s_waitcnt vmcnt(5)
	v_fmac_f32_e32 v165, v2, v198
	s_waitcnt vmcnt(4)
	v_fma_f32 v7, v139, v199, -v7
	s_waitcnt vmcnt(3)
	v_fma_f32 v9, v137, v200, -v9
	;; [unrolled: 2-line block ×3, first 2 shown]
	v_fmac_f32_e32 v167, v160, v201
	v_fmac_f32_e32 v168, v138, v200
	;; [unrolled: 1-line block ×3, first 2 shown]
	v_add_f32_e32 v5, v5, v8
	v_add_f32_e32 v6, v6, v167
	v_mul_f32_e32 v8, v2, v164
	v_add_f32_e32 v5, v5, v9
	v_add_f32_e32 v6, v6, v168
	v_mul_f32_e32 v9, v4, v183
	v_fma_f32 v1, v1, v198, -v8
	s_waitcnt vmcnt(0)
	v_fmac_f32_e32 v134, v4, v175
	v_add_f32_e32 v2, v5, v7
	v_add_f32_e32 v5, v6, v147
	v_fma_f32 v3, v3, v175, -v9
	v_add_f32_e32 v1, v2, v1
	v_add_f32_e32 v2, v5, v165
	;; [unrolled: 1-line block ×4, first 2 shown]
	v_sub_f32_e32 v1, v202, v1
	v_sub_f32_e32 v2, v193, v2
	buffer_store_dword v1, off, s[0:3], 0 offset:208
	buffer_store_dword v2, off, s[0:3], 0 offset:212
	v_cmpx_lt_u32_e32 25, v0
	s_cbranch_execz .LBB58_317
; %bb.316:
	s_clause 0x1
	buffer_load_dword v1, off, s[0:3], 0 offset:200
	buffer_load_dword v2, off, s[0:3], 0 offset:204
	v_mov_b32_e32 v3, 0
	buffer_store_dword v3, off, s[0:3], 0 offset:200
	buffer_store_dword v3, off, s[0:3], 0 offset:204
	s_waitcnt vmcnt(0)
	ds_write_b64 v131, v[1:2]
.LBB58_317:
	s_or_b32 exec_lo, exec_lo, s4
	s_waitcnt lgkmcnt(0)
	s_waitcnt_vscnt null, 0x0
	s_barrier
	buffer_gl0_inv
	s_clause 0x26
	buffer_load_dword v2, off, s[0:3], 0 offset:212
	buffer_load_dword v3, off, s[0:3], 0 offset:220
	;; [unrolled: 1-line block ×39, first 2 shown]
	v_mov_b32_e32 v1, 0
	s_clause 0x2
	buffer_load_dword v172, off, s[0:3], 0 offset:372
	buffer_load_dword v173, off, s[0:3], 0 offset:380
	;; [unrolled: 1-line block ×3, first 2 shown]
	s_mov_b32 s4, exec_lo
	ds_read_b128 v[4:7], v1 offset:688
	s_clause 0x1
	buffer_load_dword v175, off, s[0:3], 0 offset:396
	buffer_load_dword v176, off, s[0:3], 0 offset:404
	ds_read_b128 v[8:11], v1 offset:704
	s_clause 0xc
	buffer_load_dword v177, off, s[0:3], 0 offset:384
	buffer_load_dword v178, off, s[0:3], 0 offset:376
	;; [unrolled: 1-line block ×13, first 2 shown]
	ds_read_b128 v[132:135], v1 offset:720
	s_waitcnt vmcnt(56) lgkmcnt(2)
	v_mul_f32_e32 v190, v5, v2
	v_mul_f32_e32 v191, v4, v2
	s_waitcnt vmcnt(55)
	v_mul_f32_e32 v192, v6, v3
	v_mul_f32_e32 v2, v7, v3
	s_waitcnt vmcnt(54) lgkmcnt(1)
	v_mul_f32_e32 v193, v8, v12
	s_waitcnt vmcnt(51)
	v_fma_f32 v190, v4, v138, -v190
	v_fmac_f32_e32 v191, v5, v138
	v_fmac_f32_e32 v192, v7, v137
	v_fma_f32 v137, v6, v137, -v2
	ds_read_b128 v[2:5], v1 offset:736
	s_clause 0x3
	buffer_load_dword v194, off, s[0:3], 0 offset:416
	buffer_load_dword v195, off, s[0:3], 0 offset:408
	;; [unrolled: 1-line block ×4, first 2 shown]
	s_waitcnt vmcnt(54)
	v_mul_f32_e32 v138, v10, v139
	v_mul_f32_e32 v6, v11, v139
	;; [unrolled: 1-line block ×3, first 2 shown]
	v_fmac_f32_e32 v193, v9, v136
	s_waitcnt vmcnt(48) lgkmcnt(1)
	v_mul_f32_e32 v139, v135, v145
	v_fmac_f32_e32 v138, v11, v143
	v_fma_f32 v10, v10, v143, -v6
	v_mul_f32_e32 v11, v132, v144
	v_mul_f32_e32 v6, v133, v144
	v_fma_f32 v12, v8, v136, -v12
	v_mul_f32_e32 v136, v134, v145
	v_fma_f32 v139, v134, v141, -v139
	v_fmac_f32_e32 v11, v133, v142
	v_fma_f32 v142, v132, v142, -v6
	ds_read_b128 v[6:9], v1 offset:752
	s_clause 0x3
	buffer_load_dword v198, off, s[0:3], 0 offset:448
	buffer_load_dword v199, off, s[0:3], 0 offset:440
	;; [unrolled: 1-line block ×4, first 2 shown]
	v_fmac_f32_e32 v136, v135, v141
	v_add_f32_e32 v133, 0, v190
	s_waitcnt vmcnt(51) lgkmcnt(1)
	v_mul_f32_e32 v141, v2, v146
	v_mul_f32_e32 v132, v3, v146
	s_waitcnt vmcnt(50)
	v_mul_f32_e32 v143, v4, v147
	v_fmac_f32_e32 v141, v3, v140
	v_fma_f32 v140, v2, v140, -v132
	v_mul_f32_e32 v2, v5, v147
	s_waitcnt vmcnt(46)
	v_fmac_f32_e32 v143, v5, v151
	v_fma_f32 v144, v4, v151, -v2
	ds_read_b128 v[2:5], v1 offset:768
	s_waitcnt vmcnt(45) lgkmcnt(1)
	v_mul_f32_e32 v145, v6, v152
	v_mul_f32_e32 v132, v7, v152
	s_clause 0x1
	buffer_load_dword v152, off, s[0:3], 0 offset:464
	buffer_load_dword v190, off, s[0:3], 0 offset:456
	v_fmac_f32_e32 v145, v7, v150
	v_add_f32_e32 v7, 0, v191
	buffer_load_dword v191, off, s[0:3], 0 offset:200
	v_fma_f32 v146, v6, v150, -v132
	v_add_f32_e32 v6, v133, v137
	s_waitcnt vmcnt(47)
	v_mul_f32_e32 v132, v9, v153
	v_add_f32_e32 v7, v7, v192
	v_add_f32_e32 v6, v6, v12
	v_mul_f32_e32 v12, v8, v153
	v_add_f32_e32 v133, v7, v193
	v_fma_f32 v147, v8, v149, -v132
	s_waitcnt vmcnt(45) lgkmcnt(0)
	v_mul_f32_e32 v150, v4, v155
	v_add_f32_e32 v10, v6, v10
	v_fmac_f32_e32 v12, v9, v149
	v_add_f32_e32 v137, v133, v138
	v_mul_f32_e32 v149, v2, v154
	v_mul_f32_e32 v138, v3, v154
	v_add_f32_e32 v10, v10, v142
	ds_read_b128 v[6:9], v1 offset:784
	ds_read_b128 v[132:135], v1 offset:800
	v_add_f32_e32 v11, v137, v11
	v_mul_f32_e32 v137, v5, v155
	v_add_f32_e32 v10, v10, v139
	v_fmac_f32_e32 v149, v3, v148
	v_fma_f32 v148, v2, v148, -v138
	v_add_f32_e32 v11, v11, v136
	s_waitcnt vmcnt(41)
	v_fmac_f32_e32 v150, v5, v159
	v_add_f32_e32 v10, v10, v140
	v_fma_f32 v151, v4, v159, -v137
	ds_read_b128 v[2:5], v1 offset:816
	ds_read_b128 v[136:139], v1 offset:832
	v_add_f32_e32 v11, v11, v141
	v_add_f32_e32 v10, v10, v144
	;; [unrolled: 1-line block ×4, first 2 shown]
	s_waitcnt vmcnt(40) lgkmcnt(3)
	v_mul_f32_e32 v153, v6, v160
	v_mul_f32_e32 v140, v7, v160
	v_add_f32_e32 v11, v11, v145
	s_waitcnt vmcnt(39)
	v_mul_f32_e32 v154, v8, v161
	v_add_f32_e32 v10, v10, v147
	v_mul_f32_e32 v141, v9, v161
	v_fmac_f32_e32 v153, v7, v158
	v_add_f32_e32 v11, v11, v12
	v_fma_f32 v158, v6, v158, -v140
	v_add_f32_e32 v10, v10, v148
	s_waitcnt vmcnt(32) lgkmcnt(1)
	v_mul_f32_e32 v12, v2, v168
	v_mul_f32_e32 v148, v3, v168
	v_add_f32_e32 v11, v11, v149
	v_mul_f32_e32 v155, v132, v162
	v_mul_f32_e32 v144, v133, v162
	v_fmac_f32_e32 v12, v3, v166
	v_add_f32_e32 v3, v10, v151
	v_add_f32_e32 v10, v11, v150
	v_fmac_f32_e32 v154, v9, v157
	v_fma_f32 v157, v8, v157, -v141
	v_mul_f32_e32 v145, v135, v163
	v_add_f32_e32 v158, v3, v158
	v_add_f32_e32 v153, v10, v153
	v_fmac_f32_e32 v155, v133, v156
	v_fma_f32 v156, v132, v156, -v144
	v_mul_f32_e32 v159, v134, v163
	v_add_f32_e32 v157, v158, v157
	v_add_f32_e32 v153, v153, v154
	v_fma_f32 v160, v134, v167, -v145
	ds_read_b128 v[6:9], v1 offset:848
	ds_read_b128 v[140:143], v1 offset:864
	v_fmac_f32_e32 v159, v135, v167
	v_add_f32_e32 v156, v157, v156
	v_add_f32_e32 v153, v153, v155
	s_waitcnt vmcnt(31)
	v_mul_f32_e32 v161, v4, v169
	v_mul_f32_e32 v149, v5, v169
	v_fma_f32 v162, v2, v166, -v148
	v_add_f32_e32 v156, v156, v160
	v_add_f32_e32 v153, v153, v159
	v_fmac_f32_e32 v161, v5, v165
	v_fma_f32 v163, v4, v165, -v149
	s_waitcnt vmcnt(30) lgkmcnt(2)
	v_mul_f32_e32 v165, v137, v170
	v_add_f32_e32 v156, v156, v162
	v_mul_f32_e32 v158, v136, v170
	v_add_f32_e32 v12, v153, v12
	s_waitcnt vmcnt(29)
	v_mul_f32_e32 v166, v139, v171
	v_fma_f32 v136, v136, v164, -v165
	v_add_f32_e32 v156, v156, v163
	v_mul_f32_e32 v154, v138, v171
	v_fmac_f32_e32 v158, v137, v164
	v_add_f32_e32 v12, v12, v161
	s_waitcnt vmcnt(28) lgkmcnt(1)
	v_mul_f32_e32 v157, v6, v172
	v_mul_f32_e32 v164, v7, v172
	s_waitcnt vmcnt(20)
	v_fma_f32 v138, v138, v180, -v166
	v_add_f32_e32 v136, v156, v136
	ds_read_b128 v[132:135], v1 offset:880
	ds_read_b128 v[144:147], v1 offset:896
	v_fmac_f32_e32 v154, v139, v180
	v_add_f32_e32 v12, v12, v158
	v_mul_f32_e32 v161, v9, v173
	v_fmac_f32_e32 v157, v7, v179
	v_fma_f32 v6, v6, v179, -v164
	v_add_f32_e32 v7, v136, v138
	v_mul_f32_e32 v155, v8, v173
	v_add_f32_e32 v12, v12, v154
	s_waitcnt lgkmcnt(2)
	v_mul_f32_e32 v136, v141, v174
	v_fma_f32 v8, v8, v178, -v161
	v_add_f32_e32 v6, v7, v6
	v_mul_f32_e32 v137, v140, v174
	v_fmac_f32_e32 v155, v9, v178
	v_add_f32_e32 v7, v12, v157
	v_mul_f32_e32 v9, v143, v175
	v_fma_f32 v12, v140, v177, -v136
	v_add_f32_e32 v6, v6, v8
	v_mul_f32_e32 v160, v142, v175
	v_fmac_f32_e32 v137, v141, v177
	v_add_f32_e32 v7, v7, v155
	s_waitcnt lgkmcnt(1)
	v_mul_f32_e32 v8, v133, v176
	v_add_f32_e32 v6, v6, v12
	v_mul_f32_e32 v159, v132, v176
	ds_read_b128 v[2:5], v1 offset:912
	ds_read_b128 v[148:151], v1 offset:928
	ds_read_b64 v[10:11], v1 offset:944
	v_add_f32_e32 v7, v7, v137
	s_waitcnt vmcnt(19)
	v_mul_f32_e32 v12, v135, v181
	v_mul_f32_e32 v139, v134, v181
	s_waitcnt vmcnt(18) lgkmcnt(3)
	v_mul_f32_e32 v165, v144, v182
	s_waitcnt vmcnt(17)
	v_mul_f32_e32 v153, v146, v183
	s_waitcnt vmcnt(16) lgkmcnt(2)
	v_mul_f32_e32 v162, v2, v184
	s_waitcnt vmcnt(15)
	;; [unrolled: 4-line block ×4, first 2 shown]
	v_fmac_f32_e32 v165, v145, v194
	s_waitcnt vmcnt(9)
	v_fma_f32 v12, v134, v195, -v12
	s_waitcnt vmcnt(8)
	v_fma_f32 v8, v132, v196, -v8
	;; [unrolled: 2-line block ×3, first 2 shown]
	v_fmac_f32_e32 v160, v143, v197
	v_fmac_f32_e32 v159, v133, v196
	;; [unrolled: 1-line block ×3, first 2 shown]
	v_add_f32_e32 v6, v6, v9
	v_add_f32_e32 v7, v7, v160
	v_mul_f32_e32 v9, v145, v182
	v_add_f32_e32 v6, v6, v8
	v_add_f32_e32 v7, v7, v159
	v_mul_f32_e32 v8, v147, v183
	v_fma_f32 v9, v144, v194, -v9
	s_waitcnt vmcnt(5)
	v_fmac_f32_e32 v166, v5, v199
	v_add_f32_e32 v6, v6, v12
	v_add_f32_e32 v7, v7, v139
	v_mul_f32_e32 v12, v3, v184
	s_waitcnt vmcnt(3)
	v_fma_f32 v8, v146, v201, -v8
	v_fmac_f32_e32 v153, v147, v201
	v_add_f32_e32 v6, v6, v9
	v_add_f32_e32 v7, v7, v165
	v_mul_f32_e32 v9, v5, v185
	v_fmac_f32_e32 v162, v3, v200
	v_fma_f32 v2, v2, v200, -v12
	v_add_f32_e32 v3, v6, v8
	v_add_f32_e32 v6, v7, v153
	v_mul_f32_e32 v7, v149, v186
	v_fma_f32 v4, v4, v199, -v9
	v_mul_f32_e32 v5, v151, v187
	v_add_f32_e32 v2, v3, v2
	v_add_f32_e32 v3, v6, v162
	v_fma_f32 v6, v148, v198, -v7
	v_fmac_f32_e32 v163, v149, v198
	v_add_f32_e32 v2, v2, v4
	v_add_f32_e32 v3, v3, v166
	v_mul_f32_e32 v4, v11, v188
	s_waitcnt vmcnt(1)
	v_fma_f32 v5, v150, v190, -v5
	v_fmac_f32_e32 v167, v151, v190
	v_add_f32_e32 v2, v2, v6
	v_add_f32_e32 v3, v3, v163
	v_fma_f32 v4, v10, v152, -v4
	v_fmac_f32_e32 v156, v11, v152
	v_add_f32_e32 v2, v2, v5
	v_add_f32_e32 v3, v3, v167
	;; [unrolled: 1-line block ×4, first 2 shown]
	s_waitcnt vmcnt(0)
	v_sub_f32_e32 v2, v191, v2
	v_sub_f32_e32 v3, v189, v3
	buffer_store_dword v2, off, s[0:3], 0 offset:200
	buffer_store_dword v3, off, s[0:3], 0 offset:204
	v_cmpx_lt_u32_e32 24, v0
	s_cbranch_execz .LBB58_319
; %bb.318:
	s_clause 0x1
	buffer_load_dword v2, off, s[0:3], 0 offset:192
	buffer_load_dword v3, off, s[0:3], 0 offset:196
	buffer_store_dword v1, off, s[0:3], 0 offset:192
	buffer_store_dword v1, off, s[0:3], 0 offset:196
	s_waitcnt vmcnt(0)
	ds_write_b64 v131, v[2:3]
.LBB58_319:
	s_or_b32 exec_lo, exec_lo, s4
	s_waitcnt lgkmcnt(0)
	s_waitcnt_vscnt null, 0x0
	s_barrier
	buffer_gl0_inv
	s_clause 0x24
	buffer_load_dword v10, off, s[0:3], 0 offset:204
	buffer_load_dword v11, off, s[0:3], 0 offset:212
	;; [unrolled: 1-line block ×37, first 2 shown]
	ds_read2_b64 v[2:5], v1 offset0:85 offset1:86
	s_clause 0x1
	buffer_load_dword v178, off, s[0:3], 0 offset:348
	buffer_load_dword v179, off, s[0:3], 0 offset:356
	ds_read2_b64 v[6:9], v1 offset0:87 offset1:88
	s_clause 0xa
	buffer_load_dword v180, off, s[0:3], 0 offset:364
	buffer_load_dword v181, off, s[0:3], 0 offset:372
	;; [unrolled: 1-line block ×11, first 2 shown]
	ds_read2_b64 v[132:135], v1 offset0:89 offset1:90
	ds_read2_b64 v[136:139], v1 offset0:91 offset1:92
	;; [unrolled: 1-line block ×3, first 2 shown]
	s_clause 0x7
	buffer_load_dword v193, off, s[0:3], 0 offset:196
	buffer_load_dword v194, off, s[0:3], 0 offset:420
	;; [unrolled: 1-line block ×8, first 2 shown]
	s_mov_b32 s4, exec_lo
	s_waitcnt vmcnt(57) lgkmcnt(4)
	v_mul_f32_e32 v191, v3, v10
	v_mul_f32_e32 v10, v2, v10
	s_waitcnt vmcnt(56)
	v_mul_f32_e32 v192, v4, v11
	v_mul_f32_e32 v11, v5, v11
	s_waitcnt vmcnt(53)
	v_fma_f32 v191, v2, v145, -v191
	v_fmac_f32_e32 v10, v3, v145
	v_fmac_f32_e32 v192, v5, v144
	v_fma_f32 v11, v4, v144, -v11
	s_waitcnt vmcnt(52) lgkmcnt(3)
	v_mul_f32_e32 v144, v6, v146
	v_mul_f32_e32 v2, v7, v146
	s_waitcnt vmcnt(51)
	v_mul_f32_e32 v3, v9, v147
	v_mul_f32_e32 v145, v8, v147
	s_waitcnt vmcnt(46) lgkmcnt(2)
	v_mul_f32_e32 v146, v132, v152
	v_fmac_f32_e32 v144, v7, v12
	v_fma_f32 v6, v6, v12, -v2
	v_fma_f32 v12, v8, v151, -v3
	v_mul_f32_e32 v2, v133, v152
	s_waitcnt vmcnt(45)
	v_mul_f32_e32 v147, v134, v153
	v_mul_f32_e32 v3, v135, v153
	s_clause 0x3
	buffer_load_dword v152, off, s[0:3], 0 offset:408
	buffer_load_dword v153, off, s[0:3], 0 offset:400
	;; [unrolled: 1-line block ×4, first 2 shown]
	v_fmac_f32_e32 v145, v9, v151
	v_fmac_f32_e32 v146, v133, v150
	v_fma_f32 v132, v132, v150, -v2
	v_fmac_f32_e32 v147, v135, v149
	v_fma_f32 v149, v134, v149, -v3
	s_waitcnt vmcnt(48) lgkmcnt(1)
	v_mul_f32_e32 v150, v136, v154
	v_mul_f32_e32 v2, v137, v154
	s_waitcnt vmcnt(47)
	v_mul_f32_e32 v151, v138, v155
	v_mul_f32_e32 v3, v139, v155
	s_waitcnt vmcnt(42) lgkmcnt(0)
	v_mul_f32_e32 v154, v140, v160
	v_mul_f32_e32 v7, v141, v160
	s_waitcnt vmcnt(41)
	v_mul_f32_e32 v155, v142, v161
	v_mul_f32_e32 v8, v143, v161
	v_fmac_f32_e32 v150, v137, v148
	v_fma_f32 v136, v136, v148, -v2
	v_fmac_f32_e32 v151, v139, v159
	v_fma_f32 v148, v138, v159, -v3
	ds_read2_b64 v[2:5], v1 offset0:95 offset1:96
	v_fmac_f32_e32 v154, v141, v158
	v_fma_f32 v140, v140, v158, -v7
	v_fmac_f32_e32 v155, v143, v157
	v_fma_f32 v141, v142, v157, -v8
	s_clause 0x7
	buffer_load_dword v157, off, s[0:3], 0 offset:440
	buffer_load_dword v158, off, s[0:3], 0 offset:432
	;; [unrolled: 1-line block ×8, first 2 shown]
	v_add_f32_e32 v7, 0, v191
	v_add_f32_e32 v8, 0, v10
	;; [unrolled: 1-line block ×4, first 2 shown]
	s_waitcnt vmcnt(48) lgkmcnt(0)
	v_mul_f32_e32 v10, v2, v162
	v_mul_f32_e32 v9, v3, v162
	v_fmac_f32_e32 v10, v3, v156
	v_fma_f32 v11, v2, v156, -v9
	v_add_f32_e32 v2, v7, v6
	v_add_f32_e32 v3, v8, v144
	ds_read2_b64 v[6:9], v1 offset0:97 offset1:98
	s_waitcnt vmcnt(47)
	v_mul_f32_e32 v156, v4, v163
	v_add_f32_e32 v12, v2, v12
	v_mul_f32_e32 v2, v5, v163
	v_add_f32_e32 v133, v3, v145
	s_waitcnt vmcnt(43)
	v_fmac_f32_e32 v156, v5, v167
	v_add_f32_e32 v12, v12, v132
	v_fma_f32 v162, v4, v167, -v2
	ds_read2_b64 v[2:5], v1 offset0:99 offset1:100
	v_add_f32_e32 v137, v133, v146
	ds_read2_b64 v[132:135], v1 offset0:101 offset1:102
	v_add_f32_e32 v12, v12, v149
	v_add_f32_e32 v137, v137, v147
	;; [unrolled: 1-line block ×3, first 2 shown]
	s_waitcnt vmcnt(42) lgkmcnt(2)
	v_mul_f32_e32 v138, v7, v168
	v_mul_f32_e32 v149, v6, v168
	s_waitcnt vmcnt(41)
	v_mul_f32_e32 v142, v9, v169
	v_fma_f32 v163, v6, v166, -v138
	v_add_f32_e32 v6, v137, v150
	v_fmac_f32_e32 v149, v7, v166
	v_add_f32_e32 v7, v12, v148
	v_mul_f32_e32 v12, v8, v169
	s_waitcnt vmcnt(40) lgkmcnt(1)
	v_mul_f32_e32 v166, v2, v170
	v_add_f32_e32 v6, v6, v151
	v_mul_f32_e32 v143, v3, v170
	v_add_f32_e32 v7, v7, v140
	ds_read2_b64 v[136:139], v1 offset0:103 offset1:104
	v_fmac_f32_e32 v166, v3, v164
	v_add_f32_e32 v6, v6, v154
	v_fma_f32 v164, v2, v164, -v143
	v_add_f32_e32 v2, v7, v141
	v_fma_f32 v148, v8, v165, -v142
	v_fmac_f32_e32 v12, v9, v165
	v_add_f32_e32 v3, v6, v155
	s_waitcnt vmcnt(39)
	v_mul_f32_e32 v144, v5, v171
	v_add_f32_e32 v11, v2, v11
	v_mul_f32_e32 v167, v4, v171
	s_waitcnt vmcnt(38) lgkmcnt(1)
	v_mul_f32_e32 v145, v133, v172
	v_add_f32_e32 v10, v3, v10
	s_waitcnt vmcnt(34)
	v_fma_f32 v155, v4, v176, -v144
	v_add_f32_e32 v11, v11, v162
	v_mul_f32_e32 v154, v132, v172
	ds_read2_b64 v[6:9], v1 offset0:105 offset1:106
	ds_read2_b64 v[140:143], v1 offset0:107 offset1:108
	v_add_f32_e32 v10, v10, v156
	v_fmac_f32_e32 v167, v5, v176
	v_add_f32_e32 v11, v11, v163
	v_fma_f32 v165, v132, v175, -v145
	s_waitcnt vmcnt(33)
	v_mul_f32_e32 v132, v135, v177
	v_add_f32_e32 v10, v10, v149
	v_fmac_f32_e32 v154, v133, v175
	v_add_f32_e32 v11, v11, v148
	v_mul_f32_e32 v162, v134, v177
	s_waitcnt vmcnt(32) lgkmcnt(2)
	v_mul_f32_e32 v133, v137, v178
	v_add_f32_e32 v10, v10, v12
	v_fma_f32 v169, v134, v174, -v132
	v_add_f32_e32 v11, v11, v164
	v_mul_f32_e32 v156, v136, v178
	v_fmac_f32_e32 v162, v135, v174
	v_add_f32_e32 v10, v10, v166
	s_waitcnt vmcnt(31)
	v_mul_f32_e32 v168, v139, v179
	v_add_f32_e32 v11, v11, v155
	v_fma_f32 v170, v136, v173, -v133
	v_mul_f32_e32 v163, v138, v179
	v_add_f32_e32 v10, v10, v167
	v_fmac_f32_e32 v156, v137, v173
	v_add_f32_e32 v11, v11, v165
	s_waitcnt vmcnt(24)
	v_fma_f32 v168, v138, v186, -v168
	s_waitcnt lgkmcnt(1)
	v_mul_f32_e32 v12, v7, v180
	v_add_f32_e32 v10, v10, v154
	ds_read2_b64 v[2:5], v1 offset0:109 offset1:110
	ds_read2_b64 v[144:147], v1 offset0:111 offset1:112
	v_add_f32_e32 v11, v11, v169
	ds_read2_b64 v[132:135], v1 offset0:113 offset1:114
	ds_read2_b64 v[148:151], v1 offset0:115 offset1:116
	v_fmac_f32_e32 v163, v139, v186
	v_add_f32_e32 v10, v10, v162
	ds_read2_b64 v[136:139], v1 offset0:117 offset1:118
	v_add_f32_e32 v11, v11, v170
	v_mul_f32_e32 v1, v6, v180
	v_mul_f32_e32 v166, v9, v181
	v_add_f32_e32 v10, v10, v156
	v_fma_f32 v6, v6, v185, -v12
	v_add_f32_e32 v11, v11, v168
	v_mul_f32_e32 v164, v8, v181
	v_fmac_f32_e32 v1, v7, v185
	v_add_f32_e32 v10, v10, v163
	s_waitcnt lgkmcnt(5)
	v_mul_f32_e32 v12, v141, v182
	v_fma_f32 v8, v8, v184, -v166
	v_add_f32_e32 v6, v11, v6
	v_mul_f32_e32 v155, v140, v182
	v_fmac_f32_e32 v164, v9, v184
	v_add_f32_e32 v1, v10, v1
	s_waitcnt vmcnt(23)
	v_mul_f32_e32 v9, v143, v187
	v_fma_f32 v10, v140, v183, -v12
	v_add_f32_e32 v6, v6, v8
	v_mul_f32_e32 v167, v142, v187
	v_fmac_f32_e32 v155, v141, v183
	v_add_f32_e32 v1, v1, v164
	s_waitcnt vmcnt(22) lgkmcnt(4)
	v_mul_f32_e32 v171, v2, v188
	v_mul_f32_e32 v8, v3, v188
	v_add_f32_e32 v6, v6, v10
	s_waitcnt vmcnt(21)
	v_mul_f32_e32 v10, v5, v189
	v_add_f32_e32 v1, v1, v155
	v_mul_f32_e32 v165, v4, v189
	s_waitcnt vmcnt(20) lgkmcnt(3)
	v_mul_f32_e32 v154, v144, v190
	s_waitcnt vmcnt(18)
	v_mul_f32_e32 v172, v146, v194
	s_waitcnt vmcnt(17) lgkmcnt(2)
	v_mul_f32_e32 v169, v132, v195
	s_waitcnt vmcnt(16)
	;; [unrolled: 4-line block ×4, first 2 shown]
	v_mul_f32_e32 v7, v138, v200
	s_waitcnt vmcnt(11)
	v_fmac_f32_e32 v154, v145, v152
	s_waitcnt vmcnt(10)
	v_fma_f32 v4, v4, v153, -v10
	s_waitcnt vmcnt(9)
	v_fmac_f32_e32 v171, v3, v201
	s_waitcnt vmcnt(8)
	v_fma_f32 v9, v142, v202, -v9
	v_fmac_f32_e32 v167, v143, v202
	v_fma_f32 v2, v2, v201, -v8
	v_fmac_f32_e32 v165, v5, v153
	v_add_f32_e32 v3, v6, v9
	v_add_f32_e32 v1, v1, v167
	v_mul_f32_e32 v6, v145, v190
	v_add_f32_e32 v2, v3, v2
	v_add_f32_e32 v1, v1, v171
	v_mul_f32_e32 v3, v147, v194
	v_fma_f32 v5, v144, v152, -v6
	v_add_f32_e32 v2, v2, v4
	v_add_f32_e32 v1, v1, v165
	v_mul_f32_e32 v4, v133, v195
	s_waitcnt vmcnt(5)
	v_fmac_f32_e32 v169, v133, v159
	s_waitcnt vmcnt(4)
	v_fma_f32 v3, v146, v160, -v3
	v_add_f32_e32 v2, v2, v5
	v_fmac_f32_e32 v172, v147, v160
	v_add_f32_e32 v1, v1, v154
	v_mul_f32_e32 v5, v135, v196
	v_fma_f32 v4, v132, v159, -v4
	v_add_f32_e32 v2, v2, v3
	v_mul_f32_e32 v3, v149, v197
	v_add_f32_e32 v1, v1, v172
	v_fma_f32 v5, v134, v158, -v5
	v_fmac_f32_e32 v162, v135, v158
	v_add_f32_e32 v2, v2, v4
	v_mul_f32_e32 v4, v151, v198
	v_add_f32_e32 v1, v1, v169
	v_fma_f32 v3, v148, v157, -v3
	v_fmac_f32_e32 v173, v149, v157
	v_add_f32_e32 v2, v2, v5
	v_mul_f32_e32 v5, v137, v199
	v_add_f32_e32 v1, v1, v162
	s_waitcnt vmcnt(1)
	v_fma_f32 v4, v150, v204, -v4
	v_fmac_f32_e32 v170, v151, v204
	v_add_f32_e32 v2, v2, v3
	v_mul_f32_e32 v3, v139, v200
	v_add_f32_e32 v1, v1, v173
	v_fma_f32 v5, v136, v203, -v5
	v_fmac_f32_e32 v156, v137, v203
	v_add_f32_e32 v2, v2, v4
	v_fma_f32 v3, v138, v161, -v3
	v_add_f32_e32 v1, v1, v170
	v_fmac_f32_e32 v7, v139, v161
	v_add_f32_e32 v2, v2, v5
	v_add_f32_e32 v1, v1, v156
	;; [unrolled: 1-line block ×4, first 2 shown]
	s_waitcnt vmcnt(0)
	v_sub_f32_e32 v2, v205, v2
	v_sub_f32_e32 v1, v193, v1
	buffer_store_dword v2, off, s[0:3], 0 offset:192
	buffer_store_dword v1, off, s[0:3], 0 offset:196
	v_cmpx_lt_u32_e32 23, v0
	s_cbranch_execz .LBB58_321
; %bb.320:
	s_clause 0x1
	buffer_load_dword v1, off, s[0:3], 0 offset:184
	buffer_load_dword v2, off, s[0:3], 0 offset:188
	v_mov_b32_e32 v3, 0
	buffer_store_dword v3, off, s[0:3], 0 offset:184
	buffer_store_dword v3, off, s[0:3], 0 offset:188
	s_waitcnt vmcnt(0)
	ds_write_b64 v131, v[1:2]
.LBB58_321:
	s_or_b32 exec_lo, exec_lo, s4
	s_waitcnt lgkmcnt(0)
	s_waitcnt_vscnt null, 0x0
	s_barrier
	buffer_gl0_inv
	s_clause 0x23
	buffer_load_dword v2, off, s[0:3], 0 offset:196
	buffer_load_dword v3, off, s[0:3], 0 offset:204
	;; [unrolled: 1-line block ×36, first 2 shown]
	v_mov_b32_e32 v1, 0
	s_clause 0x1
	buffer_load_dword v173, off, s[0:3], 0 offset:332
	buffer_load_dword v174, off, s[0:3], 0 offset:340
	s_mov_b32 s4, exec_lo
	ds_read_b128 v[4:7], v1 offset:672
	s_clause 0x7
	buffer_load_dword v175, off, s[0:3], 0 offset:348
	buffer_load_dword v176, off, s[0:3], 0 offset:356
	buffer_load_dword v177, off, s[0:3], 0 offset:364
	buffer_load_dword v178, off, s[0:3], 0 offset:372
	buffer_load_dword v179, off, s[0:3], 0 offset:368
	buffer_load_dword v180, off, s[0:3], 0 offset:360
	buffer_load_dword v181, off, s[0:3], 0 offset:352
	buffer_load_dword v182, off, s[0:3], 0 offset:344
	ds_read_b128 v[8:11], v1 offset:688
	s_clause 0x3
	buffer_load_dword v183, off, s[0:3], 0 offset:380
	buffer_load_dword v184, off, s[0:3], 0 offset:388
	;; [unrolled: 1-line block ×4, first 2 shown]
	ds_read_b128 v[132:135], v1 offset:704
	s_clause 0x4
	buffer_load_dword v187, off, s[0:3], 0 offset:412
	buffer_load_dword v188, off, s[0:3], 0 offset:420
	;; [unrolled: 1-line block ×5, first 2 shown]
	ds_read_b128 v[136:139], v1 offset:720
	s_waitcnt vmcnt(54) lgkmcnt(3)
	v_mul_f32_e32 v192, v5, v2
	v_mul_f32_e32 v193, v4, v2
	s_waitcnt vmcnt(53)
	v_mul_f32_e32 v194, v6, v3
	v_mul_f32_e32 v2, v7, v3
	s_waitcnt vmcnt(50)
	v_fma_f32 v192, v4, v141, -v192
	v_fmac_f32_e32 v193, v5, v141
	v_fmac_f32_e32 v194, v7, v140
	v_fma_f32 v140, v6, v140, -v2
	ds_read_b128 v[2:5], v1 offset:736
	s_waitcnt vmcnt(49) lgkmcnt(3)
	v_mul_f32_e32 v141, v8, v142
	v_mul_f32_e32 v6, v9, v142
	s_clause 0x7
	buffer_load_dword v196, off, s[0:3], 0 offset:444
	buffer_load_dword v197, off, s[0:3], 0 offset:452
	;; [unrolled: 1-line block ×8, first 2 shown]
	s_waitcnt vmcnt(56)
	v_mul_f32_e32 v142, v10, v143
	v_mul_f32_e32 v7, v11, v143
	s_waitcnt vmcnt(55) lgkmcnt(2)
	v_mul_f32_e32 v143, v132, v144
	v_mul_f32_e32 v144, v133, v144
	v_fmac_f32_e32 v141, v9, v12
	v_fma_f32 v12, v8, v12, -v6
	s_waitcnt vmcnt(54)
	v_mul_f32_e32 v6, v135, v145
	v_mul_f32_e32 v195, v134, v145
	s_waitcnt vmcnt(50)
	v_fmac_f32_e32 v142, v11, v149
	v_fma_f32 v11, v132, v148, -v144
	s_waitcnt vmcnt(49) lgkmcnt(1)
	v_mul_f32_e32 v144, v136, v150
	v_fma_f32 v132, v134, v147, -v6
	v_mul_f32_e32 v6, v137, v150
	v_fma_f32 v10, v10, v149, -v7
	v_fmac_f32_e32 v143, v133, v148
	v_fmac_f32_e32 v195, v135, v147
	s_waitcnt vmcnt(48)
	v_mul_f32_e32 v145, v138, v151
	v_mul_f32_e32 v7, v139, v151
	v_fmac_f32_e32 v144, v137, v146
	v_fma_f32 v136, v136, v146, -v6
	s_waitcnt vmcnt(43) lgkmcnt(0)
	v_mul_f32_e32 v146, v2, v156
	v_mul_f32_e32 v133, v3, v156
	s_waitcnt vmcnt(42)
	v_mul_f32_e32 v147, v4, v157
	v_mul_f32_e32 v134, v5, v157
	v_fmac_f32_e32 v145, v139, v155
	v_fma_f32 v137, v138, v155, -v7
	ds_read_b128 v[6:9], v1 offset:752
	v_fmac_f32_e32 v146, v3, v154
	v_fma_f32 v148, v2, v154, -v133
	v_fmac_f32_e32 v147, v5, v153
	v_fma_f32 v149, v4, v153, -v134
	s_clause 0x3
	buffer_load_dword v153, off, s[0:3], 0 offset:432
	buffer_load_dword v154, off, s[0:3], 0 offset:424
	;; [unrolled: 1-line block ×4, first 2 shown]
	v_add_f32_e32 v2, 0, v192
	s_clause 0x3
	buffer_load_dword v157, off, s[0:3], 0 offset:464
	buffer_load_dword v192, off, s[0:3], 0 offset:456
	;; [unrolled: 1-line block ×4, first 2 shown]
	v_add_f32_e32 v3, 0, v193
	buffer_load_dword v193, off, s[0:3], 0 offset:184
	v_add_f32_e32 v2, v2, v140
	v_add_f32_e32 v3, v3, v194
	;; [unrolled: 1-line block ×4, first 2 shown]
	s_waitcnt vmcnt(50) lgkmcnt(0)
	v_mul_f32_e32 v12, v6, v158
	v_mul_f32_e32 v4, v7, v158
	v_fmac_f32_e32 v12, v7, v152
	v_fma_f32 v140, v6, v152, -v4
	v_add_f32_e32 v6, v2, v10
	v_add_f32_e32 v7, v3, v142
	ds_read_b128 v[2:5], v1 offset:768
	v_add_f32_e32 v10, v6, v11
	s_waitcnt vmcnt(49)
	v_mul_f32_e32 v11, v8, v159
	v_mul_f32_e32 v6, v9, v159
	v_add_f32_e32 v133, v7, v143
	v_add_f32_e32 v10, v10, v132
	s_waitcnt vmcnt(45)
	v_fmac_f32_e32 v11, v9, v163
	v_fma_f32 v150, v8, v163, -v6
	ds_read_b128 v[6:9], v1 offset:784
	v_add_f32_e32 v138, v133, v195
	ds_read_b128 v[132:135], v1 offset:800
	v_add_f32_e32 v10, v10, v136
	v_add_f32_e32 v138, v138, v144
	;; [unrolled: 1-line block ×3, first 2 shown]
	s_waitcnt vmcnt(44) lgkmcnt(2)
	v_mul_f32_e32 v136, v3, v164
	v_mul_f32_e32 v151, v2, v164
	s_waitcnt vmcnt(43)
	v_mul_f32_e32 v141, v5, v165
	v_fma_f32 v152, v2, v162, -v136
	v_add_f32_e32 v2, v138, v145
	v_fmac_f32_e32 v151, v3, v162
	v_add_f32_e32 v3, v10, v148
	ds_read_b128 v[136:139], v1 offset:816
	v_mul_f32_e32 v10, v4, v165
	v_add_f32_e32 v2, v2, v146
	s_waitcnt vmcnt(42) lgkmcnt(2)
	v_mul_f32_e32 v142, v7, v166
	v_add_f32_e32 v3, v3, v149
	v_mul_f32_e32 v158, v6, v166
	s_waitcnt vmcnt(40) lgkmcnt(1)
	v_mul_f32_e32 v162, v132, v168
	v_add_f32_e32 v2, v2, v147
	v_fma_f32 v149, v6, v160, -v142
	v_add_f32_e32 v6, v3, v140
	v_fmac_f32_e32 v158, v7, v160
	s_waitcnt vmcnt(37)
	v_fmac_f32_e32 v162, v133, v171
	v_add_f32_e32 v7, v2, v12
	v_mul_f32_e32 v12, v133, v168
	v_add_f32_e32 v133, v6, v150
	v_fma_f32 v148, v4, v161, -v141
	v_fmac_f32_e32 v10, v5, v161
	v_add_f32_e32 v11, v7, v11
	v_fma_f32 v12, v132, v171, -v12
	v_add_f32_e32 v132, v133, v152
	v_mul_f32_e32 v144, v9, v167
	v_mul_f32_e32 v159, v8, v167
	v_add_f32_e32 v11, v11, v151
	ds_read_b128 v[2:5], v1 offset:832
	ds_read_b128 v[140:143], v1 offset:848
	v_add_f32_e32 v132, v132, v148
	s_waitcnt vmcnt(36)
	v_fma_f32 v160, v8, v172, -v144
	v_fmac_f32_e32 v159, v9, v172
	v_add_f32_e32 v10, v11, v10
	s_waitcnt vmcnt(35)
	v_mul_f32_e32 v133, v135, v173
	v_add_f32_e32 v167, v132, v149
	v_mul_f32_e32 v152, v134, v173
	s_waitcnt vmcnt(34) lgkmcnt(2)
	v_mul_f32_e32 v148, v137, v174
	v_add_f32_e32 v158, v10, v158
	v_fma_f32 v165, v134, v170, -v133
	v_add_f32_e32 v160, v167, v160
	v_mul_f32_e32 v161, v136, v174
	v_fmac_f32_e32 v152, v135, v170
	v_add_f32_e32 v158, v158, v159
	s_waitcnt vmcnt(33)
	v_mul_f32_e32 v164, v139, v175
	v_add_f32_e32 v12, v160, v12
	v_fma_f32 v166, v136, v169, -v148
	v_mul_f32_e32 v163, v138, v175
	v_add_f32_e32 v158, v158, v162
	v_fmac_f32_e32 v161, v137, v169
	v_add_f32_e32 v12, v12, v165
	s_waitcnt vmcnt(26)
	v_fma_f32 v164, v138, v182, -v164
	s_waitcnt lgkmcnt(1)
	v_mul_f32_e32 v168, v3, v176
	v_add_f32_e32 v152, v158, v152
	ds_read_b128 v[6:9], v1 offset:864
	ds_read_b128 v[144:147], v1 offset:880
	v_add_f32_e32 v12, v12, v166
	v_fmac_f32_e32 v163, v139, v182
	v_mul_f32_e32 v167, v2, v176
	v_add_f32_e32 v152, v152, v161
	v_mul_f32_e32 v169, v5, v177
	v_fma_f32 v2, v2, v181, -v168
	v_add_f32_e32 v12, v12, v164
	v_mul_f32_e32 v159, v4, v177
	v_fmac_f32_e32 v167, v3, v181
	v_add_f32_e32 v152, v152, v163
	s_waitcnt lgkmcnt(2)
	v_mul_f32_e32 v168, v141, v178
	v_fma_f32 v4, v4, v180, -v169
	v_add_f32_e32 v2, v12, v2
	v_mul_f32_e32 v160, v140, v178
	v_fmac_f32_e32 v159, v5, v180
	v_add_f32_e32 v12, v152, v167
	s_waitcnt vmcnt(25)
	v_mul_f32_e32 v163, v143, v183
	v_fma_f32 v140, v140, v179, -v168
	v_add_f32_e32 v2, v2, v4
	v_mul_f32_e32 v162, v142, v183
	v_fmac_f32_e32 v160, v141, v179
	v_add_f32_e32 v4, v12, v159
	s_waitcnt vmcnt(24) lgkmcnt(1)
	v_mul_f32_e32 v12, v7, v184
	v_add_f32_e32 v2, v2, v140
	ds_read_b128 v[132:135], v1 offset:896
	ds_read_b128 v[148:151], v1 offset:912
	v_mul_f32_e32 v3, v6, v184
	v_add_f32_e32 v4, v4, v160
	s_waitcnt vmcnt(23)
	v_mul_f32_e32 v140, v9, v185
	v_mul_f32_e32 v165, v8, v185
	s_waitcnt vmcnt(22) lgkmcnt(2)
	v_mul_f32_e32 v158, v144, v186
	s_waitcnt vmcnt(21)
	v_mul_f32_e32 v5, v146, v187
	ds_read_b128 v[136:139], v1 offset:928
	ds_read_b64 v[10:11], v1 offset:944
	s_waitcnt vmcnt(20) lgkmcnt(3)
	v_mul_f32_e32 v169, v132, v188
	s_waitcnt vmcnt(19)
	v_mul_f32_e32 v161, v134, v189
	s_waitcnt vmcnt(18) lgkmcnt(2)
	v_mul_f32_e32 v166, v148, v190
	s_waitcnt vmcnt(16)
	v_mul_f32_e32 v170, v150, v196
	s_waitcnt vmcnt(12)
	v_fmac_f32_e32 v158, v145, v200
	s_waitcnt vmcnt(11)
	v_fma_f32 v8, v8, v201, -v140
	s_waitcnt vmcnt(10)
	v_fma_f32 v6, v6, v202, -v12
	;; [unrolled: 2-line block ×3, first 2 shown]
	v_fmac_f32_e32 v162, v143, v203
	v_fmac_f32_e32 v3, v7, v202
	v_mul_f32_e32 v7, v145, v186
	v_fmac_f32_e32 v165, v9, v201
	v_add_f32_e32 v2, v2, v141
	v_add_f32_e32 v4, v4, v162
	s_waitcnt lgkmcnt(1)
	v_mul_f32_e32 v164, v136, v197
	v_mul_f32_e32 v171, v138, v198
	s_waitcnt lgkmcnt(0)
	v_mul_f32_e32 v152, v10, v199
	v_add_f32_e32 v2, v2, v6
	v_add_f32_e32 v3, v4, v3
	v_mul_f32_e32 v4, v147, v187
	v_fma_f32 v6, v144, v200, -v7
	v_mul_f32_e32 v7, v133, v188
	v_add_f32_e32 v2, v2, v8
	v_add_f32_e32 v3, v3, v165
	;; [unrolled: 1-line block ×4, first 2 shown]
	v_mul_f32_e32 v6, v135, v189
	s_waitcnt vmcnt(8)
	v_fmac_f32_e32 v166, v149, v153
	s_waitcnt vmcnt(7)
	v_fmac_f32_e32 v161, v135, v154
	s_waitcnt vmcnt(6)
	v_fma_f32 v7, v132, v155, -v7
	s_waitcnt vmcnt(5)
	v_fma_f32 v4, v146, v156, -v4
	v_fmac_f32_e32 v5, v147, v156
	v_fmac_f32_e32 v169, v133, v155
	s_waitcnt vmcnt(1)
	v_fmac_f32_e32 v170, v151, v205
	v_fmac_f32_e32 v164, v137, v204
	v_add_f32_e32 v2, v2, v4
	v_add_f32_e32 v3, v3, v5
	v_mul_f32_e32 v4, v149, v190
	v_fma_f32 v5, v134, v154, -v6
	v_mul_f32_e32 v6, v151, v196
	v_add_f32_e32 v2, v2, v7
	v_add_f32_e32 v3, v3, v169
	v_fma_f32 v4, v148, v153, -v4
	v_fmac_f32_e32 v171, v139, v192
	v_fma_f32 v6, v150, v205, -v6
	v_add_f32_e32 v2, v2, v5
	v_add_f32_e32 v3, v3, v161
	v_mul_f32_e32 v5, v137, v197
	v_fmac_f32_e32 v152, v11, v157
	v_add_f32_e32 v2, v2, v4
	v_add_f32_e32 v3, v3, v166
	v_mul_f32_e32 v4, v139, v198
	v_fma_f32 v5, v136, v204, -v5
	v_add_f32_e32 v2, v2, v6
	v_add_f32_e32 v3, v3, v170
	v_mul_f32_e32 v6, v11, v199
	v_fma_f32 v4, v138, v192, -v4
	v_add_f32_e32 v2, v2, v5
	v_add_f32_e32 v3, v3, v164
	v_fma_f32 v5, v10, v157, -v6
	v_add_f32_e32 v2, v2, v4
	v_add_f32_e32 v3, v3, v171
	;; [unrolled: 1-line block ×4, first 2 shown]
	s_waitcnt vmcnt(0)
	v_sub_f32_e32 v2, v193, v2
	v_sub_f32_e32 v3, v191, v3
	buffer_store_dword v2, off, s[0:3], 0 offset:184
	buffer_store_dword v3, off, s[0:3], 0 offset:188
	v_cmpx_lt_u32_e32 22, v0
	s_cbranch_execz .LBB58_323
; %bb.322:
	s_clause 0x1
	buffer_load_dword v2, off, s[0:3], 0 offset:176
	buffer_load_dword v3, off, s[0:3], 0 offset:180
	buffer_store_dword v1, off, s[0:3], 0 offset:176
	buffer_store_dword v1, off, s[0:3], 0 offset:180
	s_waitcnt vmcnt(0)
	ds_write_b64 v131, v[2:3]
.LBB58_323:
	s_or_b32 exec_lo, exec_lo, s4
	s_waitcnt lgkmcnt(0)
	s_waitcnt_vscnt null, 0x0
	s_barrier
	buffer_gl0_inv
	s_clause 0x23
	buffer_load_dword v140, off, s[0:3], 0 offset:188
	buffer_load_dword v141, off, s[0:3], 0 offset:196
	;; [unrolled: 1-line block ×36, first 2 shown]
	ds_read2_b64 v[5:8], v1 offset0:83 offset1:84
	s_clause 0x2
	buffer_load_dword v176, off, s[0:3], 0 offset:324
	buffer_load_dword v177, off, s[0:3], 0 offset:332
	buffer_load_dword v178, off, s[0:3], 0 offset:340
	ds_read2_b64 v[9:12], v1 offset0:85 offset1:86
	s_clause 0x3
	buffer_load_dword v179, off, s[0:3], 0 offset:372
	buffer_load_dword v4, off, s[0:3], 0 offset:380
	;; [unrolled: 1-line block ×4, first 2 shown]
	ds_read2_b64 v[132:135], v1 offset0:87 offset1:88
	s_clause 0x6
	buffer_load_dword v180, off, s[0:3], 0 offset:348
	buffer_load_dword v181, off, s[0:3], 0 offset:356
	;; [unrolled: 1-line block ×7, first 2 shown]
	ds_read2_b64 v[136:139], v1 offset0:89 offset1:90
	buffer_load_dword v190, off, s[0:3], 0 offset:180
	s_mov_b32 s4, exec_lo
	s_waitcnt vmcnt(50) lgkmcnt(3)
	v_mul_f32_e32 v187, v6, v140
	v_mul_f32_e32 v188, v5, v140
	s_waitcnt vmcnt(49)
	v_mul_f32_e32 v189, v7, v141
	v_mul_f32_e32 v140, v8, v141
	s_waitcnt vmcnt(46)
	v_fma_f32 v187, v5, v143, -v187
	v_fmac_f32_e32 v188, v6, v143
	v_fmac_f32_e32 v189, v8, v142
	v_fma_f32 v191, v7, v142, -v140
	ds_read2_b64 v[5:8], v1 offset0:91 offset1:92
	ds_read2_b64 v[140:143], v1 offset0:93 offset1:94
	s_waitcnt vmcnt(45) lgkmcnt(4)
	v_mul_f32_e32 v192, v9, v145
	v_mul_f32_e32 v145, v10, v145
	s_waitcnt vmcnt(43) lgkmcnt(3)
	v_mul_f32_e32 v194, v132, v147
	v_mul_f32_e32 v147, v133, v147
	;; [unrolled: 1-line block ×3, first 2 shown]
	v_fmac_f32_e32 v192, v10, v144
	v_fma_f32 v144, v9, v144, -v145
	s_waitcnt vmcnt(42)
	v_mul_f32_e32 v9, v135, v148
	v_mul_f32_e32 v146, v12, v146
	;; [unrolled: 1-line block ×3, first 2 shown]
	s_waitcnt vmcnt(39)
	v_fmac_f32_e32 v194, v133, v151
	v_fma_f32 v132, v132, v151, -v147
	v_fma_f32 v133, v134, v150, -v9
	s_waitcnt vmcnt(37) lgkmcnt(2)
	v_mul_f32_e32 v134, v136, v153
	v_mul_f32_e32 v9, v137, v153
	s_waitcnt vmcnt(36)
	v_mul_f32_e32 v147, v138, v154
	v_mul_f32_e32 v10, v139, v154
	v_fmac_f32_e32 v193, v12, v152
	v_fma_f32 v146, v11, v152, -v146
	s_clause 0x3
	buffer_load_dword v152, off, s[0:3], 0 offset:404
	buffer_load_dword v195, off, s[0:3], 0 offset:412
	;; [unrolled: 1-line block ×4, first 2 shown]
	v_fmac_f32_e32 v145, v135, v150
	s_clause 0x4
	buffer_load_dword v198, off, s[0:3], 0 offset:436
	buffer_load_dword v199, off, s[0:3], 0 offset:444
	;; [unrolled: 1-line block ×5, first 2 shown]
	v_fmac_f32_e32 v134, v137, v149
	v_fma_f32 v135, v136, v149, -v9
	s_waitcnt vmcnt(44) lgkmcnt(1)
	v_mul_f32_e32 v136, v5, v155
	v_mul_f32_e32 v9, v6, v155
	s_waitcnt vmcnt(40)
	v_fmac_f32_e32 v147, v139, v159
	v_fma_f32 v137, v138, v159, -v10
	s_waitcnt vmcnt(39)
	v_mul_f32_e32 v148, v7, v160
	v_mul_f32_e32 v10, v8, v160
	s_clause 0x3
	buffer_load_dword v154, off, s[0:3], 0 offset:392
	buffer_load_dword v155, off, s[0:3], 0 offset:384
	;; [unrolled: 1-line block ×4, first 2 shown]
	v_fmac_f32_e32 v136, v6, v158
	v_fma_f32 v138, v5, v158, -v9
	v_fmac_f32_e32 v148, v8, v157
	v_fma_f32 v149, v7, v157, -v10
	ds_read2_b64 v[5:8], v1 offset0:95 offset1:96
	s_waitcnt vmcnt(42) lgkmcnt(1)
	v_mul_f32_e32 v150, v140, v161
	v_mul_f32_e32 v9, v141, v161
	s_waitcnt vmcnt(41)
	v_mul_f32_e32 v151, v142, v162
	v_mul_f32_e32 v10, v143, v162
	v_fmac_f32_e32 v150, v141, v156
	v_fma_f32 v140, v140, v156, -v9
	s_clause 0x3
	buffer_load_dword v156, off, s[0:3], 0 offset:424
	buffer_load_dword v157, off, s[0:3], 0 offset:416
	;; [unrolled: 1-line block ×4, first 2 shown]
	v_add_f32_e32 v9, 0, v187
	s_waitcnt vmcnt(41)
	v_fmac_f32_e32 v151, v143, v166
	v_fma_f32 v141, v142, v166, -v10
	v_add_f32_e32 v10, 0, v188
	v_add_f32_e32 v139, v9, v191
	;; [unrolled: 1-line block ×3, first 2 shown]
	ds_read2_b64 v[9:12], v1 offset0:97 offset1:98
	v_add_f32_e32 v139, v139, v144
	s_waitcnt vmcnt(40) lgkmcnt(1)
	v_mul_f32_e32 v144, v5, v167
	v_mul_f32_e32 v143, v6, v167
	v_add_f32_e32 v142, v142, v192
	s_waitcnt vmcnt(39)
	v_mul_f32_e32 v191, v7, v168
	v_fmac_f32_e32 v144, v6, v165
	v_fma_f32 v162, v5, v165, -v143
	s_clause 0x5
	buffer_load_dword v165, off, s[0:3], 0 offset:456
	buffer_load_dword v166, off, s[0:3], 0 offset:448
	;; [unrolled: 1-line block ×6, first 2 shown]
	v_add_f32_e32 v5, v139, v146
	v_add_f32_e32 v6, v142, v193
	v_fmac_f32_e32 v191, v8, v164
	v_add_f32_e32 v5, v5, v132
	v_add_f32_e32 v6, v6, v194
	v_mul_f32_e32 v132, v8, v168
	s_waitcnt vmcnt(43) lgkmcnt(0)
	v_mul_f32_e32 v143, v12, v170
	v_mul_f32_e32 v168, v9, v169
	v_add_f32_e32 v5, v5, v133
	v_add_f32_e32 v133, v6, v145
	v_fma_f32 v164, v7, v164, -v132
	v_fmac_f32_e32 v168, v10, v163
	v_add_f32_e32 v139, v5, v135
	ds_read2_b64 v[5:8], v1 offset0:99 offset1:100
	v_add_f32_e32 v142, v133, v134
	ds_read2_b64 v[132:135], v1 offset0:101 offset1:102
	v_add_f32_e32 v137, v139, v137
	v_mul_f32_e32 v139, v10, v169
	v_add_f32_e32 v142, v142, v147
	v_mul_f32_e32 v169, v11, v170
	s_waitcnt vmcnt(39)
	v_fma_f32 v170, v11, v174, -v143
	v_add_f32_e32 v145, v137, v138
	v_fma_f32 v163, v9, v163, -v139
	v_add_f32_e32 v142, v142, v136
	v_fmac_f32_e32 v169, v12, v174
	ds_read2_b64 v[9:12], v1 offset0:103 offset1:104
	ds_read2_b64 v[136:139], v1 offset0:105 offset1:106
	v_add_f32_e32 v143, v145, v149
	v_add_f32_e32 v142, v142, v148
	;; [unrolled: 1-line block ×3, first 2 shown]
	s_waitcnt vmcnt(38) lgkmcnt(3)
	v_mul_f32_e32 v174, v5, v175
	v_mul_f32_e32 v145, v6, v175
	s_waitcnt vmcnt(37)
	v_mul_f32_e32 v175, v7, v176
	v_mul_f32_e32 v146, v8, v176
	v_add_f32_e32 v142, v142, v150
	v_fmac_f32_e32 v174, v6, v173
	v_fma_f32 v173, v5, v173, -v145
	v_add_f32_e32 v145, v140, v141
	v_fmac_f32_e32 v175, v8, v172
	v_fma_f32 v172, v7, v172, -v146
	v_add_f32_e32 v146, v142, v151
	s_waitcnt vmcnt(35) lgkmcnt(2)
	v_mul_f32_e32 v148, v135, v178
	v_add_f32_e32 v149, v145, v162
	s_waitcnt vmcnt(30) lgkmcnt(1)
	v_mul_f32_e32 v150, v10, v180
	v_mul_f32_e32 v176, v132, v177
	;; [unrolled: 1-line block ×3, first 2 shown]
	s_waitcnt vmcnt(24)
	v_fma_f32 v162, v134, v186, -v148
	v_add_f32_e32 v148, v146, v144
	v_add_f32_e32 v149, v149, v164
	v_mul_f32_e32 v164, v9, v180
	v_fmac_f32_e32 v176, v133, v171
	v_fma_f32 v171, v132, v171, -v147
	v_add_f32_e32 v148, v148, v191
	v_mul_f32_e32 v177, v134, v178
	v_fmac_f32_e32 v164, v10, v185
	v_add_f32_e32 v10, v149, v163
	ds_read2_b64 v[5:8], v1 offset0:107 offset1:108
	ds_read2_b64 v[140:143], v1 offset0:109 offset1:110
	v_add_f32_e32 v148, v148, v168
	v_fmac_f32_e32 v177, v135, v186
	v_mul_f32_e32 v151, v12, v181
	v_add_f32_e32 v170, v10, v170
	v_fma_f32 v163, v9, v185, -v150
	v_add_f32_e32 v169, v148, v169
	v_mul_f32_e32 v178, v11, v181
	v_fma_f32 v168, v11, v184, -v151
	v_add_f32_e32 v170, v170, v173
	s_waitcnt lgkmcnt(2)
	v_mul_f32_e32 v173, v137, v182
	v_add_f32_e32 v169, v169, v174
	ds_read2_b64 v[132:135], v1 offset0:111 offset1:112
	ds_read2_b64 v[144:147], v1 offset0:113 offset1:114
	v_fmac_f32_e32 v178, v12, v184
	v_add_f32_e32 v170, v170, v172
	ds_read2_b64 v[9:12], v1 offset0:115 offset1:116
	ds_read2_b64 v[148:151], v1 offset0:117 offset1:118
	v_add_f32_e32 v169, v169, v175
	v_mul_f32_e32 v1, v136, v182
	v_mul_f32_e32 v174, v138, v179
	v_add_f32_e32 v170, v170, v171
	v_mul_f32_e32 v179, v139, v179
	v_add_f32_e32 v169, v169, v176
	v_fma_f32 v136, v136, v183, -v173
	v_fmac_f32_e32 v1, v137, v183
	v_add_f32_e32 v162, v170, v162
	s_waitcnt lgkmcnt(5)
	v_mul_f32_e32 v172, v5, v4
	v_add_f32_e32 v169, v169, v177
	v_mul_f32_e32 v4, v6, v4
	v_mul_f32_e32 v175, v7, v3
	v_add_f32_e32 v162, v162, v163
	v_mul_f32_e32 v3, v8, v3
	v_add_f32_e32 v164, v169, v164
	s_waitcnt lgkmcnt(4)
	v_mul_f32_e32 v180, v140, v2
	v_mul_f32_e32 v2, v141, v2
	v_add_f32_e32 v162, v162, v168
	v_add_f32_e32 v164, v164, v178
	;; [unrolled: 1-line block ×4, first 2 shown]
	s_waitcnt vmcnt(22)
	v_mul_f32_e32 v171, v142, v152
	s_waitcnt vmcnt(21) lgkmcnt(3)
	v_mul_f32_e32 v176, v132, v195
	s_waitcnt vmcnt(20)
	v_mul_f32_e32 v181, v134, v196
	s_waitcnt vmcnt(19) lgkmcnt(2)
	v_mul_f32_e32 v170, v144, v197
	;; [unrolled: 4-line block ×4, first 2 shown]
	s_waitcnt vmcnt(14)
	v_mul_f32_e32 v137, v150, v153
	s_waitcnt vmcnt(13)
	v_fma_f32 v2, v140, v154, -v2
	s_waitcnt vmcnt(12)
	v_fma_f32 v3, v7, v155, -v3
	;; [unrolled: 2-line block ×4, first 2 shown]
	v_fmac_f32_e32 v174, v139, v160
	v_fmac_f32_e32 v172, v6, v159
	;; [unrolled: 1-line block ×4, first 2 shown]
	v_add_f32_e32 v5, v136, v138
	v_add_f32_e32 v1, v1, v174
	;; [unrolled: 1-line block ×4, first 2 shown]
	v_mul_f32_e32 v5, v143, v152
	s_waitcnt vmcnt(6)
	v_fmac_f32_e32 v171, v143, v161
	v_fmac_f32_e32 v176, v133, v158
	v_add_f32_e32 v3, v4, v3
	v_add_f32_e32 v1, v1, v175
	v_mul_f32_e32 v4, v133, v195
	v_fma_f32 v5, v142, v161, -v5
	v_fmac_f32_e32 v181, v135, v157
	v_add_f32_e32 v2, v3, v2
	v_add_f32_e32 v1, v1, v180
	v_mul_f32_e32 v3, v135, v196
	v_fma_f32 v4, v132, v158, -v4
	;; [unrolled: 5-line block ×3, first 2 shown]
	s_waitcnt vmcnt(5)
	v_fmac_f32_e32 v169, v149, v165
	v_add_f32_e32 v2, v2, v4
	v_add_f32_e32 v1, v1, v176
	v_mul_f32_e32 v4, v147, v198
	v_fma_f32 v5, v144, v156, -v5
	s_waitcnt vmcnt(2)
	v_fmac_f32_e32 v177, v147, v187
	v_add_f32_e32 v2, v2, v3
	v_add_f32_e32 v1, v1, v181
	v_mul_f32_e32 v3, v10, v199
	v_fma_f32 v4, v146, v187, -v4
	v_fmac_f32_e32 v182, v10, v167
	v_add_f32_e32 v2, v2, v5
	v_add_f32_e32 v1, v1, v170
	v_mul_f32_e32 v5, v12, v200
	v_fma_f32 v3, v9, v167, -v3
	;; [unrolled: 5-line block ×3, first 2 shown]
	s_waitcnt vmcnt(1)
	v_fmac_f32_e32 v137, v151, v188
	v_add_f32_e32 v2, v2, v3
	v_add_f32_e32 v1, v1, v182
	v_mul_f32_e32 v3, v151, v153
	v_fma_f32 v4, v148, v165, -v4
	v_add_f32_e32 v2, v2, v5
	v_add_f32_e32 v1, v1, v163
	v_fma_f32 v3, v150, v188, -v3
	v_add_f32_e32 v2, v2, v4
	v_add_f32_e32 v1, v1, v169
	;; [unrolled: 1-line block ×4, first 2 shown]
	s_waitcnt vmcnt(0)
	v_sub_f32_e32 v2, v189, v2
	v_sub_f32_e32 v1, v190, v1
	buffer_store_dword v2, off, s[0:3], 0 offset:176
	buffer_store_dword v1, off, s[0:3], 0 offset:180
	v_cmpx_lt_u32_e32 21, v0
	s_cbranch_execz .LBB58_325
; %bb.324:
	s_clause 0x1
	buffer_load_dword v1, off, s[0:3], 0 offset:168
	buffer_load_dword v2, off, s[0:3], 0 offset:172
	v_mov_b32_e32 v3, 0
	buffer_store_dword v3, off, s[0:3], 0 offset:168
	buffer_store_dword v3, off, s[0:3], 0 offset:172
	s_waitcnt vmcnt(0)
	ds_write_b64 v131, v[1:2]
.LBB58_325:
	s_or_b32 exec_lo, exec_lo, s4
	s_waitcnt lgkmcnt(0)
	s_waitcnt_vscnt null, 0x0
	s_barrier
	buffer_gl0_inv
	s_clause 0x25
	buffer_load_dword v2, off, s[0:3], 0 offset:180
	buffer_load_dword v3, off, s[0:3], 0 offset:188
	;; [unrolled: 1-line block ×38, first 2 shown]
	v_mov_b32_e32 v1, 0
	ds_read_b128 v[4:7], v1 offset:656
	ds_read_b128 v[8:11], v1 offset:672
	s_clause 0x10
	buffer_load_dword v175, off, s[0:3], 0 offset:332
	buffer_load_dword v176, off, s[0:3], 0 offset:340
	;; [unrolled: 1-line block ×17, first 2 shown]
	ds_read_b128 v[132:135], v1 offset:688
	ds_read_b128 v[136:139], v1 offset:704
	s_mov_b32 s4, exec_lo
	s_waitcnt vmcnt(54) lgkmcnt(3)
	v_mul_f32_e32 v192, v5, v2
	v_mul_f32_e32 v193, v4, v2
	s_waitcnt vmcnt(53)
	v_mul_f32_e32 v194, v6, v3
	v_mul_f32_e32 v2, v7, v3
	s_waitcnt vmcnt(52) lgkmcnt(2)
	v_mul_f32_e32 v195, v8, v12
	v_mul_f32_e32 v3, v9, v12
	s_waitcnt vmcnt(49)
	v_fma_f32 v12, v4, v142, -v192
	s_waitcnt vmcnt(48)
	v_mul_f32_e32 v4, v11, v143
	v_fmac_f32_e32 v193, v5, v142
	v_mul_f32_e32 v142, v10, v143
	v_fmac_f32_e32 v194, v7, v141
	v_fma_f32 v141, v6, v141, -v2
	v_fmac_f32_e32 v195, v9, v140
	v_fma_f32 v140, v8, v140, -v3
	s_waitcnt vmcnt(44)
	v_fma_f32 v10, v10, v147, -v4
	ds_read_b128 v[2:5], v1 offset:720
	ds_read_b128 v[6:9], v1 offset:736
	v_fmac_f32_e32 v142, v11, v147
	s_waitcnt vmcnt(43) lgkmcnt(3)
	v_mul_f32_e32 v11, v132, v148
	v_mul_f32_e32 v143, v133, v148
	s_waitcnt vmcnt(42)
	v_mul_f32_e32 v147, v134, v149
	v_mul_f32_e32 v148, v135, v149
	s_waitcnt vmcnt(41) lgkmcnt(2)
	v_mul_f32_e32 v149, v136, v150
	v_mul_f32_e32 v150, v137, v150
	v_fmac_f32_e32 v11, v133, v146
	v_fma_f32 v132, v132, v146, -v143
	s_waitcnt vmcnt(40)
	v_mul_f32_e32 v133, v138, v151
	v_mul_f32_e32 v143, v139, v151
	v_fmac_f32_e32 v147, v135, v145
	v_fma_f32 v134, v134, v145, -v148
	v_fmac_f32_e32 v149, v137, v144
	v_fma_f32 v135, v136, v144, -v150
	s_waitcnt vmcnt(36)
	v_fmac_f32_e32 v133, v139, v155
	v_fma_f32 v136, v138, v155, -v143
	s_clause 0x3
	buffer_load_dword v192, off, s[0:3], 0 offset:396
	buffer_load_dword v196, off, s[0:3], 0 offset:404
	buffer_load_dword v197, off, s[0:3], 0 offset:412
	buffer_load_dword v198, off, s[0:3], 0 offset:420
	s_waitcnt vmcnt(39) lgkmcnt(1)
	v_mul_f32_e32 v137, v2, v156
	v_mul_f32_e32 v138, v3, v156
	s_waitcnt vmcnt(38)
	v_mul_f32_e32 v139, v4, v157
	v_mul_f32_e32 v143, v5, v157
	s_waitcnt vmcnt(37) lgkmcnt(0)
	v_mul_f32_e32 v145, v7, v158
	s_clause 0x3
	buffer_load_dword v155, off, s[0:3], 0 offset:428
	buffer_load_dword v199, off, s[0:3], 0 offset:436
	;; [unrolled: 1-line block ×4, first 2 shown]
	v_fmac_f32_e32 v137, v3, v154
	v_fma_f32 v138, v2, v154, -v138
	v_mul_f32_e32 v144, v6, v158
	v_fmac_f32_e32 v139, v5, v153
	v_fma_f32 v143, v4, v153, -v143
	ds_read_b128 v[2:5], v1 offset:752
	v_fma_f32 v145, v6, v152, -v145
	s_waitcnt vmcnt(40)
	v_mul_f32_e32 v6, v9, v159
	s_clause 0x1
	buffer_load_dword v156, off, s[0:3], 0 offset:460
	buffer_load_dword v153, off, s[0:3], 0 offset:468
	v_fmac_f32_e32 v144, v7, v152
	v_mul_f32_e32 v146, v8, v159
	s_waitcnt vmcnt(38)
	v_fma_f32 v148, v8, v163, -v6
	v_add_f32_e32 v6, 0, v12
	s_clause 0x3
	buffer_load_dword v12, off, s[0:3], 0 offset:416
	buffer_load_dword v152, off, s[0:3], 0 offset:408
	;; [unrolled: 1-line block ×4, first 2 shown]
	v_add_f32_e32 v7, 0, v193
	v_fmac_f32_e32 v146, v9, v163
	v_add_f32_e32 v6, v6, v141
	v_add_f32_e32 v141, v7, v194
	;; [unrolled: 1-line block ×3, first 2 shown]
	ds_read_b128 v[6:9], v1 offset:768
	s_waitcnt vmcnt(41) lgkmcnt(1)
	v_mul_f32_e32 v150, v2, v164
	v_mul_f32_e32 v151, v3, v164
	v_add_f32_e32 v141, v141, v195
	v_add_f32_e32 v10, v140, v10
	v_fmac_f32_e32 v150, v3, v162
	v_fma_f32 v140, v2, v162, -v151
	s_clause 0x6
	buffer_load_dword v158, off, s[0:3], 0 offset:448
	buffer_load_dword v159, off, s[0:3], 0 offset:440
	;; [unrolled: 1-line block ×7, first 2 shown]
	v_add_f32_e32 v2, v141, v142
	v_add_f32_e32 v3, v10, v132
	s_waitcnt vmcnt(47)
	v_mul_f32_e32 v10, v4, v165
	v_add_f32_e32 v2, v2, v11
	v_add_f32_e32 v3, v3, v134
	v_mul_f32_e32 v11, v5, v165
	v_fmac_f32_e32 v10, v5, v161
	s_waitcnt vmcnt(45) lgkmcnt(0)
	v_mul_f32_e32 v151, v8, v167
	v_add_f32_e32 v2, v2, v147
	v_add_f32_e32 v3, v3, v135
	v_fma_f32 v11, v4, v161, -v11
	s_waitcnt vmcnt(41)
	v_fmac_f32_e32 v151, v9, v171
	v_add_f32_e32 v132, v2, v149
	v_add_f32_e32 v136, v3, v136
	ds_read_b128 v[2:5], v1 offset:784
	v_mul_f32_e32 v149, v6, v166
	v_add_f32_e32 v141, v132, v133
	v_add_f32_e32 v136, v136, v138
	v_mul_f32_e32 v138, v7, v166
	ds_read_b128 v[132:135], v1 offset:800
	v_fmac_f32_e32 v149, v7, v160
	v_add_f32_e32 v137, v141, v137
	v_mul_f32_e32 v141, v9, v167
	v_add_f32_e32 v142, v136, v143
	v_fma_f32 v160, v6, v160, -v138
	v_fma_f32 v161, v8, v171, -v141
	v_add_f32_e32 v141, v137, v139
	v_add_f32_e32 v142, v142, v145
	ds_read_b128 v[6:9], v1 offset:816
	ds_read_b128 v[136:139], v1 offset:832
	v_add_f32_e32 v141, v141, v144
	s_waitcnt vmcnt(39) lgkmcnt(3)
	v_mul_f32_e32 v166, v4, v173
	v_mul_f32_e32 v144, v5, v173
	v_add_f32_e32 v142, v142, v148
	v_mul_f32_e32 v143, v3, v172
	v_add_f32_e32 v141, v141, v146
	v_fmac_f32_e32 v166, v5, v169
	v_fma_f32 v169, v4, v169, -v144
	v_add_f32_e32 v144, v142, v140
	v_mul_f32_e32 v165, v2, v172
	v_add_f32_e32 v146, v141, v150
	v_fma_f32 v148, v2, v170, -v143
	s_waitcnt vmcnt(38) lgkmcnt(2)
	v_mul_f32_e32 v167, v132, v174
	v_add_f32_e32 v11, v144, v11
	v_fmac_f32_e32 v165, v3, v170
	v_add_f32_e32 v10, v146, v10
	v_mul_f32_e32 v145, v133, v174
	s_waitcnt vmcnt(37)
	v_mul_f32_e32 v147, v135, v175
	v_add_f32_e32 v11, v11, v160
	s_waitcnt vmcnt(36) lgkmcnt(1)
	v_mul_f32_e32 v160, v6, v176
	v_add_f32_e32 v10, v10, v149
	v_mul_f32_e32 v149, v7, v176
	v_fmac_f32_e32 v167, v133, v168
	v_fma_f32 v168, v132, v168, -v145
	s_waitcnt vmcnt(31)
	v_fmac_f32_e32 v160, v7, v181
	v_add_f32_e32 v7, v11, v161
	v_add_f32_e32 v10, v10, v151
	v_mul_f32_e32 v171, v134, v175
	s_waitcnt vmcnt(30)
	v_fma_f32 v170, v134, v182, -v147
	ds_read_b128 v[2:5], v1 offset:848
	ds_read_b128 v[140:143], v1 offset:864
	v_add_f32_e32 v174, v7, v148
	v_add_f32_e32 v165, v10, v165
	v_fmac_f32_e32 v171, v135, v182
	v_mul_f32_e32 v150, v9, v177
	v_fma_f32 v161, v6, v181, -v149
	v_add_f32_e32 v169, v174, v169
	v_add_f32_e32 v165, v165, v166
	v_mul_f32_e32 v172, v8, v177
	v_fma_f32 v173, v8, v180, -v150
	s_waitcnt lgkmcnt(2)
	v_mul_f32_e32 v175, v137, v178
	v_add_f32_e32 v168, v169, v168
	v_add_f32_e32 v165, v165, v167
	v_fmac_f32_e32 v172, v9, v180
	v_mul_f32_e32 v174, v136, v178
	s_waitcnt vmcnt(29)
	v_mul_f32_e32 v176, v139, v183
	v_add_f32_e32 v168, v168, v170
	v_add_f32_e32 v165, v165, v171
	v_fma_f32 v136, v136, v179, -v175
	v_mul_f32_e32 v166, v138, v183
	v_fmac_f32_e32 v174, v137, v179
	v_add_f32_e32 v161, v168, v161
	v_add_f32_e32 v160, v165, v160
	s_waitcnt vmcnt(28) lgkmcnt(1)
	v_mul_f32_e32 v169, v2, v184
	v_mul_f32_e32 v175, v3, v184
	s_waitcnt vmcnt(22)
	v_fma_f32 v138, v138, v190, -v176
	v_add_f32_e32 v161, v161, v173
	v_add_f32_e32 v160, v160, v172
	ds_read_b128 v[132:135], v1 offset:880
	ds_read_b128 v[144:147], v1 offset:896
	v_fmac_f32_e32 v166, v139, v190
	v_mul_f32_e32 v172, v5, v185
	v_add_f32_e32 v136, v161, v136
	v_add_f32_e32 v160, v160, v174
	v_fmac_f32_e32 v169, v3, v189
	v_fma_f32 v2, v2, v189, -v175
	v_mul_f32_e32 v167, v4, v185
	v_add_f32_e32 v3, v136, v138
	v_add_f32_e32 v136, v160, v166
	s_waitcnt lgkmcnt(2)
	v_mul_f32_e32 v138, v141, v186
	v_fma_f32 v4, v4, v188, -v172
	v_mul_f32_e32 v137, v140, v186
	v_add_f32_e32 v2, v3, v2
	v_fmac_f32_e32 v167, v5, v188
	v_add_f32_e32 v3, v136, v169
	v_fma_f32 v136, v140, v187, -v138
	v_fmac_f32_e32 v137, v141, v187
	v_add_f32_e32 v2, v2, v4
	ds_read_b128 v[6:9], v1 offset:912
	ds_read_b128 v[148:151], v1 offset:928
	ds_read_b64 v[10:11], v1 offset:944
	v_add_f32_e32 v3, v3, v167
	v_add_f32_e32 v2, v2, v136
	;; [unrolled: 1-line block ×3, first 2 shown]
	s_waitcnt vmcnt(20)
	v_mul_f32_e32 v5, v143, v192
	v_mul_f32_e32 v170, v142, v192
	s_waitcnt vmcnt(19) lgkmcnt(4)
	v_mul_f32_e32 v4, v133, v196
	v_mul_f32_e32 v171, v132, v196
	s_waitcnt vmcnt(18)
	v_mul_f32_e32 v136, v135, v197
	v_mul_f32_e32 v139, v134, v197
	s_waitcnt vmcnt(17) lgkmcnt(3)
	v_mul_f32_e32 v176, v144, v198
	s_waitcnt vmcnt(16)
	v_mul_f32_e32 v165, v146, v155
	s_waitcnt vmcnt(15) lgkmcnt(2)
	v_mul_f32_e32 v168, v6, v199
	s_waitcnt vmcnt(14)
	;; [unrolled: 4-line block ×4, first 2 shown]
	v_fmac_f32_e32 v176, v145, v12
	s_waitcnt vmcnt(9)
	v_fmac_f32_e32 v139, v135, v152
	s_waitcnt vmcnt(8)
	v_fma_f32 v4, v132, v154, -v4
	s_waitcnt vmcnt(7)
	v_fma_f32 v5, v142, v157, -v5
	v_fmac_f32_e32 v170, v143, v157
	v_fmac_f32_e32 v171, v133, v154
	v_fma_f32 v132, v134, v152, -v136
	v_add_f32_e32 v2, v2, v5
	v_add_f32_e32 v3, v3, v170
	v_mul_f32_e32 v5, v145, v198
	v_add_f32_e32 v2, v2, v4
	v_add_f32_e32 v3, v3, v171
	v_mul_f32_e32 v4, v147, v155
	v_fma_f32 v5, v144, v12, -v5
	v_mul_f32_e32 v12, v7, v199
	v_add_f32_e32 v2, v2, v132
	v_add_f32_e32 v3, v3, v139
	s_waitcnt vmcnt(4)
	v_fmac_f32_e32 v168, v7, v162
	s_waitcnt vmcnt(3)
	v_fma_f32 v4, v146, v163, -v4
	v_fmac_f32_e32 v165, v147, v163
	v_add_f32_e32 v2, v2, v5
	v_add_f32_e32 v3, v3, v176
	v_mul_f32_e32 v5, v9, v200
	v_fma_f32 v6, v6, v162, -v12
	v_fmac_f32_e32 v177, v9, v159
	v_add_f32_e32 v2, v2, v4
	v_add_f32_e32 v3, v3, v165
	v_mul_f32_e32 v4, v149, v201
	;; [unrolled: 5-line block ×3, first 2 shown]
	v_fma_f32 v4, v148, v158, -v4
	s_waitcnt vmcnt(1)
	v_fmac_f32_e32 v178, v151, v193
	v_add_f32_e32 v2, v2, v5
	v_add_f32_e32 v3, v3, v177
	v_mul_f32_e32 v5, v11, v153
	v_fma_f32 v6, v150, v193, -v6
	v_fmac_f32_e32 v161, v11, v164
	v_add_f32_e32 v2, v2, v4
	v_add_f32_e32 v3, v3, v173
	v_fma_f32 v4, v10, v164, -v5
	v_add_f32_e32 v2, v2, v6
	v_add_f32_e32 v3, v3, v178
	;; [unrolled: 1-line block ×4, first 2 shown]
	s_waitcnt vmcnt(0)
	v_sub_f32_e32 v2, v194, v2
	v_sub_f32_e32 v3, v191, v3
	buffer_store_dword v2, off, s[0:3], 0 offset:168
	buffer_store_dword v3, off, s[0:3], 0 offset:172
	v_cmpx_lt_u32_e32 20, v0
	s_cbranch_execz .LBB58_327
; %bb.326:
	s_clause 0x1
	buffer_load_dword v2, off, s[0:3], 0 offset:160
	buffer_load_dword v3, off, s[0:3], 0 offset:164
	buffer_store_dword v1, off, s[0:3], 0 offset:160
	buffer_store_dword v1, off, s[0:3], 0 offset:164
	s_waitcnt vmcnt(0)
	ds_write_b64 v131, v[2:3]
.LBB58_327:
	s_or_b32 exec_lo, exec_lo, s4
	s_waitcnt lgkmcnt(0)
	s_waitcnt_vscnt null, 0x0
	s_barrier
	buffer_gl0_inv
	s_clause 0x1e
	buffer_load_dword v2, off, s[0:3], 0 offset:172
	buffer_load_dword v3, off, s[0:3], 0 offset:180
	;; [unrolled: 1-line block ×31, first 2 shown]
	ds_read2_b64 v[4:7], v1 offset0:81 offset1:82
	s_clause 0x3
	buffer_load_dword v176, off, s[0:3], 0 offset:312
	buffer_load_dword v177, off, s[0:3], 0 offset:304
	;; [unrolled: 1-line block ×4, first 2 shown]
	ds_read2_b64 v[8:11], v1 offset0:83 offset1:84
	s_clause 0xa
	buffer_load_dword v180, off, s[0:3], 0 offset:300
	buffer_load_dword v181, off, s[0:3], 0 offset:308
	;; [unrolled: 1-line block ×11, first 2 shown]
	ds_read2_b64 v[132:135], v1 offset0:85 offset1:86
	ds_read2_b64 v[136:139], v1 offset0:87 offset1:88
	;; [unrolled: 1-line block ×4, first 2 shown]
	buffer_load_dword v191, off, s[0:3], 0 offset:164
	s_mov_b32 s4, exec_lo
	s_waitcnt vmcnt(46) lgkmcnt(5)
	v_mul_f32_e32 v192, v5, v2
	v_mul_f32_e32 v193, v4, v2
	s_waitcnt vmcnt(45)
	v_mul_f32_e32 v194, v6, v3
	v_mul_f32_e32 v2, v7, v3
	s_waitcnt vmcnt(44) lgkmcnt(4)
	v_mul_f32_e32 v195, v8, v12
	v_mul_f32_e32 v3, v9, v12
	s_waitcnt vmcnt(41)
	v_fma_f32 v12, v4, v150, -v192
	v_fmac_f32_e32 v193, v5, v150
	s_waitcnt vmcnt(40)
	v_mul_f32_e32 v150, v10, v151
	v_mul_f32_e32 v4, v11, v151
	v_fmac_f32_e32 v194, v7, v149
	s_waitcnt vmcnt(35) lgkmcnt(3)
	v_mul_f32_e32 v151, v133, v156
	v_fma_f32 v149, v6, v149, -v2
	v_fmac_f32_e32 v150, v11, v155
	v_mul_f32_e32 v11, v132, v156
	v_fma_f32 v10, v10, v155, -v4
	s_waitcnt vmcnt(34)
	v_mul_f32_e32 v155, v134, v157
	v_mul_f32_e32 v156, v135, v157
	s_waitcnt vmcnt(33) lgkmcnt(2)
	v_mul_f32_e32 v157, v136, v158
	v_mul_f32_e32 v158, v137, v158
	v_fmac_f32_e32 v11, v133, v154
	v_fma_f32 v132, v132, v154, -v151
	s_waitcnt vmcnt(32)
	v_mul_f32_e32 v133, v138, v159
	v_mul_f32_e32 v151, v139, v159
	v_fmac_f32_e32 v195, v9, v148
	v_fma_f32 v148, v8, v148, -v3
	ds_read2_b64 v[2:5], v1 offset0:93 offset1:94
	ds_read2_b64 v[6:9], v1 offset0:95 offset1:96
	v_fmac_f32_e32 v155, v135, v153
	v_fma_f32 v134, v134, v153, -v156
	v_fmac_f32_e32 v157, v137, v152
	v_fma_f32 v135, v136, v152, -v158
	s_waitcnt vmcnt(28)
	v_fmac_f32_e32 v133, v139, v163
	v_fma_f32 v136, v138, v163, -v151
	s_clause 0x7
	buffer_load_dword v151, off, s[0:3], 0 offset:356
	buffer_load_dword v152, off, s[0:3], 0 offset:364
	;; [unrolled: 1-line block ×8, first 2 shown]
	s_waitcnt vmcnt(35) lgkmcnt(3)
	v_mul_f32_e32 v137, v140, v164
	v_mul_f32_e32 v138, v141, v164
	s_waitcnt vmcnt(34)
	v_mul_f32_e32 v139, v142, v165
	v_mul_f32_e32 v164, v143, v165
	s_waitcnt vmcnt(33) lgkmcnt(2)
	v_mul_f32_e32 v165, v144, v166
	v_mul_f32_e32 v166, v145, v166
	v_fmac_f32_e32 v137, v141, v162
	v_fma_f32 v138, v140, v162, -v138
	s_waitcnt vmcnt(32)
	v_mul_f32_e32 v140, v146, v167
	v_mul_f32_e32 v141, v147, v167
	v_fmac_f32_e32 v139, v143, v161
	v_fmac_f32_e32 v165, v145, v160
	v_fma_f32 v143, v144, v160, -v166
	s_waitcnt vmcnt(28)
	v_fmac_f32_e32 v140, v147, v171
	v_fma_f32 v141, v146, v171, -v141
	s_waitcnt vmcnt(27) lgkmcnt(1)
	v_mul_f32_e32 v144, v2, v172
	v_mul_f32_e32 v145, v3, v172
	s_waitcnt vmcnt(26)
	v_mul_f32_e32 v146, v4, v173
	v_mul_f32_e32 v147, v5, v173
	v_fma_f32 v142, v142, v161, -v164
	s_clause 0x8
	buffer_load_dword v161, off, s[0:3], 0 offset:388
	buffer_load_dword v162, off, s[0:3], 0 offset:396
	;; [unrolled: 1-line block ×9, first 2 shown]
	v_fmac_f32_e32 v144, v3, v170
	v_fma_f32 v145, v2, v170, -v145
	buffer_load_dword v170, off, s[0:3], 0 offset:460
	v_fmac_f32_e32 v146, v5, v169
	v_fma_f32 v147, v4, v169, -v147
	s_clause 0x4
	buffer_load_dword v169, off, s[0:3], 0 offset:468
	buffer_load_dword v173, off, s[0:3], 0 offset:408
	;; [unrolled: 1-line block ×5, first 2 shown]
	v_add_f32_e32 v3, 0, v193
	v_add_f32_e32 v2, 0, v12
	s_waitcnt vmcnt(40) lgkmcnt(0)
	v_mul_f32_e32 v4, v7, v174
	v_add_f32_e32 v3, v3, v194
	v_add_f32_e32 v2, v2, v149
	v_fma_f32 v149, v6, v168, -v4
	v_add_f32_e32 v3, v3, v195
	s_clause 0x3
	buffer_load_dword v12, off, s[0:3], 0 offset:440
	buffer_load_dword v193, off, s[0:3], 0 offset:432
	buffer_load_dword v194, off, s[0:3], 0 offset:424
	buffer_load_dword v195, off, s[0:3], 0 offset:416
	v_add_f32_e32 v2, v2, v148
	v_mul_f32_e32 v148, v6, v174
	v_add_f32_e32 v3, v3, v150
	s_waitcnt vmcnt(43)
	v_mul_f32_e32 v150, v8, v175
	v_add_f32_e32 v2, v2, v10
	s_clause 0x2
	buffer_load_dword v10, off, s[0:3], 0 offset:464
	buffer_load_dword v199, off, s[0:3], 0 offset:456
	;; [unrolled: 1-line block ×3, first 2 shown]
	v_fmac_f32_e32 v148, v7, v168
	v_add_f32_e32 v3, v3, v11
	buffer_load_dword v11, off, s[0:3], 0 offset:160
	v_add_f32_e32 v2, v2, v132
	s_waitcnt vmcnt(43)
	v_fmac_f32_e32 v150, v9, v179
	v_add_f32_e32 v3, v3, v155
	v_add_f32_e32 v2, v2, v134
	;; [unrolled: 1-line block ×4, first 2 shown]
	ds_read2_b64 v[2:5], v1 offset0:97 offset1:98
	v_add_f32_e32 v133, v7, v133
	v_add_f32_e32 v132, v6, v136
	v_mul_f32_e32 v6, v9, v175
	v_add_f32_e32 v137, v133, v137
	v_add_f32_e32 v136, v132, v138
	v_fma_f32 v155, v8, v179, -v6
	ds_read2_b64 v[6:9], v1 offset0:99 offset1:100
	ds_read2_b64 v[132:135], v1 offset0:101 offset1:102
	v_add_f32_e32 v137, v137, v139
	v_add_f32_e32 v136, v136, v142
	;; [unrolled: 1-line block ×3, first 2 shown]
	s_waitcnt vmcnt(42) lgkmcnt(2)
	v_mul_f32_e32 v138, v3, v180
	v_mul_f32_e32 v157, v2, v180
	v_fma_f32 v168, v2, v178, -v138
	v_add_f32_e32 v2, v137, v165
	v_fmac_f32_e32 v157, v3, v178
	v_add_f32_e32 v3, v142, v141
	ds_read2_b64 v[136:139], v1 offset0:103 offset1:104
	s_waitcnt vmcnt(41)
	v_mul_f32_e32 v165, v4, v181
	v_add_f32_e32 v2, v2, v140
	s_waitcnt vmcnt(40) lgkmcnt(2)
	v_mul_f32_e32 v174, v6, v182
	v_mul_f32_e32 v140, v7, v182
	v_add_f32_e32 v3, v3, v145
	s_waitcnt vmcnt(38) lgkmcnt(1)
	v_mul_f32_e32 v178, v132, v184
	v_add_f32_e32 v2, v2, v144
	v_fmac_f32_e32 v174, v7, v176
	v_fma_f32 v176, v6, v176, -v140
	v_add_f32_e32 v6, v3, v147
	v_mul_f32_e32 v144, v133, v184
	v_add_f32_e32 v7, v2, v146
	s_waitcnt vmcnt(33)
	v_fmac_f32_e32 v178, v133, v189
	v_mul_f32_e32 v141, v5, v181
	v_add_f32_e32 v133, v6, v149
	v_fma_f32 v180, v132, v189, -v144
	v_add_f32_e32 v132, v7, v148
	v_fmac_f32_e32 v165, v5, v177
	v_fma_f32 v177, v4, v177, -v141
	v_add_f32_e32 v133, v133, v155
	s_waitcnt lgkmcnt(0)
	v_mul_f32_e32 v149, v137, v186
	v_add_f32_e32 v132, v132, v150
	v_mul_f32_e32 v181, v136, v186
	v_mul_f32_e32 v145, v9, v183
	v_add_f32_e32 v133, v133, v168
	v_fma_f32 v184, v136, v187, -v149
	v_add_f32_e32 v136, v132, v157
	v_mul_f32_e32 v175, v8, v183
	s_waitcnt vmcnt(32)
	v_fma_f32 v179, v8, v190, -v145
	v_add_f32_e32 v157, v133, v177
	ds_read2_b64 v[2:5], v1 offset0:105 offset1:106
	ds_read2_b64 v[140:143], v1 offset0:107 offset1:108
	v_add_f32_e32 v165, v136, v165
	v_fmac_f32_e32 v175, v9, v190
	v_mul_f32_e32 v148, v135, v185
	v_add_f32_e32 v157, v157, v176
	v_mul_f32_e32 v155, v134, v185
	v_add_f32_e32 v165, v165, v174
	v_fmac_f32_e32 v181, v137, v187
	v_fma_f32 v183, v134, v188, -v148
	v_add_f32_e32 v157, v157, v179
	v_fmac_f32_e32 v155, v135, v188
	v_add_f32_e32 v165, v165, v175
	ds_read2_b64 v[6:9], v1 offset0:109 offset1:110
	ds_read2_b64 v[144:147], v1 offset0:111 offset1:112
	v_add_f32_e32 v157, v157, v180
	v_add_f32_e32 v165, v165, v178
	;; [unrolled: 1-line block ×6, first 2 shown]
	s_waitcnt vmcnt(30)
	v_mul_f32_e32 v168, v138, v151
	v_mul_f32_e32 v182, v139, v151
	ds_read2_b64 v[132:135], v1 offset0:113 offset1:114
	ds_read2_b64 v[148:151], v1 offset0:115 offset1:116
	s_waitcnt vmcnt(28) lgkmcnt(5)
	v_mul_f32_e32 v174, v4, v153
	v_mul_f32_e32 v153, v5, v153
	s_waitcnt vmcnt(27) lgkmcnt(4)
	v_mul_f32_e32 v176, v140, v154
	v_mul_f32_e32 v154, v141, v154
	s_waitcnt vmcnt(23)
	v_fmac_f32_e32 v168, v139, v163
	v_fma_f32 v163, v138, v163, -v182
	ds_read2_b64 v[136:139], v1 offset0:117 offset1:118
	v_mul_f32_e32 v1, v2, v152
	v_mul_f32_e32 v152, v3, v152
	v_add_f32_e32 v155, v155, v168
	v_fma_f32 v4, v4, v158, -v153
	v_fmac_f32_e32 v174, v5, v158
	v_fmac_f32_e32 v1, v3, v159
	v_fma_f32 v2, v2, v159, -v152
	v_add_f32_e32 v152, v157, v163
	v_fma_f32 v140, v140, v156, -v154
	v_fmac_f32_e32 v176, v141, v156
	v_add_f32_e32 v1, v155, v1
	v_add_f32_e32 v2, v152, v2
	s_waitcnt vmcnt(22)
	v_mul_f32_e32 v5, v143, v161
	v_mul_f32_e32 v175, v142, v161
	v_add_f32_e32 v2, v2, v4
	v_add_f32_e32 v1, v1, v174
	s_waitcnt vmcnt(21) lgkmcnt(4)
	v_mul_f32_e32 v4, v7, v162
	v_mul_f32_e32 v177, v6, v162
	s_waitcnt vmcnt(20)
	v_mul_f32_e32 v179, v8, v164
	v_add_f32_e32 v2, v2, v140
	v_add_f32_e32 v1, v1, v176
	v_mul_f32_e32 v140, v9, v164
	s_waitcnt vmcnt(9)
	v_fma_f32 v4, v6, v197, -v4
	s_waitcnt vmcnt(8)
	v_fma_f32 v5, v142, v198, -v5
	v_fmac_f32_e32 v175, v143, v198
	v_fmac_f32_e32 v177, v7, v197
	v_fma_f32 v6, v8, v196, -v140
	s_waitcnt lgkmcnt(3)
	v_mul_f32_e32 v178, v144, v167
	v_add_f32_e32 v2, v2, v5
	v_add_f32_e32 v1, v1, v175
	v_mul_f32_e32 v5, v145, v167
	v_fmac_f32_e32 v179, v9, v196
	v_mul_f32_e32 v180, v146, v160
	v_add_f32_e32 v2, v2, v4
	v_add_f32_e32 v1, v1, v177
	v_mul_f32_e32 v4, v147, v160
	v_fma_f32 v5, v144, v173, -v5
	v_fmac_f32_e32 v178, v145, v173
	v_add_f32_e32 v2, v2, v6
	v_add_f32_e32 v1, v1, v179
	s_waitcnt lgkmcnt(2)
	v_mul_f32_e32 v6, v133, v166
	s_waitcnt vmcnt(4)
	v_fma_f32 v4, v146, v195, -v4
	v_mul_f32_e32 v182, v132, v166
	v_add_f32_e32 v2, v2, v5
	v_fmac_f32_e32 v180, v147, v195
	v_add_f32_e32 v1, v1, v178
	v_mul_f32_e32 v5, v135, v171
	v_fma_f32 v6, v132, v194, -v6
	v_add_f32_e32 v2, v2, v4
	v_mul_f32_e32 v165, v134, v171
	v_fmac_f32_e32 v182, v133, v194
	v_add_f32_e32 v1, v1, v180
	s_waitcnt lgkmcnt(1)
	v_mul_f32_e32 v4, v149, v192
	v_fma_f32 v5, v134, v193, -v5
	v_add_f32_e32 v2, v2, v6
	v_mul_f32_e32 v183, v148, v192
	v_fmac_f32_e32 v165, v135, v193
	v_add_f32_e32 v1, v1, v182
	v_mul_f32_e32 v6, v151, v172
	v_fma_f32 v4, v148, v12, -v4
	v_add_f32_e32 v2, v2, v5
	v_mul_f32_e32 v184, v150, v172
	v_fmac_f32_e32 v183, v149, v12
	v_add_f32_e32 v1, v1, v165
	s_waitcnt lgkmcnt(0)
	v_mul_f32_e32 v5, v137, v170
	s_waitcnt vmcnt(1)
	v_fma_f32 v6, v150, v200, -v6
	v_add_f32_e32 v2, v2, v4
	v_mul_f32_e32 v181, v136, v170
	v_fmac_f32_e32 v184, v151, v200
	v_add_f32_e32 v1, v1, v183
	v_mul_f32_e32 v4, v139, v169
	v_fma_f32 v5, v136, v199, -v5
	v_add_f32_e32 v2, v2, v6
	v_mul_f32_e32 v3, v138, v169
	v_fmac_f32_e32 v181, v137, v199
	v_add_f32_e32 v1, v1, v184
	v_fma_f32 v4, v138, v10, -v4
	v_add_f32_e32 v2, v2, v5
	v_fmac_f32_e32 v3, v139, v10
	v_add_f32_e32 v1, v1, v181
	v_add_f32_e32 v2, v2, v4
	;; [unrolled: 1-line block ×3, first 2 shown]
	s_waitcnt vmcnt(0)
	v_sub_f32_e32 v2, v11, v2
	v_sub_f32_e32 v1, v191, v1
	buffer_store_dword v2, off, s[0:3], 0 offset:160
	buffer_store_dword v1, off, s[0:3], 0 offset:164
	v_cmpx_lt_u32_e32 19, v0
	s_cbranch_execz .LBB58_329
; %bb.328:
	s_clause 0x1
	buffer_load_dword v1, off, s[0:3], 0 offset:152
	buffer_load_dword v2, off, s[0:3], 0 offset:156
	v_mov_b32_e32 v3, 0
	buffer_store_dword v3, off, s[0:3], 0 offset:152
	buffer_store_dword v3, off, s[0:3], 0 offset:156
	s_waitcnt vmcnt(0)
	ds_write_b64 v131, v[1:2]
.LBB58_329:
	s_or_b32 exec_lo, exec_lo, s4
	s_waitcnt lgkmcnt(0)
	s_waitcnt_vscnt null, 0x0
	s_barrier
	buffer_gl0_inv
	s_clause 0x25
	buffer_load_dword v2, off, s[0:3], 0 offset:164
	buffer_load_dword v3, off, s[0:3], 0 offset:172
	;; [unrolled: 1-line block ×38, first 2 shown]
	v_mov_b32_e32 v1, 0
	ds_read_b128 v[4:7], v1 offset:640
	ds_read_b128 v[8:11], v1 offset:656
	s_clause 0x10
	buffer_load_dword v175, off, s[0:3], 0 offset:316
	buffer_load_dword v176, off, s[0:3], 0 offset:324
	;; [unrolled: 1-line block ×17, first 2 shown]
	ds_read_b128 v[132:135], v1 offset:672
	ds_read_b128 v[136:139], v1 offset:688
	s_mov_b32 s4, exec_lo
	s_waitcnt vmcnt(54) lgkmcnt(3)
	v_mul_f32_e32 v192, v5, v2
	v_mul_f32_e32 v193, v4, v2
	s_waitcnt vmcnt(53)
	v_mul_f32_e32 v194, v6, v3
	v_mul_f32_e32 v2, v7, v3
	s_waitcnt vmcnt(52) lgkmcnt(2)
	v_mul_f32_e32 v195, v8, v12
	v_mul_f32_e32 v3, v9, v12
	s_waitcnt vmcnt(49)
	v_fma_f32 v12, v4, v142, -v192
	v_fmac_f32_e32 v193, v5, v142
	s_waitcnt vmcnt(48)
	v_mul_f32_e32 v142, v10, v143
	v_mul_f32_e32 v4, v11, v143
	v_fmac_f32_e32 v194, v7, v141
	s_waitcnt vmcnt(43) lgkmcnt(1)
	v_mul_f32_e32 v143, v133, v148
	v_fma_f32 v141, v6, v141, -v2
	v_fmac_f32_e32 v195, v9, v140
	v_fma_f32 v140, v8, v140, -v3
	v_fmac_f32_e32 v142, v11, v147
	v_fma_f32 v10, v10, v147, -v4
	ds_read_b128 v[2:5], v1 offset:704
	ds_read_b128 v[6:9], v1 offset:720
	v_mul_f32_e32 v11, v132, v148
	s_waitcnt vmcnt(42)
	v_mul_f32_e32 v147, v134, v149
	v_mul_f32_e32 v148, v135, v149
	s_waitcnt vmcnt(41) lgkmcnt(2)
	v_mul_f32_e32 v149, v136, v150
	v_fma_f32 v143, v132, v146, -v143
	s_waitcnt vmcnt(40)
	v_mul_f32_e32 v132, v139, v151
	v_mul_f32_e32 v150, v137, v150
	v_fmac_f32_e32 v11, v133, v146
	v_fmac_f32_e32 v147, v135, v145
	v_fma_f32 v145, v134, v145, -v148
	s_clause 0x3
	buffer_load_dword v192, off, s[0:3], 0 offset:380
	buffer_load_dword v196, off, s[0:3], 0 offset:388
	;; [unrolled: 1-line block ×4, first 2 shown]
	v_fmac_f32_e32 v149, v137, v144
	s_waitcnt vmcnt(40)
	v_fma_f32 v137, v138, v155, -v132
	ds_read_b128 v[132:135], v1 offset:736
	v_mul_f32_e32 v146, v138, v151
	v_fma_f32 v136, v136, v144, -v150
	s_waitcnt vmcnt(39) lgkmcnt(2)
	v_mul_f32_e32 v138, v2, v156
	v_fmac_f32_e32 v146, v139, v155
	v_mul_f32_e32 v139, v3, v156
	s_waitcnt vmcnt(37) lgkmcnt(1)
	v_mul_f32_e32 v151, v7, v158
	v_mul_f32_e32 v144, v4, v157
	v_mul_f32_e32 v148, v5, v157
	v_mul_f32_e32 v150, v6, v158
	v_fmac_f32_e32 v138, v3, v154
	v_fma_f32 v139, v2, v154, -v139
	s_waitcnt vmcnt(36)
	v_mul_f32_e32 v154, v8, v159
	v_mul_f32_e32 v2, v9, v159
	v_fma_f32 v151, v6, v152, -v151
	v_fmac_f32_e32 v144, v5, v153
	v_fma_f32 v148, v4, v153, -v148
	s_clause 0x3
	buffer_load_dword v153, off, s[0:3], 0 offset:412
	buffer_load_dword v155, off, s[0:3], 0 offset:420
	;; [unrolled: 1-line block ×4, first 2 shown]
	s_waitcnt vmcnt(35) lgkmcnt(0)
	v_mul_f32_e32 v158, v132, v164
	v_mul_f32_e32 v6, v133, v164
	v_fmac_f32_e32 v150, v7, v152
	v_fmac_f32_e32 v154, v9, v163
	v_fma_f32 v152, v8, v163, -v2
	ds_read_b128 v[2:5], v1 offset:752
	s_waitcnt vmcnt(34)
	v_mul_f32_e32 v159, v134, v165
	v_mul_f32_e32 v7, v135, v165
	buffer_load_dword v163, off, s[0:3], 0 offset:444
	v_fmac_f32_e32 v158, v133, v162
	v_fma_f32 v162, v132, v162, -v6
	v_add_f32_e32 v6, 0, v12
	s_clause 0x6
	buffer_load_dword v12, off, s[0:3], 0 offset:452
	buffer_load_dword v164, off, s[0:3], 0 offset:460
	;; [unrolled: 1-line block ×7, first 2 shown]
	v_fmac_f32_e32 v159, v135, v161
	v_fma_f32 v161, v134, v161, -v7
	v_add_f32_e32 v7, 0, v193
	v_add_f32_e32 v6, v6, v141
	v_add_f32_e32 v7, v7, v194
	v_add_f32_e32 v6, v6, v140
	s_waitcnt vmcnt(41) lgkmcnt(0)
	v_mul_f32_e32 v8, v3, v166
	v_add_f32_e32 v7, v7, v195
	s_clause 0x8
	buffer_load_dword v193, off, s[0:3], 0 offset:432
	buffer_load_dword v194, off, s[0:3], 0 offset:424
	;; [unrolled: 1-line block ×9, first 2 shown]
	v_add_f32_e32 v6, v6, v10
	v_add_f32_e32 v7, v7, v142
	v_mul_f32_e32 v10, v2, v166
	v_add_f32_e32 v6, v6, v143
	v_add_f32_e32 v7, v7, v11
	v_fmac_f32_e32 v10, v3, v160
	v_fma_f32 v11, v2, v160, -v8
	v_add_f32_e32 v6, v6, v145
	v_add_f32_e32 v7, v7, v147
	s_waitcnt vmcnt(49)
	v_mul_f32_e32 v145, v4, v167
	v_add_f32_e32 v6, v6, v136
	v_add_f32_e32 v7, v7, v149
	s_waitcnt vmcnt(45)
	v_fmac_f32_e32 v145, v5, v171
	v_add_f32_e32 v2, v6, v137
	v_add_f32_e32 v3, v7, v146
	ds_read_b128 v[6:9], v1 offset:768
	v_add_f32_e32 v132, v2, v139
	v_mul_f32_e32 v2, v5, v167
	v_add_f32_e32 v133, v3, v138
	v_add_f32_e32 v136, v132, v148
	v_fma_f32 v146, v4, v171, -v2
	ds_read_b128 v[2:5], v1 offset:784
	v_add_f32_e32 v137, v133, v144
	ds_read_b128 v[132:135], v1 offset:800
	v_add_f32_e32 v136, v136, v151
	v_add_f32_e32 v137, v137, v150
	;; [unrolled: 1-line block ×3, first 2 shown]
	s_waitcnt vmcnt(44) lgkmcnt(2)
	v_mul_f32_e32 v138, v7, v172
	v_mul_f32_e32 v148, v6, v172
	s_waitcnt vmcnt(43)
	v_mul_f32_e32 v150, v8, v173
	v_fma_f32 v149, v6, v170, -v138
	v_add_f32_e32 v6, v137, v154
	v_fmac_f32_e32 v148, v7, v170
	v_add_f32_e32 v7, v140, v162
	ds_read_b128 v[136:139], v1 offset:816
	s_waitcnt vmcnt(42) lgkmcnt(2)
	v_mul_f32_e32 v141, v3, v174
	v_add_f32_e32 v6, v6, v158
	v_mul_f32_e32 v152, v2, v174
	v_add_f32_e32 v7, v7, v161
	v_mul_f32_e32 v140, v9, v173
	v_fmac_f32_e32 v150, v9, v169
	v_add_f32_e32 v6, v6, v159
	v_fma_f32 v159, v2, v168, -v141
	v_add_f32_e32 v2, v7, v11
	v_fmac_f32_e32 v152, v3, v168
	v_fma_f32 v151, v8, v169, -v140
	v_add_f32_e32 v3, v6, v10
	s_waitcnt vmcnt(40) lgkmcnt(1)
	v_mul_f32_e32 v10, v133, v176
	v_add_f32_e32 v11, v2, v146
	v_mul_f32_e32 v144, v5, v175
	v_mul_f32_e32 v154, v4, v175
	v_mul_f32_e32 v158, v132, v176
	s_waitcnt vmcnt(35)
	v_fma_f32 v161, v132, v181, -v10
	v_add_f32_e32 v10, v3, v145
	v_add_f32_e32 v11, v11, v149
	s_waitcnt vmcnt(34)
	v_fma_f32 v160, v4, v182, -v144
	ds_read_b128 v[6:9], v1 offset:832
	ds_read_b128 v[140:143], v1 offset:848
	v_fmac_f32_e32 v154, v5, v182
	v_add_f32_e32 v10, v10, v148
	v_add_f32_e32 v11, v11, v151
	v_mul_f32_e32 v132, v135, v177
	v_fmac_f32_e32 v158, v133, v181
	v_mul_f32_e32 v162, v134, v177
	v_add_f32_e32 v10, v10, v150
	v_add_f32_e32 v159, v11, v159
	s_waitcnt lgkmcnt(2)
	v_mul_f32_e32 v133, v137, v178
	v_fma_f32 v169, v134, v180, -v132
	v_mul_f32_e32 v166, v136, v178
	v_add_f32_e32 v152, v10, v152
	v_add_f32_e32 v159, v159, v160
	v_fmac_f32_e32 v162, v135, v180
	s_waitcnt vmcnt(33)
	v_mul_f32_e32 v168, v139, v183
	v_fma_f32 v170, v136, v179, -v133
	v_add_f32_e32 v152, v152, v154
	v_add_f32_e32 v159, v159, v161
	v_mul_f32_e32 v167, v138, v183
	v_fmac_f32_e32 v166, v137, v179
	s_waitcnt vmcnt(26)
	v_fma_f32 v168, v138, v190, -v168
	v_add_f32_e32 v152, v152, v158
	v_add_f32_e32 v159, v159, v169
	s_waitcnt lgkmcnt(1)
	v_mul_f32_e32 v171, v7, v184
	ds_read_b128 v[2:5], v1 offset:864
	ds_read_b128 v[144:147], v1 offset:880
	v_fmac_f32_e32 v167, v139, v190
	v_add_f32_e32 v152, v152, v162
	v_add_f32_e32 v159, v159, v170
	v_mul_f32_e32 v160, v6, v184
	v_mul_f32_e32 v172, v9, v185
	v_fma_f32 v6, v6, v189, -v171
	v_add_f32_e32 v152, v152, v166
	v_add_f32_e32 v159, v159, v168
	v_mul_f32_e32 v154, v8, v185
	v_fmac_f32_e32 v160, v7, v189
	s_waitcnt lgkmcnt(2)
	v_mul_f32_e32 v171, v141, v186
	v_add_f32_e32 v152, v152, v167
	v_fma_f32 v8, v8, v188, -v172
	v_add_f32_e32 v6, v159, v6
	v_mul_f32_e32 v161, v140, v186
	v_fmac_f32_e32 v154, v9, v188
	v_add_f32_e32 v152, v152, v160
	v_fma_f32 v140, v140, v187, -v171
	v_add_f32_e32 v6, v6, v8
	v_fmac_f32_e32 v161, v141, v187
	ds_read_b128 v[132:135], v1 offset:896
	ds_read_b128 v[148:151], v1 offset:912
	v_add_f32_e32 v8, v152, v154
	ds_read_b128 v[136:139], v1 offset:928
	ds_read_b64 v[10:11], v1 offset:944
	v_add_f32_e32 v6, v6, v140
	v_add_f32_e32 v8, v8, v161
	s_waitcnt vmcnt(24)
	v_mul_f32_e32 v167, v143, v192
	v_mul_f32_e32 v158, v142, v192
	s_waitcnt vmcnt(23) lgkmcnt(5)
	v_mul_f32_e32 v7, v2, v196
	v_mul_f32_e32 v141, v3, v196
	s_waitcnt vmcnt(22)
	v_mul_f32_e32 v140, v5, v197
	v_mul_f32_e32 v169, v4, v197
	s_waitcnt vmcnt(21) lgkmcnt(4)
	v_mul_f32_e32 v162, v144, v198
	s_waitcnt vmcnt(20)
	v_mul_f32_e32 v9, v146, v153
	s_waitcnt vmcnt(19) lgkmcnt(3)
	v_mul_f32_e32 v172, v132, v155
	s_waitcnt vmcnt(18)
	v_mul_f32_e32 v166, v134, v156
	s_waitcnt vmcnt(17) lgkmcnt(2)
	v_mul_f32_e32 v170, v148, v157
	s_waitcnt vmcnt(16)
	v_mul_f32_e32 v173, v150, v163
	s_waitcnt vmcnt(12)
	v_fmac_f32_e32 v162, v145, v199
	s_waitcnt vmcnt(11)
	v_fma_f32 v4, v4, v200, -v140
	s_waitcnt vmcnt(10)
	v_fmac_f32_e32 v7, v3, v201
	s_waitcnt vmcnt(9)
	v_fma_f32 v142, v142, v202, -v167
	v_fmac_f32_e32 v158, v143, v202
	v_fma_f32 v2, v2, v201, -v141
	v_fmac_f32_e32 v169, v5, v200
	v_mul_f32_e32 v5, v147, v153
	v_add_f32_e32 v3, v6, v142
	v_add_f32_e32 v6, v8, v158
	v_mul_f32_e32 v8, v145, v198
	s_waitcnt lgkmcnt(1)
	v_mul_f32_e32 v168, v136, v12
	v_mul_f32_e32 v174, v138, v164
	v_add_f32_e32 v2, v3, v2
	v_add_f32_e32 v3, v6, v7
	v_fma_f32 v6, v144, v199, -v8
	s_waitcnt vmcnt(6)
	v_fmac_f32_e32 v172, v133, v195
	s_waitcnt vmcnt(5)
	v_fma_f32 v5, v146, v203, -v5
	v_add_f32_e32 v2, v2, v4
	v_add_f32_e32 v3, v3, v169
	v_mul_f32_e32 v4, v133, v155
	v_fmac_f32_e32 v9, v147, v203
	v_fmac_f32_e32 v166, v135, v194
	v_add_f32_e32 v2, v2, v6
	v_add_f32_e32 v3, v3, v162
	v_mul_f32_e32 v6, v135, v156
	v_fma_f32 v4, v132, v195, -v4
	v_fmac_f32_e32 v170, v149, v193
	v_add_f32_e32 v2, v2, v5
	v_add_f32_e32 v3, v3, v9
	v_mul_f32_e32 v5, v149, v157
	v_fma_f32 v6, v134, v194, -v6
	s_waitcnt vmcnt(1)
	v_fmac_f32_e32 v173, v151, v207
	v_add_f32_e32 v2, v2, v4
	v_add_f32_e32 v3, v3, v172
	v_mul_f32_e32 v4, v151, v163
	v_fma_f32 v5, v148, v193, -v5
	v_fmac_f32_e32 v168, v137, v206
	v_add_f32_e32 v2, v2, v6
	v_add_f32_e32 v3, v3, v166
	v_mul_f32_e32 v6, v137, v12
	v_fma_f32 v4, v150, v207, -v4
	s_waitcnt lgkmcnt(0)
	v_mul_f32_e32 v159, v10, v165
	v_add_f32_e32 v2, v2, v5
	v_add_f32_e32 v3, v3, v170
	v_mul_f32_e32 v5, v139, v164
	v_fma_f32 v6, v136, v206, -v6
	v_fmac_f32_e32 v174, v139, v205
	v_add_f32_e32 v2, v2, v4
	v_add_f32_e32 v3, v3, v173
	v_mul_f32_e32 v4, v11, v165
	v_fma_f32 v5, v138, v205, -v5
	v_fmac_f32_e32 v159, v11, v204
	v_add_f32_e32 v2, v2, v6
	v_add_f32_e32 v3, v3, v168
	v_fma_f32 v4, v10, v204, -v4
	v_add_f32_e32 v2, v2, v5
	v_add_f32_e32 v3, v3, v174
	;; [unrolled: 1-line block ×4, first 2 shown]
	s_waitcnt vmcnt(0)
	v_sub_f32_e32 v2, v208, v2
	v_sub_f32_e32 v3, v191, v3
	buffer_store_dword v2, off, s[0:3], 0 offset:152
	buffer_store_dword v3, off, s[0:3], 0 offset:156
	v_cmpx_lt_u32_e32 18, v0
	s_cbranch_execz .LBB58_331
; %bb.330:
	s_clause 0x1
	buffer_load_dword v2, off, s[0:3], 0 offset:144
	buffer_load_dword v3, off, s[0:3], 0 offset:148
	buffer_store_dword v1, off, s[0:3], 0 offset:144
	buffer_store_dword v1, off, s[0:3], 0 offset:148
	s_waitcnt vmcnt(0)
	ds_write_b64 v131, v[2:3]
.LBB58_331:
	s_or_b32 exec_lo, exec_lo, s4
	s_waitcnt lgkmcnt(0)
	s_waitcnt_vscnt null, 0x0
	s_barrier
	buffer_gl0_inv
	s_clause 0x23
	buffer_load_dword v10, off, s[0:3], 0 offset:156
	buffer_load_dword v11, off, s[0:3], 0 offset:164
	;; [unrolled: 1-line block ×36, first 2 shown]
	ds_read2_b64 v[2:5], v1 offset0:79 offset1:80
	s_clause 0x1
	buffer_load_dword v181, off, s[0:3], 0 offset:292
	buffer_load_dword v182, off, s[0:3], 0 offset:300
	ds_read2_b64 v[6:9], v1 offset0:81 offset1:82
	ds_read2_b64 v[132:135], v1 offset0:83 offset1:84
	s_clause 0x7
	buffer_load_dword v183, off, s[0:3], 0 offset:308
	buffer_load_dword v184, off, s[0:3], 0 offset:316
	;; [unrolled: 1-line block ×8, first 2 shown]
	ds_read2_b64 v[136:139], v1 offset0:85 offset1:86
	ds_read2_b64 v[140:143], v1 offset0:87 offset1:88
	;; [unrolled: 1-line block ×3, first 2 shown]
	buffer_load_dword v193, off, s[0:3], 0 offset:148
	s_mov_b32 s4, exec_lo
	s_waitcnt vmcnt(46) lgkmcnt(5)
	v_mul_f32_e32 v191, v3, v10
	v_mul_f32_e32 v10, v2, v10
	s_waitcnt vmcnt(45)
	v_mul_f32_e32 v192, v4, v11
	v_mul_f32_e32 v11, v5, v11
	s_waitcnt vmcnt(42)
	v_fma_f32 v191, v2, v149, -v191
	v_fmac_f32_e32 v10, v3, v149
	v_fmac_f32_e32 v192, v5, v148
	v_fma_f32 v11, v4, v148, -v11
	s_waitcnt vmcnt(41) lgkmcnt(4)
	v_mul_f32_e32 v148, v6, v150
	v_mul_f32_e32 v149, v7, v150
	s_waitcnt vmcnt(40)
	v_mul_f32_e32 v150, v8, v151
	v_mul_f32_e32 v151, v9, v151
	s_waitcnt vmcnt(39) lgkmcnt(3)
	v_mul_f32_e32 v194, v132, v152
	v_mul_f32_e32 v152, v133, v152
	v_fmac_f32_e32 v148, v7, v12
	v_fma_f32 v12, v6, v12, -v149
	s_waitcnt vmcnt(38)
	v_mul_f32_e32 v149, v134, v153
	v_mul_f32_e32 v6, v135, v153
	ds_read2_b64 v[2:5], v1 offset0:91 offset1:92
	s_waitcnt vmcnt(34)
	v_fmac_f32_e32 v150, v9, v157
	v_fma_f32 v151, v8, v157, -v151
	v_fmac_f32_e32 v194, v133, v156
	v_fma_f32 v132, v132, v156, -v152
	;; [unrolled: 2-line block ×3, first 2 shown]
	s_clause 0x7
	buffer_load_dword v152, off, s[0:3], 0 offset:340
	buffer_load_dword v153, off, s[0:3], 0 offset:348
	;; [unrolled: 1-line block ×8, first 2 shown]
	s_waitcnt vmcnt(41) lgkmcnt(3)
	v_mul_f32_e32 v6, v137, v158
	s_waitcnt vmcnt(40)
	v_mul_f32_e32 v7, v139, v159
	v_mul_f32_e32 v134, v136, v158
	;; [unrolled: 1-line block ×3, first 2 shown]
	s_waitcnt vmcnt(39) lgkmcnt(2)
	v_mul_f32_e32 v158, v140, v160
	v_fma_f32 v136, v136, v154, -v6
	s_waitcnt vmcnt(34)
	v_fma_f32 v138, v138, v165, -v7
	ds_read2_b64 v[6:9], v1 offset0:93 offset1:94
	v_mul_f32_e32 v159, v141, v160
	v_fmac_f32_e32 v134, v137, v154
	v_mul_f32_e32 v137, v142, v161
	v_mul_f32_e32 v154, v143, v161
	v_fmac_f32_e32 v135, v139, v165
	v_fmac_f32_e32 v158, v141, v164
	v_fma_f32 v139, v140, v164, -v159
	v_fmac_f32_e32 v137, v143, v163
	v_fma_f32 v140, v142, v163, -v154
	s_waitcnt vmcnt(33) lgkmcnt(2)
	v_mul_f32_e32 v141, v144, v166
	v_mul_f32_e32 v142, v145, v166
	s_waitcnt vmcnt(32)
	v_mul_f32_e32 v143, v146, v167
	s_waitcnt vmcnt(31) lgkmcnt(1)
	v_mul_f32_e32 v164, v2, v168
	v_mul_f32_e32 v165, v3, v168
	;; [unrolled: 1-line block ×3, first 2 shown]
	v_fmac_f32_e32 v141, v145, v162
	v_fma_f32 v142, v144, v162, -v142
	s_waitcnt vmcnt(30)
	v_mul_f32_e32 v144, v4, v169
	v_mul_f32_e32 v145, v5, v169
	s_waitcnt vmcnt(26)
	v_fmac_f32_e32 v143, v147, v173
	v_fmac_f32_e32 v164, v3, v172
	v_fma_f32 v147, v2, v172, -v165
	s_waitcnt vmcnt(25) lgkmcnt(0)
	v_mul_f32_e32 v172, v6, v174
	v_mul_f32_e32 v2, v7, v174
	v_add_f32_e32 v3, 0, v191
	s_clause 0x3
	buffer_load_dword v154, off, s[0:3], 0 offset:372
	buffer_load_dword v159, off, s[0:3], 0 offset:380
	;; [unrolled: 1-line block ×4, first 2 shown]
	v_fma_f32 v146, v146, v173, -v163
	s_clause 0x3
	buffer_load_dword v162, off, s[0:3], 0 offset:404
	buffer_load_dword v163, off, s[0:3], 0 offset:412
	;; [unrolled: 1-line block ×4, first 2 shown]
	v_fmac_f32_e32 v144, v5, v171
	v_fma_f32 v145, v4, v171, -v145
	s_clause 0x3
	buffer_load_dword v165, off, s[0:3], 0 offset:436
	buffer_load_dword v168, off, s[0:3], 0 offset:444
	;; [unrolled: 1-line block ×4, first 2 shown]
	v_add_f32_e32 v4, 0, v10
	buffer_load_dword v10, off, s[0:3], 0 offset:468
	v_fmac_f32_e32 v172, v7, v170
	v_fma_f32 v170, v6, v170, -v2
	v_add_f32_e32 v2, v3, v11
	s_clause 0x3
	buffer_load_dword v11, off, s[0:3], 0 offset:392
	buffer_load_dword v173, off, s[0:3], 0 offset:384
	;; [unrolled: 1-line block ×4, first 2 shown]
	v_add_f32_e32 v6, v4, v192
	v_add_f32_e32 v7, v2, v12
	s_waitcnt vmcnt(41)
	v_mul_f32_e32 v2, v9, v175
	v_mul_f32_e32 v12, v8, v175
	v_add_f32_e32 v6, v6, v148
	v_add_f32_e32 v7, v7, v151
	s_waitcnt vmcnt(37)
	v_fma_f32 v175, v8, v179, -v2
	ds_read2_b64 v[2:5], v1 offset0:95 offset1:96
	v_fmac_f32_e32 v12, v9, v179
	s_clause 0x3
	buffer_load_dword v179, off, s[0:3], 0 offset:424
	buffer_load_dword v192, off, s[0:3], 0 offset:416
	;; [unrolled: 1-line block ×4, first 2 shown]
	v_add_f32_e32 v7, v7, v132
	v_add_f32_e32 v6, v6, v150
	;; [unrolled: 1-line block ×6, first 2 shown]
	ds_read2_b64 v[6:9], v1 offset0:97 offset1:98
	v_add_f32_e32 v133, v133, v134
	s_waitcnt vmcnt(40) lgkmcnt(1)
	v_mul_f32_e32 v148, v2, v180
	v_mul_f32_e32 v136, v3, v180
	s_waitcnt vmcnt(39)
	v_mul_f32_e32 v150, v4, v181
	v_fmac_f32_e32 v148, v3, v178
	v_fma_f32 v149, v2, v178, -v136
	s_clause 0x4
	buffer_load_dword v178, off, s[0:3], 0 offset:456
	buffer_load_dword v180, off, s[0:3], 0 offset:448
	;; [unrolled: 1-line block ×5, first 2 shown]
	v_add_f32_e32 v3, v133, v135
	v_add_f32_e32 v2, v132, v138
	v_mul_f32_e32 v132, v5, v181
	v_fmac_f32_e32 v150, v5, v177
	v_add_f32_e32 v3, v3, v158
	buffer_load_dword v158, off, s[0:3], 0 offset:144
	v_add_f32_e32 v2, v2, v139
	v_fma_f32 v151, v4, v177, -v132
	s_waitcnt vmcnt(44) lgkmcnt(0)
	v_mul_f32_e32 v177, v6, v182
	v_add_f32_e32 v133, v3, v137
	v_mul_f32_e32 v138, v7, v182
	v_add_f32_e32 v2, v2, v140
	s_waitcnt vmcnt(43)
	v_mul_f32_e32 v181, v8, v183
	v_mul_f32_e32 v139, v9, v183
	v_add_f32_e32 v137, v133, v141
	ds_read2_b64 v[132:135], v1 offset0:101 offset1:102
	v_add_f32_e32 v136, v2, v142
	ds_read2_b64 v[2:5], v1 offset0:99 offset1:100
	v_fmac_f32_e32 v177, v7, v176
	v_add_f32_e32 v137, v137, v143
	v_fma_f32 v176, v6, v176, -v138
	v_add_f32_e32 v136, v136, v146
	s_waitcnt vmcnt(36)
	v_fmac_f32_e32 v181, v9, v190
	v_fma_f32 v182, v8, v190, -v139
	v_add_f32_e32 v141, v137, v164
	v_add_f32_e32 v140, v136, v147
	ds_read2_b64 v[6:9], v1 offset0:103 offset1:104
	ds_read2_b64 v[136:139], v1 offset0:105 offset1:106
	v_add_f32_e32 v141, v141, v144
	v_add_f32_e32 v140, v140, v145
	;; [unrolled: 1-line block ×3, first 2 shown]
	s_waitcnt lgkmcnt(3)
	v_mul_f32_e32 v144, v133, v186
	v_add_f32_e32 v140, v140, v170
	v_mul_f32_e32 v170, v132, v186
	s_waitcnt lgkmcnt(2)
	v_mul_f32_e32 v142, v3, v184
	v_add_f32_e32 v12, v141, v12
	v_mul_f32_e32 v164, v2, v184
	v_add_f32_e32 v145, v140, v175
	v_mul_f32_e32 v143, v5, v185
	v_fma_f32 v184, v2, v189, -v142
	v_add_f32_e32 v12, v12, v148
	v_mul_f32_e32 v183, v4, v185
	v_add_f32_e32 v149, v145, v149
	v_fmac_f32_e32 v164, v3, v189
	v_fma_f32 v185, v4, v188, -v143
	v_add_f32_e32 v12, v12, v150
	v_fmac_f32_e32 v183, v5, v188
	v_add_f32_e32 v148, v149, v151
	v_fmac_f32_e32 v170, v133, v187
	ds_read2_b64 v[2:5], v1 offset0:107 offset1:108
	ds_read2_b64 v[140:143], v1 offset0:109 offset1:110
	v_add_f32_e32 v12, v12, v177
	v_add_f32_e32 v12, v12, v181
	;; [unrolled: 1-line block ×5, first 2 shown]
	s_waitcnt vmcnt(34)
	v_mul_f32_e32 v172, v134, v152
	s_waitcnt vmcnt(33) lgkmcnt(3)
	v_mul_f32_e32 v186, v6, v153
	v_mul_f32_e32 v149, v7, v153
	v_mul_f32_e32 v146, v135, v152
	v_fma_f32 v152, v132, v187, -v144
	s_waitcnt vmcnt(32)
	v_mul_f32_e32 v187, v8, v155
	s_waitcnt vmcnt(28)
	v_fmac_f32_e32 v186, v7, v196
	v_add_f32_e32 v7, v148, v176
	s_waitcnt vmcnt(27)
	v_fma_f32 v175, v134, v197, -v146
	v_fmac_f32_e32 v172, v135, v197
	v_mul_f32_e32 v150, v9, v155
	v_fma_f32 v153, v6, v196, -v149
	v_add_f32_e32 v176, v7, v182
	ds_read2_b64 v[132:135], v1 offset0:111 offset1:112
	ds_read2_b64 v[144:147], v1 offset0:113 offset1:114
	v_add_f32_e32 v12, v12, v172
	v_fmac_f32_e32 v187, v9, v195
	v_fma_f32 v155, v8, v195, -v150
	v_add_f32_e32 v176, v176, v184
	ds_read2_b64 v[6:9], v1 offset0:115 offset1:116
	ds_read2_b64 v[148:151], v1 offset0:117 offset1:118
	s_waitcnt lgkmcnt(6)
	v_mul_f32_e32 v1, v136, v156
	v_mul_f32_e32 v156, v137, v156
	v_add_f32_e32 v12, v12, v186
	v_add_f32_e32 v176, v176, v185
	v_fmac_f32_e32 v1, v137, v157
	v_fma_f32 v136, v136, v157, -v156
	v_add_f32_e32 v12, v12, v187
	v_add_f32_e32 v152, v176, v152
	;; [unrolled: 1-line block ×5, first 2 shown]
	s_waitcnt vmcnt(26)
	v_mul_f32_e32 v164, v138, v154
	v_mul_f32_e32 v154, v139, v154
	s_waitcnt vmcnt(25) lgkmcnt(5)
	v_mul_f32_e32 v177, v2, v159
	s_waitcnt vmcnt(24)
	v_mul_f32_e32 v12, v5, v160
	v_add_f32_e32 v152, v152, v155
	v_mul_f32_e32 v155, v3, v159
	v_mul_f32_e32 v181, v4, v160
	s_waitcnt vmcnt(23) lgkmcnt(4)
	v_mul_f32_e32 v182, v140, v161
	s_waitcnt vmcnt(22)
	v_mul_f32_e32 v176, v142, v162
	v_add_f32_e32 v136, v152, v136
	s_waitcnt vmcnt(21) lgkmcnt(3)
	v_mul_f32_e32 v170, v132, v163
	s_waitcnt vmcnt(20)
	v_mul_f32_e32 v183, v134, v166
	s_waitcnt vmcnt(12)
	v_fma_f32 v4, v4, v173, -v12
	s_waitcnt vmcnt(11)
	v_fmac_f32_e32 v177, v3, v174
	s_waitcnt vmcnt(10)
	v_fma_f32 v138, v138, v191, -v154
	v_fmac_f32_e32 v164, v139, v191
	v_fma_f32 v2, v2, v174, -v155
	v_fmac_f32_e32 v181, v5, v173
	v_fmac_f32_e32 v182, v141, v11
	v_add_f32_e32 v3, v136, v138
	v_add_f32_e32 v1, v1, v164
	v_mul_f32_e32 v136, v141, v161
	s_waitcnt lgkmcnt(2)
	v_mul_f32_e32 v175, v144, v167
	v_mul_f32_e32 v172, v146, v165
	v_add_f32_e32 v2, v3, v2
	v_add_f32_e32 v1, v1, v177
	v_mul_f32_e32 v3, v143, v162
	v_fma_f32 v5, v140, v11, -v136
	s_waitcnt vmcnt(6)
	v_fmac_f32_e32 v176, v143, v199
	v_add_f32_e32 v2, v2, v4
	v_add_f32_e32 v1, v1, v181
	v_mul_f32_e32 v4, v133, v163
	v_fma_f32 v3, v142, v199, -v3
	v_fmac_f32_e32 v170, v133, v198
	v_add_f32_e32 v2, v2, v5
	v_add_f32_e32 v1, v1, v182
	v_mul_f32_e32 v5, v135, v166
	v_fma_f32 v4, v132, v198, -v4
	;; [unrolled: 5-line block ×4, first 2 shown]
	s_waitcnt lgkmcnt(1)
	v_mul_f32_e32 v184, v6, v168
	v_add_f32_e32 v2, v2, v5
	v_add_f32_e32 v1, v1, v183
	v_mul_f32_e32 v5, v7, v168
	s_waitcnt vmcnt(2)
	v_fma_f32 v4, v146, v200, -v4
	v_fmac_f32_e32 v172, v147, v200
	v_add_f32_e32 v2, v2, v3
	v_add_f32_e32 v1, v1, v175
	v_mul_f32_e32 v3, v9, v169
	v_fma_f32 v5, v6, v194, -v5
	v_mul_f32_e32 v153, v8, v169
	v_add_f32_e32 v2, v2, v4
	v_fmac_f32_e32 v184, v7, v194
	v_add_f32_e32 v1, v1, v172
	s_waitcnt lgkmcnt(0)
	v_mul_f32_e32 v4, v149, v171
	v_fma_f32 v3, v8, v180, -v3
	v_add_f32_e32 v2, v2, v5
	v_mul_f32_e32 v185, v148, v171
	v_fmac_f32_e32 v153, v9, v180
	v_add_f32_e32 v1, v1, v184
	v_mul_f32_e32 v5, v151, v10
	v_fma_f32 v4, v148, v178, -v4
	v_add_f32_e32 v2, v2, v3
	v_mul_f32_e32 v137, v150, v10
	v_fmac_f32_e32 v185, v149, v178
	v_add_f32_e32 v1, v1, v153
	s_waitcnt vmcnt(1)
	v_fma_f32 v3, v150, v201, -v5
	v_add_f32_e32 v2, v2, v4
	v_fmac_f32_e32 v137, v151, v201
	v_add_f32_e32 v1, v1, v185
	v_add_f32_e32 v2, v2, v3
	v_add_f32_e32 v1, v1, v137
	s_waitcnt vmcnt(0)
	v_sub_f32_e32 v2, v158, v2
	v_sub_f32_e32 v1, v193, v1
	buffer_store_dword v2, off, s[0:3], 0 offset:144
	buffer_store_dword v1, off, s[0:3], 0 offset:148
	v_cmpx_lt_u32_e32 17, v0
	s_cbranch_execz .LBB58_333
; %bb.332:
	s_clause 0x1
	buffer_load_dword v1, off, s[0:3], 0 offset:136
	buffer_load_dword v2, off, s[0:3], 0 offset:140
	v_mov_b32_e32 v3, 0
	buffer_store_dword v3, off, s[0:3], 0 offset:136
	buffer_store_dword v3, off, s[0:3], 0 offset:140
	s_waitcnt vmcnt(0)
	ds_write_b64 v131, v[1:2]
.LBB58_333:
	s_or_b32 exec_lo, exec_lo, s4
	s_waitcnt lgkmcnt(0)
	s_waitcnt_vscnt null, 0x0
	s_barrier
	buffer_gl0_inv
	s_clause 0x23
	buffer_load_dword v3, off, s[0:3], 0 offset:148
	buffer_load_dword v2, off, s[0:3], 0 offset:156
	;; [unrolled: 1-line block ×36, first 2 shown]
	v_mov_b32_e32 v1, 0
	s_mov_b32 s4, exec_lo
	ds_read_b128 v[4:7], v1 offset:624
	s_clause 0x1
	buffer_load_dword v181, off, s[0:3], 0 offset:284
	buffer_load_dword v182, off, s[0:3], 0 offset:292
	ds_read_b128 v[8:11], v1 offset:640
	s_clause 0x8
	buffer_load_dword v183, off, s[0:3], 0 offset:300
	buffer_load_dword v184, off, s[0:3], 0 offset:308
	buffer_load_dword v185, off, s[0:3], 0 offset:316
	buffer_load_dword v186, off, s[0:3], 0 offset:324
	buffer_load_dword v187, off, s[0:3], 0 offset:320
	buffer_load_dword v188, off, s[0:3], 0 offset:312
	buffer_load_dword v189, off, s[0:3], 0 offset:304
	buffer_load_dword v190, off, s[0:3], 0 offset:296
	buffer_load_dword v191, off, s[0:3], 0 offset:332
	ds_read_b128 v[132:135], v1 offset:656
	ds_read_b128 v[136:139], v1 offset:672
	buffer_load_dword v192, off, s[0:3], 0 offset:140
	ds_read_b128 v[140:143], v1 offset:688
	ds_read_b128 v[144:147], v1 offset:704
	s_waitcnt vmcnt(47) lgkmcnt(5)
	v_mul_f32_e32 v193, v5, v3
	v_mul_f32_e32 v194, v4, v3
	s_waitcnt vmcnt(46)
	v_mul_f32_e32 v195, v6, v2
	v_mul_f32_e32 v2, v7, v2
	s_waitcnt vmcnt(43)
	v_fma_f32 v193, v4, v149, -v193
	v_fmac_f32_e32 v194, v5, v149
	s_waitcnt vmcnt(42) lgkmcnt(4)
	v_mul_f32_e32 v149, v8, v150
	v_mul_f32_e32 v150, v9, v150
	v_fmac_f32_e32 v195, v7, v148
	v_fma_f32 v148, v6, v148, -v2
	s_waitcnt vmcnt(41)
	v_mul_f32_e32 v196, v10, v151
	v_mul_f32_e32 v6, v11, v151
	v_fmac_f32_e32 v149, v9, v12
	v_fma_f32 v12, v8, v12, -v150
	s_waitcnt vmcnt(40) lgkmcnt(3)
	v_mul_f32_e32 v150, v132, v152
	v_mul_f32_e32 v7, v133, v152
	s_waitcnt vmcnt(36)
	v_fmac_f32_e32 v196, v11, v156
	v_fma_f32 v10, v10, v156, -v6
	s_waitcnt vmcnt(35)
	v_mul_f32_e32 v11, v134, v157
	v_mul_f32_e32 v6, v135, v157
	ds_read_b128 v[2:5], v1 offset:720
	s_waitcnt vmcnt(34) lgkmcnt(3)
	v_mul_f32_e32 v151, v136, v158
	v_mul_f32_e32 v8, v137, v158
	s_waitcnt vmcnt(33)
	v_mul_f32_e32 v152, v138, v159
	v_mul_f32_e32 v9, v139, v159
	v_fmac_f32_e32 v150, v133, v155
	v_fma_f32 v132, v132, v155, -v7
	v_fmac_f32_e32 v11, v135, v154
	v_fma_f32 v133, v134, v154, -v6
	s_clause 0x6
	buffer_load_dword v154, off, s[0:3], 0 offset:340
	buffer_load_dword v155, off, s[0:3], 0 offset:348
	;; [unrolled: 1-line block ×7, first 2 shown]
	v_fma_f32 v134, v136, v153, -v8
	s_waitcnt vmcnt(36)
	v_fma_f32 v135, v138, v163, -v9
	ds_read_b128 v[6:9], v1 offset:736
	v_fmac_f32_e32 v151, v137, v153
	v_fmac_f32_e32 v152, v139, v163
	s_waitcnt vmcnt(35) lgkmcnt(3)
	v_mul_f32_e32 v137, v141, v164
	s_waitcnt vmcnt(34)
	v_mul_f32_e32 v138, v142, v165
	v_mul_f32_e32 v139, v143, v165
	;; [unrolled: 1-line block ×3, first 2 shown]
	s_waitcnt vmcnt(33) lgkmcnt(2)
	v_mul_f32_e32 v153, v144, v166
	v_mul_f32_e32 v163, v145, v166
	v_fma_f32 v137, v140, v162, -v137
	s_waitcnt vmcnt(32)
	v_mul_f32_e32 v140, v146, v167
	v_fmac_f32_e32 v138, v143, v161
	v_fma_f32 v139, v142, v161, -v139
	s_waitcnt vmcnt(31) lgkmcnt(1)
	v_mul_f32_e32 v142, v2, v168
	v_mul_f32_e32 v143, v3, v168
	v_fmac_f32_e32 v136, v141, v162
	v_mul_f32_e32 v141, v147, v167
	v_fmac_f32_e32 v153, v145, v160
	v_fma_f32 v144, v144, v160, -v163
	s_waitcnt vmcnt(27)
	v_fmac_f32_e32 v140, v147, v172
	s_clause 0x7
	buffer_load_dword v160, off, s[0:3], 0 offset:364
	buffer_load_dword v161, off, s[0:3], 0 offset:372
	;; [unrolled: 1-line block ×8, first 2 shown]
	v_fmac_f32_e32 v142, v3, v171
	v_fma_f32 v143, v2, v171, -v143
	s_waitcnt vmcnt(33) lgkmcnt(0)
	v_mul_f32_e32 v147, v6, v174
	v_mul_f32_e32 v2, v7, v174
	v_add_f32_e32 v3, 0, v193
	v_fma_f32 v141, v146, v172, -v141
	v_mul_f32_e32 v145, v4, v173
	v_fmac_f32_e32 v147, v7, v169
	v_fma_f32 v169, v6, v169, -v2
	v_add_f32_e32 v2, 0, v194
	v_add_f32_e32 v3, v3, v148
	v_mul_f32_e32 v146, v5, v173
	s_clause 0x1
	buffer_load_dword v168, off, s[0:3], 0 offset:396
	buffer_load_dword v171, off, s[0:3], 0 offset:404
	v_fmac_f32_e32 v145, v5, v170
	v_add_f32_e32 v2, v2, v195
	v_add_f32_e32 v6, v3, v12
	s_waitcnt vmcnt(34)
	v_mul_f32_e32 v3, v9, v175
	v_fma_f32 v146, v4, v170, -v146
	s_clause 0x5
	buffer_load_dword v170, off, s[0:3], 0 offset:412
	buffer_load_dword v172, off, s[0:3], 0 offset:420
	;; [unrolled: 1-line block ×6, first 2 shown]
	v_mul_f32_e32 v12, v8, v175
	v_add_f32_e32 v7, v2, v149
	s_waitcnt vmcnt(36)
	v_fma_f32 v148, v8, v179, -v3
	ds_read_b128 v[2:5], v1 offset:752
	s_clause 0x1
	buffer_load_dword v195, off, s[0:3], 0 offset:460
	buffer_load_dword v175, off, s[0:3], 0 offset:468
	v_fmac_f32_e32 v12, v9, v179
	v_add_f32_e32 v7, v7, v196
	s_clause 0x3
	buffer_load_dword v179, off, s[0:3], 0 offset:416
	buffer_load_dword v196, off, s[0:3], 0 offset:408
	;; [unrolled: 1-line block ×4, first 2 shown]
	v_add_f32_e32 v6, v6, v10
	v_add_f32_e32 v7, v7, v150
	;; [unrolled: 1-line block ×6, first 2 shown]
	s_waitcnt vmcnt(41) lgkmcnt(0)
	v_mul_f32_e32 v149, v2, v180
	v_mul_f32_e32 v132, v3, v180
	v_add_f32_e32 v11, v6, v134
	ds_read_b128 v[6:9], v1 offset:768
	v_fmac_f32_e32 v149, v3, v178
	v_fma_f32 v150, v2, v178, -v132
	v_add_f32_e32 v2, v10, v152
	s_clause 0x6
	buffer_load_dword v152, off, s[0:3], 0 offset:448
	buffer_load_dword v178, off, s[0:3], 0 offset:440
	;; [unrolled: 1-line block ×7, first 2 shown]
	v_add_f32_e32 v11, v11, v135
	v_add_f32_e32 v2, v2, v136
	s_waitcnt vmcnt(47)
	v_mul_f32_e32 v10, v4, v181
	v_add_f32_e32 v3, v11, v137
	v_add_f32_e32 v2, v2, v138
	v_mul_f32_e32 v11, v5, v181
	v_fmac_f32_e32 v10, v5, v177
	v_add_f32_e32 v3, v3, v139
	v_add_f32_e32 v132, v2, v153
	s_waitcnt vmcnt(46) lgkmcnt(0)
	v_mul_f32_e32 v151, v6, v182
	v_mul_f32_e32 v138, v7, v182
	s_waitcnt vmcnt(45)
	v_mul_f32_e32 v153, v8, v183
	v_add_f32_e32 v3, v3, v144
	v_add_f32_e32 v137, v132, v140
	v_mul_f32_e32 v139, v9, v183
	v_fma_f32 v11, v4, v177, -v11
	ds_read_b128 v[132:135], v1 offset:800
	v_add_f32_e32 v136, v3, v141
	v_add_f32_e32 v137, v137, v142
	ds_read_b128 v[2:5], v1 offset:784
	v_fmac_f32_e32 v151, v7, v176
	v_fma_f32 v176, v6, v176, -v138
	v_add_f32_e32 v136, v136, v143
	v_add_f32_e32 v141, v137, v145
	s_waitcnt vmcnt(38)
	v_fmac_f32_e32 v153, v9, v190
	v_fma_f32 v177, v8, v190, -v139
	v_add_f32_e32 v140, v136, v146
	ds_read_b128 v[6:9], v1 offset:816
	ds_read_b128 v[136:139], v1 offset:832
	v_add_f32_e32 v141, v141, v147
	v_add_f32_e32 v140, v140, v169
	;; [unrolled: 1-line block ×3, first 2 shown]
	s_waitcnt lgkmcnt(3)
	v_mul_f32_e32 v144, v133, v186
	v_add_f32_e32 v140, v140, v148
	v_mul_f32_e32 v182, v132, v186
	v_add_f32_e32 v12, v12, v149
	s_waitcnt lgkmcnt(2)
	v_mul_f32_e32 v142, v3, v184
	v_mul_f32_e32 v169, v2, v184
	v_add_f32_e32 v145, v140, v150
	v_mul_f32_e32 v143, v5, v185
	v_add_f32_e32 v10, v12, v10
	v_fma_f32 v148, v2, v189, -v142
	v_mul_f32_e32 v181, v4, v185
	v_add_f32_e32 v11, v145, v11
	v_fmac_f32_e32 v169, v3, v189
	v_add_f32_e32 v10, v10, v151
	v_fma_f32 v184, v4, v188, -v143
	v_fmac_f32_e32 v181, v5, v188
	v_add_f32_e32 v11, v11, v176
	s_waitcnt vmcnt(37)
	v_mul_f32_e32 v146, v135, v191
	v_add_f32_e32 v10, v10, v153
	v_fma_f32 v185, v132, v187, -v144
	v_mul_f32_e32 v183, v134, v191
	v_fmac_f32_e32 v182, v133, v187
	ds_read_b128 v[2:5], v1 offset:848
	ds_read_b128 v[140:143], v1 offset:864
	s_waitcnt vmcnt(35) lgkmcnt(3)
	v_mul_f32_e32 v12, v6, v154
	v_mul_f32_e32 v149, v7, v154
	s_waitcnt vmcnt(34)
	v_mul_f32_e32 v176, v8, v155
	v_mul_f32_e32 v150, v9, v155
	s_waitcnt vmcnt(30)
	v_fmac_f32_e32 v12, v7, v159
	v_add_f32_e32 v7, v11, v177
	v_fmac_f32_e32 v176, v9, v158
	v_fma_f32 v154, v8, v158, -v150
	v_add_f32_e32 v158, v10, v169
	s_waitcnt vmcnt(29)
	v_fma_f32 v186, v134, v197, -v146
	v_add_f32_e32 v155, v7, v148
	v_fmac_f32_e32 v183, v135, v197
	v_fma_f32 v153, v6, v159, -v149
	v_add_f32_e32 v158, v158, v181
	s_waitcnt lgkmcnt(2)
	v_mul_f32_e32 v159, v136, v156
	v_add_f32_e32 v155, v155, v184
	v_mul_f32_e32 v156, v137, v156
	ds_read_b128 v[132:135], v1 offset:880
	ds_read_b128 v[144:147], v1 offset:896
	v_add_f32_e32 v158, v158, v182
	v_fmac_f32_e32 v159, v137, v157
	v_add_f32_e32 v155, v155, v185
	v_fma_f32 v136, v136, v157, -v156
	s_waitcnt vmcnt(28)
	v_mul_f32_e32 v169, v138, v160
	v_add_f32_e32 v157, v158, v183
	v_mul_f32_e32 v160, v139, v160
	v_add_f32_e32 v155, v155, v186
	s_waitcnt vmcnt(27) lgkmcnt(3)
	v_mul_f32_e32 v177, v2, v161
	v_mul_f32_e32 v161, v3, v161
	v_add_f32_e32 v12, v157, v12
	s_waitcnt vmcnt(21)
	v_fma_f32 v138, v138, v167, -v160
	v_add_f32_e32 v153, v155, v153
	v_fmac_f32_e32 v169, v139, v167
	v_fmac_f32_e32 v177, v3, v166
	v_add_f32_e32 v12, v12, v176
	v_fma_f32 v2, v2, v166, -v161
	v_add_f32_e32 v153, v153, v154
	v_mul_f32_e32 v154, v5, v162
	v_mul_f32_e32 v181, v4, v162
	v_add_f32_e32 v12, v12, v159
	s_waitcnt lgkmcnt(2)
	v_mul_f32_e32 v137, v140, v163
	v_add_f32_e32 v136, v153, v136
	v_fma_f32 v4, v4, v165, -v154
	v_fmac_f32_e32 v181, v5, v165
	v_add_f32_e32 v12, v12, v169
	s_waitcnt vmcnt(20)
	v_mul_f32_e32 v5, v143, v168
	v_add_f32_e32 v3, v136, v138
	v_mul_f32_e32 v136, v141, v163
	v_mul_f32_e32 v156, v142, v168
	v_fmac_f32_e32 v137, v141, v164
	s_waitcnt vmcnt(19) lgkmcnt(1)
	v_mul_f32_e32 v158, v132, v171
	v_add_f32_e32 v2, v3, v2
	v_add_f32_e32 v3, v12, v177
	v_fma_f32 v12, v140, v164, -v136
	ds_read_b128 v[6:9], v1 offset:912
	ds_read_b128 v[148:151], v1 offset:928
	ds_read_b64 v[10:11], v1 offset:944
	s_waitcnt vmcnt(18)
	v_mul_f32_e32 v139, v134, v170
	v_add_f32_e32 v2, v2, v4
	v_add_f32_e32 v3, v3, v181
	v_mul_f32_e32 v4, v133, v171
	s_waitcnt vmcnt(7)
	v_fma_f32 v5, v142, v199, -v5
	v_fmac_f32_e32 v156, v143, v199
	v_add_f32_e32 v2, v2, v12
	v_add_f32_e32 v3, v3, v137
	v_mul_f32_e32 v12, v135, v170
	v_fma_f32 v4, v132, v198, -v4
	v_fmac_f32_e32 v158, v133, v198
	v_add_f32_e32 v2, v2, v5
	v_add_f32_e32 v3, v3, v156
	s_waitcnt lgkmcnt(3)
	v_mul_f32_e32 v5, v145, v172
	v_fma_f32 v12, v134, v196, -v12
	v_mul_f32_e32 v160, v144, v172
	v_add_f32_e32 v2, v2, v4
	v_fmac_f32_e32 v139, v135, v196
	v_add_f32_e32 v3, v3, v158
	v_mul_f32_e32 v4, v147, v173
	v_fma_f32 v5, v144, v179, -v5
	v_add_f32_e32 v2, v2, v12
	v_mul_f32_e32 v155, v146, v173
	v_fmac_f32_e32 v160, v145, v179
	v_add_f32_e32 v3, v3, v139
	s_waitcnt lgkmcnt(2)
	v_mul_f32_e32 v12, v7, v174
	s_waitcnt vmcnt(3)
	v_fma_f32 v4, v146, v200, -v4
	v_add_f32_e32 v2, v2, v5
	v_mul_f32_e32 v157, v6, v174
	v_fmac_f32_e32 v155, v147, v200
	v_add_f32_e32 v3, v3, v160
	v_mul_f32_e32 v5, v9, v193
	v_fma_f32 v6, v6, v180, -v12
	v_add_f32_e32 v2, v2, v4
	v_mul_f32_e32 v167, v8, v193
	v_fmac_f32_e32 v157, v7, v180
	v_add_f32_e32 v3, v3, v155
	s_waitcnt lgkmcnt(1)
	v_mul_f32_e32 v4, v149, v194
	v_fma_f32 v5, v8, v178, -v5
	v_add_f32_e32 v2, v2, v6
	v_mul_f32_e32 v162, v148, v194
	v_fmac_f32_e32 v167, v9, v178
	v_add_f32_e32 v3, v3, v157
	v_mul_f32_e32 v6, v151, v195
	v_fma_f32 v4, v148, v152, -v4
	v_add_f32_e32 v2, v2, v5
	v_mul_f32_e32 v176, v150, v195
	v_fmac_f32_e32 v162, v149, v152
	v_add_f32_e32 v3, v3, v167
	s_waitcnt lgkmcnt(0)
	v_mul_f32_e32 v5, v11, v175
	s_waitcnt vmcnt(1)
	v_fma_f32 v6, v150, v202, -v6
	v_add_f32_e32 v2, v2, v4
	v_mul_f32_e32 v153, v10, v175
	v_fmac_f32_e32 v176, v151, v202
	v_add_f32_e32 v3, v3, v162
	v_fma_f32 v4, v10, v201, -v5
	v_add_f32_e32 v2, v2, v6
	v_fmac_f32_e32 v153, v11, v201
	v_add_f32_e32 v3, v3, v176
	v_add_f32_e32 v2, v2, v4
	;; [unrolled: 1-line block ×3, first 2 shown]
	s_waitcnt vmcnt(0)
	v_sub_f32_e32 v2, v203, v2
	v_sub_f32_e32 v3, v192, v3
	buffer_store_dword v2, off, s[0:3], 0 offset:136
	buffer_store_dword v3, off, s[0:3], 0 offset:140
	v_cmpx_lt_u32_e32 16, v0
	s_cbranch_execz .LBB58_335
; %bb.334:
	s_clause 0x1
	buffer_load_dword v2, off, s[0:3], 0 offset:128
	buffer_load_dword v3, off, s[0:3], 0 offset:132
	buffer_store_dword v1, off, s[0:3], 0 offset:128
	buffer_store_dword v1, off, s[0:3], 0 offset:132
	s_waitcnt vmcnt(0)
	ds_write_b64 v131, v[2:3]
.LBB58_335:
	s_or_b32 exec_lo, exec_lo, s4
	s_waitcnt lgkmcnt(0)
	s_waitcnt_vscnt null, 0x0
	s_barrier
	buffer_gl0_inv
	s_clause 0x24
	buffer_load_dword v2, off, s[0:3], 0 offset:140
	buffer_load_dword v3, off, s[0:3], 0 offset:148
	;; [unrolled: 1-line block ×37, first 2 shown]
	ds_read2_b64 v[6:9], v1 offset0:77 offset1:78
	ds_read2_b64 v[132:135], v1 offset0:79 offset1:80
	s_clause 0x8
	buffer_load_dword v184, off, s[0:3], 0 offset:284
	buffer_load_dword v185, off, s[0:3], 0 offset:292
	;; [unrolled: 1-line block ×9, first 2 shown]
	ds_read2_b64 v[136:139], v1 offset0:81 offset1:82
	ds_read2_b64 v[140:143], v1 offset0:83 offset1:84
	;; [unrolled: 1-line block ×4, first 2 shown]
	buffer_load_dword v191, off, s[0:3], 0 offset:132
	s_mov_b32 s4, exec_lo
	s_waitcnt vmcnt(46) lgkmcnt(5)
	v_mul_f32_e32 v192, v7, v2
	v_mul_f32_e32 v2, v6, v2
	s_waitcnt vmcnt(45)
	v_mul_f32_e32 v193, v8, v3
	v_mul_f32_e32 v3, v9, v3
	s_waitcnt vmcnt(44) lgkmcnt(4)
	v_mul_f32_e32 v194, v132, v10
	v_mul_f32_e32 v10, v133, v10
	s_waitcnt vmcnt(41)
	v_fma_f32 v192, v6, v152, -v192
	v_fmac_f32_e32 v2, v7, v152
	s_waitcnt vmcnt(40)
	v_mul_f32_e32 v152, v134, v153
	v_mul_f32_e32 v6, v135, v153
	v_fmac_f32_e32 v193, v9, v12
	v_fma_f32 v3, v8, v12, -v3
	s_waitcnt vmcnt(35) lgkmcnt(3)
	v_mul_f32_e32 v12, v136, v158
	v_mul_f32_e32 v153, v137, v158
	v_fmac_f32_e32 v194, v133, v11
	v_fma_f32 v10, v132, v11, -v10
	v_fmac_f32_e32 v152, v135, v157
	v_fma_f32 v11, v134, v157, -v6
	s_waitcnt vmcnt(34)
	v_mul_f32_e32 v157, v138, v159
	v_mul_f32_e32 v158, v139, v159
	s_waitcnt vmcnt(33) lgkmcnt(2)
	v_mul_f32_e32 v159, v140, v160
	v_mul_f32_e32 v160, v141, v160
	v_fmac_f32_e32 v12, v137, v156
	v_fma_f32 v153, v136, v156, -v153
	s_waitcnt vmcnt(32)
	v_mul_f32_e32 v156, v142, v161
	v_mul_f32_e32 v136, v143, v161
	ds_read2_b64 v[6:9], v1 offset0:89 offset1:90
	ds_read2_b64 v[132:135], v1 offset0:91 offset1:92
	v_fmac_f32_e32 v157, v139, v155
	v_fma_f32 v155, v138, v155, -v158
	s_waitcnt vmcnt(31) lgkmcnt(3)
	v_mul_f32_e32 v158, v144, v162
	v_mul_f32_e32 v137, v145, v162
	s_waitcnt vmcnt(30)
	v_mul_f32_e32 v161, v146, v163
	v_mul_f32_e32 v138, v147, v163
	v_fmac_f32_e32 v159, v141, v154
	v_fma_f32 v140, v140, v154, -v160
	s_waitcnt vmcnt(26)
	v_fmac_f32_e32 v156, v143, v167
	v_fma_f32 v141, v142, v167, -v136
	s_clause 0x7
	buffer_load_dword v154, off, s[0:3], 0 offset:324
	buffer_load_dword v160, off, s[0:3], 0 offset:332
	;; [unrolled: 1-line block ×8, first 2 shown]
	v_fmac_f32_e32 v158, v145, v166
	v_fma_f32 v142, v144, v166, -v137
	v_fmac_f32_e32 v161, v147, v165
	v_fma_f32 v143, v146, v165, -v138
	s_waitcnt vmcnt(33) lgkmcnt(2)
	v_mul_f32_e32 v144, v148, v168
	v_mul_f32_e32 v145, v149, v168
	s_waitcnt vmcnt(32)
	v_mul_f32_e32 v146, v150, v169
	v_mul_f32_e32 v147, v151, v169
	ds_read2_b64 v[136:139], v1 offset0:93 offset1:94
	buffer_load_dword v165, off, s[0:3], 0 offset:356
	v_fmac_f32_e32 v144, v149, v164
	v_fma_f32 v145, v148, v164, -v145
	s_waitcnt vmcnt(32) lgkmcnt(2)
	v_mul_f32_e32 v148, v6, v170
	v_mul_f32_e32 v149, v7, v170
	s_waitcnt vmcnt(28)
	v_fmac_f32_e32 v146, v151, v174
	v_fma_f32 v147, v150, v174, -v147
	s_waitcnt vmcnt(27)
	v_mul_f32_e32 v150, v8, v175
	v_mul_f32_e32 v151, v9, v175
	v_fmac_f32_e32 v148, v7, v173
	v_fma_f32 v149, v6, v173, -v149
	s_waitcnt vmcnt(26) lgkmcnt(1)
	v_mul_f32_e32 v164, v132, v176
	v_fmac_f32_e32 v150, v9, v172
	v_fma_f32 v151, v8, v172, -v151
	s_clause 0x4
	buffer_load_dword v168, off, s[0:3], 0 offset:364
	buffer_load_dword v169, off, s[0:3], 0 offset:376
	;; [unrolled: 1-line block ×5, first 2 shown]
	v_mul_f32_e32 v166, v133, v176
	s_waitcnt vmcnt(30)
	v_mul_f32_e32 v175, v135, v177
	v_fmac_f32_e32 v164, v133, v171
	v_add_f32_e32 v2, 0, v2
	v_mul_f32_e32 v174, v134, v177
	v_fma_f32 v166, v132, v171, -v166
	s_waitcnt vmcnt(26)
	v_fma_f32 v171, v134, v181, -v175
	s_waitcnt vmcnt(25) lgkmcnt(0)
	v_mul_f32_e32 v175, v136, v182
	v_mul_f32_e32 v132, v137, v182
	v_add_f32_e32 v2, v2, v193
	ds_read2_b64 v[6:9], v1 offset0:95 offset1:96
	s_clause 0x1
	buffer_load_dword v176, off, s[0:3], 0 offset:372
	buffer_load_dword v177, off, s[0:3], 0 offset:380
	v_fmac_f32_e32 v175, v137, v180
	v_fma_f32 v180, v136, v180, -v132
	v_add_f32_e32 v132, 0, v192
	v_add_f32_e32 v2, v2, v194
	v_fmac_f32_e32 v174, v135, v181
	s_waitcnt vmcnt(26)
	v_mul_f32_e32 v181, v138, v183
	v_mul_f32_e32 v133, v139, v183
	v_add_f32_e32 v3, v132, v3
	v_add_f32_e32 v2, v2, v152
	s_clause 0x4
	buffer_load_dword v182, off, s[0:3], 0 offset:388
	buffer_load_dword v183, off, s[0:3], 0 offset:396
	;; [unrolled: 1-line block ×5, first 2 shown]
	v_add_f32_e32 v3, v3, v10
	s_clause 0x5
	buffer_load_dword v200, off, s[0:3], 0 offset:428
	buffer_load_dword v201, off, s[0:3], 0 offset:436
	;; [unrolled: 1-line block ×6, first 2 shown]
	v_add_f32_e32 v3, v3, v11
	v_add_f32_e32 v2, v2, v12
	s_waitcnt vmcnt(36) lgkmcnt(0)
	v_mul_f32_e32 v206, v6, v184
	v_mul_f32_e32 v132, v7, v184
	v_fmac_f32_e32 v181, v139, v179
	v_add_f32_e32 v3, v3, v153
	s_clause 0x3
	buffer_load_dword v11, off, s[0:3], 0 offset:408
	buffer_load_dword v12, off, s[0:3], 0 offset:400
	;; [unrolled: 1-line block ×4, first 2 shown]
	v_add_f32_e32 v2, v2, v157
	v_fma_f32 v179, v138, v179, -v133
	v_fmac_f32_e32 v206, v7, v178
	v_add_f32_e32 v3, v3, v155
	v_add_f32_e32 v2, v2, v159
	s_clause 0x3
	buffer_load_dword v155, off, s[0:3], 0 offset:440
	buffer_load_dword v157, off, s[0:3], 0 offset:432
	;; [unrolled: 1-line block ×4, first 2 shown]
	v_add_f32_e32 v3, v3, v140
	v_add_f32_e32 v2, v2, v156
	s_clause 0x2
	buffer_load_dword v156, off, s[0:3], 0 offset:464
	buffer_load_dword v204, off, s[0:3], 0 offset:456
	;; [unrolled: 1-line block ×3, first 2 shown]
	ds_read2_b64 v[136:139], v1 offset0:101 offset1:102
	v_add_f32_e32 v3, v3, v141
	v_add_f32_e32 v2, v2, v158
	buffer_load_dword v158, off, s[0:3], 0 offset:128
	v_add_f32_e32 v3, v3, v142
	v_add_f32_e32 v2, v2, v161
	v_fma_f32 v161, v6, v178, -v132
	ds_read2_b64 v[132:135], v1 offset0:97 offset1:98
	v_add_f32_e32 v3, v3, v143
	s_waitcnt vmcnt(47)
	v_mul_f32_e32 v178, v8, v185
	v_add_f32_e32 v2, v2, v144
	v_mul_f32_e32 v6, v9, v185
	v_add_f32_e32 v3, v3, v145
	s_waitcnt vmcnt(40)
	v_fmac_f32_e32 v178, v9, v190
	v_add_f32_e32 v2, v2, v146
	v_fma_f32 v184, v8, v190, -v6
	ds_read2_b64 v[6:9], v1 offset0:99 offset1:100
	v_add_f32_e32 v3, v3, v147
	v_add_f32_e32 v2, v2, v148
	;; [unrolled: 1-line block ×4, first 2 shown]
	s_waitcnt lgkmcnt(1)
	v_mul_f32_e32 v148, v132, v186
	v_add_f32_e32 v3, v3, v151
	v_mul_f32_e32 v140, v133, v186
	v_add_f32_e32 v2, v2, v164
	v_mul_f32_e32 v164, v134, v187
	v_fmac_f32_e32 v148, v133, v189
	v_add_f32_e32 v3, v3, v166
	v_fma_f32 v149, v132, v189, -v140
	ds_read2_b64 v[140:143], v1 offset0:103 offset1:104
	v_add_f32_e32 v2, v2, v174
	s_waitcnt lgkmcnt(1)
	v_mul_f32_e32 v133, v7, v188
	v_add_f32_e32 v3, v3, v171
	v_mul_f32_e32 v166, v6, v188
	v_mul_f32_e32 v132, v135, v187
	v_add_f32_e32 v2, v2, v175
	v_fma_f32 v174, v6, v4, -v133
	v_add_f32_e32 v3, v3, v180
	v_fmac_f32_e32 v166, v7, v4
	v_fma_f32 v150, v134, v5, -v132
	v_add_f32_e32 v7, v2, v181
	v_fmac_f32_e32 v164, v135, v5
	v_add_f32_e32 v6, v3, v179
	ds_read2_b64 v[2:5], v1 offset0:105 offset1:106
	ds_read2_b64 v[132:135], v1 offset0:107 offset1:108
	s_waitcnt vmcnt(38)
	v_mul_f32_e32 v171, v8, v154
	v_mul_f32_e32 v144, v9, v154
	s_waitcnt vmcnt(37)
	v_mul_f32_e32 v154, v136, v160
	v_mul_f32_e32 v145, v137, v160
	s_waitcnt vmcnt(36)
	v_mul_f32_e32 v175, v138, v162
	v_mul_f32_e32 v151, v139, v162
	s_waitcnt vmcnt(35) lgkmcnt(2)
	v_mul_f32_e32 v162, v140, v163
	s_waitcnt vmcnt(32)
	v_fmac_f32_e32 v154, v137, v196
	v_add_f32_e32 v137, v6, v161
	v_fma_f32 v161, v136, v196, -v145
	v_add_f32_e32 v136, v7, v206
	v_fmac_f32_e32 v162, v141, v167
	s_waitcnt vmcnt(31)
	v_fma_f32 v160, v8, v197, -v144
	v_add_f32_e32 v137, v137, v184
	v_fmac_f32_e32 v171, v9, v197
	v_add_f32_e32 v136, v136, v178
	v_fmac_f32_e32 v175, v139, v195
	s_waitcnt vmcnt(30)
	v_mul_f32_e32 v178, v142, v165
	v_add_f32_e32 v137, v137, v149
	v_mul_f32_e32 v149, v141, v163
	v_mul_f32_e32 v163, v143, v165
	v_fma_f32 v165, v138, v195, -v151
	ds_read2_b64 v[6:9], v1 offset0:109 offset1:110
	ds_read2_b64 v[144:147], v1 offset0:111 offset1:112
	v_add_f32_e32 v179, v137, v150
	v_fma_f32 v167, v140, v167, -v149
	v_add_f32_e32 v140, v136, v148
	ds_read2_b64 v[136:139], v1 offset0:113 offset1:114
	ds_read2_b64 v[148:151], v1 offset0:115 offset1:116
	v_add_f32_e32 v164, v140, v164
	s_waitcnt vmcnt(25)
	v_fmac_f32_e32 v178, v143, v173
	v_fma_f32 v163, v142, v173, -v163
	v_add_f32_e32 v173, v179, v174
	ds_read2_b64 v[140:143], v1 offset0:117 offset1:118
	v_add_f32_e32 v164, v164, v166
	s_waitcnt lgkmcnt(6)
	v_mul_f32_e32 v1, v2, v168
	v_mul_f32_e32 v168, v3, v168
	v_add_f32_e32 v160, v173, v160
	v_add_f32_e32 v164, v164, v171
	v_fmac_f32_e32 v1, v3, v172
	s_waitcnt vmcnt(24)
	v_mul_f32_e32 v174, v5, v176
	v_add_f32_e32 v160, v160, v161
	v_fma_f32 v2, v2, v172, -v168
	v_add_f32_e32 v154, v164, v154
	v_mul_f32_e32 v166, v4, v176
	v_fma_f32 v4, v4, v170, -v174
	v_add_f32_e32 v160, v160, v165
	s_waitcnt vmcnt(23) lgkmcnt(5)
	v_mul_f32_e32 v173, v132, v177
	v_add_f32_e32 v154, v154, v175
	v_fmac_f32_e32 v166, v5, v170
	s_waitcnt vmcnt(22)
	v_mul_f32_e32 v5, v135, v182
	v_add_f32_e32 v160, v160, v167
	v_mul_f32_e32 v171, v134, v182
	v_add_f32_e32 v154, v154, v162
	v_fmac_f32_e32 v173, v133, v169
	s_waitcnt vmcnt(21) lgkmcnt(4)
	v_mul_f32_e32 v176, v6, v183
	v_add_f32_e32 v160, v160, v163
	v_mul_f32_e32 v163, v133, v177
	v_add_f32_e32 v154, v154, v178
	s_waitcnt vmcnt(20)
	v_mul_f32_e32 v161, v8, v198
	s_waitcnt vmcnt(19) lgkmcnt(3)
	v_mul_f32_e32 v164, v144, v192
	v_add_f32_e32 v2, v160, v2
	v_fma_f32 v132, v132, v169, -v163
	v_add_f32_e32 v1, v154, v1
	s_waitcnt vmcnt(10)
	v_fmac_f32_e32 v161, v9, v12
	s_waitcnt vmcnt(9)
	v_fmac_f32_e32 v176, v7, v152
	v_add_f32_e32 v2, v2, v4
	v_mul_f32_e32 v4, v7, v183
	v_add_f32_e32 v1, v1, v166
	s_waitcnt vmcnt(8)
	v_fma_f32 v5, v134, v153, -v5
	v_fmac_f32_e32 v171, v135, v153
	v_add_f32_e32 v2, v2, v132
	v_mul_f32_e32 v132, v9, v198
	v_add_f32_e32 v1, v1, v173
	v_fma_f32 v4, v6, v152, -v4
	v_mul_f32_e32 v179, v146, v199
	v_add_f32_e32 v2, v2, v5
	v_mul_f32_e32 v5, v145, v192
	v_add_f32_e32 v1, v1, v171
	v_fma_f32 v6, v8, v12, -v132
	v_fmac_f32_e32 v164, v145, v11
	v_add_f32_e32 v2, v2, v4
	v_mul_f32_e32 v4, v147, v199
	v_add_f32_e32 v1, v1, v176
	v_fma_f32 v5, v144, v11, -v5
	s_waitcnt lgkmcnt(2)
	v_mul_f32_e32 v165, v136, v200
	v_add_f32_e32 v2, v2, v6
	v_mul_f32_e32 v6, v137, v200
	v_add_f32_e32 v1, v1, v161
	s_waitcnt vmcnt(4)
	v_fma_f32 v4, v146, v203, -v4
	v_fmac_f32_e32 v179, v147, v203
	v_add_f32_e32 v2, v2, v5
	v_mul_f32_e32 v5, v139, v201
	v_add_f32_e32 v1, v1, v164
	v_fma_f32 v6, v136, v159, -v6
	v_mul_f32_e32 v175, v138, v201
	v_add_f32_e32 v2, v2, v4
	v_fmac_f32_e32 v165, v137, v159
	v_add_f32_e32 v1, v1, v179
	s_waitcnt lgkmcnt(1)
	v_mul_f32_e32 v4, v149, v202
	v_fma_f32 v5, v138, v157, -v5
	v_add_f32_e32 v2, v2, v6
	v_mul_f32_e32 v180, v148, v202
	v_fmac_f32_e32 v175, v139, v157
	v_add_f32_e32 v1, v1, v165
	v_mul_f32_e32 v6, v151, v193
	v_fma_f32 v4, v148, v155, -v4
	v_add_f32_e32 v2, v2, v5
	v_mul_f32_e32 v167, v150, v193
	v_fmac_f32_e32 v180, v149, v155
	v_add_f32_e32 v1, v1, v175
	s_waitcnt lgkmcnt(0)
	v_mul_f32_e32 v5, v141, v10
	s_waitcnt vmcnt(1)
	v_fma_f32 v6, v150, v205, -v6
	v_add_f32_e32 v2, v2, v4
	v_mul_f32_e32 v162, v140, v10
	v_fmac_f32_e32 v167, v151, v205
	v_add_f32_e32 v1, v1, v180
	v_mul_f32_e32 v4, v143, v194
	v_fma_f32 v5, v140, v204, -v5
	v_add_f32_e32 v2, v2, v6
	v_mul_f32_e32 v3, v142, v194
	v_fmac_f32_e32 v162, v141, v204
	v_add_f32_e32 v1, v1, v167
	v_fma_f32 v4, v142, v156, -v4
	v_add_f32_e32 v2, v2, v5
	v_fmac_f32_e32 v3, v143, v156
	v_add_f32_e32 v1, v1, v162
	v_add_f32_e32 v2, v2, v4
	;; [unrolled: 1-line block ×3, first 2 shown]
	s_waitcnt vmcnt(0)
	v_sub_f32_e32 v2, v158, v2
	v_sub_f32_e32 v1, v191, v1
	buffer_store_dword v2, off, s[0:3], 0 offset:128
	buffer_store_dword v1, off, s[0:3], 0 offset:132
	v_cmpx_lt_u32_e32 15, v0
	s_cbranch_execz .LBB58_337
; %bb.336:
	s_clause 0x1
	buffer_load_dword v1, off, s[0:3], 0 offset:120
	buffer_load_dword v2, off, s[0:3], 0 offset:124
	v_mov_b32_e32 v3, 0
	buffer_store_dword v3, off, s[0:3], 0 offset:120
	buffer_store_dword v3, off, s[0:3], 0 offset:124
	s_waitcnt vmcnt(0)
	ds_write_b64 v131, v[1:2]
.LBB58_337:
	s_or_b32 exec_lo, exec_lo, s4
	s_waitcnt lgkmcnt(0)
	s_waitcnt_vscnt null, 0x0
	s_barrier
	buffer_gl0_inv
	s_clause 0x25
	buffer_load_dword v134, off, s[0:3], 0 offset:132
	buffer_load_dword v135, off, s[0:3], 0 offset:140
	;; [unrolled: 1-line block ×38, first 2 shown]
	v_mov_b32_e32 v132, 0
	ds_read_b128 v[9:12], v132 offset:608
	ds_read_b128 v[1:4], v132 offset:624
	s_clause 0x7
	buffer_load_dword v175, off, s[0:3], 0 offset:284
	buffer_load_dword v172, off, s[0:3], 0 offset:292
	;; [unrolled: 1-line block ×8, first 2 shown]
	ds_read_b128 v[5:8], v132 offset:640
	s_clause 0x9
	buffer_load_dword v170, off, s[0:3], 0 offset:316
	buffer_load_dword v157, off, s[0:3], 0 offset:320
	;; [unrolled: 1-line block ×10, first 2 shown]
	ds_read_b128 v[182:185], v132 offset:656
	s_mov_b32 s4, exec_lo
	s_waitcnt vmcnt(55) lgkmcnt(3)
	v_mul_f32_e32 v193, v9, v134
	v_mul_f32_e32 v134, v10, v134
	s_waitcnt vmcnt(54)
	v_mul_f32_e32 v194, v11, v135
	v_mul_f32_e32 v135, v12, v135
	s_waitcnt vmcnt(51)
	v_fmac_f32_e32 v193, v10, v140
	v_fma_f32 v140, v9, v140, -v134
	s_waitcnt vmcnt(50) lgkmcnt(2)
	v_mul_f32_e32 v195, v1, v139
	v_mul_f32_e32 v134, v2, v139
	v_fmac_f32_e32 v194, v12, v137
	v_fma_f32 v137, v11, v137, -v135
	ds_read_b128 v[9:12], v132 offset:672
	s_waitcnt vmcnt(49)
	v_mul_f32_e32 v139, v3, v138
	v_mul_f32_e32 v135, v4, v138
	v_fmac_f32_e32 v195, v2, v133
	v_fma_f32 v138, v1, v133, -v134
	s_waitcnt vmcnt(48) lgkmcnt(2)
	v_mul_f32_e32 v196, v5, v136
	v_mul_f32_e32 v133, v6, v136
	s_waitcnt vmcnt(44)
	v_fmac_f32_e32 v139, v4, v148
	v_fma_f32 v148, v3, v148, -v135
	ds_read_b128 v[1:4], v132 offset:688
	s_waitcnt vmcnt(43)
	v_mul_f32_e32 v197, v7, v146
	v_mul_f32_e32 v134, v8, v146
	v_fmac_f32_e32 v196, v6, v144
	v_fma_f32 v144, v5, v144, -v133
	s_waitcnt vmcnt(42) lgkmcnt(2)
	v_mul_f32_e32 v146, v182, v145
	v_fmac_f32_e32 v197, v8, v142
	v_fma_f32 v142, v7, v142, -v134
	ds_read_b128 v[5:8], v132 offset:704
	v_mul_f32_e32 v133, v183, v145
	s_waitcnt vmcnt(41)
	v_mul_f32_e32 v145, v184, v143
	v_mul_f32_e32 v134, v185, v143
	s_waitcnt vmcnt(40) lgkmcnt(2)
	v_mul_f32_e32 v143, v9, v147
	v_mul_f32_e32 v147, v10, v147
	v_fmac_f32_e32 v146, v183, v141
	v_fma_f32 v141, v182, v141, -v133
	s_waitcnt vmcnt(36)
	v_fmac_f32_e32 v145, v185, v156
	v_fma_f32 v156, v184, v156, -v134
	ds_read_b128 v[133:136], v132 offset:720
	s_waitcnt vmcnt(35)
	v_mul_f32_e32 v182, v11, v155
	v_mul_f32_e32 v155, v12, v155
	v_fmac_f32_e32 v143, v10, v152
	v_fma_f32 v147, v9, v152, -v147
	s_waitcnt vmcnt(34) lgkmcnt(2)
	v_mul_f32_e32 v152, v1, v153
	v_mul_f32_e32 v153, v2, v153
	v_fmac_f32_e32 v182, v12, v150
	v_fma_f32 v150, v11, v150, -v155
	ds_read_b128 v[9:12], v132 offset:736
	v_fmac_f32_e32 v152, v2, v149
	v_fma_f32 v149, v1, v149, -v153
	s_waitcnt vmcnt(32) lgkmcnt(2)
	v_mul_f32_e32 v153, v5, v154
	v_mul_f32_e32 v1, v6, v154
	;; [unrolled: 1-line block ×4, first 2 shown]
	s_waitcnt vmcnt(27)
	v_mul_f32_e32 v2, v8, v166
	v_fmac_f32_e32 v153, v6, v163
	v_add_f32_e32 v6, 0, v193
	v_fmac_f32_e32 v155, v4, v167
	v_fma_f32 v151, v3, v167, -v151
	v_mul_f32_e32 v167, v7, v166
	s_waitcnt vmcnt(26) lgkmcnt(1)
	v_mul_f32_e32 v154, v133, v165
	v_add_f32_e32 v6, v6, v194
	v_mul_f32_e32 v3, v134, v165
	s_waitcnt vmcnt(25)
	v_mul_f32_e32 v165, v135, v164
	v_mul_f32_e32 v4, v136, v164
	s_clause 0x6
	buffer_load_dword v164, off, s[0:3], 0 offset:356
	buffer_load_dword v166, off, s[0:3], 0 offset:368
	;; [unrolled: 1-line block ×7, first 2 shown]
	v_add_f32_e32 v6, v6, v195
	v_fma_f32 v163, v5, v163, -v1
	v_fmac_f32_e32 v154, v134, v160
	v_fma_f32 v133, v133, v160, -v3
	s_waitcnt vmcnt(27) lgkmcnt(0)
	v_mul_f32_e32 v160, v9, v179
	v_mul_f32_e32 v5, v10, v179
	v_add_f32_e32 v6, v6, v139
	v_fmac_f32_e32 v167, v8, v162
	v_fma_f32 v162, v7, v162, -v2
	v_fmac_f32_e32 v165, v136, v180
	v_fma_f32 v134, v135, v180, -v4
	buffer_load_dword v179, off, s[0:3], 0 offset:380
	s_waitcnt vmcnt(27)
	v_mul_f32_e32 v180, v11, v174
	v_fmac_f32_e32 v160, v10, v176
	v_fma_f32 v176, v9, v176, -v5
	v_add_f32_e32 v5, 0, v140
	v_mul_f32_e32 v7, v12, v174
	v_add_f32_e32 v6, v6, v196
	ds_read_b128 v[1:4], v132 offset:752
	s_clause 0x1
	buffer_load_dword v193, off, s[0:3], 0 offset:388
	buffer_load_dword v194, off, s[0:3], 0 offset:396
	v_add_f32_e32 v5, v5, v137
	buffer_load_dword v174, off, s[0:3], 0 offset:404
	v_fmac_f32_e32 v180, v12, v171
	v_fma_f32 v137, v11, v171, -v7
	s_clause 0x7
	buffer_load_dword v171, off, s[0:3], 0 offset:412
	buffer_load_dword v195, off, s[0:3], 0 offset:420
	;; [unrolled: 1-line block ×8, first 2 shown]
	v_add_f32_e32 v6, v6, v197
	s_clause 0x3
	buffer_load_dword v197, off, s[0:3], 0 offset:400
	buffer_load_dword v205, off, s[0:3], 0 offset:392
	buffer_load_dword v206, off, s[0:3], 0 offset:384
	buffer_load_dword v207, off, s[0:3], 0 offset:376
	v_add_f32_e32 v5, v5, v138
	s_clause 0x3
	buffer_load_dword v208, off, s[0:3], 0 offset:432
	buffer_load_dword v209, off, s[0:3], 0 offset:424
	;; [unrolled: 1-line block ×4, first 2 shown]
	v_add_f32_e32 v6, v6, v146
	v_add_f32_e32 v5, v5, v148
	;; [unrolled: 1-line block ×3, first 2 shown]
	s_waitcnt vmcnt(45) lgkmcnt(0)
	v_mul_f32_e32 v138, v1, v178
	v_add_f32_e32 v5, v5, v144
	v_mul_f32_e32 v7, v2, v178
	v_add_f32_e32 v6, v6, v143
	v_fmac_f32_e32 v138, v2, v158
	v_add_f32_e32 v5, v5, v142
	v_fma_f32 v139, v1, v158, -v7
	v_add_f32_e32 v6, v6, v182
	v_add_f32_e32 v5, v5, v141
	s_waitcnt vmcnt(44)
	v_mul_f32_e32 v141, v3, v175
	v_add_f32_e32 v6, v6, v152
	v_add_f32_e32 v5, v5, v156
	s_clause 0x4
	buffer_load_dword v156, off, s[0:3], 0 offset:464
	buffer_load_dword v182, off, s[0:3], 0 offset:456
	;; [unrolled: 1-line block ×5, first 2 shown]
	v_add_f32_e32 v1, v6, v155
	s_waitcnt vmcnt(42)
	v_fmac_f32_e32 v141, v4, v177
	v_add_f32_e32 v5, v5, v147
	v_add_f32_e32 v9, v1, v153
	v_mul_f32_e32 v1, v4, v175
	v_add_f32_e32 v5, v5, v150
	v_add_f32_e32 v135, v9, v167
	v_fma_f32 v142, v3, v177, -v1
	v_add_f32_e32 v5, v5, v149
	v_add_f32_e32 v135, v135, v154
	;; [unrolled: 1-line block ×3, first 2 shown]
	ds_read_b128 v[5:8], v132 offset:768
	v_add_f32_e32 v143, v135, v165
	v_add_f32_e32 v10, v2, v163
	ds_read_b128 v[1:4], v132 offset:784
	v_add_f32_e32 v136, v10, v162
	ds_read_b128 v[9:12], v132 offset:800
	v_add_f32_e32 v133, v136, v133
	s_waitcnt lgkmcnt(2)
	v_mul_f32_e32 v140, v6, v172
	v_mul_f32_e32 v145, v5, v172
	;; [unrolled: 1-line block ×3, first 2 shown]
	v_fma_f32 v146, v5, v173, -v140
	v_add_f32_e32 v5, v133, v134
	ds_read_b128 v[133:136], v132 offset:816
	v_fmac_f32_e32 v145, v6, v173
	v_add_f32_e32 v6, v143, v160
	s_waitcnt lgkmcnt(2)
	v_mul_f32_e32 v148, v1, v168
	v_add_f32_e32 v5, v5, v176
	v_mul_f32_e32 v143, v2, v168
	s_waitcnt vmcnt(39) lgkmcnt(1)
	v_mul_f32_e32 v152, v9, v186
	v_add_f32_e32 v6, v6, v180
	v_fmac_f32_e32 v148, v2, v159
	v_add_f32_e32 v5, v5, v137
	v_fma_f32 v150, v1, v159, -v143
	v_mul_f32_e32 v143, v10, v186
	v_add_f32_e32 v1, v6, v138
	v_mul_f32_e32 v140, v8, v169
	v_add_f32_e32 v2, v5, v139
	v_fmac_f32_e32 v152, v10, v157
	v_fma_f32 v154, v9, v157, -v143
	v_add_f32_e32 v10, v1, v141
	v_fma_f32 v149, v7, v161, -v140
	v_add_f32_e32 v9, v2, v142
	v_fmac_f32_e32 v147, v8, v161
	v_mul_f32_e32 v144, v4, v170
	v_add_f32_e32 v10, v10, v145
	s_waitcnt vmcnt(36) lgkmcnt(0)
	v_mul_f32_e32 v157, v133, v189
	v_add_f32_e32 v9, v9, v146
	v_mul_f32_e32 v146, v134, v189
	v_mul_f32_e32 v151, v3, v170
	v_add_f32_e32 v10, v10, v147
	s_waitcnt vmcnt(34)
	v_fma_f32 v153, v3, v191, -v144
	ds_read_b128 v[5:8], v132 offset:832
	ds_read_b128 v[137:140], v132 offset:848
	v_fma_f32 v161, v133, v190, -v146
	v_add_f32_e32 v133, v9, v149
	v_fmac_f32_e32 v151, v4, v191
	v_add_f32_e32 v162, v10, v148
	v_mul_f32_e32 v145, v12, v188
	v_mul_f32_e32 v155, v11, v188
	v_add_f32_e32 v163, v133, v150
	s_waitcnt vmcnt(33)
	v_mul_f32_e32 v159, v136, v192
	v_add_f32_e32 v151, v162, v151
	v_fma_f32 v160, v11, v187, -v145
	v_fmac_f32_e32 v155, v12, v187
	v_add_f32_e32 v153, v163, v153
	v_mul_f32_e32 v158, v135, v192
	v_add_f32_e32 v151, v151, v152
	v_fmac_f32_e32 v157, v134, v190
	ds_read_b128 v[1:4], v132 offset:864
	ds_read_b128 v[141:144], v132 offset:880
	v_add_f32_e32 v153, v153, v154
	ds_read_b128 v[9:12], v132 offset:896
	ds_read_b128 v[145:148], v132 offset:912
	v_add_f32_e32 v151, v151, v155
	v_add_f32_e32 v153, v153, v160
	;; [unrolled: 1-line block ×4, first 2 shown]
	s_waitcnt vmcnt(31) lgkmcnt(5)
	v_mul_f32_e32 v162, v5, v164
	v_mul_f32_e32 v164, v6, v164
	s_waitcnt vmcnt(27)
	v_fma_f32 v159, v135, v185, -v159
	v_fmac_f32_e32 v158, v136, v185
	s_waitcnt vmcnt(26)
	v_mul_f32_e32 v165, v8, v198
	v_fma_f32 v5, v5, v184, -v164
	v_mul_f32_e32 v163, v7, v198
	v_add_f32_e32 v153, v153, v159
	v_fmac_f32_e32 v162, v6, v184
	v_add_f32_e32 v151, v151, v158
	s_waitcnt vmcnt(25) lgkmcnt(4)
	v_mul_f32_e32 v164, v138, v199
	v_fma_f32 v7, v7, v183, -v165
	v_add_f32_e32 v5, v153, v5
	v_mul_f32_e32 v152, v137, v199
	v_fmac_f32_e32 v163, v8, v183
	v_add_f32_e32 v151, v151, v162
	s_waitcnt vmcnt(24)
	v_mul_f32_e32 v158, v140, v179
	v_fma_f32 v137, v137, v166, -v164
	v_add_f32_e32 v5, v5, v7
	v_mul_f32_e32 v154, v139, v179
	v_fmac_f32_e32 v152, v138, v166
	v_add_f32_e32 v7, v151, v163
	ds_read_b128 v[133:136], v132 offset:928
	ds_read_b64 v[149:150], v132 offset:944
	s_waitcnt vmcnt(23) lgkmcnt(5)
	v_mul_f32_e32 v6, v1, v193
	v_mul_f32_e32 v138, v2, v193
	v_add_f32_e32 v5, v5, v137
	v_add_f32_e32 v7, v7, v152
	s_waitcnt vmcnt(22)
	v_mul_f32_e32 v137, v4, v194
	v_mul_f32_e32 v155, v3, v194
	s_waitcnt vmcnt(21) lgkmcnt(4)
	v_mul_f32_e32 v160, v141, v174
	s_waitcnt vmcnt(20)
	v_mul_f32_e32 v8, v143, v171
	s_waitcnt vmcnt(19) lgkmcnt(3)
	v_mul_f32_e32 v165, v9, v195
	s_waitcnt vmcnt(10)
	v_fmac_f32_e32 v6, v2, v206
	s_waitcnt vmcnt(9)
	v_fma_f32 v139, v139, v207, -v158
	v_fmac_f32_e32 v154, v140, v207
	v_fma_f32 v1, v1, v206, -v138
	v_fma_f32 v3, v3, v205, -v137
	v_fmac_f32_e32 v155, v4, v205
	v_add_f32_e32 v2, v5, v139
	v_add_f32_e32 v5, v7, v154
	v_mul_f32_e32 v7, v142, v174
	v_mul_f32_e32 v4, v144, v171
	v_fmac_f32_e32 v160, v142, v197
	v_add_f32_e32 v1, v2, v1
	v_add_f32_e32 v2, v5, v6
	v_fma_f32 v5, v141, v197, -v7
	s_waitcnt vmcnt(5)
	v_fma_f32 v4, v143, v211, -v4
	v_fmac_f32_e32 v8, v144, v211
	v_add_f32_e32 v1, v1, v3
	v_add_f32_e32 v2, v2, v155
	v_mul_f32_e32 v3, v10, v195
	v_mul_f32_e32 v157, v11, v200
	v_fmac_f32_e32 v165, v10, v210
	v_add_f32_e32 v1, v1, v5
	v_add_f32_e32 v2, v2, v160
	v_mul_f32_e32 v5, v12, v200
	v_fma_f32 v3, v9, v210, -v3
	s_waitcnt lgkmcnt(2)
	v_mul_f32_e32 v161, v145, v201
	v_add_f32_e32 v1, v1, v4
	v_add_f32_e32 v2, v2, v8
	v_mul_f32_e32 v4, v146, v201
	v_fma_f32 v5, v11, v209, -v5
	v_fmac_f32_e32 v157, v12, v209
	v_add_f32_e32 v1, v1, v3
	v_add_f32_e32 v2, v2, v165
	v_mul_f32_e32 v3, v148, v202
	v_fma_f32 v4, v145, v208, -v4
	v_mul_f32_e32 v167, v147, v202
	v_add_f32_e32 v1, v1, v5
	v_fmac_f32_e32 v161, v146, v208
	v_add_f32_e32 v2, v2, v157
	s_waitcnt lgkmcnt(1)
	v_mul_f32_e32 v5, v134, v196
	s_waitcnt vmcnt(1)
	v_fma_f32 v3, v147, v213, -v3
	v_add_f32_e32 v1, v1, v4
	v_mul_f32_e32 v159, v133, v196
	v_fmac_f32_e32 v167, v148, v213
	v_add_f32_e32 v2, v2, v161
	v_mul_f32_e32 v4, v136, v203
	v_fma_f32 v5, v133, v212, -v5
	v_add_f32_e32 v1, v1, v3
	v_mul_f32_e32 v168, v135, v203
	v_fmac_f32_e32 v159, v134, v212
	v_add_f32_e32 v2, v2, v167
	s_waitcnt lgkmcnt(0)
	v_mul_f32_e32 v3, v150, v204
	v_fma_f32 v4, v135, v182, -v4
	v_add_f32_e32 v1, v1, v5
	v_mul_f32_e32 v153, v149, v204
	v_fmac_f32_e32 v168, v136, v182
	v_add_f32_e32 v2, v2, v159
	v_fma_f32 v3, v149, v156, -v3
	v_add_f32_e32 v1, v1, v4
	v_fmac_f32_e32 v153, v150, v156
	v_add_f32_e32 v2, v2, v168
	v_add_f32_e32 v1, v1, v3
	;; [unrolled: 1-line block ×3, first 2 shown]
	s_waitcnt vmcnt(0)
	v_sub_f32_e32 v1, v214, v1
	v_sub_f32_e32 v2, v181, v2
	buffer_store_dword v1, off, s[0:3], 0 offset:120
	buffer_store_dword v2, off, s[0:3], 0 offset:124
	v_cmpx_lt_u32_e32 14, v0
	s_cbranch_execz .LBB58_339
; %bb.338:
	s_clause 0x1
	buffer_load_dword v1, off, s[0:3], 0 offset:112
	buffer_load_dword v2, off, s[0:3], 0 offset:116
	buffer_store_dword v132, off, s[0:3], 0 offset:112
	buffer_store_dword v132, off, s[0:3], 0 offset:116
	s_waitcnt vmcnt(0)
	ds_write_b64 v131, v[1:2]
.LBB58_339:
	s_or_b32 exec_lo, exec_lo, s4
	s_waitcnt lgkmcnt(0)
	s_waitcnt_vscnt null, 0x0
	s_barrier
	buffer_gl0_inv
	s_clause 0x2b
	buffer_load_dword v153, off, s[0:3], 0 offset:124
	buffer_load_dword v154, off, s[0:3], 0 offset:132
	;; [unrolled: 1-line block ×44, first 2 shown]
	ds_read2_b64 v[9:12], v132 offset0:75 offset1:76
	s_clause 0x1
	buffer_load_dword v181, off, s[0:3], 0 offset:292
	buffer_load_dword v175, off, s[0:3], 0 offset:300
	ds_read2_b64 v[5:8], v132 offset0:77 offset1:78
	ds_read2_b64 v[1:4], v132 offset0:79 offset1:80
	s_clause 0x7
	buffer_load_dword v176, off, s[0:3], 0 offset:308
	buffer_load_dword v165, off, s[0:3], 0 offset:316
	;; [unrolled: 1-line block ×8, first 2 shown]
	ds_read2_b64 v[182:185], v132 offset0:81 offset1:82
	buffer_load_dword v193, off, s[0:3], 0 offset:116
	s_mov_b32 s4, exec_lo
	s_waitcnt vmcnt(54) lgkmcnt(3)
	v_mul_f32_e32 v191, v9, v153
	s_waitcnt vmcnt(53)
	v_mul_f32_e32 v192, v11, v154
	v_mul_f32_e32 v153, v10, v153
	;; [unrolled: 1-line block ×3, first 2 shown]
	s_waitcnt vmcnt(50)
	v_fmac_f32_e32 v191, v10, v139
	v_fmac_f32_e32 v192, v12, v138
	v_fma_f32 v139, v9, v139, -v153
	v_fma_f32 v138, v11, v138, -v154
	ds_read2_b64 v[9:12], v132 offset0:83 offset1:84
	s_waitcnt vmcnt(49) lgkmcnt(3)
	v_mul_f32_e32 v153, v5, v136
	v_mul_f32_e32 v136, v6, v136
	s_waitcnt vmcnt(48)
	v_mul_f32_e32 v154, v7, v135
	v_mul_f32_e32 v135, v8, v135
	s_waitcnt vmcnt(47) lgkmcnt(2)
	v_mul_f32_e32 v194, v1, v134
	v_fmac_f32_e32 v153, v6, v133
	v_fma_f32 v195, v5, v133, -v136
	s_waitcnt vmcnt(46)
	v_mul_f32_e32 v196, v3, v137
	v_mul_f32_e32 v133, v2, v134
	;; [unrolled: 1-line block ×3, first 2 shown]
	s_waitcnt vmcnt(42)
	v_fmac_f32_e32 v154, v8, v145
	v_fma_f32 v137, v7, v145, -v135
	ds_read2_b64 v[5:8], v132 offset0:85 offset1:86
	v_fmac_f32_e32 v194, v2, v144
	v_fmac_f32_e32 v196, v4, v142
	v_fma_f32 v144, v1, v144, -v133
	v_fma_f32 v142, v3, v142, -v134
	ds_read2_b64 v[1:4], v132 offset0:87 offset1:88
	s_waitcnt vmcnt(41) lgkmcnt(3)
	v_mul_f32_e32 v145, v182, v143
	v_mul_f32_e32 v133, v183, v143
	s_waitcnt vmcnt(40)
	v_mul_f32_e32 v143, v184, v141
	v_mul_f32_e32 v134, v185, v141
	s_waitcnt vmcnt(39) lgkmcnt(2)
	v_mul_f32_e32 v141, v9, v146
	v_fmac_f32_e32 v145, v183, v140
	v_fma_f32 v140, v182, v140, -v133
	s_waitcnt vmcnt(34)
	v_fmac_f32_e32 v143, v185, v155
	v_fma_f32 v155, v184, v155, -v134
	ds_read2_b64 v[133:136], v132 offset0:89 offset1:90
	v_mul_f32_e32 v182, v11, v147
	v_mul_f32_e32 v147, v12, v147
	;; [unrolled: 1-line block ×3, first 2 shown]
	v_fmac_f32_e32 v141, v10, v152
	s_waitcnt vmcnt(32) lgkmcnt(2)
	v_mul_f32_e32 v183, v7, v149
	v_fmac_f32_e32 v182, v12, v150
	v_fma_f32 v147, v11, v150, -v147
	v_mul_f32_e32 v150, v5, v151
	v_mul_f32_e32 v151, v6, v151
	;; [unrolled: 1-line block ×3, first 2 shown]
	v_fma_f32 v146, v9, v152, -v146
	ds_read2_b64 v[9:12], v132 offset0:91 offset1:92
	v_fmac_f32_e32 v150, v6, v148
	v_fma_f32 v148, v5, v148, -v151
	s_waitcnt vmcnt(31) lgkmcnt(2)
	v_mul_f32_e32 v151, v1, v156
	v_mul_f32_e32 v5, v2, v156
	buffer_load_dword v152, off, s[0:3], 0 offset:340
	s_waitcnt vmcnt(28)
	v_fmac_f32_e32 v183, v8, v169
	v_fma_f32 v149, v7, v169, -v149
	s_clause 0x3
	buffer_load_dword v156, off, s[0:3], 0 offset:360
	buffer_load_dword v169, off, s[0:3], 0 offset:352
	;; [unrolled: 1-line block ×4, first 2 shown]
	s_waitcnt vmcnt(31)
	v_mul_f32_e32 v197, v3, v168
	v_mul_f32_e32 v6, v4, v168
	v_fmac_f32_e32 v151, v2, v163
	v_fma_f32 v163, v1, v163, -v5
	s_waitcnt vmcnt(30) lgkmcnt(1)
	v_mul_f32_e32 v168, v133, v160
	s_waitcnt vmcnt(29)
	v_mul_f32_e32 v198, v135, v161
	v_mul_f32_e32 v1, v134, v160
	v_mul_f32_e32 v2, v136, v161
	s_clause 0x2
	buffer_load_dword v160, off, s[0:3], 0 offset:348
	buffer_load_dword v161, off, s[0:3], 0 offset:356
	;; [unrolled: 1-line block ×3, first 2 shown]
	v_fmac_f32_e32 v197, v4, v159
	v_fma_f32 v159, v3, v159, -v6
	v_fmac_f32_e32 v168, v134, v157
	v_fma_f32 v133, v133, v157, -v1
	s_waitcnt vmcnt(28)
	v_fma_f32 v134, v135, v180, -v2
	ds_read2_b64 v[1:4], v132 offset0:93 offset1:94
	s_waitcnt vmcnt(27) lgkmcnt(1)
	v_mul_f32_e32 v5, v10, v178
	v_add_f32_e32 v6, 0, v191
	v_fmac_f32_e32 v198, v136, v180
	v_add_f32_e32 v7, 0, v139
	v_mul_f32_e32 v135, v9, v178
	v_fma_f32 v136, v9, v174, -v5
	v_add_f32_e32 v5, v6, v192
	s_waitcnt vmcnt(26)
	v_mul_f32_e32 v157, v11, v177
	v_add_f32_e32 v6, v7, v138
	v_mul_f32_e32 v8, v12, v177
	v_fmac_f32_e32 v135, v10, v174
	v_add_f32_e32 v5, v5, v153
	s_clause 0x3
	buffer_load_dword v174, off, s[0:3], 0 offset:372
	buffer_load_dword v177, off, s[0:3], 0 offset:380
	;; [unrolled: 1-line block ×4, first 2 shown]
	v_add_f32_e32 v6, v6, v195
	v_fmac_f32_e32 v157, v12, v172
	v_fma_f32 v138, v11, v172, -v8
	v_add_f32_e32 v5, v5, v154
	s_clause 0x3
	buffer_load_dword v153, off, s[0:3], 0 offset:404
	buffer_load_dword v172, off, s[0:3], 0 offset:412
	;; [unrolled: 1-line block ×4, first 2 shown]
	v_add_f32_e32 v6, v6, v137
	s_waitcnt vmcnt(33) lgkmcnt(0)
	v_mul_f32_e32 v137, v1, v170
	v_mul_f32_e32 v7, v2, v170
	v_add_f32_e32 v5, v5, v194
	s_clause 0x3
	buffer_load_dword v154, off, s[0:3], 0 offset:436
	buffer_load_dword v195, off, s[0:3], 0 offset:444
	;; [unrolled: 1-line block ×4, first 2 shown]
	v_add_f32_e32 v6, v6, v144
	buffer_load_dword v170, off, s[0:3], 0 offset:468
	v_fmac_f32_e32 v137, v2, v166
	v_fma_f32 v139, v1, v166, -v7
	v_add_f32_e32 v5, v5, v196
	s_clause 0x3
	buffer_load_dword v166, off, s[0:3], 0 offset:392
	buffer_load_dword v194, off, s[0:3], 0 offset:384
	;; [unrolled: 1-line block ×4, first 2 shown]
	v_add_f32_e32 v1, v6, v142
	v_add_f32_e32 v5, v5, v145
	v_add_f32_e32 v6, v1, v140
	s_waitcnt vmcnt(41)
	v_mul_f32_e32 v140, v3, v164
	v_mul_f32_e32 v1, v4, v164
	v_add_f32_e32 v5, v5, v143
	v_add_f32_e32 v6, v6, v155
	s_waitcnt vmcnt(37)
	v_fmac_f32_e32 v140, v4, v179
	v_fma_f32 v142, v3, v179, -v1
	ds_read2_b64 v[1:4], v132 offset0:95 offset1:96
	s_clause 0x3
	buffer_load_dword v155, off, s[0:3], 0 offset:424
	buffer_load_dword v164, off, s[0:3], 0 offset:416
	;; [unrolled: 1-line block ×4, first 2 shown]
	v_add_f32_e32 v6, v6, v146
	v_add_f32_e32 v5, v5, v141
	;; [unrolled: 1-line block ×4, first 2 shown]
	ds_read2_b64 v[5:8], v132 offset0:97 offset1:98
	v_add_f32_e32 v9, v9, v148
	v_add_f32_e32 v10, v10, v150
	s_waitcnt vmcnt(40) lgkmcnt(1)
	v_mul_f32_e32 v141, v1, v173
	v_mul_f32_e32 v11, v2, v173
	s_waitcnt vmcnt(39)
	v_mul_f32_e32 v145, v3, v181
	v_fmac_f32_e32 v141, v2, v171
	v_fma_f32 v143, v1, v171, -v11
	v_add_f32_e32 v1, v9, v149
	s_clause 0x3
	buffer_load_dword v149, off, s[0:3], 0 offset:456
	buffer_load_dword v150, off, s[0:3], 0 offset:448
	;; [unrolled: 1-line block ×4, first 2 shown]
	v_add_f32_e32 v2, v10, v183
	v_mul_f32_e32 v9, v4, v181
	v_fmac_f32_e32 v145, v4, v167
	v_add_f32_e32 v1, v1, v163
	buffer_load_dword v163, off, s[0:3], 0 offset:464
	v_add_f32_e32 v2, v2, v151
	buffer_load_dword v151, off, s[0:3], 0 offset:112
	v_fma_f32 v146, v3, v167, -v9
	v_add_f32_e32 v1, v1, v159
	s_waitcnt vmcnt(44) lgkmcnt(0)
	v_mul_f32_e32 v147, v5, v175
	v_add_f32_e32 v10, v2, v197
	s_waitcnt vmcnt(43)
	v_mul_f32_e32 v148, v7, v176
	v_mul_f32_e32 v159, v8, v176
	v_add_f32_e32 v133, v1, v133
	ds_read2_b64 v[1:4], v132 offset0:99 offset1:100
	v_add_f32_e32 v144, v10, v168
	ds_read2_b64 v[9:12], v132 offset0:101 offset1:102
	v_fmac_f32_e32 v147, v6, v158
	v_add_f32_e32 v133, v133, v134
	v_mul_f32_e32 v134, v6, v175
	v_add_f32_e32 v144, v144, v198
	s_waitcnt vmcnt(36)
	v_fmac_f32_e32 v148, v8, v190
	v_fma_f32 v159, v7, v190, -v159
	v_add_f32_e32 v167, v133, v136
	v_fma_f32 v158, v5, v158, -v134
	v_add_f32_e32 v144, v144, v135
	ds_read2_b64 v[5:8], v132 offset0:103 offset1:104
	ds_read2_b64 v[133:136], v132 offset0:105 offset1:106
	v_add_f32_e32 v138, v167, v138
	v_add_f32_e32 v144, v144, v157
	;; [unrolled: 1-line block ×3, first 2 shown]
	s_waitcnt lgkmcnt(3)
	v_mul_f32_e32 v167, v1, v165
	v_add_f32_e32 v137, v144, v137
	v_mul_f32_e32 v165, v2, v165
	v_mul_f32_e32 v157, v3, v162
	v_add_f32_e32 v142, v138, v142
	v_mul_f32_e32 v162, v4, v162
	v_add_f32_e32 v176, v137, v140
	v_fma_f32 v165, v1, v189, -v165
	v_fmac_f32_e32 v167, v2, v189
	v_add_f32_e32 v182, v142, v143
	s_waitcnt lgkmcnt(2)
	v_mul_f32_e32 v144, v10, v186
	v_add_f32_e32 v176, v176, v141
	v_fma_f32 v162, v3, v188, -v162
	v_mul_f32_e32 v168, v9, v186
	v_add_f32_e32 v146, v182, v146
	v_fmac_f32_e32 v157, v4, v188
	v_add_f32_e32 v145, v176, v145
	v_fma_f32 v181, v9, v187, -v144
	v_fmac_f32_e32 v168, v10, v187
	ds_read2_b64 v[1:4], v132 offset0:107 offset1:108
	ds_read2_b64 v[137:140], v132 offset0:109 offset1:110
	v_add_f32_e32 v145, v145, v147
	s_waitcnt vmcnt(34)
	v_mul_f32_e32 v175, v11, v152
	v_mul_f32_e32 v152, v12, v152
	s_waitcnt vmcnt(30)
	v_fmac_f32_e32 v175, v12, v185
	v_fma_f32 v152, v11, v185, -v152
	ds_read2_b64 v[9:12], v132 offset0:111 offset1:112
	ds_read2_b64 v[141:144], v132 offset0:113 offset1:114
	s_waitcnt vmcnt(29) lgkmcnt(5)
	v_mul_f32_e32 v182, v5, v160
	v_mul_f32_e32 v160, v6, v160
	s_waitcnt vmcnt(28)
	v_mul_f32_e32 v176, v7, v161
	v_mul_f32_e32 v161, v8, v161
	v_fmac_f32_e32 v182, v6, v184
	v_add_f32_e32 v6, v146, v158
	v_fma_f32 v158, v5, v184, -v160
	v_fma_f32 v160, v7, v169, -v161
	v_add_f32_e32 v161, v145, v148
	v_fmac_f32_e32 v176, v8, v169
	v_add_f32_e32 v159, v6, v159
	ds_read2_b64 v[5:8], v132 offset0:115 offset1:116
	ds_read2_b64 v[145:148], v132 offset0:117 offset1:118
	s_waitcnt vmcnt(27) lgkmcnt(6)
	v_mul_f32_e32 v132, v133, v199
	v_add_f32_e32 v161, v161, v167
	v_add_f32_e32 v159, v159, v165
	v_mul_f32_e32 v165, v134, v199
	s_waitcnt vmcnt(26)
	v_mul_f32_e32 v169, v136, v174
	v_add_f32_e32 v157, v161, v157
	v_mul_f32_e32 v167, v135, v174
	v_add_f32_e32 v159, v159, v162
	v_fma_f32 v133, v133, v156, -v165
	v_fmac_f32_e32 v132, v134, v156
	v_add_f32_e32 v157, v157, v168
	s_waitcnt vmcnt(25) lgkmcnt(5)
	v_mul_f32_e32 v162, v1, v177
	v_add_f32_e32 v159, v159, v181
	s_waitcnt vmcnt(24)
	v_mul_f32_e32 v161, v3, v178
	s_waitcnt vmcnt(23) lgkmcnt(4)
	v_mul_f32_e32 v174, v137, v180
	v_add_f32_e32 v157, v157, v175
	s_waitcnt vmcnt(22)
	v_mul_f32_e32 v181, v139, v153
	v_add_f32_e32 v152, v159, v152
	s_waitcnt vmcnt(21) lgkmcnt(3)
	v_mul_f32_e32 v168, v9, v172
	s_waitcnt vmcnt(20)
	v_mul_f32_e32 v183, v11, v191
	v_add_f32_e32 v157, v157, v182
	s_waitcnt vmcnt(12)
	v_fmac_f32_e32 v161, v4, v194
	v_add_f32_e32 v152, v152, v158
	s_waitcnt vmcnt(10)
	v_fma_f32 v135, v135, v202, -v169
	v_fmac_f32_e32 v167, v136, v202
	v_add_f32_e32 v156, v157, v176
	v_mul_f32_e32 v157, v2, v177
	v_add_f32_e32 v152, v152, v160
	v_mul_f32_e32 v136, v4, v178
	v_fmac_f32_e32 v162, v2, v196
	v_add_f32_e32 v132, v156, v132
	v_fma_f32 v1, v1, v196, -v157
	v_add_f32_e32 v133, v152, v133
	v_fma_f32 v3, v3, v194, -v136
	v_mul_f32_e32 v4, v140, v153
	v_add_f32_e32 v132, v132, v167
	v_fmac_f32_e32 v174, v138, v166
	v_add_f32_e32 v2, v133, v135
	v_mul_f32_e32 v133, v138, v180
	s_waitcnt vmcnt(6)
	v_fma_f32 v4, v139, v203, -v4
	v_fmac_f32_e32 v181, v140, v203
	v_fmac_f32_e32 v168, v10, v179
	v_add_f32_e32 v1, v2, v1
	v_add_f32_e32 v2, v132, v162
	v_fma_f32 v132, v137, v166, -v133
	s_waitcnt lgkmcnt(2)
	v_mul_f32_e32 v159, v141, v192
	v_fmac_f32_e32 v183, v12, v164
	v_add_f32_e32 v1, v1, v3
	v_add_f32_e32 v2, v2, v161
	v_mul_f32_e32 v3, v10, v172
	v_mul_f32_e32 v175, v143, v154
	v_fmac_f32_e32 v159, v142, v155
	v_add_f32_e32 v1, v1, v132
	v_add_f32_e32 v2, v2, v174
	v_mul_f32_e32 v132, v12, v191
	v_fma_f32 v3, v9, v179, -v3
	s_waitcnt lgkmcnt(1)
	v_mul_f32_e32 v184, v5, v195
	v_add_f32_e32 v1, v1, v4
	v_add_f32_e32 v2, v2, v181
	v_mul_f32_e32 v4, v142, v192
	v_fma_f32 v9, v11, v164, -v132
	v_mul_f32_e32 v158, v7, v200
	v_add_f32_e32 v1, v1, v3
	v_add_f32_e32 v2, v2, v168
	v_mul_f32_e32 v3, v144, v154
	v_fma_f32 v4, v141, v155, -v4
	s_waitcnt vmcnt(2)
	v_fmac_f32_e32 v175, v144, v173
	v_add_f32_e32 v1, v1, v9
	v_add_f32_e32 v2, v2, v183
	v_mul_f32_e32 v9, v6, v195
	v_fma_f32 v3, v143, v173, -v3
	v_fmac_f32_e32 v184, v6, v171
	v_add_f32_e32 v1, v1, v4
	v_add_f32_e32 v2, v2, v159
	v_mul_f32_e32 v4, v8, v200
	v_fma_f32 v5, v5, v171, -v9
	s_waitcnt lgkmcnt(0)
	v_mul_f32_e32 v182, v145, v201
	v_add_f32_e32 v1, v1, v3
	v_add_f32_e32 v2, v2, v175
	v_mul_f32_e32 v3, v146, v201
	v_fma_f32 v4, v7, v150, -v4
	v_fmac_f32_e32 v158, v8, v150
	v_add_f32_e32 v1, v1, v5
	v_add_f32_e32 v2, v2, v184
	v_mul_f32_e32 v5, v148, v170
	v_fma_f32 v3, v145, v149, -v3
	v_mul_f32_e32 v134, v147, v170
	v_add_f32_e32 v1, v1, v4
	v_fmac_f32_e32 v182, v146, v149
	v_add_f32_e32 v2, v2, v158
	s_waitcnt vmcnt(1)
	v_fma_f32 v4, v147, v163, -v5
	v_fmac_f32_e32 v134, v148, v163
	v_add_f32_e32 v1, v1, v3
	v_add_f32_e32 v2, v2, v182
	;; [unrolled: 1-line block ×4, first 2 shown]
	s_waitcnt vmcnt(0)
	v_sub_f32_e32 v1, v151, v1
	v_sub_f32_e32 v2, v193, v2
	buffer_store_dword v1, off, s[0:3], 0 offset:112
	buffer_store_dword v2, off, s[0:3], 0 offset:116
	v_cmpx_lt_u32_e32 13, v0
	s_cbranch_execz .LBB58_341
; %bb.340:
	s_clause 0x1
	buffer_load_dword v1, off, s[0:3], 0 offset:104
	buffer_load_dword v2, off, s[0:3], 0 offset:108
	v_mov_b32_e32 v3, 0
	buffer_store_dword v3, off, s[0:3], 0 offset:104
	buffer_store_dword v3, off, s[0:3], 0 offset:108
	s_waitcnt vmcnt(0)
	ds_write_b64 v131, v[1:2]
.LBB58_341:
	s_or_b32 exec_lo, exec_lo, s4
	s_waitcnt lgkmcnt(0)
	s_waitcnt_vscnt null, 0x0
	s_barrier
	buffer_gl0_inv
	s_clause 0x2b
	buffer_load_dword v134, off, s[0:3], 0 offset:116
	buffer_load_dword v135, off, s[0:3], 0 offset:124
	;; [unrolled: 1-line block ×44, first 2 shown]
	v_mov_b32_e32 v132, 0
	ds_read_b128 v[9:12], v132 offset:592
	ds_read_b128 v[5:8], v132 offset:608
	s_clause 0x1
	buffer_load_dword v181, off, s[0:3], 0 offset:284
	buffer_load_dword v176, off, s[0:3], 0 offset:292
	ds_read_b128 v[1:4], v132 offset:624
	s_clause 0x9
	buffer_load_dword v175, off, s[0:3], 0 offset:300
	buffer_load_dword v163, off, s[0:3], 0 offset:308
	;; [unrolled: 1-line block ×10, first 2 shown]
	ds_read_b128 v[183:186], v132 offset:640
	s_mov_b32 s4, exec_lo
	s_waitcnt vmcnt(55) lgkmcnt(3)
	v_mul_f32_e32 v193, v9, v134
	v_mul_f32_e32 v134, v10, v134
	s_waitcnt vmcnt(54)
	v_mul_f32_e32 v194, v11, v135
	v_mul_f32_e32 v135, v12, v135
	s_waitcnt vmcnt(51)
	v_fmac_f32_e32 v193, v10, v140
	v_fma_f32 v140, v9, v140, -v134
	s_waitcnt vmcnt(50) lgkmcnt(2)
	v_mul_f32_e32 v195, v5, v139
	v_mul_f32_e32 v134, v6, v139
	v_fmac_f32_e32 v194, v12, v136
	v_fma_f32 v139, v11, v136, -v135
	ds_read_b128 v[9:12], v132 offset:656
	s_waitcnt vmcnt(49)
	v_mul_f32_e32 v196, v7, v137
	v_mul_f32_e32 v135, v8, v137
	v_fmac_f32_e32 v195, v6, v133
	v_fma_f32 v137, v5, v133, -v134
	s_waitcnt vmcnt(48) lgkmcnt(2)
	v_mul_f32_e32 v197, v1, v138
	v_mul_f32_e32 v133, v2, v138
	s_waitcnt vmcnt(44)
	v_fmac_f32_e32 v196, v8, v147
	v_fma_f32 v138, v7, v147, -v135
	ds_read_b128 v[5:8], v132 offset:672
	s_waitcnt vmcnt(43)
	v_mul_f32_e32 v147, v3, v146
	v_mul_f32_e32 v134, v4, v146
	v_fmac_f32_e32 v197, v2, v144
	v_fma_f32 v144, v1, v144, -v133
	s_waitcnt vmcnt(42) lgkmcnt(2)
	v_mul_f32_e32 v146, v183, v145
	v_mul_f32_e32 v133, v184, v145
	v_fmac_f32_e32 v147, v4, v142
	v_fma_f32 v142, v3, v142, -v134
	ds_read_b128 v[1:4], v132 offset:688
	s_waitcnt vmcnt(41)
	v_mul_f32_e32 v145, v185, v143
	v_mul_f32_e32 v134, v186, v143
	v_fmac_f32_e32 v146, v184, v141
	v_fma_f32 v141, v183, v141, -v133
	s_waitcnt vmcnt(40) lgkmcnt(2)
	v_mul_f32_e32 v143, v9, v148
	s_waitcnt vmcnt(36)
	v_fmac_f32_e32 v145, v186, v155
	v_fma_f32 v155, v185, v155, -v134
	ds_read_b128 v[133:136], v132 offset:704
	v_mul_f32_e32 v148, v10, v148
	s_waitcnt vmcnt(35)
	v_mul_f32_e32 v183, v11, v154
	v_mul_f32_e32 v154, v12, v154
	v_fmac_f32_e32 v143, v10, v152
	v_fma_f32 v148, v9, v152, -v148
	s_waitcnt vmcnt(34) lgkmcnt(2)
	v_mul_f32_e32 v152, v5, v153
	v_mul_f32_e32 v153, v6, v153
	v_fmac_f32_e32 v183, v12, v150
	v_fma_f32 v150, v11, v150, -v154
	s_waitcnt vmcnt(33)
	v_mul_f32_e32 v154, v7, v151
	v_mul_f32_e32 v151, v8, v151
	v_fmac_f32_e32 v152, v6, v149
	v_fma_f32 v149, v5, v149, -v153
	s_waitcnt vmcnt(32) lgkmcnt(1)
	v_mul_f32_e32 v153, v1, v156
	v_mul_f32_e32 v5, v2, v156
	ds_read_b128 v[9:12], v132 offset:720
	s_waitcnt vmcnt(28)
	v_fmac_f32_e32 v154, v8, v169
	v_fma_f32 v151, v7, v169, -v151
	s_clause 0x3
	buffer_load_dword v156, off, s[0:3], 0 offset:352
	buffer_load_dword v169, off, s[0:3], 0 offset:344
	buffer_load_dword v184, off, s[0:3], 0 offset:336
	buffer_load_dword v185, off, s[0:3], 0 offset:328
	s_waitcnt vmcnt(31)
	v_mul_f32_e32 v186, v3, v167
	v_mul_f32_e32 v6, v4, v167
	v_fmac_f32_e32 v153, v2, v165
	v_fma_f32 v165, v1, v165, -v5
	s_waitcnt vmcnt(30) lgkmcnt(1)
	v_mul_f32_e32 v167, v133, v161
	s_waitcnt vmcnt(29)
	v_mul_f32_e32 v198, v135, v162
	v_mul_f32_e32 v1, v134, v161
	;; [unrolled: 1-line block ×3, first 2 shown]
	s_clause 0x2
	buffer_load_dword v161, off, s[0:3], 0 offset:340
	buffer_load_dword v162, off, s[0:3], 0 offset:348
	buffer_load_dword v199, off, s[0:3], 0 offset:356
	v_fmac_f32_e32 v186, v4, v159
	v_fma_f32 v159, v3, v159, -v6
	v_fmac_f32_e32 v167, v134, v158
	v_fma_f32 v133, v133, v158, -v1
	s_waitcnt vmcnt(28)
	v_fma_f32 v134, v135, v180, -v2
	ds_read_b128 v[1:4], v132 offset:736
	v_add_f32_e32 v5, 0, v193
	s_waitcnt vmcnt(27) lgkmcnt(1)
	v_mul_f32_e32 v6, v10, v177
	v_add_f32_e32 v8, 0, v140
	v_fmac_f32_e32 v198, v136, v180
	v_mul_f32_e32 v135, v9, v177
	v_add_f32_e32 v5, v5, v194
	v_fma_f32 v140, v9, v174, -v6
	v_add_f32_e32 v6, v8, v139
	s_waitcnt vmcnt(26)
	v_mul_f32_e32 v136, v11, v178
	v_mul_f32_e32 v7, v12, v178
	v_add_f32_e32 v5, v5, v195
	v_fmac_f32_e32 v135, v10, v174
	v_add_f32_e32 v6, v6, v137
	v_fmac_f32_e32 v136, v12, v173
	v_fma_f32 v158, v11, v173, -v7
	v_add_f32_e32 v5, v5, v196
	s_clause 0x7
	buffer_load_dword v173, off, s[0:3], 0 offset:364
	buffer_load_dword v174, off, s[0:3], 0 offset:372
	;; [unrolled: 1-line block ×8, first 2 shown]
	v_add_f32_e32 v6, v6, v138
	s_clause 0x1
	buffer_load_dword v196, off, s[0:3], 0 offset:396
	buffer_load_dword v200, off, s[0:3], 0 offset:404
	s_waitcnt vmcnt(35) lgkmcnt(0)
	v_mul_f32_e32 v137, v1, v170
	v_mul_f32_e32 v7, v2, v170
	v_add_f32_e32 v5, v5, v197
	s_waitcnt vmcnt(34)
	v_mul_f32_e32 v139, v3, v166
	s_clause 0x1
	buffer_load_dword v170, off, s[0:3], 0 offset:412
	buffer_load_dword v197, off, s[0:3], 0 offset:420
	v_fmac_f32_e32 v137, v2, v168
	v_fma_f32 v138, v1, v168, -v7
	v_add_f32_e32 v1, v6, v144
	v_add_f32_e32 v2, v5, v147
	s_clause 0x3
	buffer_load_dword v168, off, s[0:3], 0 offset:428
	buffer_load_dword v201, off, s[0:3], 0 offset:436
	;; [unrolled: 1-line block ×4, first 2 shown]
	s_waitcnt vmcnt(36)
	v_fmac_f32_e32 v139, v4, v179
	buffer_load_dword v204, off, s[0:3], 0 offset:460
	v_add_f32_e32 v1, v1, v142
	v_add_f32_e32 v5, v2, v146
	v_mul_f32_e32 v2, v4, v166
	buffer_load_dword v166, off, s[0:3], 0 offset:468
	v_add_f32_e32 v6, v1, v141
	v_add_f32_e32 v5, v5, v145
	v_fma_f32 v141, v3, v179, -v2
	ds_read_b128 v[1:4], v132 offset:752
	v_add_f32_e32 v6, v6, v155
	v_add_f32_e32 v5, v5, v143
	s_clause 0x3
	buffer_load_dword v155, off, s[0:3], 0 offset:416
	buffer_load_dword v179, off, s[0:3], 0 offset:408
	;; [unrolled: 1-line block ×4, first 2 shown]
	v_add_f32_e32 v6, v6, v148
	v_add_f32_e32 v5, v5, v183
	;; [unrolled: 1-line block ×4, first 2 shown]
	ds_read_b128 v[5:8], v132 offset:768
	v_add_f32_e32 v9, v9, v149
	v_add_f32_e32 v10, v10, v154
	s_waitcnt vmcnt(41) lgkmcnt(1)
	v_mul_f32_e32 v142, v1, v172
	v_mul_f32_e32 v11, v2, v172
	s_waitcnt vmcnt(40)
	v_mul_f32_e32 v144, v3, v181
	v_fmac_f32_e32 v142, v2, v171
	v_fma_f32 v143, v1, v171, -v11
	v_add_f32_e32 v1, v9, v151
	v_add_f32_e32 v2, v10, v153
	s_clause 0x3
	buffer_load_dword v151, off, s[0:3], 0 offset:448
	buffer_load_dword v152, off, s[0:3], 0 offset:440
	;; [unrolled: 1-line block ×4, first 2 shown]
	v_mul_f32_e32 v9, v4, v181
	v_fmac_f32_e32 v144, v4, v164
	v_add_f32_e32 v1, v1, v165
	s_clause 0x1
	buffer_load_dword v165, off, s[0:3], 0 offset:464
	buffer_load_dword v171, off, s[0:3], 0 offset:456
	v_add_f32_e32 v2, v2, v186
	s_waitcnt vmcnt(45) lgkmcnt(0)
	v_mul_f32_e32 v146, v5, v176
	s_waitcnt vmcnt(44)
	v_mul_f32_e32 v147, v7, v175
	v_add_f32_e32 v1, v1, v159
	buffer_load_dword v159, off, s[0:3], 0 offset:104
	v_add_f32_e32 v2, v2, v167
	v_fma_f32 v145, v3, v164, -v9
	v_fmac_f32_e32 v146, v6, v157
	v_add_f32_e32 v10, v1, v133
	s_waitcnt vmcnt(38)
	v_fmac_f32_e32 v147, v8, v191
	v_add_f32_e32 v133, v2, v198
	ds_read_b128 v[1:4], v132 offset:784
	v_add_f32_e32 v134, v10, v134
	ds_read_b128 v[9:12], v132 offset:800
	v_add_f32_e32 v133, v133, v135
	v_mul_f32_e32 v135, v6, v176
	v_add_f32_e32 v134, v134, v140
	v_mul_f32_e32 v140, v8, v175
	v_add_f32_e32 v149, v133, v136
	v_fma_f32 v148, v5, v157, -v135
	v_fma_f32 v150, v7, v191, -v140
	v_add_f32_e32 v140, v134, v158
	v_add_f32_e32 v137, v149, v137
	ds_read_b128 v[5:8], v132 offset:816
	ds_read_b128 v[133:136], v132 offset:832
	v_add_f32_e32 v138, v140, v138
	v_add_f32_e32 v137, v137, v139
	s_waitcnt lgkmcnt(3)
	v_mul_f32_e32 v157, v2, v163
	v_mul_f32_e32 v149, v1, v163
	;; [unrolled: 1-line block ×3, first 2 shown]
	v_add_f32_e32 v138, v138, v141
	v_add_f32_e32 v142, v137, v142
	v_fma_f32 v157, v1, v190, -v157
	v_mul_f32_e32 v158, v3, v160
	v_fmac_f32_e32 v149, v2, v190
	v_add_f32_e32 v143, v138, v143
	v_add_f32_e32 v175, v142, v144
	s_waitcnt lgkmcnt(2)
	v_mul_f32_e32 v141, v10, v188
	v_fma_f32 v164, v3, v189, -v140
	v_mul_f32_e32 v160, v9, v188
	v_add_f32_e32 v145, v143, v145
	v_add_f32_e32 v146, v175, v146
	v_fmac_f32_e32 v158, v4, v189
	s_waitcnt vmcnt(37)
	v_mul_f32_e32 v167, v12, v192
	v_fma_f32 v172, v9, v187, -v141
	v_add_f32_e32 v145, v145, v148
	v_mul_f32_e32 v163, v11, v192
	v_fmac_f32_e32 v160, v10, v187
	ds_read_b128 v[1:4], v132 offset:848
	ds_read_b128 v[137:140], v132 offset:864
	v_add_f32_e32 v145, v145, v150
	v_add_f32_e32 v157, v145, v157
	;; [unrolled: 1-line block ×4, first 2 shown]
	s_waitcnt vmcnt(32)
	v_fma_f32 v167, v11, v185, -v167
	v_fmac_f32_e32 v163, v12, v185
	ds_read_b128 v[9:12], v132 offset:880
	ds_read_b128 v[141:144], v132 offset:896
	v_add_f32_e32 v157, v157, v167
	s_waitcnt vmcnt(31) lgkmcnt(5)
	v_mul_f32_e32 v175, v5, v161
	s_waitcnt vmcnt(30)
	v_mul_f32_e32 v176, v7, v162
	v_mul_f32_e32 v148, v6, v161
	v_mul_f32_e32 v161, v8, v162
	s_waitcnt vmcnt(29) lgkmcnt(4)
	v_mul_f32_e32 v181, v134, v199
	v_fmac_f32_e32 v175, v6, v184
	v_add_f32_e32 v6, v146, v147
	v_fmac_f32_e32 v176, v8, v169
	v_fma_f32 v161, v7, v169, -v161
	v_fma_f32 v162, v5, v184, -v148
	v_add_f32_e32 v169, v6, v149
	ds_read_b128 v[5:8], v132 offset:912
	ds_read_b128 v[145:148], v132 offset:928
	ds_read_b64 v[149:150], v132 offset:944
	v_add_f32_e32 v157, v157, v162
	v_add_f32_e32 v158, v169, v158
	v_mul_f32_e32 v169, v133, v199
	v_fma_f32 v133, v133, v156, -v181
	s_waitcnt vmcnt(28)
	v_mul_f32_e32 v164, v135, v173
	v_mul_f32_e32 v173, v136, v173
	v_add_f32_e32 v158, v158, v160
	v_fmac_f32_e32 v169, v134, v156
	v_add_f32_e32 v157, v157, v161
	s_waitcnt vmcnt(27) lgkmcnt(6)
	v_mul_f32_e32 v160, v1, v174
	v_mul_f32_e32 v167, v2, v174
	v_add_f32_e32 v156, v158, v163
	s_waitcnt vmcnt(21)
	v_fma_f32 v135, v135, v195, -v173
	v_add_f32_e32 v133, v157, v133
	v_fmac_f32_e32 v164, v136, v195
	v_mul_f32_e32 v161, v4, v177
	v_add_f32_e32 v156, v156, v175
	v_fmac_f32_e32 v160, v2, v194
	v_fma_f32 v1, v1, v194, -v167
	v_add_f32_e32 v2, v133, v135
	v_mul_f32_e32 v172, v3, v177
	v_add_f32_e32 v156, v156, v176
	s_waitcnt lgkmcnt(5)
	v_mul_f32_e32 v135, v138, v178
	v_fma_f32 v3, v3, v193, -v161
	v_add_f32_e32 v1, v2, v1
	v_mul_f32_e32 v134, v137, v178
	v_add_f32_e32 v156, v156, v169
	v_fmac_f32_e32 v172, v4, v193
	s_waitcnt vmcnt(20)
	v_mul_f32_e32 v4, v140, v196
	v_add_f32_e32 v1, v1, v3
	v_mul_f32_e32 v158, v139, v196
	v_add_f32_e32 v133, v156, v164
	v_fmac_f32_e32 v134, v138, v180
	s_waitcnt vmcnt(19) lgkmcnt(4)
	v_mul_f32_e32 v3, v10, v200
	v_mul_f32_e32 v163, v9, v200
	s_waitcnt vmcnt(18)
	v_mul_f32_e32 v136, v11, v170
	v_add_f32_e32 v2, v133, v160
	v_fma_f32 v133, v137, v180, -v135
	s_waitcnt vmcnt(7)
	v_fma_f32 v4, v139, v206, -v4
	v_fmac_f32_e32 v158, v140, v206
	v_fma_f32 v3, v9, v205, -v3
	v_add_f32_e32 v2, v2, v172
	v_add_f32_e32 v1, v1, v133
	v_mul_f32_e32 v133, v12, v170
	v_fmac_f32_e32 v163, v10, v205
	s_waitcnt lgkmcnt(3)
	v_mul_f32_e32 v173, v141, v197
	v_add_f32_e32 v2, v2, v134
	v_add_f32_e32 v1, v1, v4
	v_mul_f32_e32 v4, v142, v197
	v_fma_f32 v9, v11, v179, -v133
	v_fmac_f32_e32 v136, v12, v179
	v_add_f32_e32 v2, v2, v158
	v_add_f32_e32 v1, v1, v3
	v_mul_f32_e32 v3, v144, v168
	v_fma_f32 v4, v141, v155, -v4
	v_mul_f32_e32 v162, v143, v168
	v_add_f32_e32 v2, v2, v163
	v_add_f32_e32 v1, v1, v9
	v_fmac_f32_e32 v173, v142, v155
	s_waitcnt lgkmcnt(2)
	v_mul_f32_e32 v9, v6, v201
	v_mul_f32_e32 v174, v5, v201
	v_add_f32_e32 v2, v2, v136
	s_waitcnt vmcnt(3)
	v_fma_f32 v3, v143, v154, -v3
	v_add_f32_e32 v1, v1, v4
	v_fmac_f32_e32 v162, v144, v154
	v_mul_f32_e32 v4, v8, v202
	v_add_f32_e32 v2, v2, v173
	v_fma_f32 v5, v5, v153, -v9
	v_add_f32_e32 v1, v1, v3
	v_mul_f32_e32 v175, v7, v202
	v_fmac_f32_e32 v174, v6, v153
	v_add_f32_e32 v2, v2, v162
	s_waitcnt lgkmcnt(1)
	v_mul_f32_e32 v3, v146, v203
	v_fma_f32 v4, v7, v152, -v4
	v_add_f32_e32 v1, v1, v5
	v_mul_f32_e32 v176, v145, v203
	v_fmac_f32_e32 v175, v8, v152
	v_add_f32_e32 v2, v2, v174
	v_mul_f32_e32 v5, v148, v204
	v_fma_f32 v3, v145, v151, -v3
	v_add_f32_e32 v1, v1, v4
	v_mul_f32_e32 v177, v147, v204
	v_fmac_f32_e32 v176, v146, v151
	v_add_f32_e32 v2, v2, v175
	s_waitcnt lgkmcnt(0)
	v_mul_f32_e32 v4, v150, v166
	s_waitcnt vmcnt(1)
	v_fma_f32 v5, v147, v171, -v5
	v_add_f32_e32 v1, v1, v3
	v_mul_f32_e32 v157, v149, v166
	v_fmac_f32_e32 v177, v148, v171
	v_add_f32_e32 v2, v2, v176
	v_fma_f32 v3, v149, v165, -v4
	v_add_f32_e32 v1, v1, v5
	v_fmac_f32_e32 v157, v150, v165
	v_add_f32_e32 v2, v2, v177
	v_add_f32_e32 v1, v1, v3
	;; [unrolled: 1-line block ×3, first 2 shown]
	s_waitcnt vmcnt(0)
	v_sub_f32_e32 v1, v159, v1
	v_sub_f32_e32 v2, v182, v2
	buffer_store_dword v1, off, s[0:3], 0 offset:104
	buffer_store_dword v2, off, s[0:3], 0 offset:108
	v_cmpx_lt_u32_e32 12, v0
	s_cbranch_execz .LBB58_343
; %bb.342:
	s_clause 0x1
	buffer_load_dword v1, off, s[0:3], 0 offset:96
	buffer_load_dword v2, off, s[0:3], 0 offset:100
	buffer_store_dword v132, off, s[0:3], 0 offset:96
	buffer_store_dword v132, off, s[0:3], 0 offset:100
	s_waitcnt vmcnt(0)
	ds_write_b64 v131, v[1:2]
.LBB58_343:
	s_or_b32 exec_lo, exec_lo, s4
	s_waitcnt lgkmcnt(0)
	s_waitcnt_vscnt null, 0x0
	s_barrier
	buffer_gl0_inv
	s_clause 0x2c
	buffer_load_dword v173, off, s[0:3], 0 offset:108
	buffer_load_dword v174, off, s[0:3], 0 offset:116
	;; [unrolled: 1-line block ×45, first 2 shown]
	ds_read2_b64 v[5:8], v132 offset0:73 offset1:74
	buffer_load_dword v167, off, s[0:3], 0 offset:284
	ds_read2_b64 v[1:4], v132 offset0:75 offset1:76
	ds_read2_b64 v[183:186], v132 offset0:77 offset1:78
	s_clause 0x7
	buffer_load_dword v181, off, s[0:3], 0 offset:292
	buffer_load_dword v179, off, s[0:3], 0 offset:300
	;; [unrolled: 1-line block ×8, first 2 shown]
	ds_read2_b64 v[187:190], v132 offset0:79 offset1:80
	s_mov_b32 s4, exec_lo
	s_waitcnt vmcnt(53) lgkmcnt(3)
	v_mul_f32_e32 v191, v5, v173
	s_waitcnt vmcnt(52)
	v_mul_f32_e32 v192, v7, v174
	v_mul_f32_e32 v193, v6, v173
	;; [unrolled: 1-line block ×3, first 2 shown]
	buffer_load_dword v173, off, s[0:3], 0 offset:100
	s_waitcnt vmcnt(50)
	v_fmac_f32_e32 v191, v6, v135
	v_fmac_f32_e32 v192, v8, v134
	v_fma_f32 v193, v5, v135, -v193
	v_fma_f32 v174, v7, v134, -v174
	ds_read2_b64 v[5:8], v132 offset0:81 offset1:82
	s_waitcnt vmcnt(49) lgkmcnt(3)
	v_mul_f32_e32 v194, v1, v12
	v_mul_f32_e32 v12, v2, v12
	s_waitcnt vmcnt(48)
	v_mul_f32_e32 v195, v3, v11
	v_mul_f32_e32 v11, v4, v11
	s_waitcnt vmcnt(47) lgkmcnt(2)
	v_mul_f32_e32 v196, v183, v10
	v_fmac_f32_e32 v194, v2, v9
	v_fma_f32 v197, v1, v9, -v12
	s_waitcnt vmcnt(46)
	v_mul_f32_e32 v198, v185, v133
	v_mul_f32_e32 v9, v184, v10
	;; [unrolled: 1-line block ×3, first 2 shown]
	s_waitcnt vmcnt(42)
	v_fmac_f32_e32 v195, v4, v141
	v_fma_f32 v141, v3, v141, -v11
	ds_read2_b64 v[1:4], v132 offset0:83 offset1:84
	v_fmac_f32_e32 v196, v184, v140
	v_fmac_f32_e32 v198, v186, v138
	v_fma_f32 v140, v183, v140, -v9
	v_fma_f32 v138, v185, v138, -v10
	ds_read2_b64 v[9:12], v132 offset0:85 offset1:86
	s_waitcnt vmcnt(41) lgkmcnt(3)
	v_mul_f32_e32 v183, v187, v139
	v_mul_f32_e32 v133, v188, v139
	s_waitcnt vmcnt(40)
	v_mul_f32_e32 v139, v189, v137
	v_mul_f32_e32 v134, v190, v137
	s_waitcnt vmcnt(39) lgkmcnt(2)
	v_mul_f32_e32 v137, v5, v142
	v_fmac_f32_e32 v183, v188, v136
	v_fma_f32 v184, v187, v136, -v133
	s_waitcnt vmcnt(34)
	v_fmac_f32_e32 v139, v190, v149
	v_fma_f32 v149, v189, v149, -v134
	ds_read2_b64 v[133:136], v132 offset0:87 offset1:88
	v_mul_f32_e32 v185, v7, v143
	v_mul_f32_e32 v142, v6, v142
	;; [unrolled: 1-line block ×3, first 2 shown]
	v_fmac_f32_e32 v137, v6, v148
	v_fmac_f32_e32 v185, v8, v146
	v_fma_f32 v142, v5, v148, -v142
	v_fma_f32 v143, v7, v146, -v143
	ds_read2_b64 v[5:8], v132 offset0:89 offset1:90
	s_waitcnt vmcnt(33) lgkmcnt(3)
	v_mul_f32_e32 v146, v1, v147
	v_mul_f32_e32 v147, v2, v147
	s_waitcnt vmcnt(32)
	v_mul_f32_e32 v148, v3, v145
	v_mul_f32_e32 v145, v4, v145
	s_waitcnt vmcnt(31) lgkmcnt(2)
	v_mul_f32_e32 v186, v9, v150
	v_fmac_f32_e32 v146, v2, v144
	v_fma_f32 v144, v1, v144, -v147
	s_waitcnt vmcnt(30)
	v_mul_f32_e32 v147, v11, v151
	v_mul_f32_e32 v151, v12, v151
	s_waitcnt vmcnt(26)
	v_fmac_f32_e32 v148, v4, v158
	v_fma_f32 v145, v3, v158, -v145
	ds_read2_b64 v[1:4], v132 offset0:91 offset1:92
	v_mul_f32_e32 v150, v10, v150
	v_fmac_f32_e32 v147, v12, v155
	v_fma_f32 v151, v11, v155, -v151
	s_waitcnt vmcnt(25) lgkmcnt(2)
	v_mul_f32_e32 v155, v133, v153
	v_mul_f32_e32 v153, v134, v153
	v_fmac_f32_e32 v186, v10, v157
	v_fma_f32 v150, v9, v157, -v150
	ds_read2_b64 v[9:12], v132 offset0:93 offset1:94
	v_fmac_f32_e32 v155, v134, v152
	v_fma_f32 v133, v133, v152, -v153
	s_clause 0x1
	buffer_load_dword v152, off, s[0:3], 0 offset:324
	buffer_load_dword v153, off, s[0:3], 0 offset:332
	s_waitcnt vmcnt(26)
	v_mul_f32_e32 v157, v135, v154
	v_mul_f32_e32 v154, v136, v154
	s_waitcnt vmcnt(25) lgkmcnt(2)
	v_mul_f32_e32 v158, v5, v159
	v_mul_f32_e32 v159, v6, v159
	s_waitcnt vmcnt(21)
	v_fmac_f32_e32 v157, v136, v166
	v_fma_f32 v134, v135, v166, -v154
	s_waitcnt vmcnt(20)
	v_mul_f32_e32 v135, v7, v165
	v_mul_f32_e32 v136, v8, v165
	v_fmac_f32_e32 v158, v6, v164
	v_fma_f32 v154, v5, v164, -v159
	s_clause 0x3
	buffer_load_dword v159, off, s[0:3], 0 offset:344
	buffer_load_dword v164, off, s[0:3], 0 offset:336
	;; [unrolled: 1-line block ×4, first 2 shown]
	v_fmac_f32_e32 v135, v8, v161
	v_fma_f32 v136, v7, v161, -v136
	s_waitcnt vmcnt(23) lgkmcnt(1)
	v_mul_f32_e32 v161, v1, v162
	s_waitcnt vmcnt(22)
	v_mul_f32_e32 v187, v3, v163
	v_mul_f32_e32 v5, v2, v162
	;; [unrolled: 1-line block ×3, first 2 shown]
	s_clause 0x1
	buffer_load_dword v162, off, s[0:3], 0 offset:340
	buffer_load_dword v163, off, s[0:3], 0 offset:348
	s_waitcnt vmcnt(18) lgkmcnt(0)
	v_mul_f32_e32 v190, v11, v171
	v_fmac_f32_e32 v187, v4, v172
	v_fmac_f32_e32 v161, v2, v160
	v_fma_f32 v172, v3, v172, -v6
	v_mul_f32_e32 v6, v12, v171
	v_fma_f32 v160, v1, v160, -v5
	v_mul_f32_e32 v189, v9, v170
	v_mul_f32_e32 v5, v10, v170
	v_fmac_f32_e32 v190, v12, v168
	v_fma_f32 v168, v11, v168, -v6
	v_add_f32_e32 v6, 0, v193
	v_fmac_f32_e32 v189, v10, v169
	v_fma_f32 v169, v9, v169, -v5
	v_add_f32_e32 v5, 0, v191
	buffer_load_dword v188, off, s[0:3], 0 offset:356
	v_add_f32_e32 v6, v6, v174
	ds_read2_b64 v[1:4], v132 offset0:95 offset1:96
	s_clause 0x3
	buffer_load_dword v170, off, s[0:3], 0 offset:376
	buffer_load_dword v171, off, s[0:3], 0 offset:368
	;; [unrolled: 1-line block ×4, first 2 shown]
	v_add_f32_e32 v5, v5, v192
	s_clause 0x2
	buffer_load_dword v192, off, s[0:3], 0 offset:364
	buffer_load_dword v174, off, s[0:3], 0 offset:372
	;; [unrolled: 1-line block ×3, first 2 shown]
	v_add_f32_e32 v6, v6, v197
	v_add_f32_e32 v5, v5, v194
	v_add_f32_e32 v6, v6, v141
	v_add_f32_e32 v5, v5, v195
	s_clause 0x2
	buffer_load_dword v194, off, s[0:3], 0 offset:388
	buffer_load_dword v195, off, s[0:3], 0 offset:396
	;; [unrolled: 1-line block ×3, first 2 shown]
	v_add_f32_e32 v6, v6, v140
	v_add_f32_e32 v5, v5, v196
	s_clause 0x2
	buffer_load_dword v196, off, s[0:3], 0 offset:412
	buffer_load_dword v200, off, s[0:3], 0 offset:420
	;; [unrolled: 1-line block ×3, first 2 shown]
	s_waitcnt vmcnt(31) lgkmcnt(0)
	v_mul_f32_e32 v141, v1, v167
	v_add_f32_e32 v6, v6, v138
	v_add_f32_e32 v5, v5, v198
	s_clause 0x2
	buffer_load_dword v198, off, s[0:3], 0 offset:436
	buffer_load_dword v202, off, s[0:3], 0 offset:444
	;; [unrolled: 1-line block ×3, first 2 shown]
	v_mul_f32_e32 v7, v2, v167
	v_add_f32_e32 v6, v6, v184
	v_add_f32_e32 v5, v5, v183
	s_clause 0x1
	buffer_load_dword v183, off, s[0:3], 0 offset:460
	buffer_load_dword v184, off, s[0:3], 0 offset:468
	v_fmac_f32_e32 v141, v2, v156
	v_add_f32_e32 v6, v6, v149
	s_clause 0x3
	buffer_load_dword v149, off, s[0:3], 0 offset:408
	buffer_load_dword v204, off, s[0:3], 0 offset:400
	;; [unrolled: 1-line block ×4, first 2 shown]
	v_add_f32_e32 v5, v5, v139
	v_add_f32_e32 v6, v6, v142
	v_fma_f32 v142, v1, v156, -v7
	v_add_f32_e32 v5, v5, v137
	v_add_f32_e32 v6, v6, v143
	;; [unrolled: 1-line block ×3, first 2 shown]
	s_clause 0x3
	buffer_load_dword v185, off, s[0:3], 0 offset:440
	buffer_load_dword v207, off, s[0:3], 0 offset:432
	;; [unrolled: 1-line block ×4, first 2 shown]
	v_add_f32_e32 v6, v6, v144
	v_add_f32_e32 v5, v5, v146
	;; [unrolled: 1-line block ×3, first 2 shown]
	s_waitcnt vmcnt(43)
	v_mul_f32_e32 v145, v3, v181
	v_add_f32_e32 v5, v5, v148
	v_add_f32_e32 v6, v6, v150
	s_waitcnt vmcnt(36)
	v_fmac_f32_e32 v145, v4, v182
	v_add_f32_e32 v5, v5, v186
	s_clause 0x3
	buffer_load_dword v186, off, s[0:3], 0 offset:464
	buffer_load_dword v210, off, s[0:3], 0 offset:456
	buffer_load_dword v211, off, s[0:3], 0 offset:448
	buffer_load_dword v150, off, s[0:3], 0 offset:96
	v_add_f32_e32 v6, v6, v151
	v_add_f32_e32 v5, v5, v147
	;; [unrolled: 1-line block ×4, first 2 shown]
	ds_read2_b64 v[5:8], v132 offset0:97 offset1:98
	v_add_f32_e32 v9, v1, v134
	v_mul_f32_e32 v1, v4, v181
	v_add_f32_e32 v10, v2, v157
	v_add_f32_e32 v133, v9, v154
	v_fma_f32 v146, v3, v182, -v1
	ds_read2_b64 v[1:4], v132 offset0:99 offset1:100
	v_add_f32_e32 v134, v10, v158
	ds_read2_b64 v[9:12], v132 offset0:101 offset1:102
	v_add_f32_e32 v133, v133, v136
	v_add_f32_e32 v134, v134, v135
	v_add_f32_e32 v137, v133, v160
	s_waitcnt lgkmcnt(2)
	v_mul_f32_e32 v136, v6, v179
	v_mul_f32_e32 v147, v5, v179
	;; [unrolled: 1-line block ×3, first 2 shown]
	v_fma_f32 v148, v5, v180, -v136
	v_add_f32_e32 v5, v134, v161
	v_fmac_f32_e32 v147, v6, v180
	v_add_f32_e32 v6, v137, v172
	ds_read2_b64 v[133:136], v132 offset0:103 offset1:104
	s_waitcnt lgkmcnt(2)
	v_mul_f32_e32 v138, v2, v177
	v_add_f32_e32 v5, v5, v187
	v_mul_f32_e32 v154, v1, v177
	v_add_f32_e32 v6, v6, v169
	v_mul_f32_e32 v137, v8, v178
	v_fma_f32 v157, v1, v175, -v138
	v_add_f32_e32 v5, v5, v189
	v_fmac_f32_e32 v154, v2, v175
	v_add_f32_e32 v1, v6, v168
	v_fma_f32 v156, v7, v176, -v137
	v_fmac_f32_e32 v151, v8, v176
	v_add_f32_e32 v2, v5, v190
	ds_read2_b64 v[5:8], v132 offset0:105 offset1:106
	ds_read2_b64 v[137:140], v132 offset0:107 offset1:108
	s_waitcnt vmcnt(38)
	v_mul_f32_e32 v155, v3, v152
	v_mul_f32_e32 v143, v4, v152
	s_waitcnt vmcnt(37) lgkmcnt(3)
	v_mul_f32_e32 v152, v9, v153
	v_mul_f32_e32 v144, v10, v153
	s_waitcnt vmcnt(34)
	v_fmac_f32_e32 v152, v10, v165
	v_add_f32_e32 v10, v1, v142
	v_fma_f32 v158, v9, v165, -v144
	v_add_f32_e32 v9, v2, v141
	s_waitcnt vmcnt(33)
	v_fma_f32 v153, v3, v166, -v143
	v_fmac_f32_e32 v155, v4, v166
	v_add_f32_e32 v10, v10, v146
	s_waitcnt vmcnt(32)
	v_mul_f32_e32 v160, v11, v162
	v_add_f32_e32 v9, v9, v145
	s_waitcnt vmcnt(31) lgkmcnt(2)
	v_mul_f32_e32 v161, v133, v163
	v_mul_f32_e32 v145, v134, v163
	v_add_f32_e32 v10, v10, v148
	v_mul_f32_e32 v146, v12, v162
	v_fmac_f32_e32 v160, v12, v164
	v_fmac_f32_e32 v161, v134, v159
	v_fma_f32 v159, v133, v159, -v145
	v_add_f32_e32 v133, v9, v147
	v_add_f32_e32 v156, v10, v156
	v_fma_f32 v164, v11, v164, -v146
	ds_read2_b64 v[1:4], v132 offset0:109 offset1:110
	ds_read2_b64 v[141:144], v132 offset0:111 offset1:112
	;; [unrolled: 1-line block ×4, first 2 shown]
	v_add_f32_e32 v151, v133, v151
	v_add_f32_e32 v156, v156, v157
	s_waitcnt vmcnt(30)
	v_mul_f32_e32 v162, v135, v188
	v_mul_f32_e32 v163, v136, v188
	v_add_f32_e32 v151, v151, v154
	v_add_f32_e32 v153, v156, v153
	s_waitcnt vmcnt(26)
	v_fmac_f32_e32 v162, v136, v199
	v_fma_f32 v136, v135, v199, -v163
	s_waitcnt vmcnt(25) lgkmcnt(5)
	v_mul_f32_e32 v157, v6, v192
	v_add_f32_e32 v151, v151, v155
	v_add_f32_e32 v153, v153, v158
	v_mul_f32_e32 v163, v5, v192
	s_waitcnt vmcnt(24)
	v_mul_f32_e32 v165, v8, v174
	v_fma_f32 v5, v5, v191, -v157
	v_add_f32_e32 v151, v151, v152
	v_add_f32_e32 v153, v153, v164
	v_mul_f32_e32 v154, v7, v174
	v_fmac_f32_e32 v163, v6, v191
	v_fma_f32 v7, v7, v171, -v165
	v_add_f32_e32 v151, v151, v160
	v_add_f32_e32 v153, v153, v159
	s_waitcnt vmcnt(23) lgkmcnt(4)
	v_mul_f32_e32 v156, v137, v193
	v_fmac_f32_e32 v154, v8, v171
	s_waitcnt vmcnt(22)
	v_mul_f32_e32 v155, v139, v194
	v_add_f32_e32 v151, v151, v161
	v_add_f32_e32 v136, v153, v136
	v_mul_f32_e32 v153, v138, v193
	v_fmac_f32_e32 v156, v138, v170
	s_waitcnt vmcnt(21) lgkmcnt(3)
	v_mul_f32_e32 v166, v1, v195
	v_add_f32_e32 v151, v151, v162
	v_add_f32_e32 v5, v136, v5
	v_mul_f32_e32 v136, v140, v194
	v_fma_f32 v137, v137, v170, -v153
	s_waitcnt vmcnt(20)
	v_mul_f32_e32 v158, v3, v197
	v_add_f32_e32 v8, v151, v163
	v_add_f32_e32 v5, v5, v7
	s_waitcnt vmcnt(8)
	v_fma_f32 v136, v139, v206, -v136
	v_fmac_f32_e32 v155, v140, v206
	v_fmac_f32_e32 v166, v2, v205
	v_add_f32_e32 v7, v8, v154
	v_mul_f32_e32 v8, v2, v195
	v_add_f32_e32 v5, v5, v137
	v_mul_f32_e32 v137, v4, v197
	s_waitcnt lgkmcnt(2)
	v_mul_f32_e32 v152, v141, v196
	v_add_f32_e32 v7, v7, v156
	v_fma_f32 v1, v1, v205, -v8
	v_add_f32_e32 v2, v5, v136
	v_fma_f32 v3, v3, v204, -v137
	v_fmac_f32_e32 v158, v4, v204
	v_add_f32_e32 v5, v7, v155
	v_mul_f32_e32 v7, v142, v196
	v_add_f32_e32 v1, v2, v1
	v_mul_f32_e32 v4, v144, v200
	v_mul_f32_e32 v167, v143, v200
	v_add_f32_e32 v2, v5, v166
	v_fma_f32 v5, v141, v149, -v7
	v_add_f32_e32 v1, v1, v3
	v_fmac_f32_e32 v152, v142, v149
	ds_read2_b64 v[132:135], v132 offset0:117 offset1:118
	v_add_f32_e32 v2, v2, v158
	s_waitcnt lgkmcnt(2)
	v_mul_f32_e32 v3, v10, v201
	s_waitcnt vmcnt(4)
	v_fma_f32 v4, v143, v209, -v4
	v_add_f32_e32 v1, v1, v5
	v_mul_f32_e32 v164, v9, v201
	v_fmac_f32_e32 v167, v144, v209
	v_add_f32_e32 v2, v2, v152
	v_mul_f32_e32 v5, v12, v198
	v_fma_f32 v3, v9, v208, -v3
	v_add_f32_e32 v1, v1, v4
	v_mul_f32_e32 v160, v11, v198
	v_fmac_f32_e32 v164, v10, v208
	v_add_f32_e32 v2, v2, v167
	s_waitcnt lgkmcnt(1)
	v_mul_f32_e32 v4, v146, v202
	v_fma_f32 v5, v11, v207, -v5
	v_add_f32_e32 v1, v1, v3
	v_mul_f32_e32 v168, v145, v202
	v_fmac_f32_e32 v160, v12, v207
	v_add_f32_e32 v2, v2, v164
	v_mul_f32_e32 v3, v148, v203
	v_fma_f32 v4, v145, v185, -v4
	v_add_f32_e32 v1, v1, v5
	v_mul_f32_e32 v159, v147, v203
	v_fmac_f32_e32 v168, v146, v185
	v_add_f32_e32 v2, v2, v160
	s_waitcnt lgkmcnt(0)
	v_mul_f32_e32 v5, v133, v183
	s_waitcnt vmcnt(1)
	v_fma_f32 v3, v147, v211, -v3
	v_add_f32_e32 v1, v1, v4
	v_mul_f32_e32 v161, v132, v183
	v_fmac_f32_e32 v159, v148, v211
	v_add_f32_e32 v2, v2, v168
	v_mul_f32_e32 v4, v135, v184
	v_fma_f32 v5, v132, v210, -v5
	v_add_f32_e32 v1, v1, v3
	v_mul_f32_e32 v6, v134, v184
	v_fmac_f32_e32 v161, v133, v210
	v_add_f32_e32 v2, v2, v159
	v_fma_f32 v3, v134, v186, -v4
	v_add_f32_e32 v1, v1, v5
	v_fmac_f32_e32 v6, v135, v186
	v_add_f32_e32 v2, v2, v161
	v_add_f32_e32 v1, v1, v3
	;; [unrolled: 1-line block ×3, first 2 shown]
	s_waitcnt vmcnt(0)
	v_sub_f32_e32 v1, v150, v1
	v_sub_f32_e32 v2, v173, v2
	buffer_store_dword v1, off, s[0:3], 0 offset:96
	buffer_store_dword v2, off, s[0:3], 0 offset:100
	v_cmpx_lt_u32_e32 11, v0
	s_cbranch_execz .LBB58_345
; %bb.344:
	s_clause 0x1
	buffer_load_dword v1, off, s[0:3], 0 offset:88
	buffer_load_dword v2, off, s[0:3], 0 offset:92
	v_mov_b32_e32 v3, 0
	buffer_store_dword v3, off, s[0:3], 0 offset:88
	buffer_store_dword v3, off, s[0:3], 0 offset:92
	s_waitcnt vmcnt(0)
	ds_write_b64 v131, v[1:2]
.LBB58_345:
	s_or_b32 exec_lo, exec_lo, s4
	s_waitcnt lgkmcnt(0)
	s_waitcnt_vscnt null, 0x0
	s_barrier
	buffer_gl0_inv
	s_clause 0x2c
	buffer_load_dword v11, off, s[0:3], 0 offset:100
	buffer_load_dword v12, off, s[0:3], 0 offset:108
	;; [unrolled: 1-line block ×45, first 2 shown]
	v_mov_b32_e32 v9, 0
	ds_read_b128 v[5:8], v9 offset:576
	ds_read_b128 v[1:4], v9 offset:592
	s_clause 0x9
	buffer_load_dword v180, off, s[0:3], 0 offset:276
	buffer_load_dword v177, off, s[0:3], 0 offset:284
	;; [unrolled: 1-line block ×10, first 2 shown]
	ds_read_b128 v[184:187], v9 offset:608
	ds_read_b128 v[188:191], v9 offset:624
	s_mov_b32 s4, exec_lo
	s_waitcnt vmcnt(54) lgkmcnt(3)
	v_mul_f32_e32 v192, v5, v11
	v_mul_f32_e32 v11, v6, v11
	s_waitcnt vmcnt(53)
	v_mul_f32_e32 v193, v7, v12
	v_mul_f32_e32 v12, v8, v12
	s_waitcnt vmcnt(52) lgkmcnt(2)
	v_mul_f32_e32 v194, v1, v132
	s_waitcnt vmcnt(49)
	v_fmac_f32_e32 v192, v6, v135
	v_fma_f32 v11, v5, v135, -v11
	s_waitcnt vmcnt(48)
	v_mul_f32_e32 v195, v3, v134
	v_mul_f32_e32 v5, v2, v132
	;; [unrolled: 1-line block ×3, first 2 shown]
	v_fmac_f32_e32 v193, v8, v133
	s_waitcnt vmcnt(43) lgkmcnt(1)
	v_mul_f32_e32 v196, v184, v142
	v_mul_f32_e32 v132, v185, v142
	v_fma_f32 v12, v7, v133, -v12
	v_fmac_f32_e32 v194, v2, v10
	v_fmac_f32_e32 v195, v4, v143
	v_fma_f32 v10, v1, v10, -v5
	v_fma_f32 v143, v3, v143, -v6
	ds_read_b128 v[1:4], v9 offset:640
	ds_read_b128 v[5:8], v9 offset:656
	s_waitcnt vmcnt(42)
	v_mul_f32_e32 v142, v186, v141
	v_mul_f32_e32 v133, v187, v141
	s_waitcnt vmcnt(41) lgkmcnt(2)
	v_mul_f32_e32 v141, v188, v139
	v_fmac_f32_e32 v196, v185, v138
	v_fma_f32 v184, v184, v138, -v132
	s_waitcnt vmcnt(40)
	v_mul_f32_e32 v185, v190, v140
	v_mul_f32_e32 v132, v189, v139
	;; [unrolled: 1-line block ×3, first 2 shown]
	v_fmac_f32_e32 v142, v187, v137
	v_fma_f32 v140, v186, v137, -v133
	v_fmac_f32_e32 v141, v189, v136
	s_waitcnt vmcnt(36)
	v_fmac_f32_e32 v185, v191, v151
	v_fma_f32 v186, v188, v136, -v132
	v_fma_f32 v151, v190, v151, -v134
	ds_read_b128 v[132:135], v9 offset:672
	ds_read_b128 v[136:139], v9 offset:688
	s_waitcnt vmcnt(35) lgkmcnt(3)
	v_mul_f32_e32 v187, v1, v149
	s_waitcnt vmcnt(34)
	v_mul_f32_e32 v188, v3, v150
	v_mul_f32_e32 v149, v2, v149
	;; [unrolled: 1-line block ×3, first 2 shown]
	s_waitcnt vmcnt(33) lgkmcnt(2)
	v_mul_f32_e32 v189, v5, v148
	v_mul_f32_e32 v148, v6, v148
	v_fmac_f32_e32 v187, v2, v146
	v_fmac_f32_e32 v188, v4, v145
	v_fma_f32 v146, v1, v146, -v149
	v_fma_f32 v145, v3, v145, -v150
	s_clause 0x1
	buffer_load_dword v149, off, s[0:3], 0 offset:316
	buffer_load_dword v150, off, s[0:3], 0 offset:324
	s_waitcnt vmcnt(34)
	v_mul_f32_e32 v190, v7, v147
	v_mul_f32_e32 v147, v8, v147
	v_fmac_f32_e32 v189, v6, v144
	v_fma_f32 v144, v5, v144, -v148
	ds_read_b128 v[1:4], v9 offset:704
	s_waitcnt vmcnt(29) lgkmcnt(2)
	v_mul_f32_e32 v148, v132, v159
	v_mul_f32_e32 v5, v133, v159
	s_waitcnt vmcnt(28)
	v_mul_f32_e32 v6, v135, v160
	v_fmac_f32_e32 v190, v8, v162
	v_fma_f32 v147, v7, v162, -v147
	v_fmac_f32_e32 v148, v133, v154
	v_fma_f32 v132, v132, v154, -v5
	v_fma_f32 v133, v134, v153, -v6
	ds_read_b128 v[5:8], v9 offset:720
	v_mul_f32_e32 v162, v134, v160
	s_waitcnt vmcnt(27) lgkmcnt(2)
	v_mul_f32_e32 v159, v136, v156
	s_waitcnt vmcnt(26)
	v_mul_f32_e32 v160, v138, v157
	v_mul_f32_e32 v156, v137, v156
	;; [unrolled: 1-line block ×3, first 2 shown]
	v_fmac_f32_e32 v162, v135, v153
	v_fmac_f32_e32 v159, v137, v152
	s_waitcnt vmcnt(22)
	v_fmac_f32_e32 v160, v139, v175
	v_fma_f32 v134, v136, v152, -v156
	v_fma_f32 v135, v138, v175, -v157
	s_clause 0x5
	buffer_load_dword v152, off, s[0:3], 0 offset:332
	buffer_load_dword v153, off, s[0:3], 0 offset:340
	;; [unrolled: 1-line block ×6, first 2 shown]
	s_waitcnt vmcnt(27) lgkmcnt(1)
	v_mul_f32_e32 v136, v1, v170
	s_waitcnt vmcnt(26)
	v_mul_f32_e32 v137, v3, v171
	v_mul_f32_e32 v138, v2, v170
	;; [unrolled: 1-line block ×3, first 2 shown]
	v_add_f32_e32 v171, 0, v192
	v_fmac_f32_e32 v136, v2, v168
	v_fmac_f32_e32 v137, v4, v164
	v_fma_f32 v138, v1, v168, -v138
	v_fma_f32 v139, v3, v164, -v139
	ds_read_b128 v[1:4], v9 offset:736
	s_waitcnt vmcnt(25) lgkmcnt(1)
	v_mul_f32_e32 v164, v5, v165
	v_mul_f32_e32 v165, v6, v165
	buffer_load_dword v170, off, s[0:3], 0 offset:348
	s_waitcnt vmcnt(25)
	v_mul_f32_e32 v168, v7, v166
	v_mul_f32_e32 v166, v8, v166
	v_fmac_f32_e32 v164, v6, v163
	v_add_f32_e32 v6, 0, v11
	v_add_f32_e32 v11, v171, v193
	v_fma_f32 v163, v5, v163, -v165
	s_waitcnt vmcnt(21)
	v_fmac_f32_e32 v168, v8, v182
	v_fma_f32 v165, v7, v182, -v166
	v_add_f32_e32 v5, v6, v12
	v_add_f32_e32 v11, v11, v194
	s_clause 0x4
	buffer_load_dword v12, off, s[0:3], 0 offset:368
	buffer_load_dword v166, off, s[0:3], 0 offset:360
	;; [unrolled: 1-line block ×5, first 2 shown]
	v_add_f32_e32 v10, v5, v10
	v_add_f32_e32 v11, v11, v195
	ds_read_b128 v[5:8], v9 offset:752
	s_waitcnt vmcnt(25) lgkmcnt(1)
	v_mul_f32_e32 v192, v1, v181
	v_mul_f32_e32 v181, v2, v181
	v_add_f32_e32 v10, v10, v143
	v_add_f32_e32 v11, v11, v196
	s_clause 0x1
	buffer_load_dword v193, off, s[0:3], 0 offset:364
	buffer_load_dword v194, off, s[0:3], 0 offset:372
	v_fmac_f32_e32 v192, v2, v178
	v_fma_f32 v143, v1, v178, -v181
	v_add_f32_e32 v1, v10, v184
	v_add_f32_e32 v2, v11, v142
	buffer_load_dword v195, off, s[0:3], 0 offset:380
	s_waitcnt vmcnt(27)
	v_mul_f32_e32 v178, v3, v176
	v_mul_f32_e32 v10, v4, v176
	v_add_f32_e32 v1, v1, v140
	v_add_f32_e32 v2, v2, v141
	s_clause 0x2
	buffer_load_dword v181, off, s[0:3], 0 offset:388
	buffer_load_dword v184, off, s[0:3], 0 offset:396
	;; [unrolled: 1-line block ×3, first 2 shown]
	v_fmac_f32_e32 v178, v4, v172
	v_fma_f32 v10, v3, v172, -v10
	v_add_f32_e32 v2, v2, v185
	s_clause 0x1
	buffer_load_dword v172, off, s[0:3], 0 offset:412
	buffer_load_dword v196, off, s[0:3], 0 offset:420
	v_add_f32_e32 v1, v1, v186
	s_clause 0x2
	buffer_load_dword v185, off, s[0:3], 0 offset:428
	buffer_load_dword v186, off, s[0:3], 0 offset:436
	;; [unrolled: 1-line block ×3, first 2 shown]
	s_waitcnt vmcnt(34) lgkmcnt(0)
	v_mul_f32_e32 v11, v5, v180
	v_add_f32_e32 v2, v2, v187
	s_clause 0x2
	buffer_load_dword v187, off, s[0:3], 0 offset:452
	buffer_load_dword v198, off, s[0:3], 0 offset:460
	;; [unrolled: 1-line block ×3, first 2 shown]
	v_add_f32_e32 v1, v1, v151
	v_mul_f32_e32 v3, v6, v180
	v_fmac_f32_e32 v11, v6, v155
	v_add_f32_e32 v2, v2, v188
	s_clause 0x3
	buffer_load_dword v188, off, s[0:3], 0 offset:400
	buffer_load_dword v200, off, s[0:3], 0 offset:392
	;; [unrolled: 1-line block ×4, first 2 shown]
	v_add_f32_e32 v1, v1, v146
	v_fma_f32 v140, v5, v155, -v3
	v_add_f32_e32 v2, v2, v189
	v_add_f32_e32 v1, v1, v145
	;; [unrolled: 1-line block ×3, first 2 shown]
	s_clause 0x3
	buffer_load_dword v189, off, s[0:3], 0 offset:432
	buffer_load_dword v190, off, s[0:3], 0 offset:424
	;; [unrolled: 1-line block ×4, first 2 shown]
	v_add_f32_e32 v1, v1, v144
	s_waitcnt vmcnt(44)
	v_mul_f32_e32 v144, v7, v177
	v_add_f32_e32 v2, v2, v148
	v_add_f32_e32 v1, v1, v147
	s_waitcnt vmcnt(37)
	v_fmac_f32_e32 v144, v8, v179
	v_add_f32_e32 v2, v2, v162
	s_clause 0x4
	buffer_load_dword v162, off, s[0:3], 0 offset:464
	buffer_load_dword v205, off, s[0:3], 0 offset:456
	;; [unrolled: 1-line block ×5, first 2 shown]
	v_add_f32_e32 v1, v1, v132
	v_add_f32_e32 v2, v2, v159
	;; [unrolled: 1-line block ×6, first 2 shown]
	v_mul_f32_e32 v5, v8, v177
	v_add_f32_e32 v6, v1, v135
	ds_read_b128 v[1:4], v9 offset:768
	v_add_f32_e32 v136, v132, v137
	v_fma_f32 v145, v7, v179, -v5
	v_add_f32_e32 v133, v6, v138
	ds_read_b128 v[5:8], v9 offset:784
	v_add_f32_e32 v136, v136, v164
	v_add_f32_e32 v137, v133, v139
	ds_read_b128 v[132:135], v9 offset:800
	v_add_f32_e32 v141, v136, v168
	v_add_f32_e32 v137, v137, v163
	s_waitcnt lgkmcnt(2)
	v_mul_f32_e32 v138, v2, v173
	v_mul_f32_e32 v148, v1, v173
	;; [unrolled: 1-line block ×3, first 2 shown]
	v_fma_f32 v151, v1, v174, -v138
	v_add_f32_e32 v1, v137, v165
	v_fmac_f32_e32 v148, v2, v174
	v_add_f32_e32 v2, v141, v192
	s_waitcnt lgkmcnt(1)
	v_mul_f32_e32 v159, v5, v167
	v_mul_f32_e32 v142, v6, v167
	v_add_f32_e32 v1, v1, v143
	ds_read_b128 v[136:139], v9 offset:816
	v_add_f32_e32 v2, v2, v178
	v_fmac_f32_e32 v159, v6, v158
	v_fma_f32 v158, v5, v158, -v142
	v_add_f32_e32 v1, v1, v10
	v_mul_f32_e32 v141, v4, v169
	v_add_f32_e32 v5, v2, v11
	v_fmac_f32_e32 v155, v4, v161
	v_add_f32_e32 v6, v1, v140
	v_fma_f32 v10, v3, v161, -v141
	ds_read_b128 v[1:4], v9 offset:832
	ds_read_b128 v[140:143], v9 offset:848
	s_waitcnt vmcnt(40)
	v_mul_f32_e32 v146, v8, v149
	s_waitcnt vmcnt(39) lgkmcnt(3)
	v_mul_f32_e32 v163, v132, v150
	v_mul_f32_e32 v11, v133, v150
	;; [unrolled: 1-line block ×3, first 2 shown]
	s_waitcnt vmcnt(38)
	v_mul_f32_e32 v164, v134, v152
	s_waitcnt vmcnt(34)
	v_fmac_f32_e32 v163, v133, v157
	v_fma_f32 v157, v132, v157, -v11
	v_add_f32_e32 v11, v6, v145
	v_add_f32_e32 v133, v5, v144
	s_waitcnt vmcnt(33)
	v_fma_f32 v161, v7, v175, -v146
	v_fmac_f32_e32 v160, v8, v175
	v_fmac_f32_e32 v164, v135, v156
	v_add_f32_e32 v11, v11, v151
	v_add_f32_e32 v132, v133, v148
	v_mul_f32_e32 v133, v135, v152
	s_waitcnt lgkmcnt(2)
	v_mul_f32_e32 v152, v136, v153
	v_mul_f32_e32 v148, v137, v153
	v_add_f32_e32 v10, v11, v10
	v_add_f32_e32 v132, v132, v155
	v_fma_f32 v156, v134, v156, -v133
	s_waitcnt vmcnt(32)
	v_mul_f32_e32 v153, v139, v170
	v_fmac_f32_e32 v152, v137, v154
	v_add_f32_e32 v158, v10, v158
	v_add_f32_e32 v159, v132, v159
	v_fma_f32 v154, v136, v154, -v148
	v_mul_f32_e32 v155, v138, v170
	ds_read_b128 v[5:8], v9 offset:864
	ds_read_b128 v[144:147], v9 offset:880
	v_add_f32_e32 v158, v158, v161
	v_add_f32_e32 v159, v159, v160
	s_waitcnt vmcnt(28)
	v_fma_f32 v153, v138, v182, -v153
	s_waitcnt vmcnt(27) lgkmcnt(3)
	v_mul_f32_e32 v165, v2, v191
	v_fmac_f32_e32 v155, v139, v182
	v_add_f32_e32 v157, v158, v157
	v_add_f32_e32 v159, v159, v163
	v_mul_f32_e32 v160, v1, v191
	v_fma_f32 v1, v1, v171, -v165
	ds_read_b128 v[132:135], v9 offset:896
	ds_read_b128 v[148:151], v9 offset:912
	v_add_f32_e32 v156, v157, v156
	v_add_f32_e32 v159, v159, v164
	s_waitcnt vmcnt(26)
	v_mul_f32_e32 v167, v4, v193
	v_mul_f32_e32 v161, v3, v193
	v_fmac_f32_e32 v160, v2, v171
	v_add_f32_e32 v154, v156, v154
	v_add_f32_e32 v152, v159, v152
	s_waitcnt vmcnt(25) lgkmcnt(4)
	v_mul_f32_e32 v163, v140, v194
	v_mul_f32_e32 v165, v141, v194
	v_fma_f32 v3, v3, v166, -v167
	v_add_f32_e32 v153, v154, v153
	v_add_f32_e32 v152, v152, v155
	v_fmac_f32_e32 v161, v4, v166
	s_waitcnt vmcnt(24)
	v_mul_f32_e32 v154, v143, v195
	v_fmac_f32_e32 v163, v141, v12
	v_add_f32_e32 v1, v153, v1
	v_add_f32_e32 v152, v152, v160
	v_fma_f32 v12, v140, v12, -v165
	v_mul_f32_e32 v158, v142, v195
	s_waitcnt vmcnt(23) lgkmcnt(3)
	v_mul_f32_e32 v140, v6, v181
	v_add_f32_e32 v1, v1, v3
	v_add_f32_e32 v3, v152, v161
	v_mul_f32_e32 v2, v5, v181
	s_waitcnt vmcnt(22)
	v_mul_f32_e32 v164, v7, v184
	s_waitcnt vmcnt(21) lgkmcnt(2)
	v_mul_f32_e32 v157, v144, v176
	v_add_f32_e32 v1, v1, v12
	v_add_f32_e32 v3, v3, v163
	v_mul_f32_e32 v12, v8, v184
	s_waitcnt vmcnt(9)
	v_fma_f32 v141, v142, v202, -v154
	v_fmac_f32_e32 v158, v143, v202
	v_fma_f32 v5, v5, v201, -v140
	v_fmac_f32_e32 v2, v6, v201
	v_mul_f32_e32 v6, v145, v176
	v_add_f32_e32 v1, v1, v141
	v_add_f32_e32 v3, v3, v158
	v_fma_f32 v7, v7, v200, -v12
	v_fmac_f32_e32 v164, v8, v200
	v_mul_f32_e32 v4, v146, v172
	v_add_f32_e32 v1, v1, v5
	v_add_f32_e32 v2, v3, v2
	v_mul_f32_e32 v3, v147, v172
	v_fma_f32 v5, v144, v188, -v6
	v_fmac_f32_e32 v157, v145, v188
	v_add_f32_e32 v1, v1, v7
	v_add_f32_e32 v2, v2, v164
	s_waitcnt lgkmcnt(1)
	v_mul_f32_e32 v6, v133, v196
	s_waitcnt vmcnt(5)
	v_fma_f32 v3, v146, v204, -v3
	ds_read_b128 v[136:139], v9 offset:928
	ds_read_b64 v[10:11], v9 offset:944
	v_add_f32_e32 v1, v1, v5
	v_mul_f32_e32 v166, v132, v196
	v_fmac_f32_e32 v4, v147, v204
	v_add_f32_e32 v2, v2, v157
	v_mul_f32_e32 v5, v135, v185
	v_fma_f32 v6, v132, v203, -v6
	v_add_f32_e32 v1, v1, v3
	v_mul_f32_e32 v156, v134, v185
	v_fmac_f32_e32 v166, v133, v203
	v_add_f32_e32 v2, v2, v4
	s_waitcnt lgkmcnt(2)
	v_mul_f32_e32 v3, v149, v186
	v_fma_f32 v4, v134, v190, -v5
	v_add_f32_e32 v1, v1, v6
	v_mul_f32_e32 v159, v148, v186
	v_fmac_f32_e32 v156, v135, v190
	v_add_f32_e32 v2, v2, v166
	v_mul_f32_e32 v5, v151, v197
	v_fma_f32 v3, v148, v189, -v3
	v_add_f32_e32 v1, v1, v4
	v_mul_f32_e32 v167, v150, v197
	v_fmac_f32_e32 v159, v149, v189
	v_add_f32_e32 v2, v2, v156
	s_waitcnt lgkmcnt(1)
	v_mul_f32_e32 v4, v137, v187
	s_waitcnt vmcnt(1)
	v_fma_f32 v5, v150, v207, -v5
	v_add_f32_e32 v1, v1, v3
	v_mul_f32_e32 v155, v136, v187
	v_fmac_f32_e32 v167, v151, v207
	v_add_f32_e32 v2, v2, v159
	v_mul_f32_e32 v3, v139, v198
	v_fma_f32 v4, v136, v206, -v4
	v_add_f32_e32 v1, v1, v5
	v_mul_f32_e32 v168, v138, v198
	v_fmac_f32_e32 v155, v137, v206
	v_add_f32_e32 v2, v2, v167
	s_waitcnt lgkmcnt(0)
	v_mul_f32_e32 v5, v11, v199
	v_fma_f32 v3, v138, v205, -v3
	v_add_f32_e32 v1, v1, v4
	v_mul_f32_e32 v153, v10, v199
	v_fmac_f32_e32 v168, v139, v205
	v_add_f32_e32 v2, v2, v155
	v_fma_f32 v4, v10, v162, -v5
	v_add_f32_e32 v1, v1, v3
	v_fmac_f32_e32 v153, v11, v162
	v_add_f32_e32 v2, v2, v168
	v_add_f32_e32 v1, v1, v4
	;; [unrolled: 1-line block ×3, first 2 shown]
	s_waitcnt vmcnt(0)
	v_sub_f32_e32 v1, v208, v1
	v_sub_f32_e32 v2, v183, v2
	buffer_store_dword v1, off, s[0:3], 0 offset:88
	buffer_store_dword v2, off, s[0:3], 0 offset:92
	v_cmpx_lt_u32_e32 10, v0
	s_cbranch_execz .LBB58_347
; %bb.346:
	s_clause 0x1
	buffer_load_dword v1, off, s[0:3], 0 offset:80
	buffer_load_dword v2, off, s[0:3], 0 offset:84
	buffer_store_dword v9, off, s[0:3], 0 offset:80
	buffer_store_dword v9, off, s[0:3], 0 offset:84
	s_waitcnt vmcnt(0)
	ds_write_b64 v131, v[1:2]
.LBB58_347:
	s_or_b32 exec_lo, exec_lo, s4
	s_waitcnt lgkmcnt(0)
	s_waitcnt_vscnt null, 0x0
	s_barrier
	buffer_gl0_inv
	s_clause 0x33
	buffer_load_dword v166, off, s[0:3], 0 offset:92
	buffer_load_dword v167, off, s[0:3], 0 offset:100
	;; [unrolled: 1-line block ×52, first 2 shown]
	ds_read2_b64 v[175:178], v9 offset0:71 offset1:72
	ds_read2_b64 v[179:182], v9 offset0:73 offset1:74
	;; [unrolled: 1-line block ×3, first 2 shown]
	s_clause 0x1
	buffer_load_dword v172, off, s[0:3], 0 offset:284
	buffer_load_dword v173, off, s[0:3], 0 offset:292
	ds_read2_b64 v[187:190], v9 offset0:77 offset1:78
	s_mov_b32 s4, exec_lo
	s_waitcnt vmcnt(53) lgkmcnt(3)
	v_mul_f32_e32 v191, v175, v166
	v_mul_f32_e32 v192, v176, v166
	s_waitcnt vmcnt(52)
	v_mul_f32_e32 v193, v177, v167
	v_mul_f32_e32 v167, v178, v167
	buffer_load_dword v166, off, s[0:3], 0 offset:84
	s_waitcnt vmcnt(50)
	v_fmac_f32_e32 v191, v176, v7
	v_fma_f32 v192, v175, v7, -v192
	v_fmac_f32_e32 v193, v178, v5
	v_fma_f32 v167, v177, v5, -v167
	ds_read2_b64 v[175:178], v9 offset0:79 offset1:80
	s_waitcnt vmcnt(49) lgkmcnt(3)
	v_mul_f32_e32 v194, v179, v2
	s_waitcnt vmcnt(48)
	v_mul_f32_e32 v195, v181, v3
	v_mul_f32_e32 v2, v180, v2
	;; [unrolled: 1-line block ×3, first 2 shown]
	s_waitcnt vmcnt(47) lgkmcnt(2)
	v_mul_f32_e32 v196, v183, v6
	v_mul_f32_e32 v5, v184, v6
	v_fmac_f32_e32 v194, v180, v1
	v_fma_f32 v197, v179, v1, -v2
	s_waitcnt vmcnt(46)
	v_mul_f32_e32 v198, v185, v4
	v_mul_f32_e32 v6, v186, v4
	s_waitcnt vmcnt(42)
	v_fma_f32 v199, v181, v133, -v3
	ds_read2_b64 v[1:4], v9 offset0:81 offset1:82
	v_fmac_f32_e32 v195, v182, v133
	v_fmac_f32_e32 v196, v184, v132
	v_fma_f32 v183, v183, v132, -v5
	v_fmac_f32_e32 v198, v186, v11
	v_fma_f32 v11, v185, v11, -v6
	ds_read2_b64 v[179:182], v9 offset0:83 offset1:84
	s_waitcnt vmcnt(41) lgkmcnt(3)
	v_mul_f32_e32 v184, v187, v12
	v_mul_f32_e32 v5, v188, v12
	s_waitcnt vmcnt(40)
	v_mul_f32_e32 v12, v189, v10
	v_mul_f32_e32 v6, v190, v10
	s_waitcnt vmcnt(39) lgkmcnt(2)
	v_mul_f32_e32 v10, v175, v134
	v_fmac_f32_e32 v184, v188, v8
	v_fma_f32 v185, v187, v8, -v5
	v_mul_f32_e32 v132, v176, v134
	s_waitcnt vmcnt(38)
	v_mul_f32_e32 v133, v178, v135
	s_waitcnt vmcnt(34)
	v_fmac_f32_e32 v12, v190, v141
	v_fma_f32 v141, v189, v141, -v6
	ds_read2_b64 v[5:8], v9 offset0:85 offset1:86
	v_mul_f32_e32 v186, v177, v135
	v_fmac_f32_e32 v10, v176, v140
	v_fma_f32 v140, v175, v140, -v132
	v_fma_f32 v175, v177, v138, -v133
	ds_read2_b64 v[132:135], v9 offset0:87 offset1:88
	v_fmac_f32_e32 v186, v178, v138
	s_waitcnt vmcnt(33) lgkmcnt(3)
	v_mul_f32_e32 v176, v1, v139
	v_mul_f32_e32 v138, v2, v139
	s_waitcnt vmcnt(32)
	v_mul_f32_e32 v177, v3, v137
	v_mul_f32_e32 v137, v4, v137
	s_waitcnt vmcnt(31) lgkmcnt(2)
	v_mul_f32_e32 v178, v179, v142
	v_fmac_f32_e32 v176, v2, v136
	v_fma_f32 v187, v1, v136, -v138
	v_mul_f32_e32 v136, v180, v142
	s_waitcnt vmcnt(30)
	v_mul_f32_e32 v188, v181, v143
	v_mul_f32_e32 v138, v182, v143
	s_waitcnt vmcnt(26)
	v_fmac_f32_e32 v177, v4, v149
	v_fma_f32 v142, v3, v149, -v137
	ds_read2_b64 v[1:4], v9 offset0:89 offset1:90
	v_fmac_f32_e32 v178, v180, v148
	v_fma_f32 v143, v179, v148, -v136
	s_waitcnt vmcnt(25) lgkmcnt(2)
	v_mul_f32_e32 v148, v5, v147
	v_fmac_f32_e32 v188, v182, v146
	v_fma_f32 v146, v181, v146, -v138
	ds_read2_b64 v[136:139], v9 offset0:91 offset1:92
	v_mul_f32_e32 v147, v6, v147
	s_waitcnt vmcnt(24)
	v_mul_f32_e32 v149, v7, v145
	v_mul_f32_e32 v145, v8, v145
	s_waitcnt vmcnt(23) lgkmcnt(2)
	v_mul_f32_e32 v179, v132, v150
	v_fmac_f32_e32 v148, v6, v144
	v_mul_f32_e32 v6, v133, v150
	v_fma_f32 v5, v5, v144, -v147
	s_waitcnt vmcnt(22)
	v_mul_f32_e32 v144, v134, v151
	v_mul_f32_e32 v147, v135, v151
	s_waitcnt vmcnt(18)
	v_fmac_f32_e32 v149, v8, v158
	v_fma_f32 v7, v7, v158, -v145
	v_fmac_f32_e32 v179, v133, v157
	v_fma_f32 v6, v132, v157, -v6
	s_clause 0x5
	buffer_load_dword v145, off, s[0:3], 0 offset:308
	buffer_load_dword v150, off, s[0:3], 0 offset:312
	;; [unrolled: 1-line block ×6, first 2 shown]
	v_fma_f32 v132, v134, v153, -v147
	s_waitcnt vmcnt(23) lgkmcnt(1)
	v_mul_f32_e32 v133, v1, v154
	s_waitcnt vmcnt(22)
	v_mul_f32_e32 v147, v3, v155
	v_mul_f32_e32 v8, v2, v154
	;; [unrolled: 1-line block ×3, first 2 shown]
	v_fmac_f32_e32 v144, v135, v153
	v_fmac_f32_e32 v133, v2, v152
	s_waitcnt vmcnt(18)
	v_fmac_f32_e32 v147, v4, v165
	v_fma_f32 v135, v1, v152, -v8
	v_fma_f32 v152, v3, v165, -v134
	s_waitcnt vmcnt(17) lgkmcnt(0)
	v_mul_f32_e32 v165, v136, v163
	v_mul_f32_e32 v8, v137, v163
	s_clause 0x1
	buffer_load_dword v153, off, s[0:3], 0 offset:324
	buffer_load_dword v154, off, s[0:3], 0 offset:332
	ds_read2_b64 v[1:4], v9 offset0:93 offset1:94
	buffer_load_dword v155, off, s[0:3], 0 offset:340
	s_waitcnt vmcnt(19)
	v_mul_f32_e32 v181, v138, v164
	v_mul_f32_e32 v134, v139, v164
	v_fmac_f32_e32 v165, v137, v162
	v_fma_f32 v136, v136, v162, -v8
	s_clause 0x5
	buffer_load_dword v162, off, s[0:3], 0 offset:360
	buffer_load_dword v163, off, s[0:3], 0 offset:352
	buffer_load_dword v164, off, s[0:3], 0 offset:344
	buffer_load_dword v182, off, s[0:3], 0 offset:336
	buffer_load_dword v189, off, s[0:3], 0 offset:348
	buffer_load_dword v190, off, s[0:3], 0 offset:356
	v_fmac_f32_e32 v181, v139, v161
	v_fma_f32 v161, v138, v161, -v134
	v_add_f32_e32 v8, 0, v191
	v_add_f32_e32 v134, 0, v192
	;; [unrolled: 1-line block ×4, first 2 shown]
	buffer_load_dword v167, off, s[0:3], 0 offset:364
	s_waitcnt vmcnt(25) lgkmcnt(0)
	v_mul_f32_e32 v137, v2, v160
	v_add_f32_e32 v8, v8, v194
	v_add_f32_e32 v134, v134, v197
	s_waitcnt vmcnt(24)
	v_mul_f32_e32 v138, v4, v159
	s_clause 0x3
	buffer_load_dword v191, off, s[0:3], 0 offset:372
	buffer_load_dword v192, off, s[0:3], 0 offset:380
	;; [unrolled: 1-line block ×4, first 2 shown]
	v_add_f32_e32 v8, v8, v195
	v_add_f32_e32 v134, v134, v199
	v_mul_f32_e32 v195, v1, v160
	v_mul_f32_e32 v160, v3, v159
	v_add_f32_e32 v8, v8, v196
	v_add_f32_e32 v134, v134, v183
	v_fmac_f32_e32 v195, v2, v156
	v_fma_f32 v156, v1, v156, -v137
	s_clause 0x3
	buffer_load_dword v159, off, s[0:3], 0 offset:404
	buffer_load_dword v183, off, s[0:3], 0 offset:412
	buffer_load_dword v196, off, s[0:3], 0 offset:420
	buffer_load_dword v197, off, s[0:3], 0 offset:428
	v_add_f32_e32 v1, v8, v198
	v_add_f32_e32 v2, v134, v11
	s_waitcnt vmcnt(27)
	v_fmac_f32_e32 v160, v4, v174
	v_fma_f32 v11, v3, v174, -v138
	s_clause 0x1
	buffer_load_dword v174, off, s[0:3], 0 offset:436
	buffer_load_dword v198, off, s[0:3], 0 offset:444
	v_add_f32_e32 v1, v1, v184
	v_add_f32_e32 v2, v2, v185
	s_clause 0x6
	buffer_load_dword v184, off, s[0:3], 0 offset:452
	buffer_load_dword v185, off, s[0:3], 0 offset:460
	;; [unrolled: 1-line block ×7, first 2 shown]
	v_add_f32_e32 v1, v1, v12
	v_add_f32_e32 v2, v2, v141
	;; [unrolled: 1-line block ×6, first 2 shown]
	s_clause 0x3
	buffer_load_dword v175, off, s[0:3], 0 offset:424
	buffer_load_dword v186, off, s[0:3], 0 offset:416
	;; [unrolled: 1-line block ×4, first 2 shown]
	v_add_f32_e32 v1, v1, v176
	v_add_f32_e32 v2, v2, v187
	;; [unrolled: 1-line block ×3, first 2 shown]
	s_clause 0x4
	buffer_load_dword v176, off, s[0:3], 0 offset:456
	buffer_load_dword v177, off, s[0:3], 0 offset:448
	;; [unrolled: 1-line block ×5, first 2 shown]
	v_add_f32_e32 v2, v2, v142
	v_add_f32_e32 v1, v1, v178
	buffer_load_dword v178, off, s[0:3], 0 offset:464
	v_add_f32_e32 v2, v2, v143
	v_add_f32_e32 v1, v1, v188
	;; [unrolled: 1-line block ×5, first 2 shown]
	ds_read2_b64 v[1:4], v9 offset0:95 offset1:96
	v_add_f32_e32 v5, v5, v7
	v_add_f32_e32 v7, v8, v149
	;; [unrolled: 1-line block ×4, first 2 shown]
	ds_read2_b64 v[5:8], v9 offset0:97 offset1:98
	v_add_f32_e32 v10, v10, v132
	v_add_f32_e32 v12, v12, v144
	v_add_f32_e32 v10, v10, v135
	v_add_f32_e32 v12, v12, v133
	s_waitcnt vmcnt(44) lgkmcnt(1)
	v_mul_f32_e32 v148, v3, v173
	v_mul_f32_e32 v134, v4, v173
	;; [unrolled: 1-line block ×3, first 2 shown]
	v_add_f32_e32 v10, v10, v152
	v_add_f32_e32 v12, v12, v147
	v_mul_f32_e32 v132, v2, v172
	v_fmac_f32_e32 v148, v4, v170
	v_fma_f32 v149, v3, v170, -v134
	v_add_f32_e32 v10, v10, v136
	v_add_f32_e32 v12, v12, v165
	s_waitcnt lgkmcnt(0)
	v_mul_f32_e32 v152, v5, v169
	v_mul_f32_e32 v137, v6, v169
	v_fmac_f32_e32 v146, v2, v171
	v_fma_f32 v144, v1, v171, -v132
	ds_read2_b64 v[1:4], v9 offset0:99 offset1:100
	ds_read2_b64 v[132:135], v9 offset0:101 offset1:102
	v_add_f32_e32 v10, v10, v161
	v_fmac_f32_e32 v152, v6, v168
	v_fma_f32 v168, v5, v168, -v137
	v_add_f32_e32 v12, v12, v181
	v_add_f32_e32 v10, v10, v156
	;; [unrolled: 1-line block ×9, first 2 shown]
	s_waitcnt vmcnt(42)
	v_mul_f32_e32 v170, v7, v145
	v_mul_f32_e32 v138, v8, v145
	s_waitcnt vmcnt(40) lgkmcnt(1)
	v_mul_f32_e32 v161, v1, v151
	v_mul_f32_e32 v140, v2, v151
	s_waitcnt vmcnt(37)
	v_fmac_f32_e32 v170, v8, v180
	v_fma_f32 v169, v7, v180, -v138
	ds_read2_b64 v[5:8], v9 offset0:103 offset1:104
	ds_read2_b64 v[136:139], v9 offset0:105 offset1:106
	v_fmac_f32_e32 v161, v2, v150
	v_fma_f32 v150, v1, v150, -v140
	s_waitcnt vmcnt(36)
	v_mul_f32_e32 v151, v3, v153
	v_mul_f32_e32 v141, v4, v153
	s_waitcnt vmcnt(35) lgkmcnt(2)
	v_mul_f32_e32 v153, v132, v154
	v_mul_f32_e32 v145, v133, v154
	s_waitcnt vmcnt(34)
	v_mul_f32_e32 v12, v135, v155
	v_mul_f32_e32 v156, v134, v155
	v_fmac_f32_e32 v151, v4, v158
	v_fmac_f32_e32 v153, v133, v157
	v_fma_f32 v155, v132, v157, -v145
	s_waitcnt vmcnt(29) lgkmcnt(1)
	v_mul_f32_e32 v149, v5, v189
	v_fma_f32 v157, v134, v182, -v12
	v_mul_f32_e32 v12, v6, v189
	v_fma_f32 v154, v3, v158, -v141
	s_waitcnt vmcnt(28)
	v_mul_f32_e32 v148, v7, v190
	v_fmac_f32_e32 v149, v6, v164
	v_add_f32_e32 v6, v10, v168
	v_mul_f32_e32 v158, v8, v190
	v_add_f32_e32 v10, v11, v152
	v_fmac_f32_e32 v148, v8, v163
	ds_read2_b64 v[1:4], v9 offset0:107 offset1:108
	ds_read2_b64 v[140:143], v9 offset0:109 offset1:110
	v_add_f32_e32 v160, v6, v169
	v_fma_f32 v158, v7, v163, -v158
	v_add_f32_e32 v163, v10, v170
	v_fmac_f32_e32 v156, v135, v182
	v_fma_f32 v152, v5, v164, -v12
	v_add_f32_e32 v150, v160, v150
	s_waitcnt vmcnt(27) lgkmcnt(2)
	v_mul_f32_e32 v160, v137, v167
	v_add_f32_e32 v161, v163, v161
	v_mul_f32_e32 v164, v136, v167
	s_waitcnt vmcnt(26)
	v_mul_f32_e32 v165, v139, v191
	v_add_f32_e32 v150, v150, v154
	v_fma_f32 v136, v136, v162, -v160
	v_add_f32_e32 v151, v161, v151
	v_mul_f32_e32 v163, v138, v191
	v_fmac_f32_e32 v164, v137, v162
	v_add_f32_e32 v150, v150, v155
	ds_read2_b64 v[132:135], v9 offset0:111 offset1:112
	ds_read2_b64 v[144:147], v9 offset0:113 offset1:114
	v_add_f32_e32 v151, v151, v153
	s_waitcnt vmcnt(25) lgkmcnt(3)
	v_mul_f32_e32 v154, v1, v192
	s_waitcnt vmcnt(24)
	v_mul_f32_e32 v161, v3, v193
	v_add_f32_e32 v150, v150, v157
	s_waitcnt vmcnt(23) lgkmcnt(2)
	v_mul_f32_e32 v167, v140, v194
	v_add_f32_e32 v151, v151, v156
	s_waitcnt vmcnt(22)
	v_mul_f32_e32 v155, v142, v159
	s_waitcnt vmcnt(12)
	v_fmac_f32_e32 v161, v4, v201
	v_add_f32_e32 v150, v150, v152
	s_waitcnt vmcnt(10)
	v_fma_f32 v138, v138, v203, -v165
	v_add_f32_e32 v149, v151, v149
	v_fmac_f32_e32 v163, v139, v203
	v_fmac_f32_e32 v154, v2, v202
	v_add_f32_e32 v150, v150, v158
	v_fmac_f32_e32 v167, v141, v200
	v_add_f32_e32 v148, v149, v148
	v_mul_f32_e32 v149, v2, v192
	ds_read2_b64 v[5:8], v9 offset0:115 offset1:116
	ds_read2_b64 v[9:12], v9 offset0:117 offset1:118
	v_add_f32_e32 v136, v150, v136
	s_waitcnt lgkmcnt(3)
	v_mul_f32_e32 v153, v132, v183
	v_add_f32_e32 v139, v148, v164
	v_mul_f32_e32 v148, v4, v193
	v_fma_f32 v1, v1, v202, -v149
	v_add_f32_e32 v2, v136, v138
	v_mul_f32_e32 v138, v141, v194
	v_add_f32_e32 v136, v139, v163
	v_fma_f32 v3, v3, v201, -v148
	v_mul_f32_e32 v4, v143, v159
	v_add_f32_e32 v1, v2, v1
	s_waitcnt vmcnt(6)
	v_fmac_f32_e32 v155, v143, v205
	v_add_f32_e32 v2, v136, v154
	v_fma_f32 v136, v140, v200, -v138
	v_fma_f32 v4, v142, v205, -v4
	v_add_f32_e32 v1, v1, v3
	v_mul_f32_e32 v3, v133, v183
	v_add_f32_e32 v2, v2, v161
	v_mul_f32_e32 v168, v134, v196
	v_fmac_f32_e32 v153, v133, v204
	v_add_f32_e32 v1, v1, v136
	v_mul_f32_e32 v136, v135, v196
	v_add_f32_e32 v2, v2, v167
	v_fma_f32 v3, v132, v204, -v3
	s_waitcnt lgkmcnt(2)
	v_mul_f32_e32 v157, v144, v197
	v_add_f32_e32 v1, v1, v4
	v_mul_f32_e32 v4, v145, v197
	v_add_f32_e32 v2, v2, v155
	v_fma_f32 v132, v134, v186, -v136
	v_fmac_f32_e32 v168, v135, v186
	v_add_f32_e32 v1, v1, v3
	v_mul_f32_e32 v3, v147, v174
	v_add_f32_e32 v2, v2, v153
	v_fma_f32 v4, v144, v175, -v4
	v_mul_f32_e32 v156, v146, v174
	v_add_f32_e32 v1, v1, v132
	v_fmac_f32_e32 v157, v145, v175
	v_add_f32_e32 v2, v2, v168
	s_waitcnt lgkmcnt(1)
	v_mul_f32_e32 v132, v6, v198
	s_waitcnt vmcnt(2)
	v_fma_f32 v3, v146, v206, -v3
	v_add_f32_e32 v1, v1, v4
	v_mul_f32_e32 v169, v5, v198
	v_fmac_f32_e32 v156, v147, v206
	v_add_f32_e32 v2, v2, v157
	v_mul_f32_e32 v4, v8, v184
	v_fma_f32 v5, v5, v187, -v132
	v_add_f32_e32 v1, v1, v3
	v_mul_f32_e32 v152, v7, v184
	v_fmac_f32_e32 v169, v6, v187
	v_add_f32_e32 v2, v2, v156
	s_waitcnt lgkmcnt(0)
	v_mul_f32_e32 v3, v10, v185
	v_fma_f32 v4, v7, v177, -v4
	v_add_f32_e32 v1, v1, v5
	v_mul_f32_e32 v151, v9, v185
	v_fmac_f32_e32 v152, v8, v177
	v_add_f32_e32 v2, v2, v169
	v_mul_f32_e32 v5, v12, v199
	v_fma_f32 v3, v9, v176, -v3
	v_add_f32_e32 v1, v1, v4
	v_mul_f32_e32 v137, v11, v199
	v_fmac_f32_e32 v151, v10, v176
	v_add_f32_e32 v2, v2, v152
	s_waitcnt vmcnt(0)
	v_fma_f32 v4, v11, v178, -v5
	v_add_f32_e32 v1, v1, v3
	v_fmac_f32_e32 v137, v12, v178
	v_add_f32_e32 v2, v2, v151
	v_add_f32_e32 v1, v1, v4
	;; [unrolled: 1-line block ×3, first 2 shown]
	v_sub_f32_e32 v1, v207, v1
	v_sub_f32_e32 v2, v166, v2
	buffer_store_dword v1, off, s[0:3], 0 offset:80
	buffer_store_dword v2, off, s[0:3], 0 offset:84
	v_cmpx_lt_u32_e32 9, v0
	s_cbranch_execz .LBB58_349
; %bb.348:
	s_clause 0x1
	buffer_load_dword v1, off, s[0:3], 0 offset:72
	buffer_load_dword v2, off, s[0:3], 0 offset:76
	v_mov_b32_e32 v3, 0
	buffer_store_dword v3, off, s[0:3], 0 offset:72
	buffer_store_dword v3, off, s[0:3], 0 offset:76
	s_waitcnt vmcnt(0)
	ds_write_b64 v131, v[1:2]
.LBB58_349:
	s_or_b32 exec_lo, exec_lo, s4
	s_waitcnt lgkmcnt(0)
	s_waitcnt_vscnt null, 0x0
	s_barrier
	buffer_gl0_inv
	s_clause 0x33
	buffer_load_dword v11, off, s[0:3], 0 offset:84
	buffer_load_dword v12, off, s[0:3], 0 offset:92
	;; [unrolled: 1-line block ×52, first 2 shown]
	v_mov_b32_e32 v9, 0
	ds_read_b128 v[5:8], v9 offset:560
	ds_read_b128 v[1:4], v9 offset:576
	;; [unrolled: 1-line block ×3, first 2 shown]
	s_clause 0x2
	buffer_load_dword v181, off, s[0:3], 0 offset:276
	buffer_load_dword v182, off, s[0:3], 0 offset:284
	;; [unrolled: 1-line block ×3, first 2 shown]
	ds_read_b128 v[188:191], v9 offset:608
	s_mov_b32 s4, exec_lo
	s_waitcnt vmcnt(54) lgkmcnt(3)
	v_mul_f32_e32 v192, v5, v11
	s_waitcnt vmcnt(53)
	v_mul_f32_e32 v193, v7, v12
	v_mul_f32_e32 v11, v6, v11
	;; [unrolled: 1-line block ×3, first 2 shown]
	s_waitcnt vmcnt(50)
	v_fmac_f32_e32 v192, v6, v137
	v_fmac_f32_e32 v193, v8, v135
	v_fma_f32 v11, v5, v137, -v11
	v_fma_f32 v12, v7, v135, -v12
	ds_read_b128 v[5:8], v9 offset:624
	s_waitcnt vmcnt(49) lgkmcnt(3)
	v_mul_f32_e32 v194, v1, v132
	s_waitcnt vmcnt(48)
	v_mul_f32_e32 v195, v3, v133
	v_mul_f32_e32 v132, v2, v132
	;; [unrolled: 1-line block ×3, first 2 shown]
	s_waitcnt vmcnt(47) lgkmcnt(2)
	v_mul_f32_e32 v196, v184, v136
	v_mul_f32_e32 v135, v185, v136
	v_fmac_f32_e32 v194, v2, v10
	v_fma_f32 v10, v1, v10, -v132
	s_waitcnt vmcnt(46)
	v_mul_f32_e32 v197, v186, v134
	v_mul_f32_e32 v132, v187, v134
	s_waitcnt vmcnt(42)
	v_fmac_f32_e32 v195, v4, v143
	v_fma_f32 v143, v3, v143, -v133
	ds_read_b128 v[1:4], v9 offset:640
	v_fmac_f32_e32 v196, v185, v142
	v_fma_f32 v142, v184, v142, -v135
	v_fmac_f32_e32 v197, v187, v140
	v_fma_f32 v140, v186, v140, -v132
	ds_read_b128 v[132:135], v9 offset:656
	s_waitcnt vmcnt(41) lgkmcnt(3)
	v_mul_f32_e32 v184, v188, v141
	v_mul_f32_e32 v136, v189, v141
	s_waitcnt vmcnt(40)
	v_mul_f32_e32 v141, v190, v139
	v_mul_f32_e32 v137, v191, v139
	s_waitcnt vmcnt(39) lgkmcnt(2)
	v_mul_f32_e32 v185, v5, v144
	v_fmac_f32_e32 v184, v189, v138
	v_fma_f32 v186, v188, v138, -v136
	s_waitcnt vmcnt(38)
	v_mul_f32_e32 v187, v7, v145
	v_mul_f32_e32 v144, v6, v144
	;; [unrolled: 1-line block ×3, first 2 shown]
	s_waitcnt vmcnt(34)
	v_fmac_f32_e32 v141, v191, v151
	v_fma_f32 v151, v190, v151, -v137
	ds_read_b128 v[136:139], v9 offset:672
	v_fmac_f32_e32 v185, v6, v150
	v_fmac_f32_e32 v187, v8, v148
	v_fma_f32 v144, v5, v150, -v144
	v_fma_f32 v145, v7, v148, -v145
	ds_read_b128 v[5:8], v9 offset:688
	s_waitcnt vmcnt(33) lgkmcnt(3)
	v_mul_f32_e32 v148, v1, v149
	v_mul_f32_e32 v149, v2, v149
	s_waitcnt vmcnt(32)
	v_mul_f32_e32 v150, v3, v147
	v_mul_f32_e32 v147, v4, v147
	s_waitcnt vmcnt(31) lgkmcnt(2)
	v_mul_f32_e32 v188, v132, v152
	v_fmac_f32_e32 v148, v2, v146
	v_fma_f32 v146, v1, v146, -v149
	s_waitcnt vmcnt(30)
	v_mul_f32_e32 v149, v134, v153
	v_mul_f32_e32 v153, v135, v153
	;; [unrolled: 1-line block ×3, first 2 shown]
	s_waitcnt vmcnt(26)
	v_fmac_f32_e32 v150, v4, v160
	v_fma_f32 v147, v3, v160, -v147
	v_fmac_f32_e32 v149, v135, v157
	v_fma_f32 v153, v134, v157, -v153
	s_waitcnt vmcnt(25) lgkmcnt(1)
	v_mul_f32_e32 v157, v136, v158
	v_mul_f32_e32 v158, v137, v158
	ds_read_b128 v[1:4], v9 offset:704
	v_fmac_f32_e32 v188, v133, v159
	v_fma_f32 v152, v132, v159, -v152
	s_waitcnt vmcnt(24)
	v_mul_f32_e32 v159, v138, v156
	v_mul_f32_e32 v156, v139, v156
	s_waitcnt vmcnt(23) lgkmcnt(1)
	v_mul_f32_e32 v160, v5, v161
	v_fmac_f32_e32 v157, v137, v154
	v_fma_f32 v136, v136, v154, -v158
	v_mul_f32_e32 v154, v6, v161
	ds_read_b128 v[132:135], v9 offset:720
	s_waitcnt vmcnt(22)
	v_mul_f32_e32 v137, v7, v163
	v_mul_f32_e32 v158, v8, v163
	s_waitcnt vmcnt(18)
	v_fmac_f32_e32 v159, v139, v171
	v_fma_f32 v138, v138, v171, -v156
	v_fmac_f32_e32 v160, v6, v170
	v_fma_f32 v5, v5, v170, -v154
	s_clause 0x5
	buffer_load_dword v139, off, s[0:3], 0 offset:300
	buffer_load_dword v154, off, s[0:3], 0 offset:304
	;; [unrolled: 1-line block ×6, first 2 shown]
	v_fmac_f32_e32 v137, v8, v169
	v_fma_f32 v6, v7, v169, -v158
	s_clause 0x1
	buffer_load_dword v158, off, s[0:3], 0 offset:316
	buffer_load_dword v169, off, s[0:3], 0 offset:324
	s_waitcnt vmcnt(25) lgkmcnt(1)
	v_mul_f32_e32 v171, v1, v167
	s_waitcnt vmcnt(24)
	v_mul_f32_e32 v189, v3, v168
	v_mul_f32_e32 v7, v2, v167
	;; [unrolled: 1-line block ×3, first 2 shown]
	buffer_load_dword v167, off, s[0:3], 0 offset:332
	v_fmac_f32_e32 v171, v2, v165
	s_waitcnt vmcnt(21)
	v_fmac_f32_e32 v189, v4, v179
	v_fma_f32 v165, v1, v165, -v7
	v_fma_f32 v168, v3, v179, -v8
	ds_read_b128 v[1:4], v9 offset:736
	s_waitcnt vmcnt(20) lgkmcnt(1)
	v_mul_f32_e32 v179, v132, v177
	s_waitcnt vmcnt(19)
	v_mul_f32_e32 v190, v134, v178
	v_mul_f32_e32 v7, v133, v177
	;; [unrolled: 1-line block ×3, first 2 shown]
	s_clause 0x4
	buffer_load_dword v177, off, s[0:3], 0 offset:352
	buffer_load_dword v178, off, s[0:3], 0 offset:344
	;; [unrolled: 1-line block ×5, first 2 shown]
	v_fmac_f32_e32 v179, v133, v176
	v_fmac_f32_e32 v190, v135, v175
	v_fma_f32 v176, v132, v176, -v7
	v_add_f32_e32 v7, 0, v192
	v_fma_f32 v175, v134, v175, -v8
	buffer_load_dword v192, off, s[0:3], 0 offset:348
	v_add_f32_e32 v8, 0, v11
	v_add_f32_e32 v7, v7, v193
	buffer_load_dword v193, off, s[0:3], 0 offset:356
	v_add_f32_e32 v8, v8, v12
	v_add_f32_e32 v7, v7, v194
	s_waitcnt vmcnt(25) lgkmcnt(0)
	v_mul_f32_e32 v11, v1, v174
	v_mul_f32_e32 v12, v2, v174
	s_waitcnt vmcnt(24)
	v_mul_f32_e32 v174, v3, v173
	v_mul_f32_e32 v132, v4, v173
	v_fmac_f32_e32 v11, v2, v172
	v_add_f32_e32 v2, v7, v195
	v_fma_f32 v12, v1, v172, -v12
	s_clause 0x2
	buffer_load_dword v172, off, s[0:3], 0 offset:364
	buffer_load_dword v173, off, s[0:3], 0 offset:372
	;; [unrolled: 1-line block ×3, first 2 shown]
	v_add_f32_e32 v1, v8, v10
	buffer_load_dword v195, off, s[0:3], 0 offset:396
	v_add_f32_e32 v2, v2, v196
	s_waitcnt vmcnt(23)
	v_fmac_f32_e32 v174, v4, v180
	v_fma_f32 v10, v3, v180, -v132
	s_clause 0x5
	buffer_load_dword v180, off, s[0:3], 0 offset:388
	buffer_load_dword v196, off, s[0:3], 0 offset:384
	;; [unrolled: 1-line block ×6, first 2 shown]
	v_add_f32_e32 v1, v1, v143
	v_add_f32_e32 v2, v2, v197
	s_clause 0x1
	buffer_load_dword v197, off, s[0:3], 0 offset:412
	buffer_load_dword v204, off, s[0:3], 0 offset:420
	v_add_f32_e32 v1, v1, v142
	v_add_f32_e32 v2, v2, v184
	;; [unrolled: 1-line block ×6, first 2 shown]
	s_clause 0x5
	buffer_load_dword v184, off, s[0:3], 0 offset:428
	buffer_load_dword v186, off, s[0:3], 0 offset:436
	;; [unrolled: 1-line block ×6, first 2 shown]
	v_add_f32_e32 v2, v2, v187
	s_clause 0x3
	buffer_load_dword v187, off, s[0:3], 0 offset:416
	buffer_load_dword v208, off, s[0:3], 0 offset:408
	;; [unrolled: 1-line block ×4, first 2 shown]
	v_add_f32_e32 v1, v1, v151
	v_add_f32_e32 v2, v2, v148
	;; [unrolled: 1-line block ×6, first 2 shown]
	s_clause 0x3
	buffer_load_dword v188, off, s[0:3], 0 offset:448
	buffer_load_dword v211, off, s[0:3], 0 offset:440
	;; [unrolled: 1-line block ×4, first 2 shown]
	v_add_f32_e32 v1, v1, v146
	v_add_f32_e32 v2, v2, v149
	;; [unrolled: 1-line block ×5, first 2 shown]
	s_clause 0x1
	buffer_load_dword v152, off, s[0:3], 0 offset:464
	buffer_load_dword v214, off, s[0:3], 0 offset:456
	v_add_f32_e32 v7, v2, v159
	v_add_f32_e32 v1, v1, v153
	buffer_load_dword v153, off, s[0:3], 0 offset:72
	v_add_f32_e32 v7, v7, v160
	v_add_f32_e32 v1, v1, v136
	;; [unrolled: 1-line block ×4, first 2 shown]
	ds_read_b128 v[1:4], v9 offset:752
	v_add_f32_e32 v132, v132, v171
	v_add_f32_e32 v5, v8, v5
	;; [unrolled: 1-line block ×4, first 2 shown]
	ds_read_b128 v[5:8], v9 offset:768
	v_add_f32_e32 v136, v136, v179
	v_add_f32_e32 v133, v133, v165
	;; [unrolled: 1-line block ×4, first 2 shown]
	s_waitcnt vmcnt(47) lgkmcnt(1)
	v_mul_f32_e32 v140, v1, v181
	s_waitcnt vmcnt(46)
	v_mul_f32_e32 v144, v3, v182
	v_mul_f32_e32 v134, v2, v181
	;; [unrolled: 1-line block ×3, first 2 shown]
	v_add_f32_e32 v137, v137, v176
	v_fmac_f32_e32 v140, v2, v166
	v_fmac_f32_e32 v144, v4, v164
	v_fma_f32 v141, v1, v166, -v134
	v_fma_f32 v145, v3, v164, -v135
	v_add_f32_e32 v143, v137, v175
	ds_read_b128 v[1:4], v9 offset:784
	ds_read_b128 v[132:135], v9 offset:800
	s_waitcnt lgkmcnt(2)
	v_mul_f32_e32 v148, v5, v162
	v_mul_f32_e32 v138, v6, v162
	v_add_f32_e32 v12, v143, v12
	v_add_f32_e32 v11, v142, v11
	v_fmac_f32_e32 v148, v6, v155
	v_fma_f32 v150, v5, v155, -v138
	v_add_f32_e32 v10, v12, v10
	v_add_f32_e32 v11, v11, v174
	;; [unrolled: 1-line block ×8, first 2 shown]
	s_waitcnt vmcnt(44)
	v_mul_f32_e32 v149, v7, v139
	v_mul_f32_e32 v139, v8, v139
	s_waitcnt vmcnt(42) lgkmcnt(1)
	v_mul_f32_e32 v155, v1, v156
	v_mul_f32_e32 v142, v2, v156
	s_waitcnt vmcnt(39)
	v_fmac_f32_e32 v149, v8, v170
	v_fma_f32 v151, v7, v170, -v139
	ds_read_b128 v[5:8], v9 offset:816
	ds_read_b128 v[136:139], v9 offset:832
	s_waitcnt vmcnt(37) lgkmcnt(2)
	v_mul_f32_e32 v157, v132, v169
	v_mul_f32_e32 v146, v133, v169
	;; [unrolled: 1-line block ×3, first 2 shown]
	v_fmac_f32_e32 v155, v2, v154
	v_fma_f32 v154, v1, v154, -v142
	v_fmac_f32_e32 v157, v133, v161
	v_fma_f32 v159, v132, v161, -v146
	v_add_f32_e32 v10, v10, v151
	v_mul_f32_e32 v156, v3, v158
	v_fma_f32 v158, v3, v163, -v143
	s_waitcnt vmcnt(36)
	v_mul_f32_e32 v147, v135, v167
	v_mul_f32_e32 v12, v134, v167
	v_add_f32_e32 v154, v10, v154
	v_fmac_f32_e32 v156, v4, v163
	ds_read_b128 v[1:4], v9 offset:848
	ds_read_b128 v[140:143], v9 offset:864
	s_waitcnt vmcnt(32)
	v_fma_f32 v160, v134, v198, -v147
	v_fmac_f32_e32 v12, v135, v198
	v_add_f32_e32 v154, v154, v158
	s_waitcnt vmcnt(31) lgkmcnt(3)
	v_mul_f32_e32 v161, v5, v199
	v_mul_f32_e32 v148, v6, v199
	ds_read_b128 v[132:135], v9 offset:880
	ds_read_b128 v[144:147], v9 offset:896
	s_waitcnt vmcnt(30)
	v_mul_f32_e32 v150, v8, v192
	v_add_f32_e32 v154, v154, v159
	v_fmac_f32_e32 v161, v6, v191
	v_add_f32_e32 v6, v11, v149
	v_fma_f32 v163, v5, v191, -v148
	v_mul_f32_e32 v162, v7, v192
	v_add_f32_e32 v154, v154, v160
	v_fma_f32 v164, v7, v178, -v150
	v_add_f32_e32 v155, v6, v155
	s_waitcnt vmcnt(29) lgkmcnt(4)
	v_mul_f32_e32 v165, v137, v193
	v_fmac_f32_e32 v162, v8, v178
	v_add_f32_e32 v154, v154, v163
	ds_read_b128 v[5:8], v9 offset:912
	ds_read_b128 v[148:151], v9 offset:928
	ds_read_b64 v[10:11], v9 offset:944
	v_add_f32_e32 v155, v155, v156
	v_mul_f32_e32 v156, v136, v193
	s_waitcnt vmcnt(28)
	v_mul_f32_e32 v166, v139, v172
	v_fma_f32 v136, v136, v177, -v165
	v_add_f32_e32 v154, v154, v164
	v_add_f32_e32 v155, v155, v157
	v_mul_f32_e32 v158, v138, v172
	v_fmac_f32_e32 v156, v137, v177
	s_waitcnt vmcnt(27) lgkmcnt(6)
	v_mul_f32_e32 v157, v1, v173
	v_mul_f32_e32 v165, v2, v173
	v_add_f32_e32 v12, v155, v12
	s_waitcnt vmcnt(20)
	v_fma_f32 v138, v138, v202, -v166
	v_add_f32_e32 v136, v154, v136
	v_fmac_f32_e32 v158, v139, v202
	v_fmac_f32_e32 v157, v2, v201
	v_add_f32_e32 v12, v12, v161
	v_fma_f32 v1, v1, v201, -v165
	v_add_f32_e32 v2, v136, v138
	v_mul_f32_e32 v159, v3, v194
	s_waitcnt lgkmcnt(5)
	v_mul_f32_e32 v136, v141, v180
	v_add_f32_e32 v12, v12, v162
	v_mul_f32_e32 v162, v4, v194
	v_add_f32_e32 v1, v2, v1
	v_mul_f32_e32 v137, v140, v180
	v_fmac_f32_e32 v159, v4, v200
	v_add_f32_e32 v12, v12, v156
	v_fma_f32 v3, v3, v200, -v162
	v_mul_f32_e32 v4, v143, v195
	v_mul_f32_e32 v155, v142, v195
	v_fmac_f32_e32 v137, v141, v196
	v_add_f32_e32 v12, v12, v158
	v_add_f32_e32 v1, v1, v3
	s_waitcnt vmcnt(19) lgkmcnt(4)
	v_mul_f32_e32 v3, v133, v203
	s_waitcnt vmcnt(7)
	v_fma_f32 v4, v142, v210, -v4
	v_mul_f32_e32 v160, v132, v203
	v_add_f32_e32 v2, v12, v157
	v_fma_f32 v12, v140, v196, -v136
	v_fmac_f32_e32 v155, v143, v210
	v_fma_f32 v3, v132, v209, -v3
	v_mul_f32_e32 v139, v134, v197
	v_add_f32_e32 v2, v2, v159
	v_add_f32_e32 v1, v1, v12
	v_mul_f32_e32 v12, v135, v197
	v_fmac_f32_e32 v160, v133, v209
	s_waitcnt lgkmcnt(3)
	v_mul_f32_e32 v166, v144, v204
	v_add_f32_e32 v2, v2, v137
	v_add_f32_e32 v1, v1, v4
	v_mul_f32_e32 v4, v145, v204
	v_fma_f32 v12, v134, v208, -v12
	v_fmac_f32_e32 v139, v135, v208
	v_add_f32_e32 v2, v2, v155
	v_add_f32_e32 v1, v1, v3
	v_mul_f32_e32 v3, v147, v184
	v_fma_f32 v4, v144, v187, -v4
	v_mul_f32_e32 v161, v146, v184
	v_add_f32_e32 v2, v2, v160
	v_add_f32_e32 v1, v1, v12
	v_fmac_f32_e32 v166, v145, v187
	s_waitcnt lgkmcnt(2)
	v_mul_f32_e32 v12, v6, v186
	s_waitcnt vmcnt(3)
	v_fma_f32 v3, v146, v213, -v3
	v_add_f32_e32 v2, v2, v139
	v_add_f32_e32 v1, v1, v4
	v_mul_f32_e32 v163, v5, v186
	v_fmac_f32_e32 v161, v147, v213
	v_mul_f32_e32 v4, v8, v205
	v_add_f32_e32 v2, v2, v166
	v_fma_f32 v5, v5, v212, -v12
	v_add_f32_e32 v1, v1, v3
	v_mul_f32_e32 v167, v7, v205
	v_fmac_f32_e32 v163, v6, v212
	v_add_f32_e32 v2, v2, v161
	s_waitcnt lgkmcnt(1)
	v_mul_f32_e32 v3, v149, v206
	v_fma_f32 v4, v7, v211, -v4
	v_add_f32_e32 v1, v1, v5
	v_mul_f32_e32 v164, v148, v206
	v_fmac_f32_e32 v167, v8, v211
	v_add_f32_e32 v2, v2, v163
	v_mul_f32_e32 v5, v151, v207
	v_fma_f32 v3, v148, v188, -v3
	v_add_f32_e32 v1, v1, v4
	v_mul_f32_e32 v168, v150, v207
	v_fmac_f32_e32 v164, v149, v188
	v_add_f32_e32 v2, v2, v167
	s_waitcnt lgkmcnt(0)
	v_mul_f32_e32 v4, v11, v185
	s_waitcnt vmcnt(1)
	v_fma_f32 v5, v150, v214, -v5
	v_add_f32_e32 v1, v1, v3
	v_mul_f32_e32 v154, v10, v185
	v_fmac_f32_e32 v168, v151, v214
	v_add_f32_e32 v2, v2, v164
	v_fma_f32 v3, v10, v152, -v4
	v_add_f32_e32 v1, v1, v5
	v_fmac_f32_e32 v154, v11, v152
	v_add_f32_e32 v2, v2, v168
	v_add_f32_e32 v1, v1, v3
	;; [unrolled: 1-line block ×3, first 2 shown]
	s_waitcnt vmcnt(0)
	v_sub_f32_e32 v1, v153, v1
	v_sub_f32_e32 v2, v183, v2
	buffer_store_dword v1, off, s[0:3], 0 offset:72
	buffer_store_dword v2, off, s[0:3], 0 offset:76
	v_cmpx_lt_u32_e32 8, v0
	s_cbranch_execz .LBB58_351
; %bb.350:
	s_clause 0x1
	buffer_load_dword v1, off, s[0:3], 0 offset:64
	buffer_load_dword v2, off, s[0:3], 0 offset:68
	buffer_store_dword v9, off, s[0:3], 0 offset:64
	buffer_store_dword v9, off, s[0:3], 0 offset:68
	s_waitcnt vmcnt(0)
	ds_write_b64 v131, v[1:2]
.LBB58_351:
	s_or_b32 exec_lo, exec_lo, s4
	s_waitcnt lgkmcnt(0)
	s_waitcnt_vscnt null, 0x0
	s_barrier
	buffer_gl0_inv
	s_clause 0x35
	buffer_load_dword v1, off, s[0:3], 0 offset:76
	buffer_load_dword v3, off, s[0:3], 0 offset:84
	;; [unrolled: 1-line block ×54, first 2 shown]
	ds_read2_b64 v[176:179], v9 offset0:69 offset1:70
	ds_read2_b64 v[180:183], v9 offset0:71 offset1:72
	;; [unrolled: 1-line block ×4, first 2 shown]
	buffer_load_dword v170, off, s[0:3], 0 offset:68
	s_mov_b32 s4, exec_lo
	s_waitcnt vmcnt(54) lgkmcnt(3)
	v_mul_f32_e32 v192, v176, v1
	v_mul_f32_e32 v1, v177, v1
	s_waitcnt vmcnt(53)
	v_mul_f32_e32 v193, v178, v3
	v_mul_f32_e32 v3, v179, v3
	s_waitcnt vmcnt(52) lgkmcnt(2)
	v_mul_f32_e32 v194, v180, v5
	v_mul_f32_e32 v5, v181, v5
	s_waitcnt vmcnt(49)
	v_fma_f32 v195, v176, v7, -v1
	s_waitcnt vmcnt(48)
	v_mul_f32_e32 v1, v183, v6
	v_fmac_f32_e32 v192, v177, v7
	v_fmac_f32_e32 v193, v179, v4
	v_fma_f32 v197, v178, v4, -v3
	v_fmac_f32_e32 v194, v181, v2
	v_fma_f32 v180, v180, v2, -v5
	s_waitcnt vmcnt(44)
	v_fma_f32 v181, v182, v135, -v1
	ds_read2_b64 v[1:4], v9 offset0:77 offset1:78
	ds_read2_b64 v[176:179], v9 offset0:79 offset1:80
	v_mul_f32_e32 v196, v182, v6
	s_waitcnt vmcnt(43) lgkmcnt(3)
	v_mul_f32_e32 v182, v184, v134
	v_mul_f32_e32 v5, v185, v134
	s_waitcnt vmcnt(42)
	v_mul_f32_e32 v6, v187, v133
	s_waitcnt vmcnt(41) lgkmcnt(2)
	v_mul_f32_e32 v198, v188, v12
	v_fmac_f32_e32 v196, v183, v135
	v_mul_f32_e32 v183, v186, v133
	v_fmac_f32_e32 v182, v185, v11
	v_fma_f32 v11, v184, v11, -v5
	s_waitcnt vmcnt(40)
	v_mul_f32_e32 v184, v190, v132
	v_mul_f32_e32 v5, v189, v12
	;; [unrolled: 1-line block ×3, first 2 shown]
	v_fmac_f32_e32 v183, v187, v10
	v_fma_f32 v10, v186, v10, -v6
	v_fmac_f32_e32 v198, v189, v8
	s_waitcnt vmcnt(36)
	v_fmac_f32_e32 v184, v191, v143
	v_fma_f32 v12, v188, v8, -v5
	v_fma_f32 v143, v190, v143, -v7
	ds_read2_b64 v[5:8], v9 offset0:81 offset1:82
	ds_read2_b64 v[132:135], v9 offset0:83 offset1:84
	s_waitcnt vmcnt(35) lgkmcnt(3)
	v_mul_f32_e32 v185, v1, v142
	v_mul_f32_e32 v142, v2, v142
	s_waitcnt vmcnt(34)
	v_mul_f32_e32 v186, v3, v141
	v_mul_f32_e32 v141, v4, v141
	s_waitcnt vmcnt(33) lgkmcnt(2)
	v_mul_f32_e32 v187, v176, v139
	v_fmac_f32_e32 v185, v2, v138
	v_fma_f32 v142, v1, v138, -v142
	s_waitcnt vmcnt(32)
	v_mul_f32_e32 v188, v178, v140
	v_mul_f32_e32 v1, v177, v139
	v_mul_f32_e32 v2, v179, v140
	v_fmac_f32_e32 v186, v4, v137
	v_fma_f32 v140, v3, v137, -v141
	v_fmac_f32_e32 v187, v177, v136
	s_waitcnt vmcnt(28)
	v_fmac_f32_e32 v188, v179, v150
	v_fma_f32 v141, v176, v136, -v1
	v_fma_f32 v150, v178, v150, -v2
	ds_read2_b64 v[1:4], v9 offset0:85 offset1:86
	ds_read2_b64 v[136:139], v9 offset0:87 offset1:88
	s_waitcnt vmcnt(27) lgkmcnt(3)
	v_mul_f32_e32 v176, v5, v149
	v_mul_f32_e32 v149, v6, v149
	s_waitcnt vmcnt(26)
	v_mul_f32_e32 v177, v7, v148
	v_mul_f32_e32 v148, v8, v148
	s_waitcnt vmcnt(25) lgkmcnt(2)
	v_mul_f32_e32 v178, v132, v147
	v_mul_f32_e32 v147, v133, v147
	v_fmac_f32_e32 v176, v6, v146
	v_fma_f32 v146, v5, v146, -v149
	s_waitcnt vmcnt(24)
	v_mul_f32_e32 v149, v134, v151
	v_mul_f32_e32 v5, v135, v151
	v_fmac_f32_e32 v177, v8, v145
	v_fma_f32 v145, v7, v145, -v148
	v_fmac_f32_e32 v178, v133, v144
	v_fma_f32 v144, v132, v144, -v147
	s_waitcnt vmcnt(20)
	v_fmac_f32_e32 v149, v135, v158
	v_fma_f32 v147, v134, v158, -v5
	ds_read2_b64 v[5:8], v9 offset0:89 offset1:90
	ds_read2_b64 v[132:135], v9 offset0:91 offset1:92
	s_waitcnt vmcnt(19) lgkmcnt(3)
	v_mul_f32_e32 v151, v2, v157
	v_mul_f32_e32 v148, v1, v157
	s_waitcnt vmcnt(18)
	v_mul_f32_e32 v157, v3, v156
	v_mul_f32_e32 v156, v4, v156
	s_waitcnt vmcnt(17) lgkmcnt(2)
	v_mul_f32_e32 v158, v136, v155
	v_fma_f32 v151, v1, v154, -v151
	s_waitcnt vmcnt(16)
	v_mul_f32_e32 v1, v139, v159
	v_mul_f32_e32 v155, v137, v155
	v_fmac_f32_e32 v148, v2, v154
	v_mul_f32_e32 v154, v138, v159
	v_fmac_f32_e32 v157, v4, v153
	v_fma_f32 v153, v3, v153, -v156
	s_clause 0x4
	buffer_load_dword v156, off, s[0:3], 0 offset:292
	buffer_load_dword v159, off, s[0:3], 0 offset:312
	;; [unrolled: 1-line block ×5, first 2 shown]
	v_fmac_f32_e32 v158, v137, v152
	s_waitcnt vmcnt(17)
	v_fma_f32 v137, v138, v167, -v1
	ds_read2_b64 v[1:4], v9 offset0:93 offset1:94
	v_fmac_f32_e32 v154, v139, v167
	v_fma_f32 v136, v136, v152, -v155
	s_waitcnt vmcnt(16) lgkmcnt(2)
	v_mul_f32_e32 v138, v5, v165
	v_mul_f32_e32 v139, v6, v165
	s_waitcnt vmcnt(15)
	v_mul_f32_e32 v152, v7, v164
	v_mul_f32_e32 v155, v8, v164
	buffer_load_dword v164, off, s[0:3], 0 offset:308
	v_fmac_f32_e32 v138, v6, v163
	v_fma_f32 v139, v5, v163, -v139
	buffer_load_dword v163, off, s[0:3], 0 offset:300
	v_fmac_f32_e32 v152, v8, v161
	v_fma_f32 v155, v7, v161, -v155
	s_waitcnt vmcnt(16) lgkmcnt(1)
	v_mul_f32_e32 v161, v132, v162
	v_mul_f32_e32 v5, v133, v162
	s_waitcnt vmcnt(15)
	v_mul_f32_e32 v6, v135, v166
	v_mul_f32_e32 v162, v134, v166
	v_fmac_f32_e32 v161, v133, v160
	v_fma_f32 v160, v132, v160, -v5
	s_waitcnt vmcnt(10)
	v_fma_f32 v165, v134, v175, -v6
	ds_read2_b64 v[5:8], v9 offset0:95 offset1:96
	s_waitcnt vmcnt(9) lgkmcnt(1)
	v_mul_f32_e32 v166, v1, v174
	v_mul_f32_e32 v132, v2, v174
	s_waitcnt vmcnt(8)
	v_mul_f32_e32 v191, v3, v173
	v_fmac_f32_e32 v162, v135, v175
	s_clause 0x2
	buffer_load_dword v167, off, s[0:3], 0 offset:316
	buffer_load_dword v174, off, s[0:3], 0 offset:324
	buffer_load_dword v175, off, s[0:3], 0 offset:332
	v_fmac_f32_e32 v166, v2, v172
	v_fma_f32 v172, v1, v172, -v132
	v_mul_f32_e32 v1, v4, v173
	v_fmac_f32_e32 v191, v4, v171
	v_add_f32_e32 v2, 0, v195
	s_clause 0x3
	buffer_load_dword v173, off, s[0:3], 0 offset:344
	buffer_load_dword v199, off, s[0:3], 0 offset:336
	;; [unrolled: 1-line block ×4, first 2 shown]
	v_fma_f32 v171, v3, v171, -v1
	v_add_f32_e32 v1, 0, v192
	v_add_f32_e32 v2, v2, v197
	buffer_load_dword v192, off, s[0:3], 0 offset:340
	v_add_f32_e32 v1, v1, v193
	v_add_f32_e32 v2, v2, v180
	s_waitcnt lgkmcnt(0)
	v_mul_f32_e32 v3, v6, v169
	v_add_f32_e32 v1, v1, v194
	s_clause 0x1
	buffer_load_dword v193, off, s[0:3], 0 offset:348
	buffer_load_dword v194, off, s[0:3], 0 offset:356
	v_add_f32_e32 v2, v2, v181
	v_add_f32_e32 v1, v1, v196
	;; [unrolled: 1-line block ×3, first 2 shown]
	v_fma_f32 v11, v5, v168, -v3
	v_add_f32_e32 v1, v1, v182
	s_clause 0x5
	buffer_load_dword v180, off, s[0:3], 0 offset:376
	buffer_load_dword v181, off, s[0:3], 0 offset:368
	;; [unrolled: 1-line block ×6, first 2 shown]
	v_add_f32_e32 v2, v2, v10
	v_add_f32_e32 v1, v1, v183
	buffer_load_dword v183, off, s[0:3], 0 offset:364
	v_mul_f32_e32 v10, v5, v169
	v_add_f32_e32 v2, v2, v12
	v_add_f32_e32 v1, v1, v198
	v_fmac_f32_e32 v10, v6, v168
	v_add_f32_e32 v2, v2, v143
	v_add_f32_e32 v1, v1, v184
	s_clause 0x2
	buffer_load_dword v184, off, s[0:3], 0 offset:388
	buffer_load_dword v198, off, s[0:3], 0 offset:396
	buffer_load_dword v202, off, s[0:3], 0 offset:404
	v_add_f32_e32 v2, v2, v142
	v_add_f32_e32 v1, v1, v185
	s_clause 0x2
	buffer_load_dword v185, off, s[0:3], 0 offset:412
	buffer_load_dword v203, off, s[0:3], 0 offset:420
	buffer_load_dword v204, off, s[0:3], 0 offset:428
	;; [unrolled: 6-line block ×3, first 2 shown]
	buffer_load_dword v207, off, s[0:3], 0 offset:468
	v_add_f32_e32 v2, v2, v141
	v_add_f32_e32 v1, v1, v187
	buffer_load_dword v187, off, s[0:3], 0 offset:460
	v_add_f32_e32 v2, v2, v150
	v_add_f32_e32 v1, v1, v188
	;; [unrolled: 1-line block ×4, first 2 shown]
	s_clause 0x3
	buffer_load_dword v176, off, s[0:3], 0 offset:408
	buffer_load_dword v188, off, s[0:3], 0 offset:400
	;; [unrolled: 1-line block ×4, first 2 shown]
	v_add_f32_e32 v2, v2, v145
	v_add_f32_e32 v1, v1, v177
	;; [unrolled: 1-line block ×4, first 2 shown]
	s_clause 0x7
	buffer_load_dword v177, off, s[0:3], 0 offset:440
	buffer_load_dword v178, off, s[0:3], 0 offset:432
	;; [unrolled: 1-line block ×8, first 2 shown]
	v_add_f32_e32 v2, v2, v147
	v_add_f32_e32 v1, v1, v149
	;; [unrolled: 1-line block ×8, first 2 shown]
	ds_read2_b64 v[1:4], v9 offset0:97 offset1:98
	v_add_f32_e32 v12, v5, v137
	v_add_f32_e32 v132, v6, v154
	;; [unrolled: 1-line block ×4, first 2 shown]
	ds_read2_b64 v[132:135], v9 offset0:101 offset1:102
	v_add_f32_e32 v12, v12, v155
	v_add_f32_e32 v136, v136, v152
	;; [unrolled: 1-line block ×3, first 2 shown]
	s_waitcnt vmcnt(46)
	v_mul_f32_e32 v148, v7, v156
	v_mul_f32_e32 v5, v8, v156
	s_waitcnt vmcnt(42)
	v_fmac_f32_e32 v148, v8, v190
	v_fma_f32 v149, v7, v190, -v5
	ds_read2_b64 v[5:8], v9 offset0:99 offset1:100
	s_waitcnt vmcnt(41) lgkmcnt(2)
	v_mul_f32_e32 v140, v4, v164
	s_waitcnt vmcnt(40)
	v_mul_f32_e32 v137, v2, v163
	v_mul_f32_e32 v150, v1, v163
	v_fma_f32 v155, v3, v179, -v140
	v_fma_f32 v151, v1, v189, -v137
	v_add_f32_e32 v1, v136, v161
	v_fmac_f32_e32 v150, v2, v189
	v_add_f32_e32 v2, v12, v165
	ds_read2_b64 v[136:139], v9 offset0:103 offset1:104
	v_mul_f32_e32 v12, v3, v164
	v_add_f32_e32 v1, v1, v162
	v_add_f32_e32 v2, v2, v172
	s_waitcnt vmcnt(39) lgkmcnt(1)
	v_mul_f32_e32 v141, v6, v167
	v_mul_f32_e32 v152, v5, v167
	v_add_f32_e32 v1, v1, v166
	s_waitcnt vmcnt(37)
	v_mul_f32_e32 v154, v132, v175
	v_fmac_f32_e32 v12, v4, v179
	v_fma_f32 v156, v5, v159, -v141
	v_add_f32_e32 v5, v2, v171
	v_fmac_f32_e32 v152, v6, v159
	v_add_f32_e32 v6, v1, v191
	v_mul_f32_e32 v144, v8, v174
	v_mul_f32_e32 v145, v133, v175
	v_add_f32_e32 v11, v5, v11
	s_waitcnt vmcnt(34)
	v_fmac_f32_e32 v154, v133, v200
	v_add_f32_e32 v10, v6, v10
	v_mul_f32_e32 v153, v7, v174
	s_waitcnt vmcnt(33)
	v_fma_f32 v157, v7, v201, -v144
	v_add_f32_e32 v11, v11, v149
	ds_read2_b64 v[1:4], v9 offset0:105 offset1:106
	ds_read2_b64 v[140:143], v9 offset0:107 offset1:108
	v_add_f32_e32 v10, v10, v148
	v_fmac_f32_e32 v153, v8, v201
	v_fma_f32 v158, v132, v200, -v145
	s_waitcnt vmcnt(31) lgkmcnt(2)
	v_mul_f32_e32 v160, v136, v193
	v_add_f32_e32 v11, v11, v151
	s_waitcnt vmcnt(30)
	v_mul_f32_e32 v161, v138, v194
	v_add_f32_e32 v10, v10, v150
	v_mul_f32_e32 v133, v137, v193
	v_fmac_f32_e32 v160, v137, v173
	v_add_f32_e32 v137, v11, v155
	v_mul_f32_e32 v162, v139, v194
	v_mul_f32_e32 v132, v135, v192
	v_mul_f32_e32 v159, v134, v192
	v_fma_f32 v136, v136, v173, -v133
	s_waitcnt vmcnt(26)
	v_fmac_f32_e32 v161, v139, v195
	v_add_f32_e32 v139, v10, v12
	v_add_f32_e32 v137, v137, v156
	v_fma_f32 v163, v134, v199, -v132
	v_fmac_f32_e32 v159, v135, v199
	v_fma_f32 v138, v138, v195, -v162
	v_add_f32_e32 v139, v139, v152
	v_add_f32_e32 v137, v137, v157
	s_waitcnt vmcnt(23) lgkmcnt(1)
	v_mul_f32_e32 v156, v2, v183
	ds_read2_b64 v[5:8], v9 offset0:109 offset1:110
	ds_read2_b64 v[144:147], v9 offset0:111 offset1:112
	v_mul_f32_e32 v155, v1, v183
	v_add_f32_e32 v139, v139, v153
	v_add_f32_e32 v137, v137, v158
	v_mul_f32_e32 v162, v4, v196
	v_fma_f32 v1, v1, v182, -v156
	v_mul_f32_e32 v152, v3, v196
	v_add_f32_e32 v139, v139, v154
	v_add_f32_e32 v137, v137, v163
	v_fmac_f32_e32 v155, v2, v182
	v_fma_f32 v3, v3, v181, -v162
	s_waitcnt lgkmcnt(2)
	v_mul_f32_e32 v157, v140, v197
	v_add_f32_e32 v139, v139, v159
	v_add_f32_e32 v136, v137, v136
	v_fmac_f32_e32 v152, v4, v181
	s_waitcnt vmcnt(22)
	v_mul_f32_e32 v153, v142, v184
	v_fmac_f32_e32 v157, v141, v180
	v_add_f32_e32 v139, v139, v160
	v_add_f32_e32 v136, v136, v138
	ds_read2_b64 v[132:135], v9 offset0:113 offset1:114
	ds_read2_b64 v[148:151], v9 offset0:115 offset1:116
	s_waitcnt vmcnt(21) lgkmcnt(3)
	v_mul_f32_e32 v164, v5, v198
	s_waitcnt vmcnt(20)
	v_mul_f32_e32 v158, v7, v202
	v_add_f32_e32 v138, v139, v161
	v_mul_f32_e32 v139, v141, v197
	v_add_f32_e32 v1, v136, v1
	v_mul_f32_e32 v136, v143, v184
	s_waitcnt vmcnt(19) lgkmcnt(2)
	v_mul_f32_e32 v154, v144, v185
	v_add_f32_e32 v4, v138, v155
	v_fma_f32 v138, v140, v180, -v139
	v_add_f32_e32 v1, v1, v3
	s_waitcnt vmcnt(9)
	v_fmac_f32_e32 v164, v6, v208
	s_waitcnt vmcnt(8)
	v_fma_f32 v136, v142, v209, -v136
	v_add_f32_e32 v3, v4, v152
	v_mul_f32_e32 v4, v6, v198
	v_add_f32_e32 v1, v1, v138
	v_fmac_f32_e32 v153, v143, v209
	v_mul_f32_e32 v138, v8, v202
	v_add_f32_e32 v3, v3, v157
	v_fma_f32 v4, v5, v208, -v4
	v_add_f32_e32 v1, v1, v136
	v_mul_f32_e32 v5, v145, v185
	v_fma_f32 v6, v7, v188, -v138
	v_add_f32_e32 v3, v3, v153
	v_fmac_f32_e32 v158, v8, v188
	v_add_f32_e32 v1, v1, v4
	v_mul_f32_e32 v4, v147, v203
	v_fma_f32 v5, v144, v176, -v5
	v_add_f32_e32 v3, v3, v164
	v_mul_f32_e32 v165, v146, v203
	v_add_f32_e32 v1, v1, v6
	v_fmac_f32_e32 v154, v145, v176
	ds_read2_b64 v[9:12], v9 offset0:117 offset1:118
	v_add_f32_e32 v3, v3, v158
	s_waitcnt lgkmcnt(2)
	v_mul_f32_e32 v6, v133, v204
	s_waitcnt vmcnt(4)
	v_fma_f32 v4, v146, v211, -v4
	v_add_f32_e32 v1, v1, v5
	v_mul_f32_e32 v163, v132, v204
	v_fmac_f32_e32 v165, v147, v211
	v_add_f32_e32 v3, v3, v154
	v_mul_f32_e32 v5, v135, v186
	v_fma_f32 v6, v132, v210, -v6
	v_add_f32_e32 v1, v1, v4
	v_mul_f32_e32 v159, v134, v186
	v_fmac_f32_e32 v163, v133, v210
	v_add_f32_e32 v3, v3, v165
	s_waitcnt lgkmcnt(1)
	v_mul_f32_e32 v4, v149, v205
	v_fma_f32 v5, v134, v178, -v5
	v_add_f32_e32 v1, v1, v6
	v_mul_f32_e32 v166, v148, v205
	v_fmac_f32_e32 v159, v135, v178
	v_add_f32_e32 v3, v3, v163
	v_mul_f32_e32 v6, v151, v206
	v_fma_f32 v4, v148, v177, -v4
	v_add_f32_e32 v1, v1, v5
	v_mul_f32_e32 v137, v150, v206
	v_fmac_f32_e32 v166, v149, v177
	v_add_f32_e32 v3, v3, v159
	s_waitcnt lgkmcnt(0)
	v_mul_f32_e32 v5, v10, v187
	s_waitcnt vmcnt(1)
	v_fma_f32 v6, v150, v214, -v6
	v_add_f32_e32 v1, v1, v4
	v_mul_f32_e32 v160, v9, v187
	v_fmac_f32_e32 v137, v151, v214
	v_add_f32_e32 v3, v3, v166
	v_mul_f32_e32 v4, v12, v207
	v_fma_f32 v5, v9, v213, -v5
	v_add_f32_e32 v1, v1, v6
	v_mul_f32_e32 v2, v11, v207
	v_fmac_f32_e32 v160, v10, v213
	v_add_f32_e32 v3, v3, v137
	v_fma_f32 v4, v11, v212, -v4
	v_add_f32_e32 v1, v1, v5
	v_fmac_f32_e32 v2, v12, v212
	v_add_f32_e32 v3, v3, v160
	v_add_f32_e32 v1, v1, v4
	;; [unrolled: 1-line block ×3, first 2 shown]
	s_waitcnt vmcnt(0)
	v_sub_f32_e32 v1, v215, v1
	v_sub_f32_e32 v2, v170, v2
	buffer_store_dword v1, off, s[0:3], 0 offset:64
	buffer_store_dword v2, off, s[0:3], 0 offset:68
	v_cmpx_lt_u32_e32 7, v0
	s_cbranch_execz .LBB58_353
; %bb.352:
	s_clause 0x1
	buffer_load_dword v1, off, s[0:3], 0 offset:56
	buffer_load_dword v2, off, s[0:3], 0 offset:60
	v_mov_b32_e32 v3, 0
	buffer_store_dword v3, off, s[0:3], 0 offset:56
	buffer_store_dword v3, off, s[0:3], 0 offset:60
	s_waitcnt vmcnt(0)
	ds_write_b64 v131, v[1:2]
.LBB58_353:
	s_or_b32 exec_lo, exec_lo, s4
	s_waitcnt lgkmcnt(0)
	s_waitcnt_vscnt null, 0x0
	s_barrier
	buffer_gl0_inv
	s_clause 0x35
	buffer_load_dword v2, off, s[0:3], 0 offset:68
	buffer_load_dword v4, off, s[0:3], 0 offset:76
	buffer_load_dword v6, off, s[0:3], 0 offset:84
	buffer_load_dword v3, off, s[0:3], 0 offset:80
	buffer_load_dword v5, off, s[0:3], 0 offset:72
	buffer_load_dword v8, off, s[0:3], 0 offset:64
	buffer_load_dword v7, off, s[0:3], 0 offset:92
	buffer_load_dword v9, off, s[0:3], 0 offset:112
	buffer_load_dword v10, off, s[0:3], 0 offset:104
	buffer_load_dword v11, off, s[0:3], 0 offset:96
	buffer_load_dword v135, off, s[0:3], 0 offset:88
	buffer_load_dword v133, off, s[0:3], 0 offset:100
	buffer_load_dword v134, off, s[0:3], 0 offset:108
	buffer_load_dword v132, off, s[0:3], 0 offset:116
	buffer_load_dword v12, off, s[0:3], 0 offset:124
	buffer_load_dword v136, off, s[0:3], 0 offset:144
	buffer_load_dword v137, off, s[0:3], 0 offset:136
	buffer_load_dword v138, off, s[0:3], 0 offset:128
	buffer_load_dword v143, off, s[0:3], 0 offset:120
	buffer_load_dword v142, off, s[0:3], 0 offset:132
	buffer_load_dword v141, off, s[0:3], 0 offset:140
	buffer_load_dword v139, off, s[0:3], 0 offset:148
	buffer_load_dword v140, off, s[0:3], 0 offset:156
	buffer_load_dword v144, off, s[0:3], 0 offset:176
	buffer_load_dword v145, off, s[0:3], 0 offset:168
	buffer_load_dword v146, off, s[0:3], 0 offset:160
	buffer_load_dword v151, off, s[0:3], 0 offset:152
	buffer_load_dword v150, off, s[0:3], 0 offset:164
	buffer_load_dword v149, off, s[0:3], 0 offset:172
	buffer_load_dword v148, off, s[0:3], 0 offset:180
	buffer_load_dword v147, off, s[0:3], 0 offset:188
	buffer_load_dword v152, off, s[0:3], 0 offset:196
	buffer_load_dword v153, off, s[0:3], 0 offset:208
	buffer_load_dword v154, off, s[0:3], 0 offset:200
	buffer_load_dword v156, off, s[0:3], 0 offset:192
	buffer_load_dword v160, off, s[0:3], 0 offset:184
	buffer_load_dword v158, off, s[0:3], 0 offset:204
	buffer_load_dword v155, off, s[0:3], 0 offset:212
	buffer_load_dword v159, off, s[0:3], 0 offset:220
	buffer_load_dword v157, off, s[0:3], 0 offset:240
	buffer_load_dword v163, off, s[0:3], 0 offset:232
	buffer_load_dword v164, off, s[0:3], 0 offset:224
	buffer_load_dword v167, off, s[0:3], 0 offset:216
	buffer_load_dword v166, off, s[0:3], 0 offset:228
	buffer_load_dword v165, off, s[0:3], 0 offset:236
	buffer_load_dword v161, off, s[0:3], 0 offset:244
	buffer_load_dword v162, off, s[0:3], 0 offset:252
	buffer_load_dword v168, off, s[0:3], 0 offset:272
	buffer_load_dword v169, off, s[0:3], 0 offset:276
	buffer_load_dword v170, off, s[0:3], 0 offset:264
	buffer_load_dword v172, off, s[0:3], 0 offset:256
	buffer_load_dword v175, off, s[0:3], 0 offset:248
	buffer_load_dword v174, off, s[0:3], 0 offset:260
	buffer_load_dword v171, off, s[0:3], 0 offset:268
	v_mov_b32_e32 v1, 0
	ds_read_b128 v[176:179], v1 offset:544
	ds_read_b128 v[180:183], v1 offset:560
	buffer_load_dword v173, off, s[0:3], 0 offset:60
	ds_read_b128 v[184:187], v1 offset:576
	ds_read_b128 v[188:191], v1 offset:592
	s_mov_b32 s4, exec_lo
	s_waitcnt vmcnt(54) lgkmcnt(3)
	v_mul_f32_e32 v192, v176, v2
	v_mul_f32_e32 v2, v177, v2
	s_waitcnt vmcnt(53)
	v_mul_f32_e32 v193, v178, v4
	v_mul_f32_e32 v4, v179, v4
	s_waitcnt vmcnt(52) lgkmcnt(2)
	v_mul_f32_e32 v194, v180, v6
	v_mul_f32_e32 v6, v181, v6
	s_waitcnt vmcnt(49)
	v_fma_f32 v195, v176, v8, -v2
	s_waitcnt vmcnt(48)
	v_mul_f32_e32 v2, v183, v7
	v_fmac_f32_e32 v192, v177, v8
	v_fmac_f32_e32 v193, v179, v5
	v_fma_f32 v197, v178, v5, -v4
	v_fmac_f32_e32 v194, v181, v3
	v_fma_f32 v180, v180, v3, -v6
	s_waitcnt vmcnt(44)
	v_fma_f32 v181, v182, v135, -v2
	ds_read_b128 v[2:5], v1 offset:608
	ds_read_b128 v[176:179], v1 offset:624
	v_mul_f32_e32 v196, v182, v7
	s_waitcnt vmcnt(43) lgkmcnt(3)
	v_mul_f32_e32 v182, v184, v133
	v_mul_f32_e32 v6, v185, v133
	s_waitcnt vmcnt(42)
	v_mul_f32_e32 v7, v187, v134
	s_waitcnt vmcnt(41) lgkmcnt(2)
	v_mul_f32_e32 v198, v188, v132
	v_fmac_f32_e32 v196, v183, v135
	v_mul_f32_e32 v183, v186, v134
	v_mul_f32_e32 v8, v189, v132
	v_fmac_f32_e32 v182, v185, v11
	v_fma_f32 v11, v184, v11, -v6
	s_waitcnt vmcnt(40)
	v_mul_f32_e32 v184, v190, v12
	v_mul_f32_e32 v6, v191, v12
	v_fmac_f32_e32 v183, v187, v10
	v_fma_f32 v10, v186, v10, -v7
	v_fmac_f32_e32 v198, v189, v9
	v_fma_f32 v12, v188, v9, -v8
	s_waitcnt vmcnt(36)
	v_fmac_f32_e32 v184, v191, v143
	v_fma_f32 v143, v190, v143, -v6
	ds_read_b128 v[6:9], v1 offset:640
	ds_read_b128 v[132:135], v1 offset:656
	s_waitcnt vmcnt(35) lgkmcnt(3)
	v_mul_f32_e32 v185, v2, v142
	v_mul_f32_e32 v142, v3, v142
	s_waitcnt vmcnt(34)
	v_mul_f32_e32 v186, v4, v141
	v_mul_f32_e32 v141, v5, v141
	s_waitcnt vmcnt(33) lgkmcnt(2)
	v_mul_f32_e32 v187, v176, v139
	v_fmac_f32_e32 v185, v3, v138
	v_fma_f32 v142, v2, v138, -v142
	s_waitcnt vmcnt(32)
	v_mul_f32_e32 v188, v178, v140
	v_mul_f32_e32 v2, v177, v139
	;; [unrolled: 1-line block ×3, first 2 shown]
	v_fmac_f32_e32 v186, v5, v137
	v_fma_f32 v140, v4, v137, -v141
	v_fmac_f32_e32 v187, v177, v136
	s_waitcnt vmcnt(28)
	v_fmac_f32_e32 v188, v179, v151
	v_fma_f32 v141, v176, v136, -v2
	v_fma_f32 v151, v178, v151, -v3
	ds_read_b128 v[2:5], v1 offset:672
	ds_read_b128 v[136:139], v1 offset:688
	s_waitcnt vmcnt(27) lgkmcnt(3)
	v_mul_f32_e32 v176, v6, v150
	v_mul_f32_e32 v150, v7, v150
	s_waitcnt vmcnt(26)
	v_mul_f32_e32 v177, v8, v149
	v_mul_f32_e32 v149, v9, v149
	s_waitcnt vmcnt(25) lgkmcnt(2)
	v_mul_f32_e32 v178, v132, v148
	v_fmac_f32_e32 v176, v7, v146
	v_fma_f32 v146, v6, v146, -v150
	v_fmac_f32_e32 v177, v9, v145
	v_fma_f32 v145, v8, v145, -v149
	s_clause 0x4
	buffer_load_dword v149, off, s[0:3], 0 offset:284
	buffer_load_dword v150, off, s[0:3], 0 offset:304
	;; [unrolled: 1-line block ×5, first 2 shown]
	v_mul_f32_e32 v148, v133, v148
	s_waitcnt vmcnt(29)
	v_mul_f32_e32 v6, v135, v147
	v_mul_f32_e32 v191, v134, v147
	v_fmac_f32_e32 v178, v133, v144
	v_fma_f32 v132, v132, v144, -v148
	s_waitcnt vmcnt(24)
	v_fma_f32 v134, v134, v160, -v6
	ds_read_b128 v[6:9], v1 offset:704
	buffer_load_dword v148, off, s[0:3], 0 offset:292
	s_waitcnt lgkmcnt(2)
	v_mul_f32_e32 v133, v2, v152
	v_mul_f32_e32 v144, v3, v152
	v_fmac_f32_e32 v191, v135, v160
	s_waitcnt vmcnt(24)
	v_mul_f32_e32 v135, v4, v158
	v_mul_f32_e32 v147, v5, v158
	v_fmac_f32_e32 v133, v3, v156
	v_fma_f32 v144, v2, v156, -v144
	s_waitcnt vmcnt(23) lgkmcnt(1)
	v_mul_f32_e32 v152, v136, v155
	v_mul_f32_e32 v2, v137, v155
	s_waitcnt vmcnt(22)
	v_mul_f32_e32 v3, v139, v159
	v_fmac_f32_e32 v135, v5, v154
	v_fma_f32 v147, v4, v154, -v147
	s_clause 0x1
	buffer_load_dword v154, off, s[0:3], 0 offset:300
	buffer_load_dword v155, off, s[0:3], 0 offset:308
	v_mul_f32_e32 v156, v138, v159
	v_fmac_f32_e32 v152, v137, v153
	v_fma_f32 v136, v136, v153, -v2
	s_clause 0x1
	buffer_load_dword v153, off, s[0:3], 0 offset:316
	buffer_load_dword v158, off, s[0:3], 0 offset:324
	v_add_f32_e32 v137, 0, v192
	s_waitcnt vmcnt(22)
	v_fma_f32 v138, v138, v167, -v3
	ds_read_b128 v[2:5], v1 offset:720
	v_fmac_f32_e32 v156, v139, v167
	s_waitcnt vmcnt(21) lgkmcnt(1)
	v_mul_f32_e32 v139, v6, v166
	v_mul_f32_e32 v159, v7, v166
	v_add_f32_e32 v137, v137, v193
	v_add_f32_e32 v166, 0, v195
	s_waitcnt vmcnt(20)
	v_mul_f32_e32 v160, v8, v165
	v_mul_f32_e32 v165, v9, v165
	v_fmac_f32_e32 v139, v7, v164
	v_fma_f32 v159, v6, v164, -v159
	v_add_f32_e32 v6, v166, v197
	v_add_f32_e32 v7, v137, v194
	v_fmac_f32_e32 v160, v9, v163
	v_fma_f32 v163, v8, v163, -v165
	s_clause 0x3
	buffer_load_dword v164, off, s[0:3], 0 offset:336
	buffer_load_dword v165, off, s[0:3], 0 offset:328
	buffer_load_dword v166, off, s[0:3], 0 offset:320
	buffer_load_dword v167, off, s[0:3], 0 offset:312
	v_add_f32_e32 v6, v6, v180
	v_add_f32_e32 v137, v7, v196
	s_clause 0x2
	buffer_load_dword v180, off, s[0:3], 0 offset:332
	buffer_load_dword v192, off, s[0:3], 0 offset:340
	;; [unrolled: 1-line block ×3, first 2 shown]
	v_add_f32_e32 v181, v6, v181
	ds_read_b128 v[6:9], v1 offset:736
	v_add_f32_e32 v137, v137, v182
	s_waitcnt vmcnt(26) lgkmcnt(1)
	v_mul_f32_e32 v182, v2, v161
	v_mul_f32_e32 v161, v3, v161
	v_add_f32_e32 v11, v181, v11
	s_waitcnt vmcnt(25)
	v_mul_f32_e32 v181, v4, v162
	v_mul_f32_e32 v162, v5, v162
	v_fmac_f32_e32 v182, v3, v157
	v_add_f32_e32 v3, v137, v183
	v_fma_f32 v137, v2, v157, -v161
	v_add_f32_e32 v2, v11, v10
	s_waitcnt vmcnt(20)
	v_fmac_f32_e32 v181, v5, v175
	v_fma_f32 v157, v4, v175, -v162
	v_add_f32_e32 v10, v3, v198
	s_clause 0x4
	buffer_load_dword v161, off, s[0:3], 0 offset:368
	buffer_load_dword v162, off, s[0:3], 0 offset:360
	;; [unrolled: 1-line block ×5, first 2 shown]
	v_add_f32_e32 v12, v2, v12
	ds_read_b128 v[2:5], v1 offset:752
	v_add_f32_e32 v10, v10, v184
	s_clause 0x1
	buffer_load_dword v184, off, s[0:3], 0 offset:364
	buffer_load_dword v195, off, s[0:3], 0 offset:372
	s_waitcnt vmcnt(26) lgkmcnt(1)
	v_mul_f32_e32 v194, v6, v174
	v_mul_f32_e32 v174, v7, v174
	v_add_f32_e32 v12, v12, v143
	v_add_f32_e32 v10, v10, v185
	buffer_load_dword v185, off, s[0:3], 0 offset:380
	v_fmac_f32_e32 v194, v7, v172
	v_fma_f32 v143, v6, v172, -v174
	s_waitcnt vmcnt(26)
	v_mul_f32_e32 v172, v8, v171
	v_add_f32_e32 v7, v10, v186
	v_mul_f32_e32 v10, v9, v171
	v_add_f32_e32 v6, v12, v142
	s_clause 0x2
	buffer_load_dword v12, off, s[0:3], 0 offset:388
	buffer_load_dword v174, off, s[0:3], 0 offset:396
	;; [unrolled: 1-line block ×3, first 2 shown]
	v_add_f32_e32 v7, v7, v187
	v_fmac_f32_e32 v172, v9, v170
	v_fma_f32 v10, v8, v170, -v10
	s_clause 0x1
	buffer_load_dword v170, off, s[0:3], 0 offset:412
	buffer_load_dword v186, off, s[0:3], 0 offset:420
	v_add_f32_e32 v6, v6, v140
	v_add_f32_e32 v7, v7, v188
	s_clause 0x2
	buffer_load_dword v187, off, s[0:3], 0 offset:428
	buffer_load_dword v188, off, s[0:3], 0 offset:436
	buffer_load_dword v196, off, s[0:3], 0 offset:444
	s_waitcnt lgkmcnt(0)
	v_mul_f32_e32 v140, v2, v169
	v_mul_f32_e32 v8, v3, v169
	v_add_f32_e32 v6, v6, v141
	v_add_f32_e32 v7, v7, v176
	s_clause 0x2
	buffer_load_dword v176, off, s[0:3], 0 offset:452
	buffer_load_dword v197, off, s[0:3], 0 offset:460
	;; [unrolled: 1-line block ×3, first 2 shown]
	v_fmac_f32_e32 v140, v3, v168
	v_fma_f32 v141, v2, v168, -v8
	v_add_f32_e32 v6, v6, v151
	v_add_f32_e32 v7, v7, v177
	s_clause 0x3
	buffer_load_dword v177, off, s[0:3], 0 offset:400
	buffer_load_dword v199, off, s[0:3], 0 offset:392
	;; [unrolled: 1-line block ×4, first 2 shown]
	v_add_f32_e32 v6, v6, v146
	v_add_f32_e32 v7, v7, v178
	;; [unrolled: 1-line block ×4, first 2 shown]
	s_clause 0x8
	buffer_load_dword v178, off, s[0:3], 0 offset:432
	buffer_load_dword v191, off, s[0:3], 0 offset:424
	buffer_load_dword v202, off, s[0:3], 0 offset:416
	buffer_load_dword v203, off, s[0:3], 0 offset:408
	buffer_load_dword v204, off, s[0:3], 0 offset:464
	buffer_load_dword v205, off, s[0:3], 0 offset:456
	buffer_load_dword v206, off, s[0:3], 0 offset:448
	buffer_load_dword v207, off, s[0:3], 0 offset:440
	buffer_load_dword v208, off, s[0:3], 0 offset:56
	v_add_f32_e32 v6, v6, v132
	v_add_f32_e32 v7, v7, v133
	;; [unrolled: 1-line block ×11, first 2 shown]
	ds_read_b128 v[6:9], v1 offset:768
	v_add_f32_e32 v136, v132, v160
	v_add_f32_e32 v133, v3, v159
	v_add_f32_e32 v136, v136, v182
	v_add_f32_e32 v138, v133, v163
	ds_read_b128 v[132:135], v1 offset:800
	v_add_f32_e32 v142, v136, v181
	v_add_f32_e32 v137, v138, v137
	s_waitcnt vmcnt(48)
	v_mul_f32_e32 v144, v4, v149
	v_mul_f32_e32 v2, v5, v149
	s_waitcnt vmcnt(44)
	v_fmac_f32_e32 v144, v5, v190
	v_fma_f32 v145, v4, v190, -v2
	ds_read_b128 v[2:5], v1 offset:784
	s_waitcnt vmcnt(43) lgkmcnt(2)
	v_mul_f32_e32 v139, v7, v148
	v_mul_f32_e32 v149, v6, v148
	v_fma_f32 v148, v6, v189, -v139
	v_add_f32_e32 v6, v137, v157
	v_fmac_f32_e32 v149, v7, v189
	v_add_f32_e32 v7, v142, v194
	ds_read_b128 v[136:139], v1 offset:816
	v_add_f32_e32 v6, v6, v143
	s_waitcnt vmcnt(42)
	v_mul_f32_e32 v151, v8, v154
	v_add_f32_e32 v7, v7, v172
	s_waitcnt vmcnt(41) lgkmcnt(1)
	v_mul_f32_e32 v152, v2, v155
	v_mul_f32_e32 v143, v3, v155
	v_add_f32_e32 v6, v6, v10
	s_waitcnt vmcnt(39)
	v_mul_f32_e32 v147, v133, v158
	v_mul_f32_e32 v142, v9, v154
	v_fmac_f32_e32 v152, v3, v150
	v_mul_f32_e32 v154, v4, v153
	v_add_f32_e32 v3, v6, v141
	v_mul_f32_e32 v146, v5, v153
	v_mul_f32_e32 v153, v132, v158
	v_fma_f32 v155, v2, v150, -v143
	v_add_f32_e32 v2, v7, v140
	v_fma_f32 v10, v8, v179, -v142
	v_fmac_f32_e32 v151, v9, v179
	ds_read_b128 v[6:9], v1 offset:832
	ds_read_b128 v[140:143], v1 offset:848
	s_waitcnt vmcnt(36)
	v_fma_f32 v157, v132, v166, -v147
	v_add_f32_e32 v132, v3, v145
	v_fmac_f32_e32 v153, v133, v166
	v_add_f32_e32 v133, v2, v144
	s_waitcnt vmcnt(35)
	v_fma_f32 v156, v4, v167, -v146
	v_fmac_f32_e32 v154, v5, v167
	v_add_f32_e32 v132, v132, v148
	s_waitcnt vmcnt(34)
	v_mul_f32_e32 v158, v134, v180
	v_add_f32_e32 v133, v133, v149
	v_mul_f32_e32 v149, v135, v180
	s_waitcnt vmcnt(33) lgkmcnt(2)
	v_mul_f32_e32 v159, v136, v192
	v_add_f32_e32 v10, v132, v10
	v_mul_f32_e32 v148, v137, v192
	v_add_f32_e32 v133, v133, v151
	v_fmac_f32_e32 v158, v135, v165
	v_fma_f32 v165, v134, v165, -v149
	v_add_f32_e32 v155, v10, v155
	s_waitcnt vmcnt(32)
	v_mul_f32_e32 v163, v139, v193
	v_add_f32_e32 v152, v133, v152
	v_fmac_f32_e32 v159, v137, v164
	v_fma_f32 v164, v136, v164, -v148
	v_add_f32_e32 v155, v155, v156
	v_mul_f32_e32 v160, v138, v193
	v_add_f32_e32 v152, v152, v154
	s_waitcnt vmcnt(28)
	v_fma_f32 v163, v138, v11, -v163
	s_waitcnt vmcnt(27) lgkmcnt(1)
	v_mul_f32_e32 v166, v7, v183
	v_add_f32_e32 v155, v155, v157
	ds_read_b128 v[2:5], v1 offset:864
	ds_read_b128 v[144:147], v1 offset:880
	v_add_f32_e32 v152, v152, v153
	v_fmac_f32_e32 v160, v139, v11
	v_mul_f32_e32 v154, v6, v183
	v_add_f32_e32 v155, v155, v165
	s_waitcnt vmcnt(26)
	v_mul_f32_e32 v167, v9, v184
	v_add_f32_e32 v152, v152, v158
	v_fma_f32 v6, v6, v175, -v166
	v_mul_f32_e32 v156, v8, v184
	v_add_f32_e32 v155, v155, v164
	v_fmac_f32_e32 v154, v7, v175
	v_add_f32_e32 v152, v152, v159
	s_waitcnt vmcnt(25) lgkmcnt(2)
	v_mul_f32_e32 v166, v141, v195
	v_fma_f32 v8, v8, v162, -v167
	v_add_f32_e32 v155, v155, v163
	v_mul_f32_e32 v153, v140, v195
	v_add_f32_e32 v152, v152, v160
	v_fmac_f32_e32 v156, v9, v162
	s_waitcnt vmcnt(24)
	v_mul_f32_e32 v160, v143, v185
	v_add_f32_e32 v6, v155, v6
	v_fma_f32 v140, v140, v161, -v166
	v_add_f32_e32 v152, v152, v154
	v_mul_f32_e32 v157, v142, v185
	v_fmac_f32_e32 v153, v141, v161
	v_add_f32_e32 v6, v6, v8
	s_waitcnt vmcnt(23) lgkmcnt(1)
	v_mul_f32_e32 v7, v2, v12
	v_add_f32_e32 v8, v152, v156
	v_mul_f32_e32 v12, v3, v12
	ds_read_b128 v[132:135], v1 offset:896
	ds_read_b128 v[148:151], v1 offset:912
	v_add_f32_e32 v6, v6, v140
	s_waitcnt vmcnt(9)
	v_fma_f32 v141, v142, v201, -v160
	v_fmac_f32_e32 v157, v143, v201
	v_add_f32_e32 v8, v8, v153
	v_mul_f32_e32 v140, v5, v174
	v_fmac_f32_e32 v7, v3, v200
	v_fma_f32 v2, v2, v200, -v12
	v_add_f32_e32 v3, v6, v141
	v_mul_f32_e32 v158, v4, v174
	v_add_f32_e32 v6, v8, v157
	s_waitcnt lgkmcnt(2)
	v_mul_f32_e32 v8, v145, v171
	v_fma_f32 v4, v4, v199, -v140
	v_add_f32_e32 v2, v3, v2
	v_mul_f32_e32 v165, v144, v171
	v_fmac_f32_e32 v158, v5, v199
	v_add_f32_e32 v3, v6, v7
	v_mul_f32_e32 v5, v147, v170
	v_fma_f32 v6, v144, v177, -v8
	v_add_f32_e32 v2, v2, v4
	v_mul_f32_e32 v9, v146, v170
	v_fmac_f32_e32 v165, v145, v177
	v_add_f32_e32 v3, v3, v158
	s_waitcnt lgkmcnt(1)
	v_mul_f32_e32 v4, v133, v186
	s_waitcnt vmcnt(5)
	v_fma_f32 v5, v146, v203, -v5
	v_add_f32_e32 v2, v2, v6
	ds_read_b128 v[136:139], v1 offset:928
	ds_read_b64 v[10:11], v1 offset:944
	v_mul_f32_e32 v162, v132, v186
	v_fmac_f32_e32 v9, v147, v203
	v_add_f32_e32 v3, v3, v165
	v_mul_f32_e32 v6, v135, v187
	v_fma_f32 v4, v132, v202, -v4
	v_add_f32_e32 v2, v2, v5
	v_mul_f32_e32 v159, v134, v187
	v_fmac_f32_e32 v162, v133, v202
	v_add_f32_e32 v3, v3, v9
	s_waitcnt lgkmcnt(2)
	v_mul_f32_e32 v5, v149, v188
	v_fma_f32 v6, v134, v191, -v6
	v_add_f32_e32 v2, v2, v4
	v_mul_f32_e32 v164, v148, v188
	v_fmac_f32_e32 v159, v135, v191
	v_add_f32_e32 v3, v3, v162
	v_mul_f32_e32 v4, v151, v196
	v_fma_f32 v5, v148, v178, -v5
	v_add_f32_e32 v2, v2, v6
	v_mul_f32_e32 v167, v150, v196
	v_fmac_f32_e32 v164, v149, v178
	v_add_f32_e32 v3, v3, v159
	s_waitcnt lgkmcnt(1)
	v_mul_f32_e32 v6, v137, v176
	s_waitcnt vmcnt(1)
	v_fma_f32 v4, v150, v207, -v4
	v_add_f32_e32 v2, v2, v5
	v_mul_f32_e32 v163, v136, v176
	v_fmac_f32_e32 v167, v151, v207
	v_add_f32_e32 v3, v3, v164
	v_mul_f32_e32 v5, v139, v197
	v_fma_f32 v6, v136, v206, -v6
	v_add_f32_e32 v2, v2, v4
	v_mul_f32_e32 v168, v138, v197
	v_fmac_f32_e32 v163, v137, v206
	v_add_f32_e32 v3, v3, v167
	s_waitcnt lgkmcnt(0)
	v_mul_f32_e32 v4, v11, v198
	v_fma_f32 v5, v138, v205, -v5
	v_add_f32_e32 v2, v2, v6
	v_mul_f32_e32 v154, v10, v198
	v_fmac_f32_e32 v168, v139, v205
	v_add_f32_e32 v3, v3, v163
	v_fma_f32 v4, v10, v204, -v4
	v_add_f32_e32 v2, v2, v5
	v_fmac_f32_e32 v154, v11, v204
	v_add_f32_e32 v3, v3, v168
	v_add_f32_e32 v2, v2, v4
	;; [unrolled: 1-line block ×3, first 2 shown]
	s_waitcnt vmcnt(0)
	v_sub_f32_e32 v2, v208, v2
	v_sub_f32_e32 v3, v173, v3
	buffer_store_dword v2, off, s[0:3], 0 offset:56
	buffer_store_dword v3, off, s[0:3], 0 offset:60
	v_cmpx_lt_u32_e32 6, v0
	s_cbranch_execz .LBB58_355
; %bb.354:
	s_clause 0x1
	buffer_load_dword v2, off, s[0:3], 0 offset:48
	buffer_load_dword v3, off, s[0:3], 0 offset:52
	buffer_store_dword v1, off, s[0:3], 0 offset:48
	buffer_store_dword v1, off, s[0:3], 0 offset:52
	s_waitcnt vmcnt(0)
	ds_write_b64 v131, v[2:3]
.LBB58_355:
	s_or_b32 exec_lo, exec_lo, s4
	s_waitcnt lgkmcnt(0)
	s_waitcnt_vscnt null, 0x0
	s_barrier
	buffer_gl0_inv
	s_clause 0x3b
	buffer_load_dword v167, off, s[0:3], 0 offset:60
	buffer_load_dword v2, off, s[0:3], 0 offset:72
	;; [unrolled: 1-line block ×60, first 2 shown]
	ds_read2_b64 v[181:184], v1 offset0:67 offset1:68
	ds_read2_b64 v[185:188], v1 offset0:69 offset1:70
	;; [unrolled: 1-line block ×3, first 2 shown]
	s_mov_b32 s4, exec_lo
	s_waitcnt vmcnt(59) lgkmcnt(2)
	v_mul_f32_e32 v193, v181, v167
	v_mul_f32_e32 v194, v182, v167
	buffer_load_dword v167, off, s[0:3], 0 offset:52
	s_waitcnt vmcnt(56)
	v_mul_f32_e32 v195, v183, v6
	v_mul_f32_e32 v6, v184, v6
	v_fmac_f32_e32 v193, v182, v7
	v_fma_f32 v194, v181, v7, -v194
	s_waitcnt vmcnt(55) lgkmcnt(1)
	v_mul_f32_e32 v197, v185, v5
	v_fmac_f32_e32 v195, v184, v4
	v_fma_f32 v196, v183, v4, -v6
	v_mul_f32_e32 v181, v186, v5
	ds_read2_b64 v[4:7], v1 offset0:73 offset1:74
	v_fmac_f32_e32 v197, v186, v2
	s_waitcnt vmcnt(49) lgkmcnt(1)
	v_mul_f32_e32 v201, v189, v133
	v_mul_f32_e32 v199, v187, v3
	v_fma_f32 v198, v185, v2, -v181
	v_mul_f32_e32 v2, v188, v3
	ds_read2_b64 v[181:184], v1 offset0:75 offset1:76
	v_fmac_f32_e32 v201, v190, v12
	v_fmac_f32_e32 v199, v188, v134
	v_fma_f32 v200, v187, v134, -v2
	v_mul_f32_e32 v2, v190, v133
	ds_read2_b64 v[185:188], v1 offset0:77 offset1:78
	v_fma_f32 v12, v189, v12, -v2
	s_waitcnt vmcnt(48)
	v_mul_f32_e32 v189, v191, v132
	v_mul_f32_e32 v2, v192, v132
	s_waitcnt vmcnt(47) lgkmcnt(2)
	v_mul_f32_e32 v190, v4, v11
	v_fmac_f32_e32 v189, v192, v10
	v_fma_f32 v10, v191, v10, -v2
	v_mul_f32_e32 v2, v5, v11
	s_waitcnt vmcnt(46)
	v_mul_f32_e32 v191, v6, v9
	v_fmac_f32_e32 v190, v5, v8
	s_waitcnt vmcnt(41) lgkmcnt(1)
	v_mul_f32_e32 v192, v181, v141
	v_fma_f32 v11, v4, v8, -v2
	v_mul_f32_e32 v2, v7, v9
	v_fmac_f32_e32 v191, v7, v142
	v_fmac_f32_e32 v192, v182, v139
	s_waitcnt vmcnt(39) lgkmcnt(0)
	v_mul_f32_e32 v132, v186, v138
	v_fma_f32 v142, v6, v142, -v2
	v_mul_f32_e32 v6, v182, v141
	ds_read2_b64 v[2:5], v1 offset0:79 offset1:80
	v_mul_f32_e32 v141, v183, v140
	v_fma_f32 v139, v181, v139, -v6
	v_mul_f32_e32 v6, v184, v140
	v_fmac_f32_e32 v141, v184, v137
	v_mul_f32_e32 v140, v185, v138
	v_fma_f32 v138, v185, v135, -v132
	s_waitcnt vmcnt(38)
	v_mul_f32_e32 v181, v187, v136
	v_fma_f32 v137, v183, v137, -v6
	ds_read2_b64 v[6:9], v1 offset0:81 offset1:82
	v_mul_f32_e32 v132, v188, v136
	v_fmac_f32_e32 v140, v186, v135
	s_waitcnt vmcnt(34)
	v_fmac_f32_e32 v181, v188, v149
	v_fma_f32 v136, v187, v149, -v132
	ds_read2_b64 v[132:135], v1 offset0:83 offset1:84
	s_waitcnt vmcnt(33) lgkmcnt(2)
	v_mul_f32_e32 v149, v2, v148
	v_mul_f32_e32 v148, v3, v148
	v_fmac_f32_e32 v149, v3, v146
	v_fma_f32 v146, v2, v146, -v148
	s_waitcnt vmcnt(32)
	v_mul_f32_e32 v148, v4, v147
	v_mul_f32_e32 v2, v5, v147
	s_waitcnt vmcnt(31) lgkmcnt(1)
	v_mul_f32_e32 v147, v6, v145
	v_fmac_f32_e32 v148, v5, v144
	v_fma_f32 v144, v4, v144, -v2
	v_mul_f32_e32 v2, v7, v145
	s_waitcnt vmcnt(30)
	v_mul_f32_e32 v145, v8, v150
	v_mul_f32_e32 v150, v9, v150
	v_fmac_f32_e32 v147, v7, v143
	v_fma_f32 v143, v6, v143, -v2
	ds_read2_b64 v[2:5], v1 offset0:85 offset1:86
	s_waitcnt vmcnt(26)
	v_fmac_f32_e32 v145, v9, v158
	v_fma_f32 v150, v8, v158, -v150
	ds_read2_b64 v[6:9], v1 offset0:87 offset1:88
	s_waitcnt vmcnt(25) lgkmcnt(2)
	v_mul_f32_e32 v158, v132, v156
	v_mul_f32_e32 v156, v133, v156
	v_fmac_f32_e32 v158, v133, v154
	s_waitcnt vmcnt(24)
	v_mul_f32_e32 v133, v134, v155
	v_fma_f32 v132, v132, v154, -v156
	v_mul_f32_e32 v154, v135, v155
	buffer_load_dword v156, off, s[0:3], 0 offset:300
	v_fmac_f32_e32 v133, v135, v152
	buffer_load_dword v135, off, s[0:3], 0 offset:292
	v_fma_f32 v134, v134, v152, -v154
	s_waitcnt vmcnt(25) lgkmcnt(1)
	v_mul_f32_e32 v152, v2, v153
	v_mul_f32_e32 v153, v3, v153
	s_waitcnt vmcnt(24)
	v_mul_f32_e32 v154, v4, v157
	v_mul_f32_e32 v155, v5, v157
	v_fmac_f32_e32 v152, v3, v151
	v_fma_f32 v151, v2, v151, -v153
	s_waitcnt vmcnt(20)
	v_fmac_f32_e32 v154, v5, v166
	v_fma_f32 v153, v4, v166, -v155
	ds_read2_b64 v[2:5], v1 offset0:89 offset1:90
	s_waitcnt vmcnt(19) lgkmcnt(1)
	v_mul_f32_e32 v155, v6, v165
	v_mul_f32_e32 v157, v7, v165
	s_waitcnt vmcnt(18)
	v_mul_f32_e32 v165, v8, v164
	v_mul_f32_e32 v164, v9, v164
	buffer_load_dword v166, off, s[0:3], 0 offset:308
	v_fmac_f32_e32 v155, v7, v163
	v_fma_f32 v157, v6, v163, -v157
	v_add_f32_e32 v6, 0, v193
	v_add_f32_e32 v7, 0, v194
	v_fmac_f32_e32 v165, v9, v162
	v_fma_f32 v162, v8, v162, -v164
	s_clause 0x3
	buffer_load_dword v163, off, s[0:3], 0 offset:328
	buffer_load_dword v164, off, s[0:3], 0 offset:320
	;; [unrolled: 1-line block ×4, first 2 shown]
	v_add_f32_e32 v6, v6, v195
	v_add_f32_e32 v7, v7, v196
	s_clause 0x3
	buffer_load_dword v184, off, s[0:3], 0 offset:316
	buffer_load_dword v185, off, s[0:3], 0 offset:324
	;; [unrolled: 1-line block ×4, first 2 shown]
	v_add_f32_e32 v6, v6, v197
	v_add_f32_e32 v7, v7, v198
	s_waitcnt vmcnt(26) lgkmcnt(0)
	v_mul_f32_e32 v188, v2, v160
	v_mul_f32_e32 v8, v3, v160
	s_waitcnt vmcnt(25)
	v_mul_f32_e32 v160, v4, v161
	v_add_f32_e32 v6, v6, v199
	v_add_f32_e32 v7, v7, v200
	v_mul_f32_e32 v9, v5, v161
	v_fmac_f32_e32 v188, v3, v159
	v_fma_f32 v159, v2, v159, -v8
	v_add_f32_e32 v6, v6, v201
	v_add_f32_e32 v7, v7, v12
	s_waitcnt vmcnt(20)
	v_fmac_f32_e32 v160, v5, v175
	v_fma_f32 v161, v4, v175, -v9
	ds_read2_b64 v[2:5], v1 offset0:91 offset1:92
	v_add_f32_e32 v6, v6, v189
	v_add_f32_e32 v7, v7, v10
	s_clause 0x3
	buffer_load_dword v12, off, s[0:3], 0 offset:360
	buffer_load_dword v175, off, s[0:3], 0 offset:352
	;; [unrolled: 1-line block ×4, first 2 shown]
	v_add_f32_e32 v6, v6, v190
	v_add_f32_e32 v10, v7, v11
	s_clause 0x2
	buffer_load_dword v11, off, s[0:3], 0 offset:348
	buffer_load_dword v189, off, s[0:3], 0 offset:356
	;; [unrolled: 1-line block ×3, first 2 shown]
	v_add_f32_e32 v191, v6, v191
	ds_read2_b64 v[6:9], v1 offset0:93 offset1:94
	v_add_f32_e32 v10, v10, v142
	v_add_f32_e32 v191, v191, v192
	;; [unrolled: 1-line block ×3, first 2 shown]
	s_waitcnt vmcnt(26) lgkmcnt(1)
	v_mul_f32_e32 v142, v2, v174
	v_mul_f32_e32 v174, v3, v174
	s_waitcnt vmcnt(25)
	v_mul_f32_e32 v139, v5, v173
	v_mul_f32_e32 v192, v4, v173
	v_fmac_f32_e32 v142, v3, v172
	v_fma_f32 v172, v2, v172, -v174
	v_add_f32_e32 v2, v191, v141
	v_add_f32_e32 v3, v10, v137
	v_fma_f32 v141, v4, v170, -v139
	s_clause 0x3
	buffer_load_dword v10, off, s[0:3], 0 offset:372
	buffer_load_dword v173, off, s[0:3], 0 offset:380
	;; [unrolled: 1-line block ×4, first 2 shown]
	v_fmac_f32_e32 v192, v5, v170
	v_add_f32_e32 v2, v2, v140
	v_add_f32_e32 v3, v3, v138
	s_waitcnt lgkmcnt(0)
	v_mul_f32_e32 v140, v6, v169
	v_mul_f32_e32 v4, v7, v169
	s_clause 0x3
	buffer_load_dword v170, off, s[0:3], 0 offset:404
	buffer_load_dword v195, off, s[0:3], 0 offset:412
	;; [unrolled: 1-line block ×4, first 2 shown]
	v_add_f32_e32 v2, v2, v181
	v_add_f32_e32 v3, v3, v136
	s_clause 0x4
	buffer_load_dword v181, off, s[0:3], 0 offset:436
	buffer_load_dword v198, off, s[0:3], 0 offset:444
	;; [unrolled: 1-line block ×5, first 2 shown]
	v_fmac_f32_e32 v140, v7, v168
	v_add_f32_e32 v2, v2, v149
	v_add_f32_e32 v3, v3, v146
	v_fma_f32 v146, v6, v168, -v4
	s_clause 0x3
	buffer_load_dword v168, off, s[0:3], 0 offset:392
	buffer_load_dword v201, off, s[0:3], 0 offset:384
	;; [unrolled: 1-line block ×4, first 2 shown]
	v_add_f32_e32 v6, v2, v148
	v_add_f32_e32 v2, v3, v144
	;; [unrolled: 1-line block ×4, first 2 shown]
	s_waitcnt vmcnt(41)
	v_mul_f32_e32 v2, v9, v171
	v_mul_f32_e32 v143, v8, v171
	v_add_f32_e32 v6, v6, v145
	v_add_f32_e32 v7, v7, v150
	s_waitcnt vmcnt(37)
	v_fma_f32 v144, v8, v180, -v2
	ds_read2_b64 v[2:5], v1 offset0:95 offset1:96
	v_fmac_f32_e32 v143, v9, v180
	s_clause 0x3
	buffer_load_dword v171, off, s[0:3], 0 offset:424
	buffer_load_dword v180, off, s[0:3], 0 offset:416
	;; [unrolled: 1-line block ×4, first 2 shown]
	v_add_f32_e32 v7, v7, v132
	v_add_f32_e32 v6, v6, v158
	;; [unrolled: 1-line block ×4, first 2 shown]
	ds_read2_b64 v[6:9], v1 offset0:97 offset1:98
	v_add_f32_e32 v132, v132, v151
	v_add_f32_e32 v133, v133, v152
	s_waitcnt vmcnt(40) lgkmcnt(1)
	v_mul_f32_e32 v145, v2, v179
	v_mul_f32_e32 v134, v3, v179
	v_fmac_f32_e32 v145, v3, v178
	v_fma_f32 v147, v2, v178, -v134
	v_add_f32_e32 v2, v132, v153
	v_add_f32_e32 v3, v133, v154
	s_clause 0x3
	buffer_load_dword v152, off, s[0:3], 0 offset:456
	buffer_load_dword v153, off, s[0:3], 0 offset:448
	;; [unrolled: 1-line block ×4, first 2 shown]
	v_add_f32_e32 v2, v2, v157
	buffer_load_dword v157, off, s[0:3], 0 offset:464
	v_add_f32_e32 v3, v3, v155
	buffer_load_dword v155, off, s[0:3], 0 offset:48
	v_add_f32_e32 v2, v2, v162
	v_add_f32_e32 v133, v3, v165
	;; [unrolled: 1-line block ×13, first 2 shown]
	s_waitcnt vmcnt(44) lgkmcnt(0)
	v_mul_f32_e32 v150, v6, v156
	v_mul_f32_e32 v138, v7, v156
	s_waitcnt vmcnt(43)
	v_mul_f32_e32 v148, v4, v135
	v_mul_f32_e32 v132, v5, v135
	v_fmac_f32_e32 v150, v7, v176
	v_fma_f32 v156, v6, v176, -v138
	v_fmac_f32_e32 v148, v5, v177
	v_fma_f32 v149, v4, v177, -v132
	ds_read2_b64 v[2:5], v1 offset0:99 offset1:100
	ds_read2_b64 v[132:135], v1 offset0:101 offset1:102
	v_add_f32_e32 v177, v144, v147
	v_add_f32_e32 v149, v177, v149
	s_waitcnt vmcnt(42)
	v_mul_f32_e32 v151, v8, v166
	v_mul_f32_e32 v139, v9, v166
	s_waitcnt vmcnt(38)
	v_fmac_f32_e32 v151, v9, v183
	v_fma_f32 v160, v8, v183, -v139
	ds_read2_b64 v[6:9], v1 offset0:103 offset1:104
	ds_read2_b64 v[136:139], v1 offset0:105 offset1:106
	s_waitcnt vmcnt(36) lgkmcnt(3)
	v_mul_f32_e32 v162, v4, v185
	v_mul_f32_e32 v165, v5, v185
	;; [unrolled: 1-line block ×4, first 2 shown]
	s_waitcnt vmcnt(35) lgkmcnt(2)
	v_mul_f32_e32 v166, v132, v186
	v_fmac_f32_e32 v162, v5, v164
	v_fma_f32 v164, v4, v164, -v165
	v_add_f32_e32 v165, v140, v143
	v_fma_f32 v161, v2, v182, -v161
	v_fmac_f32_e32 v159, v3, v182
	v_mul_f32_e32 v146, v133, v186
	s_waitcnt vmcnt(34)
	v_mul_f32_e32 v176, v135, v187
	v_add_f32_e32 v165, v165, v145
	v_fmac_f32_e32 v166, v133, v163
	v_mul_f32_e32 v172, v134, v187
	v_fma_f32 v163, v132, v163, -v146
	ds_read2_b64 v[2:5], v1 offset0:107 offset1:108
	ds_read2_b64 v[140:143], v1 offset0:109 offset1:110
	v_add_f32_e32 v148, v165, v148
	s_waitcnt vmcnt(30)
	v_fma_f32 v176, v134, v194, -v176
	v_fmac_f32_e32 v172, v135, v194
	v_add_f32_e32 v148, v148, v150
	s_waitcnt vmcnt(29) lgkmcnt(3)
	v_mul_f32_e32 v177, v6, v11
	v_mul_f32_e32 v11, v7, v11
	s_waitcnt vmcnt(28)
	v_mul_f32_e32 v165, v8, v189
	v_mul_f32_e32 v178, v9, v189
	ds_read2_b64 v[132:135], v1 offset0:111 offset1:112
	ds_read2_b64 v[144:147], v1 offset0:113 offset1:114
	v_fmac_f32_e32 v177, v7, v193
	v_add_f32_e32 v7, v149, v156
	v_fmac_f32_e32 v165, v9, v175
	v_fma_f32 v156, v8, v175, -v178
	v_add_f32_e32 v175, v148, v151
	v_fma_f32 v11, v6, v193, -v11
	v_add_f32_e32 v160, v7, v160
	ds_read2_b64 v[6:9], v1 offset0:115 offset1:116
	ds_read2_b64 v[148:151], v1 offset0:117 offset1:118
	s_waitcnt vmcnt(27) lgkmcnt(6)
	v_mul_f32_e32 v1, v136, v190
	v_add_f32_e32 v159, v175, v159
	v_add_f32_e32 v160, v160, v161
	v_mul_f32_e32 v161, v137, v190
	v_fmac_f32_e32 v1, v137, v12
	v_add_f32_e32 v159, v159, v162
	v_add_f32_e32 v160, v160, v164
	s_waitcnt vmcnt(26)
	v_mul_f32_e32 v175, v138, v10
	v_mul_f32_e32 v10, v139, v10
	v_add_f32_e32 v159, v159, v166
	v_fma_f32 v12, v136, v12, -v161
	v_add_f32_e32 v160, v160, v163
	s_waitcnt vmcnt(25) lgkmcnt(5)
	v_mul_f32_e32 v164, v2, v173
	s_waitcnt vmcnt(24)
	v_mul_f32_e32 v162, v4, v174
	v_add_f32_e32 v159, v159, v172
	s_waitcnt vmcnt(23) lgkmcnt(4)
	v_mul_f32_e32 v178, v140, v191
	v_add_f32_e32 v160, v160, v176
	s_waitcnt vmcnt(22)
	v_mul_f32_e32 v163, v142, v170
	s_waitcnt vmcnt(21) lgkmcnt(3)
	v_mul_f32_e32 v166, v132, v195
	v_add_f32_e32 v159, v159, v177
	s_waitcnt vmcnt(20)
	v_mul_f32_e32 v179, v134, v196
	v_add_f32_e32 v11, v160, v11
	s_waitcnt vmcnt(12)
	v_fmac_f32_e32 v162, v5, v201
	s_waitcnt vmcnt(11)
	v_fmac_f32_e32 v164, v3, v202
	v_add_f32_e32 v137, v159, v165
	s_waitcnt vmcnt(10)
	v_fma_f32 v10, v138, v203, -v10
	v_add_f32_e32 v11, v11, v156
	v_mul_f32_e32 v156, v3, v173
	v_fmac_f32_e32 v175, v139, v203
	v_add_f32_e32 v1, v137, v1
	v_fmac_f32_e32 v178, v141, v168
	v_add_f32_e32 v11, v11, v12
	v_mul_f32_e32 v12, v5, v174
	v_fma_f32 v2, v2, v202, -v156
	v_add_f32_e32 v1, v1, v175
	s_waitcnt lgkmcnt(2)
	v_mul_f32_e32 v176, v144, v197
	v_add_f32_e32 v3, v11, v10
	v_mul_f32_e32 v10, v141, v191
	v_fma_f32 v4, v4, v201, -v12
	v_add_f32_e32 v1, v1, v164
	s_waitcnt vmcnt(7)
	v_fmac_f32_e32 v166, v133, v204
	v_add_f32_e32 v2, v3, v2
	v_mul_f32_e32 v3, v143, v170
	v_fma_f32 v5, v140, v168, -v10
	v_add_f32_e32 v1, v1, v162
	s_waitcnt vmcnt(6)
	v_fmac_f32_e32 v163, v143, v205
	v_add_f32_e32 v2, v2, v4
	v_mul_f32_e32 v4, v133, v195
	v_fma_f32 v3, v142, v205, -v3
	v_add_f32_e32 v1, v1, v178
	v_fmac_f32_e32 v179, v135, v180
	v_add_f32_e32 v2, v2, v5
	v_mul_f32_e32 v5, v135, v196
	v_fma_f32 v4, v132, v204, -v4
	v_add_f32_e32 v1, v1, v163
	v_mul_f32_e32 v172, v146, v181
	v_add_f32_e32 v2, v2, v3
	v_mul_f32_e32 v3, v145, v197
	v_fma_f32 v5, v134, v180, -v5
	v_add_f32_e32 v1, v1, v166
	v_fmac_f32_e32 v176, v145, v171
	v_add_f32_e32 v2, v2, v4
	v_mul_f32_e32 v4, v147, v181
	v_fma_f32 v3, v144, v171, -v3
	v_add_f32_e32 v1, v1, v179
	s_waitcnt lgkmcnt(1)
	v_mul_f32_e32 v182, v6, v198
	v_add_f32_e32 v2, v2, v5
	v_mul_f32_e32 v5, v7, v198
	s_waitcnt vmcnt(2)
	v_fma_f32 v4, v146, v158, -v4
	v_fmac_f32_e32 v172, v147, v158
	v_add_f32_e32 v1, v1, v176
	v_add_f32_e32 v2, v2, v3
	v_mul_f32_e32 v3, v9, v199
	v_fma_f32 v5, v6, v154, -v5
	v_mul_f32_e32 v160, v8, v199
	v_fmac_f32_e32 v182, v7, v154
	v_add_f32_e32 v2, v2, v4
	v_add_f32_e32 v1, v1, v172
	s_waitcnt lgkmcnt(0)
	v_mul_f32_e32 v4, v149, v200
	v_fma_f32 v3, v8, v153, -v3
	v_mul_f32_e32 v177, v148, v200
	v_add_f32_e32 v2, v2, v5
	v_fmac_f32_e32 v160, v9, v153
	v_add_f32_e32 v1, v1, v182
	v_mul_f32_e32 v5, v151, v169
	v_fma_f32 v4, v148, v152, -v4
	v_add_f32_e32 v2, v2, v3
	v_mul_f32_e32 v136, v150, v169
	v_fmac_f32_e32 v177, v149, v152
	v_add_f32_e32 v1, v1, v160
	s_waitcnt vmcnt(1)
	v_fma_f32 v3, v150, v157, -v5
	v_add_f32_e32 v2, v2, v4
	v_fmac_f32_e32 v136, v151, v157
	v_add_f32_e32 v1, v1, v177
	v_add_f32_e32 v2, v2, v3
	v_add_f32_e32 v1, v1, v136
	s_waitcnt vmcnt(0)
	v_sub_f32_e32 v2, v155, v2
	v_sub_f32_e32 v1, v167, v1
	buffer_store_dword v2, off, s[0:3], 0 offset:48
	buffer_store_dword v1, off, s[0:3], 0 offset:52
	v_cmpx_lt_u32_e32 5, v0
	s_cbranch_execz .LBB58_357
; %bb.356:
	s_clause 0x1
	buffer_load_dword v1, off, s[0:3], 0 offset:40
	buffer_load_dword v2, off, s[0:3], 0 offset:44
	v_mov_b32_e32 v3, 0
	buffer_store_dword v3, off, s[0:3], 0 offset:40
	buffer_store_dword v3, off, s[0:3], 0 offset:44
	s_waitcnt vmcnt(0)
	ds_write_b64 v131, v[1:2]
.LBB58_357:
	s_or_b32 exec_lo, exec_lo, s4
	s_waitcnt lgkmcnt(0)
	s_waitcnt_vscnt null, 0x0
	s_barrier
	buffer_gl0_inv
	s_clause 0x3b
	buffer_load_dword v9, off, s[0:3], 0 offset:52
	buffer_load_dword v2, off, s[0:3], 0 offset:64
	;; [unrolled: 1-line block ×60, first 2 shown]
	v_mov_b32_e32 v1, 0
	ds_read_b128 v[177:180], v1 offset:528
	ds_read_b128 v[181:184], v1 offset:544
	;; [unrolled: 1-line block ×3, first 2 shown]
	buffer_load_dword v194, off, s[0:3], 0 offset:44
	s_mov_b32 s4, exec_lo
	s_waitcnt vmcnt(60) lgkmcnt(2)
	v_mul_f32_e32 v193, v177, v9
	v_mul_f32_e32 v9, v178, v9
	s_waitcnt vmcnt(56)
	v_mul_f32_e32 v195, v179, v6
	v_mul_f32_e32 v6, v180, v6
	v_fmac_f32_e32 v193, v178, v7
	v_fma_f32 v9, v177, v7, -v9
	s_waitcnt vmcnt(55) lgkmcnt(1)
	v_mul_f32_e32 v197, v181, v5
	v_fmac_f32_e32 v195, v180, v4
	v_fma_f32 v196, v179, v4, -v6
	v_mul_f32_e32 v177, v182, v5
	ds_read_b128 v[4:7], v1 offset:576
	v_fmac_f32_e32 v197, v182, v2
	s_waitcnt vmcnt(54)
	v_mul_f32_e32 v199, v183, v3
	s_waitcnt vmcnt(49) lgkmcnt(1)
	v_mul_f32_e32 v200, v185, v166
	v_fma_f32 v198, v181, v2, -v177
	v_mul_f32_e32 v2, v184, v3
	ds_read_b128 v[177:180], v1 offset:592
	v_fmac_f32_e32 v199, v184, v167
	v_fmac_f32_e32 v200, v186, v162
	v_add_f32_e32 v9, 0, v9
	v_fma_f32 v167, v183, v167, -v2
	v_mul_f32_e32 v2, v186, v166
	ds_read_b128 v[181:184], v1 offset:608
	v_add_f32_e32 v9, v9, v196
	v_fma_f32 v166, v185, v162, -v2
	s_waitcnt vmcnt(48)
	v_mul_f32_e32 v185, v187, v163
	v_mul_f32_e32 v2, v188, v163
	v_add_f32_e32 v9, v9, v198
	s_waitcnt vmcnt(47) lgkmcnt(2)
	v_mul_f32_e32 v186, v4, v158
	v_fmac_f32_e32 v185, v188, v154
	v_fma_f32 v154, v187, v154, -v2
	v_mul_f32_e32 v2, v5, v158
	v_fmac_f32_e32 v186, v5, v142
	s_waitcnt vmcnt(46)
	v_mul_f32_e32 v187, v6, v151
	v_fma_f32 v142, v4, v142, -v2
	v_mul_f32_e32 v2, v7, v151
	s_waitcnt vmcnt(42)
	v_fmac_f32_e32 v187, v7, v165
	s_waitcnt vmcnt(41) lgkmcnt(1)
	v_mul_f32_e32 v151, v177, v164
	v_mul_f32_e32 v7, v178, v164
	v_fma_f32 v6, v6, v165, -v2
	ds_read_b128 v[2:5], v1 offset:624
	ds_read_b128 v[162:165], v1 offset:640
	v_fmac_f32_e32 v151, v178, v157
	v_fma_f32 v177, v177, v157, -v7
	s_waitcnt vmcnt(40)
	v_mul_f32_e32 v178, v179, v159
	v_mul_f32_e32 v7, v180, v159
	v_fmac_f32_e32 v178, v180, v149
	v_fma_f32 v179, v179, v149, -v7
	s_waitcnt vmcnt(39) lgkmcnt(2)
	v_mul_f32_e32 v180, v181, v155
	v_mul_f32_e32 v7, v182, v155
	s_waitcnt vmcnt(38)
	v_mul_f32_e32 v155, v183, v147
	v_fmac_f32_e32 v180, v182, v137
	v_fma_f32 v137, v181, v137, -v7
	v_mul_f32_e32 v7, v184, v147
	s_waitcnt vmcnt(34)
	v_fmac_f32_e32 v155, v184, v161
	s_waitcnt vmcnt(33) lgkmcnt(1)
	v_mul_f32_e32 v181, v2, v160
	s_waitcnt vmcnt(30) lgkmcnt(0)
	v_mul_f32_e32 v184, v164, v144
	v_fma_f32 v161, v183, v161, -v7
	v_mul_f32_e32 v7, v3, v160
	ds_read_b128 v[157:160], v1 offset:656
	v_mul_f32_e32 v183, v4, v152
	v_fmac_f32_e32 v181, v3, v150
	s_waitcnt vmcnt(26)
	v_fmac_f32_e32 v184, v165, v156
	v_fma_f32 v182, v2, v150, -v7
	v_mul_f32_e32 v2, v5, v152
	v_fmac_f32_e32 v183, v5, v140
	v_mul_f32_e32 v152, v162, v148
	v_mul_f32_e32 v7, v165, v144
	v_fma_f32 v140, v4, v140, -v2
	v_mul_f32_e32 v2, v163, v148
	v_fmac_f32_e32 v152, v163, v133
	v_fma_f32 v144, v164, v156, -v7
	ds_read_b128 v[147:150], v1 offset:688
	v_fma_f32 v133, v162, v133, -v2
	ds_read_b128 v[2:5], v1 offset:672
	s_waitcnt vmcnt(25) lgkmcnt(2)
	v_mul_f32_e32 v156, v157, v153
	v_mul_f32_e32 v7, v158, v153
	s_waitcnt vmcnt(24)
	v_mul_f32_e32 v153, v159, v145
	v_fmac_f32_e32 v156, v158, v143
	v_fma_f32 v143, v157, v143, -v7
	v_mul_f32_e32 v7, v160, v145
	v_fmac_f32_e32 v153, v160, v135
	s_clause 0x1
	buffer_load_dword v145, off, s[0:3], 0 offset:284
	buffer_load_dword v158, off, s[0:3], 0 offset:292
	v_fma_f32 v135, v159, v135, -v7
	buffer_load_dword v159, off, s[0:3], 0 offset:300
	s_waitcnt vmcnt(26) lgkmcnt(0)
	v_mul_f32_e32 v157, v2, v138
	v_mul_f32_e32 v7, v3, v138
	s_waitcnt vmcnt(25)
	v_mul_f32_e32 v138, v4, v136
	v_mul_f32_e32 v136, v5, v136
	v_fmac_f32_e32 v157, v3, v12
	v_fma_f32 v12, v2, v12, -v7
	s_waitcnt vmcnt(21)
	v_fmac_f32_e32 v138, v5, v146
	v_fma_f32 v136, v4, v146, -v136
	ds_read_b128 v[2:5], v1 offset:704
	s_waitcnt vmcnt(20)
	v_mul_f32_e32 v146, v147, v141
	v_mul_f32_e32 v7, v148, v141
	s_waitcnt vmcnt(19)
	v_mul_f32_e32 v141, v149, v139
	v_mul_f32_e32 v139, v150, v139
	v_fmac_f32_e32 v146, v148, v134
	v_fma_f32 v134, v147, v134, -v7
	v_add_f32_e32 v7, 0, v193
	v_fmac_f32_e32 v141, v150, v132
	v_fma_f32 v132, v149, v132, -v139
	s_clause 0x6
	buffer_load_dword v147, off, s[0:3], 0 offset:320
	buffer_load_dword v148, off, s[0:3], 0 offset:312
	;; [unrolled: 1-line block ×7, first 2 shown]
	v_add_f32_e32 v7, v7, v195
	buffer_load_dword v163, off, s[0:3], 0 offset:332
	v_add_f32_e32 v7, v7, v197
	s_waitcnt vmcnt(26) lgkmcnt(0)
	v_mul_f32_e32 v164, v2, v11
	v_mul_f32_e32 v11, v3, v11
	s_waitcnt vmcnt(25)
	v_mul_f32_e32 v165, v4, v10
	v_add_f32_e32 v7, v7, v199
	v_mul_f32_e32 v10, v5, v10
	v_fmac_f32_e32 v164, v3, v8
	v_fma_f32 v11, v2, v8, -v11
	v_add_f32_e32 v8, v9, v167
	v_add_f32_e32 v7, v7, v200
	s_waitcnt vmcnt(21)
	v_fmac_f32_e32 v165, v5, v189
	v_fma_f32 v10, v4, v189, -v10
	ds_read_b128 v[2:5], v1 offset:720
	v_add_f32_e32 v8, v8, v166
	v_add_f32_e32 v7, v7, v185
	s_clause 0x3
	buffer_load_dword v166, off, s[0:3], 0 offset:352
	buffer_load_dword v167, off, s[0:3], 0 offset:344
	buffer_load_dword v188, off, s[0:3], 0 offset:336
	buffer_load_dword v189, off, s[0:3], 0 offset:328
	v_add_f32_e32 v8, v8, v154
	v_add_f32_e32 v8, v8, v142
	;; [unrolled: 1-line block ×3, first 2 shown]
	s_clause 0x2
	buffer_load_dword v154, off, s[0:3], 0 offset:340
	buffer_load_dword v185, off, s[0:3], 0 offset:348
	;; [unrolled: 1-line block ×3, first 2 shown]
	v_add_f32_e32 v193, v8, v6
	v_add_f32_e32 v142, v142, v187
	ds_read_b128 v[6:9], v1 offset:736
	s_waitcnt vmcnt(27) lgkmcnt(1)
	v_mul_f32_e32 v187, v2, v176
	v_mul_f32_e32 v176, v3, v176
	v_add_f32_e32 v177, v193, v177
	s_waitcnt vmcnt(26)
	v_mul_f32_e32 v193, v4, v175
	v_mul_f32_e32 v175, v5, v175
	v_fmac_f32_e32 v187, v3, v174
	v_add_f32_e32 v3, v142, v151
	v_add_f32_e32 v142, v177, v179
	v_fma_f32 v151, v2, v174, -v176
	v_fmac_f32_e32 v193, v5, v172
	v_fma_f32 v172, v4, v172, -v175
	v_add_f32_e32 v2, v3, v178
	v_add_f32_e32 v3, v142, v137
	s_clause 0x7
	buffer_load_dword v174, off, s[0:3], 0 offset:364
	buffer_load_dword v175, off, s[0:3], 0 offset:372
	buffer_load_dword v176, off, s[0:3], 0 offset:380
	buffer_load_dword v177, off, s[0:3], 0 offset:388
	buffer_load_dword v178, off, s[0:3], 0 offset:384
	buffer_load_dword v179, off, s[0:3], 0 offset:376
	buffer_load_dword v195, off, s[0:3], 0 offset:368
	buffer_load_dword v196, off, s[0:3], 0 offset:360
	v_add_f32_e32 v2, v2, v180
	v_add_f32_e32 v3, v3, v161
	s_waitcnt vmcnt(33) lgkmcnt(0)
	v_mul_f32_e32 v142, v6, v171
	v_mul_f32_e32 v4, v7, v171
	s_clause 0x1
	buffer_load_dword v161, off, s[0:3], 0 offset:396
	buffer_load_dword v180, off, s[0:3], 0 offset:404
	v_add_f32_e32 v2, v2, v155
	v_add_f32_e32 v3, v3, v182
	v_fmac_f32_e32 v142, v7, v169
	v_fma_f32 v169, v6, v169, -v4
	s_clause 0x1
	buffer_load_dword v155, off, s[0:3], 0 offset:412
	buffer_load_dword v171, off, s[0:3], 0 offset:420
	v_add_f32_e32 v2, v2, v181
	v_add_f32_e32 v3, v3, v140
	s_clause 0x3
	buffer_load_dword v181, off, s[0:3], 0 offset:428
	buffer_load_dword v182, off, s[0:3], 0 offset:436
	;; [unrolled: 1-line block ×4, first 2 shown]
	s_waitcnt vmcnt(40)
	v_mul_f32_e32 v140, v8, v168
	v_add_f32_e32 v2, v2, v183
	v_add_f32_e32 v6, v3, v133
	v_mul_f32_e32 v3, v9, v168
	buffer_load_dword v183, off, s[0:3], 0 offset:460
	s_waitcnt vmcnt(37)
	v_fmac_f32_e32 v140, v9, v191
	v_add_f32_e32 v7, v2, v152
	v_add_f32_e32 v6, v6, v144
	v_fma_f32 v168, v8, v191, -v3
	ds_read_b128 v[2:5], v1 offset:752
	buffer_load_dword v152, off, s[0:3], 0 offset:468
	v_add_f32_e32 v7, v7, v184
	v_add_f32_e32 v6, v6, v143
	;; [unrolled: 1-line block ×3, first 2 shown]
	s_clause 0x3
	buffer_load_dword v156, off, s[0:3], 0 offset:416
	buffer_load_dword v184, off, s[0:3], 0 offset:408
	;; [unrolled: 1-line block ×4, first 2 shown]
	v_add_f32_e32 v6, v6, v135
	v_add_f32_e32 v133, v7, v153
	;; [unrolled: 1-line block ×3, first 2 shown]
	ds_read_b128 v[6:9], v1 offset:768
	v_add_f32_e32 v133, v133, v157
	v_add_f32_e32 v12, v12, v136
	s_waitcnt vmcnt(41) lgkmcnt(1)
	v_mul_f32_e32 v143, v2, v192
	v_mul_f32_e32 v135, v3, v192
	v_fmac_f32_e32 v143, v3, v190
	v_fma_f32 v144, v2, v190, -v135
	v_add_f32_e32 v3, v12, v134
	s_clause 0x6
	buffer_load_dword v12, off, s[0:3], 0 offset:448
	buffer_load_dword v153, off, s[0:3], 0 offset:440
	;; [unrolled: 1-line block ×7, first 2 shown]
	v_add_f32_e32 v2, v133, v138
	v_add_f32_e32 v3, v3, v132
	;; [unrolled: 1-line block ×18, first 2 shown]
	s_waitcnt vmcnt(46)
	v_mul_f32_e32 v11, v4, v145
	v_mul_f32_e32 v132, v5, v145
	s_waitcnt vmcnt(45) lgkmcnt(0)
	v_mul_f32_e32 v151, v6, v158
	v_mul_f32_e32 v137, v7, v158
	s_waitcnt vmcnt(44)
	v_mul_f32_e32 v158, v8, v159
	v_mul_f32_e32 v138, v9, v159
	v_fmac_f32_e32 v11, v5, v173
	v_fma_f32 v145, v4, v173, -v132
	ds_read_b128 v[2:5], v1 offset:784
	ds_read_b128 v[132:135], v1 offset:800
	v_fmac_f32_e32 v151, v7, v170
	v_fma_f32 v159, v6, v170, -v137
	v_add_f32_e32 v10, v10, v145
	v_add_f32_e32 v11, v144, v11
	;; [unrolled: 1-line block ×4, first 2 shown]
	s_waitcnt vmcnt(40)
	v_fmac_f32_e32 v158, v9, v139
	v_fma_f32 v164, v8, v139, -v138
	ds_read_b128 v[6:9], v1 offset:816
	ds_read_b128 v[136:139], v1 offset:832
	s_waitcnt vmcnt(39) lgkmcnt(3)
	v_mul_f32_e32 v165, v2, v150
	v_mul_f32_e32 v146, v3, v150
	s_waitcnt vmcnt(38)
	v_mul_f32_e32 v169, v4, v160
	v_mul_f32_e32 v142, v5, v160
	s_waitcnt vmcnt(37) lgkmcnt(2)
	v_mul_f32_e32 v160, v132, v162
	v_mul_f32_e32 v150, v133, v162
	v_fmac_f32_e32 v165, v3, v149
	v_fma_f32 v149, v2, v149, -v146
	v_fmac_f32_e32 v169, v5, v148
	v_fma_f32 v162, v4, v148, -v142
	s_waitcnt vmcnt(36)
	v_mul_f32_e32 v168, v134, v163
	v_mul_f32_e32 v146, v135, v163
	v_fma_f32 v163, v132, v147, -v150
	v_fmac_f32_e32 v160, v133, v147
	ds_read_b128 v[2:5], v1 offset:848
	ds_read_b128 v[140:143], v1 offset:864
	s_waitcnt vmcnt(32)
	v_fma_f32 v170, v134, v189, -v146
	v_fmac_f32_e32 v168, v135, v189
	ds_read_b128 v[132:135], v1 offset:880
	ds_read_b128 v[144:147], v1 offset:896
	s_waitcnt vmcnt(31) lgkmcnt(5)
	v_mul_f32_e32 v159, v6, v154
	v_mul_f32_e32 v148, v7, v154
	s_waitcnt vmcnt(30)
	v_mul_f32_e32 v150, v9, v185
	v_mul_f32_e32 v172, v8, v185
	v_fmac_f32_e32 v159, v7, v188
	v_add_f32_e32 v7, v10, v164
	v_add_f32_e32 v10, v11, v158
	v_fma_f32 v154, v6, v188, -v148
	v_fma_f32 v158, v8, v167, -v150
	v_fmac_f32_e32 v172, v9, v167
	v_add_f32_e32 v164, v7, v149
	v_add_f32_e32 v165, v10, v165
	ds_read_b128 v[6:9], v1 offset:912
	ds_read_b128 v[148:151], v1 offset:928
	ds_read_b64 v[10:11], v1 offset:944
	s_waitcnt vmcnt(28) lgkmcnt(7)
	v_mul_f32_e32 v173, v139, v174
	v_add_f32_e32 v162, v164, v162
	v_add_f32_e32 v165, v165, v169
	v_mul_f32_e32 v169, v137, v186
	v_mul_f32_e32 v164, v136, v186
	;; [unrolled: 1-line block ×3, first 2 shown]
	v_add_f32_e32 v162, v162, v163
	v_add_f32_e32 v160, v165, v160
	v_fma_f32 v136, v136, v166, -v169
	v_fmac_f32_e32 v164, v137, v166
	s_waitcnt vmcnt(27) lgkmcnt(6)
	v_mul_f32_e32 v163, v2, v175
	v_add_f32_e32 v162, v162, v170
	v_add_f32_e32 v160, v160, v168
	v_mul_f32_e32 v169, v3, v175
	s_waitcnt vmcnt(21)
	v_fma_f32 v138, v138, v196, -v173
	v_fmac_f32_e32 v167, v139, v196
	v_add_f32_e32 v154, v162, v154
	v_add_f32_e32 v159, v160, v159
	v_fmac_f32_e32 v163, v3, v195
	v_fma_f32 v2, v2, v195, -v169
	v_mul_f32_e32 v165, v4, v176
	v_add_f32_e32 v154, v154, v158
	v_add_f32_e32 v158, v159, v172
	v_mul_f32_e32 v159, v5, v176
	s_waitcnt lgkmcnt(5)
	v_mul_f32_e32 v137, v140, v177
	v_fmac_f32_e32 v165, v5, v179
	v_add_f32_e32 v136, v154, v136
	v_add_f32_e32 v154, v158, v164
	v_fma_f32 v4, v4, v179, -v159
	s_waitcnt vmcnt(20)
	v_mul_f32_e32 v5, v143, v161
	v_mul_f32_e32 v166, v142, v161
	v_add_f32_e32 v3, v136, v138
	v_add_f32_e32 v136, v154, v167
	v_mul_f32_e32 v138, v141, v177
	v_fmac_f32_e32 v137, v141, v178
	s_waitcnt vmcnt(19) lgkmcnt(4)
	v_mul_f32_e32 v168, v132, v180
	v_add_f32_e32 v2, v3, v2
	v_add_f32_e32 v3, v136, v163
	v_fma_f32 v136, v140, v178, -v138
	s_waitcnt vmcnt(18)
	v_mul_f32_e32 v139, v134, v155
	s_waitcnt vmcnt(8)
	v_fmac_f32_e32 v168, v133, v191
	v_add_f32_e32 v2, v2, v4
	v_add_f32_e32 v3, v3, v165
	v_mul_f32_e32 v4, v133, v180
	s_waitcnt vmcnt(7)
	v_fma_f32 v5, v142, v199, -v5
	v_fmac_f32_e32 v166, v143, v199
	v_add_f32_e32 v2, v2, v136
	v_add_f32_e32 v3, v3, v137
	v_mul_f32_e32 v136, v135, v155
	v_fma_f32 v4, v132, v191, -v4
	s_waitcnt lgkmcnt(3)
	v_mul_f32_e32 v170, v144, v171
	v_add_f32_e32 v2, v2, v5
	v_add_f32_e32 v3, v3, v166
	v_mul_f32_e32 v5, v145, v171
	v_fma_f32 v132, v134, v184, -v136
	v_fmac_f32_e32 v139, v135, v184
	v_add_f32_e32 v2, v2, v4
	v_add_f32_e32 v3, v3, v168
	v_mul_f32_e32 v4, v147, v181
	v_fma_f32 v5, v144, v156, -v5
	v_mul_f32_e32 v160, v146, v181
	v_add_f32_e32 v2, v2, v132
	v_fmac_f32_e32 v170, v145, v156
	v_add_f32_e32 v3, v3, v139
	s_waitcnt lgkmcnt(2)
	v_mul_f32_e32 v132, v7, v182
	s_waitcnt vmcnt(3)
	v_fma_f32 v4, v146, v190, -v4
	v_add_f32_e32 v2, v2, v5
	v_mul_f32_e32 v162, v6, v182
	v_fmac_f32_e32 v160, v147, v190
	v_add_f32_e32 v3, v3, v170
	v_mul_f32_e32 v5, v9, v197
	v_fma_f32 v6, v6, v157, -v132
	v_add_f32_e32 v2, v2, v4
	v_mul_f32_e32 v173, v8, v197
	v_fmac_f32_e32 v162, v7, v157
	v_add_f32_e32 v3, v3, v160
	s_waitcnt lgkmcnt(1)
	v_mul_f32_e32 v4, v149, v198
	v_fma_f32 v5, v8, v153, -v5
	v_add_f32_e32 v2, v2, v6
	v_mul_f32_e32 v172, v148, v198
	v_fmac_f32_e32 v173, v9, v153
	v_add_f32_e32 v3, v3, v162
	v_mul_f32_e32 v6, v151, v183
	v_fma_f32 v4, v148, v12, -v4
	v_add_f32_e32 v2, v2, v5
	v_mul_f32_e32 v174, v150, v183
	v_fmac_f32_e32 v172, v149, v12
	v_add_f32_e32 v3, v3, v173
	s_waitcnt lgkmcnt(0)
	v_mul_f32_e32 v5, v11, v152
	s_waitcnt vmcnt(1)
	v_fma_f32 v6, v150, v200, -v6
	v_add_f32_e32 v2, v2, v4
	v_mul_f32_e32 v158, v10, v152
	v_fmac_f32_e32 v174, v151, v200
	v_add_f32_e32 v3, v3, v172
	v_fma_f32 v4, v10, v192, -v5
	v_add_f32_e32 v2, v2, v6
	v_fmac_f32_e32 v158, v11, v192
	v_add_f32_e32 v3, v3, v174
	v_add_f32_e32 v2, v2, v4
	;; [unrolled: 1-line block ×3, first 2 shown]
	s_waitcnt vmcnt(0)
	v_sub_f32_e32 v2, v201, v2
	v_sub_f32_e32 v3, v194, v3
	buffer_store_dword v2, off, s[0:3], 0 offset:40
	buffer_store_dword v3, off, s[0:3], 0 offset:44
	v_cmpx_lt_u32_e32 4, v0
	s_cbranch_execz .LBB58_359
; %bb.358:
	s_clause 0x1
	buffer_load_dword v2, off, s[0:3], 0 offset:32
	buffer_load_dword v3, off, s[0:3], 0 offset:36
	buffer_store_dword v1, off, s[0:3], 0 offset:32
	buffer_store_dword v1, off, s[0:3], 0 offset:36
	s_waitcnt vmcnt(0)
	ds_write_b64 v131, v[2:3]
.LBB58_359:
	s_or_b32 exec_lo, exec_lo, s4
	s_waitcnt lgkmcnt(0)
	s_waitcnt_vscnt null, 0x0
	s_barrier
	buffer_gl0_inv
	s_clause 0x3c
	buffer_load_dword v9, off, s[0:3], 0 offset:44
	buffer_load_dword v10, off, s[0:3], 0 offset:52
	buffer_load_dword v2, off, s[0:3], 0 offset:56
	buffer_load_dword v5, off, s[0:3], 0 offset:48
	buffer_load_dword v6, off, s[0:3], 0 offset:40
	buffer_load_dword v4, off, s[0:3], 0 offset:60
	buffer_load_dword v3, off, s[0:3], 0 offset:68
	buffer_load_dword v139, off, s[0:3], 0 offset:88
	buffer_load_dword v153, off, s[0:3], 0 offset:80
	buffer_load_dword v160, off, s[0:3], 0 offset:72
	buffer_load_dword v167, off, s[0:3], 0 offset:64
	buffer_load_dword v166, off, s[0:3], 0 offset:76
	buffer_load_dword v164, off, s[0:3], 0 offset:84
	buffer_load_dword v158, off, s[0:3], 0 offset:92
	buffer_load_dword v156, off, s[0:3], 0 offset:100
	buffer_load_dword v135, off, s[0:3], 0 offset:120
	buffer_load_dword v148, off, s[0:3], 0 offset:112
	buffer_load_dword v154, off, s[0:3], 0 offset:104
	buffer_load_dword v165, off, s[0:3], 0 offset:96
	buffer_load_dword v163, off, s[0:3], 0 offset:108
	buffer_load_dword v162, off, s[0:3], 0 offset:116
	buffer_load_dword v152, off, s[0:3], 0 offset:124
	buffer_load_dword v150, off, s[0:3], 0 offset:132
	buffer_load_dword v11, off, s[0:3], 0 offset:152
	buffer_load_dword v141, off, s[0:3], 0 offset:144
	buffer_load_dword v146, off, s[0:3], 0 offset:136
	buffer_load_dword v161, off, s[0:3], 0 offset:128
	buffer_load_dword v159, off, s[0:3], 0 offset:140
	buffer_load_dword v157, off, s[0:3], 0 offset:148
	buffer_load_dword v145, off, s[0:3], 0 offset:156
	buffer_load_dword v143, off, s[0:3], 0 offset:164
	buffer_load_dword v8, off, s[0:3], 0 offset:184
	buffer_load_dword v136, off, s[0:3], 0 offset:176
	buffer_load_dword v140, off, s[0:3], 0 offset:168
	buffer_load_dword v155, off, s[0:3], 0 offset:160
	buffer_load_dword v151, off, s[0:3], 0 offset:172
	buffer_load_dword v149, off, s[0:3], 0 offset:180
	buffer_load_dword v138, off, s[0:3], 0 offset:188
	buffer_load_dword v137, off, s[0:3], 0 offset:196
	buffer_load_dword v7, off, s[0:3], 0 offset:216
	buffer_load_dword v12, off, s[0:3], 0 offset:208
	buffer_load_dword v134, off, s[0:3], 0 offset:200
	buffer_load_dword v147, off, s[0:3], 0 offset:192
	buffer_load_dword v144, off, s[0:3], 0 offset:204
	buffer_load_dword v142, off, s[0:3], 0 offset:212
	buffer_load_dword v133, off, s[0:3], 0 offset:220
	buffer_load_dword v132, off, s[0:3], 0 offset:228
	buffer_load_dword v169, off, s[0:3], 0 offset:248
	buffer_load_dword v170, off, s[0:3], 0 offset:240
	buffer_load_dword v173, off, s[0:3], 0 offset:232
	buffer_load_dword v176, off, s[0:3], 0 offset:224
	buffer_load_dword v175, off, s[0:3], 0 offset:236
	buffer_load_dword v174, off, s[0:3], 0 offset:244
	buffer_load_dword v172, off, s[0:3], 0 offset:252
	buffer_load_dword v171, off, s[0:3], 0 offset:260
	buffer_load_dword v168, off, s[0:3], 0 offset:280
	buffer_load_dword v185, off, s[0:3], 0 offset:272
	buffer_load_dword v186, off, s[0:3], 0 offset:264
	buffer_load_dword v187, off, s[0:3], 0 offset:256
	buffer_load_dword v188, off, s[0:3], 0 offset:268
	buffer_load_dword v189, off, s[0:3], 0 offset:276
	ds_read2_b64 v[177:180], v1 offset0:65 offset1:66
	ds_read2_b64 v[181:184], v1 offset0:67 offset1:68
	buffer_load_dword v192, off, s[0:3], 0 offset:36
	s_mov_b32 s4, exec_lo
	s_waitcnt vmcnt(61) lgkmcnt(1)
	v_mul_f32_e32 v190, v177, v9
	v_mul_f32_e32 v9, v178, v9
	s_waitcnt vmcnt(60)
	v_mul_f32_e32 v191, v179, v10
	v_mul_f32_e32 v10, v180, v10
	s_waitcnt vmcnt(57)
	v_fmac_f32_e32 v190, v178, v6
	v_fma_f32 v193, v177, v6, -v9
	v_fmac_f32_e32 v191, v180, v5
	v_fma_f32 v194, v179, v5, -v10
	ds_read2_b64 v[177:180], v1 offset0:69 offset1:70
	s_waitcnt vmcnt(56) lgkmcnt(1)
	v_mul_f32_e32 v195, v181, v4
	v_mul_f32_e32 v4, v182, v4
	s_waitcnt vmcnt(55)
	v_mul_f32_e32 v196, v183, v3
	v_mul_f32_e32 v3, v184, v3
	v_fmac_f32_e32 v195, v182, v2
	v_fma_f32 v181, v181, v2, -v4
	s_waitcnt vmcnt(51)
	v_fmac_f32_e32 v196, v184, v167
	v_fma_f32 v167, v183, v167, -v3
	ds_read2_b64 v[2:5], v1 offset0:71 offset1:72
	s_waitcnt vmcnt(50) lgkmcnt(1)
	v_mul_f32_e32 v182, v177, v166
	v_mul_f32_e32 v6, v178, v166
	s_waitcnt vmcnt(49)
	v_mul_f32_e32 v166, v179, v164
	v_mul_f32_e32 v9, v180, v164
	v_fmac_f32_e32 v182, v178, v160
	v_fma_f32 v160, v177, v160, -v6
	v_fmac_f32_e32 v166, v180, v153
	v_fma_f32 v153, v179, v153, -v9
	ds_read2_b64 v[177:180], v1 offset0:73 offset1:74
	s_waitcnt vmcnt(48) lgkmcnt(1)
	v_mul_f32_e32 v183, v2, v158
	v_mul_f32_e32 v6, v3, v158
	s_waitcnt vmcnt(47)
	v_mul_f32_e32 v184, v4, v156
	v_mul_f32_e32 v9, v5, v156
	v_fmac_f32_e32 v183, v3, v139
	v_fma_f32 v139, v2, v139, -v6
	s_waitcnt vmcnt(43)
	v_fmac_f32_e32 v184, v5, v165
	v_fma_f32 v197, v4, v165, -v9
	ds_read2_b64 v[2:5], v1 offset0:75 offset1:76
	s_waitcnt vmcnt(42) lgkmcnt(1)
	v_mul_f32_e32 v198, v177, v163
	v_mul_f32_e32 v6, v178, v163
	s_waitcnt vmcnt(41)
	v_mul_f32_e32 v199, v179, v162
	v_mul_f32_e32 v9, v180, v162
	ds_read2_b64 v[162:165], v1 offset0:77 offset1:78
	v_fmac_f32_e32 v198, v178, v154
	v_fma_f32 v154, v177, v154, -v6
	v_fmac_f32_e32 v199, v180, v148
	v_fma_f32 v177, v179, v148, -v9
	s_waitcnt vmcnt(40) lgkmcnt(1)
	v_mul_f32_e32 v178, v2, v152
	v_mul_f32_e32 v6, v3, v152
	s_waitcnt vmcnt(39)
	v_mul_f32_e32 v152, v4, v150
	v_mul_f32_e32 v9, v5, v150
	v_fmac_f32_e32 v178, v3, v135
	v_fma_f32 v135, v2, v135, -v6
	s_waitcnt vmcnt(35)
	v_fmac_f32_e32 v152, v5, v161
	v_fma_f32 v161, v4, v161, -v9
	ds_read2_b64 v[2:5], v1 offset0:79 offset1:80
	s_waitcnt vmcnt(34) lgkmcnt(1)
	v_mul_f32_e32 v179, v162, v159
	v_mul_f32_e32 v6, v163, v159
	s_waitcnt vmcnt(33)
	v_mul_f32_e32 v180, v164, v157
	v_mul_f32_e32 v9, v165, v157
	ds_read2_b64 v[156:159], v1 offset0:81 offset1:82
	v_fmac_f32_e32 v179, v163, v146
	v_fma_f32 v146, v162, v146, -v6
	v_fmac_f32_e32 v180, v165, v141
	v_fma_f32 v141, v164, v141, -v9
	;; [unrolled: 23-line block ×3, first 2 shown]
	s_waitcnt vmcnt(24) lgkmcnt(1)
	v_mul_f32_e32 v156, v2, v138
	v_mul_f32_e32 v6, v3, v138
	s_waitcnt vmcnt(23)
	v_mul_f32_e32 v138, v4, v137
	v_mul_f32_e32 v9, v5, v137
	v_fmac_f32_e32 v156, v3, v8
	v_fma_f32 v137, v2, v8, -v6
	s_waitcnt vmcnt(19)
	v_fmac_f32_e32 v138, v5, v147
	v_fma_f32 v147, v4, v147, -v9
	ds_read2_b64 v[2:5], v1 offset0:87 offset1:88
	s_waitcnt vmcnt(18) lgkmcnt(1)
	v_mul_f32_e32 v157, v148, v144
	v_mul_f32_e32 v6, v149, v144
	s_waitcnt vmcnt(17)
	v_mul_f32_e32 v144, v150, v142
	v_mul_f32_e32 v8, v151, v142
	v_fmac_f32_e32 v157, v149, v134
	v_fma_f32 v134, v148, v134, -v6
	v_fmac_f32_e32 v144, v151, v12
	v_fma_f32 v12, v150, v12, -v8
	ds_read2_b64 v[8:11], v1 offset0:89 offset1:90
	s_waitcnt vmcnt(16) lgkmcnt(1)
	v_mul_f32_e32 v142, v2, v133
	v_mul_f32_e32 v6, v3, v133
	s_waitcnt vmcnt(15)
	v_mul_f32_e32 v133, v4, v132
	v_mul_f32_e32 v132, v5, v132
	v_fmac_f32_e32 v142, v3, v7
	v_fma_f32 v148, v2, v7, -v6
	s_waitcnt vmcnt(11)
	v_fmac_f32_e32 v133, v5, v176
	v_fma_f32 v132, v4, v176, -v132
	ds_read2_b64 v[2:5], v1 offset0:91 offset1:92
	s_waitcnt vmcnt(10) lgkmcnt(1)
	v_mul_f32_e32 v149, v8, v175
	v_mul_f32_e32 v6, v9, v175
	s_waitcnt vmcnt(9)
	v_mul_f32_e32 v7, v11, v174
	v_mul_f32_e32 v150, v10, v174
	buffer_load_dword v174, off, s[0:3], 0 offset:292
	v_fmac_f32_e32 v149, v9, v173
	v_fma_f32 v151, v8, v173, -v6
	v_fma_f32 v10, v10, v170, -v7
	ds_read2_b64 v[6:9], v1 offset0:93 offset1:94
	v_fmac_f32_e32 v150, v11, v170
	buffer_load_dword v11, off, s[0:3], 0 offset:284
	s_waitcnt vmcnt(10) lgkmcnt(1)
	v_mul_f32_e32 v158, v2, v172
	v_mul_f32_e32 v159, v3, v172
	s_waitcnt vmcnt(9)
	v_mul_f32_e32 v165, v4, v171
	v_mul_f32_e32 v170, v5, v171
	v_fmac_f32_e32 v158, v3, v169
	v_fma_f32 v159, v2, v169, -v159
	s_waitcnt vmcnt(5)
	v_fmac_f32_e32 v165, v5, v187
	v_fma_f32 v169, v4, v187, -v170
	ds_read2_b64 v[2:5], v1 offset0:95 offset1:96
	s_waitcnt vmcnt(4) lgkmcnt(1)
	v_mul_f32_e32 v170, v6, v188
	v_mul_f32_e32 v171, v7, v188
	s_waitcnt vmcnt(3)
	v_mul_f32_e32 v172, v8, v189
	v_mul_f32_e32 v173, v9, v189
	v_fmac_f32_e32 v170, v7, v186
	v_fma_f32 v171, v6, v186, -v171
	v_fmac_f32_e32 v172, v9, v185
	v_fma_f32 v173, v8, v185, -v173
	s_clause 0x4
	buffer_load_dword v175, off, s[0:3], 0 offset:312
	buffer_load_dword v176, off, s[0:3], 0 offset:304
	;; [unrolled: 1-line block ×5, first 2 shown]
	v_add_f32_e32 v7, 0, v190
	v_add_f32_e32 v6, 0, v193
	s_clause 0x1
	buffer_load_dword v188, off, s[0:3], 0 offset:308
	buffer_load_dword v189, off, s[0:3], 0 offset:316
	v_add_f32_e32 v7, v7, v191
	v_add_f32_e32 v6, v6, v194
	;; [unrolled: 1-line block ×4, first 2 shown]
	s_clause 0x1
	buffer_load_dword v181, off, s[0:3], 0 offset:324
	buffer_load_dword v190, off, s[0:3], 0 offset:332
	v_add_f32_e32 v7, v7, v196
	v_add_f32_e32 v6, v6, v167
	;; [unrolled: 1-line block ×4, first 2 shown]
	s_clause 0x3
	buffer_load_dword v160, off, s[0:3], 0 offset:344
	buffer_load_dword v167, off, s[0:3], 0 offset:336
	;; [unrolled: 1-line block ×4, first 2 shown]
	v_add_f32_e32 v7, v7, v166
	v_add_f32_e32 v6, v6, v153
	s_clause 0x2
	buffer_load_dword v153, off, s[0:3], 0 offset:340
	buffer_load_dword v166, off, s[0:3], 0 offset:348
	;; [unrolled: 1-line block ×3, first 2 shown]
	v_add_f32_e32 v7, v7, v183
	v_add_f32_e32 v6, v6, v139
	;; [unrolled: 1-line block ×6, first 2 shown]
	s_clause 0x4
	buffer_load_dword v154, off, s[0:3], 0 offset:376
	buffer_load_dword v183, off, s[0:3], 0 offset:368
	;; [unrolled: 1-line block ×5, first 2 shown]
	v_add_f32_e32 v7, v7, v199
	v_add_f32_e32 v6, v6, v177
	buffer_load_dword v177, off, s[0:3], 0 offset:364
	v_add_f32_e32 v7, v7, v178
	v_add_f32_e32 v6, v6, v135
	buffer_load_dword v178, off, s[0:3], 0 offset:380
	v_add_f32_e32 v7, v7, v152
	v_add_f32_e32 v6, v6, v161
	s_clause 0x4
	buffer_load_dword v161, off, s[0:3], 0 offset:388
	buffer_load_dword v196, off, s[0:3], 0 offset:396
	;; [unrolled: 1-line block ×5, first 2 shown]
	v_add_f32_e32 v7, v7, v179
	v_add_f32_e32 v6, v6, v146
	s_clause 0x3
	buffer_load_dword v179, off, s[0:3], 0 offset:428
	buffer_load_dword v199, off, s[0:3], 0 offset:436
	;; [unrolled: 1-line block ×4, first 2 shown]
	v_add_f32_e32 v7, v7, v180
	v_add_f32_e32 v6, v6, v141
	buffer_load_dword v180, off, s[0:3], 0 offset:452
	v_add_f32_e32 v7, v7, v162
	v_add_f32_e32 v6, v6, v143
	buffer_load_dword v162, off, s[0:3], 0 offset:468
	v_add_f32_e32 v7, v7, v145
	v_add_f32_e32 v6, v6, v155
	;; [unrolled: 1-line block ×3, first 2 shown]
	s_clause 0x3
	buffer_load_dword v155, off, s[0:3], 0 offset:408
	buffer_load_dword v163, off, s[0:3], 0 offset:400
	;; [unrolled: 1-line block ×4, first 2 shown]
	v_add_f32_e32 v6, v6, v140
	v_add_f32_e32 v7, v7, v164
	;; [unrolled: 1-line block ×4, first 2 shown]
	s_clause 0x6
	buffer_load_dword v156, off, s[0:3], 0 offset:440
	buffer_load_dword v164, off, s[0:3], 0 offset:432
	;; [unrolled: 1-line block ×7, first 2 shown]
	v_add_f32_e32 v6, v6, v137
	v_add_f32_e32 v7, v7, v138
	;; [unrolled: 1-line block ×4, first 2 shown]
	buffer_load_dword v157, off, s[0:3], 0 offset:32
	v_add_f32_e32 v6, v6, v134
	v_add_f32_e32 v7, v7, v144
	;; [unrolled: 1-line block ×3, first 2 shown]
	s_waitcnt vmcnt(46) lgkmcnt(0)
	v_mul_f32_e32 v12, v2, v11
	v_mul_f32_e32 v8, v3, v11
	v_fmac_f32_e32 v12, v3, v168
	v_fma_f32 v11, v2, v168, -v8
	v_add_f32_e32 v2, v6, v148
	v_add_f32_e32 v3, v7, v142
	ds_read2_b64 v[6:9], v1 offset0:97 offset1:98
	v_mul_f32_e32 v148, v4, v174
	v_add_f32_e32 v132, v2, v132
	v_mul_f32_e32 v2, v5, v174
	v_add_f32_e32 v133, v3, v133
	v_add_f32_e32 v136, v132, v151
	;; [unrolled: 1-line block ×3, first 2 shown]
	ds_read2_b64 v[132:135], v1 offset0:101 offset1:102
	v_add_f32_e32 v10, v136, v10
	v_add_f32_e32 v137, v137, v150
	s_waitcnt vmcnt(42)
	v_fmac_f32_e32 v148, v5, v186
	v_fma_f32 v168, v4, v186, -v2
	ds_read2_b64 v[2:5], v1 offset0:99 offset1:100
	s_waitcnt vmcnt(41) lgkmcnt(2)
	v_mul_f32_e32 v136, v7, v187
	v_mul_f32_e32 v149, v6, v187
	v_add_f32_e32 v10, v10, v159
	s_waitcnt vmcnt(40)
	v_mul_f32_e32 v140, v9, v188
	v_fma_f32 v150, v6, v185, -v136
	v_add_f32_e32 v6, v137, v158
	v_fmac_f32_e32 v149, v7, v185
	v_add_f32_e32 v7, v10, v169
	v_mul_f32_e32 v10, v8, v188
	ds_read2_b64 v[136:139], v1 offset0:103 offset1:104
	v_add_f32_e32 v6, v6, v165
	v_fma_f32 v151, v8, v176, -v140
	v_add_f32_e32 v7, v7, v171
	v_fmac_f32_e32 v10, v9, v176
	s_waitcnt vmcnt(37) lgkmcnt(2)
	v_mul_f32_e32 v145, v133, v190
	v_add_f32_e32 v6, v6, v170
	v_mul_f32_e32 v165, v132, v190
	s_waitcnt lgkmcnt(1)
	v_mul_f32_e32 v141, v3, v189
	v_mul_f32_e32 v158, v2, v189
	;; [unrolled: 1-line block ×4, first 2 shown]
	s_waitcnt vmcnt(34)
	v_fma_f32 v171, v132, v191, -v145
	v_fma_f32 v169, v2, v175, -v141
	v_add_f32_e32 v2, v7, v173
	v_fmac_f32_e32 v158, v3, v175
	v_add_f32_e32 v3, v6, v172
	s_waitcnt vmcnt(33)
	v_fma_f32 v170, v4, v193, -v144
	ds_read2_b64 v[6:9], v1 offset0:105 offset1:106
	ds_read2_b64 v[140:143], v1 offset0:107 offset1:108
	v_add_f32_e32 v11, v2, v11
	v_fmac_f32_e32 v159, v5, v193
	v_add_f32_e32 v12, v3, v12
	s_waitcnt vmcnt(32)
	v_mul_f32_e32 v132, v135, v153
	v_fmac_f32_e32 v165, v133, v191
	v_add_f32_e32 v11, v11, v168
	v_mul_f32_e32 v168, v134, v153
	v_add_f32_e32 v12, v12, v148
	s_waitcnt vmcnt(31) lgkmcnt(2)
	v_mul_f32_e32 v153, v136, v166
	v_mul_f32_e32 v133, v137, v166
	v_add_f32_e32 v11, v11, v150
	v_fmac_f32_e32 v168, v135, v167
	v_add_f32_e32 v12, v12, v149
	v_fma_f32 v167, v134, v167, -v132
	s_waitcnt vmcnt(30)
	v_mul_f32_e32 v166, v139, v182
	v_add_f32_e32 v11, v11, v151
	v_fmac_f32_e32 v153, v137, v160
	v_add_f32_e32 v10, v12, v10
	v_fma_f32 v160, v136, v160, -v133
	v_mul_f32_e32 v172, v138, v182
	v_add_f32_e32 v11, v11, v169
	s_waitcnt vmcnt(26)
	v_fma_f32 v166, v138, v194, -v166
	v_add_f32_e32 v10, v10, v158
	s_waitcnt vmcnt(24) lgkmcnt(1)
	v_mul_f32_e32 v12, v7, v177
	ds_read2_b64 v[2:5], v1 offset0:109 offset1:110
	ds_read2_b64 v[144:147], v1 offset0:111 offset1:112
	v_add_f32_e32 v11, v11, v170
	ds_read2_b64 v[132:135], v1 offset0:113 offset1:114
	ds_read2_b64 v[148:151], v1 offset0:115 offset1:116
	v_add_f32_e32 v10, v10, v159
	v_fmac_f32_e32 v172, v139, v194
	ds_read2_b64 v[136:139], v1 offset0:117 offset1:118
	v_add_f32_e32 v11, v11, v171
	v_mul_f32_e32 v1, v6, v177
	v_add_f32_e32 v10, v10, v165
	v_mul_f32_e32 v169, v9, v195
	v_fma_f32 v6, v6, v184, -v12
	v_add_f32_e32 v11, v11, v167
	v_mul_f32_e32 v158, v8, v195
	v_add_f32_e32 v10, v10, v168
	v_fmac_f32_e32 v1, v7, v184
	s_waitcnt vmcnt(23) lgkmcnt(5)
	v_mul_f32_e32 v12, v141, v178
	v_add_f32_e32 v11, v11, v160
	v_fma_f32 v8, v8, v183, -v169
	v_add_f32_e32 v10, v10, v153
	v_mul_f32_e32 v170, v140, v178
	v_fmac_f32_e32 v158, v9, v183
	v_add_f32_e32 v11, v11, v166
	s_waitcnt vmcnt(22)
	v_mul_f32_e32 v9, v143, v161
	v_add_f32_e32 v10, v10, v172
	v_mul_f32_e32 v159, v142, v161
	v_fmac_f32_e32 v170, v141, v154
	v_add_f32_e32 v6, v11, v6
	s_waitcnt vmcnt(21) lgkmcnt(4)
	v_mul_f32_e32 v173, v2, v196
	v_add_f32_e32 v1, v10, v1
	v_fma_f32 v10, v140, v154, -v12
	s_waitcnt vmcnt(8)
	v_fma_f32 v9, v142, v203, -v9
	v_add_f32_e32 v6, v6, v8
	v_mul_f32_e32 v8, v3, v196
	v_add_f32_e32 v1, v1, v158
	v_fmac_f32_e32 v159, v143, v203
	v_fmac_f32_e32 v173, v3, v202
	v_add_f32_e32 v6, v6, v10
	v_mul_f32_e32 v10, v5, v152
	v_add_f32_e32 v1, v1, v170
	v_fma_f32 v2, v2, v202, -v8
	v_mul_f32_e32 v171, v4, v152
	v_add_f32_e32 v3, v6, v9
	s_waitcnt lgkmcnt(3)
	v_mul_f32_e32 v6, v145, v197
	v_add_f32_e32 v1, v1, v159
	v_fma_f32 v4, v4, v163, -v10
	v_mul_f32_e32 v165, v144, v197
	v_add_f32_e32 v2, v3, v2
	v_fmac_f32_e32 v171, v5, v163
	v_add_f32_e32 v1, v1, v173
	v_mul_f32_e32 v3, v147, v198
	v_fma_f32 v5, v144, v155, -v6
	v_add_f32_e32 v2, v2, v4
	v_mul_f32_e32 v174, v146, v198
	v_fmac_f32_e32 v165, v145, v155
	v_add_f32_e32 v1, v1, v171
	s_waitcnt lgkmcnt(2)
	v_mul_f32_e32 v4, v133, v179
	s_waitcnt vmcnt(4)
	v_fma_f32 v3, v146, v205, -v3
	v_add_f32_e32 v2, v2, v5
	v_mul_f32_e32 v167, v132, v179
	v_fmac_f32_e32 v174, v147, v205
	v_add_f32_e32 v1, v1, v165
	v_mul_f32_e32 v5, v135, v199
	v_fma_f32 v4, v132, v204, -v4
	v_add_f32_e32 v2, v2, v3
	v_mul_f32_e32 v168, v134, v199
	v_fmac_f32_e32 v167, v133, v204
	v_add_f32_e32 v1, v1, v174
	s_waitcnt lgkmcnt(1)
	v_mul_f32_e32 v3, v149, v200
	v_fma_f32 v5, v134, v164, -v5
	v_add_f32_e32 v2, v2, v4
	v_mul_f32_e32 v175, v148, v200
	v_fmac_f32_e32 v168, v135, v164
	v_add_f32_e32 v1, v1, v167
	v_mul_f32_e32 v4, v151, v180
	v_fma_f32 v3, v148, v156, -v3
	v_add_f32_e32 v2, v2, v5
	v_mul_f32_e32 v160, v150, v180
	v_fmac_f32_e32 v175, v149, v156
	v_add_f32_e32 v1, v1, v168
	s_waitcnt lgkmcnt(0)
	v_mul_f32_e32 v5, v137, v201
	s_waitcnt vmcnt(1)
	v_fma_f32 v4, v150, v208, -v4
	v_add_f32_e32 v2, v2, v3
	v_mul_f32_e32 v153, v136, v201
	v_fmac_f32_e32 v160, v151, v208
	v_add_f32_e32 v1, v1, v175
	v_mul_f32_e32 v3, v139, v162
	v_fma_f32 v5, v136, v207, -v5
	v_add_f32_e32 v2, v2, v4
	v_mul_f32_e32 v7, v138, v162
	v_fmac_f32_e32 v153, v137, v207
	v_add_f32_e32 v1, v1, v160
	v_fma_f32 v3, v138, v206, -v3
	v_add_f32_e32 v2, v2, v5
	v_fmac_f32_e32 v7, v139, v206
	v_add_f32_e32 v1, v1, v153
	v_add_f32_e32 v2, v2, v3
	;; [unrolled: 1-line block ×3, first 2 shown]
	s_waitcnt vmcnt(0)
	v_sub_f32_e32 v2, v157, v2
	v_sub_f32_e32 v1, v192, v1
	buffer_store_dword v2, off, s[0:3], 0 offset:32
	buffer_store_dword v1, off, s[0:3], 0 offset:36
	v_cmpx_lt_u32_e32 3, v0
	s_cbranch_execz .LBB58_361
; %bb.360:
	s_clause 0x1
	buffer_load_dword v1, off, s[0:3], 0 offset:24
	buffer_load_dword v2, off, s[0:3], 0 offset:28
	v_mov_b32_e32 v3, 0
	buffer_store_dword v3, off, s[0:3], 0 offset:24
	buffer_store_dword v3, off, s[0:3], 0 offset:28
	s_waitcnt vmcnt(0)
	ds_write_b64 v131, v[1:2]
.LBB58_361:
	s_or_b32 exec_lo, exec_lo, s4
	s_waitcnt lgkmcnt(0)
	s_waitcnt_vscnt null, 0x0
	s_barrier
	buffer_gl0_inv
	s_clause 0x3c
	buffer_load_dword v2, off, s[0:3], 0 offset:36
	buffer_load_dword v3, off, s[0:3], 0 offset:44
	;; [unrolled: 1-line block ×61, first 2 shown]
	v_mov_b32_e32 v1, 0
	ds_read_b128 v[180:183], v1 offset:512
	ds_read_b128 v[184:187], v1 offset:528
	buffer_load_dword v178, off, s[0:3], 0 offset:28
	s_mov_b32 s4, exec_lo
	s_waitcnt vmcnt(61) lgkmcnt(1)
	v_mul_f32_e32 v191, v180, v2
	v_mul_f32_e32 v2, v181, v2
	s_waitcnt vmcnt(60)
	v_mul_f32_e32 v192, v182, v3
	v_mul_f32_e32 v3, v183, v3
	s_waitcnt vmcnt(59) lgkmcnt(0)
	v_mul_f32_e32 v193, v184, v4
	v_mul_f32_e32 v194, v185, v4
	s_waitcnt vmcnt(58)
	v_mul_f32_e32 v195, v186, v5
	v_mul_f32_e32 v196, v187, v5
	s_waitcnt vmcnt(55)
	v_fmac_f32_e32 v191, v181, v8
	v_fma_f32 v8, v180, v8, -v2
	v_fmac_f32_e32 v192, v183, v7
	v_fma_f32 v7, v182, v7, -v3
	ds_read_b128 v[2:5], v1 offset:544
	ds_read_b128 v[180:183], v1 offset:560
	v_fmac_f32_e32 v193, v185, v6
	v_fma_f32 v6, v184, v6, -v194
	s_waitcnt vmcnt(51)
	v_fma_f32 v184, v186, v162, -v196
	v_fmac_f32_e32 v195, v187, v162
	v_add_f32_e32 v8, 0, v8
	v_add_f32_e32 v7, v8, v7
	;; [unrolled: 1-line block ×3, first 2 shown]
	s_waitcnt vmcnt(50) lgkmcnt(1)
	v_mul_f32_e32 v185, v2, v159
	v_mul_f32_e32 v159, v3, v159
	s_waitcnt vmcnt(49)
	v_mul_f32_e32 v186, v4, v157
	v_mul_f32_e32 v157, v5, v157
	s_waitcnt vmcnt(48) lgkmcnt(0)
	v_mul_f32_e32 v187, v180, v154
	v_fmac_f32_e32 v185, v3, v141
	v_fma_f32 v141, v2, v141, -v159
	v_fmac_f32_e32 v186, v5, v137
	v_fma_f32 v157, v4, v137, -v157
	ds_read_b128 v[2:5], v1 offset:576
	v_mul_f32_e32 v154, v181, v154
	s_waitcnt vmcnt(47)
	v_mul_f32_e32 v194, v182, v152
	v_mul_f32_e32 v152, v183, v152
	v_fmac_f32_e32 v187, v181, v132
	v_fma_f32 v132, v180, v132, -v154
	s_waitcnt vmcnt(43)
	v_fmac_f32_e32 v194, v183, v167
	v_fma_f32 v159, v182, v167, -v152
	ds_read_b128 v[180:183], v1 offset:592
	s_waitcnt vmcnt(42) lgkmcnt(1)
	v_mul_f32_e32 v167, v2, v166
	v_mul_f32_e32 v137, v3, v166
	s_waitcnt vmcnt(41)
	v_mul_f32_e32 v166, v4, v165
	v_mul_f32_e32 v152, v5, v165
	v_fmac_f32_e32 v167, v3, v147
	v_fma_f32 v147, v2, v147, -v137
	v_fmac_f32_e32 v166, v5, v144
	v_fma_f32 v144, v4, v144, -v152
	ds_read_b128 v[2:5], v1 offset:608
	s_waitcnt vmcnt(40) lgkmcnt(1)
	v_mul_f32_e32 v165, v180, v163
	s_waitcnt vmcnt(39)
	v_mul_f32_e32 v196, v182, v161
	v_mul_f32_e32 v161, v183, v161
	;; [unrolled: 1-line block ×3, first 2 shown]
	v_fmac_f32_e32 v165, v181, v138
	s_waitcnt vmcnt(35)
	v_fmac_f32_e32 v196, v183, v164
	v_fma_f32 v181, v182, v164, -v161
	ds_read_b128 v[161:164], v1 offset:624
	v_fma_f32 v180, v180, v138, -v154
	s_waitcnt vmcnt(34) lgkmcnt(1)
	v_mul_f32_e32 v182, v2, v160
	v_mul_f32_e32 v137, v3, v160
	s_waitcnt vmcnt(33)
	v_mul_f32_e32 v160, v4, v158
	v_mul_f32_e32 v138, v5, v158
	v_fmac_f32_e32 v182, v3, v142
	v_fma_f32 v142, v2, v142, -v137
	v_fmac_f32_e32 v160, v5, v139
	v_fma_f32 v197, v4, v139, -v138
	ds_read_b128 v[2:5], v1 offset:640
	s_waitcnt vmcnt(32) lgkmcnt(1)
	v_mul_f32_e32 v158, v161, v155
	v_mul_f32_e32 v152, v162, v155
	s_waitcnt vmcnt(31)
	v_mul_f32_e32 v183, v163, v153
	v_mul_f32_e32 v153, v164, v153
	v_fmac_f32_e32 v158, v162, v133
	v_fma_f32 v133, v161, v133, -v152
	s_waitcnt vmcnt(27)
	v_fmac_f32_e32 v183, v164, v156
	v_fma_f32 v156, v163, v156, -v153
	ds_read_b128 v[152:155], v1 offset:656
	s_waitcnt vmcnt(26) lgkmcnt(1)
	v_mul_f32_e32 v161, v2, v151
	v_mul_f32_e32 v137, v3, v151
	s_waitcnt vmcnt(25)
	v_mul_f32_e32 v151, v4, v150
	v_mul_f32_e32 v138, v5, v150
	v_fmac_f32_e32 v161, v3, v136
	v_fma_f32 v162, v2, v136, -v137
	v_fmac_f32_e32 v151, v5, v134
	v_fma_f32 v134, v4, v134, -v138
	ds_read_b128 v[2:5], v1 offset:672
	s_waitcnt vmcnt(24) lgkmcnt(1)
	v_mul_f32_e32 v150, v152, v148
	v_mul_f32_e32 v139, v153, v148
	s_waitcnt vmcnt(23)
	v_mul_f32_e32 v148, v154, v146
	v_mul_f32_e32 v146, v155, v146
	v_fmac_f32_e32 v150, v153, v10
	v_fma_f32 v10, v152, v10, -v139
	ds_read_b128 v[136:139], v1 offset:688
	s_waitcnt vmcnt(19)
	v_fmac_f32_e32 v148, v155, v149
	v_fma_f32 v146, v154, v149, -v146
	buffer_load_dword v149, off, s[0:3], 0 offset:276
	s_waitcnt vmcnt(18) lgkmcnt(1)
	v_mul_f32_e32 v153, v4, v143
	v_mul_f32_e32 v143, v5, v143
	;; [unrolled: 1-line block ×4, first 2 shown]
	v_fmac_f32_e32 v153, v5, v11
	v_fma_f32 v11, v4, v11, -v143
	s_clause 0x4
	buffer_load_dword v143, off, s[0:3], 0 offset:284
	buffer_load_dword v155, off, s[0:3], 0 offset:304
	;; [unrolled: 1-line block ×5, first 2 shown]
	s_waitcnt vmcnt(22) lgkmcnt(0)
	v_mul_f32_e32 v154, v136, v140
	v_mul_f32_e32 v140, v137, v140
	v_fmac_f32_e32 v152, v3, v135
	v_fma_f32 v135, v2, v135, -v145
	s_waitcnt vmcnt(21)
	v_mul_f32_e32 v2, v139, v12
	v_mul_f32_e32 v145, v138, v12
	v_fmac_f32_e32 v154, v137, v9
	v_fma_f32 v12, v136, v9, -v140
	v_add_f32_e32 v9, 0, v191
	s_waitcnt vmcnt(17)
	v_fma_f32 v136, v138, v176, -v2
	ds_read_b128 v[2:5], v1 offset:704
	buffer_load_dword v137, off, s[0:3], 0 offset:292
	v_add_f32_e32 v138, v6, v184
	v_add_f32_e32 v8, v9, v192
	v_fmac_f32_e32 v145, v139, v176
	s_clause 0x2
	buffer_load_dword v140, off, s[0:3], 0 offset:300
	buffer_load_dword v176, off, s[0:3], 0 offset:308
	;; [unrolled: 1-line block ×3, first 2 shown]
	v_add_f32_e32 v138, v138, v141
	v_add_f32_e32 v7, v8, v193
	v_add_f32_e32 v138, v138, v157
	v_add_f32_e32 v139, v7, v195
	ds_read_b128 v[6:9], v1 offset:720
	buffer_load_dword v157, off, s[0:3], 0 offset:324
	v_add_f32_e32 v139, v139, v185
	s_waitcnt vmcnt(21) lgkmcnt(1)
	v_mul_f32_e32 v141, v2, v175
	v_mul_f32_e32 v175, v3, v175
	s_waitcnt vmcnt(20)
	v_mul_f32_e32 v185, v4, v174
	v_mul_f32_e32 v174, v5, v174
	v_fmac_f32_e32 v141, v3, v173
	v_fma_f32 v173, v2, v173, -v175
	v_add_f32_e32 v2, v139, v186
	v_fmac_f32_e32 v185, v5, v172
	v_fma_f32 v172, v4, v172, -v174
	s_clause 0x3
	buffer_load_dword v174, off, s[0:3], 0 offset:336
	buffer_load_dword v175, off, s[0:3], 0 offset:328
	;; [unrolled: 1-line block ×4, first 2 shown]
	v_add_f32_e32 v3, v138, v132
	v_add_f32_e32 v2, v2, v187
	s_waitcnt vmcnt(23) lgkmcnt(0)
	v_mul_f32_e32 v139, v6, v170
	v_add_f32_e32 v132, v3, v159
	s_clause 0x2
	buffer_load_dword v159, off, s[0:3], 0 offset:332
	buffer_load_dword v187, off, s[0:3], 0 offset:340
	;; [unrolled: 1-line block ×3, first 2 shown]
	v_add_f32_e32 v138, v2, v194
	ds_read_b128 v[2:5], v1 offset:736
	v_fmac_f32_e32 v139, v7, v168
	v_add_f32_e32 v132, v132, v147
	v_mul_f32_e32 v147, v7, v170
	v_add_f32_e32 v138, v138, v167
	s_waitcnt vmcnt(25)
	v_mul_f32_e32 v167, v8, v169
	v_mul_f32_e32 v169, v9, v169
	v_add_f32_e32 v7, v132, v144
	v_fma_f32 v144, v6, v168, -v147
	v_add_f32_e32 v6, v138, v166
	s_waitcnt vmcnt(21)
	v_fmac_f32_e32 v167, v9, v189
	v_fma_f32 v147, v8, v189, -v169
	v_add_f32_e32 v132, v7, v180
	s_clause 0x4
	buffer_load_dword v166, off, s[0:3], 0 offset:368
	buffer_load_dword v168, off, s[0:3], 0 offset:360
	;; [unrolled: 1-line block ×5, first 2 shown]
	v_add_f32_e32 v138, v6, v165
	ds_read_b128 v[6:9], v1 offset:752
	v_add_f32_e32 v132, v132, v181
	v_add_f32_e32 v138, v138, v196
	s_waitcnt vmcnt(25) lgkmcnt(1)
	v_mul_f32_e32 v181, v3, v190
	v_mul_f32_e32 v165, v2, v190
	v_add_f32_e32 v132, v132, v142
	s_clause 0x2
	buffer_load_dword v189, off, s[0:3], 0 offset:364
	buffer_load_dword v190, off, s[0:3], 0 offset:372
	buffer_load_dword v193, off, s[0:3], 0 offset:380
	v_fma_f32 v142, v2, v188, -v181
	v_add_f32_e32 v2, v138, v182
	v_fmac_f32_e32 v165, v3, v188
	v_add_f32_e32 v3, v132, v197
	s_waitcnt vmcnt(27)
	v_mul_f32_e32 v181, v4, v179
	s_clause 0x1
	buffer_load_dword v182, off, s[0:3], 0 offset:388
	buffer_load_dword v188, off, s[0:3], 0 offset:396
	v_add_f32_e32 v2, v2, v160
	v_mul_f32_e32 v132, v5, v179
	v_add_f32_e32 v3, v3, v133
	s_clause 0x2
	buffer_load_dword v160, off, s[0:3], 0 offset:404
	buffer_load_dword v179, off, s[0:3], 0 offset:412
	;; [unrolled: 1-line block ×3, first 2 shown]
	v_add_f32_e32 v2, v2, v158
	v_fmac_f32_e32 v181, v5, v177
	v_add_f32_e32 v3, v3, v156
	s_clause 0x2
	buffer_load_dword v156, off, s[0:3], 0 offset:428
	buffer_load_dword v158, off, s[0:3], 0 offset:436
	;; [unrolled: 1-line block ×3, first 2 shown]
	v_fma_f32 v177, v4, v177, -v132
	v_add_f32_e32 v2, v2, v183
	v_add_f32_e32 v3, v3, v162
	s_clause 0x2
	buffer_load_dword v162, off, s[0:3], 0 offset:452
	buffer_load_dword v183, off, s[0:3], 0 offset:460
	;; [unrolled: 1-line block ×3, first 2 shown]
	v_add_f32_e32 v2, v2, v161
	s_clause 0x7
	buffer_load_dword v161, off, s[0:3], 0 offset:400
	buffer_load_dword v197, off, s[0:3], 0 offset:392
	;; [unrolled: 1-line block ×8, first 2 shown]
	v_add_f32_e32 v3, v3, v134
	v_add_f32_e32 v2, v2, v151
	;; [unrolled: 1-line block ×8, first 2 shown]
	s_clause 0x3
	buffer_load_dword v152, off, s[0:3], 0 offset:464
	buffer_load_dword v205, off, s[0:3], 0 offset:456
	;; [unrolled: 1-line block ×4, first 2 shown]
	v_add_f32_e32 v3, v3, v11
	v_add_f32_e32 v2, v2, v153
	buffer_load_dword v153, off, s[0:3], 0 offset:24
	v_add_f32_e32 v3, v3, v12
	v_add_f32_e32 v2, v2, v154
	s_waitcnt vmcnt(49) lgkmcnt(0)
	v_mul_f32_e32 v10, v6, v149
	v_mul_f32_e32 v4, v7, v149
	v_fmac_f32_e32 v10, v7, v171
	v_fma_f32 v11, v6, v171, -v4
	v_add_f32_e32 v6, v3, v136
	v_add_f32_e32 v7, v2, v145
	ds_read_b128 v[2:5], v1 offset:768
	v_add_f32_e32 v12, v6, v173
	s_waitcnt vmcnt(48)
	v_mul_f32_e32 v145, v8, v143
	v_mul_f32_e32 v6, v9, v143
	v_add_f32_e32 v132, v7, v141
	v_add_f32_e32 v12, v12, v172
	s_waitcnt vmcnt(44)
	v_fmac_f32_e32 v145, v9, v198
	v_fma_f32 v146, v8, v198, -v6
	ds_read_b128 v[6:9], v1 offset:784
	v_add_f32_e32 v136, v132, v185
	v_add_f32_e32 v12, v12, v144
	ds_read_b128 v[132:135], v1 offset:800
	v_add_f32_e32 v136, v136, v139
	v_add_f32_e32 v12, v12, v147
	s_waitcnt vmcnt(43) lgkmcnt(2)
	v_mul_f32_e32 v148, v2, v137
	v_mul_f32_e32 v137, v3, v137
	v_fmac_f32_e32 v148, v3, v164
	v_fma_f32 v149, v2, v164, -v137
	v_add_f32_e32 v2, v136, v167
	v_add_f32_e32 v3, v12, v142
	ds_read_b128 v[136:139], v1 offset:816
	s_waitcnt vmcnt(42)
	v_mul_f32_e32 v12, v4, v140
	s_waitcnt vmcnt(41) lgkmcnt(2)
	v_mul_f32_e32 v141, v7, v176
	v_add_f32_e32 v2, v2, v165
	v_add_f32_e32 v3, v3, v177
	v_mul_f32_e32 v154, v6, v176
	v_mul_f32_e32 v140, v5, v140
	v_fma_f32 v151, v6, v155, -v141
	v_add_f32_e32 v2, v2, v181
	v_add_f32_e32 v6, v3, v11
	v_fmac_f32_e32 v154, v7, v155
	s_waitcnt vmcnt(39) lgkmcnt(1)
	v_mul_f32_e32 v165, v132, v157
	v_fma_f32 v150, v4, v163, -v140
	v_add_f32_e32 v7, v2, v10
	v_mul_f32_e32 v10, v133, v157
	v_add_f32_e32 v11, v6, v146
	v_fmac_f32_e32 v12, v5, v163
	v_mul_f32_e32 v144, v9, v184
	v_mul_f32_e32 v164, v8, v184
	s_waitcnt vmcnt(36)
	v_fma_f32 v157, v132, v186, -v10
	v_add_f32_e32 v10, v7, v145
	v_add_f32_e32 v11, v11, v149
	s_waitcnt vmcnt(35)
	v_fma_f32 v155, v8, v191, -v144
	ds_read_b128 v[2:5], v1 offset:832
	ds_read_b128 v[140:143], v1 offset:848
	v_fmac_f32_e32 v164, v9, v191
	v_add_f32_e32 v10, v10, v148
	v_add_f32_e32 v11, v11, v150
	s_waitcnt vmcnt(34)
	v_mul_f32_e32 v132, v135, v159
	v_fmac_f32_e32 v165, v133, v186
	v_mul_f32_e32 v163, v134, v159
	v_add_f32_e32 v10, v10, v12
	v_add_f32_e32 v12, v11, v151
	s_waitcnt vmcnt(33) lgkmcnt(2)
	v_mul_f32_e32 v133, v137, v187
	v_fma_f32 v172, v134, v175, -v132
	v_mul_f32_e32 v159, v136, v187
	v_add_f32_e32 v154, v10, v154
	v_add_f32_e32 v12, v12, v155
	v_fmac_f32_e32 v163, v135, v175
	s_waitcnt vmcnt(32)
	v_mul_f32_e32 v167, v138, v192
	v_mul_f32_e32 v171, v139, v192
	v_add_f32_e32 v154, v154, v164
	v_add_f32_e32 v12, v12, v157
	v_fma_f32 v173, v136, v174, -v133
	v_fmac_f32_e32 v159, v137, v174
	s_waitcnt vmcnt(28)
	v_fmac_f32_e32 v167, v139, v170
	v_add_f32_e32 v154, v154, v165
	v_add_f32_e32 v12, v12, v172
	v_fma_f32 v170, v138, v170, -v171
	s_waitcnt vmcnt(27) lgkmcnt(1)
	v_mul_f32_e32 v171, v3, v180
	ds_read_b128 v[6:9], v1 offset:864
	ds_read_b128 v[144:147], v1 offset:880
	v_add_f32_e32 v154, v154, v163
	v_add_f32_e32 v12, v12, v173
	v_mul_f32_e32 v155, v2, v180
	s_waitcnt vmcnt(26)
	v_mul_f32_e32 v174, v5, v189
	v_fma_f32 v2, v2, v169, -v171
	v_add_f32_e32 v154, v154, v159
	v_add_f32_e32 v12, v12, v170
	v_mul_f32_e32 v164, v4, v189
	v_fmac_f32_e32 v155, v3, v169
	s_waitcnt vmcnt(25) lgkmcnt(2)
	v_mul_f32_e32 v171, v141, v190
	v_add_f32_e32 v154, v154, v167
	v_fma_f32 v4, v4, v168, -v174
	v_add_f32_e32 v2, v12, v2
	v_mul_f32_e32 v157, v140, v190
	v_fmac_f32_e32 v164, v5, v168
	v_add_f32_e32 v12, v154, v155
	s_waitcnt vmcnt(24)
	v_mul_f32_e32 v167, v143, v193
	v_fma_f32 v140, v140, v166, -v171
	v_add_f32_e32 v2, v2, v4
	v_mul_f32_e32 v165, v142, v193
	v_fmac_f32_e32 v157, v141, v166
	v_add_f32_e32 v4, v12, v164
	s_waitcnt vmcnt(23) lgkmcnt(1)
	v_mul_f32_e32 v12, v7, v182
	v_add_f32_e32 v2, v2, v140
	ds_read_b128 v[132:135], v1 offset:896
	ds_read_b128 v[148:151], v1 offset:912
	s_waitcnt vmcnt(9)
	v_fma_f32 v141, v142, v200, -v167
	v_mul_f32_e32 v3, v6, v182
	v_fmac_f32_e32 v165, v143, v200
	v_add_f32_e32 v4, v4, v157
	v_mul_f32_e32 v140, v9, v188
	v_fma_f32 v6, v6, v199, -v12
	v_add_f32_e32 v2, v2, v141
	v_mul_f32_e32 v169, v8, v188
	v_fmac_f32_e32 v3, v7, v199
	v_add_f32_e32 v4, v4, v165
	s_waitcnt lgkmcnt(2)
	v_mul_f32_e32 v7, v145, v160
	v_fma_f32 v8, v8, v197, -v140
	v_add_f32_e32 v2, v2, v6
	v_mul_f32_e32 v163, v144, v160
	v_fmac_f32_e32 v169, v9, v197
	v_add_f32_e32 v3, v4, v3
	v_mul_f32_e32 v4, v147, v179
	v_fma_f32 v6, v144, v161, -v7
	v_add_f32_e32 v2, v2, v8
	v_mul_f32_e32 v5, v146, v179
	v_fmac_f32_e32 v163, v145, v161
	v_add_f32_e32 v3, v3, v169
	s_waitcnt lgkmcnt(1)
	v_mul_f32_e32 v7, v133, v194
	s_waitcnt vmcnt(5)
	v_fma_f32 v4, v146, v204, -v4
	v_add_f32_e32 v2, v2, v6
	ds_read_b128 v[136:139], v1 offset:928
	ds_read_b64 v[10:11], v1 offset:944
	v_mul_f32_e32 v168, v132, v194
	v_fmac_f32_e32 v5, v147, v204
	v_add_f32_e32 v3, v3, v163
	v_mul_f32_e32 v6, v135, v156
	v_fma_f32 v7, v132, v203, -v7
	v_add_f32_e32 v2, v2, v4
	v_mul_f32_e32 v159, v134, v156
	v_fmac_f32_e32 v168, v133, v203
	v_add_f32_e32 v3, v3, v5
	s_waitcnt lgkmcnt(2)
	v_mul_f32_e32 v4, v149, v158
	v_fma_f32 v5, v134, v202, -v6
	v_add_f32_e32 v2, v2, v7
	v_mul_f32_e32 v172, v148, v158
	v_fmac_f32_e32 v159, v135, v202
	v_add_f32_e32 v3, v3, v168
	v_mul_f32_e32 v6, v151, v195
	v_fma_f32 v4, v148, v201, -v4
	v_add_f32_e32 v2, v2, v5
	v_mul_f32_e32 v173, v150, v195
	v_fmac_f32_e32 v172, v149, v201
	v_add_f32_e32 v3, v3, v159
	s_waitcnt lgkmcnt(1)
	v_mul_f32_e32 v5, v137, v162
	s_waitcnt vmcnt(1)
	v_fma_f32 v6, v150, v207, -v6
	v_add_f32_e32 v2, v2, v4
	v_mul_f32_e32 v170, v136, v162
	v_fmac_f32_e32 v173, v151, v207
	v_add_f32_e32 v3, v3, v172
	v_mul_f32_e32 v4, v139, v183
	v_fma_f32 v5, v136, v206, -v5
	v_add_f32_e32 v2, v2, v6
	v_mul_f32_e32 v174, v138, v183
	v_fmac_f32_e32 v170, v137, v206
	v_add_f32_e32 v3, v3, v173
	s_waitcnt lgkmcnt(0)
	v_mul_f32_e32 v6, v11, v196
	v_fma_f32 v4, v138, v205, -v4
	v_add_f32_e32 v2, v2, v5
	v_mul_f32_e32 v154, v10, v196
	v_fmac_f32_e32 v174, v139, v205
	v_add_f32_e32 v3, v3, v170
	v_fma_f32 v5, v10, v152, -v6
	v_add_f32_e32 v2, v2, v4
	v_fmac_f32_e32 v154, v11, v152
	v_add_f32_e32 v3, v3, v174
	v_add_f32_e32 v2, v2, v5
	v_add_f32_e32 v3, v3, v154
	s_waitcnt vmcnt(0)
	v_sub_f32_e32 v2, v153, v2
	v_sub_f32_e32 v3, v178, v3
	buffer_store_dword v2, off, s[0:3], 0 offset:24
	buffer_store_dword v3, off, s[0:3], 0 offset:28
	v_cmpx_lt_u32_e32 2, v0
	s_cbranch_execz .LBB58_363
; %bb.362:
	s_clause 0x1
	buffer_load_dword v2, off, s[0:3], 0 offset:16
	buffer_load_dword v3, off, s[0:3], 0 offset:20
	buffer_store_dword v1, off, s[0:3], 0 offset:16
	buffer_store_dword v1, off, s[0:3], 0 offset:20
	s_waitcnt vmcnt(0)
	ds_write_b64 v131, v[2:3]
.LBB58_363:
	s_or_b32 exec_lo, exec_lo, s4
	s_waitcnt lgkmcnt(0)
	s_waitcnt_vscnt null, 0x0
	s_barrier
	buffer_gl0_inv
	s_clause 0x34
	buffer_load_dword v167, off, s[0:3], 0 offset:28
	buffer_load_dword v168, off, s[0:3], 0 offset:36
	;; [unrolled: 1-line block ×53, first 2 shown]
	ds_read2_b64 v[175:178], v1 offset0:63 offset1:64
	ds_read2_b64 v[179:182], v1 offset0:65 offset1:66
	;; [unrolled: 1-line block ×4, first 2 shown]
	s_mov_b32 s4, exec_lo
	s_waitcnt vmcnt(52) lgkmcnt(3)
	v_mul_f32_e32 v170, v175, v167
	v_mul_f32_e32 v191, v176, v167
	s_waitcnt vmcnt(51)
	v_mul_f32_e32 v167, v177, v168
	v_mul_f32_e32 v192, v178, v168
	buffer_load_dword v168, off, s[0:3], 0 offset:20
	s_waitcnt vmcnt(49)
	v_fmac_f32_e32 v170, v176, v6
	v_fma_f32 v191, v175, v6, -v191
	v_fmac_f32_e32 v167, v178, v5
	v_fma_f32 v192, v177, v5, -v192
	ds_read2_b64 v[175:178], v1 offset0:71 offset1:72
	s_waitcnt vmcnt(48) lgkmcnt(3)
	v_mul_f32_e32 v193, v179, v4
	v_mul_f32_e32 v4, v180, v4
	s_waitcnt vmcnt(47)
	v_mul_f32_e32 v194, v181, v3
	v_mul_f32_e32 v3, v182, v3
	s_waitcnt vmcnt(46) lgkmcnt(2)
	v_mul_f32_e32 v195, v183, v8
	v_fmac_f32_e32 v193, v180, v2
	v_fma_f32 v197, v179, v2, -v4
	s_waitcnt vmcnt(41)
	v_fmac_f32_e32 v194, v182, v133
	v_fma_f32 v133, v181, v133, -v3
	ds_read2_b64 v[2:5], v1 offset0:73 offset1:74
	ds_read2_b64 v[179:182], v1 offset0:75 offset1:76
	v_mul_f32_e32 v6, v184, v8
	v_mul_f32_e32 v196, v185, v7
	;; [unrolled: 1-line block ×3, first 2 shown]
	v_fmac_f32_e32 v195, v184, v132
	v_fma_f32 v132, v183, v132, -v6
	v_fmac_f32_e32 v196, v186, v11
	v_fma_f32 v11, v185, v11, -v7
	s_waitcnt vmcnt(40) lgkmcnt(3)
	v_mul_f32_e32 v183, v187, v12
	v_mul_f32_e32 v6, v188, v12
	s_waitcnt vmcnt(39)
	v_mul_f32_e32 v12, v189, v10
	v_mul_f32_e32 v7, v190, v10
	s_waitcnt vmcnt(34) lgkmcnt(2)
	v_mul_f32_e32 v185, v175, v164
	v_fmac_f32_e32 v183, v188, v9
	v_fma_f32 v184, v187, v9, -v6
	v_fmac_f32_e32 v12, v190, v165
	v_fma_f32 v165, v189, v165, -v7
	ds_read2_b64 v[6:9], v1 offset0:77 offset1:78
	v_mul_f32_e32 v164, v176, v164
	s_waitcnt vmcnt(33)
	v_mul_f32_e32 v186, v177, v163
	v_mul_f32_e32 v163, v178, v163
	s_waitcnt vmcnt(32) lgkmcnt(2)
	v_mul_f32_e32 v187, v2, v162
	v_mul_f32_e32 v162, v3, v162
	v_fmac_f32_e32 v185, v176, v157
	v_fma_f32 v164, v175, v157, -v164
	s_waitcnt vmcnt(31)
	v_mul_f32_e32 v175, v4, v161
	v_mul_f32_e32 v157, v5, v161
	v_fmac_f32_e32 v186, v178, v153
	v_fma_f32 v153, v177, v153, -v163
	s_waitcnt vmcnt(30) lgkmcnt(1)
	v_mul_f32_e32 v161, v179, v158
	v_mul_f32_e32 v163, v180, v158
	s_waitcnt vmcnt(29)
	v_mul_f32_e32 v176, v181, v159
	v_mul_f32_e32 v177, v182, v159
	buffer_load_dword v10, off, s[0:3], 0 offset:236
	v_fmac_f32_e32 v187, v3, v143
	v_fma_f32 v143, v2, v143, -v162
	s_waitcnt vmcnt(26)
	v_fmac_f32_e32 v175, v5, v160
	v_fma_f32 v162, v4, v160, -v157
	ds_read2_b64 v[2:5], v1 offset0:79 offset1:80
	ds_read2_b64 v[157:160], v1 offset0:81 offset1:82
	v_fmac_f32_e32 v161, v180, v156
	v_fma_f32 v156, v179, v156, -v163
	v_fmac_f32_e32 v176, v182, v154
	v_fma_f32 v154, v181, v154, -v177
	s_clause 0x4
	buffer_load_dword v163, off, s[0:3], 0 offset:244
	buffer_load_dword v177, off, s[0:3], 0 offset:264
	;; [unrolled: 1-line block ×5, first 2 shown]
	s_waitcnt vmcnt(30) lgkmcnt(2)
	v_mul_f32_e32 v181, v6, v149
	v_mul_f32_e32 v149, v7, v149
	s_waitcnt vmcnt(29)
	v_mul_f32_e32 v182, v8, v147
	v_mul_f32_e32 v147, v9, v147
	v_fmac_f32_e32 v181, v7, v139
	v_fma_f32 v139, v6, v139, -v149
	s_waitcnt vmcnt(25)
	v_fmac_f32_e32 v182, v9, v155
	v_fma_f32 v147, v8, v155, -v147
	ds_read2_b64 v[6:9], v1 offset0:83 offset1:84
	s_waitcnt vmcnt(24) lgkmcnt(2)
	v_mul_f32_e32 v149, v2, v152
	v_mul_f32_e32 v152, v3, v152
	s_waitcnt vmcnt(23)
	v_mul_f32_e32 v155, v4, v151
	v_mul_f32_e32 v151, v5, v151
	v_fmac_f32_e32 v149, v3, v144
	v_fma_f32 v144, v2, v144, -v152
	s_waitcnt vmcnt(22) lgkmcnt(1)
	v_mul_f32_e32 v152, v157, v148
	v_mul_f32_e32 v2, v158, v148
	v_fmac_f32_e32 v155, v5, v140
	v_fma_f32 v140, v4, v140, -v151
	s_waitcnt vmcnt(21)
	v_mul_f32_e32 v148, v159, v142
	v_mul_f32_e32 v3, v160, v142
	s_clause 0x1
	buffer_load_dword v142, off, s[0:3], 0 offset:252
	buffer_load_dword v151, off, s[0:3], 0 offset:260
	v_fmac_f32_e32 v152, v158, v135
	v_fma_f32 v135, v157, v135, -v2
	s_waitcnt vmcnt(19)
	v_fmac_f32_e32 v148, v160, v150
	v_fma_f32 v150, v159, v150, -v3
	ds_read2_b64 v[2:5], v1 offset0:85 offset1:86
	s_waitcnt vmcnt(18) lgkmcnt(1)
	v_mul_f32_e32 v157, v6, v146
	v_mul_f32_e32 v146, v7, v146
	s_waitcnt vmcnt(17)
	v_mul_f32_e32 v158, v8, v145
	v_mul_f32_e32 v145, v9, v145
	v_fmac_f32_e32 v157, v7, v141
	v_fma_f32 v141, v6, v141, -v146
	v_fmac_f32_e32 v158, v9, v136
	v_fma_f32 v136, v8, v136, -v145
	ds_read2_b64 v[6:9], v1 offset0:87 offset1:88
	buffer_load_dword v145, off, s[0:3], 0 offset:268
	s_waitcnt vmcnt(16) lgkmcnt(1)
	v_mul_f32_e32 v159, v4, v137
	v_mul_f32_e32 v137, v5, v137
	v_mul_f32_e32 v146, v2, v138
	v_mul_f32_e32 v138, v3, v138
	s_waitcnt vmcnt(12)
	v_fmac_f32_e32 v159, v5, v174
	v_fma_f32 v137, v4, v174, -v137
	buffer_load_dword v174, off, s[0:3], 0 offset:276
	v_fmac_f32_e32 v146, v3, v134
	v_fma_f32 v134, v2, v134, -v138
	s_waitcnt vmcnt(12) lgkmcnt(0)
	v_mul_f32_e32 v138, v6, v173
	v_mul_f32_e32 v160, v7, v173
	s_waitcnt vmcnt(11)
	v_mul_f32_e32 v173, v8, v172
	v_mul_f32_e32 v172, v9, v172
	ds_read2_b64 v[2:5], v1 offset0:89 offset1:90
	v_fmac_f32_e32 v138, v7, v171
	v_fma_f32 v160, v6, v171, -v160
	v_fmac_f32_e32 v173, v9, v169
	v_fma_f32 v169, v8, v169, -v172
	s_clause 0x4
	buffer_load_dword v171, off, s[0:3], 0 offset:296
	buffer_load_dword v172, off, s[0:3], 0 offset:288
	;; [unrolled: 1-line block ×5, first 2 shown]
	v_add_f32_e32 v6, 0, v191
	v_add_f32_e32 v7, 0, v170
	buffer_load_dword v191, off, s[0:3], 0 offset:292
	v_add_f32_e32 v6, v6, v192
	v_add_f32_e32 v7, v7, v167
	s_clause 0x1
	buffer_load_dword v167, off, s[0:3], 0 offset:300
	buffer_load_dword v170, off, s[0:3], 0 offset:308
	v_add_f32_e32 v6, v6, v197
	v_add_f32_e32 v7, v7, v193
	;; [unrolled: 1-line block ×4, first 2 shown]
	s_clause 0x3
	buffer_load_dword v192, off, s[0:3], 0 offset:328
	buffer_load_dword v193, off, s[0:3], 0 offset:320
	;; [unrolled: 1-line block ×4, first 2 shown]
	v_add_f32_e32 v6, v6, v132
	v_add_f32_e32 v7, v7, v195
	;; [unrolled: 1-line block ×4, first 2 shown]
	s_clause 0x3
	buffer_load_dword v11, off, s[0:3], 0 offset:316
	buffer_load_dword v195, off, s[0:3], 0 offset:324
	;; [unrolled: 1-line block ×4, first 2 shown]
	v_add_f32_e32 v6, v6, v184
	v_add_f32_e32 v7, v7, v183
	;; [unrolled: 1-line block ×14, first 2 shown]
	s_waitcnt vmcnt(25) lgkmcnt(0)
	v_mul_f32_e32 v132, v2, v10
	v_mul_f32_e32 v8, v3, v10
	v_fmac_f32_e32 v132, v3, v166
	s_waitcnt vmcnt(24)
	v_mul_f32_e32 v10, v4, v163
	v_mul_f32_e32 v9, v5, v163
	v_fma_f32 v133, v2, v166, -v8
	s_waitcnt vmcnt(20)
	v_fmac_f32_e32 v10, v5, v180
	v_fma_f32 v12, v4, v180, -v9
	ds_read2_b64 v[2:5], v1 offset0:91 offset1:92
	s_clause 0x6
	buffer_load_dword v163, off, s[0:3], 0 offset:360
	buffer_load_dword v164, off, s[0:3], 0 offset:352
	;; [unrolled: 1-line block ×7, first 2 shown]
	ds_read2_b64 v[6:9], v1 offset0:93 offset1:94
	s_waitcnt vmcnt(26) lgkmcnt(1)
	v_mul_f32_e32 v175, v2, v142
	v_mul_f32_e32 v142, v3, v142
	s_waitcnt vmcnt(25)
	v_mul_f32_e32 v162, v4, v151
	v_mul_f32_e32 v151, v5, v151
	v_fmac_f32_e32 v175, v3, v179
	v_add_f32_e32 v3, v143, v176
	v_fma_f32 v142, v2, v179, -v142
	v_add_f32_e32 v2, v156, v154
	v_fma_f32 v143, v4, v178, -v151
	s_clause 0x3
	buffer_load_dword v154, off, s[0:3], 0 offset:372
	buffer_load_dword v156, off, s[0:3], 0 offset:380
	;; [unrolled: 1-line block ×4, first 2 shown]
	v_add_f32_e32 v3, v3, v181
	v_fmac_f32_e32 v162, v5, v178
	v_add_f32_e32 v2, v2, v139
	s_clause 0x3
	buffer_load_dword v178, off, s[0:3], 0 offset:404
	buffer_load_dword v179, off, s[0:3], 0 offset:412
	;; [unrolled: 1-line block ×4, first 2 shown]
	v_add_f32_e32 v3, v3, v182
	s_waitcnt vmcnt(32) lgkmcnt(0)
	v_mul_f32_e32 v4, v7, v145
	v_add_f32_e32 v2, v2, v147
	v_mul_f32_e32 v147, v6, v145
	s_clause 0x3
	buffer_load_dword v182, off, s[0:3], 0 offset:436
	buffer_load_dword v185, off, s[0:3], 0 offset:444
	;; [unrolled: 1-line block ×4, first 2 shown]
	v_add_f32_e32 v3, v3, v149
	buffer_load_dword v199, off, s[0:3], 0 offset:468
	v_add_f32_e32 v2, v2, v144
	v_fmac_f32_e32 v147, v7, v177
	v_fma_f32 v144, v6, v177, -v4
	v_add_f32_e32 v6, v3, v155
	s_clause 0x3
	buffer_load_dword v155, off, s[0:3], 0 offset:392
	buffer_load_dword v177, off, s[0:3], 0 offset:384
	;; [unrolled: 1-line block ×4, first 2 shown]
	v_add_f32_e32 v2, v2, v140
	v_add_f32_e32 v6, v6, v152
	;; [unrolled: 1-line block ×3, first 2 shown]
	s_waitcnt vmcnt(40)
	v_mul_f32_e32 v2, v9, v174
	v_mul_f32_e32 v140, v8, v174
	v_add_f32_e32 v6, v6, v148
	v_add_f32_e32 v7, v7, v150
	;; [unrolled: 1-line block ×4, first 2 shown]
	s_waitcnt vmcnt(36)
	v_fma_f32 v145, v8, v189, -v2
	ds_read2_b64 v[2:5], v1 offset0:95 offset1:96
	v_fmac_f32_e32 v140, v9, v189
	s_clause 0x3
	buffer_load_dword v152, off, s[0:3], 0 offset:424
	buffer_load_dword v174, off, s[0:3], 0 offset:416
	;; [unrolled: 1-line block ×4, first 2 shown]
	v_add_f32_e32 v135, v7, v136
	v_add_f32_e32 v136, v6, v158
	ds_read2_b64 v[6:9], v1 offset0:97 offset1:98
	v_add_f32_e32 v134, v135, v134
	v_add_f32_e32 v136, v136, v146
	s_waitcnt vmcnt(39) lgkmcnt(1)
	v_mul_f32_e32 v148, v2, v190
	v_mul_f32_e32 v135, v3, v190
	s_waitcnt vmcnt(38)
	v_mul_f32_e32 v149, v4, v191
	v_fmac_f32_e32 v148, v3, v188
	v_fma_f32 v146, v2, v188, -v135
	v_add_f32_e32 v3, v136, v159
	s_clause 0x3
	buffer_load_dword v157, off, s[0:3], 0 offset:456
	buffer_load_dword v158, off, s[0:3], 0 offset:448
	;; [unrolled: 1-line block ×4, first 2 shown]
	v_add_f32_e32 v2, v134, v137
	buffer_load_dword v190, off, s[0:3], 0 offset:16
	v_mul_f32_e32 v134, v5, v191
	v_add_f32_e32 v3, v3, v138
	v_fmac_f32_e32 v149, v5, v172
	v_add_f32_e32 v2, v2, v160
	buffer_load_dword v160, off, s[0:3], 0 offset:464
	v_fma_f32 v150, v4, v172, -v134
	v_add_f32_e32 v135, v3, v173
	s_waitcnt vmcnt(43) lgkmcnt(0)
	v_mul_f32_e32 v151, v6, v167
	v_add_f32_e32 v2, v2, v169
	v_add_f32_e32 v137, v135, v132
	v_fmac_f32_e32 v151, v7, v171
	v_add_f32_e32 v136, v2, v133
	ds_read2_b64 v[2:5], v1 offset0:99 offset1:100
	ds_read2_b64 v[132:135], v1 offset0:101 offset1:102
	v_add_f32_e32 v10, v137, v10
	s_waitcnt vmcnt(42)
	v_mul_f32_e32 v137, v9, v170
	v_add_f32_e32 v12, v136, v12
	v_mul_f32_e32 v136, v7, v167
	v_mul_f32_e32 v167, v8, v170
	v_add_f32_e32 v10, v10, v175
	s_waitcnt vmcnt(38)
	v_fma_f32 v170, v8, v197, -v137
	v_add_f32_e32 v12, v12, v142
	v_fma_f32 v169, v6, v171, -v136
	v_fmac_f32_e32 v167, v9, v197
	ds_read2_b64 v[6:9], v1 offset0:103 offset1:104
	ds_read2_b64 v[136:139], v1 offset0:105 offset1:106
	v_add_f32_e32 v10, v10, v162
	v_add_f32_e32 v12, v12, v143
	v_add_f32_e32 v10, v10, v147
	v_add_f32_e32 v12, v12, v144
	s_waitcnt vmcnt(36) lgkmcnt(3)
	v_mul_f32_e32 v162, v4, v195
	s_waitcnt vmcnt(35) lgkmcnt(2)
	v_mul_f32_e32 v172, v132, v198
	v_mul_f32_e32 v144, v133, v198
	v_add_f32_e32 v10, v10, v140
	v_add_f32_e32 v12, v12, v145
	v_mul_f32_e32 v141, v5, v195
	v_fmac_f32_e32 v172, v133, v192
	v_fma_f32 v191, v132, v192, -v144
	v_add_f32_e32 v10, v10, v148
	v_add_f32_e32 v12, v12, v146
	v_mul_f32_e32 v171, v2, v11
	v_mul_f32_e32 v11, v3, v11
	v_fmac_f32_e32 v162, v5, v193
	v_add_f32_e32 v10, v10, v149
	v_add_f32_e32 v12, v12, v150
	v_fma_f32 v175, v4, v193, -v141
	v_fma_f32 v11, v2, v194, -v11
	v_fmac_f32_e32 v171, v3, v194
	v_add_f32_e32 v10, v10, v151
	s_waitcnt vmcnt(34)
	v_mul_f32_e32 v173, v134, v196
	v_mul_f32_e32 v145, v135, v196
	ds_read2_b64 v[2:5], v1 offset0:107 offset1:108
	ds_read2_b64 v[140:143], v1 offset0:109 offset1:110
	v_add_f32_e32 v10, v10, v167
	v_add_f32_e32 v10, v10, v171
	v_add_f32_e32 v10, v10, v162
	v_add_f32_e32 v10, v10, v172
	s_waitcnt vmcnt(29) lgkmcnt(3)
	v_mul_f32_e32 v192, v6, v153
	s_waitcnt vmcnt(28)
	v_mul_f32_e32 v193, v8, v180
	v_mul_f32_e32 v148, v7, v153
	;; [unrolled: 1-line block ×3, first 2 shown]
	v_fmac_f32_e32 v173, v135, v166
	v_fmac_f32_e32 v192, v7, v165
	v_add_f32_e32 v7, v12, v169
	v_fmac_f32_e32 v193, v9, v164
	v_fma_f32 v153, v8, v164, -v149
	v_fma_f32 v166, v134, v166, -v145
	;; [unrolled: 1-line block ×3, first 2 shown]
	v_add_f32_e32 v164, v7, v170
	v_add_f32_e32 v10, v10, v173
	ds_read2_b64 v[132:135], v1 offset0:111 offset1:112
	ds_read2_b64 v[144:147], v1 offset0:113 offset1:114
	;; [unrolled: 1-line block ×4, first 2 shown]
	s_waitcnt vmcnt(27) lgkmcnt(6)
	v_mul_f32_e32 v1, v136, v183
	v_add_f32_e32 v11, v164, v11
	v_mul_f32_e32 v164, v137, v183
	v_add_f32_e32 v10, v10, v192
	v_fmac_f32_e32 v1, v137, v163
	v_add_f32_e32 v11, v11, v175
	v_fma_f32 v136, v136, v163, -v164
	v_add_f32_e32 v10, v10, v193
	v_add_f32_e32 v11, v11, v191
	;; [unrolled: 1-line block ×3, first 2 shown]
	s_waitcnt vmcnt(26)
	v_mul_f32_e32 v165, v138, v154
	v_add_f32_e32 v11, v11, v166
	v_mul_f32_e32 v154, v139, v154
	s_waitcnt vmcnt(25) lgkmcnt(5)
	v_mul_f32_e32 v167, v2, v156
	s_waitcnt vmcnt(24)
	v_mul_f32_e32 v10, v5, v161
	v_mul_f32_e32 v162, v4, v161
	v_add_f32_e32 v11, v11, v12
	s_waitcnt vmcnt(23) lgkmcnt(4)
	v_mul_f32_e32 v169, v140, v176
	s_waitcnt vmcnt(22)
	v_mul_f32_e32 v170, v142, v178
	s_waitcnt vmcnt(21) lgkmcnt(3)
	v_mul_f32_e32 v171, v132, v179
	s_waitcnt vmcnt(20)
	v_mul_f32_e32 v172, v134, v181
	v_add_f32_e32 v11, v11, v153
	v_mul_f32_e32 v153, v3, v156
	s_waitcnt vmcnt(19) lgkmcnt(2)
	v_mul_f32_e32 v166, v144, v184
	s_waitcnt vmcnt(18)
	v_mul_f32_e32 v173, v146, v182
	s_waitcnt vmcnt(17) lgkmcnt(1)
	v_mul_f32_e32 v175, v6, v185
	v_add_f32_e32 v11, v11, v136
	s_waitcnt vmcnt(13)
	v_fmac_f32_e32 v169, v141, v155
	s_waitcnt vmcnt(12)
	v_fma_f32 v4, v4, v177, -v10
	s_waitcnt vmcnt(11)
	v_fmac_f32_e32 v167, v3, v200
	s_waitcnt vmcnt(10)
	v_fma_f32 v138, v138, v201, -v154
	v_fmac_f32_e32 v165, v139, v201
	v_fma_f32 v2, v2, v200, -v153
	v_fmac_f32_e32 v162, v5, v177
	v_mul_f32_e32 v12, v8, v186
	v_add_f32_e32 v3, v11, v138
	v_add_f32_e32 v1, v1, v165
	v_mul_f32_e32 v11, v141, v176
	s_waitcnt lgkmcnt(0)
	v_mul_f32_e32 v180, v148, v187
	v_mul_f32_e32 v137, v150, v199
	v_add_f32_e32 v2, v3, v2
	v_add_f32_e32 v1, v1, v167
	v_mul_f32_e32 v3, v143, v178
	v_fma_f32 v5, v140, v155, -v11
	v_add_f32_e32 v2, v2, v4
	v_add_f32_e32 v1, v1, v162
	v_mul_f32_e32 v4, v133, v179
	s_waitcnt vmcnt(8)
	v_fmac_f32_e32 v172, v135, v174
	s_waitcnt vmcnt(7)
	v_fmac_f32_e32 v171, v133, v189
	s_waitcnt vmcnt(6)
	v_fma_f32 v3, v142, v202, -v3
	v_add_f32_e32 v2, v2, v5
	v_fmac_f32_e32 v170, v143, v202
	v_add_f32_e32 v1, v1, v169
	v_mul_f32_e32 v5, v135, v181
	v_fma_f32 v4, v132, v189, -v4
	v_add_f32_e32 v2, v2, v3
	v_mul_f32_e32 v3, v145, v184
	v_add_f32_e32 v1, v1, v170
	v_fma_f32 v5, v134, v174, -v5
	v_fmac_f32_e32 v166, v145, v152
	v_add_f32_e32 v2, v2, v4
	v_mul_f32_e32 v4, v147, v182
	v_add_f32_e32 v1, v1, v171
	v_fma_f32 v3, v144, v152, -v3
	v_add_f32_e32 v2, v2, v5
	v_mul_f32_e32 v5, v7, v185
	v_add_f32_e32 v1, v1, v172
	v_add_f32_e32 v2, v2, v3
	v_mul_f32_e32 v3, v9, v186
	v_add_f32_e32 v1, v1, v166
	s_waitcnt vmcnt(4)
	v_fmac_f32_e32 v12, v9, v158
	s_waitcnt vmcnt(3)
	v_fma_f32 v5, v6, v159, -v5
	s_waitcnt vmcnt(2)
	v_fma_f32 v4, v146, v188, -v4
	v_fmac_f32_e32 v173, v147, v188
	v_fmac_f32_e32 v175, v7, v159
	v_fma_f32 v3, v8, v158, -v3
	v_fmac_f32_e32 v180, v149, v157
	v_add_f32_e32 v2, v2, v4
	v_add_f32_e32 v1, v1, v173
	v_mul_f32_e32 v4, v149, v187
	s_waitcnt vmcnt(0)
	v_fmac_f32_e32 v137, v151, v160
	v_add_f32_e32 v2, v2, v5
	v_add_f32_e32 v1, v1, v175
	v_mul_f32_e32 v5, v151, v199
	v_fma_f32 v4, v148, v157, -v4
	v_add_f32_e32 v2, v2, v3
	v_add_f32_e32 v1, v1, v12
	v_fma_f32 v3, v150, v160, -v5
	v_add_f32_e32 v2, v2, v4
	v_add_f32_e32 v1, v1, v180
	;; [unrolled: 1-line block ×4, first 2 shown]
	v_sub_f32_e32 v2, v190, v2
	v_sub_f32_e32 v1, v168, v1
	buffer_store_dword v2, off, s[0:3], 0 offset:16
	buffer_store_dword v1, off, s[0:3], 0 offset:20
	v_cmpx_lt_u32_e32 1, v0
	s_cbranch_execz .LBB58_365
; %bb.364:
	s_clause 0x1
	buffer_load_dword v1, off, s[0:3], 0 offset:8
	buffer_load_dword v2, off, s[0:3], 0 offset:12
	v_mov_b32_e32 v3, 0
	buffer_store_dword v3, off, s[0:3], 0 offset:8
	buffer_store_dword v3, off, s[0:3], 0 offset:12
	s_waitcnt vmcnt(0)
	ds_write_b64 v131, v[1:2]
.LBB58_365:
	s_or_b32 exec_lo, exec_lo, s4
	s_waitcnt lgkmcnt(0)
	s_waitcnt_vscnt null, 0x0
	s_barrier
	buffer_gl0_inv
	s_clause 0x34
	buffer_load_dword v2, off, s[0:3], 0 offset:20
	buffer_load_dword v3, off, s[0:3], 0 offset:28
	;; [unrolled: 1-line block ×53, first 2 shown]
	v_mov_b32_e32 v1, 0
	ds_read_b128 v[175:178], v1 offset:496
	ds_read_b128 v[179:182], v1 offset:512
	;; [unrolled: 1-line block ×4, first 2 shown]
	buffer_load_dword v174, off, s[0:3], 0 offset:12
	s_mov_b32 s4, exec_lo
	s_waitcnt vmcnt(53) lgkmcnt(3)
	v_mul_f32_e32 v191, v175, v2
	v_mul_f32_e32 v2, v176, v2
	s_waitcnt vmcnt(52)
	v_mul_f32_e32 v192, v177, v3
	v_mul_f32_e32 v3, v178, v3
	s_waitcnt vmcnt(49)
	v_fmac_f32_e32 v191, v176, v8
	v_fma_f32 v193, v175, v8, -v2
	v_fmac_f32_e32 v192, v178, v7
	v_fma_f32 v194, v177, v7, -v3
	ds_read_b128 v[175:178], v1 offset:560
	s_waitcnt vmcnt(48) lgkmcnt(3)
	v_mul_f32_e32 v195, v179, v6
	v_mul_f32_e32 v2, v180, v6
	s_waitcnt vmcnt(47)
	v_mul_f32_e32 v3, v182, v5
	v_mul_f32_e32 v196, v181, v5
	s_waitcnt vmcnt(46) lgkmcnt(2)
	v_mul_f32_e32 v6, v184, v10
	s_waitcnt vmcnt(45)
	v_mul_f32_e32 v7, v186, v9
	v_fmac_f32_e32 v195, v180, v4
	v_fma_f32 v179, v179, v4, -v2
	s_waitcnt vmcnt(41)
	v_fma_f32 v180, v181, v135, -v3
	ds_read_b128 v[2:5], v1 offset:576
	v_mul_f32_e32 v197, v183, v10
	v_mul_f32_e32 v10, v185, v9
	v_fmac_f32_e32 v196, v182, v135
	v_fma_f32 v181, v183, v134, -v6
	v_fma_f32 v182, v185, v132, -v7
	ds_read_b128 v[6:9], v1 offset:592
	v_fmac_f32_e32 v10, v186, v132
	s_waitcnt vmcnt(40) lgkmcnt(3)
	v_mul_f32_e32 v183, v187, v133
	v_mul_f32_e32 v132, v188, v133
	v_fmac_f32_e32 v197, v184, v134
	s_waitcnt vmcnt(39)
	v_mul_f32_e32 v184, v189, v12
	v_mul_f32_e32 v12, v190, v12
	v_fmac_f32_e32 v183, v188, v11
	v_fma_f32 v11, v187, v11, -v132
	ds_read_b128 v[132:135], v1 offset:608
	s_waitcnt vmcnt(35)
	v_fmac_f32_e32 v184, v190, v167
	v_fma_f32 v12, v189, v167, -v12
	s_waitcnt vmcnt(34) lgkmcnt(3)
	v_mul_f32_e32 v167, v175, v166
	v_mul_f32_e32 v166, v176, v166
	s_waitcnt vmcnt(33)
	v_mul_f32_e32 v186, v177, v165
	v_mul_f32_e32 v165, v178, v165
	s_waitcnt vmcnt(32) lgkmcnt(2)
	v_mul_f32_e32 v187, v2, v164
	v_mul_f32_e32 v164, v3, v164
	v_fmac_f32_e32 v167, v176, v159
	v_fma_f32 v166, v175, v159, -v166
	s_waitcnt vmcnt(31)
	v_mul_f32_e32 v175, v4, v163
	v_mul_f32_e32 v159, v5, v163
	v_fmac_f32_e32 v186, v178, v155
	v_fma_f32 v155, v177, v155, -v165
	s_waitcnt vmcnt(30) lgkmcnt(1)
	v_mul_f32_e32 v163, v6, v160
	v_mul_f32_e32 v165, v7, v160
	s_waitcnt vmcnt(29)
	v_mul_f32_e32 v176, v8, v161
	v_mul_f32_e32 v177, v9, v161
	buffer_load_dword v185, off, s[0:3], 0 offset:228
	v_fmac_f32_e32 v187, v3, v145
	v_fma_f32 v145, v2, v145, -v164
	s_waitcnt vmcnt(26)
	v_fmac_f32_e32 v175, v5, v162
	v_fma_f32 v164, v4, v162, -v159
	ds_read_b128 v[2:5], v1 offset:624
	ds_read_b128 v[159:162], v1 offset:640
	v_fmac_f32_e32 v163, v7, v158
	v_fma_f32 v158, v6, v158, -v165
	v_fmac_f32_e32 v176, v9, v156
	v_fma_f32 v156, v8, v156, -v177
	s_clause 0x4
	buffer_load_dword v165, off, s[0:3], 0 offset:236
	buffer_load_dword v177, off, s[0:3], 0 offset:256
	;; [unrolled: 1-line block ×5, first 2 shown]
	s_waitcnt vmcnt(30) lgkmcnt(2)
	v_mul_f32_e32 v190, v132, v151
	v_mul_f32_e32 v6, v133, v151
	s_waitcnt vmcnt(29)
	v_mul_f32_e32 v7, v135, v149
	v_mul_f32_e32 v151, v134, v149
	v_fmac_f32_e32 v190, v133, v141
	v_fma_f32 v132, v132, v141, -v6
	s_waitcnt vmcnt(25)
	v_fma_f32 v133, v134, v157, -v7
	ds_read_b128 v[6:9], v1 offset:656
	v_fmac_f32_e32 v151, v135, v157
	s_waitcnt vmcnt(24) lgkmcnt(2)
	v_mul_f32_e32 v134, v2, v154
	v_mul_f32_e32 v135, v3, v154
	s_waitcnt vmcnt(23)
	v_mul_f32_e32 v141, v4, v153
	v_mul_f32_e32 v149, v5, v153
	v_fmac_f32_e32 v134, v3, v146
	v_fma_f32 v135, v2, v146, -v135
	s_waitcnt vmcnt(22) lgkmcnt(1)
	v_mul_f32_e32 v146, v159, v150
	v_mul_f32_e32 v2, v160, v150
	v_fmac_f32_e32 v141, v5, v142
	v_fma_f32 v142, v4, v142, -v149
	s_waitcnt vmcnt(21)
	v_mul_f32_e32 v149, v161, v144
	v_mul_f32_e32 v3, v162, v144
	s_clause 0x1
	buffer_load_dword v144, off, s[0:3], 0 offset:244
	buffer_load_dword v150, off, s[0:3], 0 offset:252
	v_fmac_f32_e32 v146, v160, v137
	v_fma_f32 v137, v159, v137, -v2
	s_waitcnt vmcnt(19)
	v_fmac_f32_e32 v149, v162, v152
	v_fma_f32 v152, v161, v152, -v3
	ds_read_b128 v[2:5], v1 offset:672
	s_waitcnt vmcnt(18) lgkmcnt(1)
	v_mul_f32_e32 v153, v6, v148
	v_mul_f32_e32 v148, v7, v148
	s_waitcnt vmcnt(17)
	v_mul_f32_e32 v154, v8, v147
	v_mul_f32_e32 v147, v9, v147
	buffer_load_dword v162, off, s[0:3], 0 offset:268
	v_fmac_f32_e32 v153, v7, v143
	v_fma_f32 v143, v6, v143, -v148
	v_fmac_f32_e32 v154, v9, v138
	v_fma_f32 v138, v8, v138, -v147
	ds_read_b128 v[6:9], v1 offset:688
	buffer_load_dword v147, off, s[0:3], 0 offset:260
	s_waitcnt vmcnt(18) lgkmcnt(1)
	v_mul_f32_e32 v148, v2, v140
	v_mul_f32_e32 v140, v3, v140
	s_waitcnt vmcnt(17)
	v_mul_f32_e32 v157, v4, v139
	v_mul_f32_e32 v139, v5, v139
	v_fmac_f32_e32 v148, v3, v136
	v_fma_f32 v136, v2, v136, -v140
	s_waitcnt vmcnt(13)
	v_fmac_f32_e32 v157, v5, v173
	v_fma_f32 v139, v4, v173, -v139
	ds_read_b128 v[2:5], v1 offset:704
	s_waitcnt vmcnt(12) lgkmcnt(1)
	v_mul_f32_e32 v140, v6, v172
	v_mul_f32_e32 v159, v7, v172
	s_waitcnt vmcnt(11)
	v_mul_f32_e32 v160, v8, v171
	v_mul_f32_e32 v161, v9, v171
	v_fmac_f32_e32 v140, v7, v170
	v_fma_f32 v159, v6, v170, -v159
	v_fmac_f32_e32 v160, v9, v169
	v_fma_f32 v161, v8, v169, -v161
	s_clause 0x4
	buffer_load_dword v169, off, s[0:3], 0 offset:288
	buffer_load_dword v170, off, s[0:3], 0 offset:280
	;; [unrolled: 1-line block ×5, first 2 shown]
	v_add_f32_e32 v6, 0, v191
	v_add_f32_e32 v7, 0, v193
	buffer_load_dword v191, off, s[0:3], 0 offset:284
	v_add_f32_e32 v6, v6, v192
	v_add_f32_e32 v7, v7, v194
	;; [unrolled: 1-line block ×4, first 2 shown]
	s_clause 0x1
	buffer_load_dword v179, off, s[0:3], 0 offset:292
	buffer_load_dword v192, off, s[0:3], 0 offset:300
	v_add_f32_e32 v6, v6, v196
	v_add_f32_e32 v7, v7, v180
	s_clause 0x3
	buffer_load_dword v180, off, s[0:3], 0 offset:320
	buffer_load_dword v193, off, s[0:3], 0 offset:312
	;; [unrolled: 1-line block ×4, first 2 shown]
	v_add_f32_e32 v6, v6, v197
	v_add_f32_e32 v7, v7, v181
	;; [unrolled: 1-line block ×4, first 2 shown]
	s_clause 0x3
	buffer_load_dword v10, off, s[0:3], 0 offset:308
	buffer_load_dword v181, off, s[0:3], 0 offset:316
	;; [unrolled: 1-line block ×4, first 2 shown]
	v_add_f32_e32 v6, v6, v183
	v_add_f32_e32 v7, v7, v11
	;; [unrolled: 1-line block ×13, first 2 shown]
	s_waitcnt vmcnt(25) lgkmcnt(0)
	v_mul_f32_e32 v183, v2, v185
	v_mul_f32_e32 v8, v3, v185
	v_fmac_f32_e32 v183, v3, v168
	s_waitcnt vmcnt(24)
	v_mul_f32_e32 v11, v4, v165
	v_mul_f32_e32 v9, v5, v165
	v_fma_f32 v165, v2, v168, -v8
	s_waitcnt vmcnt(20)
	v_fmac_f32_e32 v11, v5, v189
	v_fma_f32 v12, v4, v189, -v9
	ds_read_b128 v[2:5], v1 offset:720
	s_clause 0x6
	buffer_load_dword v166, off, s[0:3], 0 offset:352
	buffer_load_dword v167, off, s[0:3], 0 offset:344
	buffer_load_dword v168, off, s[0:3], 0 offset:336
	buffer_load_dword v184, off, s[0:3], 0 offset:328
	buffer_load_dword v155, off, s[0:3], 0 offset:340
	buffer_load_dword v185, off, s[0:3], 0 offset:348
	buffer_load_dword v186, off, s[0:3], 0 offset:356
	ds_read_b128 v[6:9], v1 offset:736
	s_waitcnt vmcnt(26) lgkmcnt(1)
	v_mul_f32_e32 v175, v2, v144
	v_mul_f32_e32 v144, v3, v144
	s_waitcnt vmcnt(25)
	v_mul_f32_e32 v164, v4, v150
	v_mul_f32_e32 v150, v5, v150
	v_fmac_f32_e32 v175, v3, v188
	v_add_f32_e32 v3, v145, v163
	v_add_f32_e32 v145, v158, v156
	v_fma_f32 v144, v2, v188, -v144
	v_fmac_f32_e32 v164, v5, v178
	v_fma_f32 v150, v4, v178, -v150
	v_add_f32_e32 v2, v3, v176
	v_add_f32_e32 v3, v145, v132
	s_clause 0x7
	buffer_load_dword v156, off, s[0:3], 0 offset:364
	buffer_load_dword v158, off, s[0:3], 0 offset:372
	;; [unrolled: 1-line block ×8, first 2 shown]
	v_add_f32_e32 v2, v2, v190
	v_add_f32_e32 v3, v3, v133
	s_waitcnt vmcnt(31) lgkmcnt(0)
	v_mul_f32_e32 v145, v6, v147
	v_mul_f32_e32 v4, v7, v147
	s_clause 0x1
	buffer_load_dword v190, off, s[0:3], 0 offset:396
	buffer_load_dword v197, off, s[0:3], 0 offset:404
	v_add_f32_e32 v2, v2, v151
	v_add_f32_e32 v3, v3, v135
	v_fmac_f32_e32 v145, v7, v177
	v_fma_f32 v147, v6, v177, -v4
	s_clause 0x1
	buffer_load_dword v198, off, s[0:3], 0 offset:412
	buffer_load_dword v199, off, s[0:3], 0 offset:420
	v_add_f32_e32 v2, v2, v134
	v_add_f32_e32 v3, v3, v142
	s_clause 0x4
	buffer_load_dword v177, off, s[0:3], 0 offset:428
	buffer_load_dword v200, off, s[0:3], 0 offset:436
	;; [unrolled: 1-line block ×5, first 2 shown]
	v_add_f32_e32 v2, v2, v141
	v_add_f32_e32 v6, v3, v137
	v_mul_f32_e32 v3, v9, v162
	v_mul_f32_e32 v141, v8, v162
	buffer_load_dword v162, off, s[0:3], 0 offset:468
	v_add_f32_e32 v7, v2, v146
	v_add_f32_e32 v6, v6, v152
	;; [unrolled: 1-line block ×4, first 2 shown]
	s_waitcnt vmcnt(37)
	v_fma_f32 v142, v8, v172, -v3
	ds_read_b128 v[2:5], v1 offset:752
	v_fmac_f32_e32 v141, v9, v172
	v_add_f32_e32 v7, v7, v153
	s_clause 0x3
	buffer_load_dword v152, off, s[0:3], 0 offset:416
	buffer_load_dword v153, off, s[0:3], 0 offset:408
	;; [unrolled: 1-line block ×4, first 2 shown]
	v_add_f32_e32 v6, v6, v138
	v_add_f32_e32 v132, v7, v154
	;; [unrolled: 1-line block ×3, first 2 shown]
	ds_read_b128 v[6:9], v1 offset:768
	v_add_f32_e32 v132, v132, v148
	v_add_f32_e32 v133, v133, v139
	s_waitcnt vmcnt(40) lgkmcnt(1)
	v_mul_f32_e32 v143, v2, v173
	v_mul_f32_e32 v134, v3, v173
	s_waitcnt vmcnt(39)
	v_mul_f32_e32 v148, v4, v191
	v_fmac_f32_e32 v143, v3, v171
	v_fma_f32 v146, v2, v171, -v134
	v_add_f32_e32 v2, v132, v157
	v_add_f32_e32 v3, v133, v159
	s_clause 0x3
	buffer_load_dword v154, off, s[0:3], 0 offset:448
	buffer_load_dword v157, off, s[0:3], 0 offset:440
	;; [unrolled: 1-line block ×4, first 2 shown]
	v_mul_f32_e32 v132, v5, v191
	s_waitcnt vmcnt(42) lgkmcnt(0)
	v_mul_f32_e32 v151, v6, v179
	v_add_f32_e32 v2, v2, v140
	v_add_f32_e32 v3, v3, v161
	s_clause 0x1
	buffer_load_dword v161, off, s[0:3], 0 offset:464
	buffer_load_dword v173, off, s[0:3], 0 offset:456
	v_mul_f32_e32 v136, v7, v179
	s_waitcnt vmcnt(43)
	v_mul_f32_e32 v137, v9, v192
	v_add_f32_e32 v2, v2, v160
	buffer_load_dword v160, off, s[0:3], 0 offset:8
	v_add_f32_e32 v3, v3, v165
	v_mul_f32_e32 v165, v8, v192
	v_fmac_f32_e32 v148, v5, v170
	v_add_f32_e32 v133, v2, v183
	v_fma_f32 v149, v4, v170, -v132
	v_add_f32_e32 v12, v3, v12
	ds_read_b128 v[2:5], v1 offset:784
	v_fmac_f32_e32 v151, v7, v169
	v_add_f32_e32 v11, v133, v11
	ds_read_b128 v[132:135], v1 offset:800
	v_add_f32_e32 v12, v12, v144
	v_fma_f32 v169, v6, v169, -v136
	s_waitcnt vmcnt(40)
	v_fmac_f32_e32 v165, v9, v195
	v_add_f32_e32 v11, v11, v175
	v_add_f32_e32 v12, v12, v150
	v_fma_f32 v150, v8, v195, -v137
	ds_read_b128 v[6:9], v1 offset:816
	ds_read_b128 v[136:139], v1 offset:832
	v_add_f32_e32 v11, v11, v164
	v_add_f32_e32 v12, v12, v147
	;; [unrolled: 1-line block ×4, first 2 shown]
	s_waitcnt vmcnt(39) lgkmcnt(3)
	v_mul_f32_e32 v164, v2, v10
	v_mul_f32_e32 v10, v3, v10
	v_add_f32_e32 v11, v11, v141
	s_waitcnt vmcnt(38)
	v_mul_f32_e32 v140, v5, v181
	v_add_f32_e32 v12, v12, v146
	v_mul_f32_e32 v170, v4, v181
	v_fma_f32 v10, v2, v194, -v10
	v_add_f32_e32 v11, v11, v143
	v_fmac_f32_e32 v164, v3, v194
	v_add_f32_e32 v12, v12, v149
	s_waitcnt vmcnt(37) lgkmcnt(2)
	v_mul_f32_e32 v175, v132, v196
	v_mul_f32_e32 v144, v133, v196
	v_add_f32_e32 v11, v11, v148
	v_fma_f32 v181, v4, v193, -v140
	v_add_f32_e32 v12, v12, v169
	v_fmac_f32_e32 v170, v5, v193
	s_waitcnt vmcnt(36)
	v_mul_f32_e32 v145, v135, v182
	v_add_f32_e32 v11, v11, v151
	v_fmac_f32_e32 v175, v133, v180
	v_fma_f32 v180, v132, v180, -v144
	v_mul_f32_e32 v179, v134, v182
	ds_read_b128 v[2:5], v1 offset:848
	ds_read_b128 v[140:143], v1 offset:864
	v_add_f32_e32 v11, v11, v165
	v_add_f32_e32 v164, v11, v164
	;; [unrolled: 1-line block ×4, first 2 shown]
	s_waitcnt vmcnt(31) lgkmcnt(3)
	v_mul_f32_e32 v169, v6, v155
	v_mul_f32_e32 v148, v7, v155
	v_fma_f32 v182, v134, v184, -v145
	v_fmac_f32_e32 v179, v135, v184
	s_waitcnt vmcnt(30)
	v_mul_f32_e32 v149, v9, v185
	v_fmac_f32_e32 v169, v7, v168
	v_add_f32_e32 v7, v12, v150
	v_fma_f32 v12, v6, v168, -v148
	v_mul_f32_e32 v183, v8, v185
	v_add_f32_e32 v164, v164, v179
	v_fma_f32 v155, v8, v167, -v149
	v_add_f32_e32 v165, v7, v10
	s_waitcnt vmcnt(29) lgkmcnt(2)
	v_mul_f32_e32 v170, v137, v186
	v_fmac_f32_e32 v183, v9, v167
	v_mul_f32_e32 v167, v136, v186
	v_add_f32_e32 v164, v164, v169
	v_add_f32_e32 v165, v165, v181
	v_fma_f32 v136, v136, v166, -v170
	ds_read_b128 v[132:135], v1 offset:880
	ds_read_b128 v[144:147], v1 offset:896
	v_fmac_f32_e32 v167, v137, v166
	ds_read_b128 v[6:9], v1 offset:912
	ds_read_b128 v[148:151], v1 offset:928
	ds_read_b64 v[10:11], v1 offset:944
	v_add_f32_e32 v165, v165, v180
	v_add_f32_e32 v165, v165, v182
	s_waitcnt vmcnt(28)
	v_mul_f32_e32 v168, v138, v156
	v_mul_f32_e32 v156, v139, v156
	v_add_f32_e32 v12, v165, v12
	s_waitcnt vmcnt(27) lgkmcnt(6)
	v_mul_f32_e32 v180, v2, v158
	v_mul_f32_e32 v158, v3, v158
	s_waitcnt vmcnt(26)
	v_mul_f32_e32 v175, v4, v163
	v_mul_f32_e32 v163, v5, v163
	v_add_f32_e32 v12, v12, v155
	v_add_f32_e32 v155, v164, v183
	s_waitcnt vmcnt(21)
	v_fma_f32 v138, v138, v189, -v156
	v_fmac_f32_e32 v168, v139, v189
	v_fmac_f32_e32 v180, v3, v188
	v_add_f32_e32 v12, v12, v136
	v_add_f32_e32 v136, v155, v167
	v_fma_f32 v2, v2, v188, -v158
	v_fma_f32 v4, v4, v187, -v163
	s_waitcnt lgkmcnt(5)
	v_mul_f32_e32 v137, v140, v176
	v_add_f32_e32 v3, v12, v138
	v_add_f32_e32 v12, v136, v168
	v_mul_f32_e32 v136, v141, v176
	v_fmac_f32_e32 v175, v5, v187
	s_waitcnt vmcnt(20)
	v_mul_f32_e32 v5, v143, v190
	v_add_f32_e32 v2, v3, v2
	v_add_f32_e32 v3, v12, v180
	v_fma_f32 v12, v140, v178, -v136
	v_mul_f32_e32 v166, v142, v190
	v_fmac_f32_e32 v137, v141, v178
	v_add_f32_e32 v2, v2, v4
	v_add_f32_e32 v3, v3, v175
	s_waitcnt vmcnt(19) lgkmcnt(4)
	v_mul_f32_e32 v4, v133, v197
	v_mul_f32_e32 v170, v132, v197
	s_waitcnt vmcnt(18)
	v_mul_f32_e32 v139, v134, v198
	v_add_f32_e32 v2, v2, v12
	v_add_f32_e32 v3, v3, v137
	v_mul_f32_e32 v12, v135, v198
	s_waitcnt vmcnt(17) lgkmcnt(3)
	v_mul_f32_e32 v156, v144, v199
	s_waitcnt vmcnt(16)
	v_mul_f32_e32 v165, v146, v177
	s_waitcnt vmcnt(15) lgkmcnt(2)
	v_mul_f32_e32 v169, v6, v200
	s_waitcnt vmcnt(14)
	v_mul_f32_e32 v179, v8, v201
	s_waitcnt vmcnt(13) lgkmcnt(1)
	v_mul_f32_e32 v164, v148, v202
	s_waitcnt vmcnt(9)
	v_fma_f32 v12, v134, v153, -v12
	s_waitcnt vmcnt(8)
	v_fma_f32 v4, v132, v172, -v4
	s_waitcnt vmcnt(7)
	v_fma_f32 v5, v142, v204, -v5
	v_fmac_f32_e32 v166, v143, v204
	v_fmac_f32_e32 v170, v133, v172
	v_fmac_f32_e32 v139, v135, v153
	v_fmac_f32_e32 v156, v145, v152
	v_add_f32_e32 v2, v2, v5
	v_add_f32_e32 v3, v3, v166
	v_mul_f32_e32 v5, v145, v199
	v_mul_f32_e32 v181, v150, v203
	s_waitcnt lgkmcnt(0)
	v_mul_f32_e32 v155, v10, v162
	v_add_f32_e32 v2, v2, v4
	v_add_f32_e32 v3, v3, v170
	v_mul_f32_e32 v4, v147, v177
	v_fma_f32 v5, v144, v152, -v5
	v_add_f32_e32 v2, v2, v12
	v_add_f32_e32 v3, v3, v139
	v_mul_f32_e32 v12, v7, v200
	v_add_f32_e32 v2, v2, v5
	v_add_f32_e32 v3, v3, v156
	v_mul_f32_e32 v5, v9, v201
	s_waitcnt vmcnt(6)
	v_fmac_f32_e32 v164, v149, v154
	s_waitcnt vmcnt(5)
	v_fmac_f32_e32 v179, v9, v157
	s_waitcnt vmcnt(4)
	v_fma_f32 v6, v6, v159, -v12
	s_waitcnt vmcnt(3)
	v_fma_f32 v4, v146, v171, -v4
	v_fmac_f32_e32 v165, v147, v171
	v_fmac_f32_e32 v169, v7, v159
	v_fma_f32 v5, v8, v157, -v5
	s_waitcnt vmcnt(2)
	v_fmac_f32_e32 v155, v11, v161
	v_add_f32_e32 v2, v2, v4
	v_add_f32_e32 v3, v3, v165
	v_mul_f32_e32 v4, v149, v202
	s_waitcnt vmcnt(1)
	v_fmac_f32_e32 v181, v151, v173
	v_add_f32_e32 v2, v2, v6
	v_add_f32_e32 v3, v3, v169
	v_mul_f32_e32 v6, v151, v203
	v_fma_f32 v4, v148, v154, -v4
	v_add_f32_e32 v2, v2, v5
	v_add_f32_e32 v3, v3, v179
	v_mul_f32_e32 v5, v11, v162
	v_fma_f32 v6, v150, v173, -v6
	v_add_f32_e32 v2, v2, v4
	v_add_f32_e32 v3, v3, v164
	v_fma_f32 v4, v10, v161, -v5
	v_add_f32_e32 v2, v2, v6
	v_add_f32_e32 v3, v3, v181
	;; [unrolled: 1-line block ×4, first 2 shown]
	s_waitcnt vmcnt(0)
	v_sub_f32_e32 v2, v160, v2
	v_sub_f32_e32 v3, v174, v3
	buffer_store_dword v2, off, s[0:3], 0 offset:8
	buffer_store_dword v3, off, s[0:3], 0 offset:12
	v_cmpx_ne_u32_e32 0, v0
	s_cbranch_execz .LBB58_367
; %bb.366:
	s_clause 0x1
	buffer_load_dword v2, off, s[0:3], 0
	buffer_load_dword v3, off, s[0:3], 0 offset:4
	buffer_store_dword v1, off, s[0:3], 0
	buffer_store_dword v1, off, s[0:3], 0 offset:4
	s_waitcnt vmcnt(0)
	ds_write_b64 v131, v[2:3]
.LBB58_367:
	s_or_b32 exec_lo, exec_lo, s4
	s_waitcnt lgkmcnt(0)
	s_waitcnt_vscnt null, 0x0
	s_barrier
	buffer_gl0_inv
	s_clause 0x3c
	buffer_load_dword v141, off, s[0:3], 0 offset:12
	buffer_load_dword v0, off, s[0:3], 0 offset:24
	;; [unrolled: 1-line block ×61, first 2 shown]
	ds_read2_b64 v[175:178], v1 offset0:61 offset1:62
	ds_read2_b64 v[179:182], v1 offset0:63 offset1:64
	;; [unrolled: 1-line block ×3, first 2 shown]
	s_and_b32 vcc_lo, exec_lo, s22
	s_waitcnt vmcnt(60) lgkmcnt(2)
	v_mul_f32_e32 v174, v175, v141
	v_mul_f32_e32 v193, v176, v141
	buffer_load_dword v141, off, s[0:3], 0 offset:4
	s_waitcnt vmcnt(57)
	v_mul_f32_e32 v194, v177, v5
	v_mul_f32_e32 v5, v178, v5
	v_fmac_f32_e32 v174, v176, v6
	v_fma_f32 v193, v175, v6, -v193
	s_waitcnt vmcnt(56) lgkmcnt(1)
	v_mul_f32_e32 v196, v179, v4
	v_fmac_f32_e32 v194, v178, v3
	v_fma_f32 v195, v177, v3, -v5
	v_mul_f32_e32 v175, v180, v4
	ds_read2_b64 v[3:6], v1 offset0:67 offset1:68
	v_fmac_f32_e32 v196, v180, v0
	s_waitcnt vmcnt(50) lgkmcnt(1)
	v_mul_f32_e32 v180, v183, v131
	v_fma_f32 v0, v179, v0, -v175
	v_mul_f32_e32 v179, v181, v2
	v_mul_f32_e32 v2, v182, v2
	ds_read2_b64 v[175:178], v1 offset0:69 offset1:70
	v_fmac_f32_e32 v180, v184, v11
	v_fmac_f32_e32 v179, v182, v132
	v_fma_f32 v132, v181, v132, -v2
	v_mul_f32_e32 v2, v184, v131
	s_waitcnt vmcnt(49)
	v_mul_f32_e32 v181, v185, v12
	v_fma_f32 v131, v183, v11, -v2
	v_mul_f32_e32 v2, v186, v12
	v_fmac_f32_e32 v181, v186, v9
	s_waitcnt vmcnt(48) lgkmcnt(1)
	v_mul_f32_e32 v183, v3, v10
	v_fma_f32 v182, v185, v9, -v2
	v_mul_f32_e32 v2, v4, v10
	ds_read2_b64 v[9:12], v1 offset0:71 offset1:72
	s_waitcnt vmcnt(47)
	v_mul_f32_e32 v185, v5, v8
	s_waitcnt vmcnt(42) lgkmcnt(1)
	v_mul_f32_e32 v186, v175, v164
	v_fmac_f32_e32 v183, v4, v7
	v_fma_f32 v184, v3, v7, -v2
	v_mul_f32_e32 v2, v6, v8
	v_fmac_f32_e32 v185, v6, v165
	v_mul_f32_e32 v6, v176, v164
	v_fmac_f32_e32 v186, v176, v160
	s_waitcnt vmcnt(41)
	v_mul_f32_e32 v164, v177, v161
	v_fma_f32 v165, v5, v165, -v2
	ds_read2_b64 v[2:5], v1 offset0:73 offset1:74
	v_fma_f32 v160, v175, v160, -v6
	v_mul_f32_e32 v6, v178, v161
	v_fmac_f32_e32 v164, v178, v154
	v_fma_f32 v161, v177, v154, -v6
	ds_read2_b64 v[175:178], v1 offset0:75 offset1:76
	s_waitcnt vmcnt(40) lgkmcnt(2)
	v_mul_f32_e32 v197, v9, v158
	v_mul_f32_e32 v6, v10, v158
	v_fmac_f32_e32 v197, v10, v143
	v_fma_f32 v10, v9, v143, -v6
	s_waitcnt vmcnt(39)
	v_mul_f32_e32 v6, v12, v151
	v_mul_f32_e32 v143, v11, v151
	s_waitcnt vmcnt(34) lgkmcnt(1)
	v_mul_f32_e32 v151, v3, v162
	v_fma_f32 v11, v11, v163, -v6
	ds_read2_b64 v[6:9], v1 offset0:77 offset1:78
	v_fmac_f32_e32 v143, v12, v163
	v_mul_f32_e32 v12, v2, v162
	v_fma_f32 v151, v2, v155, -v151
	s_waitcnt vmcnt(33)
	v_mul_f32_e32 v158, v4, v156
	v_mul_f32_e32 v2, v5, v156
	s_waitcnt vmcnt(32) lgkmcnt(1)
	v_mul_f32_e32 v162, v175, v152
	v_mul_f32_e32 v152, v176, v152
	v_fmac_f32_e32 v12, v3, v155
	v_fmac_f32_e32 v158, v5, v147
	v_fma_f32 v147, v4, v147, -v2
	ds_read2_b64 v[2:5], v1 offset0:79 offset1:80
	v_fmac_f32_e32 v162, v176, v137
	v_fma_f32 v152, v175, v137, -v152
	s_waitcnt vmcnt(31)
	v_mul_f32_e32 v163, v177, v145
	v_mul_f32_e32 v137, v178, v145
	s_waitcnt vmcnt(27)
	v_fmac_f32_e32 v163, v178, v159
	v_fma_f32 v145, v177, v159, -v137
	s_waitcnt vmcnt(26) lgkmcnt(1)
	v_mul_f32_e32 v159, v6, v157
	v_mul_f32_e32 v137, v7, v157
	ds_read2_b64 v[154:157], v1 offset0:81 offset1:82
	s_waitcnt vmcnt(25)
	v_mul_f32_e32 v175, v8, v149
	v_fmac_f32_e32 v159, v7, v148
	v_fma_f32 v148, v6, v148, -v137
	v_mul_f32_e32 v6, v9, v149
	v_fmac_f32_e32 v175, v9, v140
	s_waitcnt vmcnt(24) lgkmcnt(1)
	v_mul_f32_e32 v149, v2, v146
	v_mul_f32_e32 v137, v3, v146
	v_fma_f32 v140, v8, v140, -v6
	ds_read2_b64 v[6:9], v1 offset0:83 offset1:84
	s_waitcnt vmcnt(23)
	v_mul_f32_e32 v146, v4, v138
	v_fmac_f32_e32 v149, v3, v134
	v_fma_f32 v134, v2, v134, -v137
	v_mul_f32_e32 v2, v5, v138
	s_waitcnt vmcnt(19)
	v_fmac_f32_e32 v146, v5, v153
	v_fma_f32 v153, v4, v153, -v2
	s_waitcnt vmcnt(18) lgkmcnt(1)
	v_mul_f32_e32 v176, v154, v150
	v_mul_f32_e32 v137, v155, v150
	ds_read2_b64 v[2:5], v1 offset0:85 offset1:86
	s_waitcnt vmcnt(17)
	v_mul_f32_e32 v150, v156, v144
	v_fmac_f32_e32 v176, v155, v142
	v_fma_f32 v142, v154, v142, -v137
	v_mul_f32_e32 v137, v157, v144
	v_fmac_f32_e32 v150, v157, v136
	s_waitcnt vmcnt(16) lgkmcnt(1)
	v_mul_f32_e32 v154, v6, v139
	v_mul_f32_e32 v155, v7, v139
	v_fma_f32 v144, v156, v136, -v137
	ds_read2_b64 v[136:139], v1 offset0:87 offset1:88
	v_fmac_f32_e32 v154, v7, v133
	v_fma_f32 v133, v6, v133, -v155
	s_waitcnt vmcnt(15)
	v_mul_f32_e32 v155, v8, v135
	v_mul_f32_e32 v6, v9, v135
	s_waitcnt vmcnt(11)
	v_fmac_f32_e32 v155, v9, v173
	v_fma_f32 v135, v8, v173, -v6
	ds_read2_b64 v[6:9], v1 offset0:89 offset1:90
	s_waitcnt vmcnt(10) lgkmcnt(2)
	v_mul_f32_e32 v156, v2, v172
	v_mul_f32_e32 v157, v3, v172
	buffer_load_dword v173, off, s[0:3], 0 offset:260
	v_fmac_f32_e32 v156, v3, v170
	v_fma_f32 v157, v2, v170, -v157
	s_waitcnt vmcnt(10)
	v_mul_f32_e32 v170, v4, v171
	v_mul_f32_e32 v2, v5, v171
	s_waitcnt vmcnt(9) lgkmcnt(1)
	v_mul_f32_e32 v171, v136, v169
	s_waitcnt vmcnt(8)
	v_mul_f32_e32 v3, v139, v168
	v_fmac_f32_e32 v170, v5, v167
	v_fma_f32 v167, v4, v167, -v2
	v_mul_f32_e32 v2, v137, v169
	v_mul_f32_e32 v169, v138, v168
	buffer_load_dword v168, off, s[0:3], 0 offset:252
	v_fmac_f32_e32 v171, v137, v166
	s_waitcnt vmcnt(5)
	v_fma_f32 v137, v138, v190, -v3
	v_fma_f32 v136, v136, v166, -v2
	v_fmac_f32_e32 v169, v139, v190
	ds_read2_b64 v[2:5], v1 offset0:91 offset1:92
	s_waitcnt vmcnt(4) lgkmcnt(1)
	v_mul_f32_e32 v138, v6, v191
	v_mul_f32_e32 v139, v7, v191
	s_waitcnt vmcnt(3)
	v_mul_f32_e32 v166, v8, v192
	v_mul_f32_e32 v172, v9, v192
	v_fmac_f32_e32 v138, v7, v189
	v_fma_f32 v139, v6, v189, -v139
	v_fmac_f32_e32 v166, v9, v188
	v_fma_f32 v172, v8, v188, -v172
	s_clause 0x4
	buffer_load_dword v177, off, s[0:3], 0 offset:280
	buffer_load_dword v178, off, s[0:3], 0 offset:272
	;; [unrolled: 1-line block ×5, first 2 shown]
	s_waitcnt vmcnt(6) lgkmcnt(0)
	v_mul_f32_e32 v8, v5, v173
	s_waitcnt vmcnt(5)
	v_mul_f32_e32 v190, v2, v168
	v_mul_f32_e32 v7, v3, v168
	;; [unrolled: 1-line block ×3, first 2 shown]
	v_fmac_f32_e32 v190, v3, v187
	v_fma_f32 v173, v2, v187, -v7
	s_waitcnt vmcnt(1)
	v_fmac_f32_e32 v168, v5, v6
	v_fma_f32 v187, v4, v6, -v8
	ds_read2_b64 v[2:5], v1 offset0:93 offset1:94
	ds_read2_b64 v[6:9], v1 offset0:95 offset1:96
	s_waitcnt vmcnt(0) lgkmcnt(1)
	v_mul_f32_e32 v191, v2, v189
	v_mul_f32_e32 v189, v3, v189
	v_fmac_f32_e32 v191, v3, v188
	v_fma_f32 v188, v2, v188, -v189
	buffer_load_dword v2, off, s[0:3], 0 offset:276
	v_add_f32_e32 v3, 0, v174
	buffer_load_dword v174, off, s[0:3], 0 offset:292
	v_add_f32_e32 v3, v3, v194
	v_add_f32_e32 v3, v3, v196
	;; [unrolled: 1-line block ×24, first 2 shown]
	s_waitcnt vmcnt(1)
	v_mul_f32_e32 v189, v4, v2
	v_mul_f32_e32 v2, v5, v2
	v_fmac_f32_e32 v189, v5, v178
	v_fma_f32 v178, v4, v178, -v2
	buffer_load_dword v2, off, s[0:3], 0 offset:284
	v_add_f32_e32 v4, 0, v193
	s_clause 0x3
	buffer_load_dword v179, off, s[0:3], 0 offset:312
	buffer_load_dword v192, off, s[0:3], 0 offset:304
	;; [unrolled: 1-line block ×4, first 2 shown]
	v_add_f32_e32 v4, v4, v195
	s_clause 0x2
	buffer_load_dword v195, off, s[0:3], 0 offset:300
	buffer_load_dword v180, off, s[0:3], 0 offset:308
	;; [unrolled: 1-line block ×3, first 2 shown]
	v_add_f32_e32 v0, v4, v0
	v_add_f32_e32 v0, v0, v132
	v_add_f32_e32 v0, v0, v131
	v_add_f32_e32 v0, v0, v182
	s_clause 0x1
	buffer_load_dword v181, off, s[0:3], 0 offset:324
	buffer_load_dword v182, off, s[0:3], 0 offset:332
	v_add_f32_e32 v0, v0, v184
	v_add_f32_e32 v0, v0, v165
	s_clause 0x3
	buffer_load_dword v165, off, s[0:3], 0 offset:344
	buffer_load_dword v183, off, s[0:3], 0 offset:336
	;; [unrolled: 1-line block ×4, first 2 shown]
	v_add_f32_e32 v0, v0, v160
	buffer_load_dword v160, off, s[0:3], 0 offset:340
	v_add_f32_e32 v0, v0, v161
	v_add_f32_e32 v0, v0, v10
	s_clause 0x1
	buffer_load_dword v10, off, s[0:3], 0 offset:348
	buffer_load_dword v161, off, s[0:3], 0 offset:356
	v_add_f32_e32 v0, v0, v11
	s_clause 0x7
	buffer_load_dword v11, off, s[0:3], 0 offset:376
	buffer_load_dword v164, off, s[0:3], 0 offset:368
	;; [unrolled: 1-line block ×8, first 2 shown]
	v_add_f32_e32 v0, v0, v151
	s_clause 0x5
	buffer_load_dword v199, off, s[0:3], 0 offset:396
	buffer_load_dword v200, off, s[0:3], 0 offset:404
	;; [unrolled: 1-line block ×6, first 2 shown]
	v_add_f32_e32 v0, v0, v147
	s_waitcnt vmcnt(31) lgkmcnt(0)
	v_mul_f32_e32 v151, v8, v174
	v_add_f32_e32 v0, v0, v152
	v_add_f32_e32 v0, v0, v145
	;; [unrolled: 1-line block ×4, first 2 shown]
	s_clause 0xb
	buffer_load_dword v140, off, s[0:3], 0 offset:444
	buffer_load_dword v203, off, s[0:3], 0 offset:452
	;; [unrolled: 1-line block ×12, first 2 shown]
	v_add_f32_e32 v0, v0, v134
	s_clause 0x2
	buffer_load_dword v154, off, s[0:3], 0 offset:464
	buffer_load_dword v155, off, s[0:3], 0 offset:456
	;; [unrolled: 1-line block ×3, first 2 shown]
	v_add_f32_e32 v0, v0, v153
	v_add_f32_e32 v0, v0, v142
	v_add_f32_e32 v0, v0, v144
	v_add_f32_e32 v0, v0, v133
	v_add_f32_e32 v0, v0, v135
	v_add_f32_e32 v0, v0, v157
	buffer_load_dword v157, off, s[0:3], 0
	v_add_f32_e32 v0, v0, v167
	v_add_f32_e32 v0, v0, v136
	;; [unrolled: 1-line block ×9, first 2 shown]
	s_waitcnt vmcnt(46)
	v_mul_f32_e32 v150, v6, v2
	v_mul_f32_e32 v2, v7, v2
	s_waitcnt vmcnt(42)
	v_fmac_f32_e32 v151, v9, v194
	v_fmac_f32_e32 v150, v7, v177
	v_fma_f32 v146, v6, v177, -v2
	v_add_f32_e32 v6, v3, v170
	ds_read2_b64 v[2:5], v1 offset0:97 offset1:98
	v_add_f32_e32 v0, v0, v146
	v_add_f32_e32 v131, v6, v171
	v_mul_f32_e32 v6, v9, v174
	v_add_f32_e32 v135, v131, v169
	v_fma_f32 v152, v8, v194, -v6
	ds_read2_b64 v[6:9], v1 offset0:99 offset1:100
	ds_read2_b64 v[131:134], v1 offset0:101 offset1:102
	v_add_f32_e32 v135, v135, v138
	v_add_f32_e32 v0, v0, v152
	;; [unrolled: 1-line block ×3, first 2 shown]
	s_waitcnt vmcnt(41) lgkmcnt(2)
	v_mul_f32_e32 v136, v3, v195
	v_mul_f32_e32 v139, v2, v195
	s_waitcnt vmcnt(40)
	v_mul_f32_e32 v156, v4, v180
	v_fma_f32 v153, v2, v193, -v136
	v_add_f32_e32 v2, v142, v190
	ds_read2_b64 v[135:138], v1 offset0:103 offset1:104
	v_fmac_f32_e32 v139, v3, v193
	v_mul_f32_e32 v3, v5, v180
	v_add_f32_e32 v0, v0, v153
	s_waitcnt vmcnt(39) lgkmcnt(2)
	v_mul_f32_e32 v142, v7, v196
	v_add_f32_e32 v2, v2, v168
	v_mul_f32_e32 v166, v6, v196
	s_waitcnt vmcnt(37) lgkmcnt(1)
	v_mul_f32_e32 v168, v131, v182
	v_fma_f32 v169, v4, v192, -v3
	v_fma_f32 v170, v6, v179, -v142
	v_add_f32_e32 v6, v2, v191
	v_fmac_f32_e32 v166, v7, v179
	v_mul_f32_e32 v7, v132, v182
	s_waitcnt vmcnt(34)
	v_fmac_f32_e32 v168, v132, v184
	v_mul_f32_e32 v167, v8, v181
	v_add_f32_e32 v132, v6, v189
	v_mul_f32_e32 v147, v9, v181
	v_fma_f32 v172, v131, v184, -v7
	v_fmac_f32_e32 v156, v5, v192
	s_waitcnt vmcnt(32)
	v_mul_f32_e32 v173, v133, v160
	v_add_f32_e32 v131, v132, v150
	v_mul_f32_e32 v132, v134, v160
	s_waitcnt vmcnt(31) lgkmcnt(0)
	v_mul_f32_e32 v160, v135, v10
	s_waitcnt vmcnt(30)
	v_mul_f32_e32 v174, v137, v161
	v_mul_f32_e32 v10, v136, v10
	v_add_f32_e32 v131, v131, v151
	v_mul_f32_e32 v161, v138, v161
	v_add_f32_e32 v0, v0, v169
	ds_read2_b64 v[2:5], v1 offset0:105 offset1:106
	ds_read2_b64 v[142:145], v1 offset0:107 offset1:108
	v_fmac_f32_e32 v167, v9, v185
	v_add_f32_e32 v139, v131, v139
	v_fma_f32 v171, v8, v185, -v147
	ds_read2_b64 v[6:9], v1 offset0:109 offset1:110
	ds_read2_b64 v[146:149], v1 offset0:111 offset1:112
	v_fmac_f32_e32 v173, v134, v183
	v_fma_f32 v177, v133, v183, -v132
	v_fmac_f32_e32 v160, v136, v165
	v_fma_f32 v10, v135, v165, -v10
	ds_read2_b64 v[131:134], v1 offset0:113 offset1:114
	ds_read2_b64 v[150:153], v1 offset0:115 offset1:116
	s_waitcnt vmcnt(26)
	v_fmac_f32_e32 v174, v138, v197
	v_fma_f32 v161, v137, v197, -v161
	ds_read2_b64 v[135:138], v1 offset0:117 offset1:118
	v_add_f32_e32 v1, v139, v156
	v_add_f32_e32 v0, v0, v170
	v_add_f32_e32 v1, v1, v166
	v_add_f32_e32 v0, v0, v171
	s_waitcnt vmcnt(25) lgkmcnt(6)
	v_mul_f32_e32 v139, v2, v12
	v_mul_f32_e32 v12, v3, v12
	s_waitcnt vmcnt(24)
	v_mul_f32_e32 v156, v4, v158
	v_add_f32_e32 v1, v1, v167
	v_add_f32_e32 v0, v0, v172
	v_mul_f32_e32 v158, v5, v158
	v_fma_f32 v2, v2, v186, -v12
	v_fmac_f32_e32 v139, v3, v186
	v_add_f32_e32 v1, v1, v168
	v_add_f32_e32 v0, v0, v177
	s_waitcnt vmcnt(23) lgkmcnt(5)
	v_mul_f32_e32 v3, v143, v198
	v_fma_f32 v4, v4, v164, -v158
	v_mul_f32_e32 v165, v142, v198
	v_add_f32_e32 v1, v1, v173
	v_add_f32_e32 v0, v0, v10
	v_fmac_f32_e32 v156, v5, v164
	v_fma_f32 v3, v142, v11, -v3
	s_waitcnt vmcnt(22)
	v_mul_f32_e32 v166, v144, v162
	v_add_f32_e32 v1, v1, v160
	v_add_f32_e32 v0, v0, v161
	v_fmac_f32_e32 v165, v143, v11
	s_waitcnt vmcnt(21) lgkmcnt(4)
	v_mul_f32_e32 v167, v6, v199
	s_waitcnt vmcnt(8)
	v_fmac_f32_e32 v166, v145, v208
	v_add_f32_e32 v1, v1, v174
	v_add_f32_e32 v0, v0, v2
	v_mul_f32_e32 v2, v145, v162
	v_mul_f32_e32 v169, v8, v200
	v_fmac_f32_e32 v167, v7, v207
	v_add_f32_e32 v1, v1, v139
	v_add_f32_e32 v0, v0, v4
	v_mul_f32_e32 v4, v7, v199
	v_fma_f32 v2, v144, v208, -v2
	s_waitcnt lgkmcnt(3)
	v_mul_f32_e32 v170, v146, v163
	v_add_f32_e32 v1, v1, v156
	v_add_f32_e32 v0, v0, v3
	v_mul_f32_e32 v3, v9, v200
	v_fma_f32 v4, v6, v207, -v4
	v_fmac_f32_e32 v169, v9, v206
	v_add_f32_e32 v1, v1, v165
	v_add_f32_e32 v0, v0, v2
	v_mul_f32_e32 v2, v147, v163
	v_fma_f32 v3, v8, v206, -v3
	v_mul_f32_e32 v168, v148, v201
	v_add_f32_e32 v1, v1, v166
	v_add_f32_e32 v0, v0, v4
	v_mul_f32_e32 v4, v149, v201
	v_fma_f32 v2, v146, v205, -v2
	v_fmac_f32_e32 v170, v147, v205
	v_add_f32_e32 v1, v1, v167
	v_add_f32_e32 v0, v0, v3
	s_waitcnt lgkmcnt(2)
	v_mul_f32_e32 v3, v132, v202
	s_waitcnt vmcnt(4)
	v_fma_f32 v4, v148, v211, -v4
	v_mul_f32_e32 v171, v131, v202
	v_add_f32_e32 v1, v1, v169
	v_add_f32_e32 v0, v0, v2
	v_fmac_f32_e32 v168, v149, v211
	v_mul_f32_e32 v2, v134, v159
	v_fma_f32 v3, v131, v210, -v3
	v_add_f32_e32 v1, v1, v170
	v_add_f32_e32 v0, v0, v4
	v_mul_f32_e32 v172, v133, v159
	v_fmac_f32_e32 v171, v132, v210
	s_waitcnt lgkmcnt(1)
	v_mul_f32_e32 v4, v151, v140
	v_add_f32_e32 v1, v1, v168
	v_fma_f32 v2, v133, v209, -v2
	v_add_f32_e32 v0, v0, v3
	v_mul_f32_e32 v173, v150, v140
	v_fmac_f32_e32 v172, v134, v209
	v_add_f32_e32 v1, v1, v171
	v_mul_f32_e32 v3, v153, v203
	v_fma_f32 v4, v150, v176, -v4
	v_add_f32_e32 v0, v0, v2
	v_mul_f32_e32 v177, v152, v203
	v_fmac_f32_e32 v173, v151, v176
	v_add_f32_e32 v1, v1, v172
	s_waitcnt lgkmcnt(0)
	v_mul_f32_e32 v2, v136, v175
	s_waitcnt vmcnt(1)
	v_fma_f32 v3, v152, v212, -v3
	v_add_f32_e32 v0, v0, v4
	v_mul_f32_e32 v10, v135, v175
	v_fmac_f32_e32 v177, v153, v212
	v_add_f32_e32 v1, v1, v173
	v_mul_f32_e32 v4, v138, v204
	v_fma_f32 v2, v135, v155, -v2
	v_add_f32_e32 v0, v0, v3
	v_mul_f32_e32 v160, v137, v204
	v_fmac_f32_e32 v10, v136, v155
	v_add_f32_e32 v1, v1, v177
	v_fma_f32 v3, v137, v154, -v4
	v_add_f32_e32 v0, v0, v2
	v_fmac_f32_e32 v160, v138, v154
	v_add_f32_e32 v1, v1, v10
	v_add_f32_e32 v0, v0, v3
	;; [unrolled: 1-line block ×3, first 2 shown]
	s_waitcnt vmcnt(0)
	v_sub_f32_e32 v0, v157, v0
	v_sub_f32_e32 v1, v141, v1
	buffer_store_dword v0, off, s[0:3], 0
	buffer_store_dword v1, off, s[0:3], 0 offset:4
	s_cbranch_vccz .LBB58_484
; %bb.368:
	v_mov_b32_e32 v0, 0
	global_load_dword v1, v0, s[20:21] offset:228
	s_waitcnt vmcnt(0)
	v_add_nc_u32_e32 v1, -1, v1
	v_cmp_ne_u32_e32 vcc_lo, 57, v1
	s_cbranch_vccz .LBB58_370
; %bb.369:
	v_lshlrev_b32_e32 v1, 3, v1
	s_clause 0x3
	buffer_load_dword v2, v1, s[0:3], 0 offen
	buffer_load_dword v3, v1, s[0:3], 0 offen offset:4
	buffer_load_dword v4, off, s[0:3], 0 offset:456
	buffer_load_dword v5, off, s[0:3], 0 offset:460
	s_waitcnt vmcnt(3)
	buffer_store_dword v2, off, s[0:3], 0 offset:456
	s_waitcnt vmcnt(2)
	buffer_store_dword v3, off, s[0:3], 0 offset:460
	s_waitcnt vmcnt(1)
	buffer_store_dword v4, v1, s[0:3], 0 offen
	s_waitcnt vmcnt(0)
	buffer_store_dword v5, v1, s[0:3], 0 offen offset:4
.LBB58_370:
	global_load_dword v0, v0, s[20:21] offset:224
	s_waitcnt vmcnt(0)
	v_add_nc_u32_e32 v0, -1, v0
	v_cmp_eq_u32_e32 vcc_lo, 56, v0
	s_cbranch_vccnz .LBB58_372
; %bb.371:
	v_lshlrev_b32_e32 v0, 3, v0
	s_clause 0x3
	buffer_load_dword v1, v0, s[0:3], 0 offen
	buffer_load_dword v2, v0, s[0:3], 0 offen offset:4
	buffer_load_dword v3, off, s[0:3], 0 offset:452
	buffer_load_dword v4, off, s[0:3], 0 offset:448
	s_waitcnt vmcnt(3)
	buffer_store_dword v1, off, s[0:3], 0 offset:448
	s_waitcnt vmcnt(2)
	buffer_store_dword v2, off, s[0:3], 0 offset:452
	s_waitcnt vmcnt(1)
	buffer_store_dword v3, v0, s[0:3], 0 offen offset:4
	s_waitcnt vmcnt(0)
	buffer_store_dword v4, v0, s[0:3], 0 offen
.LBB58_372:
	v_mov_b32_e32 v0, 0
	global_load_dword v1, v0, s[20:21] offset:220
	s_waitcnt vmcnt(0)
	v_add_nc_u32_e32 v1, -1, v1
	v_cmp_eq_u32_e32 vcc_lo, 55, v1
	s_cbranch_vccnz .LBB58_374
; %bb.373:
	v_lshlrev_b32_e32 v1, 3, v1
	s_clause 0x3
	buffer_load_dword v2, v1, s[0:3], 0 offen
	buffer_load_dword v3, v1, s[0:3], 0 offen offset:4
	buffer_load_dword v4, off, s[0:3], 0 offset:440
	buffer_load_dword v5, off, s[0:3], 0 offset:444
	s_waitcnt vmcnt(3)
	buffer_store_dword v2, off, s[0:3], 0 offset:440
	s_waitcnt vmcnt(2)
	buffer_store_dword v3, off, s[0:3], 0 offset:444
	s_waitcnt vmcnt(1)
	buffer_store_dword v4, v1, s[0:3], 0 offen
	s_waitcnt vmcnt(0)
	buffer_store_dword v5, v1, s[0:3], 0 offen offset:4
.LBB58_374:
	global_load_dword v0, v0, s[20:21] offset:216
	s_waitcnt vmcnt(0)
	v_add_nc_u32_e32 v0, -1, v0
	v_cmp_eq_u32_e32 vcc_lo, 54, v0
	s_cbranch_vccnz .LBB58_376
; %bb.375:
	v_lshlrev_b32_e32 v0, 3, v0
	s_clause 0x3
	buffer_load_dword v1, v0, s[0:3], 0 offen
	buffer_load_dword v2, v0, s[0:3], 0 offen offset:4
	buffer_load_dword v3, off, s[0:3], 0 offset:436
	buffer_load_dword v4, off, s[0:3], 0 offset:432
	s_waitcnt vmcnt(3)
	buffer_store_dword v1, off, s[0:3], 0 offset:432
	s_waitcnt vmcnt(2)
	buffer_store_dword v2, off, s[0:3], 0 offset:436
	s_waitcnt vmcnt(1)
	buffer_store_dword v3, v0, s[0:3], 0 offen offset:4
	s_waitcnt vmcnt(0)
	buffer_store_dword v4, v0, s[0:3], 0 offen
.LBB58_376:
	v_mov_b32_e32 v0, 0
	global_load_dword v1, v0, s[20:21] offset:212
	s_waitcnt vmcnt(0)
	v_add_nc_u32_e32 v1, -1, v1
	v_cmp_eq_u32_e32 vcc_lo, 53, v1
	s_cbranch_vccnz .LBB58_378
; %bb.377:
	v_lshlrev_b32_e32 v1, 3, v1
	s_clause 0x3
	buffer_load_dword v2, v1, s[0:3], 0 offen
	buffer_load_dword v3, v1, s[0:3], 0 offen offset:4
	buffer_load_dword v4, off, s[0:3], 0 offset:424
	buffer_load_dword v5, off, s[0:3], 0 offset:428
	s_waitcnt vmcnt(3)
	buffer_store_dword v2, off, s[0:3], 0 offset:424
	s_waitcnt vmcnt(2)
	buffer_store_dword v3, off, s[0:3], 0 offset:428
	s_waitcnt vmcnt(1)
	buffer_store_dword v4, v1, s[0:3], 0 offen
	s_waitcnt vmcnt(0)
	buffer_store_dword v5, v1, s[0:3], 0 offen offset:4
.LBB58_378:
	;; [unrolled: 43-line block ×28, first 2 shown]
	global_load_dword v0, v0, s[20:21]
	s_waitcnt vmcnt(0)
	v_add_nc_u32_e32 v0, -1, v0
	v_cmp_eq_u32_e32 vcc_lo, 0, v0
	s_cbranch_vccnz .LBB58_484
; %bb.483:
	v_lshlrev_b32_e32 v0, 3, v0
	s_clause 0x3
	buffer_load_dword v1, v0, s[0:3], 0 offen
	buffer_load_dword v2, v0, s[0:3], 0 offen offset:4
	buffer_load_dword v3, off, s[0:3], 0 offset:4
	buffer_load_dword v4, off, s[0:3], 0
	s_waitcnt vmcnt(3)
	buffer_store_dword v1, off, s[0:3], 0
	s_waitcnt vmcnt(2)
	buffer_store_dword v2, off, s[0:3], 0 offset:4
	s_waitcnt vmcnt(1)
	buffer_store_dword v3, v0, s[0:3], 0 offen offset:4
	s_waitcnt vmcnt(0)
	buffer_store_dword v4, v0, s[0:3], 0 offen
.LBB58_484:
	s_clause 0x3e
	buffer_load_dword v0, off, s[0:3], 0
	buffer_load_dword v1, off, s[0:3], 0 offset:4
	buffer_load_dword v2, off, s[0:3], 0 offset:8
	;; [unrolled: 1-line block ×62, first 2 shown]
	s_clause 0x36
	buffer_load_dword v182, off, s[0:3], 0 offset:252
	buffer_load_dword v183, off, s[0:3], 0 offset:256
	;; [unrolled: 1-line block ×55, first 2 shown]
	s_waitcnt vmcnt(62)
	global_store_dwordx2 v[107:108], v[0:1], off
	global_store_dwordx2 v[111:112], v[2:3], off
	;; [unrolled: 1-line block ×28, first 2 shown]
	s_waitcnt vmcnt(60)
	global_store_dwordx2 v[65:66], v[175:176], off
	s_waitcnt vmcnt(58)
	global_store_dwordx2 v[67:68], v[177:178], off
	;; [unrolled: 2-line block ×31, first 2 shown]
	s_endpgm
	.section	.rodata,"a",@progbits
	.p2align	6, 0x0
	.amdhsa_kernel _ZN9rocsolver6v33100L18getri_kernel_smallILi59E19rocblas_complex_numIfEPS3_EEvT1_iilPiilS6_bb
		.amdhsa_group_segment_fixed_size 952
		.amdhsa_private_segment_fixed_size 480
		.amdhsa_kernarg_size 60
		.amdhsa_user_sgpr_count 6
		.amdhsa_user_sgpr_private_segment_buffer 1
		.amdhsa_user_sgpr_dispatch_ptr 0
		.amdhsa_user_sgpr_queue_ptr 0
		.amdhsa_user_sgpr_kernarg_segment_ptr 1
		.amdhsa_user_sgpr_dispatch_id 0
		.amdhsa_user_sgpr_flat_scratch_init 0
		.amdhsa_user_sgpr_private_segment_size 0
		.amdhsa_wavefront_size32 1
		.amdhsa_uses_dynamic_stack 0
		.amdhsa_system_sgpr_private_segment_wavefront_offset 1
		.amdhsa_system_sgpr_workgroup_id_x 1
		.amdhsa_system_sgpr_workgroup_id_y 0
		.amdhsa_system_sgpr_workgroup_id_z 0
		.amdhsa_system_sgpr_workgroup_info 0
		.amdhsa_system_vgpr_workitem_id 0
		.amdhsa_next_free_vgpr 252
		.amdhsa_next_free_sgpr 23
		.amdhsa_reserve_vcc 1
		.amdhsa_reserve_flat_scratch 0
		.amdhsa_float_round_mode_32 0
		.amdhsa_float_round_mode_16_64 0
		.amdhsa_float_denorm_mode_32 3
		.amdhsa_float_denorm_mode_16_64 3
		.amdhsa_dx10_clamp 1
		.amdhsa_ieee_mode 1
		.amdhsa_fp16_overflow 0
		.amdhsa_workgroup_processor_mode 1
		.amdhsa_memory_ordered 1
		.amdhsa_forward_progress 1
		.amdhsa_shared_vgpr_count 0
		.amdhsa_exception_fp_ieee_invalid_op 0
		.amdhsa_exception_fp_denorm_src 0
		.amdhsa_exception_fp_ieee_div_zero 0
		.amdhsa_exception_fp_ieee_overflow 0
		.amdhsa_exception_fp_ieee_underflow 0
		.amdhsa_exception_fp_ieee_inexact 0
		.amdhsa_exception_int_div_zero 0
	.end_amdhsa_kernel
	.section	.text._ZN9rocsolver6v33100L18getri_kernel_smallILi59E19rocblas_complex_numIfEPS3_EEvT1_iilPiilS6_bb,"axG",@progbits,_ZN9rocsolver6v33100L18getri_kernel_smallILi59E19rocblas_complex_numIfEPS3_EEvT1_iilPiilS6_bb,comdat
.Lfunc_end58:
	.size	_ZN9rocsolver6v33100L18getri_kernel_smallILi59E19rocblas_complex_numIfEPS3_EEvT1_iilPiilS6_bb, .Lfunc_end58-_ZN9rocsolver6v33100L18getri_kernel_smallILi59E19rocblas_complex_numIfEPS3_EEvT1_iilPiilS6_bb
                                        ; -- End function
	.set _ZN9rocsolver6v33100L18getri_kernel_smallILi59E19rocblas_complex_numIfEPS3_EEvT1_iilPiilS6_bb.num_vgpr, 252
	.set _ZN9rocsolver6v33100L18getri_kernel_smallILi59E19rocblas_complex_numIfEPS3_EEvT1_iilPiilS6_bb.num_agpr, 0
	.set _ZN9rocsolver6v33100L18getri_kernel_smallILi59E19rocblas_complex_numIfEPS3_EEvT1_iilPiilS6_bb.numbered_sgpr, 23
	.set _ZN9rocsolver6v33100L18getri_kernel_smallILi59E19rocblas_complex_numIfEPS3_EEvT1_iilPiilS6_bb.num_named_barrier, 0
	.set _ZN9rocsolver6v33100L18getri_kernel_smallILi59E19rocblas_complex_numIfEPS3_EEvT1_iilPiilS6_bb.private_seg_size, 480
	.set _ZN9rocsolver6v33100L18getri_kernel_smallILi59E19rocblas_complex_numIfEPS3_EEvT1_iilPiilS6_bb.uses_vcc, 1
	.set _ZN9rocsolver6v33100L18getri_kernel_smallILi59E19rocblas_complex_numIfEPS3_EEvT1_iilPiilS6_bb.uses_flat_scratch, 0
	.set _ZN9rocsolver6v33100L18getri_kernel_smallILi59E19rocblas_complex_numIfEPS3_EEvT1_iilPiilS6_bb.has_dyn_sized_stack, 0
	.set _ZN9rocsolver6v33100L18getri_kernel_smallILi59E19rocblas_complex_numIfEPS3_EEvT1_iilPiilS6_bb.has_recursion, 0
	.set _ZN9rocsolver6v33100L18getri_kernel_smallILi59E19rocblas_complex_numIfEPS3_EEvT1_iilPiilS6_bb.has_indirect_call, 0
	.section	.AMDGPU.csdata,"",@progbits
; Kernel info:
; codeLenInByte = 127792
; TotalNumSgprs: 25
; NumVgprs: 252
; ScratchSize: 480
; MemoryBound: 0
; FloatMode: 240
; IeeeMode: 1
; LDSByteSize: 952 bytes/workgroup (compile time only)
; SGPRBlocks: 0
; VGPRBlocks: 31
; NumSGPRsForWavesPerEU: 25
; NumVGPRsForWavesPerEU: 252
; Occupancy: 4
; WaveLimiterHint : 1
; COMPUTE_PGM_RSRC2:SCRATCH_EN: 1
; COMPUTE_PGM_RSRC2:USER_SGPR: 6
; COMPUTE_PGM_RSRC2:TRAP_HANDLER: 0
; COMPUTE_PGM_RSRC2:TGID_X_EN: 1
; COMPUTE_PGM_RSRC2:TGID_Y_EN: 0
; COMPUTE_PGM_RSRC2:TGID_Z_EN: 0
; COMPUTE_PGM_RSRC2:TIDIG_COMP_CNT: 0
	.section	.text._ZN9rocsolver6v33100L18getri_kernel_smallILi60E19rocblas_complex_numIfEPS3_EEvT1_iilPiilS6_bb,"axG",@progbits,_ZN9rocsolver6v33100L18getri_kernel_smallILi60E19rocblas_complex_numIfEPS3_EEvT1_iilPiilS6_bb,comdat
	.globl	_ZN9rocsolver6v33100L18getri_kernel_smallILi60E19rocblas_complex_numIfEPS3_EEvT1_iilPiilS6_bb ; -- Begin function _ZN9rocsolver6v33100L18getri_kernel_smallILi60E19rocblas_complex_numIfEPS3_EEvT1_iilPiilS6_bb
	.p2align	8
	.type	_ZN9rocsolver6v33100L18getri_kernel_smallILi60E19rocblas_complex_numIfEPS3_EEvT1_iilPiilS6_bb,@function
_ZN9rocsolver6v33100L18getri_kernel_smallILi60E19rocblas_complex_numIfEPS3_EEvT1_iilPiilS6_bb: ; @_ZN9rocsolver6v33100L18getri_kernel_smallILi60E19rocblas_complex_numIfEPS3_EEvT1_iilPiilS6_bb
; %bb.0:
	s_add_u32 s0, s0, s7
	s_addc_u32 s1, s1, 0
	s_mov_b32 s7, exec_lo
	v_cmpx_gt_u32_e32 60, v0
	s_cbranch_execz .LBB59_254
; %bb.1:
	s_clause 0x2
	s_load_dword s7, s[4:5], 0x38
	s_load_dwordx4 s[16:19], s[4:5], 0x10
	s_load_dwordx4 s[8:11], s[4:5], 0x28
                                        ; implicit-def: $sgpr20_sgpr21
	s_waitcnt lgkmcnt(0)
	s_bitcmp1_b32 s7, 8
	s_cselect_b32 s22, -1, 0
	s_bfe_u32 s12, s7, 0x10008
	s_ashr_i32 s7, s6, 31
	s_cmp_eq_u32 s12, 0
	s_cbranch_scc1 .LBB59_3
; %bb.2:
	s_load_dword s12, s[4:5], 0x20
	s_mul_i32 s13, s8, s7
	s_mul_hi_u32 s14, s8, s6
	s_mul_i32 s9, s9, s6
	s_add_i32 s13, s14, s13
	s_mul_i32 s8, s8, s6
	s_add_i32 s9, s13, s9
	s_lshl_b64 s[8:9], s[8:9], 2
	s_waitcnt lgkmcnt(0)
	s_ashr_i32 s13, s12, 31
	s_add_u32 s14, s18, s8
	s_addc_u32 s15, s19, s9
	s_lshl_b64 s[8:9], s[12:13], 2
	s_add_u32 s20, s14, s8
	s_addc_u32 s21, s15, s9
.LBB59_3:
	s_clause 0x1
	s_load_dwordx4 s[12:15], s[4:5], 0x0
	s_load_dword s8, s[4:5], 0x38
	s_mul_i32 s4, s16, s7
	s_mul_hi_u32 s5, s16, s6
	s_mul_i32 s9, s17, s6
	s_add_i32 s5, s5, s4
	s_mul_i32 s4, s16, s6
	s_add_i32 s5, s5, s9
	s_lshl_b64 s[4:5], s[4:5], 3
	s_waitcnt lgkmcnt(0)
	v_add3_u32 v1, s15, s15, v0
	s_ashr_i32 s17, s14, 31
	s_mov_b32 s16, s14
	s_add_u32 s9, s12, s4
	s_addc_u32 s12, s13, s5
	v_add_nc_u32_e32 v3, s15, v1
	v_ashrrev_i32_e32 v2, 31, v1
	s_lshl_b64 s[4:5], s[16:17], 3
	s_add_u32 s4, s9, s4
	v_add_nc_u32_e32 v5, s15, v3
	v_ashrrev_i32_e32 v4, 31, v3
	v_lshlrev_b64 v[1:2], 3, v[1:2]
	s_addc_u32 s5, s12, s5
	s_ashr_i32 s13, s15, 31
	v_ashrrev_i32_e32 v6, 31, v5
	v_add_nc_u32_e32 v7, s15, v5
	v_lshlrev_b64 v[3:4], 3, v[3:4]
	v_add_co_u32 v13, vcc_lo, s4, v1
	v_add_co_ci_u32_e64 v14, null, s5, v2, vcc_lo
	v_lshlrev_b64 v[1:2], 3, v[5:6]
	v_ashrrev_i32_e32 v8, 31, v7
	v_add_nc_u32_e32 v5, s15, v7
	v_add_co_u32 v15, vcc_lo, s4, v3
	v_add_co_ci_u32_e64 v16, null, s5, v4, vcc_lo
	v_lshlrev_b64 v[3:4], 3, v[7:8]
	v_ashrrev_i32_e32 v6, 31, v5
	v_add_nc_u32_e32 v7, s15, v5
	;; [unrolled: 5-line block ×41, first 2 shown]
	v_add_co_u32 v95, vcc_lo, s4, v3
	v_add_co_ci_u32_e64 v96, null, s5, v4, vcc_lo
	v_lshlrev_b64 v[3:4], 3, v[7:8]
	v_add_nc_u32_e32 v7, s15, v5
	v_ashrrev_i32_e32 v6, 31, v5
	v_add_co_u32 v97, vcc_lo, s4, v1
	v_add_co_ci_u32_e64 v98, null, s5, v2, vcc_lo
	v_ashrrev_i32_e32 v8, 31, v7
	v_lshlrev_b64 v[1:2], 3, v[5:6]
	v_add_co_u32 v99, vcc_lo, s4, v3
	v_add_nc_u32_e32 v6, s15, v7
	v_add_co_ci_u32_e64 v100, null, s5, v4, vcc_lo
	v_lshlrev_b64 v[4:5], 3, v[7:8]
	v_add_co_u32 v101, vcc_lo, s4, v1
	v_ashrrev_i32_e32 v7, 31, v6
	v_lshlrev_b32_e32 v3, 3, v0
	v_add_co_ci_u32_e64 v102, null, s5, v2, vcc_lo
	v_add_co_u32 v103, vcc_lo, s4, v4
	v_add_co_ci_u32_e64 v104, null, s5, v5, vcc_lo
	v_lshlrev_b64 v[4:5], 3, v[6:7]
	v_add_nc_u32_e32 v6, s15, v6
	v_add_co_u32 v107, s9, s4, v3
	s_mov_b32 s12, s15
	v_add_co_ci_u32_e64 v108, null, s5, 0, s9
	s_lshl_b64 s[12:13], s[12:13], 3
	v_ashrrev_i32_e32 v7, 31, v6
	v_add_co_u32 v111, vcc_lo, v107, s12
	v_add_co_ci_u32_e64 v112, null, s13, v108, vcc_lo
	v_add_co_u32 v105, vcc_lo, s4, v4
	v_add_co_ci_u32_e64 v106, null, s5, v5, vcc_lo
	v_lshlrev_b64 v[4:5], 3, v[6:7]
	v_add_nc_u32_e32 v6, s15, v6
	s_clause 0xc
	global_load_dwordx2 v[1:2], v3, s[4:5]
	global_load_dwordx2 v[8:9], v[111:112], off
	global_load_dwordx2 v[10:11], v[13:14], off
	;; [unrolled: 1-line block ×12, first 2 shown]
	v_ashrrev_i32_e32 v7, 31, v6
	v_add_co_u32 v109, vcc_lo, s4, v4
	v_add_co_ci_u32_e64 v110, null, s5, v5, vcc_lo
	v_lshlrev_b64 v[4:5], 3, v[6:7]
	v_add_nc_u32_e32 v6, s15, v6
	s_clause 0xf
	global_load_dwordx2 v[153:154], v[35:36], off
	global_load_dwordx2 v[155:156], v[37:38], off
	;; [unrolled: 1-line block ×16, first 2 shown]
	v_ashrrev_i32_e32 v7, 31, v6
	v_add_co_u32 v113, vcc_lo, s4, v4
	v_add_co_ci_u32_e64 v114, null, s5, v5, vcc_lo
	v_lshlrev_b64 v[4:5], 3, v[6:7]
	v_add_nc_u32_e32 v6, s15, v6
	s_clause 0x3
	global_load_dwordx2 v[185:186], v[67:68], off
	global_load_dwordx2 v[187:188], v[69:70], off
	global_load_dwordx2 v[189:190], v[71:72], off
	global_load_dwordx2 v[191:192], v[75:76], off
	s_bitcmp0_b32 s8, 0
	v_ashrrev_i32_e32 v7, 31, v6
	v_add_co_u32 v115, vcc_lo, s4, v4
	v_add_co_ci_u32_e64 v116, null, s5, v5, vcc_lo
	v_lshlrev_b64 v[4:5], 3, v[6:7]
	v_add_nc_u32_e32 v6, s15, v6
	v_ashrrev_i32_e32 v7, 31, v6
	v_add_co_u32 v117, vcc_lo, s4, v4
	v_add_co_ci_u32_e64 v118, null, s5, v5, vcc_lo
	v_lshlrev_b64 v[4:5], 3, v[6:7]
	v_add_nc_u32_e32 v6, s15, v6
	;; [unrolled: 5-line block ×3, first 2 shown]
	v_add_co_u32 v121, vcc_lo, s4, v4
	v_add_nc_u32_e32 v4, s15, v6
	v_ashrrev_i32_e32 v7, 31, v6
	v_add_co_ci_u32_e64 v122, null, s5, v5, vcc_lo
	v_add_nc_u32_e32 v127, s15, v4
	v_ashrrev_i32_e32 v5, 31, v4
	v_lshlrev_b64 v[6:7], 3, v[6:7]
	v_add_nc_u32_e32 v129, s15, v127
	v_ashrrev_i32_e32 v128, 31, v127
	v_lshlrev_b64 v[4:5], 3, v[4:5]
	v_add_co_u32 v123, vcc_lo, s4, v6
	v_add_nc_u32_e32 v131, s15, v129
	v_ashrrev_i32_e32 v130, 31, v129
	v_lshlrev_b64 v[127:128], 3, v[127:128]
	v_add_co_ci_u32_e64 v124, null, s5, v7, vcc_lo
	v_ashrrev_i32_e32 v132, 31, v131
	v_lshlrev_b64 v[129:130], 3, v[129:130]
	v_add_co_u32 v125, vcc_lo, s4, v4
	v_add_co_ci_u32_e64 v126, null, s5, v5, vcc_lo
	v_lshlrev_b64 v[131:132], 3, v[131:132]
	v_add_co_u32 v127, vcc_lo, s4, v127
	v_add_co_ci_u32_e64 v128, null, s5, v128, vcc_lo
	v_add_co_u32 v129, vcc_lo, s4, v129
	v_add_co_ci_u32_e64 v130, null, s5, v130, vcc_lo
	;; [unrolled: 2-line block ×3, first 2 shown]
	s_clause 0x1a
	global_load_dwordx2 v[6:7], v[73:74], off
	global_load_dwordx2 v[193:194], v[77:78], off
	;; [unrolled: 1-line block ×27, first 2 shown]
	s_mov_b32 s5, -1
	s_waitcnt vmcnt(59)
	buffer_store_dword v2, off, s[0:3], 0 offset:4
	buffer_store_dword v1, off, s[0:3], 0
	s_waitcnt vmcnt(58)
	buffer_store_dword v9, off, s[0:3], 0 offset:12
	buffer_store_dword v8, off, s[0:3], 0 offset:8
	s_waitcnt vmcnt(57)
	buffer_store_dword v11, off, s[0:3], 0 offset:20
	buffer_store_dword v10, off, s[0:3], 0 offset:16
	;; [unrolled: 3-line block ×32, first 2 shown]
	buffer_store_dword v191, off, s[0:3], 0 offset:264
	buffer_store_dword v192, off, s[0:3], 0 offset:268
	s_waitcnt vmcnt(25)
	buffer_store_dword v193, off, s[0:3], 0 offset:272
	buffer_store_dword v194, off, s[0:3], 0 offset:276
	s_waitcnt vmcnt(24)
	buffer_store_dword v195, off, s[0:3], 0 offset:280
	buffer_store_dword v196, off, s[0:3], 0 offset:284
	s_waitcnt vmcnt(23)
	buffer_store_dword v197, off, s[0:3], 0 offset:288
	buffer_store_dword v198, off, s[0:3], 0 offset:292
	s_waitcnt vmcnt(22)
	buffer_store_dword v200, off, s[0:3], 0 offset:300
	buffer_store_dword v199, off, s[0:3], 0 offset:296
	s_waitcnt vmcnt(21)
	buffer_store_dword v202, off, s[0:3], 0 offset:308
	buffer_store_dword v201, off, s[0:3], 0 offset:304
	s_waitcnt vmcnt(20)
	buffer_store_dword v4, off, s[0:3], 0 offset:312
	buffer_store_dword v5, off, s[0:3], 0 offset:316
	s_waitcnt vmcnt(19)
	buffer_store_dword v203, off, s[0:3], 0 offset:320
	buffer_store_dword v204, off, s[0:3], 0 offset:324
	s_waitcnt vmcnt(18)
	buffer_store_dword v205, off, s[0:3], 0 offset:328
	buffer_store_dword v206, off, s[0:3], 0 offset:332
	s_waitcnt vmcnt(17)
	buffer_store_dword v207, off, s[0:3], 0 offset:336
	buffer_store_dword v208, off, s[0:3], 0 offset:340
	s_waitcnt vmcnt(16)
	buffer_store_dword v210, off, s[0:3], 0 offset:348
	buffer_store_dword v209, off, s[0:3], 0 offset:344
	s_waitcnt vmcnt(15)
	buffer_store_dword v212, off, s[0:3], 0 offset:356
	buffer_store_dword v211, off, s[0:3], 0 offset:352
	s_waitcnt vmcnt(14)
	buffer_store_dword v213, off, s[0:3], 0 offset:360
	buffer_store_dword v214, off, s[0:3], 0 offset:364
	s_waitcnt vmcnt(13)
	buffer_store_dword v215, off, s[0:3], 0 offset:368
	buffer_store_dword v216, off, s[0:3], 0 offset:372
	s_waitcnt vmcnt(12)
	buffer_store_dword v217, off, s[0:3], 0 offset:376
	buffer_store_dword v218, off, s[0:3], 0 offset:380
	s_waitcnt vmcnt(11)
	buffer_store_dword v219, off, s[0:3], 0 offset:384
	buffer_store_dword v220, off, s[0:3], 0 offset:388
	s_waitcnt vmcnt(10)
	buffer_store_dword v222, off, s[0:3], 0 offset:396
	buffer_store_dword v221, off, s[0:3], 0 offset:392
	s_waitcnt vmcnt(9)
	buffer_store_dword v224, off, s[0:3], 0 offset:404
	buffer_store_dword v223, off, s[0:3], 0 offset:400
	s_waitcnt vmcnt(8)
	buffer_store_dword v225, off, s[0:3], 0 offset:408
	buffer_store_dword v226, off, s[0:3], 0 offset:412
	s_waitcnt vmcnt(7)
	buffer_store_dword v227, off, s[0:3], 0 offset:416
	buffer_store_dword v228, off, s[0:3], 0 offset:420
	s_waitcnt vmcnt(6)
	buffer_store_dword v229, off, s[0:3], 0 offset:424
	buffer_store_dword v230, off, s[0:3], 0 offset:428
	s_waitcnt vmcnt(5)
	buffer_store_dword v231, off, s[0:3], 0 offset:432
	buffer_store_dword v232, off, s[0:3], 0 offset:436
	s_waitcnt vmcnt(4)
	buffer_store_dword v234, off, s[0:3], 0 offset:444
	buffer_store_dword v233, off, s[0:3], 0 offset:440
	s_waitcnt vmcnt(3)
	buffer_store_dword v236, off, s[0:3], 0 offset:452
	buffer_store_dword v235, off, s[0:3], 0 offset:448
	s_waitcnt vmcnt(2)
	buffer_store_dword v237, off, s[0:3], 0 offset:456
	buffer_store_dword v238, off, s[0:3], 0 offset:460
	s_waitcnt vmcnt(1)
	buffer_store_dword v239, off, s[0:3], 0 offset:464
	buffer_store_dword v240, off, s[0:3], 0 offset:468
	s_waitcnt vmcnt(0)
	buffer_store_dword v241, off, s[0:3], 0 offset:472
	buffer_store_dword v242, off, s[0:3], 0 offset:476
	s_cbranch_scc1 .LBB59_252
; %bb.4:
	v_cmp_eq_u32_e64 s4, 0, v0
	s_and_saveexec_b32 s5, s4
; %bb.5:
	v_mov_b32_e32 v1, 0
	ds_write_b32 v1, v1 offset:960
; %bb.6:
	s_or_b32 exec_lo, exec_lo, s5
	v_lshl_add_u32 v5, v0, 3, 0
	s_waitcnt lgkmcnt(0)
	s_waitcnt_vscnt null, 0x0
	s_barrier
	buffer_gl0_inv
	s_clause 0x1
	buffer_load_dword v1, v5, s[0:3], 0 offen
	buffer_load_dword v2, v5, s[0:3], 0 offen offset:4
	s_waitcnt vmcnt(1)
	v_cmp_eq_f32_e32 vcc_lo, 0, v1
	s_waitcnt vmcnt(0)
	v_cmp_eq_f32_e64 s5, 0, v2
	s_and_b32 s5, vcc_lo, s5
	s_and_saveexec_b32 s8, s5
	s_cbranch_execz .LBB59_10
; %bb.7:
	v_mov_b32_e32 v1, 0
	s_mov_b32 s9, 0
	ds_read_b32 v2, v1 offset:960
	s_waitcnt lgkmcnt(0)
	v_readfirstlane_b32 s5, v2
	v_add_nc_u32_e32 v2, 1, v0
	s_cmp_eq_u32 s5, 0
	v_cmp_gt_i32_e32 vcc_lo, s5, v2
	s_cselect_b32 s12, -1, 0
	s_or_b32 s12, s12, vcc_lo
	s_and_b32 exec_lo, exec_lo, s12
	s_cbranch_execz .LBB59_10
; %bb.8:
	v_mov_b32_e32 v4, s5
.LBB59_9:                               ; =>This Inner Loop Header: Depth=1
	ds_cmpst_rtn_b32 v4, v1, v4, v2 offset:960
	s_waitcnt lgkmcnt(0)
	v_cmp_ne_u32_e32 vcc_lo, 0, v4
	v_cmp_le_i32_e64 s5, v4, v2
	s_and_b32 s5, vcc_lo, s5
	s_and_b32 s5, exec_lo, s5
	s_or_b32 s9, s5, s9
	s_andn2_b32 exec_lo, exec_lo, s9
	s_cbranch_execnz .LBB59_9
.LBB59_10:
	s_or_b32 exec_lo, exec_lo, s8
	v_mov_b32_e32 v1, 0
	s_barrier
	buffer_gl0_inv
	ds_read_b32 v2, v1 offset:960
	s_and_saveexec_b32 s5, s4
	s_cbranch_execz .LBB59_12
; %bb.11:
	s_lshl_b64 s[8:9], s[6:7], 2
	s_add_u32 s8, s10, s8
	s_addc_u32 s9, s11, s9
	s_waitcnt lgkmcnt(0)
	global_store_dword v1, v2, s[8:9]
.LBB59_12:
	s_or_b32 exec_lo, exec_lo, s5
	s_waitcnt lgkmcnt(0)
	v_cmp_ne_u32_e32 vcc_lo, 0, v2
	s_mov_b32 s5, 0
	s_cbranch_vccnz .LBB59_252
; %bb.13:
	s_clause 0x1
	buffer_load_dword v2, v5, s[0:3], 0 offen
	buffer_load_dword v4, v5, s[0:3], 0 offen offset:4
                                        ; implicit-def: $vgpr7
                                        ; implicit-def: $vgpr6
                                        ; implicit-def: $vgpr1
	s_waitcnt vmcnt(0)
	v_cmp_ngt_f32_e64 s5, |v2|, |v4|
	s_and_saveexec_b32 s8, s5
	s_xor_b32 s5, exec_lo, s8
	s_cbranch_execz .LBB59_15
; %bb.14:
	v_div_scale_f32 v1, null, v4, v4, v2
	v_div_scale_f32 v8, vcc_lo, v2, v4, v2
	v_rcp_f32_e32 v6, v1
	v_fma_f32 v7, -v1, v6, 1.0
	v_fmac_f32_e32 v6, v7, v6
	v_mul_f32_e32 v7, v8, v6
	v_fma_f32 v9, -v1, v7, v8
	v_fmac_f32_e32 v7, v9, v6
	v_fma_f32 v1, -v1, v7, v8
	v_div_fmas_f32 v1, v1, v6, v7
	v_div_fixup_f32 v1, v1, v4, v2
	v_fmac_f32_e32 v4, v2, v1
	v_div_scale_f32 v2, null, v4, v4, 1.0
	v_rcp_f32_e32 v6, v2
	v_fma_f32 v7, -v2, v6, 1.0
	v_fmac_f32_e32 v6, v7, v6
	v_div_scale_f32 v7, vcc_lo, 1.0, v4, 1.0
	v_mul_f32_e32 v8, v7, v6
	v_fma_f32 v9, -v2, v8, v7
	v_fmac_f32_e32 v8, v9, v6
	v_fma_f32 v2, -v2, v8, v7
	v_div_fmas_f32 v2, v2, v6, v8
	v_div_fixup_f32 v2, v2, v4, 1.0
                                        ; implicit-def: $vgpr4
	v_mul_f32_e32 v7, v1, v2
	v_xor_b32_e32 v6, 0x80000000, v2
                                        ; implicit-def: $vgpr2
	v_xor_b32_e32 v1, 0x80000000, v7
.LBB59_15:
	s_andn2_saveexec_b32 s5, s5
	s_cbranch_execz .LBB59_17
; %bb.16:
	v_div_scale_f32 v1, null, v2, v2, v4
	v_div_scale_f32 v8, vcc_lo, v4, v2, v4
	v_rcp_f32_e32 v6, v1
	v_fma_f32 v7, -v1, v6, 1.0
	v_fmac_f32_e32 v6, v7, v6
	v_mul_f32_e32 v7, v8, v6
	v_fma_f32 v9, -v1, v7, v8
	v_fmac_f32_e32 v7, v9, v6
	v_fma_f32 v1, -v1, v7, v8
	v_div_fmas_f32 v1, v1, v6, v7
	v_div_fixup_f32 v6, v1, v2, v4
	v_fmac_f32_e32 v2, v4, v6
	v_div_scale_f32 v1, null, v2, v2, 1.0
	v_div_scale_f32 v8, vcc_lo, 1.0, v2, 1.0
	v_rcp_f32_e32 v4, v1
	v_fma_f32 v7, -v1, v4, 1.0
	v_fmac_f32_e32 v4, v7, v4
	v_mul_f32_e32 v7, v8, v4
	v_fma_f32 v9, -v1, v7, v8
	v_fmac_f32_e32 v7, v9, v4
	v_fma_f32 v1, -v1, v7, v8
	v_div_fmas_f32 v1, v1, v4, v7
	v_div_fixup_f32 v7, v1, v2, 1.0
	v_xor_b32_e32 v1, 0x80000000, v7
	v_mul_f32_e64 v6, v6, -v7
.LBB59_17:
	s_or_b32 exec_lo, exec_lo, s5
	buffer_store_dword v7, v5, s[0:3], 0 offen
	buffer_store_dword v6, v5, s[0:3], 0 offen offset:4
	s_clause 0x1
	buffer_load_dword v8, off, s[0:3], 0 offset:12
	buffer_load_dword v7, off, s[0:3], 0 offset:8
	v_xor_b32_e32 v2, 0x80000000, v6
	v_add_nc_u32_e32 v4, 0x1e0, v3
	s_waitcnt vmcnt(0)
	ds_write2_b64 v3, v[1:2], v[7:8] offset1:60
	s_waitcnt lgkmcnt(0)
	s_waitcnt_vscnt null, 0x0
	s_barrier
	buffer_gl0_inv
	s_and_saveexec_b32 s5, s4
	s_cbranch_execz .LBB59_19
; %bb.18:
	s_clause 0x1
	buffer_load_dword v8, v5, s[0:3], 0 offen offset:4
	buffer_load_dword v9, v5, s[0:3], 0 offen
	ds_read_b64 v[1:2], v4
	v_mov_b32_e32 v6, 0
	ds_read_b64 v[6:7], v6 offset:8
	s_waitcnt vmcnt(1) lgkmcnt(1)
	v_mul_f32_e32 v10, v1, v8
	v_mul_f32_e32 v8, v2, v8
	s_waitcnt vmcnt(0)
	v_fmac_f32_e32 v10, v2, v9
	v_fma_f32 v1, v1, v9, -v8
	v_add_f32_e32 v2, 0, v10
	v_add_f32_e32 v1, 0, v1
	s_waitcnt lgkmcnt(0)
	v_mul_f32_e32 v8, v2, v7
	v_mul_f32_e32 v7, v1, v7
	v_fma_f32 v1, v1, v6, -v8
	v_fmac_f32_e32 v7, v2, v6
	buffer_store_dword v1, off, s[0:3], 0 offset:8
	buffer_store_dword v7, off, s[0:3], 0 offset:12
.LBB59_19:
	s_or_b32 exec_lo, exec_lo, s5
	s_waitcnt_vscnt null, 0x0
	s_barrier
	buffer_gl0_inv
	s_clause 0x1
	buffer_load_dword v1, off, s[0:3], 0 offset:16
	buffer_load_dword v2, off, s[0:3], 0 offset:20
	s_mov_b32 s5, exec_lo
	s_waitcnt vmcnt(0)
	ds_write_b64 v4, v[1:2]
	s_waitcnt lgkmcnt(0)
	s_barrier
	buffer_gl0_inv
	v_cmpx_gt_u32_e32 2, v0
	s_cbranch_execz .LBB59_23
; %bb.20:
	s_clause 0x1
	buffer_load_dword v6, v5, s[0:3], 0 offen offset:4
	buffer_load_dword v5, v5, s[0:3], 0 offen
	ds_read_b64 v[1:2], v4
	s_waitcnt vmcnt(1) lgkmcnt(0)
	v_mul_f32_e32 v7, v2, v6
	v_mul_f32_e32 v6, v1, v6
	s_waitcnt vmcnt(0)
	v_fma_f32 v1, v1, v5, -v7
	v_fmac_f32_e32 v6, v2, v5
	v_add_f32_e32 v2, 0, v1
	v_add_f32_e32 v1, 0, v6
	s_and_saveexec_b32 s8, s4
	s_cbranch_execz .LBB59_22
; %bb.21:
	s_clause 0x1
	buffer_load_dword v7, off, s[0:3], 0 offset:12
	buffer_load_dword v8, off, s[0:3], 0 offset:8
	v_mov_b32_e32 v5, 0
	ds_read_b64 v[5:6], v5 offset:488
	s_waitcnt vmcnt(1) lgkmcnt(0)
	v_mul_f32_e32 v9, v5, v7
	v_mul_f32_e32 v7, v6, v7
	s_waitcnt vmcnt(0)
	v_fmac_f32_e32 v9, v6, v8
	v_fma_f32 v5, v5, v8, -v7
	v_add_f32_e32 v1, v1, v9
	v_add_f32_e32 v2, v2, v5
.LBB59_22:
	s_or_b32 exec_lo, exec_lo, s8
	v_mov_b32_e32 v5, 0
	ds_read_b64 v[5:6], v5 offset:16
	s_waitcnt lgkmcnt(0)
	v_mul_f32_e32 v7, v1, v6
	v_mul_f32_e32 v6, v2, v6
	v_fma_f32 v2, v2, v5, -v7
	v_fmac_f32_e32 v6, v1, v5
	buffer_store_dword v2, off, s[0:3], 0 offset:16
	buffer_store_dword v6, off, s[0:3], 0 offset:20
.LBB59_23:
	s_or_b32 exec_lo, exec_lo, s5
	s_waitcnt_vscnt null, 0x0
	s_barrier
	buffer_gl0_inv
	s_clause 0x1
	buffer_load_dword v5, off, s[0:3], 0 offset:24
	buffer_load_dword v6, off, s[0:3], 0 offset:28
	v_add_nc_u32_e32 v1, -1, v0
	s_mov_b32 s4, exec_lo
	s_waitcnt vmcnt(0)
	ds_write_b64 v4, v[5:6]
	s_waitcnt lgkmcnt(0)
	s_barrier
	buffer_gl0_inv
	v_cmpx_gt_u32_e32 3, v0
	s_cbranch_execz .LBB59_27
; %bb.24:
	v_add_nc_u32_e32 v5, -1, v0
	v_add_nc_u32_e32 v6, 0x1e0, v3
	v_mov_b32_e32 v7, v3
	v_mov_b32_e32 v2, 0
	v_mov_b32_e32 v8, 0
	s_mov_b32 s5, 0
	.p2align	6
.LBB59_25:                              ; =>This Inner Loop Header: Depth=1
	s_clause 0x1
	buffer_load_dword v11, v7, s[0:3], 0 offen offset:4
	buffer_load_dword v12, v7, s[0:3], 0 offen
	ds_read_b64 v[9:10], v6
	v_add_nc_u32_e32 v5, 1, v5
	v_add_nc_u32_e32 v6, 8, v6
	;; [unrolled: 1-line block ×3, first 2 shown]
	v_cmp_lt_u32_e32 vcc_lo, 1, v5
	s_or_b32 s5, vcc_lo, s5
	s_waitcnt vmcnt(1) lgkmcnt(0)
	v_mul_f32_e32 v133, v10, v11
	v_mul_f32_e32 v11, v9, v11
	s_waitcnt vmcnt(0)
	v_fma_f32 v9, v9, v12, -v133
	v_fmac_f32_e32 v11, v10, v12
	v_add_f32_e32 v8, v8, v9
	v_add_f32_e32 v2, v2, v11
	s_andn2_b32 exec_lo, exec_lo, s5
	s_cbranch_execnz .LBB59_25
; %bb.26:
	s_or_b32 exec_lo, exec_lo, s5
	v_mov_b32_e32 v5, 0
	ds_read_b64 v[5:6], v5 offset:24
	s_waitcnt lgkmcnt(0)
	v_mul_f32_e32 v7, v2, v6
	v_mul_f32_e32 v6, v8, v6
	v_fma_f32 v7, v8, v5, -v7
	v_fmac_f32_e32 v6, v2, v5
	buffer_store_dword v7, off, s[0:3], 0 offset:24
	buffer_store_dword v6, off, s[0:3], 0 offset:28
.LBB59_27:
	s_or_b32 exec_lo, exec_lo, s4
	s_waitcnt_vscnt null, 0x0
	s_barrier
	buffer_gl0_inv
	s_clause 0x1
	buffer_load_dword v5, off, s[0:3], 0 offset:32
	buffer_load_dword v6, off, s[0:3], 0 offset:36
	s_mov_b32 s4, exec_lo
	s_waitcnt vmcnt(0)
	ds_write_b64 v4, v[5:6]
	s_waitcnt lgkmcnt(0)
	s_barrier
	buffer_gl0_inv
	v_cmpx_gt_u32_e32 4, v0
	s_cbranch_execz .LBB59_31
; %bb.28:
	v_add_nc_u32_e32 v5, -1, v0
	v_add_nc_u32_e32 v6, 0x1e0, v3
	v_mov_b32_e32 v7, v3
	v_mov_b32_e32 v2, 0
	;; [unrolled: 1-line block ×3, first 2 shown]
	s_mov_b32 s5, 0
	.p2align	6
.LBB59_29:                              ; =>This Inner Loop Header: Depth=1
	s_clause 0x1
	buffer_load_dword v11, v7, s[0:3], 0 offen offset:4
	buffer_load_dword v12, v7, s[0:3], 0 offen
	ds_read_b64 v[9:10], v6
	v_add_nc_u32_e32 v5, 1, v5
	v_add_nc_u32_e32 v6, 8, v6
	;; [unrolled: 1-line block ×3, first 2 shown]
	v_cmp_lt_u32_e32 vcc_lo, 2, v5
	s_or_b32 s5, vcc_lo, s5
	s_waitcnt vmcnt(1) lgkmcnt(0)
	v_mul_f32_e32 v133, v10, v11
	v_mul_f32_e32 v11, v9, v11
	s_waitcnt vmcnt(0)
	v_fma_f32 v9, v9, v12, -v133
	v_fmac_f32_e32 v11, v10, v12
	v_add_f32_e32 v8, v8, v9
	v_add_f32_e32 v2, v2, v11
	s_andn2_b32 exec_lo, exec_lo, s5
	s_cbranch_execnz .LBB59_29
; %bb.30:
	s_or_b32 exec_lo, exec_lo, s5
	v_mov_b32_e32 v5, 0
	ds_read_b64 v[5:6], v5 offset:32
	s_waitcnt lgkmcnt(0)
	v_mul_f32_e32 v7, v2, v6
	v_mul_f32_e32 v6, v8, v6
	v_fma_f32 v7, v8, v5, -v7
	v_fmac_f32_e32 v6, v2, v5
	buffer_store_dword v7, off, s[0:3], 0 offset:32
	buffer_store_dword v6, off, s[0:3], 0 offset:36
.LBB59_31:
	s_or_b32 exec_lo, exec_lo, s4
	s_waitcnt_vscnt null, 0x0
	s_barrier
	buffer_gl0_inv
	s_clause 0x1
	buffer_load_dword v5, off, s[0:3], 0 offset:40
	buffer_load_dword v6, off, s[0:3], 0 offset:44
	s_mov_b32 s4, exec_lo
	s_waitcnt vmcnt(0)
	ds_write_b64 v4, v[5:6]
	s_waitcnt lgkmcnt(0)
	s_barrier
	buffer_gl0_inv
	v_cmpx_gt_u32_e32 5, v0
	s_cbranch_execz .LBB59_35
; %bb.32:
	v_add_nc_u32_e32 v5, -1, v0
	v_add_nc_u32_e32 v6, 0x1e0, v3
	v_mov_b32_e32 v7, v3
	v_mov_b32_e32 v2, 0
	;; [unrolled: 1-line block ×3, first 2 shown]
	s_mov_b32 s5, 0
	.p2align	6
.LBB59_33:                              ; =>This Inner Loop Header: Depth=1
	s_clause 0x1
	buffer_load_dword v11, v7, s[0:3], 0 offen offset:4
	buffer_load_dword v12, v7, s[0:3], 0 offen
	ds_read_b64 v[9:10], v6
	v_add_nc_u32_e32 v5, 1, v5
	v_add_nc_u32_e32 v6, 8, v6
	;; [unrolled: 1-line block ×3, first 2 shown]
	v_cmp_lt_u32_e32 vcc_lo, 3, v5
	s_or_b32 s5, vcc_lo, s5
	s_waitcnt vmcnt(1) lgkmcnt(0)
	v_mul_f32_e32 v133, v10, v11
	v_mul_f32_e32 v11, v9, v11
	s_waitcnt vmcnt(0)
	v_fma_f32 v9, v9, v12, -v133
	v_fmac_f32_e32 v11, v10, v12
	v_add_f32_e32 v8, v8, v9
	v_add_f32_e32 v2, v2, v11
	s_andn2_b32 exec_lo, exec_lo, s5
	s_cbranch_execnz .LBB59_33
; %bb.34:
	s_or_b32 exec_lo, exec_lo, s5
	v_mov_b32_e32 v5, 0
	ds_read_b64 v[5:6], v5 offset:40
	s_waitcnt lgkmcnt(0)
	v_mul_f32_e32 v7, v2, v6
	v_mul_f32_e32 v6, v8, v6
	v_fma_f32 v7, v8, v5, -v7
	v_fmac_f32_e32 v6, v2, v5
	buffer_store_dword v7, off, s[0:3], 0 offset:40
	buffer_store_dword v6, off, s[0:3], 0 offset:44
.LBB59_35:
	s_or_b32 exec_lo, exec_lo, s4
	s_waitcnt_vscnt null, 0x0
	s_barrier
	buffer_gl0_inv
	s_clause 0x1
	buffer_load_dword v5, off, s[0:3], 0 offset:48
	buffer_load_dword v6, off, s[0:3], 0 offset:52
	s_mov_b32 s4, exec_lo
	s_waitcnt vmcnt(0)
	ds_write_b64 v4, v[5:6]
	s_waitcnt lgkmcnt(0)
	s_barrier
	buffer_gl0_inv
	v_cmpx_gt_u32_e32 6, v0
	s_cbranch_execz .LBB59_39
; %bb.36:
	v_add_nc_u32_e32 v5, -1, v0
	v_add_nc_u32_e32 v6, 0x1e0, v3
	v_mov_b32_e32 v7, v3
	v_mov_b32_e32 v2, 0
	;; [unrolled: 1-line block ×3, first 2 shown]
	s_mov_b32 s5, 0
	.p2align	6
.LBB59_37:                              ; =>This Inner Loop Header: Depth=1
	s_clause 0x1
	buffer_load_dword v11, v7, s[0:3], 0 offen offset:4
	buffer_load_dword v12, v7, s[0:3], 0 offen
	ds_read_b64 v[9:10], v6
	v_add_nc_u32_e32 v5, 1, v5
	v_add_nc_u32_e32 v6, 8, v6
	;; [unrolled: 1-line block ×3, first 2 shown]
	v_cmp_lt_u32_e32 vcc_lo, 4, v5
	s_or_b32 s5, vcc_lo, s5
	s_waitcnt vmcnt(1) lgkmcnt(0)
	v_mul_f32_e32 v133, v10, v11
	v_mul_f32_e32 v11, v9, v11
	s_waitcnt vmcnt(0)
	v_fma_f32 v9, v9, v12, -v133
	v_fmac_f32_e32 v11, v10, v12
	v_add_f32_e32 v8, v8, v9
	v_add_f32_e32 v2, v2, v11
	s_andn2_b32 exec_lo, exec_lo, s5
	s_cbranch_execnz .LBB59_37
; %bb.38:
	s_or_b32 exec_lo, exec_lo, s5
	v_mov_b32_e32 v5, 0
	ds_read_b64 v[5:6], v5 offset:48
	s_waitcnt lgkmcnt(0)
	v_mul_f32_e32 v7, v2, v6
	v_mul_f32_e32 v6, v8, v6
	v_fma_f32 v7, v8, v5, -v7
	v_fmac_f32_e32 v6, v2, v5
	buffer_store_dword v7, off, s[0:3], 0 offset:48
	buffer_store_dword v6, off, s[0:3], 0 offset:52
.LBB59_39:
	s_or_b32 exec_lo, exec_lo, s4
	s_waitcnt_vscnt null, 0x0
	s_barrier
	buffer_gl0_inv
	s_clause 0x1
	buffer_load_dword v5, off, s[0:3], 0 offset:56
	buffer_load_dword v6, off, s[0:3], 0 offset:60
	s_mov_b32 s4, exec_lo
	s_waitcnt vmcnt(0)
	ds_write_b64 v4, v[5:6]
	s_waitcnt lgkmcnt(0)
	s_barrier
	buffer_gl0_inv
	v_cmpx_gt_u32_e32 7, v0
	s_cbranch_execz .LBB59_43
; %bb.40:
	v_add_nc_u32_e32 v5, -1, v0
	v_add_nc_u32_e32 v6, 0x1e0, v3
	v_mov_b32_e32 v7, v3
	v_mov_b32_e32 v2, 0
	;; [unrolled: 1-line block ×3, first 2 shown]
	s_mov_b32 s5, 0
	.p2align	6
.LBB59_41:                              ; =>This Inner Loop Header: Depth=1
	s_clause 0x1
	buffer_load_dword v11, v7, s[0:3], 0 offen offset:4
	buffer_load_dword v12, v7, s[0:3], 0 offen
	ds_read_b64 v[9:10], v6
	v_add_nc_u32_e32 v5, 1, v5
	v_add_nc_u32_e32 v6, 8, v6
	;; [unrolled: 1-line block ×3, first 2 shown]
	v_cmp_lt_u32_e32 vcc_lo, 5, v5
	s_or_b32 s5, vcc_lo, s5
	s_waitcnt vmcnt(1) lgkmcnt(0)
	v_mul_f32_e32 v133, v10, v11
	v_mul_f32_e32 v11, v9, v11
	s_waitcnt vmcnt(0)
	v_fma_f32 v9, v9, v12, -v133
	v_fmac_f32_e32 v11, v10, v12
	v_add_f32_e32 v8, v8, v9
	v_add_f32_e32 v2, v2, v11
	s_andn2_b32 exec_lo, exec_lo, s5
	s_cbranch_execnz .LBB59_41
; %bb.42:
	s_or_b32 exec_lo, exec_lo, s5
	v_mov_b32_e32 v5, 0
	ds_read_b64 v[5:6], v5 offset:56
	s_waitcnt lgkmcnt(0)
	v_mul_f32_e32 v7, v2, v6
	v_mul_f32_e32 v6, v8, v6
	v_fma_f32 v7, v8, v5, -v7
	v_fmac_f32_e32 v6, v2, v5
	buffer_store_dword v7, off, s[0:3], 0 offset:56
	buffer_store_dword v6, off, s[0:3], 0 offset:60
.LBB59_43:
	s_or_b32 exec_lo, exec_lo, s4
	s_waitcnt_vscnt null, 0x0
	s_barrier
	buffer_gl0_inv
	s_clause 0x1
	buffer_load_dword v5, off, s[0:3], 0 offset:64
	buffer_load_dword v6, off, s[0:3], 0 offset:68
	s_mov_b32 s4, exec_lo
	s_waitcnt vmcnt(0)
	ds_write_b64 v4, v[5:6]
	s_waitcnt lgkmcnt(0)
	s_barrier
	buffer_gl0_inv
	v_cmpx_gt_u32_e32 8, v0
	s_cbranch_execz .LBB59_47
; %bb.44:
	v_add_nc_u32_e32 v5, -1, v0
	v_add_nc_u32_e32 v6, 0x1e0, v3
	v_mov_b32_e32 v7, v3
	v_mov_b32_e32 v2, 0
	;; [unrolled: 1-line block ×3, first 2 shown]
	s_mov_b32 s5, 0
	.p2align	6
.LBB59_45:                              ; =>This Inner Loop Header: Depth=1
	s_clause 0x1
	buffer_load_dword v11, v7, s[0:3], 0 offen offset:4
	buffer_load_dword v12, v7, s[0:3], 0 offen
	ds_read_b64 v[9:10], v6
	v_add_nc_u32_e32 v5, 1, v5
	v_add_nc_u32_e32 v6, 8, v6
	;; [unrolled: 1-line block ×3, first 2 shown]
	v_cmp_lt_u32_e32 vcc_lo, 6, v5
	s_or_b32 s5, vcc_lo, s5
	s_waitcnt vmcnt(1) lgkmcnt(0)
	v_mul_f32_e32 v133, v10, v11
	v_mul_f32_e32 v11, v9, v11
	s_waitcnt vmcnt(0)
	v_fma_f32 v9, v9, v12, -v133
	v_fmac_f32_e32 v11, v10, v12
	v_add_f32_e32 v8, v8, v9
	v_add_f32_e32 v2, v2, v11
	s_andn2_b32 exec_lo, exec_lo, s5
	s_cbranch_execnz .LBB59_45
; %bb.46:
	s_or_b32 exec_lo, exec_lo, s5
	v_mov_b32_e32 v5, 0
	ds_read_b64 v[5:6], v5 offset:64
	s_waitcnt lgkmcnt(0)
	v_mul_f32_e32 v7, v2, v6
	v_mul_f32_e32 v6, v8, v6
	v_fma_f32 v7, v8, v5, -v7
	v_fmac_f32_e32 v6, v2, v5
	buffer_store_dword v7, off, s[0:3], 0 offset:64
	buffer_store_dword v6, off, s[0:3], 0 offset:68
.LBB59_47:
	s_or_b32 exec_lo, exec_lo, s4
	s_waitcnt_vscnt null, 0x0
	s_barrier
	buffer_gl0_inv
	s_clause 0x1
	buffer_load_dword v5, off, s[0:3], 0 offset:72
	buffer_load_dword v6, off, s[0:3], 0 offset:76
	s_mov_b32 s4, exec_lo
	s_waitcnt vmcnt(0)
	ds_write_b64 v4, v[5:6]
	s_waitcnt lgkmcnt(0)
	s_barrier
	buffer_gl0_inv
	v_cmpx_gt_u32_e32 9, v0
	s_cbranch_execz .LBB59_51
; %bb.48:
	v_add_nc_u32_e32 v5, -1, v0
	v_add_nc_u32_e32 v6, 0x1e0, v3
	v_mov_b32_e32 v7, v3
	v_mov_b32_e32 v2, 0
	v_mov_b32_e32 v8, 0
	s_mov_b32 s5, 0
	.p2align	6
.LBB59_49:                              ; =>This Inner Loop Header: Depth=1
	s_clause 0x1
	buffer_load_dword v11, v7, s[0:3], 0 offen offset:4
	buffer_load_dword v12, v7, s[0:3], 0 offen
	ds_read_b64 v[9:10], v6
	v_add_nc_u32_e32 v5, 1, v5
	v_add_nc_u32_e32 v6, 8, v6
	;; [unrolled: 1-line block ×3, first 2 shown]
	v_cmp_lt_u32_e32 vcc_lo, 7, v5
	s_or_b32 s5, vcc_lo, s5
	s_waitcnt vmcnt(1) lgkmcnt(0)
	v_mul_f32_e32 v133, v10, v11
	v_mul_f32_e32 v11, v9, v11
	s_waitcnt vmcnt(0)
	v_fma_f32 v9, v9, v12, -v133
	v_fmac_f32_e32 v11, v10, v12
	v_add_f32_e32 v8, v8, v9
	v_add_f32_e32 v2, v2, v11
	s_andn2_b32 exec_lo, exec_lo, s5
	s_cbranch_execnz .LBB59_49
; %bb.50:
	s_or_b32 exec_lo, exec_lo, s5
	v_mov_b32_e32 v5, 0
	ds_read_b64 v[5:6], v5 offset:72
	s_waitcnt lgkmcnt(0)
	v_mul_f32_e32 v7, v2, v6
	v_mul_f32_e32 v6, v8, v6
	v_fma_f32 v7, v8, v5, -v7
	v_fmac_f32_e32 v6, v2, v5
	buffer_store_dword v7, off, s[0:3], 0 offset:72
	buffer_store_dword v6, off, s[0:3], 0 offset:76
.LBB59_51:
	s_or_b32 exec_lo, exec_lo, s4
	s_waitcnt_vscnt null, 0x0
	s_barrier
	buffer_gl0_inv
	s_clause 0x1
	buffer_load_dword v5, off, s[0:3], 0 offset:80
	buffer_load_dword v6, off, s[0:3], 0 offset:84
	s_mov_b32 s4, exec_lo
	s_waitcnt vmcnt(0)
	ds_write_b64 v4, v[5:6]
	s_waitcnt lgkmcnt(0)
	s_barrier
	buffer_gl0_inv
	v_cmpx_gt_u32_e32 10, v0
	s_cbranch_execz .LBB59_55
; %bb.52:
	v_add_nc_u32_e32 v5, -1, v0
	v_add_nc_u32_e32 v6, 0x1e0, v3
	v_mov_b32_e32 v7, v3
	v_mov_b32_e32 v2, 0
	;; [unrolled: 1-line block ×3, first 2 shown]
	s_mov_b32 s5, 0
	.p2align	6
.LBB59_53:                              ; =>This Inner Loop Header: Depth=1
	s_clause 0x1
	buffer_load_dword v11, v7, s[0:3], 0 offen offset:4
	buffer_load_dword v12, v7, s[0:3], 0 offen
	ds_read_b64 v[9:10], v6
	v_add_nc_u32_e32 v5, 1, v5
	v_add_nc_u32_e32 v6, 8, v6
	;; [unrolled: 1-line block ×3, first 2 shown]
	v_cmp_lt_u32_e32 vcc_lo, 8, v5
	s_or_b32 s5, vcc_lo, s5
	s_waitcnt vmcnt(1) lgkmcnt(0)
	v_mul_f32_e32 v133, v10, v11
	v_mul_f32_e32 v11, v9, v11
	s_waitcnt vmcnt(0)
	v_fma_f32 v9, v9, v12, -v133
	v_fmac_f32_e32 v11, v10, v12
	v_add_f32_e32 v8, v8, v9
	v_add_f32_e32 v2, v2, v11
	s_andn2_b32 exec_lo, exec_lo, s5
	s_cbranch_execnz .LBB59_53
; %bb.54:
	s_or_b32 exec_lo, exec_lo, s5
	v_mov_b32_e32 v5, 0
	ds_read_b64 v[5:6], v5 offset:80
	s_waitcnt lgkmcnt(0)
	v_mul_f32_e32 v7, v2, v6
	v_mul_f32_e32 v6, v8, v6
	v_fma_f32 v7, v8, v5, -v7
	v_fmac_f32_e32 v6, v2, v5
	buffer_store_dword v7, off, s[0:3], 0 offset:80
	buffer_store_dword v6, off, s[0:3], 0 offset:84
.LBB59_55:
	s_or_b32 exec_lo, exec_lo, s4
	s_waitcnt_vscnt null, 0x0
	s_barrier
	buffer_gl0_inv
	s_clause 0x1
	buffer_load_dword v5, off, s[0:3], 0 offset:88
	buffer_load_dword v6, off, s[0:3], 0 offset:92
	s_mov_b32 s4, exec_lo
	s_waitcnt vmcnt(0)
	ds_write_b64 v4, v[5:6]
	s_waitcnt lgkmcnt(0)
	s_barrier
	buffer_gl0_inv
	v_cmpx_gt_u32_e32 11, v0
	s_cbranch_execz .LBB59_59
; %bb.56:
	v_add_nc_u32_e32 v5, -1, v0
	v_add_nc_u32_e32 v6, 0x1e0, v3
	v_mov_b32_e32 v7, v3
	v_mov_b32_e32 v2, 0
	;; [unrolled: 1-line block ×3, first 2 shown]
	s_mov_b32 s5, 0
	.p2align	6
.LBB59_57:                              ; =>This Inner Loop Header: Depth=1
	s_clause 0x1
	buffer_load_dword v11, v7, s[0:3], 0 offen offset:4
	buffer_load_dword v12, v7, s[0:3], 0 offen
	ds_read_b64 v[9:10], v6
	v_add_nc_u32_e32 v5, 1, v5
	v_add_nc_u32_e32 v6, 8, v6
	v_add_nc_u32_e32 v7, 8, v7
	v_cmp_lt_u32_e32 vcc_lo, 9, v5
	s_or_b32 s5, vcc_lo, s5
	s_waitcnt vmcnt(1) lgkmcnt(0)
	v_mul_f32_e32 v133, v10, v11
	v_mul_f32_e32 v11, v9, v11
	s_waitcnt vmcnt(0)
	v_fma_f32 v9, v9, v12, -v133
	v_fmac_f32_e32 v11, v10, v12
	v_add_f32_e32 v8, v8, v9
	v_add_f32_e32 v2, v2, v11
	s_andn2_b32 exec_lo, exec_lo, s5
	s_cbranch_execnz .LBB59_57
; %bb.58:
	s_or_b32 exec_lo, exec_lo, s5
	v_mov_b32_e32 v5, 0
	ds_read_b64 v[5:6], v5 offset:88
	s_waitcnt lgkmcnt(0)
	v_mul_f32_e32 v7, v2, v6
	v_mul_f32_e32 v6, v8, v6
	v_fma_f32 v7, v8, v5, -v7
	v_fmac_f32_e32 v6, v2, v5
	buffer_store_dword v7, off, s[0:3], 0 offset:88
	buffer_store_dword v6, off, s[0:3], 0 offset:92
.LBB59_59:
	s_or_b32 exec_lo, exec_lo, s4
	s_waitcnt_vscnt null, 0x0
	s_barrier
	buffer_gl0_inv
	s_clause 0x1
	buffer_load_dword v5, off, s[0:3], 0 offset:96
	buffer_load_dword v6, off, s[0:3], 0 offset:100
	s_mov_b32 s4, exec_lo
	s_waitcnt vmcnt(0)
	ds_write_b64 v4, v[5:6]
	s_waitcnt lgkmcnt(0)
	s_barrier
	buffer_gl0_inv
	v_cmpx_gt_u32_e32 12, v0
	s_cbranch_execz .LBB59_63
; %bb.60:
	v_add_nc_u32_e32 v5, -1, v0
	v_add_nc_u32_e32 v6, 0x1e0, v3
	v_mov_b32_e32 v7, v3
	v_mov_b32_e32 v2, 0
	;; [unrolled: 1-line block ×3, first 2 shown]
	s_mov_b32 s5, 0
	.p2align	6
.LBB59_61:                              ; =>This Inner Loop Header: Depth=1
	s_clause 0x1
	buffer_load_dword v11, v7, s[0:3], 0 offen offset:4
	buffer_load_dword v12, v7, s[0:3], 0 offen
	ds_read_b64 v[9:10], v6
	v_add_nc_u32_e32 v5, 1, v5
	v_add_nc_u32_e32 v6, 8, v6
	;; [unrolled: 1-line block ×3, first 2 shown]
	v_cmp_lt_u32_e32 vcc_lo, 10, v5
	s_or_b32 s5, vcc_lo, s5
	s_waitcnt vmcnt(1) lgkmcnt(0)
	v_mul_f32_e32 v133, v10, v11
	v_mul_f32_e32 v11, v9, v11
	s_waitcnt vmcnt(0)
	v_fma_f32 v9, v9, v12, -v133
	v_fmac_f32_e32 v11, v10, v12
	v_add_f32_e32 v8, v8, v9
	v_add_f32_e32 v2, v2, v11
	s_andn2_b32 exec_lo, exec_lo, s5
	s_cbranch_execnz .LBB59_61
; %bb.62:
	s_or_b32 exec_lo, exec_lo, s5
	v_mov_b32_e32 v5, 0
	ds_read_b64 v[5:6], v5 offset:96
	s_waitcnt lgkmcnt(0)
	v_mul_f32_e32 v7, v2, v6
	v_mul_f32_e32 v6, v8, v6
	v_fma_f32 v7, v8, v5, -v7
	v_fmac_f32_e32 v6, v2, v5
	buffer_store_dword v7, off, s[0:3], 0 offset:96
	buffer_store_dword v6, off, s[0:3], 0 offset:100
.LBB59_63:
	s_or_b32 exec_lo, exec_lo, s4
	s_waitcnt_vscnt null, 0x0
	s_barrier
	buffer_gl0_inv
	s_clause 0x1
	buffer_load_dword v5, off, s[0:3], 0 offset:104
	buffer_load_dword v6, off, s[0:3], 0 offset:108
	s_mov_b32 s4, exec_lo
	s_waitcnt vmcnt(0)
	ds_write_b64 v4, v[5:6]
	s_waitcnt lgkmcnt(0)
	s_barrier
	buffer_gl0_inv
	v_cmpx_gt_u32_e32 13, v0
	s_cbranch_execz .LBB59_67
; %bb.64:
	v_add_nc_u32_e32 v5, -1, v0
	v_add_nc_u32_e32 v6, 0x1e0, v3
	v_mov_b32_e32 v7, v3
	v_mov_b32_e32 v2, 0
	;; [unrolled: 1-line block ×3, first 2 shown]
	s_mov_b32 s5, 0
	.p2align	6
.LBB59_65:                              ; =>This Inner Loop Header: Depth=1
	s_clause 0x1
	buffer_load_dword v11, v7, s[0:3], 0 offen offset:4
	buffer_load_dword v12, v7, s[0:3], 0 offen
	ds_read_b64 v[9:10], v6
	v_add_nc_u32_e32 v5, 1, v5
	v_add_nc_u32_e32 v6, 8, v6
	;; [unrolled: 1-line block ×3, first 2 shown]
	v_cmp_lt_u32_e32 vcc_lo, 11, v5
	s_or_b32 s5, vcc_lo, s5
	s_waitcnt vmcnt(1) lgkmcnt(0)
	v_mul_f32_e32 v133, v10, v11
	v_mul_f32_e32 v11, v9, v11
	s_waitcnt vmcnt(0)
	v_fma_f32 v9, v9, v12, -v133
	v_fmac_f32_e32 v11, v10, v12
	v_add_f32_e32 v8, v8, v9
	v_add_f32_e32 v2, v2, v11
	s_andn2_b32 exec_lo, exec_lo, s5
	s_cbranch_execnz .LBB59_65
; %bb.66:
	s_or_b32 exec_lo, exec_lo, s5
	v_mov_b32_e32 v5, 0
	ds_read_b64 v[5:6], v5 offset:104
	s_waitcnt lgkmcnt(0)
	v_mul_f32_e32 v7, v2, v6
	v_mul_f32_e32 v6, v8, v6
	v_fma_f32 v7, v8, v5, -v7
	v_fmac_f32_e32 v6, v2, v5
	buffer_store_dword v7, off, s[0:3], 0 offset:104
	buffer_store_dword v6, off, s[0:3], 0 offset:108
.LBB59_67:
	s_or_b32 exec_lo, exec_lo, s4
	s_waitcnt_vscnt null, 0x0
	s_barrier
	buffer_gl0_inv
	s_clause 0x1
	buffer_load_dword v5, off, s[0:3], 0 offset:112
	buffer_load_dword v6, off, s[0:3], 0 offset:116
	s_mov_b32 s4, exec_lo
	s_waitcnt vmcnt(0)
	ds_write_b64 v4, v[5:6]
	s_waitcnt lgkmcnt(0)
	s_barrier
	buffer_gl0_inv
	v_cmpx_gt_u32_e32 14, v0
	s_cbranch_execz .LBB59_71
; %bb.68:
	v_add_nc_u32_e32 v5, -1, v0
	v_add_nc_u32_e32 v6, 0x1e0, v3
	v_mov_b32_e32 v7, v3
	v_mov_b32_e32 v2, 0
	v_mov_b32_e32 v8, 0
	s_mov_b32 s5, 0
	.p2align	6
.LBB59_69:                              ; =>This Inner Loop Header: Depth=1
	s_clause 0x1
	buffer_load_dword v11, v7, s[0:3], 0 offen offset:4
	buffer_load_dword v12, v7, s[0:3], 0 offen
	ds_read_b64 v[9:10], v6
	v_add_nc_u32_e32 v5, 1, v5
	v_add_nc_u32_e32 v6, 8, v6
	;; [unrolled: 1-line block ×3, first 2 shown]
	v_cmp_lt_u32_e32 vcc_lo, 12, v5
	s_or_b32 s5, vcc_lo, s5
	s_waitcnt vmcnt(1) lgkmcnt(0)
	v_mul_f32_e32 v133, v10, v11
	v_mul_f32_e32 v11, v9, v11
	s_waitcnt vmcnt(0)
	v_fma_f32 v9, v9, v12, -v133
	v_fmac_f32_e32 v11, v10, v12
	v_add_f32_e32 v8, v8, v9
	v_add_f32_e32 v2, v2, v11
	s_andn2_b32 exec_lo, exec_lo, s5
	s_cbranch_execnz .LBB59_69
; %bb.70:
	s_or_b32 exec_lo, exec_lo, s5
	v_mov_b32_e32 v5, 0
	ds_read_b64 v[5:6], v5 offset:112
	s_waitcnt lgkmcnt(0)
	v_mul_f32_e32 v7, v2, v6
	v_mul_f32_e32 v6, v8, v6
	v_fma_f32 v7, v8, v5, -v7
	v_fmac_f32_e32 v6, v2, v5
	buffer_store_dword v7, off, s[0:3], 0 offset:112
	buffer_store_dword v6, off, s[0:3], 0 offset:116
.LBB59_71:
	s_or_b32 exec_lo, exec_lo, s4
	s_waitcnt_vscnt null, 0x0
	s_barrier
	buffer_gl0_inv
	s_clause 0x1
	buffer_load_dword v5, off, s[0:3], 0 offset:120
	buffer_load_dword v6, off, s[0:3], 0 offset:124
	s_mov_b32 s4, exec_lo
	s_waitcnt vmcnt(0)
	ds_write_b64 v4, v[5:6]
	s_waitcnt lgkmcnt(0)
	s_barrier
	buffer_gl0_inv
	v_cmpx_gt_u32_e32 15, v0
	s_cbranch_execz .LBB59_75
; %bb.72:
	v_add_nc_u32_e32 v5, -1, v0
	v_add_nc_u32_e32 v6, 0x1e0, v3
	v_mov_b32_e32 v7, v3
	v_mov_b32_e32 v2, 0
	v_mov_b32_e32 v8, 0
	s_mov_b32 s5, 0
	.p2align	6
.LBB59_73:                              ; =>This Inner Loop Header: Depth=1
	s_clause 0x1
	buffer_load_dword v11, v7, s[0:3], 0 offen offset:4
	buffer_load_dword v12, v7, s[0:3], 0 offen
	ds_read_b64 v[9:10], v6
	v_add_nc_u32_e32 v5, 1, v5
	v_add_nc_u32_e32 v6, 8, v6
	;; [unrolled: 1-line block ×3, first 2 shown]
	v_cmp_lt_u32_e32 vcc_lo, 13, v5
	s_or_b32 s5, vcc_lo, s5
	s_waitcnt vmcnt(1) lgkmcnt(0)
	v_mul_f32_e32 v133, v10, v11
	v_mul_f32_e32 v11, v9, v11
	s_waitcnt vmcnt(0)
	v_fma_f32 v9, v9, v12, -v133
	v_fmac_f32_e32 v11, v10, v12
	v_add_f32_e32 v8, v8, v9
	v_add_f32_e32 v2, v2, v11
	s_andn2_b32 exec_lo, exec_lo, s5
	s_cbranch_execnz .LBB59_73
; %bb.74:
	s_or_b32 exec_lo, exec_lo, s5
	v_mov_b32_e32 v5, 0
	ds_read_b64 v[5:6], v5 offset:120
	s_waitcnt lgkmcnt(0)
	v_mul_f32_e32 v7, v2, v6
	v_mul_f32_e32 v6, v8, v6
	v_fma_f32 v7, v8, v5, -v7
	v_fmac_f32_e32 v6, v2, v5
	buffer_store_dword v7, off, s[0:3], 0 offset:120
	buffer_store_dword v6, off, s[0:3], 0 offset:124
.LBB59_75:
	s_or_b32 exec_lo, exec_lo, s4
	s_waitcnt_vscnt null, 0x0
	s_barrier
	buffer_gl0_inv
	s_clause 0x1
	buffer_load_dword v5, off, s[0:3], 0 offset:128
	buffer_load_dword v6, off, s[0:3], 0 offset:132
	s_mov_b32 s4, exec_lo
	s_waitcnt vmcnt(0)
	ds_write_b64 v4, v[5:6]
	s_waitcnt lgkmcnt(0)
	s_barrier
	buffer_gl0_inv
	v_cmpx_gt_u32_e32 16, v0
	s_cbranch_execz .LBB59_79
; %bb.76:
	v_add_nc_u32_e32 v5, -1, v0
	v_add_nc_u32_e32 v6, 0x1e0, v3
	v_mov_b32_e32 v7, v3
	v_mov_b32_e32 v2, 0
	;; [unrolled: 1-line block ×3, first 2 shown]
	s_mov_b32 s5, 0
	.p2align	6
.LBB59_77:                              ; =>This Inner Loop Header: Depth=1
	s_clause 0x1
	buffer_load_dword v11, v7, s[0:3], 0 offen offset:4
	buffer_load_dword v12, v7, s[0:3], 0 offen
	ds_read_b64 v[9:10], v6
	v_add_nc_u32_e32 v5, 1, v5
	v_add_nc_u32_e32 v6, 8, v6
	;; [unrolled: 1-line block ×3, first 2 shown]
	v_cmp_lt_u32_e32 vcc_lo, 14, v5
	s_or_b32 s5, vcc_lo, s5
	s_waitcnt vmcnt(1) lgkmcnt(0)
	v_mul_f32_e32 v133, v10, v11
	v_mul_f32_e32 v11, v9, v11
	s_waitcnt vmcnt(0)
	v_fma_f32 v9, v9, v12, -v133
	v_fmac_f32_e32 v11, v10, v12
	v_add_f32_e32 v8, v8, v9
	v_add_f32_e32 v2, v2, v11
	s_andn2_b32 exec_lo, exec_lo, s5
	s_cbranch_execnz .LBB59_77
; %bb.78:
	s_or_b32 exec_lo, exec_lo, s5
	v_mov_b32_e32 v5, 0
	ds_read_b64 v[5:6], v5 offset:128
	s_waitcnt lgkmcnt(0)
	v_mul_f32_e32 v7, v2, v6
	v_mul_f32_e32 v6, v8, v6
	v_fma_f32 v7, v8, v5, -v7
	v_fmac_f32_e32 v6, v2, v5
	buffer_store_dword v7, off, s[0:3], 0 offset:128
	buffer_store_dword v6, off, s[0:3], 0 offset:132
.LBB59_79:
	s_or_b32 exec_lo, exec_lo, s4
	s_waitcnt_vscnt null, 0x0
	s_barrier
	buffer_gl0_inv
	s_clause 0x1
	buffer_load_dword v5, off, s[0:3], 0 offset:136
	buffer_load_dword v6, off, s[0:3], 0 offset:140
	s_mov_b32 s4, exec_lo
	s_waitcnt vmcnt(0)
	ds_write_b64 v4, v[5:6]
	s_waitcnt lgkmcnt(0)
	s_barrier
	buffer_gl0_inv
	v_cmpx_gt_u32_e32 17, v0
	s_cbranch_execz .LBB59_83
; %bb.80:
	v_add_nc_u32_e32 v5, -1, v0
	v_add_nc_u32_e32 v6, 0x1e0, v3
	v_mov_b32_e32 v7, v3
	v_mov_b32_e32 v2, 0
	;; [unrolled: 1-line block ×3, first 2 shown]
	s_mov_b32 s5, 0
	.p2align	6
.LBB59_81:                              ; =>This Inner Loop Header: Depth=1
	s_clause 0x1
	buffer_load_dword v11, v7, s[0:3], 0 offen offset:4
	buffer_load_dword v12, v7, s[0:3], 0 offen
	ds_read_b64 v[9:10], v6
	v_add_nc_u32_e32 v5, 1, v5
	v_add_nc_u32_e32 v6, 8, v6
	;; [unrolled: 1-line block ×3, first 2 shown]
	v_cmp_lt_u32_e32 vcc_lo, 15, v5
	s_or_b32 s5, vcc_lo, s5
	s_waitcnt vmcnt(1) lgkmcnt(0)
	v_mul_f32_e32 v133, v10, v11
	v_mul_f32_e32 v11, v9, v11
	s_waitcnt vmcnt(0)
	v_fma_f32 v9, v9, v12, -v133
	v_fmac_f32_e32 v11, v10, v12
	v_add_f32_e32 v8, v8, v9
	v_add_f32_e32 v2, v2, v11
	s_andn2_b32 exec_lo, exec_lo, s5
	s_cbranch_execnz .LBB59_81
; %bb.82:
	s_or_b32 exec_lo, exec_lo, s5
	v_mov_b32_e32 v5, 0
	ds_read_b64 v[5:6], v5 offset:136
	s_waitcnt lgkmcnt(0)
	v_mul_f32_e32 v7, v2, v6
	v_mul_f32_e32 v6, v8, v6
	v_fma_f32 v7, v8, v5, -v7
	v_fmac_f32_e32 v6, v2, v5
	buffer_store_dword v7, off, s[0:3], 0 offset:136
	buffer_store_dword v6, off, s[0:3], 0 offset:140
.LBB59_83:
	s_or_b32 exec_lo, exec_lo, s4
	s_waitcnt_vscnt null, 0x0
	s_barrier
	buffer_gl0_inv
	s_clause 0x1
	buffer_load_dword v5, off, s[0:3], 0 offset:144
	buffer_load_dword v6, off, s[0:3], 0 offset:148
	s_mov_b32 s4, exec_lo
	s_waitcnt vmcnt(0)
	ds_write_b64 v4, v[5:6]
	s_waitcnt lgkmcnt(0)
	s_barrier
	buffer_gl0_inv
	v_cmpx_gt_u32_e32 18, v0
	s_cbranch_execz .LBB59_87
; %bb.84:
	v_add_nc_u32_e32 v5, -1, v0
	v_add_nc_u32_e32 v6, 0x1e0, v3
	v_mov_b32_e32 v7, v3
	v_mov_b32_e32 v2, 0
	;; [unrolled: 1-line block ×3, first 2 shown]
	s_mov_b32 s5, 0
	.p2align	6
.LBB59_85:                              ; =>This Inner Loop Header: Depth=1
	s_clause 0x1
	buffer_load_dword v11, v7, s[0:3], 0 offen offset:4
	buffer_load_dword v12, v7, s[0:3], 0 offen
	ds_read_b64 v[9:10], v6
	v_add_nc_u32_e32 v5, 1, v5
	v_add_nc_u32_e32 v6, 8, v6
	v_add_nc_u32_e32 v7, 8, v7
	v_cmp_lt_u32_e32 vcc_lo, 16, v5
	s_or_b32 s5, vcc_lo, s5
	s_waitcnt vmcnt(1) lgkmcnt(0)
	v_mul_f32_e32 v133, v10, v11
	v_mul_f32_e32 v11, v9, v11
	s_waitcnt vmcnt(0)
	v_fma_f32 v9, v9, v12, -v133
	v_fmac_f32_e32 v11, v10, v12
	v_add_f32_e32 v8, v8, v9
	v_add_f32_e32 v2, v2, v11
	s_andn2_b32 exec_lo, exec_lo, s5
	s_cbranch_execnz .LBB59_85
; %bb.86:
	s_or_b32 exec_lo, exec_lo, s5
	v_mov_b32_e32 v5, 0
	ds_read_b64 v[5:6], v5 offset:144
	s_waitcnt lgkmcnt(0)
	v_mul_f32_e32 v7, v2, v6
	v_mul_f32_e32 v6, v8, v6
	v_fma_f32 v7, v8, v5, -v7
	v_fmac_f32_e32 v6, v2, v5
	buffer_store_dword v7, off, s[0:3], 0 offset:144
	buffer_store_dword v6, off, s[0:3], 0 offset:148
.LBB59_87:
	s_or_b32 exec_lo, exec_lo, s4
	s_waitcnt_vscnt null, 0x0
	s_barrier
	buffer_gl0_inv
	s_clause 0x1
	buffer_load_dword v5, off, s[0:3], 0 offset:152
	buffer_load_dword v6, off, s[0:3], 0 offset:156
	s_mov_b32 s4, exec_lo
	s_waitcnt vmcnt(0)
	ds_write_b64 v4, v[5:6]
	s_waitcnt lgkmcnt(0)
	s_barrier
	buffer_gl0_inv
	v_cmpx_gt_u32_e32 19, v0
	s_cbranch_execz .LBB59_91
; %bb.88:
	v_add_nc_u32_e32 v5, -1, v0
	v_add_nc_u32_e32 v6, 0x1e0, v3
	v_mov_b32_e32 v7, v3
	v_mov_b32_e32 v2, 0
	v_mov_b32_e32 v8, 0
	s_mov_b32 s5, 0
	.p2align	6
.LBB59_89:                              ; =>This Inner Loop Header: Depth=1
	s_clause 0x1
	buffer_load_dword v11, v7, s[0:3], 0 offen offset:4
	buffer_load_dword v12, v7, s[0:3], 0 offen
	ds_read_b64 v[9:10], v6
	v_add_nc_u32_e32 v5, 1, v5
	v_add_nc_u32_e32 v6, 8, v6
	;; [unrolled: 1-line block ×3, first 2 shown]
	v_cmp_lt_u32_e32 vcc_lo, 17, v5
	s_or_b32 s5, vcc_lo, s5
	s_waitcnt vmcnt(1) lgkmcnt(0)
	v_mul_f32_e32 v133, v10, v11
	v_mul_f32_e32 v11, v9, v11
	s_waitcnt vmcnt(0)
	v_fma_f32 v9, v9, v12, -v133
	v_fmac_f32_e32 v11, v10, v12
	v_add_f32_e32 v8, v8, v9
	v_add_f32_e32 v2, v2, v11
	s_andn2_b32 exec_lo, exec_lo, s5
	s_cbranch_execnz .LBB59_89
; %bb.90:
	s_or_b32 exec_lo, exec_lo, s5
	v_mov_b32_e32 v5, 0
	ds_read_b64 v[5:6], v5 offset:152
	s_waitcnt lgkmcnt(0)
	v_mul_f32_e32 v7, v2, v6
	v_mul_f32_e32 v6, v8, v6
	v_fma_f32 v7, v8, v5, -v7
	v_fmac_f32_e32 v6, v2, v5
	buffer_store_dword v7, off, s[0:3], 0 offset:152
	buffer_store_dword v6, off, s[0:3], 0 offset:156
.LBB59_91:
	s_or_b32 exec_lo, exec_lo, s4
	s_waitcnt_vscnt null, 0x0
	s_barrier
	buffer_gl0_inv
	s_clause 0x1
	buffer_load_dword v5, off, s[0:3], 0 offset:160
	buffer_load_dword v6, off, s[0:3], 0 offset:164
	s_mov_b32 s4, exec_lo
	s_waitcnt vmcnt(0)
	ds_write_b64 v4, v[5:6]
	s_waitcnt lgkmcnt(0)
	s_barrier
	buffer_gl0_inv
	v_cmpx_gt_u32_e32 20, v0
	s_cbranch_execz .LBB59_95
; %bb.92:
	v_add_nc_u32_e32 v5, -1, v0
	v_add_nc_u32_e32 v6, 0x1e0, v3
	v_mov_b32_e32 v7, v3
	v_mov_b32_e32 v2, 0
	;; [unrolled: 1-line block ×3, first 2 shown]
	s_mov_b32 s5, 0
	.p2align	6
.LBB59_93:                              ; =>This Inner Loop Header: Depth=1
	s_clause 0x1
	buffer_load_dword v11, v7, s[0:3], 0 offen offset:4
	buffer_load_dword v12, v7, s[0:3], 0 offen
	ds_read_b64 v[9:10], v6
	v_add_nc_u32_e32 v5, 1, v5
	v_add_nc_u32_e32 v6, 8, v6
	;; [unrolled: 1-line block ×3, first 2 shown]
	v_cmp_lt_u32_e32 vcc_lo, 18, v5
	s_or_b32 s5, vcc_lo, s5
	s_waitcnt vmcnt(1) lgkmcnt(0)
	v_mul_f32_e32 v133, v10, v11
	v_mul_f32_e32 v11, v9, v11
	s_waitcnt vmcnt(0)
	v_fma_f32 v9, v9, v12, -v133
	v_fmac_f32_e32 v11, v10, v12
	v_add_f32_e32 v8, v8, v9
	v_add_f32_e32 v2, v2, v11
	s_andn2_b32 exec_lo, exec_lo, s5
	s_cbranch_execnz .LBB59_93
; %bb.94:
	s_or_b32 exec_lo, exec_lo, s5
	v_mov_b32_e32 v5, 0
	ds_read_b64 v[5:6], v5 offset:160
	s_waitcnt lgkmcnt(0)
	v_mul_f32_e32 v7, v2, v6
	v_mul_f32_e32 v6, v8, v6
	v_fma_f32 v7, v8, v5, -v7
	v_fmac_f32_e32 v6, v2, v5
	buffer_store_dword v7, off, s[0:3], 0 offset:160
	buffer_store_dword v6, off, s[0:3], 0 offset:164
.LBB59_95:
	s_or_b32 exec_lo, exec_lo, s4
	s_waitcnt_vscnt null, 0x0
	s_barrier
	buffer_gl0_inv
	s_clause 0x1
	buffer_load_dword v5, off, s[0:3], 0 offset:168
	buffer_load_dword v6, off, s[0:3], 0 offset:172
	s_mov_b32 s4, exec_lo
	s_waitcnt vmcnt(0)
	ds_write_b64 v4, v[5:6]
	s_waitcnt lgkmcnt(0)
	s_barrier
	buffer_gl0_inv
	v_cmpx_gt_u32_e32 21, v0
	s_cbranch_execz .LBB59_99
; %bb.96:
	v_add_nc_u32_e32 v5, -1, v0
	v_add_nc_u32_e32 v6, 0x1e0, v3
	v_mov_b32_e32 v7, v3
	v_mov_b32_e32 v2, 0
	;; [unrolled: 1-line block ×3, first 2 shown]
	s_mov_b32 s5, 0
	.p2align	6
.LBB59_97:                              ; =>This Inner Loop Header: Depth=1
	s_clause 0x1
	buffer_load_dword v11, v7, s[0:3], 0 offen offset:4
	buffer_load_dword v12, v7, s[0:3], 0 offen
	ds_read_b64 v[9:10], v6
	v_add_nc_u32_e32 v5, 1, v5
	v_add_nc_u32_e32 v6, 8, v6
	;; [unrolled: 1-line block ×3, first 2 shown]
	v_cmp_lt_u32_e32 vcc_lo, 19, v5
	s_or_b32 s5, vcc_lo, s5
	s_waitcnt vmcnt(1) lgkmcnt(0)
	v_mul_f32_e32 v133, v10, v11
	v_mul_f32_e32 v11, v9, v11
	s_waitcnt vmcnt(0)
	v_fma_f32 v9, v9, v12, -v133
	v_fmac_f32_e32 v11, v10, v12
	v_add_f32_e32 v8, v8, v9
	v_add_f32_e32 v2, v2, v11
	s_andn2_b32 exec_lo, exec_lo, s5
	s_cbranch_execnz .LBB59_97
; %bb.98:
	s_or_b32 exec_lo, exec_lo, s5
	v_mov_b32_e32 v5, 0
	ds_read_b64 v[5:6], v5 offset:168
	s_waitcnt lgkmcnt(0)
	v_mul_f32_e32 v7, v2, v6
	v_mul_f32_e32 v6, v8, v6
	v_fma_f32 v7, v8, v5, -v7
	v_fmac_f32_e32 v6, v2, v5
	buffer_store_dword v7, off, s[0:3], 0 offset:168
	buffer_store_dword v6, off, s[0:3], 0 offset:172
.LBB59_99:
	s_or_b32 exec_lo, exec_lo, s4
	s_waitcnt_vscnt null, 0x0
	s_barrier
	buffer_gl0_inv
	s_clause 0x1
	buffer_load_dword v5, off, s[0:3], 0 offset:176
	buffer_load_dword v6, off, s[0:3], 0 offset:180
	s_mov_b32 s4, exec_lo
	s_waitcnt vmcnt(0)
	ds_write_b64 v4, v[5:6]
	s_waitcnt lgkmcnt(0)
	s_barrier
	buffer_gl0_inv
	v_cmpx_gt_u32_e32 22, v0
	s_cbranch_execz .LBB59_103
; %bb.100:
	v_add_nc_u32_e32 v5, -1, v0
	v_add_nc_u32_e32 v6, 0x1e0, v3
	v_mov_b32_e32 v7, v3
	v_mov_b32_e32 v2, 0
	;; [unrolled: 1-line block ×3, first 2 shown]
	s_mov_b32 s5, 0
	.p2align	6
.LBB59_101:                             ; =>This Inner Loop Header: Depth=1
	s_clause 0x1
	buffer_load_dword v11, v7, s[0:3], 0 offen offset:4
	buffer_load_dword v12, v7, s[0:3], 0 offen
	ds_read_b64 v[9:10], v6
	v_add_nc_u32_e32 v5, 1, v5
	v_add_nc_u32_e32 v6, 8, v6
	;; [unrolled: 1-line block ×3, first 2 shown]
	v_cmp_lt_u32_e32 vcc_lo, 20, v5
	s_or_b32 s5, vcc_lo, s5
	s_waitcnt vmcnt(1) lgkmcnt(0)
	v_mul_f32_e32 v133, v10, v11
	v_mul_f32_e32 v11, v9, v11
	s_waitcnt vmcnt(0)
	v_fma_f32 v9, v9, v12, -v133
	v_fmac_f32_e32 v11, v10, v12
	v_add_f32_e32 v8, v8, v9
	v_add_f32_e32 v2, v2, v11
	s_andn2_b32 exec_lo, exec_lo, s5
	s_cbranch_execnz .LBB59_101
; %bb.102:
	s_or_b32 exec_lo, exec_lo, s5
	v_mov_b32_e32 v5, 0
	ds_read_b64 v[5:6], v5 offset:176
	s_waitcnt lgkmcnt(0)
	v_mul_f32_e32 v7, v2, v6
	v_mul_f32_e32 v6, v8, v6
	v_fma_f32 v7, v8, v5, -v7
	v_fmac_f32_e32 v6, v2, v5
	buffer_store_dword v7, off, s[0:3], 0 offset:176
	buffer_store_dword v6, off, s[0:3], 0 offset:180
.LBB59_103:
	s_or_b32 exec_lo, exec_lo, s4
	s_waitcnt_vscnt null, 0x0
	s_barrier
	buffer_gl0_inv
	s_clause 0x1
	buffer_load_dword v5, off, s[0:3], 0 offset:184
	buffer_load_dword v6, off, s[0:3], 0 offset:188
	s_mov_b32 s4, exec_lo
	s_waitcnt vmcnt(0)
	ds_write_b64 v4, v[5:6]
	s_waitcnt lgkmcnt(0)
	s_barrier
	buffer_gl0_inv
	v_cmpx_gt_u32_e32 23, v0
	s_cbranch_execz .LBB59_107
; %bb.104:
	v_add_nc_u32_e32 v5, -1, v0
	v_add_nc_u32_e32 v6, 0x1e0, v3
	v_mov_b32_e32 v7, v3
	v_mov_b32_e32 v2, 0
	;; [unrolled: 1-line block ×3, first 2 shown]
	s_mov_b32 s5, 0
	.p2align	6
.LBB59_105:                             ; =>This Inner Loop Header: Depth=1
	s_clause 0x1
	buffer_load_dword v11, v7, s[0:3], 0 offen offset:4
	buffer_load_dword v12, v7, s[0:3], 0 offen
	ds_read_b64 v[9:10], v6
	v_add_nc_u32_e32 v5, 1, v5
	v_add_nc_u32_e32 v6, 8, v6
	;; [unrolled: 1-line block ×3, first 2 shown]
	v_cmp_lt_u32_e32 vcc_lo, 21, v5
	s_or_b32 s5, vcc_lo, s5
	s_waitcnt vmcnt(1) lgkmcnt(0)
	v_mul_f32_e32 v133, v10, v11
	v_mul_f32_e32 v11, v9, v11
	s_waitcnt vmcnt(0)
	v_fma_f32 v9, v9, v12, -v133
	v_fmac_f32_e32 v11, v10, v12
	v_add_f32_e32 v8, v8, v9
	v_add_f32_e32 v2, v2, v11
	s_andn2_b32 exec_lo, exec_lo, s5
	s_cbranch_execnz .LBB59_105
; %bb.106:
	s_or_b32 exec_lo, exec_lo, s5
	v_mov_b32_e32 v5, 0
	ds_read_b64 v[5:6], v5 offset:184
	s_waitcnt lgkmcnt(0)
	v_mul_f32_e32 v7, v2, v6
	v_mul_f32_e32 v6, v8, v6
	v_fma_f32 v7, v8, v5, -v7
	v_fmac_f32_e32 v6, v2, v5
	buffer_store_dword v7, off, s[0:3], 0 offset:184
	buffer_store_dword v6, off, s[0:3], 0 offset:188
.LBB59_107:
	s_or_b32 exec_lo, exec_lo, s4
	s_waitcnt_vscnt null, 0x0
	s_barrier
	buffer_gl0_inv
	s_clause 0x1
	buffer_load_dword v5, off, s[0:3], 0 offset:192
	buffer_load_dword v6, off, s[0:3], 0 offset:196
	s_mov_b32 s4, exec_lo
	s_waitcnt vmcnt(0)
	ds_write_b64 v4, v[5:6]
	s_waitcnt lgkmcnt(0)
	s_barrier
	buffer_gl0_inv
	v_cmpx_gt_u32_e32 24, v0
	s_cbranch_execz .LBB59_111
; %bb.108:
	v_add_nc_u32_e32 v5, -1, v0
	v_add_nc_u32_e32 v6, 0x1e0, v3
	v_mov_b32_e32 v7, v3
	v_mov_b32_e32 v2, 0
	;; [unrolled: 1-line block ×3, first 2 shown]
	s_mov_b32 s5, 0
	.p2align	6
.LBB59_109:                             ; =>This Inner Loop Header: Depth=1
	s_clause 0x1
	buffer_load_dword v11, v7, s[0:3], 0 offen offset:4
	buffer_load_dword v12, v7, s[0:3], 0 offen
	ds_read_b64 v[9:10], v6
	v_add_nc_u32_e32 v5, 1, v5
	v_add_nc_u32_e32 v6, 8, v6
	;; [unrolled: 1-line block ×3, first 2 shown]
	v_cmp_lt_u32_e32 vcc_lo, 22, v5
	s_or_b32 s5, vcc_lo, s5
	s_waitcnt vmcnt(1) lgkmcnt(0)
	v_mul_f32_e32 v133, v10, v11
	v_mul_f32_e32 v11, v9, v11
	s_waitcnt vmcnt(0)
	v_fma_f32 v9, v9, v12, -v133
	v_fmac_f32_e32 v11, v10, v12
	v_add_f32_e32 v8, v8, v9
	v_add_f32_e32 v2, v2, v11
	s_andn2_b32 exec_lo, exec_lo, s5
	s_cbranch_execnz .LBB59_109
; %bb.110:
	s_or_b32 exec_lo, exec_lo, s5
	v_mov_b32_e32 v5, 0
	ds_read_b64 v[5:6], v5 offset:192
	s_waitcnt lgkmcnt(0)
	v_mul_f32_e32 v7, v2, v6
	v_mul_f32_e32 v6, v8, v6
	v_fma_f32 v7, v8, v5, -v7
	v_fmac_f32_e32 v6, v2, v5
	buffer_store_dword v7, off, s[0:3], 0 offset:192
	buffer_store_dword v6, off, s[0:3], 0 offset:196
.LBB59_111:
	s_or_b32 exec_lo, exec_lo, s4
	s_waitcnt_vscnt null, 0x0
	s_barrier
	buffer_gl0_inv
	s_clause 0x1
	buffer_load_dword v5, off, s[0:3], 0 offset:200
	buffer_load_dword v6, off, s[0:3], 0 offset:204
	s_mov_b32 s4, exec_lo
	s_waitcnt vmcnt(0)
	ds_write_b64 v4, v[5:6]
	s_waitcnt lgkmcnt(0)
	s_barrier
	buffer_gl0_inv
	v_cmpx_gt_u32_e32 25, v0
	s_cbranch_execz .LBB59_115
; %bb.112:
	v_add_nc_u32_e32 v5, -1, v0
	v_add_nc_u32_e32 v6, 0x1e0, v3
	v_mov_b32_e32 v7, v3
	v_mov_b32_e32 v2, 0
	;; [unrolled: 1-line block ×3, first 2 shown]
	s_mov_b32 s5, 0
	.p2align	6
.LBB59_113:                             ; =>This Inner Loop Header: Depth=1
	s_clause 0x1
	buffer_load_dword v11, v7, s[0:3], 0 offen offset:4
	buffer_load_dword v12, v7, s[0:3], 0 offen
	ds_read_b64 v[9:10], v6
	v_add_nc_u32_e32 v5, 1, v5
	v_add_nc_u32_e32 v6, 8, v6
	;; [unrolled: 1-line block ×3, first 2 shown]
	v_cmp_lt_u32_e32 vcc_lo, 23, v5
	s_or_b32 s5, vcc_lo, s5
	s_waitcnt vmcnt(1) lgkmcnt(0)
	v_mul_f32_e32 v133, v10, v11
	v_mul_f32_e32 v11, v9, v11
	s_waitcnt vmcnt(0)
	v_fma_f32 v9, v9, v12, -v133
	v_fmac_f32_e32 v11, v10, v12
	v_add_f32_e32 v8, v8, v9
	v_add_f32_e32 v2, v2, v11
	s_andn2_b32 exec_lo, exec_lo, s5
	s_cbranch_execnz .LBB59_113
; %bb.114:
	s_or_b32 exec_lo, exec_lo, s5
	v_mov_b32_e32 v5, 0
	ds_read_b64 v[5:6], v5 offset:200
	s_waitcnt lgkmcnt(0)
	v_mul_f32_e32 v7, v2, v6
	v_mul_f32_e32 v6, v8, v6
	v_fma_f32 v7, v8, v5, -v7
	v_fmac_f32_e32 v6, v2, v5
	buffer_store_dword v7, off, s[0:3], 0 offset:200
	buffer_store_dword v6, off, s[0:3], 0 offset:204
.LBB59_115:
	s_or_b32 exec_lo, exec_lo, s4
	s_waitcnt_vscnt null, 0x0
	s_barrier
	buffer_gl0_inv
	s_clause 0x1
	buffer_load_dword v5, off, s[0:3], 0 offset:208
	buffer_load_dword v6, off, s[0:3], 0 offset:212
	s_mov_b32 s4, exec_lo
	s_waitcnt vmcnt(0)
	ds_write_b64 v4, v[5:6]
	s_waitcnt lgkmcnt(0)
	s_barrier
	buffer_gl0_inv
	v_cmpx_gt_u32_e32 26, v0
	s_cbranch_execz .LBB59_119
; %bb.116:
	v_add_nc_u32_e32 v5, -1, v0
	v_add_nc_u32_e32 v6, 0x1e0, v3
	v_mov_b32_e32 v7, v3
	v_mov_b32_e32 v2, 0
	;; [unrolled: 1-line block ×3, first 2 shown]
	s_mov_b32 s5, 0
	.p2align	6
.LBB59_117:                             ; =>This Inner Loop Header: Depth=1
	s_clause 0x1
	buffer_load_dword v11, v7, s[0:3], 0 offen offset:4
	buffer_load_dword v12, v7, s[0:3], 0 offen
	ds_read_b64 v[9:10], v6
	v_add_nc_u32_e32 v5, 1, v5
	v_add_nc_u32_e32 v6, 8, v6
	;; [unrolled: 1-line block ×3, first 2 shown]
	v_cmp_lt_u32_e32 vcc_lo, 24, v5
	s_or_b32 s5, vcc_lo, s5
	s_waitcnt vmcnt(1) lgkmcnt(0)
	v_mul_f32_e32 v133, v10, v11
	v_mul_f32_e32 v11, v9, v11
	s_waitcnt vmcnt(0)
	v_fma_f32 v9, v9, v12, -v133
	v_fmac_f32_e32 v11, v10, v12
	v_add_f32_e32 v8, v8, v9
	v_add_f32_e32 v2, v2, v11
	s_andn2_b32 exec_lo, exec_lo, s5
	s_cbranch_execnz .LBB59_117
; %bb.118:
	s_or_b32 exec_lo, exec_lo, s5
	v_mov_b32_e32 v5, 0
	ds_read_b64 v[5:6], v5 offset:208
	s_waitcnt lgkmcnt(0)
	v_mul_f32_e32 v7, v2, v6
	v_mul_f32_e32 v6, v8, v6
	v_fma_f32 v7, v8, v5, -v7
	v_fmac_f32_e32 v6, v2, v5
	buffer_store_dword v7, off, s[0:3], 0 offset:208
	buffer_store_dword v6, off, s[0:3], 0 offset:212
.LBB59_119:
	s_or_b32 exec_lo, exec_lo, s4
	s_waitcnt_vscnt null, 0x0
	s_barrier
	buffer_gl0_inv
	s_clause 0x1
	buffer_load_dword v5, off, s[0:3], 0 offset:216
	buffer_load_dword v6, off, s[0:3], 0 offset:220
	s_mov_b32 s4, exec_lo
	s_waitcnt vmcnt(0)
	ds_write_b64 v4, v[5:6]
	s_waitcnt lgkmcnt(0)
	s_barrier
	buffer_gl0_inv
	v_cmpx_gt_u32_e32 27, v0
	s_cbranch_execz .LBB59_123
; %bb.120:
	v_add_nc_u32_e32 v5, -1, v0
	v_add_nc_u32_e32 v6, 0x1e0, v3
	v_mov_b32_e32 v7, v3
	v_mov_b32_e32 v2, 0
	;; [unrolled: 1-line block ×3, first 2 shown]
	s_mov_b32 s5, 0
	.p2align	6
.LBB59_121:                             ; =>This Inner Loop Header: Depth=1
	s_clause 0x1
	buffer_load_dword v11, v7, s[0:3], 0 offen offset:4
	buffer_load_dword v12, v7, s[0:3], 0 offen
	ds_read_b64 v[9:10], v6
	v_add_nc_u32_e32 v5, 1, v5
	v_add_nc_u32_e32 v6, 8, v6
	;; [unrolled: 1-line block ×3, first 2 shown]
	v_cmp_lt_u32_e32 vcc_lo, 25, v5
	s_or_b32 s5, vcc_lo, s5
	s_waitcnt vmcnt(1) lgkmcnt(0)
	v_mul_f32_e32 v133, v10, v11
	v_mul_f32_e32 v11, v9, v11
	s_waitcnt vmcnt(0)
	v_fma_f32 v9, v9, v12, -v133
	v_fmac_f32_e32 v11, v10, v12
	v_add_f32_e32 v8, v8, v9
	v_add_f32_e32 v2, v2, v11
	s_andn2_b32 exec_lo, exec_lo, s5
	s_cbranch_execnz .LBB59_121
; %bb.122:
	s_or_b32 exec_lo, exec_lo, s5
	v_mov_b32_e32 v5, 0
	ds_read_b64 v[5:6], v5 offset:216
	s_waitcnt lgkmcnt(0)
	v_mul_f32_e32 v7, v2, v6
	v_mul_f32_e32 v6, v8, v6
	v_fma_f32 v7, v8, v5, -v7
	v_fmac_f32_e32 v6, v2, v5
	buffer_store_dword v7, off, s[0:3], 0 offset:216
	buffer_store_dword v6, off, s[0:3], 0 offset:220
.LBB59_123:
	s_or_b32 exec_lo, exec_lo, s4
	s_waitcnt_vscnt null, 0x0
	s_barrier
	buffer_gl0_inv
	s_clause 0x1
	buffer_load_dword v5, off, s[0:3], 0 offset:224
	buffer_load_dword v6, off, s[0:3], 0 offset:228
	s_mov_b32 s4, exec_lo
	s_waitcnt vmcnt(0)
	ds_write_b64 v4, v[5:6]
	s_waitcnt lgkmcnt(0)
	s_barrier
	buffer_gl0_inv
	v_cmpx_gt_u32_e32 28, v0
	s_cbranch_execz .LBB59_127
; %bb.124:
	v_add_nc_u32_e32 v5, -1, v0
	v_add_nc_u32_e32 v6, 0x1e0, v3
	v_mov_b32_e32 v7, v3
	v_mov_b32_e32 v2, 0
	;; [unrolled: 1-line block ×3, first 2 shown]
	s_mov_b32 s5, 0
	.p2align	6
.LBB59_125:                             ; =>This Inner Loop Header: Depth=1
	s_clause 0x1
	buffer_load_dword v11, v7, s[0:3], 0 offen offset:4
	buffer_load_dword v12, v7, s[0:3], 0 offen
	ds_read_b64 v[9:10], v6
	v_add_nc_u32_e32 v5, 1, v5
	v_add_nc_u32_e32 v6, 8, v6
	;; [unrolled: 1-line block ×3, first 2 shown]
	v_cmp_lt_u32_e32 vcc_lo, 26, v5
	s_or_b32 s5, vcc_lo, s5
	s_waitcnt vmcnt(1) lgkmcnt(0)
	v_mul_f32_e32 v133, v10, v11
	v_mul_f32_e32 v11, v9, v11
	s_waitcnt vmcnt(0)
	v_fma_f32 v9, v9, v12, -v133
	v_fmac_f32_e32 v11, v10, v12
	v_add_f32_e32 v8, v8, v9
	v_add_f32_e32 v2, v2, v11
	s_andn2_b32 exec_lo, exec_lo, s5
	s_cbranch_execnz .LBB59_125
; %bb.126:
	s_or_b32 exec_lo, exec_lo, s5
	v_mov_b32_e32 v5, 0
	ds_read_b64 v[5:6], v5 offset:224
	s_waitcnt lgkmcnt(0)
	v_mul_f32_e32 v7, v2, v6
	v_mul_f32_e32 v6, v8, v6
	v_fma_f32 v7, v8, v5, -v7
	v_fmac_f32_e32 v6, v2, v5
	buffer_store_dword v7, off, s[0:3], 0 offset:224
	buffer_store_dword v6, off, s[0:3], 0 offset:228
.LBB59_127:
	s_or_b32 exec_lo, exec_lo, s4
	s_waitcnt_vscnt null, 0x0
	s_barrier
	buffer_gl0_inv
	s_clause 0x1
	buffer_load_dword v5, off, s[0:3], 0 offset:232
	buffer_load_dword v6, off, s[0:3], 0 offset:236
	s_mov_b32 s4, exec_lo
	s_waitcnt vmcnt(0)
	ds_write_b64 v4, v[5:6]
	s_waitcnt lgkmcnt(0)
	s_barrier
	buffer_gl0_inv
	v_cmpx_gt_u32_e32 29, v0
	s_cbranch_execz .LBB59_131
; %bb.128:
	v_add_nc_u32_e32 v5, -1, v0
	v_add_nc_u32_e32 v6, 0x1e0, v3
	v_mov_b32_e32 v7, v3
	v_mov_b32_e32 v2, 0
	;; [unrolled: 1-line block ×3, first 2 shown]
	s_mov_b32 s5, 0
	.p2align	6
.LBB59_129:                             ; =>This Inner Loop Header: Depth=1
	s_clause 0x1
	buffer_load_dword v11, v7, s[0:3], 0 offen offset:4
	buffer_load_dword v12, v7, s[0:3], 0 offen
	ds_read_b64 v[9:10], v6
	v_add_nc_u32_e32 v5, 1, v5
	v_add_nc_u32_e32 v6, 8, v6
	;; [unrolled: 1-line block ×3, first 2 shown]
	v_cmp_lt_u32_e32 vcc_lo, 27, v5
	s_or_b32 s5, vcc_lo, s5
	s_waitcnt vmcnt(1) lgkmcnt(0)
	v_mul_f32_e32 v133, v10, v11
	v_mul_f32_e32 v11, v9, v11
	s_waitcnt vmcnt(0)
	v_fma_f32 v9, v9, v12, -v133
	v_fmac_f32_e32 v11, v10, v12
	v_add_f32_e32 v8, v8, v9
	v_add_f32_e32 v2, v2, v11
	s_andn2_b32 exec_lo, exec_lo, s5
	s_cbranch_execnz .LBB59_129
; %bb.130:
	s_or_b32 exec_lo, exec_lo, s5
	v_mov_b32_e32 v5, 0
	ds_read_b64 v[5:6], v5 offset:232
	s_waitcnt lgkmcnt(0)
	v_mul_f32_e32 v7, v2, v6
	v_mul_f32_e32 v6, v8, v6
	v_fma_f32 v7, v8, v5, -v7
	v_fmac_f32_e32 v6, v2, v5
	buffer_store_dword v7, off, s[0:3], 0 offset:232
	buffer_store_dword v6, off, s[0:3], 0 offset:236
.LBB59_131:
	s_or_b32 exec_lo, exec_lo, s4
	s_waitcnt_vscnt null, 0x0
	s_barrier
	buffer_gl0_inv
	s_clause 0x1
	buffer_load_dword v5, off, s[0:3], 0 offset:240
	buffer_load_dword v6, off, s[0:3], 0 offset:244
	s_mov_b32 s4, exec_lo
	s_waitcnt vmcnt(0)
	ds_write_b64 v4, v[5:6]
	s_waitcnt lgkmcnt(0)
	s_barrier
	buffer_gl0_inv
	v_cmpx_gt_u32_e32 30, v0
	s_cbranch_execz .LBB59_135
; %bb.132:
	v_add_nc_u32_e32 v5, -1, v0
	v_add_nc_u32_e32 v6, 0x1e0, v3
	v_mov_b32_e32 v7, v3
	v_mov_b32_e32 v2, 0
	;; [unrolled: 1-line block ×3, first 2 shown]
	s_mov_b32 s5, 0
	.p2align	6
.LBB59_133:                             ; =>This Inner Loop Header: Depth=1
	s_clause 0x1
	buffer_load_dword v11, v7, s[0:3], 0 offen offset:4
	buffer_load_dword v12, v7, s[0:3], 0 offen
	ds_read_b64 v[9:10], v6
	v_add_nc_u32_e32 v5, 1, v5
	v_add_nc_u32_e32 v6, 8, v6
	;; [unrolled: 1-line block ×3, first 2 shown]
	v_cmp_lt_u32_e32 vcc_lo, 28, v5
	s_or_b32 s5, vcc_lo, s5
	s_waitcnt vmcnt(1) lgkmcnt(0)
	v_mul_f32_e32 v133, v10, v11
	v_mul_f32_e32 v11, v9, v11
	s_waitcnt vmcnt(0)
	v_fma_f32 v9, v9, v12, -v133
	v_fmac_f32_e32 v11, v10, v12
	v_add_f32_e32 v8, v8, v9
	v_add_f32_e32 v2, v2, v11
	s_andn2_b32 exec_lo, exec_lo, s5
	s_cbranch_execnz .LBB59_133
; %bb.134:
	s_or_b32 exec_lo, exec_lo, s5
	v_mov_b32_e32 v5, 0
	ds_read_b64 v[5:6], v5 offset:240
	s_waitcnt lgkmcnt(0)
	v_mul_f32_e32 v7, v2, v6
	v_mul_f32_e32 v6, v8, v6
	v_fma_f32 v7, v8, v5, -v7
	v_fmac_f32_e32 v6, v2, v5
	buffer_store_dword v7, off, s[0:3], 0 offset:240
	buffer_store_dword v6, off, s[0:3], 0 offset:244
.LBB59_135:
	s_or_b32 exec_lo, exec_lo, s4
	s_waitcnt_vscnt null, 0x0
	s_barrier
	buffer_gl0_inv
	s_clause 0x1
	buffer_load_dword v5, off, s[0:3], 0 offset:248
	buffer_load_dword v6, off, s[0:3], 0 offset:252
	s_mov_b32 s4, exec_lo
	s_waitcnt vmcnt(0)
	ds_write_b64 v4, v[5:6]
	s_waitcnt lgkmcnt(0)
	s_barrier
	buffer_gl0_inv
	v_cmpx_gt_u32_e32 31, v0
	s_cbranch_execz .LBB59_139
; %bb.136:
	v_add_nc_u32_e32 v5, -1, v0
	v_add_nc_u32_e32 v6, 0x1e0, v3
	v_mov_b32_e32 v7, v3
	v_mov_b32_e32 v2, 0
	;; [unrolled: 1-line block ×3, first 2 shown]
	s_mov_b32 s5, 0
	.p2align	6
.LBB59_137:                             ; =>This Inner Loop Header: Depth=1
	s_clause 0x1
	buffer_load_dword v11, v7, s[0:3], 0 offen offset:4
	buffer_load_dword v12, v7, s[0:3], 0 offen
	ds_read_b64 v[9:10], v6
	v_add_nc_u32_e32 v5, 1, v5
	v_add_nc_u32_e32 v6, 8, v6
	;; [unrolled: 1-line block ×3, first 2 shown]
	v_cmp_lt_u32_e32 vcc_lo, 29, v5
	s_or_b32 s5, vcc_lo, s5
	s_waitcnt vmcnt(1) lgkmcnt(0)
	v_mul_f32_e32 v133, v10, v11
	v_mul_f32_e32 v11, v9, v11
	s_waitcnt vmcnt(0)
	v_fma_f32 v9, v9, v12, -v133
	v_fmac_f32_e32 v11, v10, v12
	v_add_f32_e32 v8, v8, v9
	v_add_f32_e32 v2, v2, v11
	s_andn2_b32 exec_lo, exec_lo, s5
	s_cbranch_execnz .LBB59_137
; %bb.138:
	s_or_b32 exec_lo, exec_lo, s5
	v_mov_b32_e32 v5, 0
	ds_read_b64 v[5:6], v5 offset:248
	s_waitcnt lgkmcnt(0)
	v_mul_f32_e32 v7, v2, v6
	v_mul_f32_e32 v6, v8, v6
	v_fma_f32 v7, v8, v5, -v7
	v_fmac_f32_e32 v6, v2, v5
	buffer_store_dword v7, off, s[0:3], 0 offset:248
	buffer_store_dword v6, off, s[0:3], 0 offset:252
.LBB59_139:
	s_or_b32 exec_lo, exec_lo, s4
	s_waitcnt_vscnt null, 0x0
	s_barrier
	buffer_gl0_inv
	s_clause 0x1
	buffer_load_dword v5, off, s[0:3], 0 offset:256
	buffer_load_dword v6, off, s[0:3], 0 offset:260
	s_mov_b32 s4, exec_lo
	s_waitcnt vmcnt(0)
	ds_write_b64 v4, v[5:6]
	s_waitcnt lgkmcnt(0)
	s_barrier
	buffer_gl0_inv
	v_cmpx_gt_u32_e32 32, v0
	s_cbranch_execz .LBB59_143
; %bb.140:
	v_add_nc_u32_e32 v5, -1, v0
	v_add_nc_u32_e32 v6, 0x1e0, v3
	v_mov_b32_e32 v7, v3
	v_mov_b32_e32 v2, 0
	;; [unrolled: 1-line block ×3, first 2 shown]
	s_mov_b32 s5, 0
	.p2align	6
.LBB59_141:                             ; =>This Inner Loop Header: Depth=1
	s_clause 0x1
	buffer_load_dword v11, v7, s[0:3], 0 offen offset:4
	buffer_load_dword v12, v7, s[0:3], 0 offen
	ds_read_b64 v[9:10], v6
	v_add_nc_u32_e32 v5, 1, v5
	v_add_nc_u32_e32 v6, 8, v6
	;; [unrolled: 1-line block ×3, first 2 shown]
	v_cmp_lt_u32_e32 vcc_lo, 30, v5
	s_or_b32 s5, vcc_lo, s5
	s_waitcnt vmcnt(1) lgkmcnt(0)
	v_mul_f32_e32 v133, v10, v11
	v_mul_f32_e32 v11, v9, v11
	s_waitcnt vmcnt(0)
	v_fma_f32 v9, v9, v12, -v133
	v_fmac_f32_e32 v11, v10, v12
	v_add_f32_e32 v8, v8, v9
	v_add_f32_e32 v2, v2, v11
	s_andn2_b32 exec_lo, exec_lo, s5
	s_cbranch_execnz .LBB59_141
; %bb.142:
	s_or_b32 exec_lo, exec_lo, s5
	v_mov_b32_e32 v5, 0
	ds_read_b64 v[5:6], v5 offset:256
	s_waitcnt lgkmcnt(0)
	v_mul_f32_e32 v7, v2, v6
	v_mul_f32_e32 v6, v8, v6
	v_fma_f32 v7, v8, v5, -v7
	v_fmac_f32_e32 v6, v2, v5
	buffer_store_dword v7, off, s[0:3], 0 offset:256
	buffer_store_dword v6, off, s[0:3], 0 offset:260
.LBB59_143:
	s_or_b32 exec_lo, exec_lo, s4
	s_waitcnt_vscnt null, 0x0
	s_barrier
	buffer_gl0_inv
	s_clause 0x1
	buffer_load_dword v5, off, s[0:3], 0 offset:264
	buffer_load_dword v6, off, s[0:3], 0 offset:268
	s_mov_b32 s4, exec_lo
	s_waitcnt vmcnt(0)
	ds_write_b64 v4, v[5:6]
	s_waitcnt lgkmcnt(0)
	s_barrier
	buffer_gl0_inv
	v_cmpx_gt_u32_e32 33, v0
	s_cbranch_execz .LBB59_147
; %bb.144:
	v_add_nc_u32_e32 v5, -1, v0
	v_add_nc_u32_e32 v6, 0x1e0, v3
	v_mov_b32_e32 v7, v3
	v_mov_b32_e32 v2, 0
	;; [unrolled: 1-line block ×3, first 2 shown]
	s_mov_b32 s5, 0
	.p2align	6
.LBB59_145:                             ; =>This Inner Loop Header: Depth=1
	s_clause 0x1
	buffer_load_dword v11, v7, s[0:3], 0 offen offset:4
	buffer_load_dword v12, v7, s[0:3], 0 offen
	ds_read_b64 v[9:10], v6
	v_add_nc_u32_e32 v5, 1, v5
	v_add_nc_u32_e32 v6, 8, v6
	;; [unrolled: 1-line block ×3, first 2 shown]
	v_cmp_lt_u32_e32 vcc_lo, 31, v5
	s_or_b32 s5, vcc_lo, s5
	s_waitcnt vmcnt(1) lgkmcnt(0)
	v_mul_f32_e32 v133, v10, v11
	v_mul_f32_e32 v11, v9, v11
	s_waitcnt vmcnt(0)
	v_fma_f32 v9, v9, v12, -v133
	v_fmac_f32_e32 v11, v10, v12
	v_add_f32_e32 v8, v8, v9
	v_add_f32_e32 v2, v2, v11
	s_andn2_b32 exec_lo, exec_lo, s5
	s_cbranch_execnz .LBB59_145
; %bb.146:
	s_or_b32 exec_lo, exec_lo, s5
	v_mov_b32_e32 v5, 0
	ds_read_b64 v[5:6], v5 offset:264
	s_waitcnt lgkmcnt(0)
	v_mul_f32_e32 v7, v2, v6
	v_mul_f32_e32 v6, v8, v6
	v_fma_f32 v7, v8, v5, -v7
	v_fmac_f32_e32 v6, v2, v5
	buffer_store_dword v7, off, s[0:3], 0 offset:264
	buffer_store_dword v6, off, s[0:3], 0 offset:268
.LBB59_147:
	s_or_b32 exec_lo, exec_lo, s4
	s_waitcnt_vscnt null, 0x0
	s_barrier
	buffer_gl0_inv
	s_clause 0x1
	buffer_load_dword v5, off, s[0:3], 0 offset:272
	buffer_load_dword v6, off, s[0:3], 0 offset:276
	s_mov_b32 s4, exec_lo
	s_waitcnt vmcnt(0)
	ds_write_b64 v4, v[5:6]
	s_waitcnt lgkmcnt(0)
	s_barrier
	buffer_gl0_inv
	v_cmpx_gt_u32_e32 34, v0
	s_cbranch_execz .LBB59_151
; %bb.148:
	v_add_nc_u32_e32 v5, -1, v0
	v_add_nc_u32_e32 v6, 0x1e0, v3
	v_mov_b32_e32 v7, v3
	v_mov_b32_e32 v2, 0
	;; [unrolled: 1-line block ×3, first 2 shown]
	s_mov_b32 s5, 0
	.p2align	6
.LBB59_149:                             ; =>This Inner Loop Header: Depth=1
	s_clause 0x1
	buffer_load_dword v11, v7, s[0:3], 0 offen offset:4
	buffer_load_dword v12, v7, s[0:3], 0 offen
	ds_read_b64 v[9:10], v6
	v_add_nc_u32_e32 v5, 1, v5
	v_add_nc_u32_e32 v6, 8, v6
	;; [unrolled: 1-line block ×3, first 2 shown]
	v_cmp_lt_u32_e32 vcc_lo, 32, v5
	s_or_b32 s5, vcc_lo, s5
	s_waitcnt vmcnt(1) lgkmcnt(0)
	v_mul_f32_e32 v133, v10, v11
	v_mul_f32_e32 v11, v9, v11
	s_waitcnt vmcnt(0)
	v_fma_f32 v9, v9, v12, -v133
	v_fmac_f32_e32 v11, v10, v12
	v_add_f32_e32 v8, v8, v9
	v_add_f32_e32 v2, v2, v11
	s_andn2_b32 exec_lo, exec_lo, s5
	s_cbranch_execnz .LBB59_149
; %bb.150:
	s_or_b32 exec_lo, exec_lo, s5
	v_mov_b32_e32 v5, 0
	ds_read_b64 v[5:6], v5 offset:272
	s_waitcnt lgkmcnt(0)
	v_mul_f32_e32 v7, v2, v6
	v_mul_f32_e32 v6, v8, v6
	v_fma_f32 v7, v8, v5, -v7
	v_fmac_f32_e32 v6, v2, v5
	buffer_store_dword v7, off, s[0:3], 0 offset:272
	buffer_store_dword v6, off, s[0:3], 0 offset:276
.LBB59_151:
	s_or_b32 exec_lo, exec_lo, s4
	s_waitcnt_vscnt null, 0x0
	s_barrier
	buffer_gl0_inv
	s_clause 0x1
	buffer_load_dword v5, off, s[0:3], 0 offset:280
	buffer_load_dword v6, off, s[0:3], 0 offset:284
	s_mov_b32 s4, exec_lo
	s_waitcnt vmcnt(0)
	ds_write_b64 v4, v[5:6]
	s_waitcnt lgkmcnt(0)
	s_barrier
	buffer_gl0_inv
	v_cmpx_gt_u32_e32 35, v0
	s_cbranch_execz .LBB59_155
; %bb.152:
	v_add_nc_u32_e32 v5, -1, v0
	v_add_nc_u32_e32 v6, 0x1e0, v3
	v_mov_b32_e32 v7, v3
	v_mov_b32_e32 v2, 0
	;; [unrolled: 1-line block ×3, first 2 shown]
	s_mov_b32 s5, 0
	.p2align	6
.LBB59_153:                             ; =>This Inner Loop Header: Depth=1
	s_clause 0x1
	buffer_load_dword v11, v7, s[0:3], 0 offen offset:4
	buffer_load_dword v12, v7, s[0:3], 0 offen
	ds_read_b64 v[9:10], v6
	v_add_nc_u32_e32 v5, 1, v5
	v_add_nc_u32_e32 v6, 8, v6
	v_add_nc_u32_e32 v7, 8, v7
	v_cmp_lt_u32_e32 vcc_lo, 33, v5
	s_or_b32 s5, vcc_lo, s5
	s_waitcnt vmcnt(1) lgkmcnt(0)
	v_mul_f32_e32 v133, v10, v11
	v_mul_f32_e32 v11, v9, v11
	s_waitcnt vmcnt(0)
	v_fma_f32 v9, v9, v12, -v133
	v_fmac_f32_e32 v11, v10, v12
	v_add_f32_e32 v8, v8, v9
	v_add_f32_e32 v2, v2, v11
	s_andn2_b32 exec_lo, exec_lo, s5
	s_cbranch_execnz .LBB59_153
; %bb.154:
	s_or_b32 exec_lo, exec_lo, s5
	v_mov_b32_e32 v5, 0
	ds_read_b64 v[5:6], v5 offset:280
	s_waitcnt lgkmcnt(0)
	v_mul_f32_e32 v7, v2, v6
	v_mul_f32_e32 v6, v8, v6
	v_fma_f32 v7, v8, v5, -v7
	v_fmac_f32_e32 v6, v2, v5
	buffer_store_dword v7, off, s[0:3], 0 offset:280
	buffer_store_dword v6, off, s[0:3], 0 offset:284
.LBB59_155:
	s_or_b32 exec_lo, exec_lo, s4
	s_waitcnt_vscnt null, 0x0
	s_barrier
	buffer_gl0_inv
	s_clause 0x1
	buffer_load_dword v5, off, s[0:3], 0 offset:288
	buffer_load_dword v6, off, s[0:3], 0 offset:292
	s_mov_b32 s4, exec_lo
	s_waitcnt vmcnt(0)
	ds_write_b64 v4, v[5:6]
	s_waitcnt lgkmcnt(0)
	s_barrier
	buffer_gl0_inv
	v_cmpx_gt_u32_e32 36, v0
	s_cbranch_execz .LBB59_159
; %bb.156:
	v_add_nc_u32_e32 v5, -1, v0
	v_add_nc_u32_e32 v6, 0x1e0, v3
	v_mov_b32_e32 v7, v3
	v_mov_b32_e32 v2, 0
	;; [unrolled: 1-line block ×3, first 2 shown]
	s_mov_b32 s5, 0
	.p2align	6
.LBB59_157:                             ; =>This Inner Loop Header: Depth=1
	s_clause 0x1
	buffer_load_dword v11, v7, s[0:3], 0 offen offset:4
	buffer_load_dword v12, v7, s[0:3], 0 offen
	ds_read_b64 v[9:10], v6
	v_add_nc_u32_e32 v5, 1, v5
	v_add_nc_u32_e32 v6, 8, v6
	v_add_nc_u32_e32 v7, 8, v7
	v_cmp_lt_u32_e32 vcc_lo, 34, v5
	s_or_b32 s5, vcc_lo, s5
	s_waitcnt vmcnt(1) lgkmcnt(0)
	v_mul_f32_e32 v133, v10, v11
	v_mul_f32_e32 v11, v9, v11
	s_waitcnt vmcnt(0)
	v_fma_f32 v9, v9, v12, -v133
	v_fmac_f32_e32 v11, v10, v12
	v_add_f32_e32 v8, v8, v9
	v_add_f32_e32 v2, v2, v11
	s_andn2_b32 exec_lo, exec_lo, s5
	s_cbranch_execnz .LBB59_157
; %bb.158:
	s_or_b32 exec_lo, exec_lo, s5
	v_mov_b32_e32 v5, 0
	ds_read_b64 v[5:6], v5 offset:288
	s_waitcnt lgkmcnt(0)
	v_mul_f32_e32 v7, v2, v6
	v_mul_f32_e32 v6, v8, v6
	v_fma_f32 v7, v8, v5, -v7
	v_fmac_f32_e32 v6, v2, v5
	buffer_store_dword v7, off, s[0:3], 0 offset:288
	buffer_store_dword v6, off, s[0:3], 0 offset:292
.LBB59_159:
	s_or_b32 exec_lo, exec_lo, s4
	s_waitcnt_vscnt null, 0x0
	s_barrier
	buffer_gl0_inv
	s_clause 0x1
	buffer_load_dword v5, off, s[0:3], 0 offset:296
	buffer_load_dword v6, off, s[0:3], 0 offset:300
	s_mov_b32 s4, exec_lo
	s_waitcnt vmcnt(0)
	ds_write_b64 v4, v[5:6]
	s_waitcnt lgkmcnt(0)
	s_barrier
	buffer_gl0_inv
	v_cmpx_gt_u32_e32 37, v0
	s_cbranch_execz .LBB59_163
; %bb.160:
	v_add_nc_u32_e32 v5, -1, v0
	v_add_nc_u32_e32 v6, 0x1e0, v3
	v_mov_b32_e32 v7, v3
	v_mov_b32_e32 v2, 0
	;; [unrolled: 1-line block ×3, first 2 shown]
	s_mov_b32 s5, 0
	.p2align	6
.LBB59_161:                             ; =>This Inner Loop Header: Depth=1
	s_clause 0x1
	buffer_load_dword v11, v7, s[0:3], 0 offen offset:4
	buffer_load_dword v12, v7, s[0:3], 0 offen
	ds_read_b64 v[9:10], v6
	v_add_nc_u32_e32 v5, 1, v5
	v_add_nc_u32_e32 v6, 8, v6
	;; [unrolled: 1-line block ×3, first 2 shown]
	v_cmp_lt_u32_e32 vcc_lo, 35, v5
	s_or_b32 s5, vcc_lo, s5
	s_waitcnt vmcnt(1) lgkmcnt(0)
	v_mul_f32_e32 v133, v10, v11
	v_mul_f32_e32 v11, v9, v11
	s_waitcnt vmcnt(0)
	v_fma_f32 v9, v9, v12, -v133
	v_fmac_f32_e32 v11, v10, v12
	v_add_f32_e32 v8, v8, v9
	v_add_f32_e32 v2, v2, v11
	s_andn2_b32 exec_lo, exec_lo, s5
	s_cbranch_execnz .LBB59_161
; %bb.162:
	s_or_b32 exec_lo, exec_lo, s5
	v_mov_b32_e32 v5, 0
	ds_read_b64 v[5:6], v5 offset:296
	s_waitcnt lgkmcnt(0)
	v_mul_f32_e32 v7, v2, v6
	v_mul_f32_e32 v6, v8, v6
	v_fma_f32 v7, v8, v5, -v7
	v_fmac_f32_e32 v6, v2, v5
	buffer_store_dword v7, off, s[0:3], 0 offset:296
	buffer_store_dword v6, off, s[0:3], 0 offset:300
.LBB59_163:
	s_or_b32 exec_lo, exec_lo, s4
	s_waitcnt_vscnt null, 0x0
	s_barrier
	buffer_gl0_inv
	s_clause 0x1
	buffer_load_dword v5, off, s[0:3], 0 offset:304
	buffer_load_dword v6, off, s[0:3], 0 offset:308
	s_mov_b32 s4, exec_lo
	s_waitcnt vmcnt(0)
	ds_write_b64 v4, v[5:6]
	s_waitcnt lgkmcnt(0)
	s_barrier
	buffer_gl0_inv
	v_cmpx_gt_u32_e32 38, v0
	s_cbranch_execz .LBB59_167
; %bb.164:
	v_add_nc_u32_e32 v5, -1, v0
	v_add_nc_u32_e32 v6, 0x1e0, v3
	v_mov_b32_e32 v7, v3
	v_mov_b32_e32 v2, 0
	;; [unrolled: 1-line block ×3, first 2 shown]
	s_mov_b32 s5, 0
	.p2align	6
.LBB59_165:                             ; =>This Inner Loop Header: Depth=1
	s_clause 0x1
	buffer_load_dword v11, v7, s[0:3], 0 offen offset:4
	buffer_load_dword v12, v7, s[0:3], 0 offen
	ds_read_b64 v[9:10], v6
	v_add_nc_u32_e32 v5, 1, v5
	v_add_nc_u32_e32 v6, 8, v6
	;; [unrolled: 1-line block ×3, first 2 shown]
	v_cmp_lt_u32_e32 vcc_lo, 36, v5
	s_or_b32 s5, vcc_lo, s5
	s_waitcnt vmcnt(1) lgkmcnt(0)
	v_mul_f32_e32 v133, v10, v11
	v_mul_f32_e32 v11, v9, v11
	s_waitcnt vmcnt(0)
	v_fma_f32 v9, v9, v12, -v133
	v_fmac_f32_e32 v11, v10, v12
	v_add_f32_e32 v8, v8, v9
	v_add_f32_e32 v2, v2, v11
	s_andn2_b32 exec_lo, exec_lo, s5
	s_cbranch_execnz .LBB59_165
; %bb.166:
	s_or_b32 exec_lo, exec_lo, s5
	v_mov_b32_e32 v5, 0
	ds_read_b64 v[5:6], v5 offset:304
	s_waitcnt lgkmcnt(0)
	v_mul_f32_e32 v7, v2, v6
	v_mul_f32_e32 v6, v8, v6
	v_fma_f32 v7, v8, v5, -v7
	v_fmac_f32_e32 v6, v2, v5
	buffer_store_dword v7, off, s[0:3], 0 offset:304
	buffer_store_dword v6, off, s[0:3], 0 offset:308
.LBB59_167:
	s_or_b32 exec_lo, exec_lo, s4
	s_waitcnt_vscnt null, 0x0
	s_barrier
	buffer_gl0_inv
	s_clause 0x1
	buffer_load_dword v5, off, s[0:3], 0 offset:312
	buffer_load_dword v6, off, s[0:3], 0 offset:316
	s_mov_b32 s4, exec_lo
	s_waitcnt vmcnt(0)
	ds_write_b64 v4, v[5:6]
	s_waitcnt lgkmcnt(0)
	s_barrier
	buffer_gl0_inv
	v_cmpx_gt_u32_e32 39, v0
	s_cbranch_execz .LBB59_171
; %bb.168:
	v_add_nc_u32_e32 v5, -1, v0
	v_add_nc_u32_e32 v6, 0x1e0, v3
	v_mov_b32_e32 v7, v3
	v_mov_b32_e32 v2, 0
	;; [unrolled: 1-line block ×3, first 2 shown]
	s_mov_b32 s5, 0
	.p2align	6
.LBB59_169:                             ; =>This Inner Loop Header: Depth=1
	s_clause 0x1
	buffer_load_dword v11, v7, s[0:3], 0 offen offset:4
	buffer_load_dword v12, v7, s[0:3], 0 offen
	ds_read_b64 v[9:10], v6
	v_add_nc_u32_e32 v5, 1, v5
	v_add_nc_u32_e32 v6, 8, v6
	;; [unrolled: 1-line block ×3, first 2 shown]
	v_cmp_lt_u32_e32 vcc_lo, 37, v5
	s_or_b32 s5, vcc_lo, s5
	s_waitcnt vmcnt(1) lgkmcnt(0)
	v_mul_f32_e32 v133, v10, v11
	v_mul_f32_e32 v11, v9, v11
	s_waitcnt vmcnt(0)
	v_fma_f32 v9, v9, v12, -v133
	v_fmac_f32_e32 v11, v10, v12
	v_add_f32_e32 v8, v8, v9
	v_add_f32_e32 v2, v2, v11
	s_andn2_b32 exec_lo, exec_lo, s5
	s_cbranch_execnz .LBB59_169
; %bb.170:
	s_or_b32 exec_lo, exec_lo, s5
	v_mov_b32_e32 v5, 0
	ds_read_b64 v[5:6], v5 offset:312
	s_waitcnt lgkmcnt(0)
	v_mul_f32_e32 v7, v2, v6
	v_mul_f32_e32 v6, v8, v6
	v_fma_f32 v7, v8, v5, -v7
	v_fmac_f32_e32 v6, v2, v5
	buffer_store_dword v7, off, s[0:3], 0 offset:312
	buffer_store_dword v6, off, s[0:3], 0 offset:316
.LBB59_171:
	s_or_b32 exec_lo, exec_lo, s4
	s_waitcnt_vscnt null, 0x0
	s_barrier
	buffer_gl0_inv
	s_clause 0x1
	buffer_load_dword v5, off, s[0:3], 0 offset:320
	buffer_load_dword v6, off, s[0:3], 0 offset:324
	s_mov_b32 s4, exec_lo
	s_waitcnt vmcnt(0)
	ds_write_b64 v4, v[5:6]
	s_waitcnt lgkmcnt(0)
	s_barrier
	buffer_gl0_inv
	v_cmpx_gt_u32_e32 40, v0
	s_cbranch_execz .LBB59_175
; %bb.172:
	v_add_nc_u32_e32 v5, -1, v0
	v_add_nc_u32_e32 v6, 0x1e0, v3
	v_mov_b32_e32 v7, v3
	v_mov_b32_e32 v2, 0
	;; [unrolled: 1-line block ×3, first 2 shown]
	s_mov_b32 s5, 0
	.p2align	6
.LBB59_173:                             ; =>This Inner Loop Header: Depth=1
	s_clause 0x1
	buffer_load_dword v11, v7, s[0:3], 0 offen offset:4
	buffer_load_dword v12, v7, s[0:3], 0 offen
	ds_read_b64 v[9:10], v6
	v_add_nc_u32_e32 v5, 1, v5
	v_add_nc_u32_e32 v6, 8, v6
	;; [unrolled: 1-line block ×3, first 2 shown]
	v_cmp_lt_u32_e32 vcc_lo, 38, v5
	s_or_b32 s5, vcc_lo, s5
	s_waitcnt vmcnt(1) lgkmcnt(0)
	v_mul_f32_e32 v133, v10, v11
	v_mul_f32_e32 v11, v9, v11
	s_waitcnt vmcnt(0)
	v_fma_f32 v9, v9, v12, -v133
	v_fmac_f32_e32 v11, v10, v12
	v_add_f32_e32 v8, v8, v9
	v_add_f32_e32 v2, v2, v11
	s_andn2_b32 exec_lo, exec_lo, s5
	s_cbranch_execnz .LBB59_173
; %bb.174:
	s_or_b32 exec_lo, exec_lo, s5
	v_mov_b32_e32 v5, 0
	ds_read_b64 v[5:6], v5 offset:320
	s_waitcnt lgkmcnt(0)
	v_mul_f32_e32 v7, v2, v6
	v_mul_f32_e32 v6, v8, v6
	v_fma_f32 v7, v8, v5, -v7
	v_fmac_f32_e32 v6, v2, v5
	buffer_store_dword v7, off, s[0:3], 0 offset:320
	buffer_store_dword v6, off, s[0:3], 0 offset:324
.LBB59_175:
	s_or_b32 exec_lo, exec_lo, s4
	s_waitcnt_vscnt null, 0x0
	s_barrier
	buffer_gl0_inv
	s_clause 0x1
	buffer_load_dword v5, off, s[0:3], 0 offset:328
	buffer_load_dword v6, off, s[0:3], 0 offset:332
	s_mov_b32 s4, exec_lo
	s_waitcnt vmcnt(0)
	ds_write_b64 v4, v[5:6]
	s_waitcnt lgkmcnt(0)
	s_barrier
	buffer_gl0_inv
	v_cmpx_gt_u32_e32 41, v0
	s_cbranch_execz .LBB59_179
; %bb.176:
	v_add_nc_u32_e32 v5, -1, v0
	v_add_nc_u32_e32 v6, 0x1e0, v3
	v_mov_b32_e32 v7, v3
	v_mov_b32_e32 v2, 0
	;; [unrolled: 1-line block ×3, first 2 shown]
	s_mov_b32 s5, 0
	.p2align	6
.LBB59_177:                             ; =>This Inner Loop Header: Depth=1
	s_clause 0x1
	buffer_load_dword v11, v7, s[0:3], 0 offen offset:4
	buffer_load_dword v12, v7, s[0:3], 0 offen
	ds_read_b64 v[9:10], v6
	v_add_nc_u32_e32 v5, 1, v5
	v_add_nc_u32_e32 v6, 8, v6
	;; [unrolled: 1-line block ×3, first 2 shown]
	v_cmp_lt_u32_e32 vcc_lo, 39, v5
	s_or_b32 s5, vcc_lo, s5
	s_waitcnt vmcnt(1) lgkmcnt(0)
	v_mul_f32_e32 v133, v10, v11
	v_mul_f32_e32 v11, v9, v11
	s_waitcnt vmcnt(0)
	v_fma_f32 v9, v9, v12, -v133
	v_fmac_f32_e32 v11, v10, v12
	v_add_f32_e32 v8, v8, v9
	v_add_f32_e32 v2, v2, v11
	s_andn2_b32 exec_lo, exec_lo, s5
	s_cbranch_execnz .LBB59_177
; %bb.178:
	s_or_b32 exec_lo, exec_lo, s5
	v_mov_b32_e32 v5, 0
	ds_read_b64 v[5:6], v5 offset:328
	s_waitcnt lgkmcnt(0)
	v_mul_f32_e32 v7, v2, v6
	v_mul_f32_e32 v6, v8, v6
	v_fma_f32 v7, v8, v5, -v7
	v_fmac_f32_e32 v6, v2, v5
	buffer_store_dword v7, off, s[0:3], 0 offset:328
	buffer_store_dword v6, off, s[0:3], 0 offset:332
.LBB59_179:
	s_or_b32 exec_lo, exec_lo, s4
	s_waitcnt_vscnt null, 0x0
	s_barrier
	buffer_gl0_inv
	s_clause 0x1
	buffer_load_dword v5, off, s[0:3], 0 offset:336
	buffer_load_dword v6, off, s[0:3], 0 offset:340
	s_mov_b32 s4, exec_lo
	s_waitcnt vmcnt(0)
	ds_write_b64 v4, v[5:6]
	s_waitcnt lgkmcnt(0)
	s_barrier
	buffer_gl0_inv
	v_cmpx_gt_u32_e32 42, v0
	s_cbranch_execz .LBB59_183
; %bb.180:
	v_add_nc_u32_e32 v5, -1, v0
	v_add_nc_u32_e32 v6, 0x1e0, v3
	v_mov_b32_e32 v7, v3
	v_mov_b32_e32 v2, 0
	;; [unrolled: 1-line block ×3, first 2 shown]
	s_mov_b32 s5, 0
	.p2align	6
.LBB59_181:                             ; =>This Inner Loop Header: Depth=1
	s_clause 0x1
	buffer_load_dword v11, v7, s[0:3], 0 offen offset:4
	buffer_load_dword v12, v7, s[0:3], 0 offen
	ds_read_b64 v[9:10], v6
	v_add_nc_u32_e32 v5, 1, v5
	v_add_nc_u32_e32 v6, 8, v6
	v_add_nc_u32_e32 v7, 8, v7
	v_cmp_lt_u32_e32 vcc_lo, 40, v5
	s_or_b32 s5, vcc_lo, s5
	s_waitcnt vmcnt(1) lgkmcnt(0)
	v_mul_f32_e32 v133, v10, v11
	v_mul_f32_e32 v11, v9, v11
	s_waitcnt vmcnt(0)
	v_fma_f32 v9, v9, v12, -v133
	v_fmac_f32_e32 v11, v10, v12
	v_add_f32_e32 v8, v8, v9
	v_add_f32_e32 v2, v2, v11
	s_andn2_b32 exec_lo, exec_lo, s5
	s_cbranch_execnz .LBB59_181
; %bb.182:
	s_or_b32 exec_lo, exec_lo, s5
	v_mov_b32_e32 v5, 0
	ds_read_b64 v[5:6], v5 offset:336
	s_waitcnt lgkmcnt(0)
	v_mul_f32_e32 v7, v2, v6
	v_mul_f32_e32 v6, v8, v6
	v_fma_f32 v7, v8, v5, -v7
	v_fmac_f32_e32 v6, v2, v5
	buffer_store_dword v7, off, s[0:3], 0 offset:336
	buffer_store_dword v6, off, s[0:3], 0 offset:340
.LBB59_183:
	s_or_b32 exec_lo, exec_lo, s4
	s_waitcnt_vscnt null, 0x0
	s_barrier
	buffer_gl0_inv
	s_clause 0x1
	buffer_load_dword v5, off, s[0:3], 0 offset:344
	buffer_load_dword v6, off, s[0:3], 0 offset:348
	s_mov_b32 s4, exec_lo
	s_waitcnt vmcnt(0)
	ds_write_b64 v4, v[5:6]
	s_waitcnt lgkmcnt(0)
	s_barrier
	buffer_gl0_inv
	v_cmpx_gt_u32_e32 43, v0
	s_cbranch_execz .LBB59_187
; %bb.184:
	v_add_nc_u32_e32 v5, -1, v0
	v_add_nc_u32_e32 v6, 0x1e0, v3
	v_mov_b32_e32 v7, v3
	v_mov_b32_e32 v2, 0
	;; [unrolled: 1-line block ×3, first 2 shown]
	s_mov_b32 s5, 0
	.p2align	6
.LBB59_185:                             ; =>This Inner Loop Header: Depth=1
	s_clause 0x1
	buffer_load_dword v11, v7, s[0:3], 0 offen offset:4
	buffer_load_dword v12, v7, s[0:3], 0 offen
	ds_read_b64 v[9:10], v6
	v_add_nc_u32_e32 v5, 1, v5
	v_add_nc_u32_e32 v6, 8, v6
	;; [unrolled: 1-line block ×3, first 2 shown]
	v_cmp_lt_u32_e32 vcc_lo, 41, v5
	s_or_b32 s5, vcc_lo, s5
	s_waitcnt vmcnt(1) lgkmcnt(0)
	v_mul_f32_e32 v133, v10, v11
	v_mul_f32_e32 v11, v9, v11
	s_waitcnt vmcnt(0)
	v_fma_f32 v9, v9, v12, -v133
	v_fmac_f32_e32 v11, v10, v12
	v_add_f32_e32 v8, v8, v9
	v_add_f32_e32 v2, v2, v11
	s_andn2_b32 exec_lo, exec_lo, s5
	s_cbranch_execnz .LBB59_185
; %bb.186:
	s_or_b32 exec_lo, exec_lo, s5
	v_mov_b32_e32 v5, 0
	ds_read_b64 v[5:6], v5 offset:344
	s_waitcnt lgkmcnt(0)
	v_mul_f32_e32 v7, v2, v6
	v_mul_f32_e32 v6, v8, v6
	v_fma_f32 v7, v8, v5, -v7
	v_fmac_f32_e32 v6, v2, v5
	buffer_store_dword v7, off, s[0:3], 0 offset:344
	buffer_store_dword v6, off, s[0:3], 0 offset:348
.LBB59_187:
	s_or_b32 exec_lo, exec_lo, s4
	s_waitcnt_vscnt null, 0x0
	s_barrier
	buffer_gl0_inv
	s_clause 0x1
	buffer_load_dword v5, off, s[0:3], 0 offset:352
	buffer_load_dword v6, off, s[0:3], 0 offset:356
	s_mov_b32 s4, exec_lo
	s_waitcnt vmcnt(0)
	ds_write_b64 v4, v[5:6]
	s_waitcnt lgkmcnt(0)
	s_barrier
	buffer_gl0_inv
	v_cmpx_gt_u32_e32 44, v0
	s_cbranch_execz .LBB59_191
; %bb.188:
	v_add_nc_u32_e32 v5, -1, v0
	v_add_nc_u32_e32 v6, 0x1e0, v3
	v_mov_b32_e32 v7, v3
	v_mov_b32_e32 v2, 0
	;; [unrolled: 1-line block ×3, first 2 shown]
	s_mov_b32 s5, 0
	.p2align	6
.LBB59_189:                             ; =>This Inner Loop Header: Depth=1
	s_clause 0x1
	buffer_load_dword v11, v7, s[0:3], 0 offen offset:4
	buffer_load_dword v12, v7, s[0:3], 0 offen
	ds_read_b64 v[9:10], v6
	v_add_nc_u32_e32 v5, 1, v5
	v_add_nc_u32_e32 v6, 8, v6
	;; [unrolled: 1-line block ×3, first 2 shown]
	v_cmp_lt_u32_e32 vcc_lo, 42, v5
	s_or_b32 s5, vcc_lo, s5
	s_waitcnt vmcnt(1) lgkmcnt(0)
	v_mul_f32_e32 v133, v10, v11
	v_mul_f32_e32 v11, v9, v11
	s_waitcnt vmcnt(0)
	v_fma_f32 v9, v9, v12, -v133
	v_fmac_f32_e32 v11, v10, v12
	v_add_f32_e32 v8, v8, v9
	v_add_f32_e32 v2, v2, v11
	s_andn2_b32 exec_lo, exec_lo, s5
	s_cbranch_execnz .LBB59_189
; %bb.190:
	s_or_b32 exec_lo, exec_lo, s5
	v_mov_b32_e32 v5, 0
	ds_read_b64 v[5:6], v5 offset:352
	s_waitcnt lgkmcnt(0)
	v_mul_f32_e32 v7, v2, v6
	v_mul_f32_e32 v6, v8, v6
	v_fma_f32 v7, v8, v5, -v7
	v_fmac_f32_e32 v6, v2, v5
	buffer_store_dword v7, off, s[0:3], 0 offset:352
	buffer_store_dword v6, off, s[0:3], 0 offset:356
.LBB59_191:
	s_or_b32 exec_lo, exec_lo, s4
	s_waitcnt_vscnt null, 0x0
	s_barrier
	buffer_gl0_inv
	s_clause 0x1
	buffer_load_dword v5, off, s[0:3], 0 offset:360
	buffer_load_dword v6, off, s[0:3], 0 offset:364
	s_mov_b32 s4, exec_lo
	s_waitcnt vmcnt(0)
	ds_write_b64 v4, v[5:6]
	s_waitcnt lgkmcnt(0)
	s_barrier
	buffer_gl0_inv
	v_cmpx_gt_u32_e32 45, v0
	s_cbranch_execz .LBB59_195
; %bb.192:
	v_add_nc_u32_e32 v5, -1, v0
	v_add_nc_u32_e32 v6, 0x1e0, v3
	v_mov_b32_e32 v7, v3
	v_mov_b32_e32 v2, 0
	;; [unrolled: 1-line block ×3, first 2 shown]
	s_mov_b32 s5, 0
	.p2align	6
.LBB59_193:                             ; =>This Inner Loop Header: Depth=1
	s_clause 0x1
	buffer_load_dword v11, v7, s[0:3], 0 offen offset:4
	buffer_load_dword v12, v7, s[0:3], 0 offen
	ds_read_b64 v[9:10], v6
	v_add_nc_u32_e32 v5, 1, v5
	v_add_nc_u32_e32 v6, 8, v6
	;; [unrolled: 1-line block ×3, first 2 shown]
	v_cmp_lt_u32_e32 vcc_lo, 43, v5
	s_or_b32 s5, vcc_lo, s5
	s_waitcnt vmcnt(1) lgkmcnt(0)
	v_mul_f32_e32 v133, v10, v11
	v_mul_f32_e32 v11, v9, v11
	s_waitcnt vmcnt(0)
	v_fma_f32 v9, v9, v12, -v133
	v_fmac_f32_e32 v11, v10, v12
	v_add_f32_e32 v8, v8, v9
	v_add_f32_e32 v2, v2, v11
	s_andn2_b32 exec_lo, exec_lo, s5
	s_cbranch_execnz .LBB59_193
; %bb.194:
	s_or_b32 exec_lo, exec_lo, s5
	v_mov_b32_e32 v5, 0
	ds_read_b64 v[5:6], v5 offset:360
	s_waitcnt lgkmcnt(0)
	v_mul_f32_e32 v7, v2, v6
	v_mul_f32_e32 v6, v8, v6
	v_fma_f32 v7, v8, v5, -v7
	v_fmac_f32_e32 v6, v2, v5
	buffer_store_dword v7, off, s[0:3], 0 offset:360
	buffer_store_dword v6, off, s[0:3], 0 offset:364
.LBB59_195:
	s_or_b32 exec_lo, exec_lo, s4
	s_waitcnt_vscnt null, 0x0
	s_barrier
	buffer_gl0_inv
	s_clause 0x1
	buffer_load_dword v5, off, s[0:3], 0 offset:368
	buffer_load_dword v6, off, s[0:3], 0 offset:372
	s_mov_b32 s4, exec_lo
	s_waitcnt vmcnt(0)
	ds_write_b64 v4, v[5:6]
	s_waitcnt lgkmcnt(0)
	s_barrier
	buffer_gl0_inv
	v_cmpx_gt_u32_e32 46, v0
	s_cbranch_execz .LBB59_199
; %bb.196:
	v_add_nc_u32_e32 v5, -1, v0
	v_add_nc_u32_e32 v6, 0x1e0, v3
	v_mov_b32_e32 v7, v3
	v_mov_b32_e32 v2, 0
	;; [unrolled: 1-line block ×3, first 2 shown]
	s_mov_b32 s5, 0
	.p2align	6
.LBB59_197:                             ; =>This Inner Loop Header: Depth=1
	s_clause 0x1
	buffer_load_dword v11, v7, s[0:3], 0 offen offset:4
	buffer_load_dword v12, v7, s[0:3], 0 offen
	ds_read_b64 v[9:10], v6
	v_add_nc_u32_e32 v5, 1, v5
	v_add_nc_u32_e32 v6, 8, v6
	;; [unrolled: 1-line block ×3, first 2 shown]
	v_cmp_lt_u32_e32 vcc_lo, 44, v5
	s_or_b32 s5, vcc_lo, s5
	s_waitcnt vmcnt(1) lgkmcnt(0)
	v_mul_f32_e32 v133, v10, v11
	v_mul_f32_e32 v11, v9, v11
	s_waitcnt vmcnt(0)
	v_fma_f32 v9, v9, v12, -v133
	v_fmac_f32_e32 v11, v10, v12
	v_add_f32_e32 v8, v8, v9
	v_add_f32_e32 v2, v2, v11
	s_andn2_b32 exec_lo, exec_lo, s5
	s_cbranch_execnz .LBB59_197
; %bb.198:
	s_or_b32 exec_lo, exec_lo, s5
	v_mov_b32_e32 v5, 0
	ds_read_b64 v[5:6], v5 offset:368
	s_waitcnt lgkmcnt(0)
	v_mul_f32_e32 v7, v2, v6
	v_mul_f32_e32 v6, v8, v6
	v_fma_f32 v7, v8, v5, -v7
	v_fmac_f32_e32 v6, v2, v5
	buffer_store_dword v7, off, s[0:3], 0 offset:368
	buffer_store_dword v6, off, s[0:3], 0 offset:372
.LBB59_199:
	s_or_b32 exec_lo, exec_lo, s4
	s_waitcnt_vscnt null, 0x0
	s_barrier
	buffer_gl0_inv
	s_clause 0x1
	buffer_load_dword v5, off, s[0:3], 0 offset:376
	buffer_load_dword v6, off, s[0:3], 0 offset:380
	s_mov_b32 s4, exec_lo
	s_waitcnt vmcnt(0)
	ds_write_b64 v4, v[5:6]
	s_waitcnt lgkmcnt(0)
	s_barrier
	buffer_gl0_inv
	v_cmpx_gt_u32_e32 47, v0
	s_cbranch_execz .LBB59_203
; %bb.200:
	v_add_nc_u32_e32 v5, -1, v0
	v_add_nc_u32_e32 v6, 0x1e0, v3
	v_mov_b32_e32 v7, v3
	v_mov_b32_e32 v2, 0
	;; [unrolled: 1-line block ×3, first 2 shown]
	s_mov_b32 s5, 0
	.p2align	6
.LBB59_201:                             ; =>This Inner Loop Header: Depth=1
	s_clause 0x1
	buffer_load_dword v11, v7, s[0:3], 0 offen offset:4
	buffer_load_dword v12, v7, s[0:3], 0 offen
	ds_read_b64 v[9:10], v6
	v_add_nc_u32_e32 v5, 1, v5
	v_add_nc_u32_e32 v6, 8, v6
	;; [unrolled: 1-line block ×3, first 2 shown]
	v_cmp_lt_u32_e32 vcc_lo, 45, v5
	s_or_b32 s5, vcc_lo, s5
	s_waitcnt vmcnt(1) lgkmcnt(0)
	v_mul_f32_e32 v133, v10, v11
	v_mul_f32_e32 v11, v9, v11
	s_waitcnt vmcnt(0)
	v_fma_f32 v9, v9, v12, -v133
	v_fmac_f32_e32 v11, v10, v12
	v_add_f32_e32 v8, v8, v9
	v_add_f32_e32 v2, v2, v11
	s_andn2_b32 exec_lo, exec_lo, s5
	s_cbranch_execnz .LBB59_201
; %bb.202:
	s_or_b32 exec_lo, exec_lo, s5
	v_mov_b32_e32 v5, 0
	ds_read_b64 v[5:6], v5 offset:376
	s_waitcnt lgkmcnt(0)
	v_mul_f32_e32 v7, v2, v6
	v_mul_f32_e32 v6, v8, v6
	v_fma_f32 v7, v8, v5, -v7
	v_fmac_f32_e32 v6, v2, v5
	buffer_store_dword v7, off, s[0:3], 0 offset:376
	buffer_store_dword v6, off, s[0:3], 0 offset:380
.LBB59_203:
	s_or_b32 exec_lo, exec_lo, s4
	s_waitcnt_vscnt null, 0x0
	s_barrier
	buffer_gl0_inv
	s_clause 0x1
	buffer_load_dword v5, off, s[0:3], 0 offset:384
	buffer_load_dword v6, off, s[0:3], 0 offset:388
	s_mov_b32 s4, exec_lo
	s_waitcnt vmcnt(0)
	ds_write_b64 v4, v[5:6]
	s_waitcnt lgkmcnt(0)
	s_barrier
	buffer_gl0_inv
	v_cmpx_gt_u32_e32 48, v0
	s_cbranch_execz .LBB59_207
; %bb.204:
	v_add_nc_u32_e32 v5, -1, v0
	v_add_nc_u32_e32 v6, 0x1e0, v3
	v_mov_b32_e32 v7, v3
	v_mov_b32_e32 v2, 0
	;; [unrolled: 1-line block ×3, first 2 shown]
	s_mov_b32 s5, 0
	.p2align	6
.LBB59_205:                             ; =>This Inner Loop Header: Depth=1
	s_clause 0x1
	buffer_load_dword v11, v7, s[0:3], 0 offen offset:4
	buffer_load_dword v12, v7, s[0:3], 0 offen
	ds_read_b64 v[9:10], v6
	v_add_nc_u32_e32 v5, 1, v5
	v_add_nc_u32_e32 v6, 8, v6
	;; [unrolled: 1-line block ×3, first 2 shown]
	v_cmp_lt_u32_e32 vcc_lo, 46, v5
	s_or_b32 s5, vcc_lo, s5
	s_waitcnt vmcnt(1) lgkmcnt(0)
	v_mul_f32_e32 v133, v10, v11
	v_mul_f32_e32 v11, v9, v11
	s_waitcnt vmcnt(0)
	v_fma_f32 v9, v9, v12, -v133
	v_fmac_f32_e32 v11, v10, v12
	v_add_f32_e32 v8, v8, v9
	v_add_f32_e32 v2, v2, v11
	s_andn2_b32 exec_lo, exec_lo, s5
	s_cbranch_execnz .LBB59_205
; %bb.206:
	s_or_b32 exec_lo, exec_lo, s5
	v_mov_b32_e32 v5, 0
	ds_read_b64 v[5:6], v5 offset:384
	s_waitcnt lgkmcnt(0)
	v_mul_f32_e32 v7, v2, v6
	v_mul_f32_e32 v6, v8, v6
	v_fma_f32 v7, v8, v5, -v7
	v_fmac_f32_e32 v6, v2, v5
	buffer_store_dword v7, off, s[0:3], 0 offset:384
	buffer_store_dword v6, off, s[0:3], 0 offset:388
.LBB59_207:
	s_or_b32 exec_lo, exec_lo, s4
	s_waitcnt_vscnt null, 0x0
	s_barrier
	buffer_gl0_inv
	s_clause 0x1
	buffer_load_dword v5, off, s[0:3], 0 offset:392
	buffer_load_dword v6, off, s[0:3], 0 offset:396
	s_mov_b32 s4, exec_lo
	s_waitcnt vmcnt(0)
	ds_write_b64 v4, v[5:6]
	s_waitcnt lgkmcnt(0)
	s_barrier
	buffer_gl0_inv
	v_cmpx_gt_u32_e32 49, v0
	s_cbranch_execz .LBB59_211
; %bb.208:
	v_add_nc_u32_e32 v5, -1, v0
	v_add_nc_u32_e32 v6, 0x1e0, v3
	v_mov_b32_e32 v7, v3
	v_mov_b32_e32 v2, 0
	;; [unrolled: 1-line block ×3, first 2 shown]
	s_mov_b32 s5, 0
	.p2align	6
.LBB59_209:                             ; =>This Inner Loop Header: Depth=1
	s_clause 0x1
	buffer_load_dword v11, v7, s[0:3], 0 offen offset:4
	buffer_load_dword v12, v7, s[0:3], 0 offen
	ds_read_b64 v[9:10], v6
	v_add_nc_u32_e32 v5, 1, v5
	v_add_nc_u32_e32 v6, 8, v6
	;; [unrolled: 1-line block ×3, first 2 shown]
	v_cmp_lt_u32_e32 vcc_lo, 47, v5
	s_or_b32 s5, vcc_lo, s5
	s_waitcnt vmcnt(1) lgkmcnt(0)
	v_mul_f32_e32 v133, v10, v11
	v_mul_f32_e32 v11, v9, v11
	s_waitcnt vmcnt(0)
	v_fma_f32 v9, v9, v12, -v133
	v_fmac_f32_e32 v11, v10, v12
	v_add_f32_e32 v8, v8, v9
	v_add_f32_e32 v2, v2, v11
	s_andn2_b32 exec_lo, exec_lo, s5
	s_cbranch_execnz .LBB59_209
; %bb.210:
	s_or_b32 exec_lo, exec_lo, s5
	v_mov_b32_e32 v5, 0
	ds_read_b64 v[5:6], v5 offset:392
	s_waitcnt lgkmcnt(0)
	v_mul_f32_e32 v7, v2, v6
	v_mul_f32_e32 v6, v8, v6
	v_fma_f32 v7, v8, v5, -v7
	v_fmac_f32_e32 v6, v2, v5
	buffer_store_dword v7, off, s[0:3], 0 offset:392
	buffer_store_dword v6, off, s[0:3], 0 offset:396
.LBB59_211:
	s_or_b32 exec_lo, exec_lo, s4
	s_waitcnt_vscnt null, 0x0
	s_barrier
	buffer_gl0_inv
	s_clause 0x1
	buffer_load_dword v5, off, s[0:3], 0 offset:400
	buffer_load_dword v6, off, s[0:3], 0 offset:404
	s_mov_b32 s4, exec_lo
	s_waitcnt vmcnt(0)
	ds_write_b64 v4, v[5:6]
	s_waitcnt lgkmcnt(0)
	s_barrier
	buffer_gl0_inv
	v_cmpx_gt_u32_e32 50, v0
	s_cbranch_execz .LBB59_215
; %bb.212:
	v_add_nc_u32_e32 v5, -1, v0
	v_add_nc_u32_e32 v6, 0x1e0, v3
	v_mov_b32_e32 v7, v3
	v_mov_b32_e32 v2, 0
	v_mov_b32_e32 v8, 0
	s_mov_b32 s5, 0
	.p2align	6
.LBB59_213:                             ; =>This Inner Loop Header: Depth=1
	s_clause 0x1
	buffer_load_dword v11, v7, s[0:3], 0 offen offset:4
	buffer_load_dword v12, v7, s[0:3], 0 offen
	ds_read_b64 v[9:10], v6
	v_add_nc_u32_e32 v5, 1, v5
	v_add_nc_u32_e32 v6, 8, v6
	;; [unrolled: 1-line block ×3, first 2 shown]
	v_cmp_lt_u32_e32 vcc_lo, 48, v5
	s_or_b32 s5, vcc_lo, s5
	s_waitcnt vmcnt(1) lgkmcnt(0)
	v_mul_f32_e32 v133, v10, v11
	v_mul_f32_e32 v11, v9, v11
	s_waitcnt vmcnt(0)
	v_fma_f32 v9, v9, v12, -v133
	v_fmac_f32_e32 v11, v10, v12
	v_add_f32_e32 v8, v8, v9
	v_add_f32_e32 v2, v2, v11
	s_andn2_b32 exec_lo, exec_lo, s5
	s_cbranch_execnz .LBB59_213
; %bb.214:
	s_or_b32 exec_lo, exec_lo, s5
	v_mov_b32_e32 v5, 0
	ds_read_b64 v[5:6], v5 offset:400
	s_waitcnt lgkmcnt(0)
	v_mul_f32_e32 v7, v2, v6
	v_mul_f32_e32 v6, v8, v6
	v_fma_f32 v7, v8, v5, -v7
	v_fmac_f32_e32 v6, v2, v5
	buffer_store_dword v7, off, s[0:3], 0 offset:400
	buffer_store_dword v6, off, s[0:3], 0 offset:404
.LBB59_215:
	s_or_b32 exec_lo, exec_lo, s4
	s_waitcnt_vscnt null, 0x0
	s_barrier
	buffer_gl0_inv
	s_clause 0x1
	buffer_load_dword v5, off, s[0:3], 0 offset:408
	buffer_load_dword v6, off, s[0:3], 0 offset:412
	s_mov_b32 s4, exec_lo
	s_waitcnt vmcnt(0)
	ds_write_b64 v4, v[5:6]
	s_waitcnt lgkmcnt(0)
	s_barrier
	buffer_gl0_inv
	v_cmpx_gt_u32_e32 51, v0
	s_cbranch_execz .LBB59_219
; %bb.216:
	v_add_nc_u32_e32 v5, -1, v0
	v_add_nc_u32_e32 v6, 0x1e0, v3
	v_mov_b32_e32 v7, v3
	v_mov_b32_e32 v2, 0
	;; [unrolled: 1-line block ×3, first 2 shown]
	s_mov_b32 s5, 0
	.p2align	6
.LBB59_217:                             ; =>This Inner Loop Header: Depth=1
	s_clause 0x1
	buffer_load_dword v11, v7, s[0:3], 0 offen offset:4
	buffer_load_dword v12, v7, s[0:3], 0 offen
	ds_read_b64 v[9:10], v6
	v_add_nc_u32_e32 v5, 1, v5
	v_add_nc_u32_e32 v6, 8, v6
	;; [unrolled: 1-line block ×3, first 2 shown]
	v_cmp_lt_u32_e32 vcc_lo, 49, v5
	s_or_b32 s5, vcc_lo, s5
	s_waitcnt vmcnt(1) lgkmcnt(0)
	v_mul_f32_e32 v133, v10, v11
	v_mul_f32_e32 v11, v9, v11
	s_waitcnt vmcnt(0)
	v_fma_f32 v9, v9, v12, -v133
	v_fmac_f32_e32 v11, v10, v12
	v_add_f32_e32 v8, v8, v9
	v_add_f32_e32 v2, v2, v11
	s_andn2_b32 exec_lo, exec_lo, s5
	s_cbranch_execnz .LBB59_217
; %bb.218:
	s_or_b32 exec_lo, exec_lo, s5
	v_mov_b32_e32 v5, 0
	ds_read_b64 v[5:6], v5 offset:408
	s_waitcnt lgkmcnt(0)
	v_mul_f32_e32 v7, v2, v6
	v_mul_f32_e32 v6, v8, v6
	v_fma_f32 v7, v8, v5, -v7
	v_fmac_f32_e32 v6, v2, v5
	buffer_store_dword v7, off, s[0:3], 0 offset:408
	buffer_store_dword v6, off, s[0:3], 0 offset:412
.LBB59_219:
	s_or_b32 exec_lo, exec_lo, s4
	s_waitcnt_vscnt null, 0x0
	s_barrier
	buffer_gl0_inv
	s_clause 0x1
	buffer_load_dword v5, off, s[0:3], 0 offset:416
	buffer_load_dword v6, off, s[0:3], 0 offset:420
	s_mov_b32 s4, exec_lo
	s_waitcnt vmcnt(0)
	ds_write_b64 v4, v[5:6]
	s_waitcnt lgkmcnt(0)
	s_barrier
	buffer_gl0_inv
	v_cmpx_gt_u32_e32 52, v0
	s_cbranch_execz .LBB59_223
; %bb.220:
	v_add_nc_u32_e32 v5, -1, v0
	v_add_nc_u32_e32 v6, 0x1e0, v3
	v_mov_b32_e32 v7, v3
	v_mov_b32_e32 v2, 0
	v_mov_b32_e32 v8, 0
	s_mov_b32 s5, 0
	.p2align	6
.LBB59_221:                             ; =>This Inner Loop Header: Depth=1
	s_clause 0x1
	buffer_load_dword v11, v7, s[0:3], 0 offen offset:4
	buffer_load_dword v12, v7, s[0:3], 0 offen
	ds_read_b64 v[9:10], v6
	v_add_nc_u32_e32 v5, 1, v5
	v_add_nc_u32_e32 v6, 8, v6
	;; [unrolled: 1-line block ×3, first 2 shown]
	v_cmp_lt_u32_e32 vcc_lo, 50, v5
	s_or_b32 s5, vcc_lo, s5
	s_waitcnt vmcnt(1) lgkmcnt(0)
	v_mul_f32_e32 v133, v10, v11
	v_mul_f32_e32 v11, v9, v11
	s_waitcnt vmcnt(0)
	v_fma_f32 v9, v9, v12, -v133
	v_fmac_f32_e32 v11, v10, v12
	v_add_f32_e32 v8, v8, v9
	v_add_f32_e32 v2, v2, v11
	s_andn2_b32 exec_lo, exec_lo, s5
	s_cbranch_execnz .LBB59_221
; %bb.222:
	s_or_b32 exec_lo, exec_lo, s5
	v_mov_b32_e32 v5, 0
	ds_read_b64 v[5:6], v5 offset:416
	s_waitcnt lgkmcnt(0)
	v_mul_f32_e32 v7, v2, v6
	v_mul_f32_e32 v6, v8, v6
	v_fma_f32 v7, v8, v5, -v7
	v_fmac_f32_e32 v6, v2, v5
	buffer_store_dword v7, off, s[0:3], 0 offset:416
	buffer_store_dword v6, off, s[0:3], 0 offset:420
.LBB59_223:
	s_or_b32 exec_lo, exec_lo, s4
	s_waitcnt_vscnt null, 0x0
	s_barrier
	buffer_gl0_inv
	s_clause 0x1
	buffer_load_dword v5, off, s[0:3], 0 offset:424
	buffer_load_dword v6, off, s[0:3], 0 offset:428
	s_mov_b32 s4, exec_lo
	s_waitcnt vmcnt(0)
	ds_write_b64 v4, v[5:6]
	s_waitcnt lgkmcnt(0)
	s_barrier
	buffer_gl0_inv
	v_cmpx_gt_u32_e32 53, v0
	s_cbranch_execz .LBB59_227
; %bb.224:
	v_add_nc_u32_e32 v5, -1, v0
	v_add_nc_u32_e32 v6, 0x1e0, v3
	v_mov_b32_e32 v7, v3
	v_mov_b32_e32 v2, 0
	v_mov_b32_e32 v8, 0
	s_mov_b32 s5, 0
	.p2align	6
.LBB59_225:                             ; =>This Inner Loop Header: Depth=1
	s_clause 0x1
	buffer_load_dword v11, v7, s[0:3], 0 offen offset:4
	buffer_load_dword v12, v7, s[0:3], 0 offen
	ds_read_b64 v[9:10], v6
	v_add_nc_u32_e32 v5, 1, v5
	v_add_nc_u32_e32 v6, 8, v6
	;; [unrolled: 1-line block ×3, first 2 shown]
	v_cmp_lt_u32_e32 vcc_lo, 51, v5
	s_or_b32 s5, vcc_lo, s5
	s_waitcnt vmcnt(1) lgkmcnt(0)
	v_mul_f32_e32 v133, v10, v11
	v_mul_f32_e32 v11, v9, v11
	s_waitcnt vmcnt(0)
	v_fma_f32 v9, v9, v12, -v133
	v_fmac_f32_e32 v11, v10, v12
	v_add_f32_e32 v8, v8, v9
	v_add_f32_e32 v2, v2, v11
	s_andn2_b32 exec_lo, exec_lo, s5
	s_cbranch_execnz .LBB59_225
; %bb.226:
	s_or_b32 exec_lo, exec_lo, s5
	v_mov_b32_e32 v5, 0
	ds_read_b64 v[5:6], v5 offset:424
	s_waitcnt lgkmcnt(0)
	v_mul_f32_e32 v7, v2, v6
	v_mul_f32_e32 v6, v8, v6
	v_fma_f32 v7, v8, v5, -v7
	v_fmac_f32_e32 v6, v2, v5
	buffer_store_dword v7, off, s[0:3], 0 offset:424
	buffer_store_dword v6, off, s[0:3], 0 offset:428
.LBB59_227:
	s_or_b32 exec_lo, exec_lo, s4
	s_waitcnt_vscnt null, 0x0
	s_barrier
	buffer_gl0_inv
	s_clause 0x1
	buffer_load_dword v5, off, s[0:3], 0 offset:432
	buffer_load_dword v6, off, s[0:3], 0 offset:436
	s_mov_b32 s4, exec_lo
	s_waitcnt vmcnt(0)
	ds_write_b64 v4, v[5:6]
	s_waitcnt lgkmcnt(0)
	s_barrier
	buffer_gl0_inv
	v_cmpx_gt_u32_e32 54, v0
	s_cbranch_execz .LBB59_231
; %bb.228:
	v_add_nc_u32_e32 v5, -1, v0
	v_add_nc_u32_e32 v6, 0x1e0, v3
	v_mov_b32_e32 v7, v3
	v_mov_b32_e32 v2, 0
	;; [unrolled: 1-line block ×3, first 2 shown]
	s_mov_b32 s5, 0
	.p2align	6
.LBB59_229:                             ; =>This Inner Loop Header: Depth=1
	s_clause 0x1
	buffer_load_dword v11, v7, s[0:3], 0 offen offset:4
	buffer_load_dword v12, v7, s[0:3], 0 offen
	ds_read_b64 v[9:10], v6
	v_add_nc_u32_e32 v5, 1, v5
	v_add_nc_u32_e32 v6, 8, v6
	;; [unrolled: 1-line block ×3, first 2 shown]
	v_cmp_lt_u32_e32 vcc_lo, 52, v5
	s_or_b32 s5, vcc_lo, s5
	s_waitcnt vmcnt(1) lgkmcnt(0)
	v_mul_f32_e32 v133, v10, v11
	v_mul_f32_e32 v11, v9, v11
	s_waitcnt vmcnt(0)
	v_fma_f32 v9, v9, v12, -v133
	v_fmac_f32_e32 v11, v10, v12
	v_add_f32_e32 v8, v8, v9
	v_add_f32_e32 v2, v2, v11
	s_andn2_b32 exec_lo, exec_lo, s5
	s_cbranch_execnz .LBB59_229
; %bb.230:
	s_or_b32 exec_lo, exec_lo, s5
	v_mov_b32_e32 v5, 0
	ds_read_b64 v[5:6], v5 offset:432
	s_waitcnt lgkmcnt(0)
	v_mul_f32_e32 v7, v2, v6
	v_mul_f32_e32 v6, v8, v6
	v_fma_f32 v7, v8, v5, -v7
	v_fmac_f32_e32 v6, v2, v5
	buffer_store_dword v7, off, s[0:3], 0 offset:432
	buffer_store_dword v6, off, s[0:3], 0 offset:436
.LBB59_231:
	s_or_b32 exec_lo, exec_lo, s4
	s_waitcnt_vscnt null, 0x0
	s_barrier
	buffer_gl0_inv
	s_clause 0x1
	buffer_load_dword v5, off, s[0:3], 0 offset:440
	buffer_load_dword v6, off, s[0:3], 0 offset:444
	s_mov_b32 s4, exec_lo
	s_waitcnt vmcnt(0)
	ds_write_b64 v4, v[5:6]
	s_waitcnt lgkmcnt(0)
	s_barrier
	buffer_gl0_inv
	v_cmpx_gt_u32_e32 55, v0
	s_cbranch_execz .LBB59_235
; %bb.232:
	v_add_nc_u32_e32 v5, -1, v0
	v_add_nc_u32_e32 v6, 0x1e0, v3
	v_mov_b32_e32 v7, v3
	v_mov_b32_e32 v2, 0
	;; [unrolled: 1-line block ×3, first 2 shown]
	s_mov_b32 s5, 0
	.p2align	6
.LBB59_233:                             ; =>This Inner Loop Header: Depth=1
	s_clause 0x1
	buffer_load_dword v11, v7, s[0:3], 0 offen offset:4
	buffer_load_dword v12, v7, s[0:3], 0 offen
	ds_read_b64 v[9:10], v6
	v_add_nc_u32_e32 v5, 1, v5
	v_add_nc_u32_e32 v6, 8, v6
	;; [unrolled: 1-line block ×3, first 2 shown]
	v_cmp_lt_u32_e32 vcc_lo, 53, v5
	s_or_b32 s5, vcc_lo, s5
	s_waitcnt vmcnt(1) lgkmcnt(0)
	v_mul_f32_e32 v133, v10, v11
	v_mul_f32_e32 v11, v9, v11
	s_waitcnt vmcnt(0)
	v_fma_f32 v9, v9, v12, -v133
	v_fmac_f32_e32 v11, v10, v12
	v_add_f32_e32 v8, v8, v9
	v_add_f32_e32 v2, v2, v11
	s_andn2_b32 exec_lo, exec_lo, s5
	s_cbranch_execnz .LBB59_233
; %bb.234:
	s_or_b32 exec_lo, exec_lo, s5
	v_mov_b32_e32 v5, 0
	ds_read_b64 v[5:6], v5 offset:440
	s_waitcnt lgkmcnt(0)
	v_mul_f32_e32 v7, v2, v6
	v_mul_f32_e32 v6, v8, v6
	v_fma_f32 v7, v8, v5, -v7
	v_fmac_f32_e32 v6, v2, v5
	buffer_store_dword v7, off, s[0:3], 0 offset:440
	buffer_store_dword v6, off, s[0:3], 0 offset:444
.LBB59_235:
	s_or_b32 exec_lo, exec_lo, s4
	s_waitcnt_vscnt null, 0x0
	s_barrier
	buffer_gl0_inv
	s_clause 0x1
	buffer_load_dword v5, off, s[0:3], 0 offset:448
	buffer_load_dword v6, off, s[0:3], 0 offset:452
	s_mov_b32 s4, exec_lo
	s_waitcnt vmcnt(0)
	ds_write_b64 v4, v[5:6]
	s_waitcnt lgkmcnt(0)
	s_barrier
	buffer_gl0_inv
	v_cmpx_gt_u32_e32 56, v0
	s_cbranch_execz .LBB59_239
; %bb.236:
	v_add_nc_u32_e32 v5, -1, v0
	v_add_nc_u32_e32 v6, 0x1e0, v3
	v_mov_b32_e32 v7, v3
	v_mov_b32_e32 v2, 0
	;; [unrolled: 1-line block ×3, first 2 shown]
	s_mov_b32 s5, 0
	.p2align	6
.LBB59_237:                             ; =>This Inner Loop Header: Depth=1
	s_clause 0x1
	buffer_load_dword v11, v7, s[0:3], 0 offen offset:4
	buffer_load_dword v12, v7, s[0:3], 0 offen
	ds_read_b64 v[9:10], v6
	v_add_nc_u32_e32 v5, 1, v5
	v_add_nc_u32_e32 v6, 8, v6
	;; [unrolled: 1-line block ×3, first 2 shown]
	v_cmp_lt_u32_e32 vcc_lo, 54, v5
	s_or_b32 s5, vcc_lo, s5
	s_waitcnt vmcnt(1) lgkmcnt(0)
	v_mul_f32_e32 v133, v10, v11
	v_mul_f32_e32 v11, v9, v11
	s_waitcnt vmcnt(0)
	v_fma_f32 v9, v9, v12, -v133
	v_fmac_f32_e32 v11, v10, v12
	v_add_f32_e32 v8, v8, v9
	v_add_f32_e32 v2, v2, v11
	s_andn2_b32 exec_lo, exec_lo, s5
	s_cbranch_execnz .LBB59_237
; %bb.238:
	s_or_b32 exec_lo, exec_lo, s5
	v_mov_b32_e32 v5, 0
	ds_read_b64 v[5:6], v5 offset:448
	s_waitcnt lgkmcnt(0)
	v_mul_f32_e32 v7, v2, v6
	v_mul_f32_e32 v6, v8, v6
	v_fma_f32 v7, v8, v5, -v7
	v_fmac_f32_e32 v6, v2, v5
	buffer_store_dword v7, off, s[0:3], 0 offset:448
	buffer_store_dword v6, off, s[0:3], 0 offset:452
.LBB59_239:
	s_or_b32 exec_lo, exec_lo, s4
	s_waitcnt_vscnt null, 0x0
	s_barrier
	buffer_gl0_inv
	s_clause 0x1
	buffer_load_dword v5, off, s[0:3], 0 offset:456
	buffer_load_dword v6, off, s[0:3], 0 offset:460
	s_mov_b32 s4, exec_lo
	s_waitcnt vmcnt(0)
	ds_write_b64 v4, v[5:6]
	s_waitcnt lgkmcnt(0)
	s_barrier
	buffer_gl0_inv
	v_cmpx_gt_u32_e32 57, v0
	s_cbranch_execz .LBB59_243
; %bb.240:
	v_add_nc_u32_e32 v5, -1, v0
	v_add_nc_u32_e32 v6, 0x1e0, v3
	v_mov_b32_e32 v7, v3
	v_mov_b32_e32 v2, 0
	;; [unrolled: 1-line block ×3, first 2 shown]
	s_mov_b32 s5, 0
	.p2align	6
.LBB59_241:                             ; =>This Inner Loop Header: Depth=1
	s_clause 0x1
	buffer_load_dword v11, v7, s[0:3], 0 offen offset:4
	buffer_load_dword v12, v7, s[0:3], 0 offen
	ds_read_b64 v[9:10], v6
	v_add_nc_u32_e32 v5, 1, v5
	v_add_nc_u32_e32 v6, 8, v6
	;; [unrolled: 1-line block ×3, first 2 shown]
	v_cmp_lt_u32_e32 vcc_lo, 55, v5
	s_or_b32 s5, vcc_lo, s5
	s_waitcnt vmcnt(1) lgkmcnt(0)
	v_mul_f32_e32 v133, v10, v11
	v_mul_f32_e32 v11, v9, v11
	s_waitcnt vmcnt(0)
	v_fma_f32 v9, v9, v12, -v133
	v_fmac_f32_e32 v11, v10, v12
	v_add_f32_e32 v8, v8, v9
	v_add_f32_e32 v2, v2, v11
	s_andn2_b32 exec_lo, exec_lo, s5
	s_cbranch_execnz .LBB59_241
; %bb.242:
	s_or_b32 exec_lo, exec_lo, s5
	v_mov_b32_e32 v5, 0
	ds_read_b64 v[5:6], v5 offset:456
	s_waitcnt lgkmcnt(0)
	v_mul_f32_e32 v7, v2, v6
	v_mul_f32_e32 v6, v8, v6
	v_fma_f32 v7, v8, v5, -v7
	v_fmac_f32_e32 v6, v2, v5
	buffer_store_dword v7, off, s[0:3], 0 offset:456
	buffer_store_dword v6, off, s[0:3], 0 offset:460
.LBB59_243:
	s_or_b32 exec_lo, exec_lo, s4
	s_waitcnt_vscnt null, 0x0
	s_barrier
	buffer_gl0_inv
	s_clause 0x1
	buffer_load_dword v5, off, s[0:3], 0 offset:464
	buffer_load_dword v6, off, s[0:3], 0 offset:468
	s_mov_b32 s4, exec_lo
	s_waitcnt vmcnt(0)
	ds_write_b64 v4, v[5:6]
	s_waitcnt lgkmcnt(0)
	s_barrier
	buffer_gl0_inv
	v_cmpx_gt_u32_e32 58, v0
	s_cbranch_execz .LBB59_247
; %bb.244:
	v_add_nc_u32_e32 v5, -1, v0
	v_add_nc_u32_e32 v6, 0x1e0, v3
	v_mov_b32_e32 v7, v3
	v_mov_b32_e32 v2, 0
	;; [unrolled: 1-line block ×3, first 2 shown]
	s_mov_b32 s5, 0
	.p2align	6
.LBB59_245:                             ; =>This Inner Loop Header: Depth=1
	s_clause 0x1
	buffer_load_dword v11, v7, s[0:3], 0 offen offset:4
	buffer_load_dword v12, v7, s[0:3], 0 offen
	ds_read_b64 v[9:10], v6
	v_add_nc_u32_e32 v5, 1, v5
	v_add_nc_u32_e32 v6, 8, v6
	;; [unrolled: 1-line block ×3, first 2 shown]
	v_cmp_lt_u32_e32 vcc_lo, 56, v5
	s_or_b32 s5, vcc_lo, s5
	s_waitcnt vmcnt(1) lgkmcnt(0)
	v_mul_f32_e32 v133, v10, v11
	v_mul_f32_e32 v11, v9, v11
	s_waitcnt vmcnt(0)
	v_fma_f32 v9, v9, v12, -v133
	v_fmac_f32_e32 v11, v10, v12
	v_add_f32_e32 v8, v8, v9
	v_add_f32_e32 v2, v2, v11
	s_andn2_b32 exec_lo, exec_lo, s5
	s_cbranch_execnz .LBB59_245
; %bb.246:
	s_or_b32 exec_lo, exec_lo, s5
	v_mov_b32_e32 v5, 0
	ds_read_b64 v[5:6], v5 offset:464
	s_waitcnt lgkmcnt(0)
	v_mul_f32_e32 v7, v2, v6
	v_mul_f32_e32 v6, v8, v6
	v_fma_f32 v7, v8, v5, -v7
	v_fmac_f32_e32 v6, v2, v5
	buffer_store_dword v7, off, s[0:3], 0 offset:464
	buffer_store_dword v6, off, s[0:3], 0 offset:468
.LBB59_247:
	s_or_b32 exec_lo, exec_lo, s4
	s_waitcnt_vscnt null, 0x0
	s_barrier
	buffer_gl0_inv
	s_clause 0x1
	buffer_load_dword v5, off, s[0:3], 0 offset:472
	buffer_load_dword v6, off, s[0:3], 0 offset:476
	s_mov_b32 s4, exec_lo
	s_waitcnt vmcnt(0)
	ds_write_b64 v4, v[5:6]
	s_waitcnt lgkmcnt(0)
	s_barrier
	buffer_gl0_inv
	v_cmpx_ne_u32_e32 59, v0
	s_cbranch_execz .LBB59_251
; %bb.248:
	v_mov_b32_e32 v2, 0
	v_mov_b32_e32 v5, 0
	s_mov_b32 s5, 0
	.p2align	6
.LBB59_249:                             ; =>This Inner Loop Header: Depth=1
	s_clause 0x1
	buffer_load_dword v8, v3, s[0:3], 0 offen offset:4
	buffer_load_dword v9, v3, s[0:3], 0 offen
	ds_read_b64 v[6:7], v4
	v_add_nc_u32_e32 v1, 1, v1
	v_add_nc_u32_e32 v4, 8, v4
	;; [unrolled: 1-line block ×3, first 2 shown]
	v_cmp_lt_u32_e32 vcc_lo, 57, v1
	s_or_b32 s5, vcc_lo, s5
	s_waitcnt vmcnt(1) lgkmcnt(0)
	v_mul_f32_e32 v10, v7, v8
	v_mul_f32_e32 v8, v6, v8
	s_waitcnt vmcnt(0)
	v_fma_f32 v6, v6, v9, -v10
	v_fmac_f32_e32 v8, v7, v9
	v_add_f32_e32 v5, v5, v6
	v_add_f32_e32 v2, v2, v8
	s_andn2_b32 exec_lo, exec_lo, s5
	s_cbranch_execnz .LBB59_249
; %bb.250:
	s_or_b32 exec_lo, exec_lo, s5
	v_mov_b32_e32 v1, 0
	ds_read_b64 v[3:4], v1 offset:472
	s_waitcnt lgkmcnt(0)
	v_mul_f32_e32 v1, v2, v4
	v_mul_f32_e32 v4, v5, v4
	v_fma_f32 v1, v5, v3, -v1
	v_fmac_f32_e32 v4, v2, v3
	buffer_store_dword v1, off, s[0:3], 0 offset:472
	buffer_store_dword v4, off, s[0:3], 0 offset:476
.LBB59_251:
	s_or_b32 exec_lo, exec_lo, s4
	s_mov_b32 s5, -1
	s_waitcnt_vscnt null, 0x0
	s_barrier
	buffer_gl0_inv
.LBB59_252:
	s_and_b32 vcc_lo, exec_lo, s5
	s_cbranch_vccz .LBB59_254
; %bb.253:
	s_lshl_b64 s[4:5], s[6:7], 2
	v_mov_b32_e32 v1, 0
	s_add_u32 s4, s10, s4
	s_addc_u32 s5, s11, s5
	global_load_dword v1, v1, s[4:5]
	s_waitcnt vmcnt(0)
	v_cmp_ne_u32_e32 vcc_lo, 0, v1
	s_cbranch_vccz .LBB59_255
.LBB59_254:
	s_endpgm
.LBB59_255:
	v_lshl_add_u32 v133, v0, 3, 0x1e0
	s_mov_b32 s4, exec_lo
	v_cmpx_eq_u32_e32 59, v0
	s_cbranch_execz .LBB59_257
; %bb.256:
	s_clause 0x1
	buffer_load_dword v1, off, s[0:3], 0 offset:464
	buffer_load_dword v2, off, s[0:3], 0 offset:468
	v_mov_b32_e32 v3, 0
	buffer_store_dword v3, off, s[0:3], 0 offset:464
	buffer_store_dword v3, off, s[0:3], 0 offset:468
	s_waitcnt vmcnt(0)
	ds_write_b64 v133, v[1:2]
.LBB59_257:
	s_or_b32 exec_lo, exec_lo, s4
	s_waitcnt lgkmcnt(0)
	s_waitcnt_vscnt null, 0x0
	s_barrier
	buffer_gl0_inv
	s_clause 0x3
	buffer_load_dword v4, off, s[0:3], 0 offset:476
	buffer_load_dword v5, off, s[0:3], 0 offset:472
	;; [unrolled: 1-line block ×4, first 2 shown]
	v_mov_b32_e32 v1, 0
	s_mov_b32 s4, exec_lo
	ds_read_b64 v[2:3], v1 offset:952
	s_waitcnt vmcnt(3) lgkmcnt(0)
	v_mul_f32_e32 v8, v3, v4
	v_mul_f32_e32 v4, v2, v4
	s_waitcnt vmcnt(2)
	v_fma_f32 v2, v2, v5, -v8
	v_fmac_f32_e32 v4, v3, v5
	v_add_f32_e32 v2, 0, v2
	v_add_f32_e32 v3, 0, v4
	s_waitcnt vmcnt(1)
	v_sub_f32_e32 v2, v6, v2
	s_waitcnt vmcnt(0)
	v_sub_f32_e32 v3, v7, v3
	buffer_store_dword v2, off, s[0:3], 0 offset:464
	buffer_store_dword v3, off, s[0:3], 0 offset:468
	v_cmpx_lt_u32_e32 57, v0
	s_cbranch_execz .LBB59_259
; %bb.258:
	s_clause 0x1
	buffer_load_dword v2, off, s[0:3], 0 offset:456
	buffer_load_dword v3, off, s[0:3], 0 offset:460
	buffer_store_dword v1, off, s[0:3], 0 offset:456
	buffer_store_dword v1, off, s[0:3], 0 offset:460
	s_waitcnt vmcnt(0)
	ds_write_b64 v133, v[2:3]
.LBB59_259:
	s_or_b32 exec_lo, exec_lo, s4
	s_waitcnt lgkmcnt(0)
	s_waitcnt_vscnt null, 0x0
	s_barrier
	buffer_gl0_inv
	s_clause 0x5
	buffer_load_dword v5, off, s[0:3], 0 offset:468
	buffer_load_dword v6, off, s[0:3], 0 offset:476
	;; [unrolled: 1-line block ×6, first 2 shown]
	ds_read_b128 v[1:4], v1 offset:944
	s_mov_b32 s4, exec_lo
	s_waitcnt vmcnt(5) lgkmcnt(0)
	v_mul_f32_e32 v11, v2, v5
	v_mul_f32_e32 v5, v1, v5
	s_waitcnt vmcnt(4)
	v_mul_f32_e32 v12, v3, v6
	v_mul_f32_e32 v6, v4, v6
	s_waitcnt vmcnt(3)
	v_fma_f32 v1, v1, v7, -v11
	v_fmac_f32_e32 v5, v2, v7
	s_waitcnt vmcnt(2)
	v_fmac_f32_e32 v12, v4, v8
	v_fma_f32 v2, v3, v8, -v6
	v_add_f32_e32 v1, 0, v1
	v_add_f32_e32 v3, 0, v5
	;; [unrolled: 1-line block ×4, first 2 shown]
	s_waitcnt vmcnt(1)
	v_sub_f32_e32 v1, v9, v1
	s_waitcnt vmcnt(0)
	v_sub_f32_e32 v2, v10, v2
	buffer_store_dword v1, off, s[0:3], 0 offset:456
	buffer_store_dword v2, off, s[0:3], 0 offset:460
	v_cmpx_lt_u32_e32 56, v0
	s_cbranch_execz .LBB59_261
; %bb.260:
	s_clause 0x1
	buffer_load_dword v1, off, s[0:3], 0 offset:448
	buffer_load_dword v2, off, s[0:3], 0 offset:452
	v_mov_b32_e32 v3, 0
	buffer_store_dword v3, off, s[0:3], 0 offset:448
	buffer_store_dword v3, off, s[0:3], 0 offset:452
	s_waitcnt vmcnt(0)
	ds_write_b64 v133, v[1:2]
.LBB59_261:
	s_or_b32 exec_lo, exec_lo, s4
	s_waitcnt lgkmcnt(0)
	s_waitcnt_vscnt null, 0x0
	s_barrier
	buffer_gl0_inv
	s_clause 0x7
	buffer_load_dword v8, off, s[0:3], 0 offset:460
	buffer_load_dword v9, off, s[0:3], 0 offset:468
	;; [unrolled: 1-line block ×8, first 2 shown]
	v_mov_b32_e32 v1, 0
	ds_read2_b64 v[2:5], v1 offset0:117 offset1:118
	ds_read_b64 v[6:7], v1 offset:952
	s_mov_b32 s4, exec_lo
	s_waitcnt vmcnt(7) lgkmcnt(1)
	v_mul_f32_e32 v137, v3, v8
	v_mul_f32_e32 v8, v2, v8
	s_waitcnt vmcnt(6)
	v_mul_f32_e32 v138, v4, v9
	v_mul_f32_e32 v9, v5, v9
	s_waitcnt vmcnt(5) lgkmcnt(0)
	v_mul_f32_e32 v139, v6, v10
	s_waitcnt vmcnt(4)
	v_fma_f32 v2, v2, v11, -v137
	v_fmac_f32_e32 v8, v3, v11
	v_mul_f32_e32 v3, v7, v10
	s_waitcnt vmcnt(3)
	v_fma_f32 v4, v4, v12, -v9
	v_fmac_f32_e32 v138, v5, v12
	v_add_f32_e32 v2, 0, v2
	v_add_f32_e32 v5, 0, v8
	s_waitcnt vmcnt(2)
	v_fma_f32 v3, v6, v134, -v3
	v_fmac_f32_e32 v139, v7, v134
	v_add_f32_e32 v2, v2, v4
	v_add_f32_e32 v4, v5, v138
	;; [unrolled: 1-line block ×4, first 2 shown]
	s_waitcnt vmcnt(1)
	v_sub_f32_e32 v2, v135, v2
	s_waitcnt vmcnt(0)
	v_sub_f32_e32 v3, v136, v3
	buffer_store_dword v2, off, s[0:3], 0 offset:448
	buffer_store_dword v3, off, s[0:3], 0 offset:452
	v_cmpx_lt_u32_e32 55, v0
	s_cbranch_execz .LBB59_263
; %bb.262:
	s_clause 0x1
	buffer_load_dword v2, off, s[0:3], 0 offset:440
	buffer_load_dword v3, off, s[0:3], 0 offset:444
	buffer_store_dword v1, off, s[0:3], 0 offset:440
	buffer_store_dword v1, off, s[0:3], 0 offset:444
	s_waitcnt vmcnt(0)
	ds_write_b64 v133, v[2:3]
.LBB59_263:
	s_or_b32 exec_lo, exec_lo, s4
	s_waitcnt lgkmcnt(0)
	s_waitcnt_vscnt null, 0x0
	s_barrier
	buffer_gl0_inv
	s_clause 0x9
	buffer_load_dword v10, off, s[0:3], 0 offset:452
	buffer_load_dword v11, off, s[0:3], 0 offset:460
	;; [unrolled: 1-line block ×10, first 2 shown]
	ds_read_b128 v[2:5], v1 offset:928
	ds_read_b128 v[6:9], v1 offset:944
	s_mov_b32 s4, exec_lo
	s_waitcnt vmcnt(9) lgkmcnt(1)
	v_mul_f32_e32 v1, v2, v10
	v_mul_f32_e32 v10, v3, v10
	s_waitcnt vmcnt(8)
	v_mul_f32_e32 v141, v4, v11
	v_mul_f32_e32 v11, v5, v11
	s_waitcnt vmcnt(7) lgkmcnt(0)
	v_mul_f32_e32 v142, v6, v12
	s_waitcnt vmcnt(5)
	v_fmac_f32_e32 v1, v3, v135
	v_fma_f32 v2, v2, v135, -v10
	v_mul_f32_e32 v3, v7, v12
	s_waitcnt vmcnt(4)
	v_fma_f32 v4, v4, v136, -v11
	v_fmac_f32_e32 v141, v5, v136
	v_add_f32_e32 v1, 0, v1
	v_add_f32_e32 v2, 0, v2
	v_mul_f32_e32 v5, v9, v134
	s_waitcnt vmcnt(3)
	v_fma_f32 v3, v6, v137, -v3
	v_mul_f32_e32 v143, v8, v134
	v_fmac_f32_e32 v142, v7, v137
	v_add_f32_e32 v2, v2, v4
	v_add_f32_e32 v1, v1, v141
	s_waitcnt vmcnt(2)
	v_fma_f32 v4, v8, v138, -v5
	v_fmac_f32_e32 v143, v9, v138
	v_add_f32_e32 v2, v2, v3
	v_add_f32_e32 v1, v1, v142
	;; [unrolled: 1-line block ×4, first 2 shown]
	s_waitcnt vmcnt(1)
	v_sub_f32_e32 v2, v139, v2
	s_waitcnt vmcnt(0)
	v_sub_f32_e32 v1, v140, v1
	buffer_store_dword v2, off, s[0:3], 0 offset:440
	buffer_store_dword v1, off, s[0:3], 0 offset:444
	v_cmpx_lt_u32_e32 54, v0
	s_cbranch_execz .LBB59_265
; %bb.264:
	s_clause 0x1
	buffer_load_dword v1, off, s[0:3], 0 offset:432
	buffer_load_dword v2, off, s[0:3], 0 offset:436
	v_mov_b32_e32 v3, 0
	buffer_store_dword v3, off, s[0:3], 0 offset:432
	buffer_store_dword v3, off, s[0:3], 0 offset:436
	s_waitcnt vmcnt(0)
	ds_write_b64 v133, v[1:2]
.LBB59_265:
	s_or_b32 exec_lo, exec_lo, s4
	s_waitcnt lgkmcnt(0)
	s_waitcnt_vscnt null, 0x0
	s_barrier
	buffer_gl0_inv
	s_clause 0xb
	buffer_load_dword v12, off, s[0:3], 0 offset:444
	buffer_load_dword v134, off, s[0:3], 0 offset:452
	;; [unrolled: 1-line block ×12, first 2 shown]
	v_mov_b32_e32 v1, 0
	ds_read2_b64 v[2:5], v1 offset0:115 offset1:116
	ds_read2_b64 v[6:9], v1 offset0:117 offset1:118
	ds_read_b64 v[10:11], v1 offset:952
	s_mov_b32 s4, exec_lo
	s_waitcnt vmcnt(11) lgkmcnt(2)
	v_mul_f32_e32 v145, v2, v12
	v_mul_f32_e32 v12, v3, v12
	s_waitcnt vmcnt(10)
	v_mul_f32_e32 v146, v4, v134
	v_mul_f32_e32 v134, v5, v134
	s_waitcnt vmcnt(9) lgkmcnt(1)
	v_mul_f32_e32 v147, v6, v135
	s_waitcnt vmcnt(6)
	v_fmac_f32_e32 v145, v3, v138
	v_fma_f32 v2, v2, v138, -v12
	v_mul_f32_e32 v3, v7, v135
	s_waitcnt vmcnt(5)
	v_fma_f32 v4, v4, v139, -v134
	v_fmac_f32_e32 v146, v5, v139
	v_add_f32_e32 v5, 0, v145
	v_add_f32_e32 v2, 0, v2
	v_mul_f32_e32 v12, v9, v136
	s_waitcnt vmcnt(4)
	v_fma_f32 v3, v6, v140, -v3
	v_mul_f32_e32 v148, v8, v136
	v_fmac_f32_e32 v147, v7, v140
	v_add_f32_e32 v2, v2, v4
	v_add_f32_e32 v4, v5, v146
	s_waitcnt lgkmcnt(0)
	v_mul_f32_e32 v5, v11, v137
	s_waitcnt vmcnt(3)
	v_fma_f32 v6, v8, v141, -v12
	v_mul_f32_e32 v149, v10, v137
	v_add_f32_e32 v2, v2, v3
	v_fmac_f32_e32 v148, v9, v141
	v_add_f32_e32 v3, v4, v147
	s_waitcnt vmcnt(2)
	v_fma_f32 v4, v10, v142, -v5
	v_fmac_f32_e32 v149, v11, v142
	v_add_f32_e32 v2, v2, v6
	v_add_f32_e32 v3, v3, v148
	;; [unrolled: 1-line block ×4, first 2 shown]
	s_waitcnt vmcnt(1)
	v_sub_f32_e32 v2, v143, v2
	s_waitcnt vmcnt(0)
	v_sub_f32_e32 v3, v144, v3
	buffer_store_dword v2, off, s[0:3], 0 offset:432
	buffer_store_dword v3, off, s[0:3], 0 offset:436
	v_cmpx_lt_u32_e32 53, v0
	s_cbranch_execz .LBB59_267
; %bb.266:
	s_clause 0x1
	buffer_load_dword v2, off, s[0:3], 0 offset:424
	buffer_load_dword v3, off, s[0:3], 0 offset:428
	buffer_store_dword v1, off, s[0:3], 0 offset:424
	buffer_store_dword v1, off, s[0:3], 0 offset:428
	s_waitcnt vmcnt(0)
	ds_write_b64 v133, v[2:3]
.LBB59_267:
	s_or_b32 exec_lo, exec_lo, s4
	s_waitcnt lgkmcnt(0)
	s_waitcnt_vscnt null, 0x0
	s_barrier
	buffer_gl0_inv
	s_clause 0xd
	buffer_load_dword v10, off, s[0:3], 0 offset:436
	buffer_load_dword v11, off, s[0:3], 0 offset:444
	;; [unrolled: 1-line block ×14, first 2 shown]
	ds_read_b128 v[2:5], v1 offset:912
	ds_read_b128 v[6:9], v1 offset:928
	;; [unrolled: 1-line block ×3, first 2 shown]
	s_mov_b32 s4, exec_lo
	s_waitcnt vmcnt(13) lgkmcnt(2)
	v_mul_f32_e32 v1, v2, v10
	v_mul_f32_e32 v10, v3, v10
	s_waitcnt vmcnt(12)
	v_mul_f32_e32 v149, v4, v11
	v_mul_f32_e32 v11, v5, v11
	s_waitcnt vmcnt(11) lgkmcnt(1)
	v_mul_f32_e32 v150, v6, v12
	s_waitcnt vmcnt(10)
	v_mul_f32_e32 v151, v8, v138
	s_waitcnt vmcnt(7)
	v_fma_f32 v2, v2, v141, -v10
	v_fmac_f32_e32 v1, v3, v141
	v_mul_f32_e32 v3, v7, v12
	s_waitcnt vmcnt(6)
	v_fma_f32 v4, v4, v142, -v11
	v_fmac_f32_e32 v149, v5, v142
	v_add_f32_e32 v2, 0, v2
	v_add_f32_e32 v1, 0, v1
	v_mul_f32_e32 v5, v9, v138
	s_waitcnt vmcnt(5)
	v_fma_f32 v3, v6, v143, -v3
	v_fmac_f32_e32 v150, v7, v143
	v_add_f32_e32 v2, v2, v4
	v_add_f32_e32 v1, v1, v149
	s_waitcnt lgkmcnt(0)
	v_mul_f32_e32 v4, v135, v139
	s_waitcnt vmcnt(4)
	v_fma_f32 v5, v8, v144, -v5
	v_mul_f32_e32 v152, v134, v139
	v_add_f32_e32 v2, v2, v3
	v_fmac_f32_e32 v151, v9, v144
	v_add_f32_e32 v1, v1, v150
	v_mul_f32_e32 v3, v137, v140
	s_waitcnt vmcnt(3)
	v_fma_f32 v4, v134, v145, -v4
	v_add_f32_e32 v2, v2, v5
	v_mul_f32_e32 v153, v136, v140
	v_fmac_f32_e32 v152, v135, v145
	v_add_f32_e32 v1, v1, v151
	s_waitcnt vmcnt(2)
	v_fma_f32 v3, v136, v146, -v3
	v_add_f32_e32 v2, v2, v4
	v_fmac_f32_e32 v153, v137, v146
	v_add_f32_e32 v1, v1, v152
	v_add_f32_e32 v2, v2, v3
	;; [unrolled: 1-line block ×3, first 2 shown]
	s_waitcnt vmcnt(1)
	v_sub_f32_e32 v2, v147, v2
	s_waitcnt vmcnt(0)
	v_sub_f32_e32 v1, v148, v1
	buffer_store_dword v2, off, s[0:3], 0 offset:424
	buffer_store_dword v1, off, s[0:3], 0 offset:428
	v_cmpx_lt_u32_e32 52, v0
	s_cbranch_execz .LBB59_269
; %bb.268:
	s_clause 0x1
	buffer_load_dword v1, off, s[0:3], 0 offset:416
	buffer_load_dword v2, off, s[0:3], 0 offset:420
	v_mov_b32_e32 v3, 0
	buffer_store_dword v3, off, s[0:3], 0 offset:416
	buffer_store_dword v3, off, s[0:3], 0 offset:420
	s_waitcnt vmcnt(0)
	ds_write_b64 v133, v[1:2]
.LBB59_269:
	s_or_b32 exec_lo, exec_lo, s4
	s_waitcnt lgkmcnt(0)
	s_waitcnt_vscnt null, 0x0
	s_barrier
	buffer_gl0_inv
	s_clause 0xf
	buffer_load_dword v12, off, s[0:3], 0 offset:428
	buffer_load_dword v138, off, s[0:3], 0 offset:436
	;; [unrolled: 1-line block ×16, first 2 shown]
	v_mov_b32_e32 v1, 0
	ds_read2_b64 v[2:5], v1 offset0:113 offset1:114
	ds_read2_b64 v[6:9], v1 offset0:115 offset1:116
	;; [unrolled: 1-line block ×3, first 2 shown]
	ds_read_b64 v[10:11], v1 offset:952
	s_mov_b32 s4, exec_lo
	s_waitcnt vmcnt(15) lgkmcnt(3)
	v_mul_f32_e32 v153, v2, v12
	v_mul_f32_e32 v12, v3, v12
	s_waitcnt vmcnt(14)
	v_mul_f32_e32 v154, v4, v138
	v_mul_f32_e32 v138, v5, v138
	s_waitcnt vmcnt(13) lgkmcnt(2)
	v_mul_f32_e32 v155, v6, v139
	s_waitcnt vmcnt(12)
	v_mul_f32_e32 v156, v8, v140
	s_waitcnt vmcnt(11) lgkmcnt(1)
	v_mul_f32_e32 v157, v134, v141
	s_waitcnt vmcnt(8)
	v_fma_f32 v2, v2, v144, -v12
	v_fmac_f32_e32 v153, v3, v144
	v_mul_f32_e32 v3, v7, v139
	s_waitcnt vmcnt(7)
	v_fma_f32 v4, v4, v145, -v138
	v_fmac_f32_e32 v154, v5, v145
	v_add_f32_e32 v2, 0, v2
	v_add_f32_e32 v5, 0, v153
	v_mul_f32_e32 v12, v9, v140
	s_waitcnt vmcnt(6)
	v_fma_f32 v3, v6, v146, -v3
	v_fmac_f32_e32 v155, v7, v146
	v_add_f32_e32 v2, v2, v4
	v_add_f32_e32 v4, v5, v154
	;; [unrolled: 6-line block ×3, first 2 shown]
	v_mul_f32_e32 v4, v137, v142
	s_waitcnt vmcnt(4)
	v_fma_f32 v5, v134, v148, -v5
	v_mul_f32_e32 v158, v136, v142
	v_add_f32_e32 v2, v2, v6
	v_fmac_f32_e32 v157, v135, v148
	v_add_f32_e32 v3, v3, v156
	s_waitcnt lgkmcnt(0)
	v_mul_f32_e32 v6, v11, v143
	s_waitcnt vmcnt(3)
	v_fma_f32 v4, v136, v149, -v4
	v_add_f32_e32 v2, v2, v5
	v_mul_f32_e32 v159, v10, v143
	v_fmac_f32_e32 v158, v137, v149
	v_add_f32_e32 v3, v3, v157
	s_waitcnt vmcnt(2)
	v_fma_f32 v5, v10, v150, -v6
	v_add_f32_e32 v2, v2, v4
	v_fmac_f32_e32 v159, v11, v150
	v_add_f32_e32 v3, v3, v158
	v_add_f32_e32 v2, v2, v5
	;; [unrolled: 1-line block ×3, first 2 shown]
	s_waitcnt vmcnt(1)
	v_sub_f32_e32 v2, v151, v2
	s_waitcnt vmcnt(0)
	v_sub_f32_e32 v3, v152, v3
	buffer_store_dword v2, off, s[0:3], 0 offset:416
	buffer_store_dword v3, off, s[0:3], 0 offset:420
	v_cmpx_lt_u32_e32 51, v0
	s_cbranch_execz .LBB59_271
; %bb.270:
	s_clause 0x1
	buffer_load_dword v2, off, s[0:3], 0 offset:408
	buffer_load_dword v3, off, s[0:3], 0 offset:412
	buffer_store_dword v1, off, s[0:3], 0 offset:408
	buffer_store_dword v1, off, s[0:3], 0 offset:412
	s_waitcnt vmcnt(0)
	ds_write_b64 v133, v[2:3]
.LBB59_271:
	s_or_b32 exec_lo, exec_lo, s4
	s_waitcnt lgkmcnt(0)
	s_waitcnt_vscnt null, 0x0
	s_barrier
	buffer_gl0_inv
	s_clause 0x11
	buffer_load_dword v10, off, s[0:3], 0 offset:420
	buffer_load_dword v11, off, s[0:3], 0 offset:428
	;; [unrolled: 1-line block ×18, first 2 shown]
	ds_read_b128 v[2:5], v1 offset:896
	ds_read_b128 v[6:9], v1 offset:912
	ds_read_b128 v[134:137], v1 offset:928
	ds_read_b128 v[138:141], v1 offset:944
	s_mov_b32 s4, exec_lo
	s_waitcnt vmcnt(17) lgkmcnt(3)
	v_mul_f32_e32 v1, v2, v10
	v_mul_f32_e32 v10, v3, v10
	s_waitcnt vmcnt(16)
	v_mul_f32_e32 v157, v4, v11
	v_mul_f32_e32 v11, v5, v11
	s_waitcnt vmcnt(15) lgkmcnt(2)
	v_mul_f32_e32 v158, v6, v12
	s_waitcnt vmcnt(14)
	v_mul_f32_e32 v159, v8, v142
	s_waitcnt vmcnt(13) lgkmcnt(1)
	v_mul_f32_e32 v160, v134, v143
	s_waitcnt vmcnt(12)
	v_mul_f32_e32 v161, v136, v144
	s_waitcnt vmcnt(9)
	v_fma_f32 v2, v2, v147, -v10
	v_fmac_f32_e32 v1, v3, v147
	v_mul_f32_e32 v3, v7, v12
	s_waitcnt vmcnt(8)
	v_fma_f32 v4, v4, v148, -v11
	v_fmac_f32_e32 v157, v5, v148
	v_add_f32_e32 v2, 0, v2
	v_add_f32_e32 v1, 0, v1
	v_mul_f32_e32 v5, v9, v142
	s_waitcnt vmcnt(7)
	v_fma_f32 v3, v6, v149, -v3
	v_fmac_f32_e32 v158, v7, v149
	v_add_f32_e32 v2, v2, v4
	v_add_f32_e32 v1, v1, v157
	;; [unrolled: 6-line block ×4, first 2 shown]
	s_waitcnt lgkmcnt(0)
	v_mul_f32_e32 v5, v139, v145
	s_waitcnt vmcnt(4)
	v_fma_f32 v3, v136, v152, -v3
	v_mul_f32_e32 v162, v138, v145
	v_add_f32_e32 v2, v2, v4
	v_fmac_f32_e32 v161, v137, v152
	v_add_f32_e32 v1, v1, v160
	v_mul_f32_e32 v4, v141, v146
	s_waitcnt vmcnt(3)
	v_fma_f32 v5, v138, v153, -v5
	v_add_f32_e32 v2, v2, v3
	v_mul_f32_e32 v163, v140, v146
	v_fmac_f32_e32 v162, v139, v153
	v_add_f32_e32 v1, v1, v161
	s_waitcnt vmcnt(2)
	v_fma_f32 v3, v140, v154, -v4
	v_add_f32_e32 v2, v2, v5
	v_fmac_f32_e32 v163, v141, v154
	v_add_f32_e32 v1, v1, v162
	v_add_f32_e32 v2, v2, v3
	;; [unrolled: 1-line block ×3, first 2 shown]
	s_waitcnt vmcnt(1)
	v_sub_f32_e32 v2, v155, v2
	s_waitcnt vmcnt(0)
	v_sub_f32_e32 v1, v156, v1
	buffer_store_dword v2, off, s[0:3], 0 offset:408
	buffer_store_dword v1, off, s[0:3], 0 offset:412
	v_cmpx_lt_u32_e32 50, v0
	s_cbranch_execz .LBB59_273
; %bb.272:
	s_clause 0x1
	buffer_load_dword v1, off, s[0:3], 0 offset:400
	buffer_load_dword v2, off, s[0:3], 0 offset:404
	v_mov_b32_e32 v3, 0
	buffer_store_dword v3, off, s[0:3], 0 offset:400
	buffer_store_dword v3, off, s[0:3], 0 offset:404
	s_waitcnt vmcnt(0)
	ds_write_b64 v133, v[1:2]
.LBB59_273:
	s_or_b32 exec_lo, exec_lo, s4
	s_waitcnt lgkmcnt(0)
	s_waitcnt_vscnt null, 0x0
	s_barrier
	buffer_gl0_inv
	s_clause 0x13
	buffer_load_dword v12, off, s[0:3], 0 offset:412
	buffer_load_dword v142, off, s[0:3], 0 offset:420
	;; [unrolled: 1-line block ×20, first 2 shown]
	v_mov_b32_e32 v1, 0
	ds_read2_b64 v[2:5], v1 offset0:111 offset1:112
	ds_read2_b64 v[6:9], v1 offset0:113 offset1:114
	;; [unrolled: 1-line block ×4, first 2 shown]
	ds_read_b64 v[10:11], v1 offset:952
	s_mov_b32 s4, exec_lo
	s_waitcnt vmcnt(19) lgkmcnt(4)
	v_mul_f32_e32 v161, v2, v12
	v_mul_f32_e32 v12, v3, v12
	s_waitcnt vmcnt(18)
	v_mul_f32_e32 v162, v4, v142
	v_mul_f32_e32 v142, v5, v142
	s_waitcnt vmcnt(17) lgkmcnt(3)
	v_mul_f32_e32 v163, v6, v143
	s_waitcnt vmcnt(16)
	v_mul_f32_e32 v164, v8, v144
	s_waitcnt vmcnt(15) lgkmcnt(2)
	v_mul_f32_e32 v165, v134, v145
	s_waitcnt vmcnt(14)
	v_mul_f32_e32 v166, v136, v146
	s_waitcnt vmcnt(13) lgkmcnt(1)
	v_mul_f32_e32 v167, v138, v147
	s_waitcnt vmcnt(10)
	v_fma_f32 v2, v2, v150, -v12
	v_fmac_f32_e32 v161, v3, v150
	v_mul_f32_e32 v3, v7, v143
	s_waitcnt vmcnt(9)
	v_fma_f32 v4, v4, v151, -v142
	v_fmac_f32_e32 v162, v5, v151
	v_add_f32_e32 v2, 0, v2
	v_add_f32_e32 v5, 0, v161
	v_mul_f32_e32 v12, v9, v144
	s_waitcnt vmcnt(8)
	v_fma_f32 v3, v6, v152, -v3
	v_fmac_f32_e32 v163, v7, v152
	v_add_f32_e32 v2, v2, v4
	v_add_f32_e32 v4, v5, v162
	;; [unrolled: 6-line block ×5, first 2 shown]
	v_mul_f32_e32 v5, v141, v148
	s_waitcnt vmcnt(4)
	v_fma_f32 v6, v138, v156, -v6
	v_mul_f32_e32 v168, v140, v148
	v_add_f32_e32 v2, v2, v4
	v_fmac_f32_e32 v167, v139, v156
	v_add_f32_e32 v3, v3, v166
	s_waitcnt lgkmcnt(0)
	v_mul_f32_e32 v4, v11, v149
	s_waitcnt vmcnt(3)
	v_fma_f32 v5, v140, v157, -v5
	v_add_f32_e32 v2, v2, v6
	v_mul_f32_e32 v169, v10, v149
	v_fmac_f32_e32 v168, v141, v157
	v_add_f32_e32 v3, v3, v167
	s_waitcnt vmcnt(2)
	v_fma_f32 v4, v10, v158, -v4
	v_add_f32_e32 v2, v2, v5
	v_fmac_f32_e32 v169, v11, v158
	v_add_f32_e32 v3, v3, v168
	v_add_f32_e32 v2, v2, v4
	;; [unrolled: 1-line block ×3, first 2 shown]
	s_waitcnt vmcnt(1)
	v_sub_f32_e32 v2, v159, v2
	s_waitcnt vmcnt(0)
	v_sub_f32_e32 v3, v160, v3
	buffer_store_dword v2, off, s[0:3], 0 offset:400
	buffer_store_dword v3, off, s[0:3], 0 offset:404
	v_cmpx_lt_u32_e32 49, v0
	s_cbranch_execz .LBB59_275
; %bb.274:
	s_clause 0x1
	buffer_load_dword v2, off, s[0:3], 0 offset:392
	buffer_load_dword v3, off, s[0:3], 0 offset:396
	buffer_store_dword v1, off, s[0:3], 0 offset:392
	buffer_store_dword v1, off, s[0:3], 0 offset:396
	s_waitcnt vmcnt(0)
	ds_write_b64 v133, v[2:3]
.LBB59_275:
	s_or_b32 exec_lo, exec_lo, s4
	s_waitcnt lgkmcnt(0)
	s_waitcnt_vscnt null, 0x0
	s_barrier
	buffer_gl0_inv
	s_clause 0x15
	buffer_load_dword v10, off, s[0:3], 0 offset:404
	buffer_load_dword v11, off, s[0:3], 0 offset:412
	;; [unrolled: 1-line block ×22, first 2 shown]
	ds_read_b128 v[2:5], v1 offset:880
	ds_read_b128 v[6:9], v1 offset:896
	;; [unrolled: 1-line block ×5, first 2 shown]
	s_mov_b32 s4, exec_lo
	s_waitcnt vmcnt(21) lgkmcnt(4)
	v_mul_f32_e32 v1, v2, v10
	v_mul_f32_e32 v10, v3, v10
	s_waitcnt vmcnt(20)
	v_mul_f32_e32 v165, v4, v11
	v_mul_f32_e32 v11, v5, v11
	s_waitcnt vmcnt(19) lgkmcnt(3)
	v_mul_f32_e32 v166, v6, v12
	s_waitcnt vmcnt(18)
	v_mul_f32_e32 v167, v8, v146
	s_waitcnt vmcnt(17) lgkmcnt(2)
	v_mul_f32_e32 v168, v134, v147
	s_waitcnt vmcnt(16)
	;; [unrolled: 4-line block ×3, first 2 shown]
	v_mul_f32_e32 v171, v140, v150
	s_waitcnt vmcnt(11)
	v_fma_f32 v2, v2, v153, -v10
	v_fmac_f32_e32 v1, v3, v153
	v_mul_f32_e32 v3, v7, v12
	s_waitcnt vmcnt(10)
	v_fma_f32 v4, v4, v154, -v11
	v_fmac_f32_e32 v165, v5, v154
	v_add_f32_e32 v2, 0, v2
	v_add_f32_e32 v1, 0, v1
	v_mul_f32_e32 v5, v9, v146
	s_waitcnt vmcnt(9)
	v_fma_f32 v3, v6, v155, -v3
	v_fmac_f32_e32 v166, v7, v155
	v_add_f32_e32 v2, v2, v4
	v_add_f32_e32 v1, v1, v165
	;; [unrolled: 6-line block ×6, first 2 shown]
	s_waitcnt lgkmcnt(0)
	v_mul_f32_e32 v3, v143, v151
	s_waitcnt vmcnt(4)
	v_fma_f32 v4, v140, v160, -v4
	v_mul_f32_e32 v172, v142, v151
	v_add_f32_e32 v2, v2, v5
	v_fmac_f32_e32 v171, v141, v160
	v_add_f32_e32 v1, v1, v170
	v_mul_f32_e32 v5, v145, v152
	s_waitcnt vmcnt(3)
	v_fma_f32 v3, v142, v161, -v3
	v_add_f32_e32 v2, v2, v4
	v_mul_f32_e32 v173, v144, v152
	v_fmac_f32_e32 v172, v143, v161
	v_add_f32_e32 v1, v1, v171
	s_waitcnt vmcnt(2)
	v_fma_f32 v4, v144, v162, -v5
	v_add_f32_e32 v2, v2, v3
	v_fmac_f32_e32 v173, v145, v162
	v_add_f32_e32 v1, v1, v172
	v_add_f32_e32 v2, v2, v4
	;; [unrolled: 1-line block ×3, first 2 shown]
	s_waitcnt vmcnt(1)
	v_sub_f32_e32 v2, v163, v2
	s_waitcnt vmcnt(0)
	v_sub_f32_e32 v1, v164, v1
	buffer_store_dword v2, off, s[0:3], 0 offset:392
	buffer_store_dword v1, off, s[0:3], 0 offset:396
	v_cmpx_lt_u32_e32 48, v0
	s_cbranch_execz .LBB59_277
; %bb.276:
	s_clause 0x1
	buffer_load_dword v1, off, s[0:3], 0 offset:384
	buffer_load_dword v2, off, s[0:3], 0 offset:388
	v_mov_b32_e32 v3, 0
	buffer_store_dword v3, off, s[0:3], 0 offset:384
	buffer_store_dword v3, off, s[0:3], 0 offset:388
	s_waitcnt vmcnt(0)
	ds_write_b64 v133, v[1:2]
.LBB59_277:
	s_or_b32 exec_lo, exec_lo, s4
	s_waitcnt lgkmcnt(0)
	s_waitcnt_vscnt null, 0x0
	s_barrier
	buffer_gl0_inv
	s_clause 0x17
	buffer_load_dword v12, off, s[0:3], 0 offset:396
	buffer_load_dword v146, off, s[0:3], 0 offset:404
	;; [unrolled: 1-line block ×24, first 2 shown]
	v_mov_b32_e32 v1, 0
	ds_read2_b64 v[2:5], v1 offset0:109 offset1:110
	ds_read2_b64 v[6:9], v1 offset0:111 offset1:112
	;; [unrolled: 1-line block ×5, first 2 shown]
	ds_read_b64 v[10:11], v1 offset:952
	s_mov_b32 s4, exec_lo
	s_waitcnt vmcnt(23) lgkmcnt(5)
	v_mul_f32_e32 v169, v2, v12
	v_mul_f32_e32 v12, v3, v12
	s_waitcnt vmcnt(22)
	v_mul_f32_e32 v170, v4, v146
	v_mul_f32_e32 v146, v5, v146
	s_waitcnt vmcnt(21) lgkmcnt(4)
	v_mul_f32_e32 v171, v6, v147
	s_waitcnt vmcnt(20)
	v_mul_f32_e32 v172, v8, v148
	s_waitcnt vmcnt(19) lgkmcnt(3)
	v_mul_f32_e32 v173, v134, v149
	s_waitcnt vmcnt(18)
	;; [unrolled: 4-line block ×4, first 2 shown]
	v_fma_f32 v2, v2, v156, -v12
	v_fmac_f32_e32 v169, v3, v156
	v_mul_f32_e32 v3, v7, v147
	s_waitcnt vmcnt(11)
	v_fma_f32 v4, v4, v157, -v146
	v_fmac_f32_e32 v170, v5, v157
	v_add_f32_e32 v2, 0, v2
	v_add_f32_e32 v5, 0, v169
	v_mul_f32_e32 v12, v9, v148
	s_waitcnt vmcnt(10)
	v_fma_f32 v3, v6, v158, -v3
	v_fmac_f32_e32 v171, v7, v158
	v_add_f32_e32 v2, v2, v4
	v_add_f32_e32 v4, v5, v170
	;; [unrolled: 6-line block ×7, first 2 shown]
	v_mul_f32_e32 v6, v145, v154
	s_waitcnt vmcnt(4)
	v_fma_f32 v4, v142, v164, -v4
	v_mul_f32_e32 v178, v144, v154
	v_add_f32_e32 v2, v2, v5
	v_fmac_f32_e32 v177, v143, v164
	v_add_f32_e32 v3, v3, v176
	s_waitcnt lgkmcnt(0)
	v_mul_f32_e32 v5, v11, v155
	s_waitcnt vmcnt(3)
	v_fma_f32 v6, v144, v165, -v6
	v_add_f32_e32 v2, v2, v4
	v_mul_f32_e32 v179, v10, v155
	v_fmac_f32_e32 v178, v145, v165
	v_add_f32_e32 v3, v3, v177
	s_waitcnt vmcnt(2)
	v_fma_f32 v4, v10, v166, -v5
	v_add_f32_e32 v2, v2, v6
	v_fmac_f32_e32 v179, v11, v166
	v_add_f32_e32 v3, v3, v178
	v_add_f32_e32 v2, v2, v4
	;; [unrolled: 1-line block ×3, first 2 shown]
	s_waitcnt vmcnt(1)
	v_sub_f32_e32 v2, v167, v2
	s_waitcnt vmcnt(0)
	v_sub_f32_e32 v3, v168, v3
	buffer_store_dword v2, off, s[0:3], 0 offset:384
	buffer_store_dword v3, off, s[0:3], 0 offset:388
	v_cmpx_lt_u32_e32 47, v0
	s_cbranch_execz .LBB59_279
; %bb.278:
	s_clause 0x1
	buffer_load_dword v2, off, s[0:3], 0 offset:376
	buffer_load_dword v3, off, s[0:3], 0 offset:380
	buffer_store_dword v1, off, s[0:3], 0 offset:376
	buffer_store_dword v1, off, s[0:3], 0 offset:380
	s_waitcnt vmcnt(0)
	ds_write_b64 v133, v[2:3]
.LBB59_279:
	s_or_b32 exec_lo, exec_lo, s4
	s_waitcnt lgkmcnt(0)
	s_waitcnt_vscnt null, 0x0
	s_barrier
	buffer_gl0_inv
	s_clause 0x19
	buffer_load_dword v10, off, s[0:3], 0 offset:388
	buffer_load_dword v11, off, s[0:3], 0 offset:396
	;; [unrolled: 1-line block ×26, first 2 shown]
	ds_read_b128 v[2:5], v1 offset:864
	ds_read_b128 v[6:9], v1 offset:880
	;; [unrolled: 1-line block ×6, first 2 shown]
	s_mov_b32 s4, exec_lo
	s_waitcnt vmcnt(25) lgkmcnt(5)
	v_mul_f32_e32 v1, v2, v10
	v_mul_f32_e32 v10, v3, v10
	s_waitcnt vmcnt(24)
	v_mul_f32_e32 v173, v4, v11
	v_mul_f32_e32 v11, v5, v11
	s_waitcnt vmcnt(23) lgkmcnt(4)
	v_mul_f32_e32 v174, v6, v12
	s_waitcnt vmcnt(22)
	v_mul_f32_e32 v175, v8, v150
	s_waitcnt vmcnt(21) lgkmcnt(3)
	v_mul_f32_e32 v176, v134, v151
	s_waitcnt vmcnt(20)
	;; [unrolled: 4-line block ×4, first 2 shown]
	v_mul_f32_e32 v181, v144, v156
	s_waitcnt vmcnt(13)
	v_fma_f32 v2, v2, v159, -v10
	v_fmac_f32_e32 v1, v3, v159
	v_mul_f32_e32 v3, v7, v12
	s_waitcnt vmcnt(12)
	v_fma_f32 v4, v4, v160, -v11
	v_fmac_f32_e32 v173, v5, v160
	v_add_f32_e32 v2, 0, v2
	v_add_f32_e32 v1, 0, v1
	v_mul_f32_e32 v5, v9, v150
	s_waitcnt vmcnt(11)
	v_fma_f32 v3, v6, v161, -v3
	v_fmac_f32_e32 v174, v7, v161
	v_add_f32_e32 v2, v2, v4
	v_add_f32_e32 v1, v1, v173
	v_mul_f32_e32 v4, v135, v151
	s_waitcnt vmcnt(10)
	v_fma_f32 v5, v8, v162, -v5
	v_fmac_f32_e32 v175, v9, v162
	v_add_f32_e32 v2, v2, v3
	v_add_f32_e32 v1, v1, v174
	v_mul_f32_e32 v3, v137, v152
	s_waitcnt vmcnt(9)
	v_fma_f32 v4, v134, v163, -v4
	v_fmac_f32_e32 v176, v135, v163
	v_add_f32_e32 v2, v2, v5
	v_add_f32_e32 v1, v1, v175
	v_mul_f32_e32 v5, v139, v153
	s_waitcnt vmcnt(8)
	v_fma_f32 v3, v136, v164, -v3
	v_fmac_f32_e32 v177, v137, v164
	v_add_f32_e32 v2, v2, v4
	v_add_f32_e32 v1, v1, v176
	v_mul_f32_e32 v4, v141, v154
	s_waitcnt vmcnt(7)
	v_fma_f32 v5, v138, v165, -v5
	v_fmac_f32_e32 v178, v139, v165
	v_add_f32_e32 v2, v2, v3
	v_add_f32_e32 v1, v1, v177
	v_mul_f32_e32 v3, v143, v155
	s_waitcnt vmcnt(6)
	v_fma_f32 v4, v140, v166, -v4
	v_fmac_f32_e32 v179, v141, v166
	v_add_f32_e32 v2, v2, v5
	v_add_f32_e32 v1, v1, v178
	v_mul_f32_e32 v5, v145, v156
	s_waitcnt vmcnt(5)
	v_fma_f32 v3, v142, v167, -v3
	v_fmac_f32_e32 v180, v143, v167
	v_add_f32_e32 v2, v2, v4
	v_add_f32_e32 v1, v1, v179
	s_waitcnt lgkmcnt(0)
	v_mul_f32_e32 v4, v147, v157
	s_waitcnt vmcnt(4)
	v_fma_f32 v5, v144, v168, -v5
	v_mul_f32_e32 v182, v146, v157
	v_add_f32_e32 v2, v2, v3
	v_fmac_f32_e32 v181, v145, v168
	v_add_f32_e32 v1, v1, v180
	v_mul_f32_e32 v3, v149, v158
	s_waitcnt vmcnt(3)
	v_fma_f32 v4, v146, v169, -v4
	v_add_f32_e32 v2, v2, v5
	v_mul_f32_e32 v183, v148, v158
	v_fmac_f32_e32 v182, v147, v169
	v_add_f32_e32 v1, v1, v181
	s_waitcnt vmcnt(2)
	v_fma_f32 v3, v148, v170, -v3
	v_add_f32_e32 v2, v2, v4
	v_fmac_f32_e32 v183, v149, v170
	v_add_f32_e32 v1, v1, v182
	v_add_f32_e32 v2, v2, v3
	v_add_f32_e32 v1, v1, v183
	s_waitcnt vmcnt(1)
	v_sub_f32_e32 v2, v171, v2
	s_waitcnt vmcnt(0)
	v_sub_f32_e32 v1, v172, v1
	buffer_store_dword v2, off, s[0:3], 0 offset:376
	buffer_store_dword v1, off, s[0:3], 0 offset:380
	v_cmpx_lt_u32_e32 46, v0
	s_cbranch_execz .LBB59_281
; %bb.280:
	s_clause 0x1
	buffer_load_dword v1, off, s[0:3], 0 offset:368
	buffer_load_dword v2, off, s[0:3], 0 offset:372
	v_mov_b32_e32 v3, 0
	buffer_store_dword v3, off, s[0:3], 0 offset:368
	buffer_store_dword v3, off, s[0:3], 0 offset:372
	s_waitcnt vmcnt(0)
	ds_write_b64 v133, v[1:2]
.LBB59_281:
	s_or_b32 exec_lo, exec_lo, s4
	s_waitcnt lgkmcnt(0)
	s_waitcnt_vscnt null, 0x0
	s_barrier
	buffer_gl0_inv
	s_clause 0x1b
	buffer_load_dword v12, off, s[0:3], 0 offset:380
	buffer_load_dword v150, off, s[0:3], 0 offset:388
	;; [unrolled: 1-line block ×28, first 2 shown]
	v_mov_b32_e32 v1, 0
	ds_read2_b64 v[2:5], v1 offset0:107 offset1:108
	ds_read2_b64 v[6:9], v1 offset0:109 offset1:110
	;; [unrolled: 1-line block ×6, first 2 shown]
	ds_read_b64 v[10:11], v1 offset:952
	s_mov_b32 s4, exec_lo
	s_waitcnt vmcnt(27) lgkmcnt(6)
	v_mul_f32_e32 v177, v2, v12
	v_mul_f32_e32 v12, v3, v12
	s_waitcnt vmcnt(26)
	v_mul_f32_e32 v178, v4, v150
	v_mul_f32_e32 v150, v5, v150
	s_waitcnt vmcnt(25) lgkmcnt(5)
	v_mul_f32_e32 v179, v6, v151
	s_waitcnt vmcnt(24)
	v_mul_f32_e32 v180, v8, v152
	s_waitcnt vmcnt(23) lgkmcnt(4)
	v_mul_f32_e32 v181, v134, v153
	s_waitcnt vmcnt(22)
	;; [unrolled: 4-line block ×5, first 2 shown]
	v_fma_f32 v2, v2, v162, -v12
	v_fmac_f32_e32 v177, v3, v162
	v_mul_f32_e32 v3, v7, v151
	s_waitcnt vmcnt(13)
	v_fma_f32 v4, v4, v163, -v150
	v_fmac_f32_e32 v178, v5, v163
	v_add_f32_e32 v2, 0, v2
	v_add_f32_e32 v5, 0, v177
	v_mul_f32_e32 v12, v9, v152
	s_waitcnt vmcnt(12)
	v_fma_f32 v3, v6, v164, -v3
	v_fmac_f32_e32 v179, v7, v164
	v_add_f32_e32 v2, v2, v4
	v_add_f32_e32 v4, v5, v178
	;; [unrolled: 6-line block ×9, first 2 shown]
	v_mul_f32_e32 v4, v149, v160
	s_waitcnt vmcnt(4)
	v_fma_f32 v5, v146, v172, -v5
	v_mul_f32_e32 v188, v148, v160
	v_add_f32_e32 v2, v2, v6
	v_fmac_f32_e32 v187, v147, v172
	v_add_f32_e32 v3, v3, v186
	s_waitcnt lgkmcnt(0)
	v_mul_f32_e32 v6, v11, v161
	s_waitcnt vmcnt(3)
	v_fma_f32 v4, v148, v173, -v4
	v_add_f32_e32 v2, v2, v5
	v_mul_f32_e32 v189, v10, v161
	v_fmac_f32_e32 v188, v149, v173
	v_add_f32_e32 v3, v3, v187
	s_waitcnt vmcnt(2)
	v_fma_f32 v5, v10, v174, -v6
	v_add_f32_e32 v2, v2, v4
	v_fmac_f32_e32 v189, v11, v174
	v_add_f32_e32 v3, v3, v188
	v_add_f32_e32 v2, v2, v5
	;; [unrolled: 1-line block ×3, first 2 shown]
	s_waitcnt vmcnt(1)
	v_sub_f32_e32 v2, v175, v2
	s_waitcnt vmcnt(0)
	v_sub_f32_e32 v3, v176, v3
	buffer_store_dword v2, off, s[0:3], 0 offset:368
	buffer_store_dword v3, off, s[0:3], 0 offset:372
	v_cmpx_lt_u32_e32 45, v0
	s_cbranch_execz .LBB59_283
; %bb.282:
	s_clause 0x1
	buffer_load_dword v2, off, s[0:3], 0 offset:360
	buffer_load_dword v3, off, s[0:3], 0 offset:364
	buffer_store_dword v1, off, s[0:3], 0 offset:360
	buffer_store_dword v1, off, s[0:3], 0 offset:364
	s_waitcnt vmcnt(0)
	ds_write_b64 v133, v[2:3]
.LBB59_283:
	s_or_b32 exec_lo, exec_lo, s4
	s_waitcnt lgkmcnt(0)
	s_waitcnt_vscnt null, 0x0
	s_barrier
	buffer_gl0_inv
	s_clause 0x1d
	buffer_load_dword v10, off, s[0:3], 0 offset:372
	buffer_load_dword v11, off, s[0:3], 0 offset:380
	;; [unrolled: 1-line block ×30, first 2 shown]
	ds_read_b128 v[2:5], v1 offset:848
	ds_read_b128 v[6:9], v1 offset:864
	;; [unrolled: 1-line block ×7, first 2 shown]
	s_mov_b32 s4, exec_lo
	s_waitcnt vmcnt(29) lgkmcnt(6)
	v_mul_f32_e32 v1, v2, v10
	v_mul_f32_e32 v10, v3, v10
	s_waitcnt vmcnt(28)
	v_mul_f32_e32 v181, v4, v11
	v_mul_f32_e32 v11, v5, v11
	s_waitcnt vmcnt(27) lgkmcnt(5)
	v_mul_f32_e32 v182, v6, v12
	s_waitcnt vmcnt(26)
	v_mul_f32_e32 v183, v8, v154
	s_waitcnt vmcnt(25) lgkmcnt(4)
	v_mul_f32_e32 v184, v134, v155
	s_waitcnt vmcnt(24)
	;; [unrolled: 4-line block ×5, first 2 shown]
	v_mul_f32_e32 v191, v148, v162
	s_waitcnt vmcnt(15)
	v_fma_f32 v2, v2, v165, -v10
	v_fmac_f32_e32 v1, v3, v165
	v_mul_f32_e32 v3, v7, v12
	s_waitcnt vmcnt(14)
	v_fma_f32 v4, v4, v166, -v11
	v_fmac_f32_e32 v181, v5, v166
	v_add_f32_e32 v2, 0, v2
	v_add_f32_e32 v1, 0, v1
	v_mul_f32_e32 v5, v9, v154
	s_waitcnt vmcnt(13)
	v_fma_f32 v3, v6, v167, -v3
	v_fmac_f32_e32 v182, v7, v167
	v_add_f32_e32 v2, v2, v4
	v_add_f32_e32 v1, v1, v181
	;; [unrolled: 6-line block ×10, first 2 shown]
	s_waitcnt lgkmcnt(0)
	v_mul_f32_e32 v5, v151, v163
	s_waitcnt vmcnt(4)
	v_fma_f32 v3, v148, v176, -v3
	v_mul_f32_e32 v192, v150, v163
	v_add_f32_e32 v2, v2, v4
	v_fmac_f32_e32 v191, v149, v176
	v_add_f32_e32 v1, v1, v190
	v_mul_f32_e32 v4, v153, v164
	s_waitcnt vmcnt(3)
	v_fma_f32 v5, v150, v177, -v5
	v_add_f32_e32 v2, v2, v3
	v_mul_f32_e32 v193, v152, v164
	v_fmac_f32_e32 v192, v151, v177
	v_add_f32_e32 v1, v1, v191
	s_waitcnt vmcnt(2)
	v_fma_f32 v3, v152, v178, -v4
	v_add_f32_e32 v2, v2, v5
	v_fmac_f32_e32 v193, v153, v178
	v_add_f32_e32 v1, v1, v192
	v_add_f32_e32 v2, v2, v3
	;; [unrolled: 1-line block ×3, first 2 shown]
	s_waitcnt vmcnt(1)
	v_sub_f32_e32 v2, v179, v2
	s_waitcnt vmcnt(0)
	v_sub_f32_e32 v1, v180, v1
	buffer_store_dword v2, off, s[0:3], 0 offset:360
	buffer_store_dword v1, off, s[0:3], 0 offset:364
	v_cmpx_lt_u32_e32 44, v0
	s_cbranch_execz .LBB59_285
; %bb.284:
	s_clause 0x1
	buffer_load_dword v1, off, s[0:3], 0 offset:352
	buffer_load_dword v2, off, s[0:3], 0 offset:356
	v_mov_b32_e32 v3, 0
	buffer_store_dword v3, off, s[0:3], 0 offset:352
	buffer_store_dword v3, off, s[0:3], 0 offset:356
	s_waitcnt vmcnt(0)
	ds_write_b64 v133, v[1:2]
.LBB59_285:
	s_or_b32 exec_lo, exec_lo, s4
	s_waitcnt lgkmcnt(0)
	s_waitcnt_vscnt null, 0x0
	s_barrier
	buffer_gl0_inv
	s_clause 0x1f
	buffer_load_dword v12, off, s[0:3], 0 offset:364
	buffer_load_dword v154, off, s[0:3], 0 offset:372
	;; [unrolled: 1-line block ×32, first 2 shown]
	v_mov_b32_e32 v1, 0
	ds_read2_b64 v[2:5], v1 offset0:105 offset1:106
	ds_read2_b64 v[6:9], v1 offset0:107 offset1:108
	;; [unrolled: 1-line block ×7, first 2 shown]
	ds_read_b64 v[10:11], v1 offset:952
	s_mov_b32 s4, exec_lo
	s_waitcnt vmcnt(31) lgkmcnt(7)
	v_mul_f32_e32 v185, v2, v12
	v_mul_f32_e32 v12, v3, v12
	s_waitcnt vmcnt(30)
	v_mul_f32_e32 v186, v4, v154
	v_mul_f32_e32 v154, v5, v154
	s_waitcnt vmcnt(29) lgkmcnt(6)
	v_mul_f32_e32 v187, v6, v155
	s_waitcnt vmcnt(28)
	v_mul_f32_e32 v188, v8, v156
	s_waitcnt vmcnt(27) lgkmcnt(5)
	v_mul_f32_e32 v189, v134, v157
	s_waitcnt vmcnt(26)
	;; [unrolled: 4-line block ×6, first 2 shown]
	v_fma_f32 v2, v2, v168, -v12
	v_fmac_f32_e32 v185, v3, v168
	v_mul_f32_e32 v3, v7, v155
	s_waitcnt vmcnt(15)
	v_fma_f32 v4, v4, v169, -v154
	v_fmac_f32_e32 v186, v5, v169
	v_add_f32_e32 v2, 0, v2
	v_add_f32_e32 v5, 0, v185
	v_mul_f32_e32 v12, v9, v156
	s_waitcnt vmcnt(14)
	v_fma_f32 v3, v6, v170, -v3
	v_fmac_f32_e32 v187, v7, v170
	v_add_f32_e32 v2, v2, v4
	v_add_f32_e32 v4, v5, v186
	;; [unrolled: 6-line block ×11, first 2 shown]
	v_mul_f32_e32 v5, v153, v166
	s_waitcnt vmcnt(4)
	v_fma_f32 v6, v150, v180, -v6
	v_mul_f32_e32 v198, v152, v166
	v_add_f32_e32 v2, v2, v4
	v_fmac_f32_e32 v197, v151, v180
	v_add_f32_e32 v3, v3, v196
	s_waitcnt lgkmcnt(0)
	v_mul_f32_e32 v4, v11, v167
	s_waitcnt vmcnt(3)
	v_fma_f32 v5, v152, v181, -v5
	v_add_f32_e32 v2, v2, v6
	v_mul_f32_e32 v199, v10, v167
	v_fmac_f32_e32 v198, v153, v181
	v_add_f32_e32 v3, v3, v197
	s_waitcnt vmcnt(2)
	v_fma_f32 v4, v10, v182, -v4
	v_add_f32_e32 v2, v2, v5
	v_fmac_f32_e32 v199, v11, v182
	v_add_f32_e32 v3, v3, v198
	v_add_f32_e32 v2, v2, v4
	;; [unrolled: 1-line block ×3, first 2 shown]
	s_waitcnt vmcnt(1)
	v_sub_f32_e32 v2, v183, v2
	s_waitcnt vmcnt(0)
	v_sub_f32_e32 v3, v184, v3
	buffer_store_dword v2, off, s[0:3], 0 offset:352
	buffer_store_dword v3, off, s[0:3], 0 offset:356
	v_cmpx_lt_u32_e32 43, v0
	s_cbranch_execz .LBB59_287
; %bb.286:
	s_clause 0x1
	buffer_load_dword v2, off, s[0:3], 0 offset:344
	buffer_load_dword v3, off, s[0:3], 0 offset:348
	buffer_store_dword v1, off, s[0:3], 0 offset:344
	buffer_store_dword v1, off, s[0:3], 0 offset:348
	s_waitcnt vmcnt(0)
	ds_write_b64 v133, v[2:3]
.LBB59_287:
	s_or_b32 exec_lo, exec_lo, s4
	s_waitcnt lgkmcnt(0)
	s_waitcnt_vscnt null, 0x0
	s_barrier
	buffer_gl0_inv
	s_clause 0x21
	buffer_load_dword v10, off, s[0:3], 0 offset:356
	buffer_load_dword v11, off, s[0:3], 0 offset:364
	;; [unrolled: 1-line block ×34, first 2 shown]
	ds_read_b128 v[2:5], v1 offset:832
	ds_read_b128 v[6:9], v1 offset:848
	;; [unrolled: 1-line block ×8, first 2 shown]
	s_mov_b32 s4, exec_lo
	s_waitcnt vmcnt(33) lgkmcnt(7)
	v_mul_f32_e32 v1, v2, v10
	v_mul_f32_e32 v10, v3, v10
	s_waitcnt vmcnt(32)
	v_mul_f32_e32 v189, v4, v11
	v_mul_f32_e32 v11, v5, v11
	s_waitcnt vmcnt(31) lgkmcnt(6)
	v_mul_f32_e32 v190, v6, v12
	s_waitcnt vmcnt(30)
	v_mul_f32_e32 v191, v8, v158
	s_waitcnt vmcnt(29) lgkmcnt(5)
	v_mul_f32_e32 v192, v134, v159
	s_waitcnt vmcnt(28)
	;; [unrolled: 4-line block ×6, first 2 shown]
	v_mul_f32_e32 v201, v152, v168
	s_waitcnt vmcnt(17)
	v_fma_f32 v2, v2, v171, -v10
	v_fmac_f32_e32 v1, v3, v171
	v_mul_f32_e32 v3, v7, v12
	s_waitcnt vmcnt(16)
	v_fma_f32 v4, v4, v172, -v11
	v_fmac_f32_e32 v189, v5, v172
	v_add_f32_e32 v2, 0, v2
	v_add_f32_e32 v1, 0, v1
	v_mul_f32_e32 v5, v9, v158
	s_waitcnt vmcnt(15)
	v_fma_f32 v3, v6, v173, -v3
	v_fmac_f32_e32 v190, v7, v173
	v_add_f32_e32 v2, v2, v4
	v_add_f32_e32 v1, v1, v189
	;; [unrolled: 6-line block ×12, first 2 shown]
	s_waitcnt lgkmcnt(0)
	v_mul_f32_e32 v3, v155, v169
	s_waitcnt vmcnt(4)
	v_fma_f32 v4, v152, v184, -v4
	v_mul_f32_e32 v202, v154, v169
	v_add_f32_e32 v2, v2, v5
	v_fmac_f32_e32 v201, v153, v184
	v_add_f32_e32 v1, v1, v200
	v_mul_f32_e32 v5, v157, v170
	s_waitcnt vmcnt(3)
	v_fma_f32 v3, v154, v185, -v3
	v_add_f32_e32 v2, v2, v4
	v_mul_f32_e32 v203, v156, v170
	v_fmac_f32_e32 v202, v155, v185
	v_add_f32_e32 v1, v1, v201
	s_waitcnt vmcnt(2)
	v_fma_f32 v4, v156, v186, -v5
	v_add_f32_e32 v2, v2, v3
	v_fmac_f32_e32 v203, v157, v186
	v_add_f32_e32 v1, v1, v202
	v_add_f32_e32 v2, v2, v4
	;; [unrolled: 1-line block ×3, first 2 shown]
	s_waitcnt vmcnt(1)
	v_sub_f32_e32 v2, v187, v2
	s_waitcnt vmcnt(0)
	v_sub_f32_e32 v1, v188, v1
	buffer_store_dword v2, off, s[0:3], 0 offset:344
	buffer_store_dword v1, off, s[0:3], 0 offset:348
	v_cmpx_lt_u32_e32 42, v0
	s_cbranch_execz .LBB59_289
; %bb.288:
	s_clause 0x1
	buffer_load_dword v1, off, s[0:3], 0 offset:336
	buffer_load_dword v2, off, s[0:3], 0 offset:340
	v_mov_b32_e32 v3, 0
	buffer_store_dword v3, off, s[0:3], 0 offset:336
	buffer_store_dword v3, off, s[0:3], 0 offset:340
	s_waitcnt vmcnt(0)
	ds_write_b64 v133, v[1:2]
.LBB59_289:
	s_or_b32 exec_lo, exec_lo, s4
	s_waitcnt lgkmcnt(0)
	s_waitcnt_vscnt null, 0x0
	s_barrier
	buffer_gl0_inv
	s_clause 0x23
	buffer_load_dword v12, off, s[0:3], 0 offset:348
	buffer_load_dword v158, off, s[0:3], 0 offset:356
	;; [unrolled: 1-line block ×36, first 2 shown]
	v_mov_b32_e32 v1, 0
	ds_read2_b64 v[2:5], v1 offset0:103 offset1:104
	ds_read2_b64 v[6:9], v1 offset0:105 offset1:106
	ds_read2_b64 v[134:137], v1 offset0:107 offset1:108
	ds_read2_b64 v[138:141], v1 offset0:109 offset1:110
	ds_read2_b64 v[142:145], v1 offset0:111 offset1:112
	ds_read2_b64 v[146:149], v1 offset0:113 offset1:114
	ds_read2_b64 v[150:153], v1 offset0:115 offset1:116
	ds_read2_b64 v[154:157], v1 offset0:117 offset1:118
	ds_read_b64 v[10:11], v1 offset:952
	s_mov_b32 s4, exec_lo
	s_waitcnt vmcnt(35) lgkmcnt(8)
	v_mul_f32_e32 v193, v2, v12
	v_mul_f32_e32 v12, v3, v12
	s_waitcnt vmcnt(34)
	v_mul_f32_e32 v194, v4, v158
	v_mul_f32_e32 v158, v5, v158
	s_waitcnt vmcnt(33) lgkmcnt(7)
	v_mul_f32_e32 v195, v6, v159
	s_waitcnt vmcnt(32)
	v_mul_f32_e32 v196, v8, v160
	s_waitcnt vmcnt(31) lgkmcnt(6)
	v_mul_f32_e32 v197, v134, v161
	s_waitcnt vmcnt(30)
	;; [unrolled: 4-line block ×7, first 2 shown]
	v_fma_f32 v2, v2, v174, -v12
	v_fmac_f32_e32 v193, v3, v174
	v_mul_f32_e32 v3, v7, v159
	s_waitcnt vmcnt(17)
	v_fma_f32 v4, v4, v175, -v158
	v_fmac_f32_e32 v194, v5, v175
	v_add_f32_e32 v2, 0, v2
	v_add_f32_e32 v5, 0, v193
	v_mul_f32_e32 v12, v9, v160
	s_waitcnt vmcnt(16)
	v_fma_f32 v3, v6, v176, -v3
	v_fmac_f32_e32 v195, v7, v176
	v_add_f32_e32 v2, v2, v4
	v_add_f32_e32 v4, v5, v194
	;; [unrolled: 6-line block ×13, first 2 shown]
	v_mul_f32_e32 v6, v157, v172
	s_waitcnt vmcnt(4)
	v_fma_f32 v4, v154, v188, -v4
	v_mul_f32_e32 v208, v156, v172
	v_add_f32_e32 v2, v2, v5
	v_fmac_f32_e32 v207, v155, v188
	v_add_f32_e32 v3, v3, v206
	s_waitcnt lgkmcnt(0)
	v_mul_f32_e32 v5, v11, v173
	s_waitcnt vmcnt(3)
	v_fma_f32 v6, v156, v189, -v6
	v_add_f32_e32 v2, v2, v4
	v_mul_f32_e32 v209, v10, v173
	v_fmac_f32_e32 v208, v157, v189
	v_add_f32_e32 v3, v3, v207
	s_waitcnt vmcnt(2)
	v_fma_f32 v4, v10, v190, -v5
	v_add_f32_e32 v2, v2, v6
	v_fmac_f32_e32 v209, v11, v190
	v_add_f32_e32 v3, v3, v208
	v_add_f32_e32 v2, v2, v4
	;; [unrolled: 1-line block ×3, first 2 shown]
	s_waitcnt vmcnt(1)
	v_sub_f32_e32 v2, v191, v2
	s_waitcnt vmcnt(0)
	v_sub_f32_e32 v3, v192, v3
	buffer_store_dword v2, off, s[0:3], 0 offset:336
	buffer_store_dword v3, off, s[0:3], 0 offset:340
	v_cmpx_lt_u32_e32 41, v0
	s_cbranch_execz .LBB59_291
; %bb.290:
	s_clause 0x1
	buffer_load_dword v2, off, s[0:3], 0 offset:328
	buffer_load_dword v3, off, s[0:3], 0 offset:332
	buffer_store_dword v1, off, s[0:3], 0 offset:328
	buffer_store_dword v1, off, s[0:3], 0 offset:332
	s_waitcnt vmcnt(0)
	ds_write_b64 v133, v[2:3]
.LBB59_291:
	s_or_b32 exec_lo, exec_lo, s4
	s_waitcnt lgkmcnt(0)
	s_waitcnt_vscnt null, 0x0
	s_barrier
	buffer_gl0_inv
	s_clause 0x25
	buffer_load_dword v10, off, s[0:3], 0 offset:340
	buffer_load_dword v11, off, s[0:3], 0 offset:348
	;; [unrolled: 1-line block ×38, first 2 shown]
	ds_read_b128 v[2:5], v1 offset:816
	ds_read_b128 v[6:9], v1 offset:832
	;; [unrolled: 1-line block ×9, first 2 shown]
	s_mov_b32 s4, exec_lo
	s_waitcnt vmcnt(37) lgkmcnt(8)
	v_mul_f32_e32 v1, v2, v10
	v_mul_f32_e32 v10, v3, v10
	s_waitcnt vmcnt(36)
	v_mul_f32_e32 v197, v4, v11
	v_mul_f32_e32 v11, v5, v11
	s_waitcnt vmcnt(35) lgkmcnt(7)
	v_mul_f32_e32 v198, v6, v12
	s_waitcnt vmcnt(34)
	v_mul_f32_e32 v199, v8, v162
	s_waitcnt vmcnt(33) lgkmcnt(6)
	v_mul_f32_e32 v200, v134, v163
	s_waitcnt vmcnt(32)
	;; [unrolled: 4-line block ×7, first 2 shown]
	v_mul_f32_e32 v211, v156, v174
	s_waitcnt vmcnt(19)
	v_fma_f32 v2, v2, v177, -v10
	v_fmac_f32_e32 v1, v3, v177
	v_mul_f32_e32 v3, v7, v12
	s_waitcnt vmcnt(18)
	v_fma_f32 v4, v4, v178, -v11
	v_fmac_f32_e32 v197, v5, v178
	v_add_f32_e32 v2, 0, v2
	v_add_f32_e32 v1, 0, v1
	v_mul_f32_e32 v5, v9, v162
	s_waitcnt vmcnt(17)
	v_fma_f32 v3, v6, v179, -v3
	v_fmac_f32_e32 v198, v7, v179
	v_add_f32_e32 v2, v2, v4
	v_add_f32_e32 v1, v1, v197
	v_mul_f32_e32 v4, v135, v163
	s_waitcnt vmcnt(16)
	v_fma_f32 v5, v8, v180, -v5
	v_fmac_f32_e32 v199, v9, v180
	v_add_f32_e32 v2, v2, v3
	v_add_f32_e32 v1, v1, v198
	v_mul_f32_e32 v3, v137, v164
	s_waitcnt vmcnt(15)
	v_fma_f32 v4, v134, v181, -v4
	v_fmac_f32_e32 v200, v135, v181
	v_add_f32_e32 v2, v2, v5
	v_add_f32_e32 v1, v1, v199
	v_mul_f32_e32 v5, v139, v165
	s_waitcnt vmcnt(14)
	v_fma_f32 v3, v136, v182, -v3
	v_fmac_f32_e32 v201, v137, v182
	v_add_f32_e32 v2, v2, v4
	v_add_f32_e32 v1, v1, v200
	v_mul_f32_e32 v4, v141, v166
	s_waitcnt vmcnt(13)
	v_fma_f32 v5, v138, v183, -v5
	v_fmac_f32_e32 v202, v139, v183
	v_add_f32_e32 v2, v2, v3
	v_add_f32_e32 v1, v1, v201
	v_mul_f32_e32 v3, v143, v167
	s_waitcnt vmcnt(12)
	v_fma_f32 v4, v140, v184, -v4
	v_fmac_f32_e32 v203, v141, v184
	v_add_f32_e32 v2, v2, v5
	v_add_f32_e32 v1, v1, v202
	v_mul_f32_e32 v5, v145, v168
	s_waitcnt vmcnt(11)
	v_fma_f32 v3, v142, v185, -v3
	v_fmac_f32_e32 v204, v143, v185
	v_add_f32_e32 v2, v2, v4
	v_add_f32_e32 v1, v1, v203
	v_mul_f32_e32 v4, v147, v169
	s_waitcnt vmcnt(10)
	v_fma_f32 v5, v144, v186, -v5
	v_fmac_f32_e32 v205, v145, v186
	v_add_f32_e32 v2, v2, v3
	v_add_f32_e32 v1, v1, v204
	v_mul_f32_e32 v3, v149, v170
	s_waitcnt vmcnt(9)
	v_fma_f32 v4, v146, v187, -v4
	v_fmac_f32_e32 v206, v147, v187
	v_add_f32_e32 v2, v2, v5
	v_add_f32_e32 v1, v1, v205
	v_mul_f32_e32 v5, v151, v171
	s_waitcnt vmcnt(8)
	v_fma_f32 v3, v148, v188, -v3
	v_fmac_f32_e32 v207, v149, v188
	v_add_f32_e32 v2, v2, v4
	v_add_f32_e32 v1, v1, v206
	v_mul_f32_e32 v4, v153, v172
	s_waitcnt vmcnt(7)
	v_fma_f32 v5, v150, v189, -v5
	v_fmac_f32_e32 v208, v151, v189
	v_add_f32_e32 v2, v2, v3
	v_add_f32_e32 v1, v1, v207
	v_mul_f32_e32 v3, v155, v173
	s_waitcnt vmcnt(6)
	v_fma_f32 v4, v152, v190, -v4
	v_fmac_f32_e32 v209, v153, v190
	v_add_f32_e32 v2, v2, v5
	v_add_f32_e32 v1, v1, v208
	v_mul_f32_e32 v5, v157, v174
	s_waitcnt vmcnt(5)
	v_fma_f32 v3, v154, v191, -v3
	v_fmac_f32_e32 v210, v155, v191
	v_add_f32_e32 v2, v2, v4
	v_add_f32_e32 v1, v1, v209
	s_waitcnt lgkmcnt(0)
	v_mul_f32_e32 v4, v159, v175
	s_waitcnt vmcnt(4)
	v_fma_f32 v5, v156, v192, -v5
	v_mul_f32_e32 v212, v158, v175
	v_add_f32_e32 v2, v2, v3
	v_fmac_f32_e32 v211, v157, v192
	v_add_f32_e32 v1, v1, v210
	v_mul_f32_e32 v3, v161, v176
	s_waitcnt vmcnt(3)
	v_fma_f32 v4, v158, v193, -v4
	v_add_f32_e32 v2, v2, v5
	v_mul_f32_e32 v213, v160, v176
	v_fmac_f32_e32 v212, v159, v193
	v_add_f32_e32 v1, v1, v211
	s_waitcnt vmcnt(2)
	v_fma_f32 v3, v160, v194, -v3
	v_add_f32_e32 v2, v2, v4
	v_fmac_f32_e32 v213, v161, v194
	v_add_f32_e32 v1, v1, v212
	v_add_f32_e32 v2, v2, v3
	;; [unrolled: 1-line block ×3, first 2 shown]
	s_waitcnt vmcnt(1)
	v_sub_f32_e32 v2, v195, v2
	s_waitcnt vmcnt(0)
	v_sub_f32_e32 v1, v196, v1
	buffer_store_dword v2, off, s[0:3], 0 offset:328
	buffer_store_dword v1, off, s[0:3], 0 offset:332
	v_cmpx_lt_u32_e32 40, v0
	s_cbranch_execz .LBB59_293
; %bb.292:
	s_clause 0x1
	buffer_load_dword v1, off, s[0:3], 0 offset:320
	buffer_load_dword v2, off, s[0:3], 0 offset:324
	v_mov_b32_e32 v3, 0
	buffer_store_dword v3, off, s[0:3], 0 offset:320
	buffer_store_dword v3, off, s[0:3], 0 offset:324
	s_waitcnt vmcnt(0)
	ds_write_b64 v133, v[1:2]
.LBB59_293:
	s_or_b32 exec_lo, exec_lo, s4
	s_waitcnt lgkmcnt(0)
	s_waitcnt_vscnt null, 0x0
	s_barrier
	buffer_gl0_inv
	s_clause 0x27
	buffer_load_dword v12, off, s[0:3], 0 offset:332
	buffer_load_dword v162, off, s[0:3], 0 offset:340
	;; [unrolled: 1-line block ×40, first 2 shown]
	v_mov_b32_e32 v1, 0
	ds_read2_b64 v[2:5], v1 offset0:101 offset1:102
	ds_read2_b64 v[6:9], v1 offset0:103 offset1:104
	;; [unrolled: 1-line block ×9, first 2 shown]
	ds_read_b64 v[10:11], v1 offset:952
	s_mov_b32 s4, exec_lo
	s_waitcnt vmcnt(39) lgkmcnt(9)
	v_mul_f32_e32 v201, v2, v12
	v_mul_f32_e32 v12, v3, v12
	s_waitcnt vmcnt(38)
	v_mul_f32_e32 v202, v4, v162
	v_mul_f32_e32 v162, v5, v162
	s_waitcnt vmcnt(37) lgkmcnt(8)
	v_mul_f32_e32 v203, v6, v163
	s_waitcnt vmcnt(36)
	v_mul_f32_e32 v204, v8, v164
	s_waitcnt vmcnt(35) lgkmcnt(7)
	v_mul_f32_e32 v205, v134, v165
	s_waitcnt vmcnt(34)
	;; [unrolled: 4-line block ×8, first 2 shown]
	v_fma_f32 v2, v2, v180, -v12
	v_fmac_f32_e32 v201, v3, v180
	v_mul_f32_e32 v3, v7, v163
	s_waitcnt vmcnt(19)
	v_fma_f32 v4, v4, v181, -v162
	v_fmac_f32_e32 v202, v5, v181
	v_add_f32_e32 v2, 0, v2
	v_add_f32_e32 v5, 0, v201
	v_mul_f32_e32 v12, v9, v164
	s_waitcnt vmcnt(18)
	v_fma_f32 v3, v6, v182, -v3
	v_fmac_f32_e32 v203, v7, v182
	v_add_f32_e32 v2, v2, v4
	v_add_f32_e32 v4, v5, v202
	;; [unrolled: 6-line block ×15, first 2 shown]
	v_mul_f32_e32 v4, v161, v178
	s_waitcnt vmcnt(4)
	v_fma_f32 v5, v158, v196, -v5
	v_mul_f32_e32 v218, v160, v178
	v_add_f32_e32 v2, v2, v6
	v_fmac_f32_e32 v217, v159, v196
	v_add_f32_e32 v3, v3, v216
	s_waitcnt lgkmcnt(0)
	v_mul_f32_e32 v6, v11, v179
	s_waitcnt vmcnt(3)
	v_fma_f32 v4, v160, v197, -v4
	v_add_f32_e32 v2, v2, v5
	v_mul_f32_e32 v219, v10, v179
	v_fmac_f32_e32 v218, v161, v197
	v_add_f32_e32 v3, v3, v217
	s_waitcnt vmcnt(2)
	v_fma_f32 v5, v10, v198, -v6
	v_add_f32_e32 v2, v2, v4
	v_fmac_f32_e32 v219, v11, v198
	v_add_f32_e32 v3, v3, v218
	v_add_f32_e32 v2, v2, v5
	;; [unrolled: 1-line block ×3, first 2 shown]
	s_waitcnt vmcnt(1)
	v_sub_f32_e32 v2, v199, v2
	s_waitcnt vmcnt(0)
	v_sub_f32_e32 v3, v200, v3
	buffer_store_dword v2, off, s[0:3], 0 offset:320
	buffer_store_dword v3, off, s[0:3], 0 offset:324
	v_cmpx_lt_u32_e32 39, v0
	s_cbranch_execz .LBB59_295
; %bb.294:
	s_clause 0x1
	buffer_load_dword v2, off, s[0:3], 0 offset:312
	buffer_load_dword v3, off, s[0:3], 0 offset:316
	buffer_store_dword v1, off, s[0:3], 0 offset:312
	buffer_store_dword v1, off, s[0:3], 0 offset:316
	s_waitcnt vmcnt(0)
	ds_write_b64 v133, v[2:3]
.LBB59_295:
	s_or_b32 exec_lo, exec_lo, s4
	s_waitcnt lgkmcnt(0)
	s_waitcnt_vscnt null, 0x0
	s_barrier
	buffer_gl0_inv
	s_clause 0x29
	buffer_load_dword v10, off, s[0:3], 0 offset:324
	buffer_load_dword v11, off, s[0:3], 0 offset:332
	;; [unrolled: 1-line block ×42, first 2 shown]
	ds_read_b128 v[2:5], v1 offset:800
	ds_read_b128 v[6:9], v1 offset:816
	;; [unrolled: 1-line block ×10, first 2 shown]
	s_mov_b32 s4, exec_lo
	s_waitcnt vmcnt(41) lgkmcnt(9)
	v_mul_f32_e32 v1, v2, v10
	v_mul_f32_e32 v10, v3, v10
	s_waitcnt vmcnt(40)
	v_mul_f32_e32 v205, v4, v11
	v_mul_f32_e32 v11, v5, v11
	s_waitcnt vmcnt(39) lgkmcnt(8)
	v_mul_f32_e32 v206, v6, v12
	s_waitcnt vmcnt(38)
	v_mul_f32_e32 v207, v8, v166
	s_waitcnt vmcnt(37) lgkmcnt(7)
	v_mul_f32_e32 v208, v134, v167
	s_waitcnt vmcnt(36)
	;; [unrolled: 4-line block ×8, first 2 shown]
	v_mul_f32_e32 v221, v160, v180
	s_waitcnt vmcnt(21)
	v_fma_f32 v2, v2, v183, -v10
	v_fmac_f32_e32 v1, v3, v183
	v_mul_f32_e32 v3, v7, v12
	s_waitcnt vmcnt(20)
	v_fma_f32 v4, v4, v184, -v11
	v_fmac_f32_e32 v205, v5, v184
	v_add_f32_e32 v2, 0, v2
	v_add_f32_e32 v1, 0, v1
	v_mul_f32_e32 v5, v9, v166
	s_waitcnt vmcnt(19)
	v_fma_f32 v3, v6, v185, -v3
	v_fmac_f32_e32 v206, v7, v185
	v_add_f32_e32 v2, v2, v4
	v_add_f32_e32 v1, v1, v205
	v_mul_f32_e32 v4, v135, v167
	s_waitcnt vmcnt(18)
	v_fma_f32 v5, v8, v186, -v5
	v_fmac_f32_e32 v207, v9, v186
	v_add_f32_e32 v2, v2, v3
	v_add_f32_e32 v1, v1, v206
	v_mul_f32_e32 v3, v137, v168
	s_waitcnt vmcnt(17)
	v_fma_f32 v4, v134, v187, -v4
	v_fmac_f32_e32 v208, v135, v187
	v_add_f32_e32 v2, v2, v5
	v_add_f32_e32 v1, v1, v207
	v_mul_f32_e32 v5, v139, v169
	s_waitcnt vmcnt(16)
	v_fma_f32 v3, v136, v188, -v3
	v_fmac_f32_e32 v209, v137, v188
	v_add_f32_e32 v2, v2, v4
	v_add_f32_e32 v1, v1, v208
	v_mul_f32_e32 v4, v141, v170
	s_waitcnt vmcnt(15)
	v_fma_f32 v5, v138, v189, -v5
	v_fmac_f32_e32 v210, v139, v189
	v_add_f32_e32 v2, v2, v3
	v_add_f32_e32 v1, v1, v209
	v_mul_f32_e32 v3, v143, v171
	s_waitcnt vmcnt(14)
	v_fma_f32 v4, v140, v190, -v4
	v_fmac_f32_e32 v211, v141, v190
	v_add_f32_e32 v2, v2, v5
	v_add_f32_e32 v1, v1, v210
	v_mul_f32_e32 v5, v145, v172
	s_waitcnt vmcnt(13)
	v_fma_f32 v3, v142, v191, -v3
	v_fmac_f32_e32 v212, v143, v191
	v_add_f32_e32 v2, v2, v4
	v_add_f32_e32 v1, v1, v211
	v_mul_f32_e32 v4, v147, v173
	s_waitcnt vmcnt(12)
	v_fma_f32 v5, v144, v192, -v5
	v_fmac_f32_e32 v213, v145, v192
	v_add_f32_e32 v2, v2, v3
	v_add_f32_e32 v1, v1, v212
	v_mul_f32_e32 v3, v149, v174
	s_waitcnt vmcnt(11)
	v_fma_f32 v4, v146, v193, -v4
	v_fmac_f32_e32 v214, v147, v193
	v_add_f32_e32 v2, v2, v5
	v_add_f32_e32 v1, v1, v213
	v_mul_f32_e32 v5, v151, v175
	s_waitcnt vmcnt(10)
	v_fma_f32 v3, v148, v194, -v3
	v_fmac_f32_e32 v215, v149, v194
	v_add_f32_e32 v2, v2, v4
	v_add_f32_e32 v1, v1, v214
	v_mul_f32_e32 v4, v153, v176
	s_waitcnt vmcnt(9)
	v_fma_f32 v5, v150, v195, -v5
	v_fmac_f32_e32 v216, v151, v195
	v_add_f32_e32 v2, v2, v3
	v_add_f32_e32 v1, v1, v215
	v_mul_f32_e32 v3, v155, v177
	s_waitcnt vmcnt(8)
	v_fma_f32 v4, v152, v196, -v4
	v_fmac_f32_e32 v217, v153, v196
	v_add_f32_e32 v2, v2, v5
	v_add_f32_e32 v1, v1, v216
	v_mul_f32_e32 v5, v157, v178
	s_waitcnt vmcnt(7)
	v_fma_f32 v3, v154, v197, -v3
	v_fmac_f32_e32 v218, v155, v197
	v_add_f32_e32 v2, v2, v4
	v_add_f32_e32 v1, v1, v217
	v_mul_f32_e32 v4, v159, v179
	s_waitcnt vmcnt(6)
	v_fma_f32 v5, v156, v198, -v5
	v_fmac_f32_e32 v219, v157, v198
	v_add_f32_e32 v2, v2, v3
	v_add_f32_e32 v1, v1, v218
	v_mul_f32_e32 v3, v161, v180
	s_waitcnt vmcnt(5)
	v_fma_f32 v4, v158, v199, -v4
	v_fmac_f32_e32 v220, v159, v199
	v_add_f32_e32 v2, v2, v5
	v_add_f32_e32 v1, v1, v219
	s_waitcnt lgkmcnt(0)
	v_mul_f32_e32 v5, v163, v181
	s_waitcnt vmcnt(4)
	v_fma_f32 v3, v160, v200, -v3
	v_mul_f32_e32 v222, v162, v181
	v_add_f32_e32 v2, v2, v4
	v_fmac_f32_e32 v221, v161, v200
	v_add_f32_e32 v1, v1, v220
	v_mul_f32_e32 v4, v165, v182
	s_waitcnt vmcnt(3)
	v_fma_f32 v5, v162, v201, -v5
	v_add_f32_e32 v2, v2, v3
	v_mul_f32_e32 v223, v164, v182
	v_fmac_f32_e32 v222, v163, v201
	v_add_f32_e32 v1, v1, v221
	s_waitcnt vmcnt(2)
	v_fma_f32 v3, v164, v202, -v4
	v_add_f32_e32 v2, v2, v5
	v_fmac_f32_e32 v223, v165, v202
	v_add_f32_e32 v1, v1, v222
	v_add_f32_e32 v2, v2, v3
	;; [unrolled: 1-line block ×3, first 2 shown]
	s_waitcnt vmcnt(1)
	v_sub_f32_e32 v2, v203, v2
	s_waitcnt vmcnt(0)
	v_sub_f32_e32 v1, v204, v1
	buffer_store_dword v2, off, s[0:3], 0 offset:312
	buffer_store_dword v1, off, s[0:3], 0 offset:316
	v_cmpx_lt_u32_e32 38, v0
	s_cbranch_execz .LBB59_297
; %bb.296:
	s_clause 0x1
	buffer_load_dword v1, off, s[0:3], 0 offset:304
	buffer_load_dword v2, off, s[0:3], 0 offset:308
	v_mov_b32_e32 v3, 0
	buffer_store_dword v3, off, s[0:3], 0 offset:304
	buffer_store_dword v3, off, s[0:3], 0 offset:308
	s_waitcnt vmcnt(0)
	ds_write_b64 v133, v[1:2]
.LBB59_297:
	s_or_b32 exec_lo, exec_lo, s4
	s_waitcnt lgkmcnt(0)
	s_waitcnt_vscnt null, 0x0
	s_barrier
	buffer_gl0_inv
	s_clause 0x2b
	buffer_load_dword v12, off, s[0:3], 0 offset:316
	buffer_load_dword v166, off, s[0:3], 0 offset:324
	;; [unrolled: 1-line block ×44, first 2 shown]
	v_mov_b32_e32 v1, 0
	ds_read2_b64 v[2:5], v1 offset0:99 offset1:100
	ds_read2_b64 v[6:9], v1 offset0:101 offset1:102
	;; [unrolled: 1-line block ×10, first 2 shown]
	ds_read_b64 v[10:11], v1 offset:952
	s_mov_b32 s4, exec_lo
	s_waitcnt vmcnt(43) lgkmcnt(10)
	v_mul_f32_e32 v209, v2, v12
	v_mul_f32_e32 v12, v3, v12
	s_waitcnt vmcnt(42)
	v_mul_f32_e32 v210, v4, v166
	v_mul_f32_e32 v166, v5, v166
	s_waitcnt vmcnt(41) lgkmcnt(9)
	v_mul_f32_e32 v211, v6, v167
	s_waitcnt vmcnt(40)
	v_mul_f32_e32 v212, v8, v168
	s_waitcnt vmcnt(39) lgkmcnt(8)
	v_mul_f32_e32 v213, v134, v169
	s_waitcnt vmcnt(38)
	;; [unrolled: 4-line block ×9, first 2 shown]
	v_fma_f32 v2, v2, v186, -v12
	v_fmac_f32_e32 v209, v3, v186
	v_mul_f32_e32 v3, v7, v167
	s_waitcnt vmcnt(21)
	v_fma_f32 v4, v4, v187, -v166
	v_fmac_f32_e32 v210, v5, v187
	v_add_f32_e32 v2, 0, v2
	v_add_f32_e32 v5, 0, v209
	v_mul_f32_e32 v12, v9, v168
	s_waitcnt vmcnt(20)
	v_fma_f32 v3, v6, v188, -v3
	v_fmac_f32_e32 v211, v7, v188
	v_add_f32_e32 v2, v2, v4
	v_add_f32_e32 v4, v5, v210
	;; [unrolled: 6-line block ×17, first 2 shown]
	v_mul_f32_e32 v5, v165, v184
	s_waitcnt vmcnt(4)
	v_fma_f32 v6, v162, v204, -v6
	v_mul_f32_e32 v228, v164, v184
	v_add_f32_e32 v2, v2, v4
	v_fmac_f32_e32 v227, v163, v204
	v_add_f32_e32 v3, v3, v226
	s_waitcnt lgkmcnt(0)
	v_mul_f32_e32 v4, v11, v185
	s_waitcnt vmcnt(3)
	v_fma_f32 v5, v164, v205, -v5
	v_add_f32_e32 v2, v2, v6
	v_mul_f32_e32 v229, v10, v185
	v_fmac_f32_e32 v228, v165, v205
	v_add_f32_e32 v3, v3, v227
	s_waitcnt vmcnt(2)
	v_fma_f32 v4, v10, v206, -v4
	v_add_f32_e32 v2, v2, v5
	v_fmac_f32_e32 v229, v11, v206
	v_add_f32_e32 v3, v3, v228
	v_add_f32_e32 v2, v2, v4
	;; [unrolled: 1-line block ×3, first 2 shown]
	s_waitcnt vmcnt(1)
	v_sub_f32_e32 v2, v207, v2
	s_waitcnt vmcnt(0)
	v_sub_f32_e32 v3, v208, v3
	buffer_store_dword v2, off, s[0:3], 0 offset:304
	buffer_store_dword v3, off, s[0:3], 0 offset:308
	v_cmpx_lt_u32_e32 37, v0
	s_cbranch_execz .LBB59_299
; %bb.298:
	s_clause 0x1
	buffer_load_dword v2, off, s[0:3], 0 offset:296
	buffer_load_dword v3, off, s[0:3], 0 offset:300
	buffer_store_dword v1, off, s[0:3], 0 offset:296
	buffer_store_dword v1, off, s[0:3], 0 offset:300
	s_waitcnt vmcnt(0)
	ds_write_b64 v133, v[2:3]
.LBB59_299:
	s_or_b32 exec_lo, exec_lo, s4
	s_waitcnt lgkmcnt(0)
	s_waitcnt_vscnt null, 0x0
	s_barrier
	buffer_gl0_inv
	s_clause 0x2d
	buffer_load_dword v10, off, s[0:3], 0 offset:308
	buffer_load_dword v11, off, s[0:3], 0 offset:316
	;; [unrolled: 1-line block ×46, first 2 shown]
	ds_read_b128 v[2:5], v1 offset:784
	ds_read_b128 v[6:9], v1 offset:800
	;; [unrolled: 1-line block ×11, first 2 shown]
	s_mov_b32 s4, exec_lo
	s_waitcnt vmcnt(45) lgkmcnt(10)
	v_mul_f32_e32 v1, v2, v10
	v_mul_f32_e32 v10, v3, v10
	s_waitcnt vmcnt(44)
	v_mul_f32_e32 v213, v4, v11
	v_mul_f32_e32 v11, v5, v11
	s_waitcnt vmcnt(43) lgkmcnt(9)
	v_mul_f32_e32 v214, v6, v12
	s_waitcnt vmcnt(42)
	v_mul_f32_e32 v215, v8, v170
	s_waitcnt vmcnt(41) lgkmcnt(8)
	v_mul_f32_e32 v216, v134, v171
	s_waitcnt vmcnt(40)
	;; [unrolled: 4-line block ×9, first 2 shown]
	v_mul_f32_e32 v231, v164, v186
	s_waitcnt vmcnt(23)
	v_fma_f32 v2, v2, v189, -v10
	v_fmac_f32_e32 v1, v3, v189
	v_mul_f32_e32 v3, v7, v12
	s_waitcnt vmcnt(22)
	v_fma_f32 v4, v4, v190, -v11
	v_fmac_f32_e32 v213, v5, v190
	v_add_f32_e32 v2, 0, v2
	v_add_f32_e32 v1, 0, v1
	v_mul_f32_e32 v5, v9, v170
	s_waitcnt vmcnt(21)
	v_fma_f32 v3, v6, v191, -v3
	v_fmac_f32_e32 v214, v7, v191
	v_add_f32_e32 v2, v2, v4
	v_add_f32_e32 v1, v1, v213
	;; [unrolled: 6-line block ×18, first 2 shown]
	s_waitcnt lgkmcnt(0)
	v_mul_f32_e32 v3, v167, v187
	s_waitcnt vmcnt(4)
	v_fma_f32 v4, v164, v208, -v4
	v_mul_f32_e32 v232, v166, v187
	v_add_f32_e32 v2, v2, v5
	v_fmac_f32_e32 v231, v165, v208
	v_add_f32_e32 v1, v1, v230
	v_mul_f32_e32 v5, v169, v188
	s_waitcnt vmcnt(3)
	v_fma_f32 v3, v166, v209, -v3
	v_add_f32_e32 v2, v2, v4
	v_mul_f32_e32 v233, v168, v188
	v_fmac_f32_e32 v232, v167, v209
	v_add_f32_e32 v1, v1, v231
	s_waitcnt vmcnt(2)
	v_fma_f32 v4, v168, v210, -v5
	v_add_f32_e32 v2, v2, v3
	v_fmac_f32_e32 v233, v169, v210
	v_add_f32_e32 v1, v1, v232
	v_add_f32_e32 v2, v2, v4
	;; [unrolled: 1-line block ×3, first 2 shown]
	s_waitcnt vmcnt(1)
	v_sub_f32_e32 v2, v211, v2
	s_waitcnt vmcnt(0)
	v_sub_f32_e32 v1, v212, v1
	buffer_store_dword v2, off, s[0:3], 0 offset:296
	buffer_store_dword v1, off, s[0:3], 0 offset:300
	v_cmpx_lt_u32_e32 36, v0
	s_cbranch_execz .LBB59_301
; %bb.300:
	s_clause 0x1
	buffer_load_dword v1, off, s[0:3], 0 offset:288
	buffer_load_dword v2, off, s[0:3], 0 offset:292
	v_mov_b32_e32 v3, 0
	buffer_store_dword v3, off, s[0:3], 0 offset:288
	buffer_store_dword v3, off, s[0:3], 0 offset:292
	s_waitcnt vmcnt(0)
	ds_write_b64 v133, v[1:2]
.LBB59_301:
	s_or_b32 exec_lo, exec_lo, s4
	s_waitcnt lgkmcnt(0)
	s_waitcnt_vscnt null, 0x0
	s_barrier
	buffer_gl0_inv
	s_clause 0x2f
	buffer_load_dword v12, off, s[0:3], 0 offset:300
	buffer_load_dword v170, off, s[0:3], 0 offset:308
	;; [unrolled: 1-line block ×48, first 2 shown]
	v_mov_b32_e32 v1, 0
	ds_read2_b64 v[2:5], v1 offset0:97 offset1:98
	ds_read2_b64 v[6:9], v1 offset0:99 offset1:100
	;; [unrolled: 1-line block ×11, first 2 shown]
	ds_read_b64 v[10:11], v1 offset:952
	s_mov_b32 s4, exec_lo
	s_waitcnt vmcnt(47) lgkmcnt(11)
	v_mul_f32_e32 v217, v2, v12
	v_mul_f32_e32 v12, v3, v12
	s_waitcnt vmcnt(46)
	v_mul_f32_e32 v218, v4, v170
	v_mul_f32_e32 v170, v5, v170
	s_waitcnt vmcnt(45) lgkmcnt(10)
	v_mul_f32_e32 v219, v6, v171
	s_waitcnt vmcnt(44)
	v_mul_f32_e32 v220, v8, v172
	s_waitcnt vmcnt(43) lgkmcnt(9)
	v_mul_f32_e32 v221, v134, v173
	s_waitcnt vmcnt(42)
	;; [unrolled: 4-line block ×10, first 2 shown]
	v_fma_f32 v2, v2, v192, -v12
	v_fmac_f32_e32 v217, v3, v192
	v_mul_f32_e32 v3, v7, v171
	s_waitcnt vmcnt(23)
	v_fma_f32 v4, v4, v193, -v170
	v_fmac_f32_e32 v218, v5, v193
	v_add_f32_e32 v2, 0, v2
	v_add_f32_e32 v5, 0, v217
	v_mul_f32_e32 v12, v9, v172
	s_waitcnt vmcnt(22)
	v_fma_f32 v3, v6, v194, -v3
	v_fmac_f32_e32 v219, v7, v194
	v_add_f32_e32 v2, v2, v4
	v_add_f32_e32 v4, v5, v218
	v_mul_f32_e32 v5, v135, v173
	s_waitcnt vmcnt(21)
	v_fma_f32 v6, v8, v195, -v12
	v_fmac_f32_e32 v220, v9, v195
	v_add_f32_e32 v2, v2, v3
	v_add_f32_e32 v3, v4, v219
	v_mul_f32_e32 v4, v137, v174
	s_waitcnt vmcnt(20)
	v_fma_f32 v5, v134, v196, -v5
	v_fmac_f32_e32 v221, v135, v196
	v_add_f32_e32 v2, v2, v6
	v_add_f32_e32 v3, v3, v220
	v_mul_f32_e32 v6, v139, v175
	s_waitcnt vmcnt(19)
	v_fma_f32 v4, v136, v197, -v4
	v_fmac_f32_e32 v222, v137, v197
	v_add_f32_e32 v2, v2, v5
	v_add_f32_e32 v3, v3, v221
	v_mul_f32_e32 v5, v141, v176
	s_waitcnt vmcnt(18)
	v_fma_f32 v6, v138, v198, -v6
	v_fmac_f32_e32 v223, v139, v198
	v_add_f32_e32 v2, v2, v4
	v_add_f32_e32 v3, v3, v222
	v_mul_f32_e32 v4, v143, v177
	s_waitcnt vmcnt(17)
	v_fma_f32 v5, v140, v199, -v5
	v_fmac_f32_e32 v224, v141, v199
	v_add_f32_e32 v2, v2, v6
	v_add_f32_e32 v3, v3, v223
	v_mul_f32_e32 v6, v145, v178
	s_waitcnt vmcnt(16)
	v_fma_f32 v4, v142, v200, -v4
	v_fmac_f32_e32 v225, v143, v200
	v_add_f32_e32 v2, v2, v5
	v_add_f32_e32 v3, v3, v224
	v_mul_f32_e32 v5, v147, v179
	s_waitcnt vmcnt(15)
	v_fma_f32 v6, v144, v201, -v6
	v_fmac_f32_e32 v226, v145, v201
	v_add_f32_e32 v2, v2, v4
	v_add_f32_e32 v3, v3, v225
	v_mul_f32_e32 v4, v149, v180
	s_waitcnt vmcnt(14)
	v_fma_f32 v5, v146, v202, -v5
	v_fmac_f32_e32 v227, v147, v202
	v_add_f32_e32 v2, v2, v6
	v_add_f32_e32 v3, v3, v226
	v_mul_f32_e32 v6, v151, v181
	s_waitcnt vmcnt(13)
	v_fma_f32 v4, v148, v203, -v4
	v_fmac_f32_e32 v228, v149, v203
	v_add_f32_e32 v2, v2, v5
	v_add_f32_e32 v3, v3, v227
	v_mul_f32_e32 v5, v153, v182
	s_waitcnt vmcnt(12)
	v_fma_f32 v6, v150, v204, -v6
	v_fmac_f32_e32 v229, v151, v204
	v_add_f32_e32 v2, v2, v4
	v_add_f32_e32 v3, v3, v228
	v_mul_f32_e32 v4, v155, v183
	s_waitcnt vmcnt(11)
	v_fma_f32 v5, v152, v205, -v5
	v_fmac_f32_e32 v230, v153, v205
	v_add_f32_e32 v2, v2, v6
	v_add_f32_e32 v3, v3, v229
	v_mul_f32_e32 v6, v157, v184
	s_waitcnt vmcnt(10)
	v_fma_f32 v4, v154, v206, -v4
	v_fmac_f32_e32 v231, v155, v206
	v_add_f32_e32 v2, v2, v5
	v_add_f32_e32 v3, v3, v230
	v_mul_f32_e32 v5, v159, v185
	s_waitcnt vmcnt(9)
	v_fma_f32 v6, v156, v207, -v6
	v_fmac_f32_e32 v232, v157, v207
	v_add_f32_e32 v2, v2, v4
	v_add_f32_e32 v3, v3, v231
	v_mul_f32_e32 v4, v161, v186
	s_waitcnt vmcnt(8)
	v_fma_f32 v5, v158, v208, -v5
	v_fmac_f32_e32 v233, v159, v208
	v_add_f32_e32 v2, v2, v6
	v_add_f32_e32 v3, v3, v232
	v_mul_f32_e32 v6, v163, v187
	s_waitcnt vmcnt(7)
	v_fma_f32 v4, v160, v209, -v4
	v_fmac_f32_e32 v234, v161, v209
	v_add_f32_e32 v2, v2, v5
	v_add_f32_e32 v3, v3, v233
	v_mul_f32_e32 v5, v165, v188
	s_waitcnt vmcnt(6)
	v_fma_f32 v6, v162, v210, -v6
	v_fmac_f32_e32 v235, v163, v210
	v_add_f32_e32 v2, v2, v4
	v_add_f32_e32 v3, v3, v234
	v_mul_f32_e32 v4, v167, v189
	s_waitcnt vmcnt(5)
	v_fma_f32 v5, v164, v211, -v5
	v_fmac_f32_e32 v236, v165, v211
	v_add_f32_e32 v2, v2, v6
	v_add_f32_e32 v3, v3, v235
	v_mul_f32_e32 v6, v169, v190
	s_waitcnt vmcnt(4)
	v_fma_f32 v4, v166, v212, -v4
	v_mul_f32_e32 v238, v168, v190
	v_add_f32_e32 v2, v2, v5
	v_fmac_f32_e32 v237, v167, v212
	v_add_f32_e32 v3, v3, v236
	s_waitcnt lgkmcnt(0)
	v_mul_f32_e32 v5, v11, v191
	s_waitcnt vmcnt(3)
	v_fma_f32 v6, v168, v213, -v6
	v_add_f32_e32 v2, v2, v4
	v_mul_f32_e32 v239, v10, v191
	v_fmac_f32_e32 v238, v169, v213
	v_add_f32_e32 v3, v3, v237
	s_waitcnt vmcnt(2)
	v_fma_f32 v4, v10, v214, -v5
	v_add_f32_e32 v2, v2, v6
	v_fmac_f32_e32 v239, v11, v214
	v_add_f32_e32 v3, v3, v238
	v_add_f32_e32 v2, v2, v4
	;; [unrolled: 1-line block ×3, first 2 shown]
	s_waitcnt vmcnt(1)
	v_sub_f32_e32 v2, v215, v2
	s_waitcnt vmcnt(0)
	v_sub_f32_e32 v3, v216, v3
	buffer_store_dword v2, off, s[0:3], 0 offset:288
	buffer_store_dword v3, off, s[0:3], 0 offset:292
	v_cmpx_lt_u32_e32 35, v0
	s_cbranch_execz .LBB59_303
; %bb.302:
	s_clause 0x1
	buffer_load_dword v2, off, s[0:3], 0 offset:280
	buffer_load_dword v3, off, s[0:3], 0 offset:284
	buffer_store_dword v1, off, s[0:3], 0 offset:280
	buffer_store_dword v1, off, s[0:3], 0 offset:284
	s_waitcnt vmcnt(0)
	ds_write_b64 v133, v[2:3]
.LBB59_303:
	s_or_b32 exec_lo, exec_lo, s4
	s_waitcnt lgkmcnt(0)
	s_waitcnt_vscnt null, 0x0
	s_barrier
	buffer_gl0_inv
	s_clause 0x31
	buffer_load_dword v10, off, s[0:3], 0 offset:292
	buffer_load_dword v11, off, s[0:3], 0 offset:300
	buffer_load_dword v12, off, s[0:3], 0 offset:308
	buffer_load_dword v174, off, s[0:3], 0 offset:316
	buffer_load_dword v175, off, s[0:3], 0 offset:324
	buffer_load_dword v176, off, s[0:3], 0 offset:332
	buffer_load_dword v177, off, s[0:3], 0 offset:340
	buffer_load_dword v178, off, s[0:3], 0 offset:348
	buffer_load_dword v179, off, s[0:3], 0 offset:356
	buffer_load_dword v180, off, s[0:3], 0 offset:364
	buffer_load_dword v181, off, s[0:3], 0 offset:372
	buffer_load_dword v182, off, s[0:3], 0 offset:380
	buffer_load_dword v183, off, s[0:3], 0 offset:388
	buffer_load_dword v184, off, s[0:3], 0 offset:396
	buffer_load_dword v185, off, s[0:3], 0 offset:404
	buffer_load_dword v186, off, s[0:3], 0 offset:412
	buffer_load_dword v187, off, s[0:3], 0 offset:420
	buffer_load_dword v188, off, s[0:3], 0 offset:428
	buffer_load_dword v189, off, s[0:3], 0 offset:436
	buffer_load_dword v190, off, s[0:3], 0 offset:444
	buffer_load_dword v191, off, s[0:3], 0 offset:452
	buffer_load_dword v192, off, s[0:3], 0 offset:460
	buffer_load_dword v193, off, s[0:3], 0 offset:468
	buffer_load_dword v194, off, s[0:3], 0 offset:476
	buffer_load_dword v195, off, s[0:3], 0 offset:288
	buffer_load_dword v196, off, s[0:3], 0 offset:296
	buffer_load_dword v197, off, s[0:3], 0 offset:304
	buffer_load_dword v198, off, s[0:3], 0 offset:312
	buffer_load_dword v199, off, s[0:3], 0 offset:320
	buffer_load_dword v200, off, s[0:3], 0 offset:328
	buffer_load_dword v201, off, s[0:3], 0 offset:336
	buffer_load_dword v202, off, s[0:3], 0 offset:344
	buffer_load_dword v203, off, s[0:3], 0 offset:352
	buffer_load_dword v204, off, s[0:3], 0 offset:360
	buffer_load_dword v205, off, s[0:3], 0 offset:368
	buffer_load_dword v206, off, s[0:3], 0 offset:376
	buffer_load_dword v207, off, s[0:3], 0 offset:384
	buffer_load_dword v208, off, s[0:3], 0 offset:392
	buffer_load_dword v209, off, s[0:3], 0 offset:400
	buffer_load_dword v210, off, s[0:3], 0 offset:408
	buffer_load_dword v211, off, s[0:3], 0 offset:416
	buffer_load_dword v212, off, s[0:3], 0 offset:424
	buffer_load_dword v213, off, s[0:3], 0 offset:432
	buffer_load_dword v214, off, s[0:3], 0 offset:440
	buffer_load_dword v215, off, s[0:3], 0 offset:448
	buffer_load_dword v216, off, s[0:3], 0 offset:456
	buffer_load_dword v217, off, s[0:3], 0 offset:464
	buffer_load_dword v218, off, s[0:3], 0 offset:472
	buffer_load_dword v219, off, s[0:3], 0 offset:280
	buffer_load_dword v220, off, s[0:3], 0 offset:284
	ds_read_b128 v[2:5], v1 offset:768
	ds_read_b128 v[6:9], v1 offset:784
	;; [unrolled: 1-line block ×12, first 2 shown]
	s_mov_b32 s4, exec_lo
	s_waitcnt vmcnt(49) lgkmcnt(11)
	v_mul_f32_e32 v1, v2, v10
	v_mul_f32_e32 v10, v3, v10
	s_waitcnt vmcnt(48)
	v_mul_f32_e32 v221, v4, v11
	v_mul_f32_e32 v11, v5, v11
	s_waitcnt vmcnt(47) lgkmcnt(10)
	v_mul_f32_e32 v222, v6, v12
	s_waitcnt vmcnt(46)
	v_mul_f32_e32 v223, v8, v174
	s_waitcnt vmcnt(45) lgkmcnt(9)
	v_mul_f32_e32 v224, v134, v175
	s_waitcnt vmcnt(44)
	;; [unrolled: 4-line block ×10, first 2 shown]
	v_mul_f32_e32 v241, v168, v192
	s_waitcnt vmcnt(25)
	v_fma_f32 v2, v2, v195, -v10
	v_fmac_f32_e32 v1, v3, v195
	v_mul_f32_e32 v3, v7, v12
	s_waitcnt vmcnt(24)
	v_fma_f32 v4, v4, v196, -v11
	v_fmac_f32_e32 v221, v5, v196
	v_add_f32_e32 v2, 0, v2
	v_add_f32_e32 v1, 0, v1
	v_mul_f32_e32 v5, v9, v174
	s_waitcnt vmcnt(23)
	v_fma_f32 v3, v6, v197, -v3
	v_fmac_f32_e32 v222, v7, v197
	v_add_f32_e32 v2, v2, v4
	v_add_f32_e32 v1, v1, v221
	;; [unrolled: 6-line block ×20, first 2 shown]
	s_waitcnt lgkmcnt(0)
	v_mul_f32_e32 v4, v171, v193
	s_waitcnt vmcnt(4)
	v_fma_f32 v5, v168, v216, -v5
	v_mul_f32_e32 v242, v170, v193
	v_add_f32_e32 v2, v2, v3
	v_fmac_f32_e32 v241, v169, v216
	v_add_f32_e32 v1, v1, v240
	v_mul_f32_e32 v3, v173, v194
	s_waitcnt vmcnt(3)
	v_fma_f32 v4, v170, v217, -v4
	v_add_f32_e32 v2, v2, v5
	v_mul_f32_e32 v243, v172, v194
	v_fmac_f32_e32 v242, v171, v217
	v_add_f32_e32 v1, v1, v241
	s_waitcnt vmcnt(2)
	v_fma_f32 v3, v172, v218, -v3
	v_add_f32_e32 v2, v2, v4
	v_fmac_f32_e32 v243, v173, v218
	v_add_f32_e32 v1, v1, v242
	v_add_f32_e32 v2, v2, v3
	;; [unrolled: 1-line block ×3, first 2 shown]
	s_waitcnt vmcnt(1)
	v_sub_f32_e32 v2, v219, v2
	s_waitcnt vmcnt(0)
	v_sub_f32_e32 v1, v220, v1
	buffer_store_dword v2, off, s[0:3], 0 offset:280
	buffer_store_dword v1, off, s[0:3], 0 offset:284
	v_cmpx_lt_u32_e32 34, v0
	s_cbranch_execz .LBB59_305
; %bb.304:
	s_clause 0x1
	buffer_load_dword v1, off, s[0:3], 0 offset:272
	buffer_load_dword v2, off, s[0:3], 0 offset:276
	v_mov_b32_e32 v3, 0
	buffer_store_dword v3, off, s[0:3], 0 offset:272
	buffer_store_dword v3, off, s[0:3], 0 offset:276
	s_waitcnt vmcnt(0)
	ds_write_b64 v133, v[1:2]
.LBB59_305:
	s_or_b32 exec_lo, exec_lo, s4
	s_waitcnt lgkmcnt(0)
	s_waitcnt_vscnt null, 0x0
	s_barrier
	buffer_gl0_inv
	s_clause 0x33
	buffer_load_dword v12, off, s[0:3], 0 offset:284
	buffer_load_dword v174, off, s[0:3], 0 offset:292
	;; [unrolled: 1-line block ×52, first 2 shown]
	v_mov_b32_e32 v1, 0
	ds_read2_b64 v[2:5], v1 offset0:95 offset1:96
	ds_read2_b64 v[6:9], v1 offset0:97 offset1:98
	;; [unrolled: 1-line block ×12, first 2 shown]
	ds_read_b64 v[10:11], v1 offset:952
	s_mov_b32 s4, exec_lo
	s_waitcnt vmcnt(51) lgkmcnt(12)
	v_mul_f32_e32 v225, v2, v12
	v_mul_f32_e32 v12, v3, v12
	s_waitcnt vmcnt(50)
	v_mul_f32_e32 v226, v4, v174
	v_mul_f32_e32 v174, v5, v174
	s_waitcnt vmcnt(49) lgkmcnt(11)
	v_mul_f32_e32 v227, v6, v175
	s_waitcnt vmcnt(48)
	v_mul_f32_e32 v228, v8, v176
	s_waitcnt vmcnt(47) lgkmcnt(10)
	v_mul_f32_e32 v229, v134, v177
	s_waitcnt vmcnt(46)
	;; [unrolled: 4-line block ×11, first 2 shown]
	v_fma_f32 v2, v2, v198, -v12
	v_fmac_f32_e32 v225, v3, v198
	v_mul_f32_e32 v3, v7, v175
	s_waitcnt vmcnt(25)
	v_fma_f32 v4, v4, v199, -v174
	v_fmac_f32_e32 v226, v5, v199
	v_add_f32_e32 v2, 0, v2
	v_add_f32_e32 v5, 0, v225
	v_mul_f32_e32 v12, v9, v176
	s_waitcnt vmcnt(24)
	v_fma_f32 v3, v6, v200, -v3
	v_fmac_f32_e32 v227, v7, v200
	v_add_f32_e32 v2, v2, v4
	v_add_f32_e32 v4, v5, v226
	v_mul_f32_e32 v5, v135, v177
	s_waitcnt vmcnt(23)
	v_fma_f32 v6, v8, v201, -v12
	v_fmac_f32_e32 v228, v9, v201
	v_add_f32_e32 v2, v2, v3
	v_add_f32_e32 v3, v4, v227
	v_mul_f32_e32 v4, v137, v178
	s_waitcnt vmcnt(22)
	v_fma_f32 v5, v134, v202, -v5
	v_fmac_f32_e32 v229, v135, v202
	v_add_f32_e32 v2, v2, v6
	v_add_f32_e32 v3, v3, v228
	v_mul_f32_e32 v6, v139, v179
	s_waitcnt vmcnt(21)
	v_fma_f32 v4, v136, v203, -v4
	v_fmac_f32_e32 v230, v137, v203
	v_add_f32_e32 v2, v2, v5
	v_add_f32_e32 v3, v3, v229
	v_mul_f32_e32 v5, v141, v180
	s_waitcnt vmcnt(20)
	v_fma_f32 v6, v138, v204, -v6
	v_fmac_f32_e32 v231, v139, v204
	v_add_f32_e32 v2, v2, v4
	v_add_f32_e32 v3, v3, v230
	v_mul_f32_e32 v4, v143, v181
	s_waitcnt vmcnt(19)
	v_fma_f32 v5, v140, v205, -v5
	v_fmac_f32_e32 v232, v141, v205
	v_add_f32_e32 v2, v2, v6
	v_add_f32_e32 v3, v3, v231
	v_mul_f32_e32 v6, v145, v182
	s_waitcnt vmcnt(18)
	v_fma_f32 v4, v142, v206, -v4
	v_fmac_f32_e32 v233, v143, v206
	v_add_f32_e32 v2, v2, v5
	v_add_f32_e32 v3, v3, v232
	v_mul_f32_e32 v5, v147, v183
	s_waitcnt vmcnt(17)
	v_fma_f32 v6, v144, v207, -v6
	v_fmac_f32_e32 v234, v145, v207
	v_add_f32_e32 v2, v2, v4
	v_add_f32_e32 v3, v3, v233
	v_mul_f32_e32 v4, v149, v184
	s_waitcnt vmcnt(16)
	v_fma_f32 v5, v146, v208, -v5
	v_fmac_f32_e32 v235, v147, v208
	v_add_f32_e32 v2, v2, v6
	v_add_f32_e32 v3, v3, v234
	v_mul_f32_e32 v6, v151, v185
	s_waitcnt vmcnt(15)
	v_fma_f32 v4, v148, v209, -v4
	v_fmac_f32_e32 v236, v149, v209
	v_add_f32_e32 v2, v2, v5
	v_add_f32_e32 v3, v3, v235
	v_mul_f32_e32 v5, v153, v186
	s_waitcnt vmcnt(14)
	v_fma_f32 v6, v150, v210, -v6
	v_fmac_f32_e32 v237, v151, v210
	v_add_f32_e32 v2, v2, v4
	v_add_f32_e32 v3, v3, v236
	v_mul_f32_e32 v4, v155, v187
	s_waitcnt vmcnt(13)
	v_fma_f32 v5, v152, v211, -v5
	v_fmac_f32_e32 v238, v153, v211
	v_add_f32_e32 v2, v2, v6
	v_add_f32_e32 v3, v3, v237
	v_mul_f32_e32 v6, v157, v188
	s_waitcnt vmcnt(12)
	v_fma_f32 v4, v154, v212, -v4
	v_fmac_f32_e32 v239, v155, v212
	v_add_f32_e32 v2, v2, v5
	v_add_f32_e32 v3, v3, v238
	v_mul_f32_e32 v5, v159, v189
	s_waitcnt vmcnt(11)
	v_fma_f32 v6, v156, v213, -v6
	v_fmac_f32_e32 v240, v157, v213
	v_add_f32_e32 v2, v2, v4
	v_add_f32_e32 v3, v3, v239
	v_mul_f32_e32 v4, v161, v190
	s_waitcnt vmcnt(10)
	v_fma_f32 v5, v158, v214, -v5
	v_fmac_f32_e32 v241, v159, v214
	v_add_f32_e32 v2, v2, v6
	v_add_f32_e32 v3, v3, v240
	v_mul_f32_e32 v6, v163, v191
	s_waitcnt vmcnt(9)
	v_fma_f32 v4, v160, v215, -v4
	v_fmac_f32_e32 v242, v161, v215
	v_add_f32_e32 v2, v2, v5
	v_add_f32_e32 v3, v3, v241
	v_mul_f32_e32 v5, v165, v192
	s_waitcnt vmcnt(8)
	v_fma_f32 v6, v162, v216, -v6
	v_fmac_f32_e32 v243, v163, v216
	v_add_f32_e32 v2, v2, v4
	v_add_f32_e32 v3, v3, v242
	v_mul_f32_e32 v4, v167, v193
	s_waitcnt vmcnt(7)
	v_fma_f32 v5, v164, v217, -v5
	v_fmac_f32_e32 v244, v165, v217
	v_add_f32_e32 v2, v2, v6
	v_add_f32_e32 v3, v3, v243
	v_mul_f32_e32 v6, v169, v194
	s_waitcnt vmcnt(6)
	v_fma_f32 v4, v166, v218, -v4
	v_fmac_f32_e32 v245, v167, v218
	v_add_f32_e32 v2, v2, v5
	v_add_f32_e32 v3, v3, v244
	v_mul_f32_e32 v5, v171, v195
	s_waitcnt vmcnt(5)
	v_fma_f32 v6, v168, v219, -v6
	v_fmac_f32_e32 v246, v169, v219
	v_add_f32_e32 v2, v2, v4
	v_add_f32_e32 v3, v3, v245
	v_mul_f32_e32 v4, v173, v196
	s_waitcnt vmcnt(4)
	v_fma_f32 v5, v170, v220, -v5
	v_mul_f32_e32 v248, v172, v196
	v_add_f32_e32 v2, v2, v6
	v_fmac_f32_e32 v247, v171, v220
	v_add_f32_e32 v3, v3, v246
	s_waitcnt lgkmcnt(0)
	v_mul_f32_e32 v6, v11, v197
	s_waitcnt vmcnt(3)
	v_fma_f32 v4, v172, v221, -v4
	v_add_f32_e32 v2, v2, v5
	v_mul_f32_e32 v249, v10, v197
	v_fmac_f32_e32 v248, v173, v221
	v_add_f32_e32 v3, v3, v247
	s_waitcnt vmcnt(2)
	v_fma_f32 v5, v10, v222, -v6
	v_add_f32_e32 v2, v2, v4
	v_fmac_f32_e32 v249, v11, v222
	v_add_f32_e32 v3, v3, v248
	v_add_f32_e32 v2, v2, v5
	;; [unrolled: 1-line block ×3, first 2 shown]
	s_waitcnt vmcnt(1)
	v_sub_f32_e32 v2, v223, v2
	s_waitcnt vmcnt(0)
	v_sub_f32_e32 v3, v224, v3
	buffer_store_dword v2, off, s[0:3], 0 offset:272
	buffer_store_dword v3, off, s[0:3], 0 offset:276
	v_cmpx_lt_u32_e32 33, v0
	s_cbranch_execz .LBB59_307
; %bb.306:
	s_clause 0x1
	buffer_load_dword v2, off, s[0:3], 0 offset:264
	buffer_load_dword v3, off, s[0:3], 0 offset:268
	buffer_store_dword v1, off, s[0:3], 0 offset:264
	buffer_store_dword v1, off, s[0:3], 0 offset:268
	s_waitcnt vmcnt(0)
	ds_write_b64 v133, v[2:3]
.LBB59_307:
	s_or_b32 exec_lo, exec_lo, s4
	s_waitcnt lgkmcnt(0)
	s_waitcnt_vscnt null, 0x0
	s_barrier
	buffer_gl0_inv
	s_clause 0x35
	buffer_load_dword v10, off, s[0:3], 0 offset:276
	buffer_load_dword v11, off, s[0:3], 0 offset:284
	;; [unrolled: 1-line block ×54, first 2 shown]
	ds_read_b128 v[2:5], v1 offset:752
	ds_read_b128 v[6:9], v1 offset:768
	;; [unrolled: 1-line block ×13, first 2 shown]
	s_mov_b32 s4, exec_lo
	s_waitcnt vmcnt(53) lgkmcnt(12)
	v_mul_f32_e32 v1, v2, v10
	v_mul_f32_e32 v10, v3, v10
	s_waitcnt vmcnt(52)
	v_mul_f32_e32 v229, v4, v11
	v_mul_f32_e32 v11, v5, v11
	s_waitcnt vmcnt(51) lgkmcnt(11)
	v_mul_f32_e32 v230, v6, v12
	s_waitcnt vmcnt(50)
	v_mul_f32_e32 v231, v8, v178
	s_waitcnt vmcnt(49) lgkmcnt(10)
	v_mul_f32_e32 v232, v134, v179
	s_waitcnt vmcnt(48)
	v_mul_f32_e32 v233, v136, v180
	s_waitcnt vmcnt(47) lgkmcnt(9)
	v_mul_f32_e32 v234, v138, v181
	s_waitcnt vmcnt(46)
	v_mul_f32_e32 v235, v140, v182
	s_waitcnt vmcnt(45) lgkmcnt(8)
	v_mul_f32_e32 v236, v142, v183
	s_waitcnt vmcnt(44)
	v_mul_f32_e32 v237, v144, v184
	s_waitcnt vmcnt(43) lgkmcnt(7)
	v_mul_f32_e32 v238, v146, v185
	s_waitcnt vmcnt(42)
	v_mul_f32_e32 v239, v148, v186
	s_waitcnt vmcnt(41) lgkmcnt(6)
	v_mul_f32_e32 v240, v150, v187
	s_waitcnt vmcnt(40)
	v_mul_f32_e32 v241, v152, v188
	s_waitcnt vmcnt(39) lgkmcnt(5)
	v_mul_f32_e32 v242, v154, v189
	s_waitcnt vmcnt(38)
	v_mul_f32_e32 v243, v156, v190
	s_waitcnt vmcnt(37) lgkmcnt(4)
	v_mul_f32_e32 v244, v158, v191
	s_waitcnt vmcnt(36)
	v_mul_f32_e32 v245, v160, v192
	s_waitcnt vmcnt(35) lgkmcnt(3)
	v_mul_f32_e32 v246, v162, v193
	s_waitcnt vmcnt(34)
	v_mul_f32_e32 v247, v164, v194
	s_waitcnt vmcnt(33) lgkmcnt(2)
	v_mul_f32_e32 v248, v166, v195
	s_waitcnt vmcnt(32)
	v_mul_f32_e32 v249, v168, v196
	s_waitcnt vmcnt(31) lgkmcnt(1)
	v_mul_f32_e32 v250, v170, v197
	s_waitcnt vmcnt(30)
	v_mul_f32_e32 v251, v172, v198
	s_waitcnt vmcnt(27)
	v_fma_f32 v2, v2, v201, -v10
	v_fmac_f32_e32 v1, v3, v201
	v_mul_f32_e32 v3, v7, v12
	s_waitcnt vmcnt(26)
	v_fma_f32 v4, v4, v202, -v11
	v_fmac_f32_e32 v229, v5, v202
	v_add_f32_e32 v2, 0, v2
	v_add_f32_e32 v1, 0, v1
	v_mul_f32_e32 v5, v9, v178
	s_waitcnt vmcnt(25)
	v_fma_f32 v3, v6, v203, -v3
	v_fmac_f32_e32 v230, v7, v203
	v_add_f32_e32 v2, v2, v4
	v_add_f32_e32 v1, v1, v229
	;; [unrolled: 6-line block ×22, first 2 shown]
	s_waitcnt lgkmcnt(0)
	v_mul_f32_e32 v5, v175, v199
	s_waitcnt vmcnt(4)
	v_fma_f32 v3, v172, v224, -v3
	v_mul_f32_e32 v252, v174, v199
	v_add_f32_e32 v2, v2, v4
	v_fmac_f32_e32 v251, v173, v224
	v_add_f32_e32 v1, v1, v250
	v_mul_f32_e32 v4, v177, v200
	s_waitcnt vmcnt(3)
	v_fma_f32 v5, v174, v225, -v5
	v_add_f32_e32 v2, v2, v3
	v_mul_f32_e32 v253, v176, v200
	v_fmac_f32_e32 v252, v175, v225
	v_add_f32_e32 v1, v1, v251
	s_waitcnt vmcnt(2)
	v_fma_f32 v3, v176, v226, -v4
	v_add_f32_e32 v2, v2, v5
	v_fmac_f32_e32 v253, v177, v226
	v_add_f32_e32 v1, v1, v252
	v_add_f32_e32 v2, v2, v3
	;; [unrolled: 1-line block ×3, first 2 shown]
	s_waitcnt vmcnt(1)
	v_sub_f32_e32 v2, v227, v2
	s_waitcnt vmcnt(0)
	v_sub_f32_e32 v1, v228, v1
	buffer_store_dword v2, off, s[0:3], 0 offset:264
	buffer_store_dword v1, off, s[0:3], 0 offset:268
	v_cmpx_lt_u32_e32 32, v0
	s_cbranch_execz .LBB59_309
; %bb.308:
	s_clause 0x1
	buffer_load_dword v1, off, s[0:3], 0 offset:256
	buffer_load_dword v2, off, s[0:3], 0 offset:260
	v_mov_b32_e32 v3, 0
	buffer_store_dword v3, off, s[0:3], 0 offset:256
	buffer_store_dword v3, off, s[0:3], 0 offset:260
	s_waitcnt vmcnt(0)
	ds_write_b64 v133, v[1:2]
.LBB59_309:
	s_or_b32 exec_lo, exec_lo, s4
	s_waitcnt lgkmcnt(0)
	s_waitcnt_vscnt null, 0x0
	s_barrier
	buffer_gl0_inv
	s_clause 0x37
	buffer_load_dword v147, off, s[0:3], 0 offset:268
	buffer_load_dword v151, off, s[0:3], 0 offset:276
	;; [unrolled: 1-line block ×56, first 2 shown]
	v_mov_b32_e32 v1, 0
	ds_read2_b64 v[135:138], v1 offset0:93 offset1:94
	ds_read2_b64 v[139:142], v1 offset0:95 offset1:96
	;; [unrolled: 1-line block ×3, first 2 shown]
	s_mov_b32 s4, exec_lo
	s_waitcnt vmcnt(55) lgkmcnt(2)
	v_mul_f32_e32 v194, v135, v147
	v_mul_f32_e32 v195, v136, v147
	ds_read2_b64 v[147:150], v1 offset0:99 offset1:100
	s_waitcnt vmcnt(54)
	v_mul_f32_e32 v196, v137, v151
	v_mul_f32_e32 v151, v138, v151
	s_waitcnt vmcnt(51)
	v_fmac_f32_e32 v194, v136, v154
	v_fma_f32 v154, v135, v154, -v195
	s_waitcnt vmcnt(50) lgkmcnt(2)
	v_mul_f32_e32 v195, v139, v155
	v_fmac_f32_e32 v196, v138, v153
	v_fma_f32 v151, v137, v153, -v151
	s_waitcnt vmcnt(49)
	v_mul_f32_e32 v197, v141, v156
	v_mul_f32_e32 v153, v140, v155
	;; [unrolled: 1-line block ×3, first 2 shown]
	ds_read2_b64 v[135:138], v1 offset0:101 offset1:102
	v_fmac_f32_e32 v195, v140, v152
	s_waitcnt vmcnt(45)
	v_fmac_f32_e32 v197, v142, v160
	v_fma_f32 v152, v139, v152, -v153
	v_fma_f32 v155, v141, v160, -v155
	s_waitcnt vmcnt(44) lgkmcnt(2)
	v_mul_f32_e32 v160, v143, v161
	v_mul_f32_e32 v153, v144, v161
	ds_read2_b64 v[139:142], v1 offset0:103 offset1:104
	s_waitcnt vmcnt(43)
	v_mul_f32_e32 v161, v145, v162
	v_mul_f32_e32 v156, v146, v162
	v_add_f32_e32 v162, 0, v194
	v_fmac_f32_e32 v160, v144, v159
	v_fma_f32 v159, v143, v159, -v153
	v_add_f32_e32 v143, 0, v154
	s_waitcnt vmcnt(42) lgkmcnt(2)
	v_mul_f32_e32 v194, v147, v163
	v_add_f32_e32 v144, v162, v196
	v_mul_f32_e32 v153, v148, v163
	s_waitcnt vmcnt(41)
	v_mul_f32_e32 v196, v149, v164
	v_add_f32_e32 v143, v143, v151
	v_mul_f32_e32 v162, v150, v164
	s_waitcnt vmcnt(40) lgkmcnt(1)
	v_mul_f32_e32 v198, v135, v165
	v_fma_f32 v163, v145, v158, -v156
	v_fmac_f32_e32 v194, v148, v157
	v_fma_f32 v164, v147, v157, -v153
	v_add_f32_e32 v147, v144, v195
	v_add_f32_e32 v148, v143, v152
	v_mul_f32_e32 v156, v136, v165
	s_waitcnt vmcnt(37)
	v_fmac_f32_e32 v198, v136, v168
	s_waitcnt vmcnt(36)
	v_fmac_f32_e32 v196, v150, v169
	v_add_f32_e32 v136, v147, v197
	v_fma_f32 v165, v149, v169, -v162
	v_fma_f32 v168, v135, v168, -v156
	v_add_f32_e32 v135, v148, v155
	s_waitcnt vmcnt(35)
	v_mul_f32_e32 v169, v137, v170
	v_add_f32_e32 v136, v136, v160
	v_mul_f32_e32 v160, v138, v170
	s_waitcnt vmcnt(34) lgkmcnt(0)
	v_mul_f32_e32 v170, v139, v171
	v_add_f32_e32 v135, v135, v159
	v_mul_f32_e32 v159, v140, v171
	v_fmac_f32_e32 v161, v146, v158
	s_waitcnt vmcnt(33)
	v_mul_f32_e32 v195, v141, v172
	v_mul_f32_e32 v171, v142, v172
	v_fmac_f32_e32 v170, v140, v166
	v_fma_f32 v166, v139, v166, -v159
	v_add_f32_e32 v139, v135, v163
	v_add_f32_e32 v136, v136, v161
	s_waitcnt vmcnt(29)
	v_fmac_f32_e32 v195, v142, v176
	v_fma_f32 v171, v141, v176, -v171
	ds_read2_b64 v[143:146], v1 offset0:105 offset1:106
	ds_read2_b64 v[151:154], v1 offset0:107 offset1:108
	v_add_f32_e32 v176, v139, v164
	v_add_f32_e32 v172, v136, v194
	v_fmac_f32_e32 v169, v138, v167
	v_fma_f32 v167, v137, v167, -v160
	ds_read2_b64 v[147:150], v1 offset0:109 offset1:110
	ds_read2_b64 v[155:158], v1 offset0:111 offset1:112
	v_add_f32_e32 v165, v176, v165
	v_add_f32_e32 v172, v172, v196
	ds_read2_b64 v[135:138], v1 offset0:113 offset1:114
	ds_read2_b64 v[159:162], v1 offset0:115 offset1:116
	;; [unrolled: 1-line block ×3, first 2 shown]
	ds_read_b64 v[163:164], v1 offset:952
	v_add_f32_e32 v165, v165, v168
	v_add_f32_e32 v172, v172, v198
	;; [unrolled: 1-line block ×4, first 2 shown]
	s_waitcnt vmcnt(28) lgkmcnt(7)
	v_mul_f32_e32 v194, v143, v177
	v_mul_f32_e32 v177, v144, v177
	v_add_f32_e32 v165, v165, v166
	v_add_f32_e32 v166, v169, v170
	s_waitcnt vmcnt(27)
	v_mul_f32_e32 v176, v145, v178
	v_mul_f32_e32 v178, v146, v178
	v_fma_f32 v143, v143, v175, -v177
	v_add_f32_e32 v165, v165, v171
	v_fmac_f32_e32 v194, v144, v175
	v_add_f32_e32 v166, v166, v195
	s_waitcnt vmcnt(26) lgkmcnt(6)
	v_mul_f32_e32 v175, v152, v179
	v_fma_f32 v145, v145, v174, -v178
	v_add_f32_e32 v143, v165, v143
	v_mul_f32_e32 v196, v151, v179
	v_fmac_f32_e32 v176, v146, v174
	v_add_f32_e32 v165, v166, v194
	s_waitcnt vmcnt(25)
	v_mul_f32_e32 v171, v154, v180
	v_fma_f32 v151, v151, v173, -v175
	v_add_f32_e32 v143, v143, v145
	v_mul_f32_e32 v168, v153, v180
	v_fmac_f32_e32 v196, v152, v173
	v_add_f32_e32 v145, v165, v176
	s_waitcnt vmcnt(24) lgkmcnt(5)
	v_mul_f32_e32 v152, v148, v181
	s_waitcnt vmcnt(10)
	v_fma_f32 v153, v153, v187, -v171
	v_add_f32_e32 v143, v143, v151
	v_mul_f32_e32 v144, v147, v181
	v_fmac_f32_e32 v168, v154, v187
	v_add_f32_e32 v145, v145, v196
	v_mul_f32_e32 v151, v150, v182
	v_fma_f32 v147, v147, v186, -v152
	v_add_f32_e32 v143, v143, v153
	v_mul_f32_e32 v172, v149, v182
	v_fmac_f32_e32 v144, v148, v186
	v_add_f32_e32 v145, v145, v168
	s_waitcnt lgkmcnt(4)
	v_mul_f32_e32 v148, v156, v183
	v_fma_f32 v149, v149, v185, -v151
	v_add_f32_e32 v143, v143, v147
	v_mul_f32_e32 v167, v155, v183
	v_fmac_f32_e32 v172, v150, v185
	v_add_f32_e32 v144, v145, v144
	v_mul_f32_e32 v146, v157, v134
	v_mul_f32_e32 v134, v158, v134
	v_fma_f32 v145, v155, v184, -v148
	v_add_f32_e32 v143, v143, v149
	v_fmac_f32_e32 v167, v156, v184
	v_add_f32_e32 v144, v144, v172
	s_waitcnt lgkmcnt(3)
	v_mul_f32_e32 v174, v135, v11
	v_mul_f32_e32 v11, v136, v11
	s_waitcnt vmcnt(6)
	v_fma_f32 v134, v157, v191, -v134
	v_add_f32_e32 v143, v143, v145
	v_fmac_f32_e32 v146, v158, v191
	v_add_f32_e32 v144, v144, v167
	v_mul_f32_e32 v169, v137, v10
	v_mul_f32_e32 v10, v138, v10
	v_fma_f32 v11, v135, v190, -v11
	v_add_f32_e32 v134, v143, v134
	v_fmac_f32_e32 v174, v136, v190
	v_add_f32_e32 v135, v144, v146
	s_waitcnt lgkmcnt(2)
	v_mul_f32_e32 v170, v159, v9
	v_mul_f32_e32 v9, v160, v9
	v_fma_f32 v10, v137, v189, -v10
	v_add_f32_e32 v11, v134, v11
	v_fmac_f32_e32 v169, v138, v189
	v_add_f32_e32 v134, v135, v174
	v_mul_f32_e32 v177, v161, v7
	v_mul_f32_e32 v7, v162, v7
	v_fma_f32 v9, v159, v188, -v9
	v_add_f32_e32 v10, v11, v10
	v_fmac_f32_e32 v170, v160, v188
	v_add_f32_e32 v11, v134, v169
	s_waitcnt lgkmcnt(1)
	v_mul_f32_e32 v178, v139, v6
	v_mul_f32_e32 v6, v140, v6
	s_waitcnt vmcnt(2)
	v_fma_f32 v7, v161, v193, -v7
	v_add_f32_e32 v9, v10, v9
	v_fmac_f32_e32 v177, v162, v193
	v_add_f32_e32 v10, v11, v170
	v_mul_f32_e32 v179, v141, v2
	v_mul_f32_e32 v2, v142, v2
	v_fma_f32 v6, v139, v192, -v6
	v_add_f32_e32 v7, v9, v7
	v_fmac_f32_e32 v178, v140, v192
	v_add_f32_e32 v9, v10, v177
	s_waitcnt lgkmcnt(0)
	v_mul_f32_e32 v166, v163, v3
	v_mul_f32_e32 v3, v164, v3
	v_fma_f32 v2, v141, v12, -v2
	v_add_f32_e32 v6, v7, v6
	v_fmac_f32_e32 v179, v142, v12
	v_add_f32_e32 v7, v9, v178
	v_fma_f32 v3, v163, v8, -v3
	v_fmac_f32_e32 v166, v164, v8
	v_add_f32_e32 v2, v6, v2
	v_add_f32_e32 v6, v7, v179
	;; [unrolled: 1-line block ×4, first 2 shown]
	s_waitcnt vmcnt(1)
	v_sub_f32_e32 v2, v4, v2
	s_waitcnt vmcnt(0)
	v_sub_f32_e32 v3, v5, v3
	buffer_store_dword v2, off, s[0:3], 0 offset:256
	buffer_store_dword v3, off, s[0:3], 0 offset:260
	v_cmpx_lt_u32_e32 31, v0
	s_cbranch_execz .LBB59_311
; %bb.310:
	s_clause 0x1
	buffer_load_dword v2, off, s[0:3], 0 offset:248
	buffer_load_dword v3, off, s[0:3], 0 offset:252
	buffer_store_dword v1, off, s[0:3], 0 offset:248
	buffer_store_dword v1, off, s[0:3], 0 offset:252
	s_waitcnt vmcnt(0)
	ds_write_b64 v133, v[2:3]
.LBB59_311:
	s_or_b32 exec_lo, exec_lo, s4
	s_waitcnt lgkmcnt(0)
	s_waitcnt_vscnt null, 0x0
	s_barrier
	buffer_gl0_inv
	s_clause 0x39
	buffer_load_dword v153, off, s[0:3], 0 offset:260
	buffer_load_dword v154, off, s[0:3], 0 offset:268
	;; [unrolled: 1-line block ×58, first 2 shown]
	ds_read_b128 v[141:144], v1 offset:736
	ds_read_b128 v[145:148], v1 offset:752
	;; [unrolled: 1-line block ×3, first 2 shown]
	s_mov_b32 s4, exec_lo
	s_waitcnt vmcnt(57) lgkmcnt(2)
	v_mul_f32_e32 v193, v141, v153
	v_mul_f32_e32 v153, v142, v153
	s_waitcnt vmcnt(56)
	v_mul_f32_e32 v194, v143, v154
	v_mul_f32_e32 v154, v144, v154
	s_waitcnt vmcnt(53)
	v_fmac_f32_e32 v193, v142, v157
	v_fma_f32 v153, v141, v157, -v153
	v_fmac_f32_e32 v194, v144, v156
	v_fma_f32 v157, v143, v156, -v154
	ds_read_b128 v[141:144], v1 offset:784
	s_waitcnt vmcnt(52) lgkmcnt(2)
	v_mul_f32_e32 v195, v145, v158
	v_mul_f32_e32 v154, v146, v158
	s_waitcnt vmcnt(51)
	v_mul_f32_e32 v158, v147, v159
	v_mul_f32_e32 v156, v148, v159
	s_waitcnt vmcnt(50) lgkmcnt(1)
	v_mul_f32_e32 v196, v149, v160
	v_mul_f32_e32 v159, v150, v160
	s_waitcnt vmcnt(49)
	v_mul_f32_e32 v197, v151, v161
	v_mul_f32_e32 v160, v152, v161
	v_fmac_f32_e32 v195, v146, v155
	v_fma_f32 v161, v145, v155, -v154
	s_waitcnt vmcnt(45)
	v_fmac_f32_e32 v158, v148, v165
	v_fma_f32 v165, v147, v165, -v156
	ds_read_b128 v[145:148], v1 offset:800
	v_fmac_f32_e32 v196, v150, v164
	v_fma_f32 v164, v149, v164, -v159
	v_fmac_f32_e32 v197, v152, v163
	v_fma_f32 v198, v151, v163, -v160
	ds_read_b128 v[149:152], v1 offset:816
	v_add_f32_e32 v159, 0, v153
	s_waitcnt vmcnt(44) lgkmcnt(2)
	v_mul_f32_e32 v199, v141, v166
	v_mul_f32_e32 v154, v142, v166
	s_waitcnt vmcnt(43)
	v_mul_f32_e32 v166, v143, v167
	v_mul_f32_e32 v155, v144, v167
	v_add_f32_e32 v160, 0, v193
	v_add_f32_e32 v157, v159, v157
	v_fmac_f32_e32 v199, v142, v162
	v_fma_f32 v167, v141, v162, -v154
	s_waitcnt vmcnt(39)
	v_fmac_f32_e32 v166, v144, v171
	v_fma_f32 v171, v143, v171, -v155
	ds_read_b128 v[141:144], v1 offset:832
	ds_read_b128 v[153:156], v1 offset:848
	v_add_f32_e32 v160, v160, v194
	v_add_f32_e32 v157, v157, v161
	s_waitcnt vmcnt(38) lgkmcnt(3)
	v_mul_f32_e32 v193, v145, v172
	v_mul_f32_e32 v159, v146, v172
	s_waitcnt vmcnt(37)
	v_mul_f32_e32 v172, v147, v173
	v_mul_f32_e32 v162, v148, v173
	v_add_f32_e32 v160, v160, v195
	s_waitcnt vmcnt(36) lgkmcnt(2)
	v_mul_f32_e32 v173, v149, v174
	v_mul_f32_e32 v161, v150, v174
	v_fmac_f32_e32 v172, v148, v169
	v_fma_f32 v169, v147, v169, -v162
	v_add_f32_e32 v162, v157, v165
	v_add_f32_e32 v163, v160, v158
	s_waitcnt vmcnt(35)
	v_mul_f32_e32 v165, v152, v175
	v_mul_f32_e32 v194, v151, v175
	v_fmac_f32_e32 v173, v150, v168
	v_fma_f32 v174, v149, v168, -v161
	v_add_f32_e32 v168, v162, v164
	s_waitcnt vmcnt(31)
	v_fma_f32 v175, v151, v178, -v165
	v_add_f32_e32 v165, v163, v196
	v_fmac_f32_e32 v194, v152, v178
	s_waitcnt vmcnt(30) lgkmcnt(1)
	v_mul_f32_e32 v178, v141, v179
	v_add_f32_e32 v168, v168, v198
	v_mul_f32_e32 v179, v142, v179
	v_add_f32_e32 v165, v165, v197
	v_fmac_f32_e32 v193, v146, v170
	v_fmac_f32_e32 v178, v142, v177
	v_add_f32_e32 v142, v168, v167
	v_fma_f32 v170, v145, v170, -v159
	v_add_f32_e32 v165, v165, v199
	v_fma_f32 v177, v141, v177, -v179
	ds_read_b128 v[145:148], v1 offset:864
	ds_read_b128 v[157:160], v1 offset:880
	v_add_f32_e32 v171, v142, v171
	s_waitcnt vmcnt(29)
	v_mul_f32_e32 v195, v143, v180
	v_add_f32_e32 v179, v165, v166
	v_mul_f32_e32 v180, v144, v180
	ds_read_b128 v[149:152], v1 offset:896
	ds_read_b128 v[161:164], v1 offset:912
	v_add_f32_e32 v170, v171, v170
	v_fmac_f32_e32 v195, v144, v176
	v_add_f32_e32 v179, v179, v193
	v_fma_f32 v176, v143, v176, -v180
	ds_read_b128 v[141:144], v1 offset:928
	ds_read_b128 v[165:168], v1 offset:944
	v_add_f32_e32 v169, v170, v169
	s_waitcnt vmcnt(28) lgkmcnt(6)
	v_mul_f32_e32 v1, v153, v181
	v_add_f32_e32 v172, v179, v172
	v_mul_f32_e32 v171, v154, v181
	s_waitcnt vmcnt(27)
	v_mul_f32_e32 v181, v156, v182
	v_add_f32_e32 v169, v169, v174
	v_fmac_f32_e32 v1, v154, v12
	v_add_f32_e32 v172, v172, v173
	v_fma_f32 v12, v153, v12, -v171
	v_mul_f32_e32 v180, v155, v182
	v_add_f32_e32 v169, v169, v175
	s_waitcnt vmcnt(26) lgkmcnt(5)
	v_mul_f32_e32 v170, v145, v139
	v_add_f32_e32 v172, v172, v194
	v_mul_f32_e32 v139, v146, v139
	s_waitcnt vmcnt(11)
	v_fma_f32 v155, v155, v186, -v181
	v_add_f32_e32 v169, v169, v177
	v_fmac_f32_e32 v180, v156, v186
	v_add_f32_e32 v172, v172, v178
	v_mul_f32_e32 v179, v147, v138
	v_mul_f32_e32 v138, v148, v138
	v_add_f32_e32 v154, v169, v176
	v_fma_f32 v139, v145, v185, -v139
	v_add_f32_e32 v169, v172, v195
	v_fmac_f32_e32 v170, v146, v185
	s_waitcnt lgkmcnt(4)
	v_mul_f32_e32 v182, v157, v137
	v_add_f32_e32 v12, v154, v12
	v_mul_f32_e32 v137, v158, v137
	v_add_f32_e32 v1, v169, v1
	v_fma_f32 v138, v147, v184, -v138
	v_fmac_f32_e32 v179, v148, v184
	v_add_f32_e32 v12, v12, v155
	v_mul_f32_e32 v174, v159, v136
	v_add_f32_e32 v1, v1, v180
	v_mul_f32_e32 v136, v160, v136
	v_fma_f32 v137, v157, v183, -v137
	v_add_f32_e32 v12, v12, v139
	v_fmac_f32_e32 v182, v158, v183
	v_add_f32_e32 v1, v1, v170
	s_waitcnt lgkmcnt(3)
	v_mul_f32_e32 v173, v149, v134
	v_mul_f32_e32 v134, v150, v134
	v_add_f32_e32 v12, v12, v138
	s_waitcnt vmcnt(7)
	v_fma_f32 v136, v159, v190, -v136
	v_add_f32_e32 v1, v1, v179
	v_fmac_f32_e32 v174, v160, v190
	v_mul_f32_e32 v193, v151, v11
	v_add_f32_e32 v12, v12, v137
	v_mul_f32_e32 v11, v152, v11
	v_add_f32_e32 v1, v1, v182
	v_fma_f32 v134, v149, v189, -v134
	v_fmac_f32_e32 v173, v150, v189
	v_add_f32_e32 v12, v12, v136
	s_waitcnt lgkmcnt(2)
	v_mul_f32_e32 v175, v161, v10
	v_add_f32_e32 v1, v1, v174
	v_mul_f32_e32 v10, v162, v10
	v_fma_f32 v11, v151, v188, -v11
	v_add_f32_e32 v12, v12, v134
	v_fmac_f32_e32 v193, v152, v188
	v_add_f32_e32 v1, v1, v173
	v_mul_f32_e32 v194, v163, v8
	v_mul_f32_e32 v8, v164, v8
	v_fma_f32 v10, v161, v187, -v10
	v_add_f32_e32 v11, v12, v11
	v_fmac_f32_e32 v175, v162, v187
	v_add_f32_e32 v1, v1, v193
	s_waitcnt lgkmcnt(1)
	v_mul_f32_e32 v196, v141, v7
	v_mul_f32_e32 v7, v142, v7
	s_waitcnt vmcnt(3)
	v_fma_f32 v8, v163, v192, -v8
	v_add_f32_e32 v10, v11, v10
	v_fmac_f32_e32 v194, v164, v192
	v_add_f32_e32 v1, v1, v175
	v_mul_f32_e32 v177, v143, v6
	v_mul_f32_e32 v6, v144, v6
	v_fma_f32 v7, v141, v191, -v7
	v_add_f32_e32 v8, v10, v8
	v_fmac_f32_e32 v196, v142, v191
	v_add_f32_e32 v1, v1, v194
	s_waitcnt lgkmcnt(0)
	v_mul_f32_e32 v178, v165, v5
	v_mul_f32_e32 v5, v166, v5
	v_fma_f32 v6, v143, v140, -v6
	v_add_f32_e32 v7, v8, v7
	v_fmac_f32_e32 v177, v144, v140
	v_add_f32_e32 v1, v1, v196
	v_mul_f32_e32 v153, v167, v2
	v_mul_f32_e32 v2, v168, v2
	v_fma_f32 v5, v165, v135, -v5
	v_add_f32_e32 v6, v7, v6
	v_fmac_f32_e32 v178, v166, v135
	v_add_f32_e32 v1, v1, v177
	s_waitcnt vmcnt(2)
	v_fma_f32 v2, v167, v9, -v2
	v_fmac_f32_e32 v153, v168, v9
	v_add_f32_e32 v5, v6, v5
	v_add_f32_e32 v1, v1, v178
	;; [unrolled: 1-line block ×4, first 2 shown]
	s_waitcnt vmcnt(1)
	v_sub_f32_e32 v2, v3, v2
	s_waitcnt vmcnt(0)
	v_sub_f32_e32 v1, v4, v1
	buffer_store_dword v2, off, s[0:3], 0 offset:248
	buffer_store_dword v1, off, s[0:3], 0 offset:252
	v_cmpx_lt_u32_e32 30, v0
	s_cbranch_execz .LBB59_313
; %bb.312:
	s_clause 0x1
	buffer_load_dword v1, off, s[0:3], 0 offset:240
	buffer_load_dword v2, off, s[0:3], 0 offset:244
	v_mov_b32_e32 v3, 0
	buffer_store_dword v3, off, s[0:3], 0 offset:240
	buffer_store_dword v3, off, s[0:3], 0 offset:244
	s_waitcnt vmcnt(0)
	ds_write_b64 v133, v[1:2]
.LBB59_313:
	s_or_b32 exec_lo, exec_lo, s4
	s_waitcnt lgkmcnt(0)
	s_waitcnt_vscnt null, 0x0
	s_barrier
	buffer_gl0_inv
	s_clause 0x3b
	buffer_load_dword v165, off, s[0:3], 0 offset:252
	buffer_load_dword v166, off, s[0:3], 0 offset:260
	;; [unrolled: 1-line block ×60, first 2 shown]
	v_mov_b32_e32 v1, 0
	ds_read2_b64 v[153:156], v1 offset0:91 offset1:92
	ds_read2_b64 v[157:160], v1 offset0:93 offset1:94
	;; [unrolled: 1-line block ×3, first 2 shown]
	s_mov_b32 s4, exec_lo
	s_waitcnt vmcnt(59) lgkmcnt(2)
	v_mul_f32_e32 v195, v153, v165
	s_waitcnt vmcnt(58)
	v_mul_f32_e32 v196, v155, v166
	v_mul_f32_e32 v165, v154, v165
	;; [unrolled: 1-line block ×3, first 2 shown]
	s_waitcnt vmcnt(55)
	v_fmac_f32_e32 v195, v154, v168
	v_fmac_f32_e32 v196, v156, v167
	v_fma_f32 v165, v153, v168, -v165
	v_fma_f32 v166, v155, v167, -v166
	ds_read2_b64 v[153:156], v1 offset0:97 offset1:98
	s_waitcnt vmcnt(54) lgkmcnt(2)
	v_mul_f32_e32 v197, v157, v149
	v_mul_f32_e32 v149, v158, v149
	s_waitcnt vmcnt(53)
	v_mul_f32_e32 v198, v159, v148
	v_mul_f32_e32 v148, v160, v148
	s_waitcnt vmcnt(47) lgkmcnt(1)
	v_mul_f32_e32 v167, v164, v172
	v_fmac_f32_e32 v197, v158, v144
	v_fma_f32 v144, v157, v144, -v149
	v_fmac_f32_e32 v198, v160, v171
	v_fma_f32 v148, v159, v171, -v148
	ds_read2_b64 v[157:160], v1 offset0:99 offset1:100
	v_mul_f32_e32 v199, v163, v172
	v_mul_f32_e32 v149, v161, v146
	;; [unrolled: 1-line block ×3, first 2 shown]
	v_fma_f32 v200, v163, v169, -v167
	v_fmac_f32_e32 v199, v164, v169
	v_add_f32_e32 v169, 0, v195
	v_fmac_f32_e32 v149, v162, v170
	v_fma_f32 v146, v161, v170, -v146
	s_waitcnt vmcnt(46) lgkmcnt(1)
	v_mul_f32_e32 v201, v153, v173
	v_mul_f32_e32 v167, v154, v173
	ds_read2_b64 v[161:164], v1 offset0:101 offset1:102
	v_add_f32_e32 v169, v169, v196
	s_waitcnt vmcnt(45)
	v_mul_f32_e32 v202, v155, v174
	v_fmac_f32_e32 v201, v154, v151
	v_add_f32_e32 v154, 0, v165
	v_mul_f32_e32 v168, v156, v174
	v_add_f32_e32 v169, v169, v197
	s_waitcnt vmcnt(41)
	v_fmac_f32_e32 v202, v156, v177
	v_fma_f32 v151, v153, v151, -v167
	v_add_f32_e32 v170, v154, v166
	v_fma_f32 v177, v155, v177, -v168
	v_add_f32_e32 v169, v169, v198
	ds_read2_b64 v[153:156], v1 offset0:103 offset1:104
	ds_read2_b64 v[165:168], v1 offset0:105 offset1:106
	s_waitcnt vmcnt(40) lgkmcnt(3)
	v_mul_f32_e32 v195, v157, v178
	v_add_f32_e32 v144, v170, v144
	v_mul_f32_e32 v170, v158, v178
	v_add_f32_e32 v149, v169, v149
	s_waitcnt vmcnt(39)
	v_mul_f32_e32 v171, v160, v179
	v_mul_f32_e32 v196, v159, v179
	v_add_f32_e32 v144, v144, v148
	s_waitcnt vmcnt(37) lgkmcnt(2)
	v_mul_f32_e32 v148, v163, v145
	v_mul_f32_e32 v145, v164, v145
	v_fma_f32 v178, v157, v176, -v170
	v_fmac_f32_e32 v195, v158, v176
	v_add_f32_e32 v144, v144, v146
	v_add_f32_e32 v146, v149, v199
	s_waitcnt vmcnt(33)
	v_fma_f32 v149, v163, v183, -v145
	v_mul_f32_e32 v197, v161, v180
	v_mul_f32_e32 v173, v162, v180
	v_add_f32_e32 v144, v144, v200
	v_add_f32_e32 v145, v146, v201
	v_fma_f32 v198, v159, v175, -v171
	s_waitcnt vmcnt(32) lgkmcnt(1)
	v_mul_f32_e32 v146, v153, v184
	v_mul_f32_e32 v179, v154, v184
	v_add_f32_e32 v144, v144, v151
	v_add_f32_e32 v145, v145, v202
	v_fmac_f32_e32 v196, v160, v175
	v_fmac_f32_e32 v148, v164, v183
	;; [unrolled: 1-line block ×3, first 2 shown]
	v_add_f32_e32 v144, v144, v177
	v_add_f32_e32 v183, v145, v195
	v_fma_f32 v141, v161, v141, -v173
	ds_read2_b64 v[157:160], v1 offset0:107 offset1:108
	ds_read2_b64 v[169:172], v1 offset0:109 offset1:110
	s_waitcnt vmcnt(31)
	v_mul_f32_e32 v151, v155, v185
	v_add_f32_e32 v184, v144, v178
	v_add_f32_e32 v183, v183, v196
	v_mul_f32_e32 v180, v156, v185
	v_fmac_f32_e32 v146, v154, v182
	v_fma_f32 v182, v153, v182, -v179
	v_add_f32_e32 v184, v184, v198
	v_add_f32_e32 v183, v183, v197
	v_fmac_f32_e32 v151, v156, v181
	v_fma_f32 v181, v155, v181, -v180
	s_waitcnt vmcnt(30) lgkmcnt(2)
	v_mul_f32_e32 v185, v165, v139
	v_add_f32_e32 v141, v184, v141
	v_add_f32_e32 v148, v183, v148
	v_mul_f32_e32 v139, v166, v139
	s_waitcnt vmcnt(29)
	v_mul_f32_e32 v195, v167, v140
	v_mul_f32_e32 v140, v168, v140
	v_add_f32_e32 v141, v141, v149
	v_add_f32_e32 v146, v148, v146
	v_fmac_f32_e32 v185, v166, v135
	v_fma_f32 v135, v165, v135, -v139
	s_waitcnt vmcnt(28) lgkmcnt(1)
	v_mul_f32_e32 v196, v157, v136
	v_add_f32_e32 v141, v141, v182
	v_add_f32_e32 v146, v146, v151
	v_mul_f32_e32 v136, v158, v136
	s_waitcnt vmcnt(20)
	v_fma_f32 v140, v167, v189, -v140
	ds_read2_b64 v[161:164], v1 offset0:111 offset1:112
	ds_read2_b64 v[173:176], v1 offset0:113 offset1:114
	v_add_f32_e32 v141, v141, v181
	v_fmac_f32_e32 v195, v168, v189
	v_mul_f32_e32 v184, v159, v10
	v_mul_f32_e32 v10, v160, v10
	v_fma_f32 v136, v157, v188, -v136
	v_add_f32_e32 v135, v141, v135
	v_add_f32_e32 v141, v146, v185
	v_fmac_f32_e32 v196, v158, v188
	s_waitcnt lgkmcnt(2)
	v_mul_f32_e32 v139, v169, v8
	v_mul_f32_e32 v8, v170, v8
	v_add_f32_e32 v135, v135, v140
	v_add_f32_e32 v140, v141, v195
	v_fma_f32 v10, v159, v187, -v10
	v_fmac_f32_e32 v184, v160, v187
	v_mul_f32_e32 v165, v171, v6
	v_add_f32_e32 v135, v135, v136
	v_add_f32_e32 v136, v140, v196
	v_mul_f32_e32 v6, v172, v6
	v_fma_f32 v8, v169, v186, -v8
	v_fmac_f32_e32 v139, v170, v186
	v_add_f32_e32 v10, v135, v10
	v_add_f32_e32 v135, v136, v184
	s_waitcnt lgkmcnt(1)
	v_mul_f32_e32 v149, v161, v5
	v_mul_f32_e32 v5, v162, v5
	s_waitcnt vmcnt(8)
	v_fma_f32 v6, v171, v194, -v6
	v_add_f32_e32 v8, v10, v8
	v_fmac_f32_e32 v165, v172, v194
	v_add_f32_e32 v10, v135, v139
	ds_read2_b64 v[153:156], v1 offset0:115 offset1:116
	ds_read2_b64 v[177:180], v1 offset0:117 offset1:118
	ds_read_b64 v[144:145], v1 offset:952
	v_mul_f32_e32 v135, v164, v190
	v_fma_f32 v5, v161, v193, -v5
	v_add_f32_e32 v6, v8, v6
	v_mul_f32_e32 v166, v163, v190
	v_fmac_f32_e32 v149, v162, v193
	v_add_f32_e32 v8, v10, v165
	s_waitcnt lgkmcnt(3)
	v_mul_f32_e32 v10, v174, v191
	v_fma_f32 v135, v163, v192, -v135
	v_add_f32_e32 v5, v6, v5
	v_mul_f32_e32 v167, v173, v191
	v_fmac_f32_e32 v166, v164, v192
	v_add_f32_e32 v6, v8, v149
	v_mul_f32_e32 v8, v176, v147
	v_fma_f32 v10, v173, v152, -v10
	v_add_f32_e32 v5, v5, v135
	v_mul_f32_e32 v148, v175, v147
	v_fmac_f32_e32 v167, v174, v152
	v_add_f32_e32 v6, v6, v166
	s_waitcnt lgkmcnt(2)
	v_mul_f32_e32 v135, v154, v142
	s_waitcnt vmcnt(4)
	v_fma_f32 v8, v175, v150, -v8
	v_add_f32_e32 v5, v5, v10
	v_mul_f32_e32 v168, v153, v142
	v_fmac_f32_e32 v148, v176, v150
	v_add_f32_e32 v6, v6, v167
	v_mul_f32_e32 v10, v156, v138
	v_fma_f32 v135, v153, v143, -v135
	v_add_f32_e32 v5, v5, v8
	v_mul_f32_e32 v182, v155, v138
	v_fmac_f32_e32 v168, v154, v143
	v_add_f32_e32 v6, v6, v148
	s_waitcnt lgkmcnt(1)
	v_mul_f32_e32 v8, v178, v134
	v_fma_f32 v10, v155, v137, -v10
	v_add_f32_e32 v5, v5, v135
	v_mul_f32_e32 v151, v177, v134
	v_fmac_f32_e32 v182, v156, v137
	v_add_f32_e32 v6, v6, v168
	v_mul_f32_e32 v181, v179, v9
	v_mul_f32_e32 v9, v180, v9
	v_fma_f32 v8, v177, v12, -v8
	v_add_f32_e32 v5, v5, v10
	v_fmac_f32_e32 v151, v178, v12
	v_add_f32_e32 v6, v6, v182
	s_waitcnt lgkmcnt(0)
	v_mul_f32_e32 v146, v144, v4
	v_mul_f32_e32 v4, v145, v4
	s_waitcnt vmcnt(2)
	v_fma_f32 v9, v179, v11, -v9
	v_add_f32_e32 v5, v5, v8
	v_fmac_f32_e32 v181, v180, v11
	v_add_f32_e32 v6, v6, v151
	v_fma_f32 v4, v144, v7, -v4
	v_fmac_f32_e32 v146, v145, v7
	v_add_f32_e32 v5, v5, v9
	v_add_f32_e32 v6, v6, v181
	;; [unrolled: 1-line block ×4, first 2 shown]
	s_waitcnt vmcnt(1)
	v_sub_f32_e32 v2, v2, v4
	s_waitcnt vmcnt(0)
	v_sub_f32_e32 v3, v3, v5
	buffer_store_dword v2, off, s[0:3], 0 offset:240
	buffer_store_dword v3, off, s[0:3], 0 offset:244
	v_cmpx_lt_u32_e32 29, v0
	s_cbranch_execz .LBB59_315
; %bb.314:
	s_clause 0x1
	buffer_load_dword v2, off, s[0:3], 0 offset:232
	buffer_load_dword v3, off, s[0:3], 0 offset:236
	buffer_store_dword v1, off, s[0:3], 0 offset:232
	buffer_store_dword v1, off, s[0:3], 0 offset:236
	s_waitcnt vmcnt(0)
	ds_write_b64 v133, v[2:3]
.LBB59_315:
	s_or_b32 exec_lo, exec_lo, s4
	s_waitcnt lgkmcnt(0)
	s_waitcnt_vscnt null, 0x0
	s_barrier
	buffer_gl0_inv
	s_clause 0x3d
	buffer_load_dword v163, off, s[0:3], 0 offset:244
	buffer_load_dword v164, off, s[0:3], 0 offset:252
	;; [unrolled: 1-line block ×62, first 2 shown]
	ds_read_b128 v[155:158], v1 offset:720
	ds_read_b128 v[159:162], v1 offset:736
	s_mov_b32 s4, exec_lo
	s_waitcnt vmcnt(61) lgkmcnt(1)
	v_mul_f32_e32 v174, v155, v163
	s_waitcnt vmcnt(60)
	v_mul_f32_e32 v194, v157, v164
	v_mul_f32_e32 v163, v156, v163
	;; [unrolled: 1-line block ×3, first 2 shown]
	s_waitcnt vmcnt(57)
	v_fmac_f32_e32 v174, v156, v166
	v_fmac_f32_e32 v194, v158, v165
	v_fma_f32 v163, v155, v166, -v163
	v_fma_f32 v195, v157, v165, -v164
	ds_read_b128 v[155:158], v1 offset:752
	s_waitcnt vmcnt(56) lgkmcnt(1)
	v_mul_f32_e32 v196, v159, v167
	v_mul_f32_e32 v164, v160, v167
	s_waitcnt vmcnt(55)
	v_mul_f32_e32 v197, v161, v168
	v_mul_f32_e32 v165, v162, v168
	v_fmac_f32_e32 v196, v160, v152
	v_fma_f32 v152, v159, v152, -v164
	s_waitcnt vmcnt(51)
	v_fmac_f32_e32 v197, v162, v169
	v_fma_f32 v198, v161, v169, -v165
	ds_read_b128 v[159:162], v1 offset:768
	s_waitcnt vmcnt(49) lgkmcnt(1)
	v_mul_f32_e32 v200, v157, v147
	v_mul_f32_e32 v147, v158, v147
	;; [unrolled: 1-line block ×4, first 2 shown]
	v_fmac_f32_e32 v200, v158, v142
	v_fma_f32 v142, v157, v142, -v147
	v_fmac_f32_e32 v199, v156, v143
	v_fma_f32 v143, v155, v143, -v148
	ds_read_b128 v[155:158], v1 offset:784
	s_waitcnt vmcnt(48) lgkmcnt(1)
	v_mul_f32_e32 v201, v159, v11
	v_mul_f32_e32 v11, v160, v11
	s_waitcnt vmcnt(47)
	v_mul_f32_e32 v202, v161, v170
	v_mul_f32_e32 v147, v162, v170
	v_add_f32_e32 v148, 0, v174
	v_fmac_f32_e32 v201, v160, v7
	v_fma_f32 v7, v159, v7, -v11
	s_waitcnt vmcnt(43)
	v_fmac_f32_e32 v202, v162, v171
	v_fma_f32 v11, v161, v171, -v147
	ds_read_b128 v[159:162], v1 offset:800
	v_add_f32_e32 v147, 0, v163
	v_add_f32_e32 v148, v148, v194
	ds_read_b128 v[163:166], v1 offset:816
	ds_read_b128 v[167:170], v1 offset:832
	v_add_f32_e32 v147, v147, v195
	v_add_f32_e32 v148, v148, v196
	s_waitcnt vmcnt(42) lgkmcnt(3)
	v_mul_f32_e32 v195, v155, v154
	v_add_f32_e32 v147, v147, v152
	v_add_f32_e32 v148, v148, v197
	v_mul_f32_e32 v154, v156, v154
	s_waitcnt vmcnt(41)
	v_mul_f32_e32 v194, v157, v146
	v_mul_f32_e32 v146, v158, v146
	v_add_f32_e32 v147, v147, v198
	v_fmac_f32_e32 v195, v156, v149
	v_fma_f32 v152, v155, v149, -v154
	v_fmac_f32_e32 v194, v158, v9
	s_waitcnt vmcnt(40) lgkmcnt(2)
	v_mul_f32_e32 v196, v159, v144
	v_mul_f32_e32 v144, v160, v144
	v_add_f32_e32 v143, v147, v143
	v_add_f32_e32 v147, v148, v199
	s_waitcnt vmcnt(39)
	v_mul_f32_e32 v197, v161, v150
	v_fmac_f32_e32 v196, v160, v8
	v_fma_f32 v144, v159, v8, -v144
	v_add_f32_e32 v8, v143, v142
	v_add_f32_e32 v142, v147, v200
	v_mul_f32_e32 v150, v162, v150
	s_waitcnt vmcnt(38) lgkmcnt(1)
	v_mul_f32_e32 v198, v163, v138
	v_mul_f32_e32 v138, v164, v138
	v_add_f32_e32 v7, v8, v7
	v_add_f32_e32 v8, v142, v201
	v_fma_f32 v9, v157, v9, -v146
	s_waitcnt vmcnt(32) lgkmcnt(0)
	v_mul_f32_e32 v142, v167, v136
	v_mul_f32_e32 v136, v168, v136
	v_add_f32_e32 v7, v7, v11
	v_add_f32_e32 v8, v8, v202
	v_mul_f32_e32 v11, v165, v139
	v_fmac_f32_e32 v197, v162, v173
	v_fma_f32 v143, v161, v173, -v150
	v_add_f32_e32 v7, v7, v152
	v_fma_f32 v150, v163, v172, -v138
	s_waitcnt vmcnt(31)
	v_mul_f32_e32 v162, v170, v137
	v_add_f32_e32 v163, v8, v195
	v_mul_f32_e32 v138, v166, v139
	v_fmac_f32_e32 v11, v166, v12
	v_fma_f32 v166, v167, v10, -v136
	v_add_f32_e32 v167, v7, v9
	v_mul_f32_e32 v152, v169, v137
	v_fmac_f32_e32 v142, v168, v10
	s_waitcnt vmcnt(27)
	v_fma_f32 v168, v169, v178, -v162
	v_add_f32_e32 v169, v163, v194
	v_add_f32_e32 v144, v167, v144
	ds_read_b128 v[146:149], v1 offset:848
	ds_read_b128 v[154:157], v1 offset:864
	v_fmac_f32_e32 v198, v164, v172
	v_fma_f32 v12, v165, v12, -v138
	v_add_f32_e32 v169, v169, v196
	v_add_f32_e32 v143, v144, v143
	ds_read_b128 v[158:161], v1 offset:880
	ds_read_b128 v[171:174], v1 offset:896
	;; [unrolled: 1-line block ×4, first 2 shown]
	v_fmac_f32_e32 v152, v170, v178
	v_add_f32_e32 v169, v169, v197
	v_add_f32_e32 v143, v143, v150
	ds_read_b128 v[162:165], v1 offset:944
	v_add_f32_e32 v169, v169, v198
	v_add_f32_e32 v12, v143, v12
	;; [unrolled: 1-line block ×3, first 2 shown]
	s_waitcnt vmcnt(26) lgkmcnt(6)
	v_mul_f32_e32 v167, v147, v179
	v_add_f32_e32 v12, v12, v166
	v_mul_f32_e32 v1, v146, v179
	s_waitcnt vmcnt(25)
	v_mul_f32_e32 v178, v149, v180
	v_add_f32_e32 v11, v11, v142
	v_fma_f32 v146, v146, v177, -v167
	v_add_f32_e32 v12, v12, v168
	v_mul_f32_e32 v170, v148, v180
	v_fmac_f32_e32 v1, v147, v177
	v_add_f32_e32 v11, v11, v152
	s_waitcnt vmcnt(24) lgkmcnt(5)
	v_mul_f32_e32 v152, v155, v181
	v_fma_f32 v148, v148, v176, -v178
	v_add_f32_e32 v12, v12, v146
	v_mul_f32_e32 v144, v154, v181
	v_fmac_f32_e32 v170, v149, v176
	v_add_f32_e32 v1, v11, v1
	s_waitcnt vmcnt(23)
	v_mul_f32_e32 v11, v157, v182
	v_fma_f32 v146, v154, v175, -v152
	v_add_f32_e32 v12, v12, v148
	v_mul_f32_e32 v179, v156, v182
	v_fmac_f32_e32 v144, v155, v175
	v_add_f32_e32 v1, v1, v170
	s_waitcnt vmcnt(22) lgkmcnt(4)
	v_mul_f32_e32 v148, v159, v183
	s_waitcnt vmcnt(9)
	v_fma_f32 v11, v156, v188, -v11
	v_add_f32_e32 v12, v12, v146
	v_mul_f32_e32 v180, v158, v183
	v_fmac_f32_e32 v179, v157, v188
	v_add_f32_e32 v1, v1, v144
	v_mul_f32_e32 v144, v161, v184
	v_fma_f32 v146, v158, v187, -v148
	v_add_f32_e32 v11, v12, v11
	v_mul_f32_e32 v150, v160, v184
	v_fmac_f32_e32 v180, v159, v187
	v_add_f32_e32 v1, v1, v179
	s_waitcnt lgkmcnt(3)
	v_mul_f32_e32 v12, v172, v185
	v_fma_f32 v144, v160, v186, -v144
	v_add_f32_e32 v11, v11, v146
	v_mul_f32_e32 v194, v171, v185
	v_fmac_f32_e32 v150, v161, v186
	v_add_f32_e32 v1, v1, v180
	v_mul_f32_e32 v195, v173, v145
	v_mul_f32_e32 v145, v174, v145
	v_fma_f32 v12, v171, v153, -v12
	v_add_f32_e32 v11, v11, v144
	v_fmac_f32_e32 v194, v172, v153
	v_add_f32_e32 v1, v1, v150
	s_waitcnt lgkmcnt(2)
	v_mul_f32_e32 v143, v7, v140
	v_mul_f32_e32 v140, v8, v140
	s_waitcnt vmcnt(5)
	v_fma_f32 v144, v173, v151, -v145
	v_add_f32_e32 v11, v11, v12
	v_fmac_f32_e32 v195, v174, v151
	v_add_f32_e32 v1, v1, v194
	v_mul_f32_e32 v12, v10, v134
	v_fmac_f32_e32 v143, v8, v141
	v_fma_f32 v7, v7, v141, -v140
	v_add_f32_e32 v8, v11, v144
	v_mul_f32_e32 v169, v9, v134
	v_add_f32_e32 v1, v1, v195
	s_waitcnt lgkmcnt(1)
	v_mul_f32_e32 v196, v136, v6
	v_mul_f32_e32 v6, v137, v6
	v_fma_f32 v9, v9, v135, -v12
	v_add_f32_e32 v7, v8, v7
	v_fmac_f32_e32 v169, v10, v135
	v_add_f32_e32 v1, v1, v143
	v_mul_f32_e32 v166, v138, v4
	v_mul_f32_e32 v4, v139, v4
	v_fmac_f32_e32 v196, v137, v5
	v_fma_f32 v5, v136, v5, -v6
	v_add_f32_e32 v6, v7, v9
	v_add_f32_e32 v1, v1, v169
	s_waitcnt lgkmcnt(0)
	v_mul_f32_e32 v142, v162, v3
	v_mul_f32_e32 v3, v163, v3
	s_waitcnt vmcnt(2)
	v_fma_f32 v4, v138, v191, -v4
	v_add_f32_e32 v5, v6, v5
	v_fmac_f32_e32 v166, v139, v191
	v_add_f32_e32 v1, v1, v196
	v_mul_f32_e32 v147, v164, v2
	v_mul_f32_e32 v2, v165, v2
	v_fma_f32 v3, v162, v190, -v3
	v_add_f32_e32 v4, v5, v4
	v_fmac_f32_e32 v142, v163, v190
	v_add_f32_e32 v1, v1, v166
	v_fma_f32 v2, v164, v189, -v2
	v_fmac_f32_e32 v147, v165, v189
	v_add_f32_e32 v3, v4, v3
	v_add_f32_e32 v1, v1, v142
	;; [unrolled: 1-line block ×4, first 2 shown]
	s_waitcnt vmcnt(1)
	v_sub_f32_e32 v2, v192, v2
	s_waitcnt vmcnt(0)
	v_sub_f32_e32 v1, v193, v1
	buffer_store_dword v2, off, s[0:3], 0 offset:232
	buffer_store_dword v1, off, s[0:3], 0 offset:236
	v_cmpx_lt_u32_e32 28, v0
	s_cbranch_execz .LBB59_317
; %bb.316:
	s_clause 0x1
	buffer_load_dword v1, off, s[0:3], 0 offset:224
	buffer_load_dword v2, off, s[0:3], 0 offset:228
	v_mov_b32_e32 v3, 0
	buffer_store_dword v3, off, s[0:3], 0 offset:224
	buffer_store_dword v3, off, s[0:3], 0 offset:228
	s_waitcnt vmcnt(0)
	ds_write_b64 v133, v[1:2]
.LBB59_317:
	s_or_b32 exec_lo, exec_lo, s4
	s_waitcnt lgkmcnt(0)
	s_waitcnt_vscnt null, 0x0
	s_barrier
	buffer_gl0_inv
	s_clause 0x3e
	buffer_load_dword v7, off, s[0:3], 0 offset:236
	buffer_load_dword v8, off, s[0:3], 0 offset:244
	;; [unrolled: 1-line block ×64, first 2 shown]
	v_mov_b32_e32 v1, 0
	ds_read2_b64 v[173:176], v1 offset0:89 offset1:90
	ds_read2_b64 v[177:180], v1 offset0:91 offset1:92
	s_mov_b32 s4, exec_lo
	ds_read2_b64 v[185:188], v1 offset0:103 offset1:104
	s_waitcnt vmcnt(62) lgkmcnt(2)
	v_mul_f32_e32 v181, v173, v7
	v_mul_f32_e32 v182, v175, v8
	;; [unrolled: 1-line block ×4, first 2 shown]
	s_waitcnt vmcnt(59)
	v_fmac_f32_e32 v181, v174, v137
	v_fmac_f32_e32 v182, v176, v136
	v_fma_f32 v7, v173, v137, -v7
	v_fma_f32 v8, v175, v136, -v8
	ds_read2_b64 v[173:176], v1 offset0:93 offset1:94
	s_waitcnt vmcnt(58) lgkmcnt(2)
	v_mul_f32_e32 v136, v177, v11
	s_waitcnt vmcnt(57)
	v_mul_f32_e32 v137, v179, v12
	v_mul_f32_e32 v11, v178, v11
	;; [unrolled: 1-line block ×3, first 2 shown]
	v_add_f32_e32 v7, 0, v7
	v_fmac_f32_e32 v136, v178, v5
	s_waitcnt vmcnt(53)
	v_fmac_f32_e32 v137, v180, v163
	v_fma_f32 v5, v177, v5, -v11
	v_fma_f32 v11, v179, v163, -v12
	ds_read2_b64 v[177:180], v1 offset0:95 offset1:96
	v_add_f32_e32 v7, v7, v8
	v_add_f32_e32 v5, v7, v5
	s_waitcnt vmcnt(51) lgkmcnt(1)
	v_mul_f32_e32 v163, v175, v161
	v_mul_f32_e32 v161, v176, v161
	;; [unrolled: 1-line block ×4, first 2 shown]
	v_add_f32_e32 v5, v5, v11
	v_fmac_f32_e32 v163, v176, v154
	v_fma_f32 v154, v175, v154, -v161
	v_fmac_f32_e32 v12, v174, v158
	v_fma_f32 v158, v173, v158, -v162
	ds_read2_b64 v[173:176], v1 offset0:97 offset1:98
	s_waitcnt vmcnt(50) lgkmcnt(1)
	v_mul_f32_e32 v161, v177, v157
	v_mul_f32_e32 v157, v178, v157
	s_waitcnt vmcnt(49)
	v_mul_f32_e32 v203, v179, v155
	v_mul_f32_e32 v155, v180, v155
	v_add_f32_e32 v5, v5, v158
	v_fmac_f32_e32 v161, v178, v148
	v_fma_f32 v148, v177, v148, -v157
	v_add_f32_e32 v157, 0, v181
	s_waitcnt vmcnt(45)
	v_fmac_f32_e32 v203, v180, v171
	v_fma_f32 v155, v179, v171, -v155
	ds_read2_b64 v[177:180], v1 offset0:99 offset1:100
	v_add_f32_e32 v5, v5, v154
	v_add_f32_e32 v157, v157, v182
	ds_read2_b64 v[181:184], v1 offset0:101 offset1:102
	v_add_f32_e32 v5, v5, v148
	v_add_f32_e32 v8, v157, v136
	s_waitcnt vmcnt(44) lgkmcnt(2)
	v_mul_f32_e32 v157, v174, v169
	v_mul_f32_e32 v136, v173, v169
	v_add_f32_e32 v5, v5, v155
	v_add_f32_e32 v7, v8, v137
	s_waitcnt vmcnt(43)
	v_mul_f32_e32 v11, v175, v165
	v_fma_f32 v8, v173, v166, -v157
	v_fmac_f32_e32 v136, v174, v166
	v_add_f32_e32 v7, v7, v12
	v_mul_f32_e32 v12, v176, v165
	v_add_f32_e32 v5, v5, v8
	s_waitcnt vmcnt(42) lgkmcnt(1)
	v_mul_f32_e32 v137, v177, v164
	v_mul_f32_e32 v157, v178, v164
	v_add_f32_e32 v7, v7, v163
	v_fma_f32 v12, v175, v146, -v12
	v_fmac_f32_e32 v11, v176, v146
	s_waitcnt vmcnt(41)
	v_mul_f32_e32 v165, v180, v167
	v_fmac_f32_e32 v137, v178, v144
	v_add_f32_e32 v7, v7, v161
	v_fma_f32 v144, v177, v144, -v157
	v_add_f32_e32 v5, v5, v12
	v_mul_f32_e32 v158, v179, v167
	s_waitcnt vmcnt(40) lgkmcnt(0)
	v_mul_f32_e32 v146, v182, v156
	v_add_f32_e32 v7, v7, v203
	s_waitcnt vmcnt(36)
	v_fma_f32 v165, v179, v172, -v165
	v_add_f32_e32 v5, v5, v144
	v_mul_f32_e32 v166, v181, v156
	ds_read2_b64 v[161:164], v1 offset0:105 offset1:106
	ds_read2_b64 v[173:176], v1 offset0:107 offset1:108
	v_add_f32_e32 v7, v7, v136
	v_fmac_f32_e32 v158, v180, v172
	v_fma_f32 v167, v181, v170, -v146
	s_waitcnt vmcnt(35)
	v_mul_f32_e32 v146, v184, v159
	v_add_f32_e32 v5, v5, v165
	v_add_f32_e32 v7, v7, v11
	v_fmac_f32_e32 v166, v182, v170
	v_mul_f32_e32 v136, v183, v159
	s_waitcnt vmcnt(34)
	v_mul_f32_e32 v159, v185, v152
	s_waitcnt vmcnt(33)
	v_mul_f32_e32 v11, v187, v153
	v_add_f32_e32 v12, v7, v137
	v_mul_f32_e32 v8, v186, v152
	v_mul_f32_e32 v152, v188, v153
	v_fma_f32 v153, v183, v149, -v146
	v_add_f32_e32 v5, v5, v167
	v_add_f32_e32 v12, v12, v158
	v_fmac_f32_e32 v136, v184, v149
	v_fma_f32 v185, v185, v147, -v8
	v_fmac_f32_e32 v159, v186, v147
	v_add_f32_e32 v5, v5, v153
	v_add_f32_e32 v12, v12, v166
	s_waitcnt vmcnt(28)
	v_fma_f32 v137, v187, v160, -v152
	s_waitcnt vmcnt(27) lgkmcnt(1)
	v_mul_f32_e32 v144, v161, v150
	v_mul_f32_e32 v150, v162, v150
	v_add_f32_e32 v5, v5, v185
	v_add_f32_e32 v12, v12, v136
	ds_read2_b64 v[154:157], v1 offset0:109 offset1:110
	ds_read2_b64 v[169:172], v1 offset0:111 offset1:112
	v_fmac_f32_e32 v11, v188, v160
	s_waitcnt vmcnt(26)
	v_mul_f32_e32 v152, v163, v151
	v_mul_f32_e32 v151, v164, v151
	v_add_f32_e32 v12, v12, v159
	v_fmac_f32_e32 v144, v162, v145
	v_fma_f32 v145, v161, v145, -v150
	v_add_f32_e32 v5, v5, v137
	s_waitcnt lgkmcnt(2)
	v_mul_f32_e32 v158, v173, v143
	v_add_f32_e32 v11, v12, v11
	v_mul_f32_e32 v143, v174, v143
	v_fmac_f32_e32 v152, v164, v142
	v_fma_f32 v142, v163, v142, -v151
	v_add_f32_e32 v5, v5, v145
	v_add_f32_e32 v11, v11, v144
	s_waitcnt vmcnt(25)
	v_mul_f32_e32 v12, v176, v141
	v_fmac_f32_e32 v158, v174, v2
	v_fma_f32 v2, v173, v2, -v143
	v_add_f32_e32 v5, v5, v142
	v_mul_f32_e32 v160, v175, v141
	v_add_f32_e32 v11, v11, v152
	s_waitcnt vmcnt(24) lgkmcnt(1)
	v_mul_f32_e32 v150, v154, v140
	v_mul_f32_e32 v140, v155, v140
	s_waitcnt vmcnt(13)
	v_fma_f32 v12, v175, v189, -v12
	v_add_f32_e32 v2, v5, v2
	ds_read2_b64 v[146:149], v1 offset0:113 offset1:114
	ds_read2_b64 v[177:180], v1 offset0:115 offset1:116
	v_fmac_f32_e32 v160, v176, v189
	v_add_f32_e32 v5, v11, v158
	v_mul_f32_e32 v136, v156, v138
	v_mul_f32_e32 v11, v157, v138
	s_waitcnt vmcnt(10)
	v_fma_f32 v138, v154, v192, -v140
	v_add_f32_e32 v2, v2, v12
	v_fmac_f32_e32 v150, v155, v192
	v_add_f32_e32 v5, v5, v160
	s_waitcnt lgkmcnt(2)
	v_mul_f32_e32 v12, v170, v139
	v_fma_f32 v11, v156, v191, -v11
	v_add_f32_e32 v2, v2, v138
	v_mul_f32_e32 v153, v169, v139
	v_fmac_f32_e32 v136, v157, v191
	v_add_f32_e32 v5, v5, v150
	v_mul_f32_e32 v151, v171, v135
	v_mul_f32_e32 v135, v172, v135
	v_fma_f32 v12, v169, v190, -v12
	v_add_f32_e32 v2, v2, v11
	v_fmac_f32_e32 v153, v170, v190
	v_add_f32_e32 v5, v5, v136
	s_waitcnt lgkmcnt(1)
	v_mul_f32_e32 v161, v146, v134
	v_mul_f32_e32 v11, v147, v134
	s_waitcnt vmcnt(6)
	v_fma_f32 v134, v171, v196, -v135
	v_add_f32_e32 v2, v2, v12
	ds_read2_b64 v[181:184], v1 offset0:117 offset1:118
	ds_read_b64 v[7:8], v1 offset:952
	v_fmac_f32_e32 v151, v172, v196
	v_add_f32_e32 v5, v5, v153
	v_mul_f32_e32 v159, v148, v10
	v_mul_f32_e32 v10, v149, v10
	v_fma_f32 v11, v146, v195, -v11
	v_add_f32_e32 v2, v2, v134
	v_fmac_f32_e32 v161, v147, v195
	v_add_f32_e32 v5, v5, v151
	s_waitcnt lgkmcnt(2)
	v_mul_f32_e32 v162, v177, v9
	v_mul_f32_e32 v9, v178, v9
	v_fma_f32 v10, v148, v194, -v10
	v_add_f32_e32 v2, v2, v11
	v_fmac_f32_e32 v159, v149, v194
	v_add_f32_e32 v5, v5, v161
	v_mul_f32_e32 v163, v179, v6
	v_mul_f32_e32 v6, v180, v6
	v_fma_f32 v9, v177, v193, -v9
	v_add_f32_e32 v2, v2, v10
	v_fmac_f32_e32 v162, v178, v193
	v_add_f32_e32 v5, v5, v159
	s_waitcnt lgkmcnt(1)
	v_mul_f32_e32 v137, v181, v4
	v_mul_f32_e32 v4, v182, v4
	s_waitcnt vmcnt(2)
	v_fma_f32 v6, v179, v200, -v6
	v_add_f32_e32 v2, v2, v9
	v_fmac_f32_e32 v163, v180, v200
	v_add_f32_e32 v5, v5, v162
	v_mul_f32_e32 v141, v183, v3
	v_mul_f32_e32 v3, v184, v3
	v_fma_f32 v4, v181, v199, -v4
	v_add_f32_e32 v2, v2, v6
	v_fmac_f32_e32 v137, v182, v199
	v_add_f32_e32 v5, v5, v163
	s_waitcnt lgkmcnt(0)
	v_mul_f32_e32 v6, v8, v168
	v_fma_f32 v3, v183, v198, -v3
	v_add_f32_e32 v2, v2, v4
	v_mul_f32_e32 v144, v7, v168
	v_fmac_f32_e32 v141, v184, v198
	v_add_f32_e32 v4, v5, v137
	v_fma_f32 v5, v7, v197, -v6
	v_add_f32_e32 v2, v2, v3
	v_fmac_f32_e32 v144, v8, v197
	v_add_f32_e32 v3, v4, v141
	v_add_f32_e32 v2, v2, v5
	;; [unrolled: 1-line block ×3, first 2 shown]
	s_waitcnt vmcnt(1)
	v_sub_f32_e32 v2, v201, v2
	s_waitcnt vmcnt(0)
	v_sub_f32_e32 v3, v202, v3
	buffer_store_dword v2, off, s[0:3], 0 offset:224
	buffer_store_dword v3, off, s[0:3], 0 offset:228
	v_cmpx_lt_u32_e32 27, v0
	s_cbranch_execz .LBB59_319
; %bb.318:
	s_clause 0x1
	buffer_load_dword v2, off, s[0:3], 0 offset:216
	buffer_load_dword v3, off, s[0:3], 0 offset:220
	buffer_store_dword v1, off, s[0:3], 0 offset:216
	buffer_store_dword v1, off, s[0:3], 0 offset:220
	s_waitcnt vmcnt(0)
	ds_write_b64 v133, v[2:3]
.LBB59_319:
	s_or_b32 exec_lo, exec_lo, s4
	s_waitcnt lgkmcnt(0)
	s_waitcnt_vscnt null, 0x0
	s_barrier
	buffer_gl0_inv
	s_clause 0x31
	buffer_load_dword v135, off, s[0:3], 0 offset:228
	buffer_load_dword v4, off, s[0:3], 0 offset:236
	buffer_load_dword v3, off, s[0:3], 0 offset:240
	buffer_load_dword v6, off, s[0:3], 0 offset:232
	buffer_load_dword v9, off, s[0:3], 0 offset:224
	buffer_load_dword v8, off, s[0:3], 0 offset:244
	buffer_load_dword v7, off, s[0:3], 0 offset:252
	buffer_load_dword v5, off, s[0:3], 0 offset:260
	buffer_load_dword v137, off, s[0:3], 0 offset:272
	buffer_load_dword v140, off, s[0:3], 0 offset:264
	buffer_load_dword v143, off, s[0:3], 0 offset:256
	buffer_load_dword v146, off, s[0:3], 0 offset:248
	buffer_load_dword v145, off, s[0:3], 0 offset:268
	buffer_load_dword v142, off, s[0:3], 0 offset:276
	buffer_load_dword v141, off, s[0:3], 0 offset:284
	buffer_load_dword v147, off, s[0:3], 0 offset:304
	buffer_load_dword v156, off, s[0:3], 0 offset:296
	buffer_load_dword v160, off, s[0:3], 0 offset:288
	buffer_load_dword v163, off, s[0:3], 0 offset:280
	buffer_load_dword v162, off, s[0:3], 0 offset:292
	buffer_load_dword v158, off, s[0:3], 0 offset:300
	buffer_load_dword v152, off, s[0:3], 0 offset:308
	buffer_load_dword v150, off, s[0:3], 0 offset:316
	buffer_load_dword v139, off, s[0:3], 0 offset:336
	buffer_load_dword v151, off, s[0:3], 0 offset:328
	buffer_load_dword v155, off, s[0:3], 0 offset:320
	buffer_load_dword v165, off, s[0:3], 0 offset:312
	buffer_load_dword v161, off, s[0:3], 0 offset:324
	buffer_load_dword v159, off, s[0:3], 0 offset:332
	buffer_load_dword v157, off, s[0:3], 0 offset:340
	buffer_load_dword v144, off, s[0:3], 0 offset:348
	buffer_load_dword v2, off, s[0:3], 0 offset:368
	buffer_load_dword v136, off, s[0:3], 0 offset:372
	buffer_load_dword v148, off, s[0:3], 0 offset:360
	buffer_load_dword v149, off, s[0:3], 0 offset:352
	buffer_load_dword v164, off, s[0:3], 0 offset:344
	buffer_load_dword v153, off, s[0:3], 0 offset:356
	buffer_load_dword v154, off, s[0:3], 0 offset:364
	buffer_load_dword v138, off, s[0:3], 0 offset:380
	buffer_load_dword v134, off, s[0:3], 0 offset:388
	buffer_load_dword v12, off, s[0:3], 0 offset:396
	buffer_load_dword v11, off, s[0:3], 0 offset:404
	buffer_load_dword v10, off, s[0:3], 0 offset:412
	buffer_load_dword v179, off, s[0:3], 0 offset:420
	buffer_load_dword v180, off, s[0:3], 0 offset:428
	buffer_load_dword v181, off, s[0:3], 0 offset:436
	buffer_load_dword v182, off, s[0:3], 0 offset:444
	buffer_load_dword v183, off, s[0:3], 0 offset:452
	buffer_load_dword v184, off, s[0:3], 0 offset:460
	buffer_load_dword v166, off, s[0:3], 0 offset:468
	ds_read_b128 v[167:170], v1 offset:704
	s_clause 0x1
	buffer_load_dword v185, off, s[0:3], 0 offset:476
	buffer_load_dword v186, off, s[0:3], 0 offset:376
	ds_read_b128 v[171:174], v1 offset:720
	s_clause 0x2
	buffer_load_dword v187, off, s[0:3], 0 offset:400
	buffer_load_dword v188, off, s[0:3], 0 offset:392
	;; [unrolled: 1-line block ×3, first 2 shown]
	ds_read_b128 v[175:178], v1 offset:736
	s_clause 0x4
	buffer_load_dword v190, off, s[0:3], 0 offset:432
	buffer_load_dword v191, off, s[0:3], 0 offset:424
	;; [unrolled: 1-line block ×5, first 2 shown]
	s_mov_b32 s4, exec_lo
	s_waitcnt vmcnt(59) lgkmcnt(2)
	v_mul_f32_e32 v194, v167, v135
	v_mul_f32_e32 v135, v168, v135
	s_waitcnt vmcnt(58)
	v_mul_f32_e32 v196, v169, v4
	v_mul_f32_e32 v4, v170, v4
	s_waitcnt vmcnt(55)
	v_fmac_f32_e32 v194, v168, v9
	v_fma_f32 v9, v167, v9, -v135
	v_fmac_f32_e32 v196, v170, v6
	v_fma_f32 v197, v169, v6, -v4
	ds_read_b128 v[167:170], v1 offset:752
	s_clause 0x3
	buffer_load_dword v200, off, s[0:3], 0 offset:464
	buffer_load_dword v201, off, s[0:3], 0 offset:456
	;; [unrolled: 1-line block ×4, first 2 shown]
	s_waitcnt vmcnt(57) lgkmcnt(2)
	v_mul_f32_e32 v198, v173, v7
	v_mul_f32_e32 v4, v174, v7
	s_waitcnt vmcnt(51) lgkmcnt(1)
	v_mul_f32_e32 v199, v177, v145
	buffer_load_dword v205, off, s[0:3], 0 offset:216
	v_mul_f32_e32 v135, v171, v8
	v_fmac_f32_e32 v198, v174, v146
	v_fma_f32 v146, v173, v146, -v4
	v_mul_f32_e32 v4, v178, v145
	v_fmac_f32_e32 v199, v178, v140
	buffer_load_dword v178, off, s[0:3], 0 offset:472
	v_mul_f32_e32 v8, v172, v8
	v_fmac_f32_e32 v135, v172, v3
	v_fma_f32 v7, v171, v3, -v8
	v_mul_f32_e32 v3, v176, v5
	v_mul_f32_e32 v8, v175, v5
	v_fma_f32 v145, v175, v143, -v3
	v_fma_f32 v175, v177, v140, -v4
	ds_read_b128 v[3:6], v1 offset:768
	v_fmac_f32_e32 v8, v176, v143
	s_waitcnt vmcnt(52) lgkmcnt(1)
	v_mul_f32_e32 v176, v167, v142
	v_mul_f32_e32 v140, v168, v142
	s_waitcnt vmcnt(51)
	v_mul_f32_e32 v177, v169, v141
	v_mul_f32_e32 v141, v170, v141
	v_fmac_f32_e32 v176, v168, v137
	v_fma_f32 v137, v167, v137, -v140
	s_waitcnt vmcnt(47)
	v_fmac_f32_e32 v177, v170, v163
	v_fma_f32 v163, v169, v163, -v141
	ds_read_b128 v[140:143], v1 offset:784
	ds_read_b128 v[167:170], v1 offset:816
	s_waitcnt vmcnt(46) lgkmcnt(2)
	v_mul_f32_e32 v204, v3, v162
	v_mul_f32_e32 v162, v4, v162
	v_fmac_f32_e32 v204, v4, v160
	v_fma_f32 v160, v3, v160, -v162
	v_add_f32_e32 v3, 0, v9
	v_add_f32_e32 v4, 0, v194
	s_waitcnt vmcnt(45)
	v_mul_f32_e32 v9, v5, v158
	v_mul_f32_e32 v158, v6, v158
	v_add_f32_e32 v3, v3, v197
	v_add_f32_e32 v162, v4, v196
	v_fmac_f32_e32 v9, v6, v156
	v_fma_f32 v194, v5, v156, -v158
	s_waitcnt vmcnt(44) lgkmcnt(1)
	v_mul_f32_e32 v196, v140, v152
	v_add_f32_e32 v7, v3, v7
	v_add_f32_e32 v135, v162, v135
	ds_read_b128 v[3:6], v1 offset:800
	v_fmac_f32_e32 v196, v141, v147
	v_add_f32_e32 v7, v7, v146
	v_add_f32_e32 v135, v135, v198
	v_mul_f32_e32 v146, v141, v152
	s_waitcnt vmcnt(43)
	v_mul_f32_e32 v152, v142, v150
	v_mul_f32_e32 v150, v143, v150
	v_add_f32_e32 v7, v7, v145
	v_add_f32_e32 v8, v135, v8
	v_fma_f32 v197, v140, v147, -v146
	s_waitcnt vmcnt(39)
	v_fmac_f32_e32 v152, v143, v165
	v_fma_f32 v150, v142, v165, -v150
	v_add_f32_e32 v7, v7, v175
	v_add_f32_e32 v8, v8, v199
	ds_read_b128 v[140:143], v1 offset:832
	ds_read_b128 v[171:174], v1 offset:848
	s_waitcnt vmcnt(36) lgkmcnt(3)
	v_mul_f32_e32 v147, v168, v157
	s_waitcnt vmcnt(35)
	v_mul_f32_e32 v175, v169, v144
	v_add_f32_e32 v7, v7, v137
	v_add_f32_e32 v8, v8, v176
	s_waitcnt lgkmcnt(2)
	v_mul_f32_e32 v145, v4, v161
	v_mul_f32_e32 v135, v3, v161
	;; [unrolled: 1-line block ×3, first 2 shown]
	v_add_f32_e32 v7, v7, v163
	v_add_f32_e32 v8, v8, v177
	v_fma_f32 v176, v3, v155, -v145
	v_mul_f32_e32 v165, v5, v159
	v_fmac_f32_e32 v135, v4, v155
	v_add_f32_e32 v7, v7, v160
	v_add_f32_e32 v8, v8, v204
	v_fma_f32 v198, v5, v151, -v146
	v_mul_f32_e32 v137, v167, v157
	v_fmac_f32_e32 v165, v6, v151
	v_add_f32_e32 v7, v7, v194
	v_add_f32_e32 v8, v8, v9
	v_mul_f32_e32 v144, v170, v144
	v_fma_f32 v163, v167, v139, -v147
	v_fmac_f32_e32 v137, v168, v139
	v_add_f32_e32 v7, v7, v197
	v_add_f32_e32 v8, v8, v196
	s_waitcnt vmcnt(30)
	v_fmac_f32_e32 v175, v170, v164
	v_fma_f32 v164, v169, v164, -v144
	s_waitcnt vmcnt(28) lgkmcnt(1)
	v_mul_f32_e32 v9, v142, v154
	v_add_f32_e32 v7, v7, v150
	v_add_f32_e32 v8, v8, v152
	v_mul_f32_e32 v139, v141, v153
	ds_read_b128 v[3:6], v1 offset:864
	ds_read_b128 v[155:158], v1 offset:880
	v_mul_f32_e32 v167, v140, v153
	v_add_f32_e32 v7, v7, v176
	v_add_f32_e32 v8, v8, v135
	v_mul_f32_e32 v151, v143, v154
	v_fmac_f32_e32 v9, v143, v148
	v_fma_f32 v143, v140, v149, -v139
	v_add_f32_e32 v7, v7, v198
	v_add_f32_e32 v8, v8, v165
	v_fmac_f32_e32 v167, v141, v149
	ds_read_b128 v[144:147], v1 offset:896
	ds_read_b128 v[159:162], v1 offset:912
	v_fma_f32 v153, v142, v148, -v151
	v_add_f32_e32 v7, v7, v163
	v_add_f32_e32 v8, v8, v137
	ds_read_b128 v[139:142], v1 offset:928
	ds_read_b128 v[148:151], v1 offset:944
	s_waitcnt lgkmcnt(6)
	v_mul_f32_e32 v1, v171, v136
	v_mul_f32_e32 v136, v172, v136
	v_add_f32_e32 v7, v7, v164
	v_add_f32_e32 v8, v8, v175
	s_waitcnt vmcnt(27)
	v_mul_f32_e32 v135, v173, v138
	v_mul_f32_e32 v138, v174, v138
	v_fmac_f32_e32 v1, v172, v2
	v_add_f32_e32 v7, v7, v143
	v_add_f32_e32 v8, v8, v167
	v_fma_f32 v2, v171, v2, -v136
	s_waitcnt vmcnt(26) lgkmcnt(5)
	v_mul_f32_e32 v152, v3, v134
	s_waitcnt vmcnt(14)
	v_fmac_f32_e32 v135, v174, v186
	v_add_f32_e32 v7, v7, v153
	v_add_f32_e32 v8, v8, v9
	v_mul_f32_e32 v9, v4, v134
	v_fma_f32 v134, v173, v186, -v138
	v_mul_f32_e32 v154, v5, v12
	v_add_f32_e32 v2, v7, v2
	v_add_f32_e32 v1, v8, v1
	v_mul_f32_e32 v7, v6, v12
	s_waitcnt vmcnt(11)
	v_fma_f32 v3, v3, v189, -v9
	v_fmac_f32_e32 v152, v4, v189
	v_add_f32_e32 v2, v2, v134
	v_add_f32_e32 v1, v1, v135
	s_waitcnt lgkmcnt(4)
	v_mul_f32_e32 v4, v156, v11
	v_fma_f32 v5, v5, v188, -v7
	v_mul_f32_e32 v165, v155, v11
	v_add_f32_e32 v2, v2, v3
	v_fmac_f32_e32 v154, v6, v188
	v_add_f32_e32 v1, v1, v152
	v_mul_f32_e32 v3, v158, v10
	v_fma_f32 v4, v155, v187, -v4
	v_add_f32_e32 v2, v2, v5
	v_mul_f32_e32 v163, v157, v10
	v_fmac_f32_e32 v165, v156, v187
	v_add_f32_e32 v1, v1, v154
	s_waitcnt lgkmcnt(3)
	v_mul_f32_e32 v5, v145, v179
	s_waitcnt vmcnt(7)
	v_fma_f32 v3, v157, v193, -v3
	v_add_f32_e32 v2, v2, v4
	v_mul_f32_e32 v137, v144, v179
	v_fmac_f32_e32 v163, v158, v193
	v_add_f32_e32 v1, v1, v165
	v_mul_f32_e32 v4, v147, v180
	v_fma_f32 v5, v144, v192, -v5
	v_add_f32_e32 v2, v2, v3
	v_mul_f32_e32 v168, v146, v180
	v_fmac_f32_e32 v137, v145, v192
	v_add_f32_e32 v1, v1, v163
	s_waitcnt lgkmcnt(2)
	v_mul_f32_e32 v3, v160, v181
	v_fma_f32 v4, v146, v191, -v4
	v_add_f32_e32 v2, v2, v5
	v_mul_f32_e32 v164, v159, v181
	v_fmac_f32_e32 v168, v147, v191
	v_add_f32_e32 v1, v1, v137
	v_mul_f32_e32 v5, v162, v182
	v_fma_f32 v3, v159, v190, -v3
	v_add_f32_e32 v2, v2, v4
	v_mul_f32_e32 v169, v161, v182
	v_fmac_f32_e32 v164, v160, v190
	v_add_f32_e32 v1, v1, v168
	s_waitcnt lgkmcnt(1)
	v_mul_f32_e32 v4, v140, v183
	v_add_f32_e32 v2, v2, v3
	v_mul_f32_e32 v170, v139, v183
	v_mul_f32_e32 v3, v142, v184
	v_add_f32_e32 v1, v1, v164
	v_mul_f32_e32 v143, v141, v184
	s_waitcnt lgkmcnt(0)
	v_mul_f32_e32 v167, v148, v166
	v_mul_f32_e32 v136, v150, v185
	s_waitcnt vmcnt(5)
	v_fmac_f32_e32 v167, v149, v200
	s_waitcnt vmcnt(4)
	v_fma_f32 v3, v141, v201, -v3
	s_waitcnt vmcnt(3)
	v_fma_f32 v4, v139, v202, -v4
	s_waitcnt vmcnt(2)
	v_fma_f32 v5, v161, v203, -v5
	v_fmac_f32_e32 v169, v162, v203
	v_fmac_f32_e32 v170, v140, v202
	;; [unrolled: 1-line block ×3, first 2 shown]
	v_add_f32_e32 v2, v2, v5
	v_add_f32_e32 v1, v1, v169
	v_mul_f32_e32 v5, v149, v166
	v_add_f32_e32 v2, v2, v4
	v_add_f32_e32 v1, v1, v170
	v_mul_f32_e32 v4, v151, v185
	v_fma_f32 v5, v148, v200, -v5
	s_waitcnt vmcnt(0)
	v_fmac_f32_e32 v136, v151, v178
	v_add_f32_e32 v2, v2, v3
	v_add_f32_e32 v1, v1, v143
	v_fma_f32 v3, v150, v178, -v4
	v_add_f32_e32 v2, v2, v5
	v_add_f32_e32 v1, v1, v167
	;; [unrolled: 1-line block ×4, first 2 shown]
	v_sub_f32_e32 v2, v205, v2
	v_sub_f32_e32 v1, v195, v1
	buffer_store_dword v2, off, s[0:3], 0 offset:216
	buffer_store_dword v1, off, s[0:3], 0 offset:220
	v_cmpx_lt_u32_e32 26, v0
	s_cbranch_execz .LBB59_321
; %bb.320:
	s_clause 0x1
	buffer_load_dword v1, off, s[0:3], 0 offset:208
	buffer_load_dword v2, off, s[0:3], 0 offset:212
	v_mov_b32_e32 v3, 0
	buffer_store_dword v3, off, s[0:3], 0 offset:208
	buffer_store_dword v3, off, s[0:3], 0 offset:212
	s_waitcnt vmcnt(0)
	ds_write_b64 v133, v[1:2]
.LBB59_321:
	s_or_b32 exec_lo, exec_lo, s4
	s_waitcnt lgkmcnt(0)
	s_waitcnt_vscnt null, 0x0
	s_barrier
	buffer_gl0_inv
	s_clause 0x26
	buffer_load_dword v2, off, s[0:3], 0 offset:220
	buffer_load_dword v3, off, s[0:3], 0 offset:228
	;; [unrolled: 1-line block ×39, first 2 shown]
	v_mov_b32_e32 v1, 0
	s_clause 0x2
	buffer_load_dword v174, off, s[0:3], 0 offset:380
	buffer_load_dword v175, off, s[0:3], 0 offset:388
	;; [unrolled: 1-line block ×3, first 2 shown]
	s_mov_b32 s4, exec_lo
	ds_read2_b64 v[4:7], v1 offset0:87 offset1:88
	s_clause 0x1
	buffer_load_dword v177, off, s[0:3], 0 offset:404
	buffer_load_dword v178, off, s[0:3], 0 offset:412
	ds_read2_b64 v[8:11], v1 offset0:89 offset1:90
	s_clause 0xc
	buffer_load_dword v179, off, s[0:3], 0 offset:392
	buffer_load_dword v180, off, s[0:3], 0 offset:384
	;; [unrolled: 1-line block ×13, first 2 shown]
	ds_read2_b64 v[134:137], v1 offset0:91 offset1:92
	s_waitcnt vmcnt(56) lgkmcnt(2)
	v_mul_f32_e32 v192, v5, v2
	v_mul_f32_e32 v193, v4, v2
	s_waitcnt vmcnt(55)
	v_mul_f32_e32 v194, v6, v3
	v_mul_f32_e32 v2, v7, v3
	s_waitcnt vmcnt(54) lgkmcnt(1)
	v_mul_f32_e32 v195, v8, v12
	s_waitcnt vmcnt(51)
	v_fma_f32 v192, v4, v140, -v192
	v_fmac_f32_e32 v193, v5, v140
	v_fmac_f32_e32 v194, v7, v139
	v_fma_f32 v139, v6, v139, -v2
	ds_read2_b64 v[2:5], v1 offset0:93 offset1:94
	s_clause 0x3
	buffer_load_dword v196, off, s[0:3], 0 offset:424
	buffer_load_dword v197, off, s[0:3], 0 offset:416
	;; [unrolled: 1-line block ×4, first 2 shown]
	s_waitcnt vmcnt(54)
	v_mul_f32_e32 v140, v10, v141
	v_mul_f32_e32 v6, v11, v141
	v_mul_f32_e32 v12, v9, v12
	v_fmac_f32_e32 v195, v9, v138
	s_waitcnt vmcnt(48) lgkmcnt(1)
	v_mul_f32_e32 v141, v137, v147
	v_fmac_f32_e32 v140, v11, v145
	v_fma_f32 v10, v10, v145, -v6
	v_mul_f32_e32 v11, v134, v146
	v_mul_f32_e32 v6, v135, v146
	v_fma_f32 v12, v8, v138, -v12
	v_mul_f32_e32 v138, v136, v147
	v_fma_f32 v141, v136, v143, -v141
	v_fmac_f32_e32 v11, v135, v144
	v_fma_f32 v144, v134, v144, -v6
	ds_read2_b64 v[6:9], v1 offset0:95 offset1:96
	s_clause 0x3
	buffer_load_dword v200, off, s[0:3], 0 offset:456
	buffer_load_dword v201, off, s[0:3], 0 offset:448
	;; [unrolled: 1-line block ×4, first 2 shown]
	v_fmac_f32_e32 v138, v137, v143
	v_add_f32_e32 v135, 0, v192
	s_waitcnt vmcnt(51) lgkmcnt(1)
	v_mul_f32_e32 v143, v2, v148
	v_mul_f32_e32 v134, v3, v148
	s_waitcnt vmcnt(50)
	v_mul_f32_e32 v145, v4, v149
	v_fmac_f32_e32 v143, v3, v142
	v_fma_f32 v142, v2, v142, -v134
	v_mul_f32_e32 v2, v5, v149
	s_waitcnt vmcnt(46)
	v_fmac_f32_e32 v145, v5, v153
	v_fma_f32 v146, v4, v153, -v2
	ds_read2_b64 v[2:5], v1 offset0:97 offset1:98
	s_waitcnt vmcnt(45) lgkmcnt(1)
	v_mul_f32_e32 v147, v6, v154
	v_mul_f32_e32 v134, v7, v154
	s_clause 0x1
	buffer_load_dword v154, off, s[0:3], 0 offset:472
	buffer_load_dword v192, off, s[0:3], 0 offset:464
	v_fmac_f32_e32 v147, v7, v152
	v_add_f32_e32 v7, 0, v193
	buffer_load_dword v193, off, s[0:3], 0 offset:208
	v_fma_f32 v148, v6, v152, -v134
	v_add_f32_e32 v6, v135, v139
	s_waitcnt vmcnt(47)
	v_mul_f32_e32 v134, v9, v155
	v_add_f32_e32 v7, v7, v194
	v_add_f32_e32 v6, v6, v12
	v_mul_f32_e32 v12, v8, v155
	v_add_f32_e32 v135, v7, v195
	v_fma_f32 v149, v8, v151, -v134
	s_waitcnt vmcnt(45) lgkmcnt(0)
	v_mul_f32_e32 v152, v4, v157
	v_add_f32_e32 v10, v6, v10
	v_fmac_f32_e32 v12, v9, v151
	v_add_f32_e32 v139, v135, v140
	v_mul_f32_e32 v151, v2, v156
	v_mul_f32_e32 v140, v3, v156
	v_add_f32_e32 v10, v10, v144
	ds_read2_b64 v[6:9], v1 offset0:99 offset1:100
	ds_read2_b64 v[134:137], v1 offset0:101 offset1:102
	v_add_f32_e32 v11, v139, v11
	v_mul_f32_e32 v139, v5, v157
	v_add_f32_e32 v10, v10, v141
	v_fmac_f32_e32 v151, v3, v150
	v_fma_f32 v150, v2, v150, -v140
	v_add_f32_e32 v11, v11, v138
	s_waitcnt vmcnt(41)
	v_fmac_f32_e32 v152, v5, v161
	v_add_f32_e32 v10, v10, v142
	v_fma_f32 v153, v4, v161, -v139
	ds_read2_b64 v[2:5], v1 offset0:103 offset1:104
	ds_read2_b64 v[138:141], v1 offset0:105 offset1:106
	v_add_f32_e32 v11, v11, v143
	v_add_f32_e32 v10, v10, v146
	;; [unrolled: 1-line block ×4, first 2 shown]
	s_waitcnt vmcnt(40) lgkmcnt(3)
	v_mul_f32_e32 v155, v6, v162
	v_mul_f32_e32 v142, v7, v162
	v_add_f32_e32 v11, v11, v147
	s_waitcnt vmcnt(39)
	v_mul_f32_e32 v156, v8, v163
	v_add_f32_e32 v10, v10, v149
	v_mul_f32_e32 v143, v9, v163
	v_fmac_f32_e32 v155, v7, v160
	v_add_f32_e32 v11, v11, v12
	v_fma_f32 v160, v6, v160, -v142
	v_add_f32_e32 v10, v10, v150
	s_waitcnt vmcnt(32) lgkmcnt(1)
	v_mul_f32_e32 v12, v2, v170
	v_mul_f32_e32 v150, v3, v170
	v_add_f32_e32 v11, v11, v151
	v_mul_f32_e32 v157, v134, v164
	v_mul_f32_e32 v146, v135, v164
	v_fmac_f32_e32 v12, v3, v168
	v_add_f32_e32 v3, v10, v153
	v_add_f32_e32 v10, v11, v152
	v_fmac_f32_e32 v156, v9, v159
	v_fma_f32 v159, v8, v159, -v143
	v_mul_f32_e32 v147, v137, v165
	v_add_f32_e32 v160, v3, v160
	v_add_f32_e32 v155, v10, v155
	v_fmac_f32_e32 v157, v135, v158
	v_fma_f32 v158, v134, v158, -v146
	v_mul_f32_e32 v161, v136, v165
	v_add_f32_e32 v159, v160, v159
	v_add_f32_e32 v155, v155, v156
	v_fma_f32 v162, v136, v169, -v147
	ds_read2_b64 v[6:9], v1 offset0:107 offset1:108
	ds_read2_b64 v[142:145], v1 offset0:109 offset1:110
	v_fmac_f32_e32 v161, v137, v169
	v_add_f32_e32 v158, v159, v158
	v_add_f32_e32 v155, v155, v157
	s_waitcnt vmcnt(31)
	v_mul_f32_e32 v163, v4, v171
	v_mul_f32_e32 v151, v5, v171
	v_fma_f32 v164, v2, v168, -v150
	v_add_f32_e32 v158, v158, v162
	v_add_f32_e32 v155, v155, v161
	v_fmac_f32_e32 v163, v5, v167
	v_fma_f32 v165, v4, v167, -v151
	s_waitcnt vmcnt(30) lgkmcnt(2)
	v_mul_f32_e32 v167, v139, v172
	v_add_f32_e32 v158, v158, v164
	v_mul_f32_e32 v160, v138, v172
	v_add_f32_e32 v12, v155, v12
	s_waitcnt vmcnt(29)
	v_mul_f32_e32 v168, v141, v173
	v_fma_f32 v138, v138, v166, -v167
	v_add_f32_e32 v158, v158, v165
	v_mul_f32_e32 v156, v140, v173
	v_fmac_f32_e32 v160, v139, v166
	v_add_f32_e32 v12, v12, v163
	s_waitcnt vmcnt(28) lgkmcnt(1)
	v_mul_f32_e32 v159, v6, v174
	v_mul_f32_e32 v166, v7, v174
	s_waitcnt vmcnt(20)
	v_fma_f32 v140, v140, v182, -v168
	v_add_f32_e32 v138, v158, v138
	ds_read2_b64 v[134:137], v1 offset0:111 offset1:112
	ds_read2_b64 v[146:149], v1 offset0:113 offset1:114
	v_fmac_f32_e32 v156, v141, v182
	v_add_f32_e32 v12, v12, v160
	v_mul_f32_e32 v163, v9, v175
	v_fmac_f32_e32 v159, v7, v181
	v_fma_f32 v6, v6, v181, -v166
	v_add_f32_e32 v7, v138, v140
	v_mul_f32_e32 v157, v8, v175
	v_add_f32_e32 v12, v12, v156
	s_waitcnt lgkmcnt(2)
	v_mul_f32_e32 v138, v143, v176
	v_fma_f32 v8, v8, v180, -v163
	v_add_f32_e32 v6, v7, v6
	v_mul_f32_e32 v139, v142, v176
	v_fmac_f32_e32 v157, v9, v180
	v_add_f32_e32 v7, v12, v159
	v_mul_f32_e32 v9, v145, v177
	v_fma_f32 v12, v142, v179, -v138
	v_add_f32_e32 v6, v6, v8
	v_mul_f32_e32 v162, v144, v177
	v_fmac_f32_e32 v139, v143, v179
	v_add_f32_e32 v7, v7, v157
	s_waitcnt lgkmcnt(1)
	v_mul_f32_e32 v8, v135, v178
	v_add_f32_e32 v6, v6, v12
	v_mul_f32_e32 v161, v134, v178
	ds_read2_b64 v[2:5], v1 offset0:115 offset1:116
	ds_read2_b64 v[150:153], v1 offset0:117 offset1:118
	ds_read_b64 v[10:11], v1 offset:952
	v_add_f32_e32 v7, v7, v139
	s_waitcnt vmcnt(19)
	v_mul_f32_e32 v12, v137, v183
	v_mul_f32_e32 v141, v136, v183
	s_waitcnt vmcnt(18) lgkmcnt(3)
	v_mul_f32_e32 v167, v146, v184
	s_waitcnt vmcnt(17)
	v_mul_f32_e32 v155, v148, v185
	s_waitcnt vmcnt(16) lgkmcnt(2)
	v_mul_f32_e32 v164, v2, v186
	s_waitcnt vmcnt(15)
	;; [unrolled: 4-line block ×4, first 2 shown]
	v_fmac_f32_e32 v167, v147, v196
	s_waitcnt vmcnt(9)
	v_fma_f32 v12, v136, v197, -v12
	s_waitcnt vmcnt(8)
	v_fma_f32 v8, v134, v198, -v8
	;; [unrolled: 2-line block ×3, first 2 shown]
	v_fmac_f32_e32 v162, v145, v199
	v_fmac_f32_e32 v161, v135, v198
	;; [unrolled: 1-line block ×3, first 2 shown]
	v_add_f32_e32 v6, v6, v9
	v_add_f32_e32 v7, v7, v162
	v_mul_f32_e32 v9, v147, v184
	v_add_f32_e32 v6, v6, v8
	v_add_f32_e32 v7, v7, v161
	v_mul_f32_e32 v8, v149, v185
	v_fma_f32 v9, v146, v196, -v9
	s_waitcnt vmcnt(5)
	v_fmac_f32_e32 v168, v5, v201
	v_add_f32_e32 v6, v6, v12
	v_add_f32_e32 v7, v7, v141
	v_mul_f32_e32 v12, v3, v186
	s_waitcnt vmcnt(3)
	v_fma_f32 v8, v148, v203, -v8
	v_fmac_f32_e32 v155, v149, v203
	v_add_f32_e32 v6, v6, v9
	v_add_f32_e32 v7, v7, v167
	v_mul_f32_e32 v9, v5, v187
	v_fmac_f32_e32 v164, v3, v202
	v_fma_f32 v2, v2, v202, -v12
	v_add_f32_e32 v3, v6, v8
	v_add_f32_e32 v6, v7, v155
	v_mul_f32_e32 v7, v151, v188
	v_fma_f32 v4, v4, v201, -v9
	v_mul_f32_e32 v5, v153, v189
	v_add_f32_e32 v2, v3, v2
	v_add_f32_e32 v3, v6, v164
	v_fma_f32 v6, v150, v200, -v7
	v_fmac_f32_e32 v165, v151, v200
	v_add_f32_e32 v2, v2, v4
	v_add_f32_e32 v3, v3, v168
	v_mul_f32_e32 v4, v11, v190
	s_waitcnt vmcnt(1)
	v_fma_f32 v5, v152, v192, -v5
	v_fmac_f32_e32 v169, v153, v192
	v_add_f32_e32 v2, v2, v6
	v_add_f32_e32 v3, v3, v165
	v_fma_f32 v4, v10, v154, -v4
	v_fmac_f32_e32 v158, v11, v154
	v_add_f32_e32 v2, v2, v5
	v_add_f32_e32 v3, v3, v169
	;; [unrolled: 1-line block ×4, first 2 shown]
	s_waitcnt vmcnt(0)
	v_sub_f32_e32 v2, v193, v2
	v_sub_f32_e32 v3, v191, v3
	buffer_store_dword v2, off, s[0:3], 0 offset:208
	buffer_store_dword v3, off, s[0:3], 0 offset:212
	v_cmpx_lt_u32_e32 25, v0
	s_cbranch_execz .LBB59_323
; %bb.322:
	s_clause 0x1
	buffer_load_dword v2, off, s[0:3], 0 offset:200
	buffer_load_dword v3, off, s[0:3], 0 offset:204
	buffer_store_dword v1, off, s[0:3], 0 offset:200
	buffer_store_dword v1, off, s[0:3], 0 offset:204
	s_waitcnt vmcnt(0)
	ds_write_b64 v133, v[2:3]
.LBB59_323:
	s_or_b32 exec_lo, exec_lo, s4
	s_waitcnt lgkmcnt(0)
	s_waitcnt_vscnt null, 0x0
	s_barrier
	buffer_gl0_inv
	s_clause 0x24
	buffer_load_dword v10, off, s[0:3], 0 offset:212
	buffer_load_dword v11, off, s[0:3], 0 offset:220
	;; [unrolled: 1-line block ×37, first 2 shown]
	ds_read_b128 v[2:5], v1 offset:688
	s_clause 0x1
	buffer_load_dword v180, off, s[0:3], 0 offset:356
	buffer_load_dword v181, off, s[0:3], 0 offset:364
	ds_read_b128 v[6:9], v1 offset:704
	s_clause 0xa
	buffer_load_dword v182, off, s[0:3], 0 offset:372
	buffer_load_dword v183, off, s[0:3], 0 offset:380
	buffer_load_dword v184, off, s[0:3], 0 offset:388
	buffer_load_dword v185, off, s[0:3], 0 offset:384
	buffer_load_dword v186, off, s[0:3], 0 offset:376
	buffer_load_dword v187, off, s[0:3], 0 offset:368
	buffer_load_dword v188, off, s[0:3], 0 offset:360
	buffer_load_dword v189, off, s[0:3], 0 offset:396
	buffer_load_dword v190, off, s[0:3], 0 offset:404
	buffer_load_dword v191, off, s[0:3], 0 offset:412
	buffer_load_dword v192, off, s[0:3], 0 offset:420
	ds_read_b128 v[134:137], v1 offset:720
	ds_read_b128 v[138:141], v1 offset:736
	ds_read_b128 v[142:145], v1 offset:752
	s_clause 0x7
	buffer_load_dword v195, off, s[0:3], 0 offset:204
	buffer_load_dword v196, off, s[0:3], 0 offset:428
	;; [unrolled: 1-line block ×8, first 2 shown]
	s_mov_b32 s4, exec_lo
	s_waitcnt vmcnt(57) lgkmcnt(4)
	v_mul_f32_e32 v193, v3, v10
	v_mul_f32_e32 v10, v2, v10
	s_waitcnt vmcnt(56)
	v_mul_f32_e32 v194, v4, v11
	v_mul_f32_e32 v11, v5, v11
	s_waitcnt vmcnt(53)
	v_fma_f32 v193, v2, v147, -v193
	v_fmac_f32_e32 v10, v3, v147
	v_fmac_f32_e32 v194, v5, v146
	v_fma_f32 v11, v4, v146, -v11
	s_waitcnt vmcnt(52) lgkmcnt(3)
	v_mul_f32_e32 v146, v6, v148
	v_mul_f32_e32 v2, v7, v148
	s_waitcnt vmcnt(51)
	v_mul_f32_e32 v3, v9, v149
	v_mul_f32_e32 v147, v8, v149
	s_waitcnt vmcnt(46) lgkmcnt(2)
	v_mul_f32_e32 v148, v134, v154
	v_fmac_f32_e32 v146, v7, v12
	v_fma_f32 v6, v6, v12, -v2
	v_fma_f32 v12, v8, v153, -v3
	v_mul_f32_e32 v2, v135, v154
	s_waitcnt vmcnt(45)
	v_mul_f32_e32 v149, v136, v155
	v_mul_f32_e32 v3, v137, v155
	s_clause 0x3
	buffer_load_dword v154, off, s[0:3], 0 offset:416
	buffer_load_dword v155, off, s[0:3], 0 offset:408
	;; [unrolled: 1-line block ×4, first 2 shown]
	v_fmac_f32_e32 v147, v9, v153
	v_fmac_f32_e32 v148, v135, v152
	v_fma_f32 v134, v134, v152, -v2
	v_fmac_f32_e32 v149, v137, v151
	v_fma_f32 v151, v136, v151, -v3
	s_waitcnt vmcnt(48) lgkmcnt(1)
	v_mul_f32_e32 v152, v138, v156
	v_mul_f32_e32 v2, v139, v156
	s_waitcnt vmcnt(47)
	v_mul_f32_e32 v153, v140, v157
	v_mul_f32_e32 v3, v141, v157
	s_waitcnt vmcnt(42) lgkmcnt(0)
	v_mul_f32_e32 v156, v142, v162
	v_mul_f32_e32 v7, v143, v162
	s_waitcnt vmcnt(41)
	v_mul_f32_e32 v157, v144, v163
	v_mul_f32_e32 v8, v145, v163
	v_fmac_f32_e32 v152, v139, v150
	v_fma_f32 v138, v138, v150, -v2
	v_fmac_f32_e32 v153, v141, v161
	v_fma_f32 v150, v140, v161, -v3
	ds_read_b128 v[2:5], v1 offset:768
	v_fmac_f32_e32 v156, v143, v160
	v_fma_f32 v142, v142, v160, -v7
	v_fmac_f32_e32 v157, v145, v159
	v_fma_f32 v143, v144, v159, -v8
	s_clause 0x7
	buffer_load_dword v159, off, s[0:3], 0 offset:448
	buffer_load_dword v160, off, s[0:3], 0 offset:440
	buffer_load_dword v161, off, s[0:3], 0 offset:432
	buffer_load_dword v162, off, s[0:3], 0 offset:424
	buffer_load_dword v163, off, s[0:3], 0 offset:472
	buffer_load_dword v205, off, s[0:3], 0 offset:464
	buffer_load_dword v206, off, s[0:3], 0 offset:456
	buffer_load_dword v207, off, s[0:3], 0 offset:200
	v_add_f32_e32 v7, 0, v193
	v_add_f32_e32 v8, 0, v10
	;; [unrolled: 1-line block ×4, first 2 shown]
	s_waitcnt vmcnt(48) lgkmcnt(0)
	v_mul_f32_e32 v10, v2, v164
	v_mul_f32_e32 v9, v3, v164
	v_fmac_f32_e32 v10, v3, v158
	v_fma_f32 v11, v2, v158, -v9
	v_add_f32_e32 v2, v7, v6
	v_add_f32_e32 v3, v8, v146
	ds_read_b128 v[6:9], v1 offset:784
	s_waitcnt vmcnt(47)
	v_mul_f32_e32 v158, v4, v165
	v_add_f32_e32 v12, v2, v12
	v_mul_f32_e32 v2, v5, v165
	v_add_f32_e32 v135, v3, v147
	s_waitcnt vmcnt(43)
	v_fmac_f32_e32 v158, v5, v169
	v_add_f32_e32 v12, v12, v134
	v_fma_f32 v164, v4, v169, -v2
	ds_read_b128 v[2:5], v1 offset:800
	v_add_f32_e32 v139, v135, v148
	ds_read_b128 v[134:137], v1 offset:816
	v_add_f32_e32 v12, v12, v151
	v_add_f32_e32 v139, v139, v149
	;; [unrolled: 1-line block ×3, first 2 shown]
	s_waitcnt vmcnt(42) lgkmcnt(2)
	v_mul_f32_e32 v140, v7, v170
	v_mul_f32_e32 v151, v6, v170
	s_waitcnt vmcnt(41)
	v_mul_f32_e32 v144, v9, v171
	v_fma_f32 v165, v6, v168, -v140
	v_add_f32_e32 v6, v139, v152
	v_fmac_f32_e32 v151, v7, v168
	v_add_f32_e32 v7, v12, v150
	v_mul_f32_e32 v12, v8, v171
	s_waitcnt vmcnt(40) lgkmcnt(1)
	v_mul_f32_e32 v168, v2, v172
	v_add_f32_e32 v6, v6, v153
	v_mul_f32_e32 v145, v3, v172
	v_add_f32_e32 v7, v7, v142
	ds_read_b128 v[138:141], v1 offset:832
	v_fmac_f32_e32 v168, v3, v166
	v_add_f32_e32 v6, v6, v156
	v_fma_f32 v166, v2, v166, -v145
	v_add_f32_e32 v2, v7, v143
	v_fma_f32 v150, v8, v167, -v144
	v_fmac_f32_e32 v12, v9, v167
	v_add_f32_e32 v3, v6, v157
	s_waitcnt vmcnt(39)
	v_mul_f32_e32 v146, v5, v173
	v_add_f32_e32 v11, v2, v11
	v_mul_f32_e32 v169, v4, v173
	s_waitcnt vmcnt(38) lgkmcnt(1)
	v_mul_f32_e32 v147, v135, v174
	v_add_f32_e32 v10, v3, v10
	s_waitcnt vmcnt(34)
	v_fma_f32 v157, v4, v178, -v146
	v_add_f32_e32 v11, v11, v164
	v_mul_f32_e32 v156, v134, v174
	ds_read_b128 v[6:9], v1 offset:848
	ds_read_b128 v[142:145], v1 offset:864
	v_add_f32_e32 v10, v10, v158
	v_fmac_f32_e32 v169, v5, v178
	v_add_f32_e32 v11, v11, v165
	v_fma_f32 v167, v134, v177, -v147
	s_waitcnt vmcnt(33)
	v_mul_f32_e32 v134, v137, v179
	v_add_f32_e32 v10, v10, v151
	v_fmac_f32_e32 v156, v135, v177
	v_add_f32_e32 v11, v11, v150
	v_mul_f32_e32 v164, v136, v179
	s_waitcnt vmcnt(32) lgkmcnt(2)
	v_mul_f32_e32 v135, v139, v180
	v_add_f32_e32 v10, v10, v12
	v_fma_f32 v171, v136, v176, -v134
	v_add_f32_e32 v11, v11, v166
	v_mul_f32_e32 v158, v138, v180
	v_fmac_f32_e32 v164, v137, v176
	v_add_f32_e32 v10, v10, v168
	s_waitcnt vmcnt(31)
	v_mul_f32_e32 v170, v141, v181
	v_add_f32_e32 v11, v11, v157
	v_fma_f32 v172, v138, v175, -v135
	v_mul_f32_e32 v165, v140, v181
	v_add_f32_e32 v10, v10, v169
	v_fmac_f32_e32 v158, v139, v175
	v_add_f32_e32 v11, v11, v167
	s_waitcnt vmcnt(24)
	v_fma_f32 v170, v140, v188, -v170
	s_waitcnt lgkmcnt(1)
	v_mul_f32_e32 v12, v7, v182
	v_add_f32_e32 v10, v10, v156
	ds_read_b128 v[2:5], v1 offset:880
	ds_read_b128 v[146:149], v1 offset:896
	v_add_f32_e32 v11, v11, v171
	ds_read_b128 v[134:137], v1 offset:912
	ds_read_b128 v[150:153], v1 offset:928
	v_fmac_f32_e32 v165, v141, v188
	v_add_f32_e32 v10, v10, v164
	ds_read_b128 v[138:141], v1 offset:944
	v_add_f32_e32 v11, v11, v172
	v_mul_f32_e32 v1, v6, v182
	v_mul_f32_e32 v168, v9, v183
	v_add_f32_e32 v10, v10, v158
	v_fma_f32 v6, v6, v187, -v12
	v_add_f32_e32 v11, v11, v170
	v_mul_f32_e32 v166, v8, v183
	v_fmac_f32_e32 v1, v7, v187
	v_add_f32_e32 v10, v10, v165
	s_waitcnt lgkmcnt(5)
	v_mul_f32_e32 v12, v143, v184
	v_fma_f32 v8, v8, v186, -v168
	v_add_f32_e32 v6, v11, v6
	v_mul_f32_e32 v157, v142, v184
	v_fmac_f32_e32 v166, v9, v186
	v_add_f32_e32 v1, v10, v1
	s_waitcnt vmcnt(23)
	v_mul_f32_e32 v9, v145, v189
	v_fma_f32 v10, v142, v185, -v12
	v_add_f32_e32 v6, v6, v8
	v_mul_f32_e32 v169, v144, v189
	v_fmac_f32_e32 v157, v143, v185
	v_add_f32_e32 v1, v1, v166
	s_waitcnt vmcnt(22) lgkmcnt(4)
	v_mul_f32_e32 v173, v2, v190
	v_mul_f32_e32 v8, v3, v190
	v_add_f32_e32 v6, v6, v10
	s_waitcnt vmcnt(21)
	v_mul_f32_e32 v10, v5, v191
	v_add_f32_e32 v1, v1, v157
	v_mul_f32_e32 v167, v4, v191
	s_waitcnt vmcnt(20) lgkmcnt(3)
	v_mul_f32_e32 v156, v146, v192
	s_waitcnt vmcnt(18)
	v_mul_f32_e32 v174, v148, v196
	s_waitcnt vmcnt(17) lgkmcnt(2)
	v_mul_f32_e32 v171, v134, v197
	s_waitcnt vmcnt(16)
	;; [unrolled: 4-line block ×4, first 2 shown]
	v_mul_f32_e32 v7, v140, v202
	s_waitcnt vmcnt(11)
	v_fmac_f32_e32 v156, v147, v154
	s_waitcnt vmcnt(10)
	v_fma_f32 v4, v4, v155, -v10
	s_waitcnt vmcnt(9)
	v_fmac_f32_e32 v173, v3, v203
	s_waitcnt vmcnt(8)
	v_fma_f32 v9, v144, v204, -v9
	v_fmac_f32_e32 v169, v145, v204
	v_fma_f32 v2, v2, v203, -v8
	v_fmac_f32_e32 v167, v5, v155
	v_add_f32_e32 v3, v6, v9
	v_add_f32_e32 v1, v1, v169
	v_mul_f32_e32 v6, v147, v192
	v_add_f32_e32 v2, v3, v2
	v_add_f32_e32 v1, v1, v173
	v_mul_f32_e32 v3, v149, v196
	v_fma_f32 v5, v146, v154, -v6
	v_add_f32_e32 v2, v2, v4
	v_add_f32_e32 v1, v1, v167
	v_mul_f32_e32 v4, v135, v197
	s_waitcnt vmcnt(5)
	v_fmac_f32_e32 v171, v135, v161
	s_waitcnt vmcnt(4)
	v_fma_f32 v3, v148, v162, -v3
	v_add_f32_e32 v2, v2, v5
	v_fmac_f32_e32 v174, v149, v162
	v_add_f32_e32 v1, v1, v156
	v_mul_f32_e32 v5, v137, v198
	v_fma_f32 v4, v134, v161, -v4
	v_add_f32_e32 v2, v2, v3
	v_mul_f32_e32 v3, v151, v199
	v_add_f32_e32 v1, v1, v174
	v_fma_f32 v5, v136, v160, -v5
	v_fmac_f32_e32 v164, v137, v160
	v_add_f32_e32 v2, v2, v4
	v_mul_f32_e32 v4, v153, v200
	v_add_f32_e32 v1, v1, v171
	v_fma_f32 v3, v150, v159, -v3
	v_fmac_f32_e32 v175, v151, v159
	v_add_f32_e32 v2, v2, v5
	v_mul_f32_e32 v5, v139, v201
	v_add_f32_e32 v1, v1, v164
	s_waitcnt vmcnt(1)
	v_fma_f32 v4, v152, v206, -v4
	v_fmac_f32_e32 v172, v153, v206
	v_add_f32_e32 v2, v2, v3
	v_mul_f32_e32 v3, v141, v202
	v_add_f32_e32 v1, v1, v175
	v_fma_f32 v5, v138, v205, -v5
	v_fmac_f32_e32 v158, v139, v205
	v_add_f32_e32 v2, v2, v4
	v_fma_f32 v3, v140, v163, -v3
	v_add_f32_e32 v1, v1, v172
	v_fmac_f32_e32 v7, v141, v163
	v_add_f32_e32 v2, v2, v5
	v_add_f32_e32 v1, v1, v158
	;; [unrolled: 1-line block ×4, first 2 shown]
	s_waitcnt vmcnt(0)
	v_sub_f32_e32 v2, v207, v2
	v_sub_f32_e32 v1, v195, v1
	buffer_store_dword v2, off, s[0:3], 0 offset:200
	buffer_store_dword v1, off, s[0:3], 0 offset:204
	v_cmpx_lt_u32_e32 24, v0
	s_cbranch_execz .LBB59_325
; %bb.324:
	s_clause 0x1
	buffer_load_dword v1, off, s[0:3], 0 offset:192
	buffer_load_dword v2, off, s[0:3], 0 offset:196
	v_mov_b32_e32 v3, 0
	buffer_store_dword v3, off, s[0:3], 0 offset:192
	buffer_store_dword v3, off, s[0:3], 0 offset:196
	s_waitcnt vmcnt(0)
	ds_write_b64 v133, v[1:2]
.LBB59_325:
	s_or_b32 exec_lo, exec_lo, s4
	s_waitcnt lgkmcnt(0)
	s_waitcnt_vscnt null, 0x0
	s_barrier
	buffer_gl0_inv
	s_clause 0x23
	buffer_load_dword v2, off, s[0:3], 0 offset:204
	buffer_load_dword v3, off, s[0:3], 0 offset:212
	;; [unrolled: 1-line block ×36, first 2 shown]
	v_mov_b32_e32 v1, 0
	s_clause 0x1
	buffer_load_dword v175, off, s[0:3], 0 offset:340
	buffer_load_dword v176, off, s[0:3], 0 offset:348
	s_mov_b32 s4, exec_lo
	ds_read2_b64 v[4:7], v1 offset0:85 offset1:86
	s_clause 0x7
	buffer_load_dword v177, off, s[0:3], 0 offset:356
	buffer_load_dword v178, off, s[0:3], 0 offset:364
	;; [unrolled: 1-line block ×8, first 2 shown]
	ds_read2_b64 v[8:11], v1 offset0:87 offset1:88
	s_clause 0x3
	buffer_load_dword v185, off, s[0:3], 0 offset:388
	buffer_load_dword v186, off, s[0:3], 0 offset:396
	;; [unrolled: 1-line block ×4, first 2 shown]
	ds_read2_b64 v[134:137], v1 offset0:89 offset1:90
	s_clause 0x4
	buffer_load_dword v189, off, s[0:3], 0 offset:420
	buffer_load_dword v190, off, s[0:3], 0 offset:428
	buffer_load_dword v191, off, s[0:3], 0 offset:436
	buffer_load_dword v192, off, s[0:3], 0 offset:444
	buffer_load_dword v193, off, s[0:3], 0 offset:196
	ds_read2_b64 v[138:141], v1 offset0:91 offset1:92
	s_waitcnt vmcnt(54) lgkmcnt(3)
	v_mul_f32_e32 v194, v5, v2
	v_mul_f32_e32 v195, v4, v2
	s_waitcnt vmcnt(53)
	v_mul_f32_e32 v196, v6, v3
	v_mul_f32_e32 v2, v7, v3
	s_waitcnt vmcnt(50)
	v_fma_f32 v194, v4, v143, -v194
	v_fmac_f32_e32 v195, v5, v143
	v_fmac_f32_e32 v196, v7, v142
	v_fma_f32 v142, v6, v142, -v2
	ds_read2_b64 v[2:5], v1 offset0:93 offset1:94
	s_waitcnt vmcnt(49) lgkmcnt(3)
	v_mul_f32_e32 v143, v8, v144
	v_mul_f32_e32 v6, v9, v144
	s_clause 0x7
	buffer_load_dword v198, off, s[0:3], 0 offset:452
	buffer_load_dword v199, off, s[0:3], 0 offset:460
	;; [unrolled: 1-line block ×8, first 2 shown]
	s_waitcnt vmcnt(56)
	v_mul_f32_e32 v144, v10, v145
	v_mul_f32_e32 v7, v11, v145
	s_waitcnt vmcnt(55) lgkmcnt(2)
	v_mul_f32_e32 v145, v134, v146
	v_mul_f32_e32 v146, v135, v146
	v_fmac_f32_e32 v143, v9, v12
	v_fma_f32 v12, v8, v12, -v6
	s_waitcnt vmcnt(54)
	v_mul_f32_e32 v6, v137, v147
	v_mul_f32_e32 v197, v136, v147
	s_waitcnt vmcnt(50)
	v_fmac_f32_e32 v144, v11, v151
	v_fma_f32 v11, v134, v150, -v146
	s_waitcnt vmcnt(49) lgkmcnt(1)
	v_mul_f32_e32 v146, v138, v152
	v_fma_f32 v134, v136, v149, -v6
	v_mul_f32_e32 v6, v139, v152
	v_fma_f32 v10, v10, v151, -v7
	v_fmac_f32_e32 v145, v135, v150
	v_fmac_f32_e32 v197, v137, v149
	s_waitcnt vmcnt(48)
	v_mul_f32_e32 v147, v140, v153
	v_mul_f32_e32 v7, v141, v153
	v_fmac_f32_e32 v146, v139, v148
	v_fma_f32 v138, v138, v148, -v6
	s_waitcnt vmcnt(43) lgkmcnt(0)
	v_mul_f32_e32 v148, v2, v158
	v_mul_f32_e32 v135, v3, v158
	s_waitcnt vmcnt(42)
	v_mul_f32_e32 v149, v4, v159
	v_mul_f32_e32 v136, v5, v159
	v_fmac_f32_e32 v147, v141, v157
	v_fma_f32 v139, v140, v157, -v7
	ds_read2_b64 v[6:9], v1 offset0:95 offset1:96
	v_fmac_f32_e32 v148, v3, v156
	v_fma_f32 v150, v2, v156, -v135
	v_fmac_f32_e32 v149, v5, v155
	v_fma_f32 v151, v4, v155, -v136
	s_clause 0x3
	buffer_load_dword v155, off, s[0:3], 0 offset:440
	buffer_load_dword v156, off, s[0:3], 0 offset:432
	;; [unrolled: 1-line block ×4, first 2 shown]
	v_add_f32_e32 v2, 0, v194
	s_clause 0x3
	buffer_load_dword v159, off, s[0:3], 0 offset:472
	buffer_load_dword v194, off, s[0:3], 0 offset:464
	buffer_load_dword v206, off, s[0:3], 0 offset:456
	buffer_load_dword v207, off, s[0:3], 0 offset:448
	v_add_f32_e32 v3, 0, v195
	buffer_load_dword v195, off, s[0:3], 0 offset:192
	v_add_f32_e32 v2, v2, v142
	v_add_f32_e32 v3, v3, v196
	v_add_f32_e32 v2, v2, v12
	v_add_f32_e32 v3, v3, v143
	s_waitcnt vmcnt(50) lgkmcnt(0)
	v_mul_f32_e32 v12, v6, v160
	v_mul_f32_e32 v4, v7, v160
	v_fmac_f32_e32 v12, v7, v154
	v_fma_f32 v142, v6, v154, -v4
	v_add_f32_e32 v6, v2, v10
	v_add_f32_e32 v7, v3, v144
	ds_read2_b64 v[2:5], v1 offset0:97 offset1:98
	v_add_f32_e32 v10, v6, v11
	s_waitcnt vmcnt(49)
	v_mul_f32_e32 v11, v8, v161
	v_mul_f32_e32 v6, v9, v161
	v_add_f32_e32 v135, v7, v145
	v_add_f32_e32 v10, v10, v134
	s_waitcnt vmcnt(45)
	v_fmac_f32_e32 v11, v9, v165
	v_fma_f32 v152, v8, v165, -v6
	ds_read2_b64 v[6:9], v1 offset0:99 offset1:100
	v_add_f32_e32 v140, v135, v197
	ds_read2_b64 v[134:137], v1 offset0:101 offset1:102
	v_add_f32_e32 v10, v10, v138
	v_add_f32_e32 v140, v140, v146
	;; [unrolled: 1-line block ×3, first 2 shown]
	s_waitcnt vmcnt(44) lgkmcnt(2)
	v_mul_f32_e32 v138, v3, v166
	v_mul_f32_e32 v153, v2, v166
	s_waitcnt vmcnt(43)
	v_mul_f32_e32 v143, v5, v167
	v_fma_f32 v154, v2, v164, -v138
	v_add_f32_e32 v2, v140, v147
	v_fmac_f32_e32 v153, v3, v164
	v_add_f32_e32 v3, v10, v150
	ds_read2_b64 v[138:141], v1 offset0:103 offset1:104
	v_mul_f32_e32 v10, v4, v167
	v_add_f32_e32 v2, v2, v148
	s_waitcnt vmcnt(42) lgkmcnt(2)
	v_mul_f32_e32 v144, v7, v168
	v_add_f32_e32 v3, v3, v151
	v_mul_f32_e32 v160, v6, v168
	s_waitcnt vmcnt(40) lgkmcnt(1)
	v_mul_f32_e32 v164, v134, v170
	v_add_f32_e32 v2, v2, v149
	v_fma_f32 v151, v6, v162, -v144
	v_add_f32_e32 v6, v3, v142
	v_fmac_f32_e32 v160, v7, v162
	s_waitcnt vmcnt(37)
	v_fmac_f32_e32 v164, v135, v173
	v_add_f32_e32 v7, v2, v12
	v_mul_f32_e32 v12, v135, v170
	v_add_f32_e32 v135, v6, v152
	v_fma_f32 v150, v4, v163, -v143
	v_fmac_f32_e32 v10, v5, v163
	v_add_f32_e32 v11, v7, v11
	v_fma_f32 v12, v134, v173, -v12
	v_add_f32_e32 v134, v135, v154
	v_mul_f32_e32 v146, v9, v169
	v_mul_f32_e32 v161, v8, v169
	v_add_f32_e32 v11, v11, v153
	ds_read2_b64 v[2:5], v1 offset0:105 offset1:106
	ds_read2_b64 v[142:145], v1 offset0:107 offset1:108
	v_add_f32_e32 v134, v134, v150
	s_waitcnt vmcnt(36)
	v_fma_f32 v162, v8, v174, -v146
	v_fmac_f32_e32 v161, v9, v174
	v_add_f32_e32 v10, v11, v10
	s_waitcnt vmcnt(35)
	v_mul_f32_e32 v135, v137, v175
	v_add_f32_e32 v169, v134, v151
	v_mul_f32_e32 v154, v136, v175
	s_waitcnt vmcnt(34) lgkmcnt(2)
	v_mul_f32_e32 v150, v139, v176
	v_add_f32_e32 v160, v10, v160
	v_fma_f32 v167, v136, v172, -v135
	v_add_f32_e32 v162, v169, v162
	v_mul_f32_e32 v163, v138, v176
	v_fmac_f32_e32 v154, v137, v172
	v_add_f32_e32 v160, v160, v161
	s_waitcnt vmcnt(33)
	v_mul_f32_e32 v166, v141, v177
	v_add_f32_e32 v12, v162, v12
	v_fma_f32 v168, v138, v171, -v150
	v_mul_f32_e32 v165, v140, v177
	v_add_f32_e32 v160, v160, v164
	v_fmac_f32_e32 v163, v139, v171
	v_add_f32_e32 v12, v12, v167
	s_waitcnt vmcnt(26)
	v_fma_f32 v166, v140, v184, -v166
	s_waitcnt lgkmcnt(1)
	v_mul_f32_e32 v170, v3, v178
	v_add_f32_e32 v154, v160, v154
	ds_read2_b64 v[6:9], v1 offset0:109 offset1:110
	ds_read2_b64 v[146:149], v1 offset0:111 offset1:112
	v_add_f32_e32 v12, v12, v168
	v_fmac_f32_e32 v165, v141, v184
	v_mul_f32_e32 v169, v2, v178
	v_add_f32_e32 v154, v154, v163
	v_mul_f32_e32 v171, v5, v179
	v_fma_f32 v2, v2, v183, -v170
	v_add_f32_e32 v12, v12, v166
	v_mul_f32_e32 v161, v4, v179
	v_fmac_f32_e32 v169, v3, v183
	v_add_f32_e32 v154, v154, v165
	s_waitcnt lgkmcnt(2)
	v_mul_f32_e32 v170, v143, v180
	v_fma_f32 v4, v4, v182, -v171
	v_add_f32_e32 v2, v12, v2
	v_mul_f32_e32 v162, v142, v180
	v_fmac_f32_e32 v161, v5, v182
	v_add_f32_e32 v12, v154, v169
	s_waitcnt vmcnt(25)
	v_mul_f32_e32 v165, v145, v185
	v_fma_f32 v142, v142, v181, -v170
	v_add_f32_e32 v2, v2, v4
	v_mul_f32_e32 v164, v144, v185
	v_fmac_f32_e32 v162, v143, v181
	v_add_f32_e32 v4, v12, v161
	s_waitcnt vmcnt(24) lgkmcnt(1)
	v_mul_f32_e32 v12, v7, v186
	v_add_f32_e32 v2, v2, v142
	ds_read2_b64 v[134:137], v1 offset0:113 offset1:114
	ds_read2_b64 v[150:153], v1 offset0:115 offset1:116
	v_mul_f32_e32 v3, v6, v186
	v_add_f32_e32 v4, v4, v162
	s_waitcnt vmcnt(23)
	v_mul_f32_e32 v142, v9, v187
	v_mul_f32_e32 v167, v8, v187
	s_waitcnt vmcnt(22) lgkmcnt(2)
	v_mul_f32_e32 v160, v146, v188
	s_waitcnt vmcnt(21)
	v_mul_f32_e32 v5, v148, v189
	ds_read2_b64 v[138:141], v1 offset0:117 offset1:118
	ds_read_b64 v[10:11], v1 offset:952
	s_waitcnt vmcnt(20) lgkmcnt(3)
	v_mul_f32_e32 v171, v134, v190
	s_waitcnt vmcnt(19)
	v_mul_f32_e32 v163, v136, v191
	s_waitcnt vmcnt(18) lgkmcnt(2)
	v_mul_f32_e32 v168, v150, v192
	s_waitcnt vmcnt(16)
	v_mul_f32_e32 v172, v152, v198
	s_waitcnt vmcnt(12)
	v_fmac_f32_e32 v160, v147, v202
	s_waitcnt vmcnt(11)
	v_fma_f32 v8, v8, v203, -v142
	s_waitcnt vmcnt(10)
	v_fma_f32 v6, v6, v204, -v12
	;; [unrolled: 2-line block ×3, first 2 shown]
	v_fmac_f32_e32 v164, v145, v205
	v_fmac_f32_e32 v3, v7, v204
	v_mul_f32_e32 v7, v147, v188
	v_fmac_f32_e32 v167, v9, v203
	v_add_f32_e32 v2, v2, v143
	v_add_f32_e32 v4, v4, v164
	s_waitcnt lgkmcnt(1)
	v_mul_f32_e32 v166, v138, v199
	v_mul_f32_e32 v173, v140, v200
	s_waitcnt lgkmcnt(0)
	v_mul_f32_e32 v154, v10, v201
	v_add_f32_e32 v2, v2, v6
	v_add_f32_e32 v3, v4, v3
	v_mul_f32_e32 v4, v149, v189
	v_fma_f32 v6, v146, v202, -v7
	v_mul_f32_e32 v7, v135, v190
	v_add_f32_e32 v2, v2, v8
	v_add_f32_e32 v3, v3, v167
	;; [unrolled: 1-line block ×4, first 2 shown]
	v_mul_f32_e32 v6, v137, v191
	s_waitcnt vmcnt(8)
	v_fmac_f32_e32 v168, v151, v155
	s_waitcnt vmcnt(7)
	v_fmac_f32_e32 v163, v137, v156
	s_waitcnt vmcnt(6)
	v_fma_f32 v7, v134, v157, -v7
	s_waitcnt vmcnt(5)
	v_fma_f32 v4, v148, v158, -v4
	v_fmac_f32_e32 v5, v149, v158
	v_fmac_f32_e32 v171, v135, v157
	s_waitcnt vmcnt(1)
	v_fmac_f32_e32 v172, v153, v207
	v_fmac_f32_e32 v166, v139, v206
	v_add_f32_e32 v2, v2, v4
	v_add_f32_e32 v3, v3, v5
	v_mul_f32_e32 v4, v151, v192
	v_fma_f32 v5, v136, v156, -v6
	v_mul_f32_e32 v6, v153, v198
	v_add_f32_e32 v2, v2, v7
	v_add_f32_e32 v3, v3, v171
	v_fma_f32 v4, v150, v155, -v4
	v_fmac_f32_e32 v173, v141, v194
	v_fma_f32 v6, v152, v207, -v6
	v_add_f32_e32 v2, v2, v5
	v_add_f32_e32 v3, v3, v163
	v_mul_f32_e32 v5, v139, v199
	v_fmac_f32_e32 v154, v11, v159
	v_add_f32_e32 v2, v2, v4
	v_add_f32_e32 v3, v3, v168
	v_mul_f32_e32 v4, v141, v200
	v_fma_f32 v5, v138, v206, -v5
	v_add_f32_e32 v2, v2, v6
	v_add_f32_e32 v3, v3, v172
	v_mul_f32_e32 v6, v11, v201
	v_fma_f32 v4, v140, v194, -v4
	v_add_f32_e32 v2, v2, v5
	v_add_f32_e32 v3, v3, v166
	v_fma_f32 v5, v10, v159, -v6
	v_add_f32_e32 v2, v2, v4
	v_add_f32_e32 v3, v3, v173
	;; [unrolled: 1-line block ×4, first 2 shown]
	s_waitcnt vmcnt(0)
	v_sub_f32_e32 v2, v195, v2
	v_sub_f32_e32 v3, v193, v3
	buffer_store_dword v2, off, s[0:3], 0 offset:192
	buffer_store_dword v3, off, s[0:3], 0 offset:196
	v_cmpx_lt_u32_e32 23, v0
	s_cbranch_execz .LBB59_327
; %bb.326:
	s_clause 0x1
	buffer_load_dword v2, off, s[0:3], 0 offset:184
	buffer_load_dword v3, off, s[0:3], 0 offset:188
	buffer_store_dword v1, off, s[0:3], 0 offset:184
	buffer_store_dword v1, off, s[0:3], 0 offset:188
	s_waitcnt vmcnt(0)
	ds_write_b64 v133, v[2:3]
.LBB59_327:
	s_or_b32 exec_lo, exec_lo, s4
	s_waitcnt lgkmcnt(0)
	s_waitcnt_vscnt null, 0x0
	s_barrier
	buffer_gl0_inv
	s_clause 0x23
	buffer_load_dword v142, off, s[0:3], 0 offset:196
	buffer_load_dword v143, off, s[0:3], 0 offset:204
	;; [unrolled: 1-line block ×36, first 2 shown]
	ds_read_b128 v[5:8], v1 offset:672
	s_clause 0x2
	buffer_load_dword v178, off, s[0:3], 0 offset:332
	buffer_load_dword v179, off, s[0:3], 0 offset:340
	;; [unrolled: 1-line block ×3, first 2 shown]
	ds_read_b128 v[9:12], v1 offset:688
	s_clause 0x3
	buffer_load_dword v181, off, s[0:3], 0 offset:380
	buffer_load_dword v4, off, s[0:3], 0 offset:388
	;; [unrolled: 1-line block ×4, first 2 shown]
	ds_read_b128 v[134:137], v1 offset:704
	s_clause 0x6
	buffer_load_dword v182, off, s[0:3], 0 offset:356
	buffer_load_dword v183, off, s[0:3], 0 offset:364
	;; [unrolled: 1-line block ×7, first 2 shown]
	ds_read_b128 v[138:141], v1 offset:720
	buffer_load_dword v192, off, s[0:3], 0 offset:188
	s_mov_b32 s4, exec_lo
	s_waitcnt vmcnt(50) lgkmcnt(3)
	v_mul_f32_e32 v189, v6, v142
	v_mul_f32_e32 v190, v5, v142
	s_waitcnt vmcnt(49)
	v_mul_f32_e32 v191, v7, v143
	v_mul_f32_e32 v142, v8, v143
	s_waitcnt vmcnt(46)
	v_fma_f32 v189, v5, v145, -v189
	v_fmac_f32_e32 v190, v6, v145
	v_fmac_f32_e32 v191, v8, v144
	v_fma_f32 v193, v7, v144, -v142
	ds_read_b128 v[5:8], v1 offset:736
	ds_read_b128 v[142:145], v1 offset:752
	s_waitcnt vmcnt(45) lgkmcnt(4)
	v_mul_f32_e32 v194, v9, v147
	v_mul_f32_e32 v147, v10, v147
	s_waitcnt vmcnt(43) lgkmcnt(3)
	v_mul_f32_e32 v196, v134, v149
	v_mul_f32_e32 v149, v135, v149
	;; [unrolled: 1-line block ×3, first 2 shown]
	v_fmac_f32_e32 v194, v10, v146
	v_fma_f32 v146, v9, v146, -v147
	s_waitcnt vmcnt(42)
	v_mul_f32_e32 v9, v137, v150
	v_mul_f32_e32 v148, v12, v148
	;; [unrolled: 1-line block ×3, first 2 shown]
	s_waitcnt vmcnt(39)
	v_fmac_f32_e32 v196, v135, v153
	v_fma_f32 v134, v134, v153, -v149
	v_fma_f32 v135, v136, v152, -v9
	s_waitcnt vmcnt(37) lgkmcnt(2)
	v_mul_f32_e32 v136, v138, v155
	v_mul_f32_e32 v9, v139, v155
	s_waitcnt vmcnt(36)
	v_mul_f32_e32 v149, v140, v156
	v_mul_f32_e32 v10, v141, v156
	v_fmac_f32_e32 v195, v12, v154
	v_fma_f32 v148, v11, v154, -v148
	s_clause 0x3
	buffer_load_dword v154, off, s[0:3], 0 offset:412
	buffer_load_dword v197, off, s[0:3], 0 offset:420
	;; [unrolled: 1-line block ×4, first 2 shown]
	v_fmac_f32_e32 v147, v137, v152
	s_clause 0x4
	buffer_load_dword v200, off, s[0:3], 0 offset:444
	buffer_load_dword v201, off, s[0:3], 0 offset:452
	;; [unrolled: 1-line block ×5, first 2 shown]
	v_fmac_f32_e32 v136, v139, v151
	v_fma_f32 v137, v138, v151, -v9
	s_waitcnt vmcnt(44) lgkmcnt(1)
	v_mul_f32_e32 v138, v5, v157
	v_mul_f32_e32 v9, v6, v157
	s_waitcnt vmcnt(40)
	v_fmac_f32_e32 v149, v141, v161
	v_fma_f32 v139, v140, v161, -v10
	s_waitcnt vmcnt(39)
	v_mul_f32_e32 v150, v7, v162
	v_mul_f32_e32 v10, v8, v162
	s_clause 0x3
	buffer_load_dword v156, off, s[0:3], 0 offset:400
	buffer_load_dword v157, off, s[0:3], 0 offset:392
	;; [unrolled: 1-line block ×4, first 2 shown]
	v_fmac_f32_e32 v138, v6, v160
	v_fma_f32 v140, v5, v160, -v9
	v_fmac_f32_e32 v150, v8, v159
	v_fma_f32 v151, v7, v159, -v10
	ds_read_b128 v[5:8], v1 offset:768
	s_waitcnt vmcnt(42) lgkmcnt(1)
	v_mul_f32_e32 v152, v142, v163
	v_mul_f32_e32 v9, v143, v163
	s_waitcnt vmcnt(41)
	v_mul_f32_e32 v153, v144, v164
	v_mul_f32_e32 v10, v145, v164
	v_fmac_f32_e32 v152, v143, v158
	v_fma_f32 v142, v142, v158, -v9
	s_clause 0x3
	buffer_load_dword v158, off, s[0:3], 0 offset:432
	buffer_load_dword v159, off, s[0:3], 0 offset:424
	;; [unrolled: 1-line block ×4, first 2 shown]
	v_add_f32_e32 v9, 0, v189
	s_waitcnt vmcnt(41)
	v_fmac_f32_e32 v153, v145, v168
	v_fma_f32 v143, v144, v168, -v10
	v_add_f32_e32 v10, 0, v190
	v_add_f32_e32 v141, v9, v193
	;; [unrolled: 1-line block ×3, first 2 shown]
	ds_read_b128 v[9:12], v1 offset:784
	v_add_f32_e32 v141, v141, v146
	s_waitcnt vmcnt(40) lgkmcnt(1)
	v_mul_f32_e32 v146, v5, v169
	v_mul_f32_e32 v145, v6, v169
	v_add_f32_e32 v144, v144, v194
	s_waitcnt vmcnt(39)
	v_mul_f32_e32 v193, v7, v170
	v_fmac_f32_e32 v146, v6, v167
	v_fma_f32 v164, v5, v167, -v145
	s_clause 0x5
	buffer_load_dword v167, off, s[0:3], 0 offset:464
	buffer_load_dword v168, off, s[0:3], 0 offset:456
	;; [unrolled: 1-line block ×6, first 2 shown]
	v_add_f32_e32 v5, v141, v148
	v_add_f32_e32 v6, v144, v195
	v_fmac_f32_e32 v193, v8, v166
	v_add_f32_e32 v5, v5, v134
	v_add_f32_e32 v6, v6, v196
	v_mul_f32_e32 v134, v8, v170
	s_waitcnt vmcnt(43) lgkmcnt(0)
	v_mul_f32_e32 v145, v12, v172
	v_mul_f32_e32 v170, v9, v171
	v_add_f32_e32 v5, v5, v135
	v_add_f32_e32 v135, v6, v147
	v_fma_f32 v166, v7, v166, -v134
	v_fmac_f32_e32 v170, v10, v165
	v_add_f32_e32 v141, v5, v137
	ds_read_b128 v[5:8], v1 offset:800
	v_add_f32_e32 v144, v135, v136
	ds_read_b128 v[134:137], v1 offset:816
	v_add_f32_e32 v139, v141, v139
	v_mul_f32_e32 v141, v10, v171
	v_add_f32_e32 v144, v144, v149
	v_mul_f32_e32 v171, v11, v172
	s_waitcnt vmcnt(39)
	v_fma_f32 v172, v11, v176, -v145
	v_add_f32_e32 v147, v139, v140
	v_fma_f32 v165, v9, v165, -v141
	v_add_f32_e32 v144, v144, v138
	v_fmac_f32_e32 v171, v12, v176
	ds_read_b128 v[9:12], v1 offset:832
	ds_read_b128 v[138:141], v1 offset:848
	v_add_f32_e32 v145, v147, v151
	v_add_f32_e32 v144, v144, v150
	;; [unrolled: 1-line block ×3, first 2 shown]
	s_waitcnt vmcnt(38) lgkmcnt(3)
	v_mul_f32_e32 v176, v5, v177
	v_mul_f32_e32 v147, v6, v177
	s_waitcnt vmcnt(37)
	v_mul_f32_e32 v177, v7, v178
	v_mul_f32_e32 v148, v8, v178
	v_add_f32_e32 v144, v144, v152
	v_fmac_f32_e32 v176, v6, v175
	v_fma_f32 v175, v5, v175, -v147
	v_add_f32_e32 v147, v142, v143
	v_fmac_f32_e32 v177, v8, v174
	v_fma_f32 v174, v7, v174, -v148
	v_add_f32_e32 v148, v144, v153
	s_waitcnt vmcnt(35) lgkmcnt(2)
	v_mul_f32_e32 v150, v137, v180
	v_add_f32_e32 v151, v147, v164
	s_waitcnt vmcnt(30) lgkmcnt(1)
	v_mul_f32_e32 v152, v10, v182
	v_mul_f32_e32 v178, v134, v179
	;; [unrolled: 1-line block ×3, first 2 shown]
	s_waitcnt vmcnt(24)
	v_fma_f32 v164, v136, v188, -v150
	v_add_f32_e32 v150, v148, v146
	v_add_f32_e32 v151, v151, v166
	v_mul_f32_e32 v166, v9, v182
	v_fmac_f32_e32 v178, v135, v173
	v_fma_f32 v173, v134, v173, -v149
	v_add_f32_e32 v150, v150, v193
	v_mul_f32_e32 v179, v136, v180
	v_fmac_f32_e32 v166, v10, v187
	v_add_f32_e32 v10, v151, v165
	ds_read_b128 v[5:8], v1 offset:864
	ds_read_b128 v[142:145], v1 offset:880
	v_add_f32_e32 v150, v150, v170
	v_fmac_f32_e32 v179, v137, v188
	v_mul_f32_e32 v153, v12, v183
	v_add_f32_e32 v172, v10, v172
	v_fma_f32 v165, v9, v187, -v152
	v_add_f32_e32 v171, v150, v171
	v_mul_f32_e32 v180, v11, v183
	v_fma_f32 v170, v11, v186, -v153
	v_add_f32_e32 v172, v172, v175
	s_waitcnt lgkmcnt(2)
	v_mul_f32_e32 v175, v139, v184
	v_add_f32_e32 v171, v171, v176
	ds_read_b128 v[134:137], v1 offset:896
	ds_read_b128 v[146:149], v1 offset:912
	v_fmac_f32_e32 v180, v12, v186
	v_add_f32_e32 v172, v172, v174
	ds_read_b128 v[9:12], v1 offset:928
	ds_read_b128 v[150:153], v1 offset:944
	v_add_f32_e32 v171, v171, v177
	v_mul_f32_e32 v1, v138, v184
	v_mul_f32_e32 v176, v140, v181
	v_add_f32_e32 v172, v172, v173
	v_mul_f32_e32 v181, v141, v181
	v_add_f32_e32 v171, v171, v178
	v_fma_f32 v138, v138, v185, -v175
	v_fmac_f32_e32 v1, v139, v185
	v_add_f32_e32 v164, v172, v164
	s_waitcnt lgkmcnt(5)
	v_mul_f32_e32 v174, v5, v4
	v_add_f32_e32 v171, v171, v179
	v_mul_f32_e32 v4, v6, v4
	v_mul_f32_e32 v177, v7, v3
	v_add_f32_e32 v164, v164, v165
	v_mul_f32_e32 v3, v8, v3
	v_add_f32_e32 v166, v171, v166
	s_waitcnt lgkmcnt(4)
	v_mul_f32_e32 v182, v142, v2
	v_mul_f32_e32 v2, v143, v2
	v_add_f32_e32 v164, v164, v170
	v_add_f32_e32 v166, v166, v180
	;; [unrolled: 1-line block ×4, first 2 shown]
	s_waitcnt vmcnt(22)
	v_mul_f32_e32 v173, v144, v154
	s_waitcnt vmcnt(21) lgkmcnt(3)
	v_mul_f32_e32 v178, v134, v197
	s_waitcnt vmcnt(20)
	v_mul_f32_e32 v183, v136, v198
	s_waitcnt vmcnt(19) lgkmcnt(2)
	v_mul_f32_e32 v172, v146, v199
	;; [unrolled: 4-line block ×4, first 2 shown]
	s_waitcnt vmcnt(14)
	v_mul_f32_e32 v139, v152, v155
	s_waitcnt vmcnt(13)
	v_fma_f32 v2, v142, v156, -v2
	s_waitcnt vmcnt(12)
	v_fma_f32 v3, v7, v157, -v3
	;; [unrolled: 2-line block ×4, first 2 shown]
	v_fmac_f32_e32 v176, v141, v162
	v_fmac_f32_e32 v174, v6, v161
	;; [unrolled: 1-line block ×4, first 2 shown]
	v_add_f32_e32 v5, v138, v140
	v_add_f32_e32 v1, v1, v176
	v_add_f32_e32 v4, v5, v4
	v_add_f32_e32 v1, v1, v174
	v_mul_f32_e32 v5, v145, v154
	s_waitcnt vmcnt(6)
	v_fmac_f32_e32 v173, v145, v163
	v_fmac_f32_e32 v178, v135, v160
	v_add_f32_e32 v3, v4, v3
	v_add_f32_e32 v1, v1, v177
	v_mul_f32_e32 v4, v135, v197
	v_fma_f32 v5, v144, v163, -v5
	v_fmac_f32_e32 v183, v137, v159
	v_add_f32_e32 v2, v3, v2
	v_add_f32_e32 v1, v1, v182
	v_mul_f32_e32 v3, v137, v198
	v_fma_f32 v4, v134, v160, -v4
	;; [unrolled: 5-line block ×3, first 2 shown]
	s_waitcnt vmcnt(5)
	v_fmac_f32_e32 v171, v151, v167
	v_add_f32_e32 v2, v2, v4
	v_add_f32_e32 v1, v1, v178
	v_mul_f32_e32 v4, v149, v200
	v_fma_f32 v5, v146, v158, -v5
	s_waitcnt vmcnt(2)
	v_fmac_f32_e32 v179, v149, v189
	v_add_f32_e32 v2, v2, v3
	v_add_f32_e32 v1, v1, v183
	v_mul_f32_e32 v3, v10, v201
	v_fma_f32 v4, v148, v189, -v4
	v_fmac_f32_e32 v184, v10, v169
	v_add_f32_e32 v2, v2, v5
	v_add_f32_e32 v1, v1, v172
	v_mul_f32_e32 v5, v12, v202
	v_fma_f32 v3, v9, v169, -v3
	;; [unrolled: 5-line block ×3, first 2 shown]
	s_waitcnt vmcnt(1)
	v_fmac_f32_e32 v139, v153, v190
	v_add_f32_e32 v2, v2, v3
	v_add_f32_e32 v1, v1, v184
	v_mul_f32_e32 v3, v153, v155
	v_fma_f32 v4, v150, v167, -v4
	v_add_f32_e32 v2, v2, v5
	v_add_f32_e32 v1, v1, v165
	v_fma_f32 v3, v152, v190, -v3
	v_add_f32_e32 v2, v2, v4
	v_add_f32_e32 v1, v1, v171
	;; [unrolled: 1-line block ×4, first 2 shown]
	s_waitcnt vmcnt(0)
	v_sub_f32_e32 v2, v191, v2
	v_sub_f32_e32 v1, v192, v1
	buffer_store_dword v2, off, s[0:3], 0 offset:184
	buffer_store_dword v1, off, s[0:3], 0 offset:188
	v_cmpx_lt_u32_e32 22, v0
	s_cbranch_execz .LBB59_329
; %bb.328:
	s_clause 0x1
	buffer_load_dword v1, off, s[0:3], 0 offset:176
	buffer_load_dword v2, off, s[0:3], 0 offset:180
	v_mov_b32_e32 v3, 0
	buffer_store_dword v3, off, s[0:3], 0 offset:176
	buffer_store_dword v3, off, s[0:3], 0 offset:180
	s_waitcnt vmcnt(0)
	ds_write_b64 v133, v[1:2]
.LBB59_329:
	s_or_b32 exec_lo, exec_lo, s4
	s_waitcnt lgkmcnt(0)
	s_waitcnt_vscnt null, 0x0
	s_barrier
	buffer_gl0_inv
	s_clause 0x25
	buffer_load_dword v2, off, s[0:3], 0 offset:188
	buffer_load_dword v3, off, s[0:3], 0 offset:196
	;; [unrolled: 1-line block ×38, first 2 shown]
	v_mov_b32_e32 v1, 0
	ds_read2_b64 v[4:7], v1 offset0:83 offset1:84
	ds_read2_b64 v[8:11], v1 offset0:85 offset1:86
	s_clause 0x10
	buffer_load_dword v177, off, s[0:3], 0 offset:340
	buffer_load_dword v178, off, s[0:3], 0 offset:348
	;; [unrolled: 1-line block ×17, first 2 shown]
	ds_read2_b64 v[134:137], v1 offset0:87 offset1:88
	ds_read2_b64 v[138:141], v1 offset0:89 offset1:90
	s_mov_b32 s4, exec_lo
	s_waitcnt vmcnt(54) lgkmcnt(3)
	v_mul_f32_e32 v194, v5, v2
	v_mul_f32_e32 v195, v4, v2
	s_waitcnt vmcnt(53)
	v_mul_f32_e32 v196, v6, v3
	v_mul_f32_e32 v2, v7, v3
	s_waitcnt vmcnt(52) lgkmcnt(2)
	v_mul_f32_e32 v197, v8, v12
	v_mul_f32_e32 v3, v9, v12
	s_waitcnt vmcnt(49)
	v_fma_f32 v12, v4, v144, -v194
	s_waitcnt vmcnt(48)
	v_mul_f32_e32 v4, v11, v145
	v_fmac_f32_e32 v195, v5, v144
	v_mul_f32_e32 v144, v10, v145
	v_fmac_f32_e32 v196, v7, v143
	v_fma_f32 v143, v6, v143, -v2
	v_fmac_f32_e32 v197, v9, v142
	v_fma_f32 v142, v8, v142, -v3
	s_waitcnt vmcnt(44)
	v_fma_f32 v10, v10, v149, -v4
	ds_read2_b64 v[2:5], v1 offset0:91 offset1:92
	ds_read2_b64 v[6:9], v1 offset0:93 offset1:94
	v_fmac_f32_e32 v144, v11, v149
	s_waitcnt vmcnt(43) lgkmcnt(3)
	v_mul_f32_e32 v11, v134, v150
	v_mul_f32_e32 v145, v135, v150
	s_waitcnt vmcnt(42)
	v_mul_f32_e32 v149, v136, v151
	v_mul_f32_e32 v150, v137, v151
	s_waitcnt vmcnt(41) lgkmcnt(2)
	v_mul_f32_e32 v151, v138, v152
	v_mul_f32_e32 v152, v139, v152
	v_fmac_f32_e32 v11, v135, v148
	v_fma_f32 v134, v134, v148, -v145
	s_waitcnt vmcnt(40)
	v_mul_f32_e32 v135, v140, v153
	v_mul_f32_e32 v145, v141, v153
	v_fmac_f32_e32 v149, v137, v147
	v_fma_f32 v136, v136, v147, -v150
	v_fmac_f32_e32 v151, v139, v146
	v_fma_f32 v137, v138, v146, -v152
	s_waitcnt vmcnt(36)
	v_fmac_f32_e32 v135, v141, v157
	v_fma_f32 v138, v140, v157, -v145
	s_clause 0x3
	buffer_load_dword v194, off, s[0:3], 0 offset:404
	buffer_load_dword v198, off, s[0:3], 0 offset:412
	;; [unrolled: 1-line block ×4, first 2 shown]
	s_waitcnt vmcnt(39) lgkmcnt(1)
	v_mul_f32_e32 v139, v2, v158
	v_mul_f32_e32 v140, v3, v158
	s_waitcnt vmcnt(38)
	v_mul_f32_e32 v141, v4, v159
	v_mul_f32_e32 v145, v5, v159
	s_waitcnt vmcnt(37) lgkmcnt(0)
	v_mul_f32_e32 v147, v7, v160
	s_clause 0x3
	buffer_load_dword v157, off, s[0:3], 0 offset:436
	buffer_load_dword v201, off, s[0:3], 0 offset:444
	buffer_load_dword v202, off, s[0:3], 0 offset:452
	buffer_load_dword v203, off, s[0:3], 0 offset:460
	v_fmac_f32_e32 v139, v3, v156
	v_fma_f32 v140, v2, v156, -v140
	v_mul_f32_e32 v146, v6, v160
	v_fmac_f32_e32 v141, v5, v155
	v_fma_f32 v145, v4, v155, -v145
	ds_read2_b64 v[2:5], v1 offset0:95 offset1:96
	v_fma_f32 v147, v6, v154, -v147
	s_waitcnt vmcnt(40)
	v_mul_f32_e32 v6, v9, v161
	s_clause 0x1
	buffer_load_dword v158, off, s[0:3], 0 offset:468
	buffer_load_dword v155, off, s[0:3], 0 offset:476
	v_fmac_f32_e32 v146, v7, v154
	v_mul_f32_e32 v148, v8, v161
	s_waitcnt vmcnt(38)
	v_fma_f32 v150, v8, v165, -v6
	v_add_f32_e32 v6, 0, v12
	s_clause 0x3
	buffer_load_dword v12, off, s[0:3], 0 offset:424
	buffer_load_dword v154, off, s[0:3], 0 offset:416
	;; [unrolled: 1-line block ×4, first 2 shown]
	v_add_f32_e32 v7, 0, v195
	v_fmac_f32_e32 v148, v9, v165
	v_add_f32_e32 v6, v6, v143
	v_add_f32_e32 v143, v7, v196
	;; [unrolled: 1-line block ×3, first 2 shown]
	ds_read2_b64 v[6:9], v1 offset0:97 offset1:98
	s_waitcnt vmcnt(41) lgkmcnt(1)
	v_mul_f32_e32 v152, v2, v166
	v_mul_f32_e32 v153, v3, v166
	v_add_f32_e32 v143, v143, v197
	v_add_f32_e32 v10, v142, v10
	v_fmac_f32_e32 v152, v3, v164
	v_fma_f32 v142, v2, v164, -v153
	s_clause 0x6
	buffer_load_dword v160, off, s[0:3], 0 offset:456
	buffer_load_dword v161, off, s[0:3], 0 offset:448
	;; [unrolled: 1-line block ×7, first 2 shown]
	v_add_f32_e32 v2, v143, v144
	v_add_f32_e32 v3, v10, v134
	s_waitcnt vmcnt(47)
	v_mul_f32_e32 v10, v4, v167
	v_add_f32_e32 v2, v2, v11
	v_add_f32_e32 v3, v3, v136
	v_mul_f32_e32 v11, v5, v167
	v_fmac_f32_e32 v10, v5, v163
	s_waitcnt vmcnt(45) lgkmcnt(0)
	v_mul_f32_e32 v153, v8, v169
	v_add_f32_e32 v2, v2, v149
	v_add_f32_e32 v3, v3, v137
	v_fma_f32 v11, v4, v163, -v11
	s_waitcnt vmcnt(41)
	v_fmac_f32_e32 v153, v9, v173
	v_add_f32_e32 v134, v2, v151
	v_add_f32_e32 v138, v3, v138
	ds_read2_b64 v[2:5], v1 offset0:99 offset1:100
	v_mul_f32_e32 v151, v6, v168
	v_add_f32_e32 v143, v134, v135
	v_add_f32_e32 v138, v138, v140
	v_mul_f32_e32 v140, v7, v168
	ds_read2_b64 v[134:137], v1 offset0:101 offset1:102
	v_fmac_f32_e32 v151, v7, v162
	v_add_f32_e32 v139, v143, v139
	v_mul_f32_e32 v143, v9, v169
	v_add_f32_e32 v144, v138, v145
	v_fma_f32 v162, v6, v162, -v140
	v_fma_f32 v163, v8, v173, -v143
	v_add_f32_e32 v143, v139, v141
	v_add_f32_e32 v144, v144, v147
	ds_read2_b64 v[6:9], v1 offset0:103 offset1:104
	ds_read2_b64 v[138:141], v1 offset0:105 offset1:106
	v_add_f32_e32 v143, v143, v146
	s_waitcnt vmcnt(39) lgkmcnt(3)
	v_mul_f32_e32 v168, v4, v175
	v_mul_f32_e32 v146, v5, v175
	v_add_f32_e32 v144, v144, v150
	v_mul_f32_e32 v145, v3, v174
	v_add_f32_e32 v143, v143, v148
	v_fmac_f32_e32 v168, v5, v171
	v_fma_f32 v171, v4, v171, -v146
	v_add_f32_e32 v146, v144, v142
	v_mul_f32_e32 v167, v2, v174
	v_add_f32_e32 v148, v143, v152
	v_fma_f32 v150, v2, v172, -v145
	s_waitcnt vmcnt(38) lgkmcnt(2)
	v_mul_f32_e32 v169, v134, v176
	v_add_f32_e32 v11, v146, v11
	v_fmac_f32_e32 v167, v3, v172
	v_add_f32_e32 v10, v148, v10
	v_mul_f32_e32 v147, v135, v176
	s_waitcnt vmcnt(37)
	v_mul_f32_e32 v149, v137, v177
	v_add_f32_e32 v11, v11, v162
	s_waitcnt vmcnt(36) lgkmcnt(1)
	v_mul_f32_e32 v162, v6, v178
	v_add_f32_e32 v10, v10, v151
	v_mul_f32_e32 v151, v7, v178
	v_fmac_f32_e32 v169, v135, v170
	v_fma_f32 v170, v134, v170, -v147
	s_waitcnt vmcnt(31)
	v_fmac_f32_e32 v162, v7, v183
	v_add_f32_e32 v7, v11, v163
	v_add_f32_e32 v10, v10, v153
	v_mul_f32_e32 v173, v136, v177
	s_waitcnt vmcnt(30)
	v_fma_f32 v172, v136, v184, -v149
	ds_read2_b64 v[2:5], v1 offset0:107 offset1:108
	ds_read2_b64 v[142:145], v1 offset0:109 offset1:110
	v_add_f32_e32 v176, v7, v150
	v_add_f32_e32 v167, v10, v167
	v_fmac_f32_e32 v173, v137, v184
	v_mul_f32_e32 v152, v9, v179
	v_fma_f32 v163, v6, v183, -v151
	v_add_f32_e32 v171, v176, v171
	v_add_f32_e32 v167, v167, v168
	v_mul_f32_e32 v174, v8, v179
	v_fma_f32 v175, v8, v182, -v152
	s_waitcnt lgkmcnt(2)
	v_mul_f32_e32 v177, v139, v180
	v_add_f32_e32 v170, v171, v170
	v_add_f32_e32 v167, v167, v169
	v_fmac_f32_e32 v174, v9, v182
	v_mul_f32_e32 v176, v138, v180
	s_waitcnt vmcnt(29)
	v_mul_f32_e32 v178, v141, v185
	v_add_f32_e32 v170, v170, v172
	v_add_f32_e32 v167, v167, v173
	v_fma_f32 v138, v138, v181, -v177
	v_mul_f32_e32 v168, v140, v185
	v_fmac_f32_e32 v176, v139, v181
	v_add_f32_e32 v163, v170, v163
	v_add_f32_e32 v162, v167, v162
	s_waitcnt vmcnt(28) lgkmcnt(1)
	v_mul_f32_e32 v171, v2, v186
	v_mul_f32_e32 v177, v3, v186
	s_waitcnt vmcnt(22)
	v_fma_f32 v140, v140, v192, -v178
	v_add_f32_e32 v163, v163, v175
	v_add_f32_e32 v162, v162, v174
	ds_read2_b64 v[134:137], v1 offset0:111 offset1:112
	ds_read2_b64 v[146:149], v1 offset0:113 offset1:114
	v_fmac_f32_e32 v168, v141, v192
	v_mul_f32_e32 v174, v5, v187
	v_add_f32_e32 v138, v163, v138
	v_add_f32_e32 v162, v162, v176
	v_fmac_f32_e32 v171, v3, v191
	v_fma_f32 v2, v2, v191, -v177
	v_mul_f32_e32 v169, v4, v187
	v_add_f32_e32 v3, v138, v140
	v_add_f32_e32 v138, v162, v168
	s_waitcnt lgkmcnt(2)
	v_mul_f32_e32 v140, v143, v188
	v_fma_f32 v4, v4, v190, -v174
	v_mul_f32_e32 v139, v142, v188
	v_add_f32_e32 v2, v3, v2
	v_fmac_f32_e32 v169, v5, v190
	v_add_f32_e32 v3, v138, v171
	v_fma_f32 v138, v142, v189, -v140
	v_fmac_f32_e32 v139, v143, v189
	v_add_f32_e32 v2, v2, v4
	ds_read2_b64 v[6:9], v1 offset0:115 offset1:116
	ds_read2_b64 v[150:153], v1 offset0:117 offset1:118
	ds_read_b64 v[10:11], v1 offset:952
	v_add_f32_e32 v3, v3, v169
	v_add_f32_e32 v2, v2, v138
	;; [unrolled: 1-line block ×3, first 2 shown]
	s_waitcnt vmcnt(20)
	v_mul_f32_e32 v5, v145, v194
	v_mul_f32_e32 v172, v144, v194
	s_waitcnt vmcnt(19) lgkmcnt(4)
	v_mul_f32_e32 v4, v135, v198
	v_mul_f32_e32 v173, v134, v198
	s_waitcnt vmcnt(18)
	v_mul_f32_e32 v138, v137, v199
	v_mul_f32_e32 v141, v136, v199
	s_waitcnt vmcnt(17) lgkmcnt(3)
	v_mul_f32_e32 v178, v146, v200
	s_waitcnt vmcnt(16)
	v_mul_f32_e32 v167, v148, v157
	s_waitcnt vmcnt(15) lgkmcnt(2)
	v_mul_f32_e32 v170, v6, v201
	s_waitcnt vmcnt(14)
	;; [unrolled: 4-line block ×4, first 2 shown]
	v_fmac_f32_e32 v178, v147, v12
	s_waitcnt vmcnt(9)
	v_fmac_f32_e32 v141, v137, v154
	s_waitcnt vmcnt(8)
	v_fma_f32 v4, v134, v156, -v4
	s_waitcnt vmcnt(7)
	v_fma_f32 v5, v144, v159, -v5
	v_fmac_f32_e32 v172, v145, v159
	v_fmac_f32_e32 v173, v135, v156
	v_fma_f32 v134, v136, v154, -v138
	v_add_f32_e32 v2, v2, v5
	v_add_f32_e32 v3, v3, v172
	v_mul_f32_e32 v5, v147, v200
	v_add_f32_e32 v2, v2, v4
	v_add_f32_e32 v3, v3, v173
	v_mul_f32_e32 v4, v149, v157
	v_fma_f32 v5, v146, v12, -v5
	v_mul_f32_e32 v12, v7, v201
	v_add_f32_e32 v2, v2, v134
	v_add_f32_e32 v3, v3, v141
	s_waitcnt vmcnt(4)
	v_fmac_f32_e32 v170, v7, v164
	s_waitcnt vmcnt(3)
	v_fma_f32 v4, v148, v165, -v4
	v_fmac_f32_e32 v167, v149, v165
	v_add_f32_e32 v2, v2, v5
	v_add_f32_e32 v3, v3, v178
	v_mul_f32_e32 v5, v9, v202
	v_fma_f32 v6, v6, v164, -v12
	v_fmac_f32_e32 v179, v9, v161
	v_add_f32_e32 v2, v2, v4
	v_add_f32_e32 v3, v3, v167
	v_mul_f32_e32 v4, v151, v203
	;; [unrolled: 5-line block ×3, first 2 shown]
	v_fma_f32 v4, v150, v160, -v4
	s_waitcnt vmcnt(1)
	v_fmac_f32_e32 v180, v153, v195
	v_add_f32_e32 v2, v2, v5
	v_add_f32_e32 v3, v3, v179
	v_mul_f32_e32 v5, v11, v155
	v_fma_f32 v6, v152, v195, -v6
	v_fmac_f32_e32 v163, v11, v166
	v_add_f32_e32 v2, v2, v4
	v_add_f32_e32 v3, v3, v175
	v_fma_f32 v4, v10, v166, -v5
	v_add_f32_e32 v2, v2, v6
	v_add_f32_e32 v3, v3, v180
	;; [unrolled: 1-line block ×4, first 2 shown]
	s_waitcnt vmcnt(0)
	v_sub_f32_e32 v2, v196, v2
	v_sub_f32_e32 v3, v193, v3
	buffer_store_dword v2, off, s[0:3], 0 offset:176
	buffer_store_dword v3, off, s[0:3], 0 offset:180
	v_cmpx_lt_u32_e32 21, v0
	s_cbranch_execz .LBB59_331
; %bb.330:
	s_clause 0x1
	buffer_load_dword v2, off, s[0:3], 0 offset:168
	buffer_load_dword v3, off, s[0:3], 0 offset:172
	buffer_store_dword v1, off, s[0:3], 0 offset:168
	buffer_store_dword v1, off, s[0:3], 0 offset:172
	s_waitcnt vmcnt(0)
	ds_write_b64 v133, v[2:3]
.LBB59_331:
	s_or_b32 exec_lo, exec_lo, s4
	s_waitcnt lgkmcnt(0)
	s_waitcnt_vscnt null, 0x0
	s_barrier
	buffer_gl0_inv
	s_clause 0x1e
	buffer_load_dword v2, off, s[0:3], 0 offset:180
	buffer_load_dword v3, off, s[0:3], 0 offset:188
	;; [unrolled: 1-line block ×31, first 2 shown]
	ds_read_b128 v[4:7], v1 offset:656
	s_clause 0x3
	buffer_load_dword v178, off, s[0:3], 0 offset:320
	buffer_load_dword v179, off, s[0:3], 0 offset:312
	;; [unrolled: 1-line block ×4, first 2 shown]
	ds_read_b128 v[8:11], v1 offset:672
	s_clause 0xa
	buffer_load_dword v182, off, s[0:3], 0 offset:308
	buffer_load_dword v183, off, s[0:3], 0 offset:316
	;; [unrolled: 1-line block ×11, first 2 shown]
	ds_read_b128 v[134:137], v1 offset:688
	ds_read_b128 v[138:141], v1 offset:704
	;; [unrolled: 1-line block ×4, first 2 shown]
	buffer_load_dword v193, off, s[0:3], 0 offset:172
	s_mov_b32 s4, exec_lo
	s_waitcnt vmcnt(46) lgkmcnt(5)
	v_mul_f32_e32 v194, v5, v2
	v_mul_f32_e32 v195, v4, v2
	s_waitcnt vmcnt(45)
	v_mul_f32_e32 v196, v6, v3
	v_mul_f32_e32 v2, v7, v3
	s_waitcnt vmcnt(44) lgkmcnt(4)
	v_mul_f32_e32 v197, v8, v12
	v_mul_f32_e32 v3, v9, v12
	s_waitcnt vmcnt(41)
	v_fma_f32 v12, v4, v152, -v194
	v_fmac_f32_e32 v195, v5, v152
	s_waitcnt vmcnt(40)
	v_mul_f32_e32 v152, v10, v153
	v_mul_f32_e32 v4, v11, v153
	v_fmac_f32_e32 v196, v7, v151
	s_waitcnt vmcnt(35) lgkmcnt(3)
	v_mul_f32_e32 v153, v135, v158
	v_fma_f32 v151, v6, v151, -v2
	v_fmac_f32_e32 v152, v11, v157
	v_mul_f32_e32 v11, v134, v158
	v_fma_f32 v10, v10, v157, -v4
	s_waitcnt vmcnt(34)
	v_mul_f32_e32 v157, v136, v159
	v_mul_f32_e32 v158, v137, v159
	s_waitcnt vmcnt(33) lgkmcnt(2)
	v_mul_f32_e32 v159, v138, v160
	v_mul_f32_e32 v160, v139, v160
	v_fmac_f32_e32 v11, v135, v156
	v_fma_f32 v134, v134, v156, -v153
	s_waitcnt vmcnt(32)
	v_mul_f32_e32 v135, v140, v161
	v_mul_f32_e32 v153, v141, v161
	v_fmac_f32_e32 v197, v9, v150
	v_fma_f32 v150, v8, v150, -v3
	ds_read_b128 v[2:5], v1 offset:752
	ds_read_b128 v[6:9], v1 offset:768
	v_fmac_f32_e32 v157, v137, v155
	v_fma_f32 v136, v136, v155, -v158
	v_fmac_f32_e32 v159, v139, v154
	v_fma_f32 v137, v138, v154, -v160
	s_waitcnt vmcnt(28)
	v_fmac_f32_e32 v135, v141, v165
	v_fma_f32 v138, v140, v165, -v153
	s_clause 0x7
	buffer_load_dword v153, off, s[0:3], 0 offset:364
	buffer_load_dword v154, off, s[0:3], 0 offset:372
	buffer_load_dword v155, off, s[0:3], 0 offset:380
	buffer_load_dword v156, off, s[0:3], 0 offset:388
	buffer_load_dword v158, off, s[0:3], 0 offset:384
	buffer_load_dword v160, off, s[0:3], 0 offset:376
	buffer_load_dword v161, off, s[0:3], 0 offset:368
	buffer_load_dword v165, off, s[0:3], 0 offset:360
	s_waitcnt vmcnt(35) lgkmcnt(3)
	v_mul_f32_e32 v139, v142, v166
	v_mul_f32_e32 v140, v143, v166
	s_waitcnt vmcnt(34)
	v_mul_f32_e32 v141, v144, v167
	v_mul_f32_e32 v166, v145, v167
	s_waitcnt vmcnt(33) lgkmcnt(2)
	v_mul_f32_e32 v167, v146, v168
	v_mul_f32_e32 v168, v147, v168
	v_fmac_f32_e32 v139, v143, v164
	v_fma_f32 v140, v142, v164, -v140
	s_waitcnt vmcnt(32)
	v_mul_f32_e32 v142, v148, v169
	v_mul_f32_e32 v143, v149, v169
	v_fmac_f32_e32 v141, v145, v163
	v_fmac_f32_e32 v167, v147, v162
	v_fma_f32 v145, v146, v162, -v168
	s_waitcnt vmcnt(28)
	v_fmac_f32_e32 v142, v149, v173
	v_fma_f32 v143, v148, v173, -v143
	s_waitcnt vmcnt(27) lgkmcnt(1)
	v_mul_f32_e32 v146, v2, v174
	v_mul_f32_e32 v147, v3, v174
	s_waitcnt vmcnt(26)
	v_mul_f32_e32 v148, v4, v175
	v_mul_f32_e32 v149, v5, v175
	v_fma_f32 v144, v144, v163, -v166
	s_clause 0x8
	buffer_load_dword v163, off, s[0:3], 0 offset:396
	buffer_load_dword v164, off, s[0:3], 0 offset:404
	;; [unrolled: 1-line block ×9, first 2 shown]
	v_fmac_f32_e32 v146, v3, v172
	v_fma_f32 v147, v2, v172, -v147
	buffer_load_dword v172, off, s[0:3], 0 offset:468
	v_fmac_f32_e32 v148, v5, v171
	v_fma_f32 v149, v4, v171, -v149
	s_clause 0x4
	buffer_load_dword v171, off, s[0:3], 0 offset:476
	buffer_load_dword v175, off, s[0:3], 0 offset:416
	;; [unrolled: 1-line block ×5, first 2 shown]
	v_add_f32_e32 v3, 0, v195
	v_add_f32_e32 v2, 0, v12
	s_waitcnt vmcnt(40) lgkmcnt(0)
	v_mul_f32_e32 v4, v7, v176
	v_add_f32_e32 v3, v3, v196
	v_add_f32_e32 v2, v2, v151
	v_fma_f32 v151, v6, v170, -v4
	v_add_f32_e32 v3, v3, v197
	s_clause 0x3
	buffer_load_dword v12, off, s[0:3], 0 offset:448
	buffer_load_dword v195, off, s[0:3], 0 offset:440
	;; [unrolled: 1-line block ×4, first 2 shown]
	v_add_f32_e32 v2, v2, v150
	v_mul_f32_e32 v150, v6, v176
	v_add_f32_e32 v3, v3, v152
	s_waitcnt vmcnt(43)
	v_mul_f32_e32 v152, v8, v177
	v_add_f32_e32 v2, v2, v10
	s_clause 0x2
	buffer_load_dword v10, off, s[0:3], 0 offset:472
	buffer_load_dword v201, off, s[0:3], 0 offset:464
	;; [unrolled: 1-line block ×3, first 2 shown]
	v_fmac_f32_e32 v150, v7, v170
	v_add_f32_e32 v3, v3, v11
	buffer_load_dword v11, off, s[0:3], 0 offset:168
	v_add_f32_e32 v2, v2, v134
	s_waitcnt vmcnt(43)
	v_fmac_f32_e32 v152, v9, v181
	v_add_f32_e32 v3, v3, v157
	v_add_f32_e32 v2, v2, v136
	;; [unrolled: 1-line block ×4, first 2 shown]
	ds_read_b128 v[2:5], v1 offset:784
	v_add_f32_e32 v135, v7, v135
	v_add_f32_e32 v134, v6, v138
	v_mul_f32_e32 v6, v9, v177
	v_add_f32_e32 v139, v135, v139
	v_add_f32_e32 v138, v134, v140
	v_fma_f32 v157, v8, v181, -v6
	ds_read_b128 v[6:9], v1 offset:800
	ds_read_b128 v[134:137], v1 offset:816
	v_add_f32_e32 v139, v139, v141
	v_add_f32_e32 v138, v138, v144
	;; [unrolled: 1-line block ×3, first 2 shown]
	s_waitcnt vmcnt(42) lgkmcnt(2)
	v_mul_f32_e32 v140, v3, v182
	v_mul_f32_e32 v159, v2, v182
	v_fma_f32 v170, v2, v180, -v140
	v_add_f32_e32 v2, v139, v167
	v_fmac_f32_e32 v159, v3, v180
	v_add_f32_e32 v3, v144, v143
	ds_read_b128 v[138:141], v1 offset:832
	s_waitcnt vmcnt(41)
	v_mul_f32_e32 v167, v4, v183
	v_add_f32_e32 v2, v2, v142
	s_waitcnt vmcnt(40) lgkmcnt(2)
	v_mul_f32_e32 v176, v6, v184
	v_mul_f32_e32 v142, v7, v184
	v_add_f32_e32 v3, v3, v147
	s_waitcnt vmcnt(38) lgkmcnt(1)
	v_mul_f32_e32 v180, v134, v186
	v_add_f32_e32 v2, v2, v146
	v_fmac_f32_e32 v176, v7, v178
	v_fma_f32 v178, v6, v178, -v142
	v_add_f32_e32 v6, v3, v149
	v_mul_f32_e32 v146, v135, v186
	v_add_f32_e32 v7, v2, v148
	s_waitcnt vmcnt(33)
	v_fmac_f32_e32 v180, v135, v191
	v_mul_f32_e32 v143, v5, v183
	v_add_f32_e32 v135, v6, v151
	v_fma_f32 v182, v134, v191, -v146
	v_add_f32_e32 v134, v7, v150
	v_fmac_f32_e32 v167, v5, v179
	v_fma_f32 v179, v4, v179, -v143
	v_add_f32_e32 v135, v135, v157
	s_waitcnt lgkmcnt(0)
	v_mul_f32_e32 v151, v139, v188
	v_add_f32_e32 v134, v134, v152
	v_mul_f32_e32 v183, v138, v188
	v_mul_f32_e32 v147, v9, v185
	v_add_f32_e32 v135, v135, v170
	v_fma_f32 v186, v138, v189, -v151
	v_add_f32_e32 v138, v134, v159
	v_mul_f32_e32 v177, v8, v185
	s_waitcnt vmcnt(32)
	v_fma_f32 v181, v8, v192, -v147
	v_add_f32_e32 v159, v135, v179
	ds_read_b128 v[2:5], v1 offset:848
	ds_read_b128 v[142:145], v1 offset:864
	v_add_f32_e32 v167, v138, v167
	v_fmac_f32_e32 v177, v9, v192
	v_mul_f32_e32 v150, v137, v187
	v_add_f32_e32 v159, v159, v178
	v_mul_f32_e32 v157, v136, v187
	v_add_f32_e32 v167, v167, v176
	v_fmac_f32_e32 v183, v139, v189
	v_fma_f32 v185, v136, v190, -v150
	v_add_f32_e32 v159, v159, v181
	v_fmac_f32_e32 v157, v137, v190
	v_add_f32_e32 v167, v167, v177
	ds_read_b128 v[6:9], v1 offset:880
	ds_read_b128 v[146:149], v1 offset:896
	v_add_f32_e32 v159, v159, v182
	v_add_f32_e32 v167, v167, v180
	;; [unrolled: 1-line block ×6, first 2 shown]
	s_waitcnt vmcnt(30)
	v_mul_f32_e32 v170, v140, v153
	v_mul_f32_e32 v184, v141, v153
	ds_read_b128 v[134:137], v1 offset:912
	ds_read_b128 v[150:153], v1 offset:928
	s_waitcnt vmcnt(28) lgkmcnt(5)
	v_mul_f32_e32 v176, v4, v155
	v_mul_f32_e32 v155, v5, v155
	s_waitcnt vmcnt(27) lgkmcnt(4)
	v_mul_f32_e32 v178, v142, v156
	v_mul_f32_e32 v156, v143, v156
	s_waitcnt vmcnt(23)
	v_fmac_f32_e32 v170, v141, v165
	v_fma_f32 v165, v140, v165, -v184
	ds_read_b128 v[138:141], v1 offset:944
	v_mul_f32_e32 v1, v2, v154
	v_mul_f32_e32 v154, v3, v154
	v_add_f32_e32 v157, v157, v170
	v_fma_f32 v4, v4, v160, -v155
	v_fmac_f32_e32 v176, v5, v160
	v_fmac_f32_e32 v1, v3, v161
	v_fma_f32 v2, v2, v161, -v154
	v_add_f32_e32 v154, v159, v165
	v_fma_f32 v142, v142, v158, -v156
	v_fmac_f32_e32 v178, v143, v158
	v_add_f32_e32 v1, v157, v1
	v_add_f32_e32 v2, v154, v2
	s_waitcnt vmcnt(22)
	v_mul_f32_e32 v5, v145, v163
	v_mul_f32_e32 v177, v144, v163
	v_add_f32_e32 v2, v2, v4
	v_add_f32_e32 v1, v1, v176
	s_waitcnt vmcnt(21) lgkmcnt(4)
	v_mul_f32_e32 v4, v7, v164
	v_mul_f32_e32 v179, v6, v164
	s_waitcnt vmcnt(20)
	v_mul_f32_e32 v181, v8, v166
	v_add_f32_e32 v2, v2, v142
	v_add_f32_e32 v1, v1, v178
	v_mul_f32_e32 v142, v9, v166
	s_waitcnt vmcnt(9)
	v_fma_f32 v4, v6, v199, -v4
	s_waitcnt vmcnt(8)
	v_fma_f32 v5, v144, v200, -v5
	v_fmac_f32_e32 v177, v145, v200
	v_fmac_f32_e32 v179, v7, v199
	v_fma_f32 v6, v8, v198, -v142
	s_waitcnt lgkmcnt(3)
	v_mul_f32_e32 v180, v146, v169
	v_add_f32_e32 v2, v2, v5
	v_add_f32_e32 v1, v1, v177
	v_mul_f32_e32 v5, v147, v169
	v_fmac_f32_e32 v181, v9, v198
	v_mul_f32_e32 v182, v148, v162
	v_add_f32_e32 v2, v2, v4
	v_add_f32_e32 v1, v1, v179
	v_mul_f32_e32 v4, v149, v162
	v_fma_f32 v5, v146, v175, -v5
	v_fmac_f32_e32 v180, v147, v175
	v_add_f32_e32 v2, v2, v6
	v_add_f32_e32 v1, v1, v181
	s_waitcnt lgkmcnt(2)
	v_mul_f32_e32 v6, v135, v168
	s_waitcnt vmcnt(4)
	v_fma_f32 v4, v148, v197, -v4
	v_mul_f32_e32 v184, v134, v168
	v_add_f32_e32 v2, v2, v5
	v_fmac_f32_e32 v182, v149, v197
	v_add_f32_e32 v1, v1, v180
	v_mul_f32_e32 v5, v137, v173
	v_fma_f32 v6, v134, v196, -v6
	v_add_f32_e32 v2, v2, v4
	v_mul_f32_e32 v167, v136, v173
	v_fmac_f32_e32 v184, v135, v196
	v_add_f32_e32 v1, v1, v182
	s_waitcnt lgkmcnt(1)
	v_mul_f32_e32 v4, v151, v194
	v_fma_f32 v5, v136, v195, -v5
	v_add_f32_e32 v2, v2, v6
	v_mul_f32_e32 v185, v150, v194
	v_fmac_f32_e32 v167, v137, v195
	v_add_f32_e32 v1, v1, v184
	v_mul_f32_e32 v6, v153, v174
	v_fma_f32 v4, v150, v12, -v4
	v_add_f32_e32 v2, v2, v5
	v_mul_f32_e32 v186, v152, v174
	v_fmac_f32_e32 v185, v151, v12
	v_add_f32_e32 v1, v1, v167
	s_waitcnt lgkmcnt(0)
	v_mul_f32_e32 v5, v139, v172
	s_waitcnt vmcnt(1)
	v_fma_f32 v6, v152, v202, -v6
	v_add_f32_e32 v2, v2, v4
	v_mul_f32_e32 v183, v138, v172
	v_fmac_f32_e32 v186, v153, v202
	v_add_f32_e32 v1, v1, v185
	v_mul_f32_e32 v4, v141, v171
	v_fma_f32 v5, v138, v201, -v5
	v_add_f32_e32 v2, v2, v6
	v_mul_f32_e32 v3, v140, v171
	v_fmac_f32_e32 v183, v139, v201
	v_add_f32_e32 v1, v1, v186
	v_fma_f32 v4, v140, v10, -v4
	v_add_f32_e32 v2, v2, v5
	v_fmac_f32_e32 v3, v141, v10
	v_add_f32_e32 v1, v1, v183
	v_add_f32_e32 v2, v2, v4
	;; [unrolled: 1-line block ×3, first 2 shown]
	s_waitcnt vmcnt(0)
	v_sub_f32_e32 v2, v11, v2
	v_sub_f32_e32 v1, v193, v1
	buffer_store_dword v2, off, s[0:3], 0 offset:168
	buffer_store_dword v1, off, s[0:3], 0 offset:172
	v_cmpx_lt_u32_e32 20, v0
	s_cbranch_execz .LBB59_333
; %bb.332:
	s_clause 0x1
	buffer_load_dword v1, off, s[0:3], 0 offset:160
	buffer_load_dword v2, off, s[0:3], 0 offset:164
	v_mov_b32_e32 v3, 0
	buffer_store_dword v3, off, s[0:3], 0 offset:160
	buffer_store_dword v3, off, s[0:3], 0 offset:164
	s_waitcnt vmcnt(0)
	ds_write_b64 v133, v[1:2]
.LBB59_333:
	s_or_b32 exec_lo, exec_lo, s4
	s_waitcnt lgkmcnt(0)
	s_waitcnt_vscnt null, 0x0
	s_barrier
	buffer_gl0_inv
	s_clause 0x25
	buffer_load_dword v2, off, s[0:3], 0 offset:172
	buffer_load_dword v3, off, s[0:3], 0 offset:180
	;; [unrolled: 1-line block ×38, first 2 shown]
	v_mov_b32_e32 v1, 0
	ds_read2_b64 v[4:7], v1 offset0:81 offset1:82
	ds_read2_b64 v[8:11], v1 offset0:83 offset1:84
	s_clause 0x10
	buffer_load_dword v177, off, s[0:3], 0 offset:324
	buffer_load_dword v178, off, s[0:3], 0 offset:332
	;; [unrolled: 1-line block ×17, first 2 shown]
	ds_read2_b64 v[134:137], v1 offset0:85 offset1:86
	ds_read2_b64 v[138:141], v1 offset0:87 offset1:88
	s_mov_b32 s4, exec_lo
	s_waitcnt vmcnt(54) lgkmcnt(3)
	v_mul_f32_e32 v194, v5, v2
	v_mul_f32_e32 v195, v4, v2
	s_waitcnt vmcnt(53)
	v_mul_f32_e32 v196, v6, v3
	v_mul_f32_e32 v2, v7, v3
	s_waitcnt vmcnt(52) lgkmcnt(2)
	v_mul_f32_e32 v197, v8, v12
	v_mul_f32_e32 v3, v9, v12
	s_waitcnt vmcnt(49)
	v_fma_f32 v12, v4, v144, -v194
	v_fmac_f32_e32 v195, v5, v144
	s_waitcnt vmcnt(48)
	v_mul_f32_e32 v144, v10, v145
	v_mul_f32_e32 v4, v11, v145
	v_fmac_f32_e32 v196, v7, v143
	s_waitcnt vmcnt(43) lgkmcnt(1)
	v_mul_f32_e32 v145, v135, v150
	v_fma_f32 v143, v6, v143, -v2
	v_fmac_f32_e32 v197, v9, v142
	v_fma_f32 v142, v8, v142, -v3
	v_fmac_f32_e32 v144, v11, v149
	v_fma_f32 v10, v10, v149, -v4
	ds_read2_b64 v[2:5], v1 offset0:89 offset1:90
	ds_read2_b64 v[6:9], v1 offset0:91 offset1:92
	v_mul_f32_e32 v11, v134, v150
	s_waitcnt vmcnt(42)
	v_mul_f32_e32 v149, v136, v151
	v_mul_f32_e32 v150, v137, v151
	s_waitcnt vmcnt(41) lgkmcnt(2)
	v_mul_f32_e32 v151, v138, v152
	v_fma_f32 v145, v134, v148, -v145
	s_waitcnt vmcnt(40)
	v_mul_f32_e32 v134, v141, v153
	v_mul_f32_e32 v152, v139, v152
	v_fmac_f32_e32 v11, v135, v148
	v_fmac_f32_e32 v149, v137, v147
	v_fma_f32 v147, v136, v147, -v150
	s_clause 0x3
	buffer_load_dword v194, off, s[0:3], 0 offset:388
	buffer_load_dword v198, off, s[0:3], 0 offset:396
	;; [unrolled: 1-line block ×4, first 2 shown]
	v_fmac_f32_e32 v151, v139, v146
	s_waitcnt vmcnt(40)
	v_fma_f32 v139, v140, v157, -v134
	ds_read2_b64 v[134:137], v1 offset0:93 offset1:94
	v_mul_f32_e32 v148, v140, v153
	v_fma_f32 v138, v138, v146, -v152
	s_waitcnt vmcnt(39) lgkmcnt(2)
	v_mul_f32_e32 v140, v2, v158
	v_fmac_f32_e32 v148, v141, v157
	v_mul_f32_e32 v141, v3, v158
	s_waitcnt vmcnt(37) lgkmcnt(1)
	v_mul_f32_e32 v153, v7, v160
	v_mul_f32_e32 v146, v4, v159
	;; [unrolled: 1-line block ×4, first 2 shown]
	v_fmac_f32_e32 v140, v3, v156
	v_fma_f32 v141, v2, v156, -v141
	s_waitcnt vmcnt(36)
	v_mul_f32_e32 v156, v8, v161
	v_mul_f32_e32 v2, v9, v161
	v_fma_f32 v153, v6, v154, -v153
	v_fmac_f32_e32 v146, v5, v155
	v_fma_f32 v150, v4, v155, -v150
	s_clause 0x3
	buffer_load_dword v155, off, s[0:3], 0 offset:420
	buffer_load_dword v157, off, s[0:3], 0 offset:428
	;; [unrolled: 1-line block ×4, first 2 shown]
	s_waitcnt vmcnt(35) lgkmcnt(0)
	v_mul_f32_e32 v160, v134, v166
	v_mul_f32_e32 v6, v135, v166
	v_fmac_f32_e32 v152, v7, v154
	v_fmac_f32_e32 v156, v9, v165
	v_fma_f32 v154, v8, v165, -v2
	ds_read2_b64 v[2:5], v1 offset0:95 offset1:96
	s_waitcnt vmcnt(34)
	v_mul_f32_e32 v161, v136, v167
	v_mul_f32_e32 v7, v137, v167
	buffer_load_dword v165, off, s[0:3], 0 offset:452
	v_fmac_f32_e32 v160, v135, v164
	v_fma_f32 v164, v134, v164, -v6
	v_add_f32_e32 v6, 0, v12
	s_clause 0x6
	buffer_load_dword v12, off, s[0:3], 0 offset:460
	buffer_load_dword v166, off, s[0:3], 0 offset:468
	;; [unrolled: 1-line block ×7, first 2 shown]
	v_fmac_f32_e32 v161, v137, v163
	v_fma_f32 v163, v136, v163, -v7
	v_add_f32_e32 v7, 0, v195
	v_add_f32_e32 v6, v6, v143
	;; [unrolled: 1-line block ×4, first 2 shown]
	s_waitcnt vmcnt(41) lgkmcnt(0)
	v_mul_f32_e32 v8, v3, v168
	v_add_f32_e32 v7, v7, v197
	s_clause 0x8
	buffer_load_dword v195, off, s[0:3], 0 offset:440
	buffer_load_dword v196, off, s[0:3], 0 offset:432
	;; [unrolled: 1-line block ×9, first 2 shown]
	v_add_f32_e32 v6, v6, v10
	v_add_f32_e32 v7, v7, v144
	v_mul_f32_e32 v10, v2, v168
	v_add_f32_e32 v6, v6, v145
	v_add_f32_e32 v7, v7, v11
	v_fmac_f32_e32 v10, v3, v162
	v_fma_f32 v11, v2, v162, -v8
	v_add_f32_e32 v6, v6, v147
	v_add_f32_e32 v7, v7, v149
	s_waitcnt vmcnt(49)
	v_mul_f32_e32 v147, v4, v169
	v_add_f32_e32 v6, v6, v138
	v_add_f32_e32 v7, v7, v151
	s_waitcnt vmcnt(45)
	v_fmac_f32_e32 v147, v5, v173
	v_add_f32_e32 v2, v6, v139
	v_add_f32_e32 v3, v7, v148
	ds_read2_b64 v[6:9], v1 offset0:97 offset1:98
	v_add_f32_e32 v134, v2, v141
	v_mul_f32_e32 v2, v5, v169
	v_add_f32_e32 v135, v3, v140
	v_add_f32_e32 v138, v134, v150
	v_fma_f32 v148, v4, v173, -v2
	ds_read2_b64 v[2:5], v1 offset0:99 offset1:100
	v_add_f32_e32 v139, v135, v146
	ds_read2_b64 v[134:137], v1 offset0:101 offset1:102
	v_add_f32_e32 v138, v138, v153
	v_add_f32_e32 v139, v139, v152
	;; [unrolled: 1-line block ×3, first 2 shown]
	s_waitcnt vmcnt(44) lgkmcnt(2)
	v_mul_f32_e32 v140, v7, v174
	v_mul_f32_e32 v150, v6, v174
	s_waitcnt vmcnt(43)
	v_mul_f32_e32 v152, v8, v175
	v_fma_f32 v151, v6, v172, -v140
	v_add_f32_e32 v6, v139, v156
	v_fmac_f32_e32 v150, v7, v172
	v_add_f32_e32 v7, v142, v164
	ds_read2_b64 v[138:141], v1 offset0:103 offset1:104
	s_waitcnt vmcnt(42) lgkmcnt(2)
	v_mul_f32_e32 v143, v3, v176
	v_add_f32_e32 v6, v6, v160
	v_mul_f32_e32 v154, v2, v176
	v_add_f32_e32 v7, v7, v163
	v_mul_f32_e32 v142, v9, v175
	v_fmac_f32_e32 v152, v9, v171
	v_add_f32_e32 v6, v6, v161
	v_fma_f32 v161, v2, v170, -v143
	v_add_f32_e32 v2, v7, v11
	v_fmac_f32_e32 v154, v3, v170
	v_fma_f32 v153, v8, v171, -v142
	v_add_f32_e32 v3, v6, v10
	s_waitcnt vmcnt(40) lgkmcnt(1)
	v_mul_f32_e32 v10, v135, v178
	v_add_f32_e32 v11, v2, v148
	v_mul_f32_e32 v146, v5, v177
	v_mul_f32_e32 v156, v4, v177
	;; [unrolled: 1-line block ×3, first 2 shown]
	s_waitcnt vmcnt(35)
	v_fma_f32 v163, v134, v183, -v10
	v_add_f32_e32 v10, v3, v147
	v_add_f32_e32 v11, v11, v151
	s_waitcnt vmcnt(34)
	v_fma_f32 v162, v4, v184, -v146
	ds_read2_b64 v[6:9], v1 offset0:105 offset1:106
	ds_read2_b64 v[142:145], v1 offset0:107 offset1:108
	v_fmac_f32_e32 v156, v5, v184
	v_add_f32_e32 v10, v10, v150
	v_add_f32_e32 v11, v11, v153
	v_mul_f32_e32 v134, v137, v179
	v_fmac_f32_e32 v160, v135, v183
	v_mul_f32_e32 v164, v136, v179
	v_add_f32_e32 v10, v10, v152
	v_add_f32_e32 v161, v11, v161
	s_waitcnt lgkmcnt(2)
	v_mul_f32_e32 v135, v139, v180
	v_fma_f32 v171, v136, v182, -v134
	v_mul_f32_e32 v168, v138, v180
	v_add_f32_e32 v154, v10, v154
	v_add_f32_e32 v161, v161, v162
	v_fmac_f32_e32 v164, v137, v182
	s_waitcnt vmcnt(33)
	v_mul_f32_e32 v170, v141, v185
	v_fma_f32 v172, v138, v181, -v135
	v_add_f32_e32 v154, v154, v156
	v_add_f32_e32 v161, v161, v163
	v_mul_f32_e32 v169, v140, v185
	v_fmac_f32_e32 v168, v139, v181
	s_waitcnt vmcnt(26)
	v_fma_f32 v170, v140, v192, -v170
	v_add_f32_e32 v154, v154, v160
	v_add_f32_e32 v161, v161, v171
	s_waitcnt lgkmcnt(1)
	v_mul_f32_e32 v173, v7, v186
	ds_read2_b64 v[2:5], v1 offset0:109 offset1:110
	ds_read2_b64 v[146:149], v1 offset0:111 offset1:112
	v_fmac_f32_e32 v169, v141, v192
	v_add_f32_e32 v154, v154, v164
	v_add_f32_e32 v161, v161, v172
	v_mul_f32_e32 v162, v6, v186
	v_mul_f32_e32 v174, v9, v187
	v_fma_f32 v6, v6, v191, -v173
	v_add_f32_e32 v154, v154, v168
	v_add_f32_e32 v161, v161, v170
	v_mul_f32_e32 v156, v8, v187
	v_fmac_f32_e32 v162, v7, v191
	s_waitcnt lgkmcnt(2)
	v_mul_f32_e32 v173, v143, v188
	v_add_f32_e32 v154, v154, v169
	v_fma_f32 v8, v8, v190, -v174
	v_add_f32_e32 v6, v161, v6
	v_mul_f32_e32 v163, v142, v188
	v_fmac_f32_e32 v156, v9, v190
	v_add_f32_e32 v154, v154, v162
	v_fma_f32 v142, v142, v189, -v173
	v_add_f32_e32 v6, v6, v8
	v_fmac_f32_e32 v163, v143, v189
	ds_read2_b64 v[134:137], v1 offset0:113 offset1:114
	ds_read2_b64 v[150:153], v1 offset0:115 offset1:116
	v_add_f32_e32 v8, v154, v156
	ds_read2_b64 v[138:141], v1 offset0:117 offset1:118
	ds_read_b64 v[10:11], v1 offset:952
	v_add_f32_e32 v6, v6, v142
	v_add_f32_e32 v8, v8, v163
	s_waitcnt vmcnt(24)
	v_mul_f32_e32 v169, v145, v194
	v_mul_f32_e32 v160, v144, v194
	s_waitcnt vmcnt(23) lgkmcnt(5)
	v_mul_f32_e32 v7, v2, v198
	v_mul_f32_e32 v143, v3, v198
	s_waitcnt vmcnt(22)
	v_mul_f32_e32 v142, v5, v199
	v_mul_f32_e32 v171, v4, v199
	s_waitcnt vmcnt(21) lgkmcnt(4)
	v_mul_f32_e32 v164, v146, v200
	s_waitcnt vmcnt(20)
	v_mul_f32_e32 v9, v148, v155
	s_waitcnt vmcnt(19) lgkmcnt(3)
	v_mul_f32_e32 v174, v134, v157
	s_waitcnt vmcnt(18)
	;; [unrolled: 4-line block ×3, first 2 shown]
	v_mul_f32_e32 v175, v152, v165
	s_waitcnt vmcnt(12)
	v_fmac_f32_e32 v164, v147, v201
	s_waitcnt vmcnt(11)
	v_fma_f32 v4, v4, v202, -v142
	s_waitcnt vmcnt(10)
	v_fmac_f32_e32 v7, v3, v203
	s_waitcnt vmcnt(9)
	v_fma_f32 v144, v144, v204, -v169
	v_fmac_f32_e32 v160, v145, v204
	v_fma_f32 v2, v2, v203, -v143
	v_fmac_f32_e32 v171, v5, v202
	v_mul_f32_e32 v5, v149, v155
	v_add_f32_e32 v3, v6, v144
	v_add_f32_e32 v6, v8, v160
	v_mul_f32_e32 v8, v147, v200
	s_waitcnt lgkmcnt(1)
	v_mul_f32_e32 v170, v138, v12
	v_mul_f32_e32 v176, v140, v166
	v_add_f32_e32 v2, v3, v2
	v_add_f32_e32 v3, v6, v7
	v_fma_f32 v6, v146, v201, -v8
	s_waitcnt vmcnt(6)
	v_fmac_f32_e32 v174, v135, v197
	s_waitcnt vmcnt(5)
	v_fma_f32 v5, v148, v205, -v5
	v_add_f32_e32 v2, v2, v4
	v_add_f32_e32 v3, v3, v171
	v_mul_f32_e32 v4, v135, v157
	v_fmac_f32_e32 v9, v149, v205
	v_fmac_f32_e32 v168, v137, v196
	v_add_f32_e32 v2, v2, v6
	v_add_f32_e32 v3, v3, v164
	v_mul_f32_e32 v6, v137, v158
	v_fma_f32 v4, v134, v197, -v4
	v_fmac_f32_e32 v172, v151, v195
	v_add_f32_e32 v2, v2, v5
	v_add_f32_e32 v3, v3, v9
	v_mul_f32_e32 v5, v151, v159
	v_fma_f32 v6, v136, v196, -v6
	s_waitcnt vmcnt(1)
	v_fmac_f32_e32 v175, v153, v209
	v_add_f32_e32 v2, v2, v4
	v_add_f32_e32 v3, v3, v174
	v_mul_f32_e32 v4, v153, v165
	v_fma_f32 v5, v150, v195, -v5
	v_fmac_f32_e32 v170, v139, v208
	v_add_f32_e32 v2, v2, v6
	v_add_f32_e32 v3, v3, v168
	v_mul_f32_e32 v6, v139, v12
	v_fma_f32 v4, v152, v209, -v4
	s_waitcnt lgkmcnt(0)
	v_mul_f32_e32 v161, v10, v167
	v_add_f32_e32 v2, v2, v5
	v_add_f32_e32 v3, v3, v172
	v_mul_f32_e32 v5, v141, v166
	v_fma_f32 v6, v138, v208, -v6
	v_fmac_f32_e32 v176, v141, v207
	v_add_f32_e32 v2, v2, v4
	v_add_f32_e32 v3, v3, v175
	v_mul_f32_e32 v4, v11, v167
	v_fma_f32 v5, v140, v207, -v5
	v_fmac_f32_e32 v161, v11, v206
	v_add_f32_e32 v2, v2, v6
	v_add_f32_e32 v3, v3, v170
	v_fma_f32 v4, v10, v206, -v4
	v_add_f32_e32 v2, v2, v5
	v_add_f32_e32 v3, v3, v176
	v_add_f32_e32 v2, v2, v4
	v_add_f32_e32 v3, v3, v161
	s_waitcnt vmcnt(0)
	v_sub_f32_e32 v2, v210, v2
	v_sub_f32_e32 v3, v193, v3
	buffer_store_dword v2, off, s[0:3], 0 offset:160
	buffer_store_dword v3, off, s[0:3], 0 offset:164
	v_cmpx_lt_u32_e32 19, v0
	s_cbranch_execz .LBB59_335
; %bb.334:
	s_clause 0x1
	buffer_load_dword v2, off, s[0:3], 0 offset:152
	buffer_load_dword v3, off, s[0:3], 0 offset:156
	buffer_store_dword v1, off, s[0:3], 0 offset:152
	buffer_store_dword v1, off, s[0:3], 0 offset:156
	s_waitcnt vmcnt(0)
	ds_write_b64 v133, v[2:3]
.LBB59_335:
	s_or_b32 exec_lo, exec_lo, s4
	s_waitcnt lgkmcnt(0)
	s_waitcnt_vscnt null, 0x0
	s_barrier
	buffer_gl0_inv
	s_clause 0x23
	buffer_load_dword v10, off, s[0:3], 0 offset:164
	buffer_load_dword v11, off, s[0:3], 0 offset:172
	;; [unrolled: 1-line block ×36, first 2 shown]
	ds_read_b128 v[2:5], v1 offset:640
	s_clause 0x1
	buffer_load_dword v183, off, s[0:3], 0 offset:300
	buffer_load_dword v184, off, s[0:3], 0 offset:308
	ds_read_b128 v[6:9], v1 offset:656
	ds_read_b128 v[134:137], v1 offset:672
	s_clause 0x7
	buffer_load_dword v185, off, s[0:3], 0 offset:316
	buffer_load_dword v186, off, s[0:3], 0 offset:324
	;; [unrolled: 1-line block ×8, first 2 shown]
	ds_read_b128 v[138:141], v1 offset:688
	ds_read_b128 v[142:145], v1 offset:704
	ds_read_b128 v[146:149], v1 offset:720
	buffer_load_dword v195, off, s[0:3], 0 offset:156
	s_mov_b32 s4, exec_lo
	s_waitcnt vmcnt(46) lgkmcnt(5)
	v_mul_f32_e32 v193, v3, v10
	v_mul_f32_e32 v10, v2, v10
	s_waitcnt vmcnt(45)
	v_mul_f32_e32 v194, v4, v11
	v_mul_f32_e32 v11, v5, v11
	s_waitcnt vmcnt(42)
	v_fma_f32 v193, v2, v151, -v193
	v_fmac_f32_e32 v10, v3, v151
	v_fmac_f32_e32 v194, v5, v150
	v_fma_f32 v11, v4, v150, -v11
	s_waitcnt vmcnt(41) lgkmcnt(4)
	v_mul_f32_e32 v150, v6, v152
	v_mul_f32_e32 v151, v7, v152
	s_waitcnt vmcnt(40)
	v_mul_f32_e32 v152, v8, v153
	v_mul_f32_e32 v153, v9, v153
	s_waitcnt vmcnt(39) lgkmcnt(3)
	v_mul_f32_e32 v196, v134, v154
	v_mul_f32_e32 v154, v135, v154
	v_fmac_f32_e32 v150, v7, v12
	v_fma_f32 v12, v6, v12, -v151
	s_waitcnt vmcnt(38)
	v_mul_f32_e32 v151, v136, v155
	v_mul_f32_e32 v6, v137, v155
	ds_read_b128 v[2:5], v1 offset:736
	s_waitcnt vmcnt(34)
	v_fmac_f32_e32 v152, v9, v159
	v_fma_f32 v153, v8, v159, -v153
	v_fmac_f32_e32 v196, v135, v158
	v_fma_f32 v134, v134, v158, -v154
	;; [unrolled: 2-line block ×3, first 2 shown]
	s_clause 0x7
	buffer_load_dword v154, off, s[0:3], 0 offset:348
	buffer_load_dword v155, off, s[0:3], 0 offset:356
	;; [unrolled: 1-line block ×8, first 2 shown]
	s_waitcnt vmcnt(41) lgkmcnt(3)
	v_mul_f32_e32 v6, v139, v160
	s_waitcnt vmcnt(40)
	v_mul_f32_e32 v7, v141, v161
	v_mul_f32_e32 v136, v138, v160
	v_mul_f32_e32 v137, v140, v161
	s_waitcnt vmcnt(39) lgkmcnt(2)
	v_mul_f32_e32 v160, v142, v162
	v_fma_f32 v138, v138, v156, -v6
	s_waitcnt vmcnt(34)
	v_fma_f32 v140, v140, v167, -v7
	ds_read_b128 v[6:9], v1 offset:752
	v_mul_f32_e32 v161, v143, v162
	v_fmac_f32_e32 v136, v139, v156
	v_mul_f32_e32 v139, v144, v163
	v_mul_f32_e32 v156, v145, v163
	v_fmac_f32_e32 v137, v141, v167
	v_fmac_f32_e32 v160, v143, v166
	v_fma_f32 v141, v142, v166, -v161
	v_fmac_f32_e32 v139, v145, v165
	v_fma_f32 v142, v144, v165, -v156
	s_waitcnt vmcnt(33) lgkmcnt(2)
	v_mul_f32_e32 v143, v146, v168
	v_mul_f32_e32 v144, v147, v168
	s_waitcnt vmcnt(32)
	v_mul_f32_e32 v145, v148, v169
	s_waitcnt vmcnt(31) lgkmcnt(1)
	v_mul_f32_e32 v166, v2, v170
	v_mul_f32_e32 v167, v3, v170
	;; [unrolled: 1-line block ×3, first 2 shown]
	v_fmac_f32_e32 v143, v147, v164
	v_fma_f32 v144, v146, v164, -v144
	s_waitcnt vmcnt(30)
	v_mul_f32_e32 v146, v4, v171
	v_mul_f32_e32 v147, v5, v171
	s_waitcnt vmcnt(26)
	v_fmac_f32_e32 v145, v149, v175
	v_fmac_f32_e32 v166, v3, v174
	v_fma_f32 v149, v2, v174, -v167
	s_waitcnt vmcnt(25) lgkmcnt(0)
	v_mul_f32_e32 v174, v6, v176
	v_mul_f32_e32 v2, v7, v176
	v_add_f32_e32 v3, 0, v193
	s_clause 0x3
	buffer_load_dword v156, off, s[0:3], 0 offset:380
	buffer_load_dword v161, off, s[0:3], 0 offset:388
	buffer_load_dword v162, off, s[0:3], 0 offset:396
	buffer_load_dword v163, off, s[0:3], 0 offset:404
	v_fma_f32 v148, v148, v175, -v165
	s_clause 0x3
	buffer_load_dword v164, off, s[0:3], 0 offset:412
	buffer_load_dword v165, off, s[0:3], 0 offset:420
	;; [unrolled: 1-line block ×4, first 2 shown]
	v_fmac_f32_e32 v146, v5, v173
	v_fma_f32 v147, v4, v173, -v147
	s_clause 0x3
	buffer_load_dword v167, off, s[0:3], 0 offset:444
	buffer_load_dword v170, off, s[0:3], 0 offset:452
	;; [unrolled: 1-line block ×4, first 2 shown]
	v_add_f32_e32 v4, 0, v10
	buffer_load_dword v10, off, s[0:3], 0 offset:476
	v_fmac_f32_e32 v174, v7, v172
	v_fma_f32 v172, v6, v172, -v2
	v_add_f32_e32 v2, v3, v11
	s_clause 0x3
	buffer_load_dword v11, off, s[0:3], 0 offset:400
	buffer_load_dword v175, off, s[0:3], 0 offset:392
	;; [unrolled: 1-line block ×4, first 2 shown]
	v_add_f32_e32 v6, v4, v194
	v_add_f32_e32 v7, v2, v12
	s_waitcnt vmcnt(41)
	v_mul_f32_e32 v2, v9, v177
	v_mul_f32_e32 v12, v8, v177
	v_add_f32_e32 v6, v6, v150
	v_add_f32_e32 v7, v7, v153
	s_waitcnt vmcnt(37)
	v_fma_f32 v177, v8, v181, -v2
	ds_read_b128 v[2:5], v1 offset:768
	v_fmac_f32_e32 v12, v9, v181
	s_clause 0x3
	buffer_load_dword v181, off, s[0:3], 0 offset:432
	buffer_load_dword v194, off, s[0:3], 0 offset:424
	;; [unrolled: 1-line block ×4, first 2 shown]
	v_add_f32_e32 v7, v7, v134
	v_add_f32_e32 v6, v6, v152
	;; [unrolled: 1-line block ×6, first 2 shown]
	ds_read_b128 v[6:9], v1 offset:784
	v_add_f32_e32 v135, v135, v136
	s_waitcnt vmcnt(40) lgkmcnt(1)
	v_mul_f32_e32 v150, v2, v182
	v_mul_f32_e32 v138, v3, v182
	s_waitcnt vmcnt(39)
	v_mul_f32_e32 v152, v4, v183
	v_fmac_f32_e32 v150, v3, v180
	v_fma_f32 v151, v2, v180, -v138
	s_clause 0x4
	buffer_load_dword v180, off, s[0:3], 0 offset:464
	buffer_load_dword v182, off, s[0:3], 0 offset:456
	;; [unrolled: 1-line block ×5, first 2 shown]
	v_add_f32_e32 v3, v135, v137
	v_add_f32_e32 v2, v134, v140
	v_mul_f32_e32 v134, v5, v183
	v_fmac_f32_e32 v152, v5, v179
	v_add_f32_e32 v3, v3, v160
	buffer_load_dword v160, off, s[0:3], 0 offset:152
	v_add_f32_e32 v2, v2, v141
	v_fma_f32 v153, v4, v179, -v134
	s_waitcnt vmcnt(44) lgkmcnt(0)
	v_mul_f32_e32 v179, v6, v184
	v_add_f32_e32 v135, v3, v139
	v_mul_f32_e32 v140, v7, v184
	v_add_f32_e32 v2, v2, v142
	s_waitcnt vmcnt(43)
	v_mul_f32_e32 v183, v8, v185
	v_mul_f32_e32 v141, v9, v185
	v_add_f32_e32 v139, v135, v143
	ds_read_b128 v[134:137], v1 offset:816
	v_add_f32_e32 v138, v2, v144
	ds_read_b128 v[2:5], v1 offset:800
	v_fmac_f32_e32 v179, v7, v178
	v_add_f32_e32 v139, v139, v145
	v_fma_f32 v178, v6, v178, -v140
	v_add_f32_e32 v138, v138, v148
	s_waitcnt vmcnt(36)
	v_fmac_f32_e32 v183, v9, v192
	v_fma_f32 v184, v8, v192, -v141
	v_add_f32_e32 v143, v139, v166
	v_add_f32_e32 v142, v138, v149
	ds_read_b128 v[6:9], v1 offset:832
	ds_read_b128 v[138:141], v1 offset:848
	v_add_f32_e32 v143, v143, v146
	v_add_f32_e32 v142, v142, v147
	v_add_f32_e32 v143, v143, v174
	s_waitcnt lgkmcnt(3)
	v_mul_f32_e32 v146, v135, v188
	v_add_f32_e32 v142, v142, v172
	v_mul_f32_e32 v172, v134, v188
	s_waitcnt lgkmcnt(2)
	v_mul_f32_e32 v144, v3, v186
	v_add_f32_e32 v12, v143, v12
	v_mul_f32_e32 v166, v2, v186
	v_add_f32_e32 v147, v142, v177
	v_mul_f32_e32 v145, v5, v187
	v_fma_f32 v186, v2, v191, -v144
	v_add_f32_e32 v12, v12, v150
	v_mul_f32_e32 v185, v4, v187
	v_add_f32_e32 v151, v147, v151
	v_fmac_f32_e32 v166, v3, v191
	v_fma_f32 v187, v4, v190, -v145
	v_add_f32_e32 v12, v12, v152
	v_fmac_f32_e32 v185, v5, v190
	v_add_f32_e32 v150, v151, v153
	v_fmac_f32_e32 v172, v135, v189
	ds_read_b128 v[2:5], v1 offset:864
	ds_read_b128 v[142:145], v1 offset:880
	v_add_f32_e32 v12, v12, v179
	v_add_f32_e32 v12, v12, v183
	;; [unrolled: 1-line block ×5, first 2 shown]
	s_waitcnt vmcnt(34)
	v_mul_f32_e32 v174, v136, v154
	s_waitcnt vmcnt(33) lgkmcnt(3)
	v_mul_f32_e32 v188, v6, v155
	v_mul_f32_e32 v151, v7, v155
	;; [unrolled: 1-line block ×3, first 2 shown]
	v_fma_f32 v154, v134, v189, -v146
	s_waitcnt vmcnt(32)
	v_mul_f32_e32 v189, v8, v157
	s_waitcnt vmcnt(28)
	v_fmac_f32_e32 v188, v7, v198
	v_add_f32_e32 v7, v150, v178
	s_waitcnt vmcnt(27)
	v_fma_f32 v177, v136, v199, -v148
	v_fmac_f32_e32 v174, v137, v199
	v_mul_f32_e32 v152, v9, v157
	v_fma_f32 v155, v6, v198, -v151
	v_add_f32_e32 v178, v7, v184
	ds_read_b128 v[134:137], v1 offset:896
	ds_read_b128 v[146:149], v1 offset:912
	v_add_f32_e32 v12, v12, v174
	v_fmac_f32_e32 v189, v9, v197
	v_fma_f32 v157, v8, v197, -v152
	v_add_f32_e32 v178, v178, v186
	ds_read_b128 v[6:9], v1 offset:928
	ds_read_b128 v[150:153], v1 offset:944
	s_waitcnt lgkmcnt(6)
	v_mul_f32_e32 v1, v138, v158
	v_mul_f32_e32 v158, v139, v158
	v_add_f32_e32 v12, v12, v188
	v_add_f32_e32 v178, v178, v187
	v_fmac_f32_e32 v1, v139, v159
	v_fma_f32 v138, v138, v159, -v158
	v_add_f32_e32 v12, v12, v189
	v_add_f32_e32 v154, v178, v154
	;; [unrolled: 1-line block ×5, first 2 shown]
	s_waitcnt vmcnt(26)
	v_mul_f32_e32 v166, v140, v156
	v_mul_f32_e32 v156, v141, v156
	s_waitcnt vmcnt(25) lgkmcnt(5)
	v_mul_f32_e32 v179, v2, v161
	s_waitcnt vmcnt(24)
	v_mul_f32_e32 v12, v5, v162
	v_add_f32_e32 v154, v154, v157
	v_mul_f32_e32 v157, v3, v161
	v_mul_f32_e32 v183, v4, v162
	s_waitcnt vmcnt(23) lgkmcnt(4)
	v_mul_f32_e32 v184, v142, v163
	s_waitcnt vmcnt(22)
	v_mul_f32_e32 v178, v144, v164
	v_add_f32_e32 v138, v154, v138
	s_waitcnt vmcnt(21) lgkmcnt(3)
	v_mul_f32_e32 v172, v134, v165
	s_waitcnt vmcnt(20)
	v_mul_f32_e32 v185, v136, v168
	s_waitcnt vmcnt(12)
	v_fma_f32 v4, v4, v175, -v12
	s_waitcnt vmcnt(11)
	v_fmac_f32_e32 v179, v3, v176
	s_waitcnt vmcnt(10)
	v_fma_f32 v140, v140, v193, -v156
	v_fmac_f32_e32 v166, v141, v193
	v_fma_f32 v2, v2, v176, -v157
	v_fmac_f32_e32 v183, v5, v175
	v_fmac_f32_e32 v184, v143, v11
	v_add_f32_e32 v3, v138, v140
	v_add_f32_e32 v1, v1, v166
	v_mul_f32_e32 v138, v143, v163
	s_waitcnt lgkmcnt(2)
	v_mul_f32_e32 v177, v146, v169
	v_mul_f32_e32 v174, v148, v167
	v_add_f32_e32 v2, v3, v2
	v_add_f32_e32 v1, v1, v179
	v_mul_f32_e32 v3, v145, v164
	v_fma_f32 v5, v142, v11, -v138
	s_waitcnt vmcnt(6)
	v_fmac_f32_e32 v178, v145, v201
	v_add_f32_e32 v2, v2, v4
	v_add_f32_e32 v1, v1, v183
	v_mul_f32_e32 v4, v135, v165
	v_fma_f32 v3, v144, v201, -v3
	v_fmac_f32_e32 v172, v135, v200
	v_add_f32_e32 v2, v2, v5
	v_add_f32_e32 v1, v1, v184
	v_mul_f32_e32 v5, v137, v168
	v_fma_f32 v4, v134, v200, -v4
	;; [unrolled: 5-line block ×4, first 2 shown]
	s_waitcnt lgkmcnt(1)
	v_mul_f32_e32 v186, v6, v170
	v_add_f32_e32 v2, v2, v5
	v_add_f32_e32 v1, v1, v185
	v_mul_f32_e32 v5, v7, v170
	s_waitcnt vmcnt(2)
	v_fma_f32 v4, v148, v202, -v4
	v_fmac_f32_e32 v174, v149, v202
	v_add_f32_e32 v2, v2, v3
	v_add_f32_e32 v1, v1, v177
	v_mul_f32_e32 v3, v9, v171
	v_fma_f32 v5, v6, v196, -v5
	v_mul_f32_e32 v155, v8, v171
	v_add_f32_e32 v2, v2, v4
	v_fmac_f32_e32 v186, v7, v196
	v_add_f32_e32 v1, v1, v174
	s_waitcnt lgkmcnt(0)
	v_mul_f32_e32 v4, v151, v173
	v_fma_f32 v3, v8, v182, -v3
	v_add_f32_e32 v2, v2, v5
	v_mul_f32_e32 v187, v150, v173
	v_fmac_f32_e32 v155, v9, v182
	v_add_f32_e32 v1, v1, v186
	v_mul_f32_e32 v5, v153, v10
	v_fma_f32 v4, v150, v180, -v4
	v_add_f32_e32 v2, v2, v3
	v_mul_f32_e32 v139, v152, v10
	v_fmac_f32_e32 v187, v151, v180
	v_add_f32_e32 v1, v1, v155
	s_waitcnt vmcnt(1)
	v_fma_f32 v3, v152, v203, -v5
	v_add_f32_e32 v2, v2, v4
	v_fmac_f32_e32 v139, v153, v203
	v_add_f32_e32 v1, v1, v187
	v_add_f32_e32 v2, v2, v3
	;; [unrolled: 1-line block ×3, first 2 shown]
	s_waitcnt vmcnt(0)
	v_sub_f32_e32 v2, v160, v2
	v_sub_f32_e32 v1, v195, v1
	buffer_store_dword v2, off, s[0:3], 0 offset:152
	buffer_store_dword v1, off, s[0:3], 0 offset:156
	v_cmpx_lt_u32_e32 18, v0
	s_cbranch_execz .LBB59_337
; %bb.336:
	s_clause 0x1
	buffer_load_dword v1, off, s[0:3], 0 offset:144
	buffer_load_dword v2, off, s[0:3], 0 offset:148
	v_mov_b32_e32 v3, 0
	buffer_store_dword v3, off, s[0:3], 0 offset:144
	buffer_store_dword v3, off, s[0:3], 0 offset:148
	s_waitcnt vmcnt(0)
	ds_write_b64 v133, v[1:2]
.LBB59_337:
	s_or_b32 exec_lo, exec_lo, s4
	s_waitcnt lgkmcnt(0)
	s_waitcnt_vscnt null, 0x0
	s_barrier
	buffer_gl0_inv
	s_clause 0x23
	buffer_load_dword v3, off, s[0:3], 0 offset:156
	buffer_load_dword v2, off, s[0:3], 0 offset:164
	;; [unrolled: 1-line block ×36, first 2 shown]
	v_mov_b32_e32 v1, 0
	s_mov_b32 s4, exec_lo
	ds_read2_b64 v[4:7], v1 offset0:79 offset1:80
	s_clause 0x1
	buffer_load_dword v183, off, s[0:3], 0 offset:292
	buffer_load_dword v184, off, s[0:3], 0 offset:300
	ds_read2_b64 v[8:11], v1 offset0:81 offset1:82
	s_clause 0x8
	buffer_load_dword v185, off, s[0:3], 0 offset:308
	buffer_load_dword v186, off, s[0:3], 0 offset:316
	buffer_load_dword v187, off, s[0:3], 0 offset:324
	buffer_load_dword v188, off, s[0:3], 0 offset:332
	buffer_load_dword v189, off, s[0:3], 0 offset:328
	buffer_load_dword v190, off, s[0:3], 0 offset:320
	buffer_load_dword v191, off, s[0:3], 0 offset:312
	buffer_load_dword v192, off, s[0:3], 0 offset:304
	buffer_load_dword v193, off, s[0:3], 0 offset:340
	ds_read2_b64 v[134:137], v1 offset0:83 offset1:84
	ds_read2_b64 v[138:141], v1 offset0:85 offset1:86
	buffer_load_dword v194, off, s[0:3], 0 offset:148
	ds_read2_b64 v[142:145], v1 offset0:87 offset1:88
	ds_read2_b64 v[146:149], v1 offset0:89 offset1:90
	s_waitcnt vmcnt(47) lgkmcnt(5)
	v_mul_f32_e32 v195, v5, v3
	v_mul_f32_e32 v196, v4, v3
	s_waitcnt vmcnt(46)
	v_mul_f32_e32 v197, v6, v2
	v_mul_f32_e32 v2, v7, v2
	s_waitcnt vmcnt(43)
	v_fma_f32 v195, v4, v151, -v195
	v_fmac_f32_e32 v196, v5, v151
	s_waitcnt vmcnt(42) lgkmcnt(4)
	v_mul_f32_e32 v151, v8, v152
	v_mul_f32_e32 v152, v9, v152
	v_fmac_f32_e32 v197, v7, v150
	v_fma_f32 v150, v6, v150, -v2
	s_waitcnt vmcnt(41)
	v_mul_f32_e32 v198, v10, v153
	v_mul_f32_e32 v6, v11, v153
	v_fmac_f32_e32 v151, v9, v12
	v_fma_f32 v12, v8, v12, -v152
	s_waitcnt vmcnt(40) lgkmcnt(3)
	v_mul_f32_e32 v152, v134, v154
	v_mul_f32_e32 v7, v135, v154
	s_waitcnt vmcnt(36)
	v_fmac_f32_e32 v198, v11, v158
	v_fma_f32 v10, v10, v158, -v6
	s_waitcnt vmcnt(35)
	v_mul_f32_e32 v11, v136, v159
	v_mul_f32_e32 v6, v137, v159
	ds_read2_b64 v[2:5], v1 offset0:91 offset1:92
	s_waitcnt vmcnt(34) lgkmcnt(3)
	v_mul_f32_e32 v153, v138, v160
	v_mul_f32_e32 v8, v139, v160
	s_waitcnt vmcnt(33)
	v_mul_f32_e32 v154, v140, v161
	v_mul_f32_e32 v9, v141, v161
	v_fmac_f32_e32 v152, v135, v157
	v_fma_f32 v134, v134, v157, -v7
	v_fmac_f32_e32 v11, v137, v156
	v_fma_f32 v135, v136, v156, -v6
	s_clause 0x6
	buffer_load_dword v156, off, s[0:3], 0 offset:348
	buffer_load_dword v157, off, s[0:3], 0 offset:356
	buffer_load_dword v158, off, s[0:3], 0 offset:364
	buffer_load_dword v159, off, s[0:3], 0 offset:360
	buffer_load_dword v160, off, s[0:3], 0 offset:352
	buffer_load_dword v161, off, s[0:3], 0 offset:344
	buffer_load_dword v199, off, s[0:3], 0 offset:336
	v_fma_f32 v136, v138, v155, -v8
	s_waitcnt vmcnt(36)
	v_fma_f32 v137, v140, v165, -v9
	ds_read2_b64 v[6:9], v1 offset0:93 offset1:94
	v_fmac_f32_e32 v153, v139, v155
	v_fmac_f32_e32 v154, v141, v165
	s_waitcnt vmcnt(35) lgkmcnt(3)
	v_mul_f32_e32 v139, v143, v166
	s_waitcnt vmcnt(34)
	v_mul_f32_e32 v140, v144, v167
	v_mul_f32_e32 v141, v145, v167
	;; [unrolled: 1-line block ×3, first 2 shown]
	s_waitcnt vmcnt(33) lgkmcnt(2)
	v_mul_f32_e32 v155, v146, v168
	v_mul_f32_e32 v165, v147, v168
	v_fma_f32 v139, v142, v164, -v139
	s_waitcnt vmcnt(32)
	v_mul_f32_e32 v142, v148, v169
	v_fmac_f32_e32 v140, v145, v163
	v_fma_f32 v141, v144, v163, -v141
	s_waitcnt vmcnt(31) lgkmcnt(1)
	v_mul_f32_e32 v144, v2, v170
	v_mul_f32_e32 v145, v3, v170
	v_fmac_f32_e32 v138, v143, v164
	v_mul_f32_e32 v143, v149, v169
	v_fmac_f32_e32 v155, v147, v162
	v_fma_f32 v146, v146, v162, -v165
	s_waitcnt vmcnt(27)
	v_fmac_f32_e32 v142, v149, v174
	s_clause 0x7
	buffer_load_dword v162, off, s[0:3], 0 offset:372
	buffer_load_dword v163, off, s[0:3], 0 offset:380
	;; [unrolled: 1-line block ×8, first 2 shown]
	v_fmac_f32_e32 v144, v3, v173
	v_fma_f32 v145, v2, v173, -v145
	s_waitcnt vmcnt(33) lgkmcnt(0)
	v_mul_f32_e32 v149, v6, v176
	v_mul_f32_e32 v2, v7, v176
	v_add_f32_e32 v3, 0, v195
	v_fma_f32 v143, v148, v174, -v143
	v_mul_f32_e32 v147, v4, v175
	v_fmac_f32_e32 v149, v7, v171
	v_fma_f32 v171, v6, v171, -v2
	v_add_f32_e32 v2, 0, v196
	v_add_f32_e32 v3, v3, v150
	v_mul_f32_e32 v148, v5, v175
	s_clause 0x1
	buffer_load_dword v170, off, s[0:3], 0 offset:404
	buffer_load_dword v173, off, s[0:3], 0 offset:412
	v_fmac_f32_e32 v147, v5, v172
	v_add_f32_e32 v2, v2, v197
	v_add_f32_e32 v6, v3, v12
	s_waitcnt vmcnt(34)
	v_mul_f32_e32 v3, v9, v177
	v_fma_f32 v148, v4, v172, -v148
	s_clause 0x5
	buffer_load_dword v172, off, s[0:3], 0 offset:420
	buffer_load_dword v174, off, s[0:3], 0 offset:428
	;; [unrolled: 1-line block ×6, first 2 shown]
	v_mul_f32_e32 v12, v8, v177
	v_add_f32_e32 v7, v2, v151
	s_waitcnt vmcnt(36)
	v_fma_f32 v150, v8, v181, -v3
	ds_read2_b64 v[2:5], v1 offset0:95 offset1:96
	s_clause 0x1
	buffer_load_dword v197, off, s[0:3], 0 offset:468
	buffer_load_dword v177, off, s[0:3], 0 offset:476
	v_fmac_f32_e32 v12, v9, v181
	v_add_f32_e32 v7, v7, v198
	s_clause 0x3
	buffer_load_dword v181, off, s[0:3], 0 offset:424
	buffer_load_dword v198, off, s[0:3], 0 offset:416
	;; [unrolled: 1-line block ×4, first 2 shown]
	v_add_f32_e32 v6, v6, v10
	v_add_f32_e32 v7, v7, v152
	;; [unrolled: 1-line block ×6, first 2 shown]
	s_waitcnt vmcnt(41) lgkmcnt(0)
	v_mul_f32_e32 v151, v2, v182
	v_mul_f32_e32 v134, v3, v182
	v_add_f32_e32 v11, v6, v136
	ds_read2_b64 v[6:9], v1 offset0:97 offset1:98
	v_fmac_f32_e32 v151, v3, v180
	v_fma_f32 v152, v2, v180, -v134
	v_add_f32_e32 v2, v10, v154
	s_clause 0x6
	buffer_load_dword v154, off, s[0:3], 0 offset:456
	buffer_load_dword v180, off, s[0:3], 0 offset:448
	;; [unrolled: 1-line block ×7, first 2 shown]
	v_add_f32_e32 v11, v11, v137
	v_add_f32_e32 v2, v2, v138
	s_waitcnt vmcnt(47)
	v_mul_f32_e32 v10, v4, v183
	v_add_f32_e32 v3, v11, v139
	v_add_f32_e32 v2, v2, v140
	v_mul_f32_e32 v11, v5, v183
	v_fmac_f32_e32 v10, v5, v179
	v_add_f32_e32 v3, v3, v141
	v_add_f32_e32 v134, v2, v155
	s_waitcnt vmcnt(46) lgkmcnt(0)
	v_mul_f32_e32 v153, v6, v184
	v_mul_f32_e32 v140, v7, v184
	s_waitcnt vmcnt(45)
	v_mul_f32_e32 v155, v8, v185
	v_add_f32_e32 v3, v3, v146
	v_add_f32_e32 v139, v134, v142
	v_mul_f32_e32 v141, v9, v185
	v_fma_f32 v11, v4, v179, -v11
	ds_read2_b64 v[134:137], v1 offset0:101 offset1:102
	v_add_f32_e32 v138, v3, v143
	v_add_f32_e32 v139, v139, v144
	ds_read2_b64 v[2:5], v1 offset0:99 offset1:100
	v_fmac_f32_e32 v153, v7, v178
	v_fma_f32 v178, v6, v178, -v140
	v_add_f32_e32 v138, v138, v145
	v_add_f32_e32 v143, v139, v147
	s_waitcnt vmcnt(38)
	v_fmac_f32_e32 v155, v9, v192
	v_fma_f32 v179, v8, v192, -v141
	v_add_f32_e32 v142, v138, v148
	ds_read2_b64 v[6:9], v1 offset0:103 offset1:104
	ds_read2_b64 v[138:141], v1 offset0:105 offset1:106
	v_add_f32_e32 v143, v143, v149
	v_add_f32_e32 v142, v142, v171
	;; [unrolled: 1-line block ×3, first 2 shown]
	s_waitcnt lgkmcnt(3)
	v_mul_f32_e32 v146, v135, v188
	v_add_f32_e32 v142, v142, v150
	v_mul_f32_e32 v184, v134, v188
	v_add_f32_e32 v12, v12, v151
	s_waitcnt lgkmcnt(2)
	v_mul_f32_e32 v144, v3, v186
	v_mul_f32_e32 v171, v2, v186
	v_add_f32_e32 v147, v142, v152
	v_mul_f32_e32 v145, v5, v187
	v_add_f32_e32 v10, v12, v10
	v_fma_f32 v150, v2, v191, -v144
	v_mul_f32_e32 v183, v4, v187
	v_add_f32_e32 v11, v147, v11
	v_fmac_f32_e32 v171, v3, v191
	v_add_f32_e32 v10, v10, v153
	v_fma_f32 v186, v4, v190, -v145
	v_fmac_f32_e32 v183, v5, v190
	v_add_f32_e32 v11, v11, v178
	s_waitcnt vmcnt(37)
	v_mul_f32_e32 v148, v137, v193
	v_add_f32_e32 v10, v10, v155
	v_fma_f32 v187, v134, v189, -v146
	v_mul_f32_e32 v185, v136, v193
	v_fmac_f32_e32 v184, v135, v189
	ds_read2_b64 v[2:5], v1 offset0:107 offset1:108
	ds_read2_b64 v[142:145], v1 offset0:109 offset1:110
	s_waitcnt vmcnt(35) lgkmcnt(3)
	v_mul_f32_e32 v12, v6, v156
	v_mul_f32_e32 v151, v7, v156
	s_waitcnt vmcnt(34)
	v_mul_f32_e32 v178, v8, v157
	v_mul_f32_e32 v152, v9, v157
	s_waitcnt vmcnt(30)
	v_fmac_f32_e32 v12, v7, v161
	v_add_f32_e32 v7, v11, v179
	v_fmac_f32_e32 v178, v9, v160
	v_fma_f32 v156, v8, v160, -v152
	v_add_f32_e32 v160, v10, v171
	s_waitcnt vmcnt(29)
	v_fma_f32 v188, v136, v199, -v148
	v_add_f32_e32 v157, v7, v150
	v_fmac_f32_e32 v185, v137, v199
	v_fma_f32 v155, v6, v161, -v151
	v_add_f32_e32 v160, v160, v183
	s_waitcnt lgkmcnt(2)
	v_mul_f32_e32 v161, v138, v158
	v_add_f32_e32 v157, v157, v186
	v_mul_f32_e32 v158, v139, v158
	ds_read2_b64 v[134:137], v1 offset0:111 offset1:112
	ds_read2_b64 v[146:149], v1 offset0:113 offset1:114
	v_add_f32_e32 v160, v160, v184
	v_fmac_f32_e32 v161, v139, v159
	v_add_f32_e32 v157, v157, v187
	v_fma_f32 v138, v138, v159, -v158
	s_waitcnt vmcnt(28)
	v_mul_f32_e32 v171, v140, v162
	v_add_f32_e32 v159, v160, v185
	v_mul_f32_e32 v162, v141, v162
	v_add_f32_e32 v157, v157, v188
	s_waitcnt vmcnt(27) lgkmcnt(3)
	v_mul_f32_e32 v179, v2, v163
	v_mul_f32_e32 v163, v3, v163
	v_add_f32_e32 v12, v159, v12
	s_waitcnt vmcnt(21)
	v_fma_f32 v140, v140, v169, -v162
	v_add_f32_e32 v155, v157, v155
	v_fmac_f32_e32 v171, v141, v169
	v_fmac_f32_e32 v179, v3, v168
	v_add_f32_e32 v12, v12, v178
	v_fma_f32 v2, v2, v168, -v163
	v_add_f32_e32 v155, v155, v156
	v_mul_f32_e32 v156, v5, v164
	v_mul_f32_e32 v183, v4, v164
	v_add_f32_e32 v12, v12, v161
	s_waitcnt lgkmcnt(2)
	v_mul_f32_e32 v139, v142, v165
	v_add_f32_e32 v138, v155, v138
	v_fma_f32 v4, v4, v167, -v156
	v_fmac_f32_e32 v183, v5, v167
	v_add_f32_e32 v12, v12, v171
	s_waitcnt vmcnt(20)
	v_mul_f32_e32 v5, v145, v170
	v_add_f32_e32 v3, v138, v140
	v_mul_f32_e32 v138, v143, v165
	v_mul_f32_e32 v158, v144, v170
	v_fmac_f32_e32 v139, v143, v166
	s_waitcnt vmcnt(19) lgkmcnt(1)
	v_mul_f32_e32 v160, v134, v173
	v_add_f32_e32 v2, v3, v2
	v_add_f32_e32 v3, v12, v179
	v_fma_f32 v12, v142, v166, -v138
	ds_read2_b64 v[6:9], v1 offset0:115 offset1:116
	ds_read2_b64 v[150:153], v1 offset0:117 offset1:118
	ds_read_b64 v[10:11], v1 offset:952
	s_waitcnt vmcnt(18)
	v_mul_f32_e32 v141, v136, v172
	v_add_f32_e32 v2, v2, v4
	v_add_f32_e32 v3, v3, v183
	v_mul_f32_e32 v4, v135, v173
	s_waitcnt vmcnt(7)
	v_fma_f32 v5, v144, v201, -v5
	v_fmac_f32_e32 v158, v145, v201
	v_add_f32_e32 v2, v2, v12
	v_add_f32_e32 v3, v3, v139
	v_mul_f32_e32 v12, v137, v172
	v_fma_f32 v4, v134, v200, -v4
	v_fmac_f32_e32 v160, v135, v200
	v_add_f32_e32 v2, v2, v5
	v_add_f32_e32 v3, v3, v158
	s_waitcnt lgkmcnt(3)
	v_mul_f32_e32 v5, v147, v174
	v_fma_f32 v12, v136, v198, -v12
	v_mul_f32_e32 v162, v146, v174
	v_add_f32_e32 v2, v2, v4
	v_fmac_f32_e32 v141, v137, v198
	v_add_f32_e32 v3, v3, v160
	v_mul_f32_e32 v4, v149, v175
	v_fma_f32 v5, v146, v181, -v5
	v_add_f32_e32 v2, v2, v12
	v_mul_f32_e32 v157, v148, v175
	v_fmac_f32_e32 v162, v147, v181
	v_add_f32_e32 v3, v3, v141
	s_waitcnt lgkmcnt(2)
	v_mul_f32_e32 v12, v7, v176
	s_waitcnt vmcnt(3)
	v_fma_f32 v4, v148, v202, -v4
	v_add_f32_e32 v2, v2, v5
	v_mul_f32_e32 v159, v6, v176
	v_fmac_f32_e32 v157, v149, v202
	v_add_f32_e32 v3, v3, v162
	v_mul_f32_e32 v5, v9, v195
	v_fma_f32 v6, v6, v182, -v12
	v_add_f32_e32 v2, v2, v4
	v_mul_f32_e32 v169, v8, v195
	v_fmac_f32_e32 v159, v7, v182
	v_add_f32_e32 v3, v3, v157
	s_waitcnt lgkmcnt(1)
	v_mul_f32_e32 v4, v151, v196
	v_fma_f32 v5, v8, v180, -v5
	v_add_f32_e32 v2, v2, v6
	v_mul_f32_e32 v164, v150, v196
	v_fmac_f32_e32 v169, v9, v180
	v_add_f32_e32 v3, v3, v159
	v_mul_f32_e32 v6, v153, v197
	v_fma_f32 v4, v150, v154, -v4
	v_add_f32_e32 v2, v2, v5
	v_mul_f32_e32 v178, v152, v197
	v_fmac_f32_e32 v164, v151, v154
	v_add_f32_e32 v3, v3, v169
	s_waitcnt lgkmcnt(0)
	v_mul_f32_e32 v5, v11, v177
	s_waitcnt vmcnt(1)
	v_fma_f32 v6, v152, v204, -v6
	v_add_f32_e32 v2, v2, v4
	v_mul_f32_e32 v155, v10, v177
	v_fmac_f32_e32 v178, v153, v204
	v_add_f32_e32 v3, v3, v164
	v_fma_f32 v4, v10, v203, -v5
	v_add_f32_e32 v2, v2, v6
	v_fmac_f32_e32 v155, v11, v203
	v_add_f32_e32 v3, v3, v178
	v_add_f32_e32 v2, v2, v4
	;; [unrolled: 1-line block ×3, first 2 shown]
	s_waitcnt vmcnt(0)
	v_sub_f32_e32 v2, v205, v2
	v_sub_f32_e32 v3, v194, v3
	buffer_store_dword v2, off, s[0:3], 0 offset:144
	buffer_store_dword v3, off, s[0:3], 0 offset:148
	v_cmpx_lt_u32_e32 17, v0
	s_cbranch_execz .LBB59_339
; %bb.338:
	s_clause 0x1
	buffer_load_dword v2, off, s[0:3], 0 offset:136
	buffer_load_dword v3, off, s[0:3], 0 offset:140
	buffer_store_dword v1, off, s[0:3], 0 offset:136
	buffer_store_dword v1, off, s[0:3], 0 offset:140
	s_waitcnt vmcnt(0)
	ds_write_b64 v133, v[2:3]
.LBB59_339:
	s_or_b32 exec_lo, exec_lo, s4
	s_waitcnt lgkmcnt(0)
	s_waitcnt_vscnt null, 0x0
	s_barrier
	buffer_gl0_inv
	s_clause 0x24
	buffer_load_dword v2, off, s[0:3], 0 offset:148
	buffer_load_dword v3, off, s[0:3], 0 offset:156
	;; [unrolled: 1-line block ×37, first 2 shown]
	ds_read_b128 v[6:9], v1 offset:624
	ds_read_b128 v[134:137], v1 offset:640
	s_clause 0x8
	buffer_load_dword v186, off, s[0:3], 0 offset:292
	buffer_load_dword v187, off, s[0:3], 0 offset:300
	;; [unrolled: 1-line block ×9, first 2 shown]
	ds_read_b128 v[138:141], v1 offset:656
	ds_read_b128 v[142:145], v1 offset:672
	;; [unrolled: 1-line block ×4, first 2 shown]
	buffer_load_dword v193, off, s[0:3], 0 offset:140
	s_mov_b32 s4, exec_lo
	s_waitcnt vmcnt(46) lgkmcnt(5)
	v_mul_f32_e32 v194, v7, v2
	v_mul_f32_e32 v2, v6, v2
	s_waitcnt vmcnt(45)
	v_mul_f32_e32 v195, v8, v3
	v_mul_f32_e32 v3, v9, v3
	s_waitcnt vmcnt(44) lgkmcnt(4)
	v_mul_f32_e32 v196, v134, v10
	v_mul_f32_e32 v10, v135, v10
	s_waitcnt vmcnt(41)
	v_fma_f32 v194, v6, v154, -v194
	v_fmac_f32_e32 v2, v7, v154
	s_waitcnt vmcnt(40)
	v_mul_f32_e32 v154, v136, v155
	v_mul_f32_e32 v6, v137, v155
	v_fmac_f32_e32 v195, v9, v12
	v_fma_f32 v3, v8, v12, -v3
	s_waitcnt vmcnt(35) lgkmcnt(3)
	v_mul_f32_e32 v12, v138, v160
	v_mul_f32_e32 v155, v139, v160
	v_fmac_f32_e32 v196, v135, v11
	v_fma_f32 v10, v134, v11, -v10
	v_fmac_f32_e32 v154, v137, v159
	v_fma_f32 v11, v136, v159, -v6
	s_waitcnt vmcnt(34)
	v_mul_f32_e32 v159, v140, v161
	v_mul_f32_e32 v160, v141, v161
	s_waitcnt vmcnt(33) lgkmcnt(2)
	v_mul_f32_e32 v161, v142, v162
	v_mul_f32_e32 v162, v143, v162
	v_fmac_f32_e32 v12, v139, v158
	v_fma_f32 v155, v138, v158, -v155
	s_waitcnt vmcnt(32)
	v_mul_f32_e32 v158, v144, v163
	v_mul_f32_e32 v138, v145, v163
	ds_read_b128 v[6:9], v1 offset:720
	ds_read_b128 v[134:137], v1 offset:736
	v_fmac_f32_e32 v159, v141, v157
	v_fma_f32 v157, v140, v157, -v160
	s_waitcnt vmcnt(31) lgkmcnt(3)
	v_mul_f32_e32 v160, v146, v164
	v_mul_f32_e32 v139, v147, v164
	s_waitcnt vmcnt(30)
	v_mul_f32_e32 v163, v148, v165
	v_mul_f32_e32 v140, v149, v165
	v_fmac_f32_e32 v161, v143, v156
	v_fma_f32 v142, v142, v156, -v162
	s_waitcnt vmcnt(26)
	v_fmac_f32_e32 v158, v145, v169
	v_fma_f32 v143, v144, v169, -v138
	s_clause 0x7
	buffer_load_dword v156, off, s[0:3], 0 offset:332
	buffer_load_dword v162, off, s[0:3], 0 offset:340
	;; [unrolled: 1-line block ×8, first 2 shown]
	v_fmac_f32_e32 v160, v147, v168
	v_fma_f32 v144, v146, v168, -v139
	v_fmac_f32_e32 v163, v149, v167
	v_fma_f32 v145, v148, v167, -v140
	s_waitcnt vmcnt(33) lgkmcnt(2)
	v_mul_f32_e32 v146, v150, v170
	v_mul_f32_e32 v147, v151, v170
	s_waitcnt vmcnt(32)
	v_mul_f32_e32 v148, v152, v171
	v_mul_f32_e32 v149, v153, v171
	ds_read_b128 v[138:141], v1 offset:752
	buffer_load_dword v167, off, s[0:3], 0 offset:364
	v_fmac_f32_e32 v146, v151, v166
	v_fma_f32 v147, v150, v166, -v147
	s_waitcnt vmcnt(32) lgkmcnt(2)
	v_mul_f32_e32 v150, v6, v172
	v_mul_f32_e32 v151, v7, v172
	s_waitcnt vmcnt(28)
	v_fmac_f32_e32 v148, v153, v176
	v_fma_f32 v149, v152, v176, -v149
	s_waitcnt vmcnt(27)
	v_mul_f32_e32 v152, v8, v177
	v_mul_f32_e32 v153, v9, v177
	v_fmac_f32_e32 v150, v7, v175
	v_fma_f32 v151, v6, v175, -v151
	s_waitcnt vmcnt(26) lgkmcnt(1)
	v_mul_f32_e32 v166, v134, v178
	v_fmac_f32_e32 v152, v9, v174
	v_fma_f32 v153, v8, v174, -v153
	s_clause 0x4
	buffer_load_dword v170, off, s[0:3], 0 offset:372
	buffer_load_dword v171, off, s[0:3], 0 offset:384
	;; [unrolled: 1-line block ×5, first 2 shown]
	v_mul_f32_e32 v168, v135, v178
	s_waitcnt vmcnt(30)
	v_mul_f32_e32 v177, v137, v179
	v_fmac_f32_e32 v166, v135, v173
	v_add_f32_e32 v2, 0, v2
	v_mul_f32_e32 v176, v136, v179
	v_fma_f32 v168, v134, v173, -v168
	s_waitcnt vmcnt(26)
	v_fma_f32 v173, v136, v183, -v177
	s_waitcnt vmcnt(25) lgkmcnt(0)
	v_mul_f32_e32 v177, v138, v184
	v_mul_f32_e32 v134, v139, v184
	v_add_f32_e32 v2, v2, v195
	ds_read_b128 v[6:9], v1 offset:768
	s_clause 0x1
	buffer_load_dword v178, off, s[0:3], 0 offset:380
	buffer_load_dword v179, off, s[0:3], 0 offset:388
	v_fmac_f32_e32 v177, v139, v182
	v_fma_f32 v182, v138, v182, -v134
	v_add_f32_e32 v134, 0, v194
	v_add_f32_e32 v2, v2, v196
	v_fmac_f32_e32 v176, v137, v183
	s_waitcnt vmcnt(26)
	v_mul_f32_e32 v183, v140, v185
	v_mul_f32_e32 v135, v141, v185
	v_add_f32_e32 v3, v134, v3
	v_add_f32_e32 v2, v2, v154
	s_clause 0x4
	buffer_load_dword v184, off, s[0:3], 0 offset:396
	buffer_load_dword v185, off, s[0:3], 0 offset:404
	;; [unrolled: 1-line block ×5, first 2 shown]
	v_add_f32_e32 v3, v3, v10
	s_clause 0x5
	buffer_load_dword v202, off, s[0:3], 0 offset:436
	buffer_load_dword v203, off, s[0:3], 0 offset:444
	;; [unrolled: 1-line block ×6, first 2 shown]
	v_add_f32_e32 v3, v3, v11
	v_add_f32_e32 v2, v2, v12
	s_waitcnt vmcnt(36) lgkmcnt(0)
	v_mul_f32_e32 v208, v6, v186
	v_mul_f32_e32 v134, v7, v186
	v_fmac_f32_e32 v183, v141, v181
	v_add_f32_e32 v3, v3, v155
	s_clause 0x3
	buffer_load_dword v11, off, s[0:3], 0 offset:416
	buffer_load_dword v12, off, s[0:3], 0 offset:408
	;; [unrolled: 1-line block ×4, first 2 shown]
	v_add_f32_e32 v2, v2, v159
	v_fma_f32 v181, v140, v181, -v135
	v_fmac_f32_e32 v208, v7, v180
	v_add_f32_e32 v3, v3, v157
	v_add_f32_e32 v2, v2, v161
	s_clause 0x3
	buffer_load_dword v157, off, s[0:3], 0 offset:448
	buffer_load_dword v159, off, s[0:3], 0 offset:440
	;; [unrolled: 1-line block ×4, first 2 shown]
	v_add_f32_e32 v3, v3, v142
	v_add_f32_e32 v2, v2, v158
	s_clause 0x2
	buffer_load_dword v158, off, s[0:3], 0 offset:472
	buffer_load_dword v206, off, s[0:3], 0 offset:464
	;; [unrolled: 1-line block ×3, first 2 shown]
	ds_read_b128 v[138:141], v1 offset:816
	v_add_f32_e32 v3, v3, v143
	v_add_f32_e32 v2, v2, v160
	buffer_load_dword v160, off, s[0:3], 0 offset:136
	v_add_f32_e32 v3, v3, v144
	v_add_f32_e32 v2, v2, v163
	v_fma_f32 v163, v6, v180, -v134
	ds_read_b128 v[134:137], v1 offset:784
	v_add_f32_e32 v3, v3, v145
	s_waitcnt vmcnt(47)
	v_mul_f32_e32 v180, v8, v187
	v_add_f32_e32 v2, v2, v146
	v_mul_f32_e32 v6, v9, v187
	v_add_f32_e32 v3, v3, v147
	s_waitcnt vmcnt(40)
	v_fmac_f32_e32 v180, v9, v192
	v_add_f32_e32 v2, v2, v148
	v_fma_f32 v186, v8, v192, -v6
	ds_read_b128 v[6:9], v1 offset:800
	v_add_f32_e32 v3, v3, v149
	v_add_f32_e32 v2, v2, v150
	;; [unrolled: 1-line block ×4, first 2 shown]
	s_waitcnt lgkmcnt(1)
	v_mul_f32_e32 v150, v134, v188
	v_add_f32_e32 v3, v3, v153
	v_mul_f32_e32 v142, v135, v188
	v_add_f32_e32 v2, v2, v166
	v_mul_f32_e32 v166, v136, v189
	v_fmac_f32_e32 v150, v135, v191
	v_add_f32_e32 v3, v3, v168
	v_fma_f32 v151, v134, v191, -v142
	ds_read_b128 v[142:145], v1 offset:832
	v_add_f32_e32 v2, v2, v176
	s_waitcnt lgkmcnt(1)
	v_mul_f32_e32 v135, v7, v190
	v_add_f32_e32 v3, v3, v173
	v_mul_f32_e32 v168, v6, v190
	v_mul_f32_e32 v134, v137, v189
	v_add_f32_e32 v2, v2, v177
	v_fma_f32 v176, v6, v4, -v135
	v_add_f32_e32 v3, v3, v182
	v_fmac_f32_e32 v168, v7, v4
	v_fma_f32 v152, v136, v5, -v134
	v_add_f32_e32 v7, v2, v183
	v_fmac_f32_e32 v166, v137, v5
	v_add_f32_e32 v6, v3, v181
	ds_read_b128 v[2:5], v1 offset:848
	ds_read_b128 v[134:137], v1 offset:864
	s_waitcnt vmcnt(38)
	v_mul_f32_e32 v173, v8, v156
	v_mul_f32_e32 v146, v9, v156
	s_waitcnt vmcnt(37)
	v_mul_f32_e32 v156, v138, v162
	v_mul_f32_e32 v147, v139, v162
	;; [unrolled: 3-line block ×3, first 2 shown]
	s_waitcnt vmcnt(35) lgkmcnt(2)
	v_mul_f32_e32 v164, v142, v165
	s_waitcnt vmcnt(32)
	v_fmac_f32_e32 v156, v139, v198
	v_add_f32_e32 v139, v6, v163
	v_fma_f32 v163, v138, v198, -v147
	v_add_f32_e32 v138, v7, v208
	v_fmac_f32_e32 v164, v143, v169
	s_waitcnt vmcnt(31)
	v_fma_f32 v162, v8, v199, -v146
	v_add_f32_e32 v139, v139, v186
	v_fmac_f32_e32 v173, v9, v199
	v_add_f32_e32 v138, v138, v180
	v_fmac_f32_e32 v177, v141, v197
	s_waitcnt vmcnt(30)
	v_mul_f32_e32 v180, v144, v167
	v_add_f32_e32 v139, v139, v151
	v_mul_f32_e32 v151, v143, v165
	v_mul_f32_e32 v165, v145, v167
	v_fma_f32 v167, v140, v197, -v153
	ds_read_b128 v[6:9], v1 offset:880
	ds_read_b128 v[146:149], v1 offset:896
	v_add_f32_e32 v181, v139, v152
	v_fma_f32 v169, v142, v169, -v151
	v_add_f32_e32 v142, v138, v150
	ds_read_b128 v[138:141], v1 offset:912
	ds_read_b128 v[150:153], v1 offset:928
	v_add_f32_e32 v166, v142, v166
	s_waitcnt vmcnt(25)
	v_fmac_f32_e32 v180, v145, v175
	v_fma_f32 v165, v144, v175, -v165
	v_add_f32_e32 v175, v181, v176
	ds_read_b128 v[142:145], v1 offset:944
	v_add_f32_e32 v166, v166, v168
	s_waitcnt lgkmcnt(6)
	v_mul_f32_e32 v1, v2, v170
	v_mul_f32_e32 v170, v3, v170
	v_add_f32_e32 v162, v175, v162
	v_add_f32_e32 v166, v166, v173
	v_fmac_f32_e32 v1, v3, v174
	s_waitcnt vmcnt(24)
	v_mul_f32_e32 v176, v5, v178
	v_add_f32_e32 v162, v162, v163
	v_fma_f32 v2, v2, v174, -v170
	v_add_f32_e32 v156, v166, v156
	v_mul_f32_e32 v168, v4, v178
	v_fma_f32 v4, v4, v172, -v176
	v_add_f32_e32 v162, v162, v167
	s_waitcnt vmcnt(23) lgkmcnt(5)
	v_mul_f32_e32 v175, v134, v179
	v_add_f32_e32 v156, v156, v177
	v_fmac_f32_e32 v168, v5, v172
	s_waitcnt vmcnt(22)
	v_mul_f32_e32 v5, v137, v184
	v_add_f32_e32 v162, v162, v169
	v_mul_f32_e32 v173, v136, v184
	v_add_f32_e32 v156, v156, v164
	v_fmac_f32_e32 v175, v135, v171
	s_waitcnt vmcnt(21) lgkmcnt(4)
	v_mul_f32_e32 v178, v6, v185
	v_add_f32_e32 v162, v162, v165
	v_mul_f32_e32 v165, v135, v179
	v_add_f32_e32 v156, v156, v180
	s_waitcnt vmcnt(20)
	v_mul_f32_e32 v163, v8, v200
	s_waitcnt vmcnt(19) lgkmcnt(3)
	v_mul_f32_e32 v166, v146, v194
	v_add_f32_e32 v2, v162, v2
	v_fma_f32 v134, v134, v171, -v165
	v_add_f32_e32 v1, v156, v1
	s_waitcnt vmcnt(10)
	v_fmac_f32_e32 v163, v9, v12
	s_waitcnt vmcnt(9)
	v_fmac_f32_e32 v178, v7, v154
	v_add_f32_e32 v2, v2, v4
	v_mul_f32_e32 v4, v7, v185
	v_add_f32_e32 v1, v1, v168
	s_waitcnt vmcnt(8)
	v_fma_f32 v5, v136, v155, -v5
	v_fmac_f32_e32 v173, v137, v155
	v_add_f32_e32 v2, v2, v134
	v_mul_f32_e32 v134, v9, v200
	v_add_f32_e32 v1, v1, v175
	v_fma_f32 v4, v6, v154, -v4
	v_mul_f32_e32 v181, v148, v201
	v_add_f32_e32 v2, v2, v5
	v_mul_f32_e32 v5, v147, v194
	v_add_f32_e32 v1, v1, v173
	v_fma_f32 v6, v8, v12, -v134
	v_fmac_f32_e32 v166, v147, v11
	v_add_f32_e32 v2, v2, v4
	v_mul_f32_e32 v4, v149, v201
	v_add_f32_e32 v1, v1, v178
	v_fma_f32 v5, v146, v11, -v5
	s_waitcnt lgkmcnt(2)
	v_mul_f32_e32 v167, v138, v202
	v_add_f32_e32 v2, v2, v6
	v_mul_f32_e32 v6, v139, v202
	v_add_f32_e32 v1, v1, v163
	s_waitcnt vmcnt(4)
	v_fma_f32 v4, v148, v205, -v4
	v_fmac_f32_e32 v181, v149, v205
	v_add_f32_e32 v2, v2, v5
	v_mul_f32_e32 v5, v141, v203
	v_add_f32_e32 v1, v1, v166
	v_fma_f32 v6, v138, v161, -v6
	v_mul_f32_e32 v177, v140, v203
	v_add_f32_e32 v2, v2, v4
	v_fmac_f32_e32 v167, v139, v161
	v_add_f32_e32 v1, v1, v181
	s_waitcnt lgkmcnt(1)
	v_mul_f32_e32 v4, v151, v204
	v_fma_f32 v5, v140, v159, -v5
	v_add_f32_e32 v2, v2, v6
	v_mul_f32_e32 v182, v150, v204
	v_fmac_f32_e32 v177, v141, v159
	v_add_f32_e32 v1, v1, v167
	v_mul_f32_e32 v6, v153, v195
	v_fma_f32 v4, v150, v157, -v4
	v_add_f32_e32 v2, v2, v5
	v_mul_f32_e32 v169, v152, v195
	v_fmac_f32_e32 v182, v151, v157
	v_add_f32_e32 v1, v1, v177
	s_waitcnt lgkmcnt(0)
	v_mul_f32_e32 v5, v143, v10
	s_waitcnt vmcnt(1)
	v_fma_f32 v6, v152, v207, -v6
	v_add_f32_e32 v2, v2, v4
	v_mul_f32_e32 v164, v142, v10
	v_fmac_f32_e32 v169, v153, v207
	v_add_f32_e32 v1, v1, v182
	v_mul_f32_e32 v4, v145, v196
	v_fma_f32 v5, v142, v206, -v5
	v_add_f32_e32 v2, v2, v6
	v_mul_f32_e32 v3, v144, v196
	v_fmac_f32_e32 v164, v143, v206
	v_add_f32_e32 v1, v1, v169
	v_fma_f32 v4, v144, v158, -v4
	v_add_f32_e32 v2, v2, v5
	v_fmac_f32_e32 v3, v145, v158
	v_add_f32_e32 v1, v1, v164
	v_add_f32_e32 v2, v2, v4
	;; [unrolled: 1-line block ×3, first 2 shown]
	s_waitcnt vmcnt(0)
	v_sub_f32_e32 v2, v160, v2
	v_sub_f32_e32 v1, v193, v1
	buffer_store_dword v2, off, s[0:3], 0 offset:136
	buffer_store_dword v1, off, s[0:3], 0 offset:140
	v_cmpx_lt_u32_e32 16, v0
	s_cbranch_execz .LBB59_341
; %bb.340:
	s_clause 0x1
	buffer_load_dword v1, off, s[0:3], 0 offset:128
	buffer_load_dword v2, off, s[0:3], 0 offset:132
	v_mov_b32_e32 v3, 0
	buffer_store_dword v3, off, s[0:3], 0 offset:128
	buffer_store_dword v3, off, s[0:3], 0 offset:132
	s_waitcnt vmcnt(0)
	ds_write_b64 v133, v[1:2]
.LBB59_341:
	s_or_b32 exec_lo, exec_lo, s4
	s_waitcnt lgkmcnt(0)
	s_waitcnt_vscnt null, 0x0
	s_barrier
	buffer_gl0_inv
	s_clause 0x25
	buffer_load_dword v136, off, s[0:3], 0 offset:140
	buffer_load_dword v137, off, s[0:3], 0 offset:148
	buffer_load_dword v135, off, s[0:3], 0 offset:152
	buffer_load_dword v139, off, s[0:3], 0 offset:144
	buffer_load_dword v142, off, s[0:3], 0 offset:136
	buffer_load_dword v141, off, s[0:3], 0 offset:156
	buffer_load_dword v140, off, s[0:3], 0 offset:164
	buffer_load_dword v138, off, s[0:3], 0 offset:172
	buffer_load_dword v143, off, s[0:3], 0 offset:184
	buffer_load_dword v144, off, s[0:3], 0 offset:176
	buffer_load_dword v146, off, s[0:3], 0 offset:168
	buffer_load_dword v150, off, s[0:3], 0 offset:160
	buffer_load_dword v148, off, s[0:3], 0 offset:180
	buffer_load_dword v147, off, s[0:3], 0 offset:188
	buffer_load_dword v145, off, s[0:3], 0 offset:196
	buffer_load_dword v149, off, s[0:3], 0 offset:204
	buffer_load_dword v151, off, s[0:3], 0 offset:216
	buffer_load_dword v152, off, s[0:3], 0 offset:208
	buffer_load_dword v154, off, s[0:3], 0 offset:200
	buffer_load_dword v158, off, s[0:3], 0 offset:192
	buffer_load_dword v157, off, s[0:3], 0 offset:212
	buffer_load_dword v155, off, s[0:3], 0 offset:220
	buffer_load_dword v153, off, s[0:3], 0 offset:228
	buffer_load_dword v156, off, s[0:3], 0 offset:236
	buffer_load_dword v162, off, s[0:3], 0 offset:248
	buffer_load_dword v164, off, s[0:3], 0 offset:240
	buffer_load_dword v165, off, s[0:3], 0 offset:232
	buffer_load_dword v169, off, s[0:3], 0 offset:224
	buffer_load_dword v168, off, s[0:3], 0 offset:244
	buffer_load_dword v167, off, s[0:3], 0 offset:252
	buffer_load_dword v166, off, s[0:3], 0 offset:260
	buffer_load_dword v160, off, s[0:3], 0 offset:280
	buffer_load_dword v173, off, s[0:3], 0 offset:272
	buffer_load_dword v178, off, s[0:3], 0 offset:264
	buffer_load_dword v182, off, s[0:3], 0 offset:256
	buffer_load_dword v181, off, s[0:3], 0 offset:268
	buffer_load_dword v176, off, s[0:3], 0 offset:276
	buffer_load_dword v180, off, s[0:3], 0 offset:284
	v_mov_b32_e32 v134, 0
	ds_read2_b64 v[9:12], v134 offset0:77 offset1:78
	ds_read2_b64 v[1:4], v134 offset0:79 offset1:80
	s_clause 0x7
	buffer_load_dword v177, off, s[0:3], 0 offset:292
	buffer_load_dword v174, off, s[0:3], 0 offset:300
	;; [unrolled: 1-line block ×8, first 2 shown]
	ds_read2_b64 v[5:8], v134 offset0:81 offset1:82
	s_clause 0x9
	buffer_load_dword v172, off, s[0:3], 0 offset:324
	buffer_load_dword v159, off, s[0:3], 0 offset:328
	;; [unrolled: 1-line block ×10, first 2 shown]
	ds_read2_b64 v[184:187], v134 offset0:83 offset1:84
	s_mov_b32 s4, exec_lo
	s_waitcnt vmcnt(55) lgkmcnt(3)
	v_mul_f32_e32 v195, v9, v136
	v_mul_f32_e32 v136, v10, v136
	s_waitcnt vmcnt(54)
	v_mul_f32_e32 v196, v11, v137
	v_mul_f32_e32 v137, v12, v137
	s_waitcnt vmcnt(51)
	v_fmac_f32_e32 v195, v10, v142
	v_fma_f32 v142, v9, v142, -v136
	s_waitcnt vmcnt(50) lgkmcnt(2)
	v_mul_f32_e32 v197, v1, v141
	v_mul_f32_e32 v136, v2, v141
	v_fmac_f32_e32 v196, v12, v139
	v_fma_f32 v139, v11, v139, -v137
	ds_read2_b64 v[9:12], v134 offset0:85 offset1:86
	s_waitcnt vmcnt(49)
	v_mul_f32_e32 v141, v3, v140
	v_mul_f32_e32 v137, v4, v140
	v_fmac_f32_e32 v197, v2, v135
	v_fma_f32 v140, v1, v135, -v136
	s_waitcnt vmcnt(48) lgkmcnt(2)
	v_mul_f32_e32 v198, v5, v138
	v_mul_f32_e32 v135, v6, v138
	s_waitcnt vmcnt(44)
	v_fmac_f32_e32 v141, v4, v150
	v_fma_f32 v150, v3, v150, -v137
	ds_read2_b64 v[1:4], v134 offset0:87 offset1:88
	s_waitcnt vmcnt(43)
	v_mul_f32_e32 v199, v7, v148
	v_mul_f32_e32 v136, v8, v148
	v_fmac_f32_e32 v198, v6, v146
	v_fma_f32 v146, v5, v146, -v135
	s_waitcnt vmcnt(42) lgkmcnt(2)
	v_mul_f32_e32 v148, v184, v147
	v_fmac_f32_e32 v199, v8, v144
	v_fma_f32 v144, v7, v144, -v136
	ds_read2_b64 v[5:8], v134 offset0:89 offset1:90
	v_mul_f32_e32 v135, v185, v147
	s_waitcnt vmcnt(41)
	v_mul_f32_e32 v147, v186, v145
	v_mul_f32_e32 v136, v187, v145
	s_waitcnt vmcnt(40) lgkmcnt(2)
	v_mul_f32_e32 v145, v9, v149
	v_mul_f32_e32 v149, v10, v149
	v_fmac_f32_e32 v148, v185, v143
	v_fma_f32 v143, v184, v143, -v135
	s_waitcnt vmcnt(36)
	v_fmac_f32_e32 v147, v187, v158
	v_fma_f32 v158, v186, v158, -v136
	ds_read2_b64 v[135:138], v134 offset0:91 offset1:92
	s_waitcnt vmcnt(35)
	v_mul_f32_e32 v184, v11, v157
	v_mul_f32_e32 v157, v12, v157
	v_fmac_f32_e32 v145, v10, v154
	v_fma_f32 v149, v9, v154, -v149
	s_waitcnt vmcnt(34) lgkmcnt(2)
	v_mul_f32_e32 v154, v1, v155
	v_mul_f32_e32 v155, v2, v155
	v_fmac_f32_e32 v184, v12, v152
	v_fma_f32 v152, v11, v152, -v157
	ds_read2_b64 v[9:12], v134 offset0:93 offset1:94
	v_fmac_f32_e32 v154, v2, v151
	v_fma_f32 v151, v1, v151, -v155
	s_waitcnt vmcnt(32) lgkmcnt(2)
	v_mul_f32_e32 v155, v5, v156
	v_mul_f32_e32 v1, v6, v156
	;; [unrolled: 1-line block ×4, first 2 shown]
	s_waitcnt vmcnt(27)
	v_mul_f32_e32 v2, v8, v168
	v_fmac_f32_e32 v155, v6, v165
	v_add_f32_e32 v6, 0, v195
	v_fmac_f32_e32 v157, v4, v169
	v_fma_f32 v153, v3, v169, -v153
	v_mul_f32_e32 v169, v7, v168
	s_waitcnt vmcnt(26) lgkmcnt(1)
	v_mul_f32_e32 v156, v135, v167
	v_add_f32_e32 v6, v6, v196
	v_mul_f32_e32 v3, v136, v167
	s_waitcnt vmcnt(25)
	v_mul_f32_e32 v167, v137, v166
	v_mul_f32_e32 v4, v138, v166
	s_clause 0x6
	buffer_load_dword v166, off, s[0:3], 0 offset:364
	buffer_load_dword v168, off, s[0:3], 0 offset:376
	;; [unrolled: 1-line block ×7, first 2 shown]
	v_add_f32_e32 v6, v6, v197
	v_fma_f32 v165, v5, v165, -v1
	v_fmac_f32_e32 v156, v136, v162
	v_fma_f32 v135, v135, v162, -v3
	s_waitcnt vmcnt(27) lgkmcnt(0)
	v_mul_f32_e32 v162, v9, v181
	v_mul_f32_e32 v5, v10, v181
	v_add_f32_e32 v6, v6, v141
	v_fmac_f32_e32 v169, v8, v164
	v_fma_f32 v164, v7, v164, -v2
	v_fmac_f32_e32 v167, v138, v182
	v_fma_f32 v136, v137, v182, -v4
	buffer_load_dword v181, off, s[0:3], 0 offset:388
	s_waitcnt vmcnt(27)
	v_mul_f32_e32 v182, v11, v176
	v_fmac_f32_e32 v162, v10, v178
	v_fma_f32 v178, v9, v178, -v5
	v_add_f32_e32 v5, 0, v142
	v_mul_f32_e32 v7, v12, v176
	v_add_f32_e32 v6, v6, v198
	ds_read2_b64 v[1:4], v134 offset0:95 offset1:96
	s_clause 0x1
	buffer_load_dword v195, off, s[0:3], 0 offset:396
	buffer_load_dword v196, off, s[0:3], 0 offset:404
	v_add_f32_e32 v5, v5, v139
	buffer_load_dword v176, off, s[0:3], 0 offset:412
	v_fmac_f32_e32 v182, v12, v173
	v_fma_f32 v139, v11, v173, -v7
	s_clause 0x7
	buffer_load_dword v173, off, s[0:3], 0 offset:420
	buffer_load_dword v197, off, s[0:3], 0 offset:428
	;; [unrolled: 1-line block ×8, first 2 shown]
	v_add_f32_e32 v6, v6, v199
	s_clause 0x3
	buffer_load_dword v199, off, s[0:3], 0 offset:408
	buffer_load_dword v207, off, s[0:3], 0 offset:400
	;; [unrolled: 1-line block ×4, first 2 shown]
	v_add_f32_e32 v5, v5, v140
	s_clause 0x3
	buffer_load_dword v210, off, s[0:3], 0 offset:440
	buffer_load_dword v211, off, s[0:3], 0 offset:432
	;; [unrolled: 1-line block ×4, first 2 shown]
	v_add_f32_e32 v6, v6, v148
	v_add_f32_e32 v5, v5, v150
	;; [unrolled: 1-line block ×3, first 2 shown]
	s_waitcnt vmcnt(45) lgkmcnt(0)
	v_mul_f32_e32 v140, v1, v180
	v_add_f32_e32 v5, v5, v146
	v_mul_f32_e32 v7, v2, v180
	v_add_f32_e32 v6, v6, v145
	v_fmac_f32_e32 v140, v2, v160
	v_add_f32_e32 v5, v5, v144
	v_fma_f32 v141, v1, v160, -v7
	v_add_f32_e32 v6, v6, v184
	v_add_f32_e32 v5, v5, v143
	s_waitcnt vmcnt(44)
	v_mul_f32_e32 v143, v3, v177
	v_add_f32_e32 v6, v6, v154
	v_add_f32_e32 v5, v5, v158
	s_clause 0x4
	buffer_load_dword v158, off, s[0:3], 0 offset:472
	buffer_load_dword v184, off, s[0:3], 0 offset:464
	;; [unrolled: 1-line block ×5, first 2 shown]
	v_add_f32_e32 v1, v6, v157
	s_waitcnt vmcnt(42)
	v_fmac_f32_e32 v143, v4, v179
	v_add_f32_e32 v5, v5, v149
	v_add_f32_e32 v9, v1, v155
	v_mul_f32_e32 v1, v4, v177
	v_add_f32_e32 v5, v5, v152
	v_add_f32_e32 v137, v9, v169
	v_fma_f32 v144, v3, v179, -v1
	v_add_f32_e32 v5, v5, v151
	v_add_f32_e32 v137, v137, v156
	;; [unrolled: 1-line block ×3, first 2 shown]
	ds_read2_b64 v[5:8], v134 offset0:97 offset1:98
	v_add_f32_e32 v145, v137, v167
	v_add_f32_e32 v10, v2, v165
	ds_read2_b64 v[1:4], v134 offset0:99 offset1:100
	v_add_f32_e32 v138, v10, v164
	ds_read2_b64 v[9:12], v134 offset0:101 offset1:102
	v_add_f32_e32 v135, v138, v135
	s_waitcnt lgkmcnt(2)
	v_mul_f32_e32 v142, v6, v174
	v_mul_f32_e32 v147, v5, v174
	;; [unrolled: 1-line block ×3, first 2 shown]
	v_fma_f32 v148, v5, v175, -v142
	v_add_f32_e32 v5, v135, v136
	ds_read2_b64 v[135:138], v134 offset0:103 offset1:104
	v_fmac_f32_e32 v147, v6, v175
	v_add_f32_e32 v6, v145, v162
	s_waitcnt lgkmcnt(2)
	v_mul_f32_e32 v150, v1, v170
	v_add_f32_e32 v5, v5, v178
	v_mul_f32_e32 v145, v2, v170
	s_waitcnt vmcnt(39) lgkmcnt(1)
	v_mul_f32_e32 v154, v9, v188
	v_add_f32_e32 v6, v6, v182
	v_fmac_f32_e32 v150, v2, v161
	v_add_f32_e32 v5, v5, v139
	v_fma_f32 v152, v1, v161, -v145
	v_mul_f32_e32 v145, v10, v188
	v_add_f32_e32 v1, v6, v140
	v_mul_f32_e32 v142, v8, v171
	v_add_f32_e32 v2, v5, v141
	v_fmac_f32_e32 v154, v10, v159
	v_fma_f32 v156, v9, v159, -v145
	v_add_f32_e32 v10, v1, v143
	v_fma_f32 v151, v7, v163, -v142
	v_add_f32_e32 v9, v2, v144
	v_fmac_f32_e32 v149, v8, v163
	v_mul_f32_e32 v146, v4, v172
	v_add_f32_e32 v10, v10, v147
	s_waitcnt vmcnt(36) lgkmcnt(0)
	v_mul_f32_e32 v159, v135, v191
	v_add_f32_e32 v9, v9, v148
	v_mul_f32_e32 v148, v136, v191
	v_mul_f32_e32 v153, v3, v172
	v_add_f32_e32 v10, v10, v149
	s_waitcnt vmcnt(34)
	v_fma_f32 v155, v3, v193, -v146
	ds_read2_b64 v[5:8], v134 offset0:105 offset1:106
	ds_read2_b64 v[139:142], v134 offset0:107 offset1:108
	v_fma_f32 v163, v135, v192, -v148
	v_add_f32_e32 v135, v9, v151
	v_fmac_f32_e32 v153, v4, v193
	v_add_f32_e32 v164, v10, v150
	v_mul_f32_e32 v147, v12, v190
	v_mul_f32_e32 v157, v11, v190
	v_add_f32_e32 v165, v135, v152
	s_waitcnt vmcnt(33)
	v_mul_f32_e32 v161, v138, v194
	v_add_f32_e32 v153, v164, v153
	v_fma_f32 v162, v11, v189, -v147
	v_fmac_f32_e32 v157, v12, v189
	v_add_f32_e32 v155, v165, v155
	v_mul_f32_e32 v160, v137, v194
	v_add_f32_e32 v153, v153, v154
	v_fmac_f32_e32 v159, v136, v192
	ds_read2_b64 v[1:4], v134 offset0:109 offset1:110
	ds_read2_b64 v[143:146], v134 offset0:111 offset1:112
	v_add_f32_e32 v155, v155, v156
	ds_read2_b64 v[9:12], v134 offset0:113 offset1:114
	ds_read2_b64 v[147:150], v134 offset0:115 offset1:116
	v_add_f32_e32 v153, v153, v157
	v_add_f32_e32 v155, v155, v162
	;; [unrolled: 1-line block ×4, first 2 shown]
	s_waitcnt vmcnt(31) lgkmcnt(5)
	v_mul_f32_e32 v164, v5, v166
	v_mul_f32_e32 v166, v6, v166
	s_waitcnt vmcnt(27)
	v_fma_f32 v161, v137, v187, -v161
	v_fmac_f32_e32 v160, v138, v187
	s_waitcnt vmcnt(26)
	v_mul_f32_e32 v167, v8, v200
	v_fma_f32 v5, v5, v186, -v166
	v_mul_f32_e32 v165, v7, v200
	v_add_f32_e32 v155, v155, v161
	v_fmac_f32_e32 v164, v6, v186
	v_add_f32_e32 v153, v153, v160
	s_waitcnt vmcnt(25) lgkmcnt(4)
	v_mul_f32_e32 v166, v140, v201
	v_fma_f32 v7, v7, v185, -v167
	v_add_f32_e32 v5, v155, v5
	v_mul_f32_e32 v154, v139, v201
	v_fmac_f32_e32 v165, v8, v185
	v_add_f32_e32 v153, v153, v164
	s_waitcnt vmcnt(24)
	v_mul_f32_e32 v160, v142, v181
	v_fma_f32 v139, v139, v168, -v166
	v_add_f32_e32 v5, v5, v7
	v_mul_f32_e32 v156, v141, v181
	v_fmac_f32_e32 v154, v140, v168
	v_add_f32_e32 v7, v153, v165
	ds_read2_b64 v[135:138], v134 offset0:117 offset1:118
	ds_read_b64 v[151:152], v134 offset:952
	s_waitcnt vmcnt(23) lgkmcnt(5)
	v_mul_f32_e32 v6, v1, v195
	v_mul_f32_e32 v140, v2, v195
	v_add_f32_e32 v5, v5, v139
	v_add_f32_e32 v7, v7, v154
	s_waitcnt vmcnt(22)
	v_mul_f32_e32 v139, v4, v196
	v_mul_f32_e32 v157, v3, v196
	s_waitcnt vmcnt(21) lgkmcnt(4)
	v_mul_f32_e32 v162, v143, v176
	s_waitcnt vmcnt(20)
	v_mul_f32_e32 v8, v145, v173
	s_waitcnt vmcnt(19) lgkmcnt(3)
	v_mul_f32_e32 v167, v9, v197
	s_waitcnt vmcnt(10)
	v_fmac_f32_e32 v6, v2, v208
	s_waitcnt vmcnt(9)
	v_fma_f32 v141, v141, v209, -v160
	v_fmac_f32_e32 v156, v142, v209
	v_fma_f32 v1, v1, v208, -v140
	v_fma_f32 v3, v3, v207, -v139
	v_fmac_f32_e32 v157, v4, v207
	v_add_f32_e32 v2, v5, v141
	v_add_f32_e32 v5, v7, v156
	v_mul_f32_e32 v7, v144, v176
	v_mul_f32_e32 v4, v146, v173
	v_fmac_f32_e32 v162, v144, v199
	v_add_f32_e32 v1, v2, v1
	v_add_f32_e32 v2, v5, v6
	v_fma_f32 v5, v143, v199, -v7
	s_waitcnt vmcnt(5)
	v_fma_f32 v4, v145, v213, -v4
	v_fmac_f32_e32 v8, v146, v213
	v_add_f32_e32 v1, v1, v3
	v_add_f32_e32 v2, v2, v157
	v_mul_f32_e32 v3, v10, v197
	v_mul_f32_e32 v159, v11, v202
	v_fmac_f32_e32 v167, v10, v212
	v_add_f32_e32 v1, v1, v5
	v_add_f32_e32 v2, v2, v162
	v_mul_f32_e32 v5, v12, v202
	v_fma_f32 v3, v9, v212, -v3
	s_waitcnt lgkmcnt(2)
	v_mul_f32_e32 v163, v147, v203
	v_add_f32_e32 v1, v1, v4
	v_add_f32_e32 v2, v2, v8
	v_mul_f32_e32 v4, v148, v203
	v_fma_f32 v5, v11, v211, -v5
	v_fmac_f32_e32 v159, v12, v211
	v_add_f32_e32 v1, v1, v3
	v_add_f32_e32 v2, v2, v167
	v_mul_f32_e32 v3, v150, v204
	v_fma_f32 v4, v147, v210, -v4
	v_mul_f32_e32 v169, v149, v204
	v_add_f32_e32 v1, v1, v5
	v_fmac_f32_e32 v163, v148, v210
	v_add_f32_e32 v2, v2, v159
	s_waitcnt lgkmcnt(1)
	v_mul_f32_e32 v5, v136, v198
	s_waitcnt vmcnt(1)
	v_fma_f32 v3, v149, v215, -v3
	v_add_f32_e32 v1, v1, v4
	v_mul_f32_e32 v161, v135, v198
	v_fmac_f32_e32 v169, v150, v215
	v_add_f32_e32 v2, v2, v163
	v_mul_f32_e32 v4, v138, v205
	v_fma_f32 v5, v135, v214, -v5
	v_add_f32_e32 v1, v1, v3
	v_mul_f32_e32 v170, v137, v205
	v_fmac_f32_e32 v161, v136, v214
	v_add_f32_e32 v2, v2, v169
	s_waitcnt lgkmcnt(0)
	v_mul_f32_e32 v3, v152, v206
	v_fma_f32 v4, v137, v184, -v4
	v_add_f32_e32 v1, v1, v5
	v_mul_f32_e32 v155, v151, v206
	v_fmac_f32_e32 v170, v138, v184
	v_add_f32_e32 v2, v2, v161
	v_fma_f32 v3, v151, v158, -v3
	v_add_f32_e32 v1, v1, v4
	v_fmac_f32_e32 v155, v152, v158
	v_add_f32_e32 v2, v2, v170
	v_add_f32_e32 v1, v1, v3
	;; [unrolled: 1-line block ×3, first 2 shown]
	s_waitcnt vmcnt(0)
	v_sub_f32_e32 v1, v216, v1
	v_sub_f32_e32 v2, v183, v2
	buffer_store_dword v1, off, s[0:3], 0 offset:128
	buffer_store_dword v2, off, s[0:3], 0 offset:132
	v_cmpx_lt_u32_e32 15, v0
	s_cbranch_execz .LBB59_343
; %bb.342:
	s_clause 0x1
	buffer_load_dword v1, off, s[0:3], 0 offset:120
	buffer_load_dword v2, off, s[0:3], 0 offset:124
	buffer_store_dword v134, off, s[0:3], 0 offset:120
	buffer_store_dword v134, off, s[0:3], 0 offset:124
	s_waitcnt vmcnt(0)
	ds_write_b64 v133, v[1:2]
.LBB59_343:
	s_or_b32 exec_lo, exec_lo, s4
	s_waitcnt lgkmcnt(0)
	s_waitcnt_vscnt null, 0x0
	s_barrier
	buffer_gl0_inv
	s_clause 0x2b
	buffer_load_dword v157, off, s[0:3], 0 offset:132
	buffer_load_dword v158, off, s[0:3], 0 offset:140
	;; [unrolled: 1-line block ×44, first 2 shown]
	ds_read_b128 v[9:12], v134 offset:608
	s_clause 0x1
	buffer_load_dword v183, off, s[0:3], 0 offset:300
	buffer_load_dword v177, off, s[0:3], 0 offset:308
	ds_read_b128 v[5:8], v134 offset:624
	ds_read_b128 v[1:4], v134 offset:640
	s_clause 0x7
	buffer_load_dword v178, off, s[0:3], 0 offset:316
	buffer_load_dword v167, off, s[0:3], 0 offset:324
	;; [unrolled: 1-line block ×8, first 2 shown]
	ds_read_b128 v[184:187], v134 offset:656
	buffer_load_dword v195, off, s[0:3], 0 offset:124
	s_mov_b32 s4, exec_lo
	s_waitcnt vmcnt(54) lgkmcnt(3)
	v_mul_f32_e32 v193, v9, v157
	s_waitcnt vmcnt(53)
	v_mul_f32_e32 v194, v11, v158
	v_mul_f32_e32 v157, v10, v157
	;; [unrolled: 1-line block ×3, first 2 shown]
	s_waitcnt vmcnt(50)
	v_fmac_f32_e32 v193, v10, v141
	v_fmac_f32_e32 v194, v12, v140
	v_fma_f32 v141, v9, v141, -v157
	v_fma_f32 v140, v11, v140, -v158
	ds_read_b128 v[9:12], v134 offset:672
	s_waitcnt vmcnt(49) lgkmcnt(3)
	v_mul_f32_e32 v157, v5, v138
	v_mul_f32_e32 v138, v6, v138
	s_waitcnt vmcnt(48)
	v_mul_f32_e32 v158, v7, v137
	v_mul_f32_e32 v137, v8, v137
	s_waitcnt vmcnt(47) lgkmcnt(2)
	v_mul_f32_e32 v196, v1, v136
	v_fmac_f32_e32 v157, v6, v135
	v_fma_f32 v197, v5, v135, -v138
	s_waitcnt vmcnt(46)
	v_mul_f32_e32 v198, v3, v139
	v_mul_f32_e32 v135, v2, v136
	;; [unrolled: 1-line block ×3, first 2 shown]
	s_waitcnt vmcnt(42)
	v_fmac_f32_e32 v158, v8, v147
	v_fma_f32 v139, v7, v147, -v137
	ds_read_b128 v[5:8], v134 offset:688
	v_fmac_f32_e32 v196, v2, v146
	v_fmac_f32_e32 v198, v4, v144
	v_fma_f32 v146, v1, v146, -v135
	v_fma_f32 v144, v3, v144, -v136
	ds_read_b128 v[1:4], v134 offset:704
	s_waitcnt vmcnt(41) lgkmcnt(3)
	v_mul_f32_e32 v147, v184, v145
	v_mul_f32_e32 v135, v185, v145
	s_waitcnt vmcnt(40)
	v_mul_f32_e32 v145, v186, v143
	v_mul_f32_e32 v136, v187, v143
	s_waitcnt vmcnt(39) lgkmcnt(2)
	v_mul_f32_e32 v143, v9, v148
	v_fmac_f32_e32 v147, v185, v142
	v_fma_f32 v142, v184, v142, -v135
	s_waitcnt vmcnt(34)
	v_fmac_f32_e32 v145, v187, v155
	v_fma_f32 v155, v186, v155, -v136
	ds_read_b128 v[135:138], v134 offset:720
	v_mul_f32_e32 v184, v11, v149
	v_mul_f32_e32 v149, v12, v149
	;; [unrolled: 1-line block ×3, first 2 shown]
	v_fmac_f32_e32 v143, v10, v154
	s_waitcnt vmcnt(32) lgkmcnt(2)
	v_mul_f32_e32 v185, v7, v151
	v_fmac_f32_e32 v184, v12, v152
	v_fma_f32 v149, v11, v152, -v149
	v_mul_f32_e32 v152, v5, v153
	v_mul_f32_e32 v153, v6, v153
	;; [unrolled: 1-line block ×3, first 2 shown]
	v_fma_f32 v148, v9, v154, -v148
	ds_read_b128 v[9:12], v134 offset:736
	v_fmac_f32_e32 v152, v6, v150
	v_fma_f32 v150, v5, v150, -v153
	s_waitcnt vmcnt(31) lgkmcnt(2)
	v_mul_f32_e32 v153, v1, v156
	v_mul_f32_e32 v5, v2, v156
	buffer_load_dword v154, off, s[0:3], 0 offset:348
	s_waitcnt vmcnt(28)
	v_fmac_f32_e32 v185, v8, v171
	v_fma_f32 v151, v7, v171, -v151
	s_clause 0x3
	buffer_load_dword v156, off, s[0:3], 0 offset:368
	buffer_load_dword v171, off, s[0:3], 0 offset:360
	;; [unrolled: 1-line block ×4, first 2 shown]
	s_waitcnt vmcnt(31)
	v_mul_f32_e32 v199, v3, v170
	v_mul_f32_e32 v6, v4, v170
	v_fmac_f32_e32 v153, v2, v165
	v_fma_f32 v165, v1, v165, -v5
	s_waitcnt vmcnt(30) lgkmcnt(1)
	v_mul_f32_e32 v170, v135, v162
	s_waitcnt vmcnt(29)
	v_mul_f32_e32 v200, v137, v163
	v_mul_f32_e32 v1, v136, v162
	;; [unrolled: 1-line block ×3, first 2 shown]
	s_clause 0x2
	buffer_load_dword v162, off, s[0:3], 0 offset:356
	buffer_load_dword v163, off, s[0:3], 0 offset:364
	;; [unrolled: 1-line block ×3, first 2 shown]
	v_fmac_f32_e32 v199, v4, v161
	v_fma_f32 v161, v3, v161, -v6
	v_fmac_f32_e32 v170, v136, v159
	v_fma_f32 v135, v135, v159, -v1
	s_waitcnt vmcnt(28)
	v_fma_f32 v136, v137, v182, -v2
	ds_read_b128 v[1:4], v134 offset:752
	s_waitcnt vmcnt(27) lgkmcnt(1)
	v_mul_f32_e32 v5, v10, v180
	v_add_f32_e32 v6, 0, v193
	v_fmac_f32_e32 v200, v138, v182
	v_add_f32_e32 v7, 0, v141
	v_mul_f32_e32 v137, v9, v180
	v_fma_f32 v138, v9, v176, -v5
	v_add_f32_e32 v5, v6, v194
	s_waitcnt vmcnt(26)
	v_mul_f32_e32 v159, v11, v179
	v_add_f32_e32 v6, v7, v140
	v_mul_f32_e32 v8, v12, v179
	v_fmac_f32_e32 v137, v10, v176
	v_add_f32_e32 v5, v5, v157
	s_clause 0x3
	buffer_load_dword v176, off, s[0:3], 0 offset:380
	buffer_load_dword v179, off, s[0:3], 0 offset:388
	;; [unrolled: 1-line block ×4, first 2 shown]
	v_add_f32_e32 v6, v6, v197
	v_fmac_f32_e32 v159, v12, v174
	v_fma_f32 v140, v11, v174, -v8
	v_add_f32_e32 v5, v5, v158
	s_clause 0x3
	buffer_load_dword v157, off, s[0:3], 0 offset:412
	buffer_load_dword v174, off, s[0:3], 0 offset:420
	buffer_load_dword v193, off, s[0:3], 0 offset:428
	buffer_load_dword v194, off, s[0:3], 0 offset:436
	v_add_f32_e32 v6, v6, v139
	s_waitcnt vmcnt(33) lgkmcnt(0)
	v_mul_f32_e32 v139, v1, v172
	v_mul_f32_e32 v7, v2, v172
	v_add_f32_e32 v5, v5, v196
	s_clause 0x3
	buffer_load_dword v158, off, s[0:3], 0 offset:444
	buffer_load_dword v197, off, s[0:3], 0 offset:452
	;; [unrolled: 1-line block ×4, first 2 shown]
	v_add_f32_e32 v6, v6, v146
	buffer_load_dword v172, off, s[0:3], 0 offset:476
	v_fmac_f32_e32 v139, v2, v168
	v_fma_f32 v141, v1, v168, -v7
	v_add_f32_e32 v5, v5, v198
	s_clause 0x3
	buffer_load_dword v168, off, s[0:3], 0 offset:400
	buffer_load_dword v196, off, s[0:3], 0 offset:392
	;; [unrolled: 1-line block ×4, first 2 shown]
	v_add_f32_e32 v1, v6, v144
	v_add_f32_e32 v5, v5, v147
	;; [unrolled: 1-line block ×3, first 2 shown]
	s_waitcnt vmcnt(41)
	v_mul_f32_e32 v142, v3, v166
	v_mul_f32_e32 v1, v4, v166
	v_add_f32_e32 v5, v5, v145
	v_add_f32_e32 v6, v6, v155
	s_waitcnt vmcnt(37)
	v_fmac_f32_e32 v142, v4, v181
	v_fma_f32 v144, v3, v181, -v1
	ds_read_b128 v[1:4], v134 offset:768
	s_clause 0x3
	buffer_load_dword v155, off, s[0:3], 0 offset:432
	buffer_load_dword v166, off, s[0:3], 0 offset:424
	;; [unrolled: 1-line block ×4, first 2 shown]
	v_add_f32_e32 v6, v6, v148
	v_add_f32_e32 v5, v5, v143
	;; [unrolled: 1-line block ×4, first 2 shown]
	ds_read_b128 v[5:8], v134 offset:784
	v_add_f32_e32 v9, v9, v150
	v_add_f32_e32 v10, v10, v152
	s_waitcnt vmcnt(40) lgkmcnt(1)
	v_mul_f32_e32 v143, v1, v175
	v_mul_f32_e32 v11, v2, v175
	s_waitcnt vmcnt(39)
	v_mul_f32_e32 v147, v3, v183
	v_fmac_f32_e32 v143, v2, v173
	v_fma_f32 v145, v1, v173, -v11
	v_add_f32_e32 v1, v9, v151
	s_clause 0x3
	buffer_load_dword v151, off, s[0:3], 0 offset:464
	buffer_load_dword v152, off, s[0:3], 0 offset:456
	;; [unrolled: 1-line block ×4, first 2 shown]
	v_add_f32_e32 v2, v10, v185
	v_mul_f32_e32 v9, v4, v183
	v_fmac_f32_e32 v147, v4, v169
	v_add_f32_e32 v1, v1, v165
	buffer_load_dword v165, off, s[0:3], 0 offset:472
	v_add_f32_e32 v2, v2, v153
	buffer_load_dword v153, off, s[0:3], 0 offset:120
	v_fma_f32 v148, v3, v169, -v9
	v_add_f32_e32 v1, v1, v161
	s_waitcnt vmcnt(44) lgkmcnt(0)
	v_mul_f32_e32 v149, v5, v177
	v_add_f32_e32 v10, v2, v199
	s_waitcnt vmcnt(43)
	v_mul_f32_e32 v150, v7, v178
	v_mul_f32_e32 v161, v8, v178
	v_add_f32_e32 v135, v1, v135
	ds_read_b128 v[1:4], v134 offset:800
	v_add_f32_e32 v146, v10, v170
	ds_read_b128 v[9:12], v134 offset:816
	v_fmac_f32_e32 v149, v6, v160
	v_add_f32_e32 v135, v135, v136
	v_mul_f32_e32 v136, v6, v177
	v_add_f32_e32 v146, v146, v200
	s_waitcnt vmcnt(36)
	v_fmac_f32_e32 v150, v8, v192
	v_fma_f32 v161, v7, v192, -v161
	v_add_f32_e32 v169, v135, v138
	v_fma_f32 v160, v5, v160, -v136
	v_add_f32_e32 v146, v146, v137
	ds_read_b128 v[5:8], v134 offset:832
	ds_read_b128 v[135:138], v134 offset:848
	v_add_f32_e32 v140, v169, v140
	v_add_f32_e32 v146, v146, v159
	;; [unrolled: 1-line block ×3, first 2 shown]
	s_waitcnt lgkmcnt(3)
	v_mul_f32_e32 v169, v1, v167
	v_add_f32_e32 v139, v146, v139
	v_mul_f32_e32 v167, v2, v167
	v_mul_f32_e32 v159, v3, v164
	v_add_f32_e32 v144, v140, v144
	v_mul_f32_e32 v164, v4, v164
	v_add_f32_e32 v178, v139, v142
	v_fma_f32 v167, v1, v191, -v167
	v_fmac_f32_e32 v169, v2, v191
	v_add_f32_e32 v184, v144, v145
	s_waitcnt lgkmcnt(2)
	v_mul_f32_e32 v146, v10, v188
	v_add_f32_e32 v178, v178, v143
	v_fma_f32 v164, v3, v190, -v164
	v_mul_f32_e32 v170, v9, v188
	v_add_f32_e32 v148, v184, v148
	v_fmac_f32_e32 v159, v4, v190
	v_add_f32_e32 v147, v178, v147
	v_fma_f32 v183, v9, v189, -v146
	v_fmac_f32_e32 v170, v10, v189
	ds_read_b128 v[1:4], v134 offset:864
	ds_read_b128 v[139:142], v134 offset:880
	v_add_f32_e32 v147, v147, v149
	s_waitcnt vmcnt(34)
	v_mul_f32_e32 v177, v11, v154
	v_mul_f32_e32 v154, v12, v154
	s_waitcnt vmcnt(30)
	v_fmac_f32_e32 v177, v12, v187
	v_fma_f32 v154, v11, v187, -v154
	ds_read_b128 v[9:12], v134 offset:896
	ds_read_b128 v[143:146], v134 offset:912
	s_waitcnt vmcnt(29) lgkmcnt(5)
	v_mul_f32_e32 v184, v5, v162
	v_mul_f32_e32 v162, v6, v162
	s_waitcnt vmcnt(28)
	v_mul_f32_e32 v178, v7, v163
	v_mul_f32_e32 v163, v8, v163
	v_fmac_f32_e32 v184, v6, v186
	v_add_f32_e32 v6, v148, v160
	v_fma_f32 v160, v5, v186, -v162
	v_fma_f32 v162, v7, v171, -v163
	v_add_f32_e32 v163, v147, v150
	v_fmac_f32_e32 v178, v8, v171
	v_add_f32_e32 v161, v6, v161
	ds_read_b128 v[5:8], v134 offset:928
	ds_read_b128 v[147:150], v134 offset:944
	s_waitcnt vmcnt(27) lgkmcnt(6)
	v_mul_f32_e32 v134, v135, v201
	v_add_f32_e32 v163, v163, v169
	v_add_f32_e32 v161, v161, v167
	v_mul_f32_e32 v167, v136, v201
	s_waitcnt vmcnt(26)
	v_mul_f32_e32 v171, v138, v176
	v_add_f32_e32 v159, v163, v159
	v_mul_f32_e32 v169, v137, v176
	v_add_f32_e32 v161, v161, v164
	v_fma_f32 v135, v135, v156, -v167
	v_fmac_f32_e32 v134, v136, v156
	v_add_f32_e32 v159, v159, v170
	s_waitcnt vmcnt(25) lgkmcnt(5)
	v_mul_f32_e32 v164, v1, v179
	v_add_f32_e32 v161, v161, v183
	s_waitcnt vmcnt(24)
	v_mul_f32_e32 v163, v3, v180
	s_waitcnt vmcnt(23) lgkmcnt(4)
	v_mul_f32_e32 v176, v139, v182
	v_add_f32_e32 v159, v159, v177
	s_waitcnt vmcnt(22)
	v_mul_f32_e32 v183, v141, v157
	v_add_f32_e32 v154, v161, v154
	s_waitcnt vmcnt(21) lgkmcnt(3)
	v_mul_f32_e32 v170, v9, v174
	s_waitcnt vmcnt(20)
	v_mul_f32_e32 v185, v11, v193
	v_add_f32_e32 v159, v159, v184
	s_waitcnt vmcnt(12)
	v_fmac_f32_e32 v163, v4, v196
	v_add_f32_e32 v154, v154, v160
	s_waitcnt vmcnt(10)
	v_fma_f32 v137, v137, v204, -v171
	v_fmac_f32_e32 v169, v138, v204
	v_add_f32_e32 v156, v159, v178
	v_mul_f32_e32 v159, v2, v179
	v_add_f32_e32 v154, v154, v162
	v_mul_f32_e32 v138, v4, v180
	v_fmac_f32_e32 v164, v2, v198
	v_add_f32_e32 v134, v156, v134
	v_fma_f32 v1, v1, v198, -v159
	v_add_f32_e32 v135, v154, v135
	v_fma_f32 v3, v3, v196, -v138
	v_mul_f32_e32 v4, v142, v157
	v_add_f32_e32 v134, v134, v169
	v_fmac_f32_e32 v176, v140, v168
	v_add_f32_e32 v2, v135, v137
	v_mul_f32_e32 v135, v140, v182
	s_waitcnt vmcnt(6)
	v_fma_f32 v4, v141, v205, -v4
	v_fmac_f32_e32 v183, v142, v205
	v_fmac_f32_e32 v170, v10, v181
	v_add_f32_e32 v1, v2, v1
	v_add_f32_e32 v2, v134, v164
	v_fma_f32 v134, v139, v168, -v135
	s_waitcnt lgkmcnt(2)
	v_mul_f32_e32 v161, v143, v194
	v_fmac_f32_e32 v185, v12, v166
	v_add_f32_e32 v1, v1, v3
	v_add_f32_e32 v2, v2, v163
	v_mul_f32_e32 v3, v10, v174
	v_mul_f32_e32 v177, v145, v158
	v_fmac_f32_e32 v161, v144, v155
	v_add_f32_e32 v1, v1, v134
	v_add_f32_e32 v2, v2, v176
	v_mul_f32_e32 v134, v12, v193
	v_fma_f32 v3, v9, v181, -v3
	s_waitcnt lgkmcnt(1)
	v_mul_f32_e32 v186, v5, v197
	v_add_f32_e32 v1, v1, v4
	v_add_f32_e32 v2, v2, v183
	v_mul_f32_e32 v4, v144, v194
	v_fma_f32 v9, v11, v166, -v134
	v_mul_f32_e32 v160, v7, v202
	v_add_f32_e32 v1, v1, v3
	v_add_f32_e32 v2, v2, v170
	v_mul_f32_e32 v3, v146, v158
	v_fma_f32 v4, v143, v155, -v4
	s_waitcnt vmcnt(2)
	v_fmac_f32_e32 v177, v146, v175
	v_add_f32_e32 v1, v1, v9
	v_add_f32_e32 v2, v2, v185
	v_mul_f32_e32 v9, v6, v197
	v_fma_f32 v3, v145, v175, -v3
	v_fmac_f32_e32 v186, v6, v173
	v_add_f32_e32 v1, v1, v4
	v_add_f32_e32 v2, v2, v161
	v_mul_f32_e32 v4, v8, v202
	v_fma_f32 v5, v5, v173, -v9
	s_waitcnt lgkmcnt(0)
	v_mul_f32_e32 v184, v147, v203
	v_add_f32_e32 v1, v1, v3
	v_add_f32_e32 v2, v2, v177
	v_mul_f32_e32 v3, v148, v203
	v_fma_f32 v4, v7, v152, -v4
	v_fmac_f32_e32 v160, v8, v152
	v_add_f32_e32 v1, v1, v5
	v_add_f32_e32 v2, v2, v186
	v_mul_f32_e32 v5, v150, v172
	v_fma_f32 v3, v147, v151, -v3
	v_mul_f32_e32 v136, v149, v172
	v_add_f32_e32 v1, v1, v4
	v_fmac_f32_e32 v184, v148, v151
	v_add_f32_e32 v2, v2, v160
	s_waitcnt vmcnt(1)
	v_fma_f32 v4, v149, v165, -v5
	v_fmac_f32_e32 v136, v150, v165
	v_add_f32_e32 v1, v1, v3
	v_add_f32_e32 v2, v2, v184
	;; [unrolled: 1-line block ×4, first 2 shown]
	s_waitcnt vmcnt(0)
	v_sub_f32_e32 v1, v153, v1
	v_sub_f32_e32 v2, v195, v2
	buffer_store_dword v1, off, s[0:3], 0 offset:120
	buffer_store_dword v2, off, s[0:3], 0 offset:124
	v_cmpx_lt_u32_e32 14, v0
	s_cbranch_execz .LBB59_345
; %bb.344:
	s_clause 0x1
	buffer_load_dword v1, off, s[0:3], 0 offset:112
	buffer_load_dword v2, off, s[0:3], 0 offset:116
	v_mov_b32_e32 v3, 0
	buffer_store_dword v3, off, s[0:3], 0 offset:112
	buffer_store_dword v3, off, s[0:3], 0 offset:116
	s_waitcnt vmcnt(0)
	ds_write_b64 v133, v[1:2]
.LBB59_345:
	s_or_b32 exec_lo, exec_lo, s4
	s_waitcnt lgkmcnt(0)
	s_waitcnt_vscnt null, 0x0
	s_barrier
	buffer_gl0_inv
	s_clause 0x2b
	buffer_load_dword v136, off, s[0:3], 0 offset:124
	buffer_load_dword v137, off, s[0:3], 0 offset:132
	;; [unrolled: 1-line block ×44, first 2 shown]
	v_mov_b32_e32 v134, 0
	ds_read2_b64 v[9:12], v134 offset0:75 offset1:76
	ds_read2_b64 v[5:8], v134 offset0:77 offset1:78
	s_clause 0x1
	buffer_load_dword v183, off, s[0:3], 0 offset:292
	buffer_load_dword v178, off, s[0:3], 0 offset:300
	ds_read2_b64 v[1:4], v134 offset0:79 offset1:80
	s_clause 0x9
	buffer_load_dword v177, off, s[0:3], 0 offset:308
	buffer_load_dword v165, off, s[0:3], 0 offset:316
	;; [unrolled: 1-line block ×10, first 2 shown]
	ds_read2_b64 v[185:188], v134 offset0:81 offset1:82
	s_mov_b32 s4, exec_lo
	s_waitcnt vmcnt(55) lgkmcnt(3)
	v_mul_f32_e32 v195, v9, v136
	v_mul_f32_e32 v136, v10, v136
	s_waitcnt vmcnt(54)
	v_mul_f32_e32 v196, v11, v137
	v_mul_f32_e32 v137, v12, v137
	s_waitcnt vmcnt(51)
	v_fmac_f32_e32 v195, v10, v142
	v_fma_f32 v142, v9, v142, -v136
	s_waitcnt vmcnt(50) lgkmcnt(2)
	v_mul_f32_e32 v197, v5, v141
	v_mul_f32_e32 v136, v6, v141
	v_fmac_f32_e32 v196, v12, v138
	v_fma_f32 v141, v11, v138, -v137
	ds_read2_b64 v[9:12], v134 offset0:83 offset1:84
	s_waitcnt vmcnt(49)
	v_mul_f32_e32 v198, v7, v139
	v_mul_f32_e32 v137, v8, v139
	v_fmac_f32_e32 v197, v6, v135
	v_fma_f32 v139, v5, v135, -v136
	s_waitcnt vmcnt(48) lgkmcnt(2)
	v_mul_f32_e32 v199, v1, v140
	v_mul_f32_e32 v135, v2, v140
	s_waitcnt vmcnt(44)
	v_fmac_f32_e32 v198, v8, v149
	v_fma_f32 v140, v7, v149, -v137
	ds_read2_b64 v[5:8], v134 offset0:85 offset1:86
	s_waitcnt vmcnt(43)
	v_mul_f32_e32 v149, v3, v148
	v_mul_f32_e32 v136, v4, v148
	v_fmac_f32_e32 v199, v2, v146
	v_fma_f32 v146, v1, v146, -v135
	s_waitcnt vmcnt(42) lgkmcnt(2)
	v_mul_f32_e32 v148, v185, v147
	v_mul_f32_e32 v135, v186, v147
	v_fmac_f32_e32 v149, v4, v144
	v_fma_f32 v144, v3, v144, -v136
	ds_read2_b64 v[1:4], v134 offset0:87 offset1:88
	s_waitcnt vmcnt(41)
	v_mul_f32_e32 v147, v187, v145
	v_mul_f32_e32 v136, v188, v145
	v_fmac_f32_e32 v148, v186, v143
	v_fma_f32 v143, v185, v143, -v135
	s_waitcnt vmcnt(40) lgkmcnt(2)
	v_mul_f32_e32 v145, v9, v150
	s_waitcnt vmcnt(36)
	v_fmac_f32_e32 v147, v188, v157
	v_fma_f32 v157, v187, v157, -v136
	ds_read2_b64 v[135:138], v134 offset0:89 offset1:90
	v_mul_f32_e32 v150, v10, v150
	s_waitcnt vmcnt(35)
	v_mul_f32_e32 v185, v11, v156
	v_mul_f32_e32 v156, v12, v156
	v_fmac_f32_e32 v145, v10, v154
	v_fma_f32 v150, v9, v154, -v150
	s_waitcnt vmcnt(34) lgkmcnt(2)
	v_mul_f32_e32 v154, v5, v155
	v_mul_f32_e32 v155, v6, v155
	v_fmac_f32_e32 v185, v12, v152
	v_fma_f32 v152, v11, v152, -v156
	s_waitcnt vmcnt(33)
	v_mul_f32_e32 v156, v7, v153
	v_mul_f32_e32 v153, v8, v153
	v_fmac_f32_e32 v154, v6, v151
	v_fma_f32 v151, v5, v151, -v155
	s_waitcnt vmcnt(32) lgkmcnt(1)
	v_mul_f32_e32 v155, v1, v158
	v_mul_f32_e32 v5, v2, v158
	ds_read2_b64 v[9:12], v134 offset0:91 offset1:92
	s_waitcnt vmcnt(28)
	v_fmac_f32_e32 v156, v8, v171
	v_fma_f32 v153, v7, v171, -v153
	s_clause 0x3
	buffer_load_dword v158, off, s[0:3], 0 offset:360
	buffer_load_dword v171, off, s[0:3], 0 offset:352
	buffer_load_dword v186, off, s[0:3], 0 offset:344
	buffer_load_dword v187, off, s[0:3], 0 offset:336
	s_waitcnt vmcnt(31)
	v_mul_f32_e32 v188, v3, v169
	v_mul_f32_e32 v6, v4, v169
	v_fmac_f32_e32 v155, v2, v167
	v_fma_f32 v167, v1, v167, -v5
	s_waitcnt vmcnt(30) lgkmcnt(1)
	v_mul_f32_e32 v169, v135, v163
	s_waitcnt vmcnt(29)
	v_mul_f32_e32 v200, v137, v164
	v_mul_f32_e32 v1, v136, v163
	;; [unrolled: 1-line block ×3, first 2 shown]
	s_clause 0x2
	buffer_load_dword v163, off, s[0:3], 0 offset:348
	buffer_load_dword v164, off, s[0:3], 0 offset:356
	;; [unrolled: 1-line block ×3, first 2 shown]
	v_fmac_f32_e32 v188, v4, v161
	v_fma_f32 v161, v3, v161, -v6
	v_fmac_f32_e32 v169, v136, v160
	v_fma_f32 v135, v135, v160, -v1
	s_waitcnt vmcnt(28)
	v_fma_f32 v136, v137, v182, -v2
	ds_read2_b64 v[1:4], v134 offset0:93 offset1:94
	v_add_f32_e32 v5, 0, v195
	s_waitcnt vmcnt(27) lgkmcnt(1)
	v_mul_f32_e32 v6, v10, v179
	v_add_f32_e32 v8, 0, v142
	v_fmac_f32_e32 v200, v138, v182
	v_mul_f32_e32 v137, v9, v179
	v_add_f32_e32 v5, v5, v196
	v_fma_f32 v142, v9, v176, -v6
	v_add_f32_e32 v6, v8, v141
	s_waitcnt vmcnt(26)
	v_mul_f32_e32 v138, v11, v180
	v_mul_f32_e32 v7, v12, v180
	v_add_f32_e32 v5, v5, v197
	v_fmac_f32_e32 v137, v10, v176
	v_add_f32_e32 v6, v6, v139
	v_fmac_f32_e32 v138, v12, v175
	v_fma_f32 v160, v11, v175, -v7
	v_add_f32_e32 v5, v5, v198
	s_clause 0x7
	buffer_load_dword v175, off, s[0:3], 0 offset:372
	buffer_load_dword v176, off, s[0:3], 0 offset:380
	;; [unrolled: 1-line block ×8, first 2 shown]
	v_add_f32_e32 v6, v6, v140
	s_clause 0x1
	buffer_load_dword v198, off, s[0:3], 0 offset:404
	buffer_load_dword v202, off, s[0:3], 0 offset:412
	s_waitcnt vmcnt(35) lgkmcnt(0)
	v_mul_f32_e32 v139, v1, v172
	v_mul_f32_e32 v7, v2, v172
	v_add_f32_e32 v5, v5, v199
	s_waitcnt vmcnt(34)
	v_mul_f32_e32 v141, v3, v168
	s_clause 0x1
	buffer_load_dword v172, off, s[0:3], 0 offset:420
	buffer_load_dword v199, off, s[0:3], 0 offset:428
	v_fmac_f32_e32 v139, v2, v170
	v_fma_f32 v140, v1, v170, -v7
	v_add_f32_e32 v1, v6, v146
	v_add_f32_e32 v2, v5, v149
	s_clause 0x3
	buffer_load_dword v170, off, s[0:3], 0 offset:436
	buffer_load_dword v203, off, s[0:3], 0 offset:444
	;; [unrolled: 1-line block ×4, first 2 shown]
	s_waitcnt vmcnt(36)
	v_fmac_f32_e32 v141, v4, v181
	buffer_load_dword v206, off, s[0:3], 0 offset:468
	v_add_f32_e32 v1, v1, v144
	v_add_f32_e32 v5, v2, v148
	v_mul_f32_e32 v2, v4, v168
	buffer_load_dword v168, off, s[0:3], 0 offset:476
	v_add_f32_e32 v6, v1, v143
	v_add_f32_e32 v5, v5, v147
	v_fma_f32 v143, v3, v181, -v2
	ds_read2_b64 v[1:4], v134 offset0:95 offset1:96
	v_add_f32_e32 v6, v6, v157
	v_add_f32_e32 v5, v5, v145
	s_clause 0x3
	buffer_load_dword v157, off, s[0:3], 0 offset:424
	buffer_load_dword v181, off, s[0:3], 0 offset:416
	;; [unrolled: 1-line block ×4, first 2 shown]
	v_add_f32_e32 v6, v6, v150
	v_add_f32_e32 v5, v5, v185
	;; [unrolled: 1-line block ×4, first 2 shown]
	ds_read2_b64 v[5:8], v134 offset0:97 offset1:98
	v_add_f32_e32 v9, v9, v151
	v_add_f32_e32 v10, v10, v156
	s_waitcnt vmcnt(41) lgkmcnt(1)
	v_mul_f32_e32 v144, v1, v174
	v_mul_f32_e32 v11, v2, v174
	s_waitcnt vmcnt(40)
	v_mul_f32_e32 v146, v3, v183
	v_fmac_f32_e32 v144, v2, v173
	v_fma_f32 v145, v1, v173, -v11
	v_add_f32_e32 v1, v9, v153
	v_add_f32_e32 v2, v10, v155
	s_clause 0x3
	buffer_load_dword v153, off, s[0:3], 0 offset:456
	buffer_load_dword v154, off, s[0:3], 0 offset:448
	;; [unrolled: 1-line block ×4, first 2 shown]
	v_mul_f32_e32 v9, v4, v183
	v_fmac_f32_e32 v146, v4, v166
	v_add_f32_e32 v1, v1, v167
	s_clause 0x1
	buffer_load_dword v167, off, s[0:3], 0 offset:472
	buffer_load_dword v173, off, s[0:3], 0 offset:464
	v_add_f32_e32 v2, v2, v188
	s_waitcnt vmcnt(45) lgkmcnt(0)
	v_mul_f32_e32 v148, v5, v178
	s_waitcnt vmcnt(44)
	v_mul_f32_e32 v149, v7, v177
	v_add_f32_e32 v1, v1, v161
	buffer_load_dword v161, off, s[0:3], 0 offset:112
	v_add_f32_e32 v2, v2, v169
	v_fma_f32 v147, v3, v166, -v9
	v_fmac_f32_e32 v148, v6, v159
	v_add_f32_e32 v10, v1, v135
	s_waitcnt vmcnt(38)
	v_fmac_f32_e32 v149, v8, v193
	v_add_f32_e32 v135, v2, v200
	ds_read2_b64 v[1:4], v134 offset0:99 offset1:100
	v_add_f32_e32 v136, v10, v136
	ds_read2_b64 v[9:12], v134 offset0:101 offset1:102
	v_add_f32_e32 v135, v135, v137
	v_mul_f32_e32 v137, v6, v178
	v_add_f32_e32 v136, v136, v142
	v_mul_f32_e32 v142, v8, v177
	v_add_f32_e32 v151, v135, v138
	v_fma_f32 v150, v5, v159, -v137
	v_fma_f32 v152, v7, v193, -v142
	v_add_f32_e32 v142, v136, v160
	v_add_f32_e32 v139, v151, v139
	ds_read2_b64 v[5:8], v134 offset0:103 offset1:104
	ds_read2_b64 v[135:138], v134 offset0:105 offset1:106
	v_add_f32_e32 v140, v142, v140
	v_add_f32_e32 v139, v139, v141
	s_waitcnt lgkmcnt(3)
	v_mul_f32_e32 v159, v2, v165
	v_mul_f32_e32 v151, v1, v165
	;; [unrolled: 1-line block ×3, first 2 shown]
	v_add_f32_e32 v140, v140, v143
	v_add_f32_e32 v144, v139, v144
	v_fma_f32 v159, v1, v192, -v159
	v_mul_f32_e32 v160, v3, v162
	v_fmac_f32_e32 v151, v2, v192
	v_add_f32_e32 v145, v140, v145
	v_add_f32_e32 v177, v144, v146
	s_waitcnt lgkmcnt(2)
	v_mul_f32_e32 v143, v10, v190
	v_fma_f32 v166, v3, v191, -v142
	v_mul_f32_e32 v162, v9, v190
	v_add_f32_e32 v147, v145, v147
	v_add_f32_e32 v148, v177, v148
	v_fmac_f32_e32 v160, v4, v191
	s_waitcnt vmcnt(37)
	v_mul_f32_e32 v169, v12, v194
	v_fma_f32 v174, v9, v189, -v143
	v_add_f32_e32 v147, v147, v150
	v_mul_f32_e32 v165, v11, v194
	v_fmac_f32_e32 v162, v10, v189
	ds_read2_b64 v[1:4], v134 offset0:107 offset1:108
	ds_read2_b64 v[139:142], v134 offset0:109 offset1:110
	v_add_f32_e32 v147, v147, v152
	v_add_f32_e32 v159, v147, v159
	;; [unrolled: 1-line block ×4, first 2 shown]
	s_waitcnt vmcnt(32)
	v_fma_f32 v169, v11, v187, -v169
	v_fmac_f32_e32 v165, v12, v187
	ds_read2_b64 v[9:12], v134 offset0:111 offset1:112
	ds_read2_b64 v[143:146], v134 offset0:113 offset1:114
	v_add_f32_e32 v159, v159, v169
	s_waitcnt vmcnt(31) lgkmcnt(5)
	v_mul_f32_e32 v177, v5, v163
	s_waitcnt vmcnt(30)
	v_mul_f32_e32 v178, v7, v164
	v_mul_f32_e32 v150, v6, v163
	;; [unrolled: 1-line block ×3, first 2 shown]
	s_waitcnt vmcnt(29) lgkmcnt(4)
	v_mul_f32_e32 v183, v136, v201
	v_fmac_f32_e32 v177, v6, v186
	v_add_f32_e32 v6, v148, v149
	v_fmac_f32_e32 v178, v8, v171
	v_fma_f32 v163, v7, v171, -v163
	v_fma_f32 v164, v5, v186, -v150
	v_add_f32_e32 v171, v6, v151
	ds_read2_b64 v[5:8], v134 offset0:115 offset1:116
	ds_read2_b64 v[147:150], v134 offset0:117 offset1:118
	ds_read_b64 v[151:152], v134 offset:952
	v_add_f32_e32 v159, v159, v164
	v_add_f32_e32 v160, v171, v160
	v_mul_f32_e32 v171, v135, v201
	v_fma_f32 v135, v135, v158, -v183
	s_waitcnt vmcnt(28)
	v_mul_f32_e32 v166, v137, v175
	v_mul_f32_e32 v175, v138, v175
	v_add_f32_e32 v160, v160, v162
	v_fmac_f32_e32 v171, v136, v158
	v_add_f32_e32 v159, v159, v163
	s_waitcnt vmcnt(27) lgkmcnt(6)
	v_mul_f32_e32 v162, v1, v176
	v_mul_f32_e32 v169, v2, v176
	v_add_f32_e32 v158, v160, v165
	s_waitcnt vmcnt(21)
	v_fma_f32 v137, v137, v197, -v175
	v_add_f32_e32 v135, v159, v135
	v_fmac_f32_e32 v166, v138, v197
	v_mul_f32_e32 v163, v4, v179
	v_add_f32_e32 v158, v158, v177
	v_fmac_f32_e32 v162, v2, v196
	v_fma_f32 v1, v1, v196, -v169
	v_add_f32_e32 v2, v135, v137
	v_mul_f32_e32 v174, v3, v179
	v_add_f32_e32 v158, v158, v178
	s_waitcnt lgkmcnt(5)
	v_mul_f32_e32 v137, v140, v180
	v_fma_f32 v3, v3, v195, -v163
	v_add_f32_e32 v1, v2, v1
	v_mul_f32_e32 v136, v139, v180
	v_add_f32_e32 v158, v158, v171
	v_fmac_f32_e32 v174, v4, v195
	s_waitcnt vmcnt(20)
	v_mul_f32_e32 v4, v142, v198
	v_add_f32_e32 v1, v1, v3
	v_mul_f32_e32 v160, v141, v198
	v_add_f32_e32 v135, v158, v166
	v_fmac_f32_e32 v136, v140, v182
	s_waitcnt vmcnt(19) lgkmcnt(4)
	v_mul_f32_e32 v3, v10, v202
	v_mul_f32_e32 v165, v9, v202
	s_waitcnt vmcnt(18)
	v_mul_f32_e32 v138, v11, v172
	v_add_f32_e32 v2, v135, v162
	v_fma_f32 v135, v139, v182, -v137
	s_waitcnt vmcnt(7)
	v_fma_f32 v4, v141, v208, -v4
	v_fmac_f32_e32 v160, v142, v208
	v_fma_f32 v3, v9, v207, -v3
	v_add_f32_e32 v2, v2, v174
	v_add_f32_e32 v1, v1, v135
	v_mul_f32_e32 v135, v12, v172
	v_fmac_f32_e32 v165, v10, v207
	s_waitcnt lgkmcnt(3)
	v_mul_f32_e32 v175, v143, v199
	v_add_f32_e32 v2, v2, v136
	v_add_f32_e32 v1, v1, v4
	v_mul_f32_e32 v4, v144, v199
	v_fma_f32 v9, v11, v181, -v135
	v_fmac_f32_e32 v138, v12, v181
	v_add_f32_e32 v2, v2, v160
	v_add_f32_e32 v1, v1, v3
	v_mul_f32_e32 v3, v146, v170
	v_fma_f32 v4, v143, v157, -v4
	v_mul_f32_e32 v164, v145, v170
	v_add_f32_e32 v2, v2, v165
	v_add_f32_e32 v1, v1, v9
	v_fmac_f32_e32 v175, v144, v157
	s_waitcnt lgkmcnt(2)
	v_mul_f32_e32 v9, v6, v203
	v_mul_f32_e32 v176, v5, v203
	v_add_f32_e32 v2, v2, v138
	s_waitcnt vmcnt(3)
	v_fma_f32 v3, v145, v156, -v3
	v_add_f32_e32 v1, v1, v4
	v_fmac_f32_e32 v164, v146, v156
	v_mul_f32_e32 v4, v8, v204
	v_add_f32_e32 v2, v2, v175
	v_fma_f32 v5, v5, v155, -v9
	v_add_f32_e32 v1, v1, v3
	v_mul_f32_e32 v177, v7, v204
	v_fmac_f32_e32 v176, v6, v155
	v_add_f32_e32 v2, v2, v164
	s_waitcnt lgkmcnt(1)
	v_mul_f32_e32 v3, v148, v205
	v_fma_f32 v4, v7, v154, -v4
	v_add_f32_e32 v1, v1, v5
	v_mul_f32_e32 v178, v147, v205
	v_fmac_f32_e32 v177, v8, v154
	v_add_f32_e32 v2, v2, v176
	v_mul_f32_e32 v5, v150, v206
	v_fma_f32 v3, v147, v153, -v3
	v_add_f32_e32 v1, v1, v4
	v_mul_f32_e32 v179, v149, v206
	v_fmac_f32_e32 v178, v148, v153
	v_add_f32_e32 v2, v2, v177
	s_waitcnt lgkmcnt(0)
	v_mul_f32_e32 v4, v152, v168
	s_waitcnt vmcnt(1)
	v_fma_f32 v5, v149, v173, -v5
	v_add_f32_e32 v1, v1, v3
	v_mul_f32_e32 v159, v151, v168
	v_fmac_f32_e32 v179, v150, v173
	v_add_f32_e32 v2, v2, v178
	v_fma_f32 v3, v151, v167, -v4
	v_add_f32_e32 v1, v1, v5
	v_fmac_f32_e32 v159, v152, v167
	v_add_f32_e32 v2, v2, v179
	v_add_f32_e32 v1, v1, v3
	;; [unrolled: 1-line block ×3, first 2 shown]
	s_waitcnt vmcnt(0)
	v_sub_f32_e32 v1, v161, v1
	v_sub_f32_e32 v2, v184, v2
	buffer_store_dword v1, off, s[0:3], 0 offset:112
	buffer_store_dword v2, off, s[0:3], 0 offset:116
	v_cmpx_lt_u32_e32 13, v0
	s_cbranch_execz .LBB59_347
; %bb.346:
	s_clause 0x1
	buffer_load_dword v1, off, s[0:3], 0 offset:104
	buffer_load_dword v2, off, s[0:3], 0 offset:108
	buffer_store_dword v134, off, s[0:3], 0 offset:104
	buffer_store_dword v134, off, s[0:3], 0 offset:108
	s_waitcnt vmcnt(0)
	ds_write_b64 v133, v[1:2]
.LBB59_347:
	s_or_b32 exec_lo, exec_lo, s4
	s_waitcnt lgkmcnt(0)
	s_waitcnt_vscnt null, 0x0
	s_barrier
	buffer_gl0_inv
	s_clause 0x2c
	buffer_load_dword v175, off, s[0:3], 0 offset:116
	buffer_load_dword v176, off, s[0:3], 0 offset:124
	;; [unrolled: 1-line block ×45, first 2 shown]
	ds_read_b128 v[5:8], v134 offset:592
	buffer_load_dword v169, off, s[0:3], 0 offset:292
	ds_read_b128 v[1:4], v134 offset:608
	ds_read_b128 v[185:188], v134 offset:624
	s_clause 0x7
	buffer_load_dword v183, off, s[0:3], 0 offset:300
	buffer_load_dword v181, off, s[0:3], 0 offset:308
	;; [unrolled: 1-line block ×8, first 2 shown]
	ds_read_b128 v[189:192], v134 offset:640
	s_mov_b32 s4, exec_lo
	s_waitcnt vmcnt(53) lgkmcnt(3)
	v_mul_f32_e32 v193, v5, v175
	s_waitcnt vmcnt(52)
	v_mul_f32_e32 v194, v7, v176
	v_mul_f32_e32 v195, v6, v175
	;; [unrolled: 1-line block ×3, first 2 shown]
	buffer_load_dword v175, off, s[0:3], 0 offset:108
	s_waitcnt vmcnt(50)
	v_fmac_f32_e32 v193, v6, v137
	v_fmac_f32_e32 v194, v8, v136
	v_fma_f32 v195, v5, v137, -v195
	v_fma_f32 v176, v7, v136, -v176
	ds_read_b128 v[5:8], v134 offset:656
	s_waitcnt vmcnt(49) lgkmcnt(3)
	v_mul_f32_e32 v196, v1, v12
	v_mul_f32_e32 v12, v2, v12
	s_waitcnt vmcnt(48)
	v_mul_f32_e32 v197, v3, v11
	v_mul_f32_e32 v11, v4, v11
	s_waitcnt vmcnt(47) lgkmcnt(2)
	v_mul_f32_e32 v198, v185, v10
	v_fmac_f32_e32 v196, v2, v9
	v_fma_f32 v199, v1, v9, -v12
	s_waitcnt vmcnt(46)
	v_mul_f32_e32 v200, v187, v135
	v_mul_f32_e32 v9, v186, v10
	;; [unrolled: 1-line block ×3, first 2 shown]
	s_waitcnt vmcnt(42)
	v_fmac_f32_e32 v197, v4, v143
	v_fma_f32 v143, v3, v143, -v11
	ds_read_b128 v[1:4], v134 offset:672
	v_fmac_f32_e32 v198, v186, v142
	v_fmac_f32_e32 v200, v188, v140
	v_fma_f32 v142, v185, v142, -v9
	v_fma_f32 v140, v187, v140, -v10
	ds_read_b128 v[9:12], v134 offset:688
	s_waitcnt vmcnt(41) lgkmcnt(3)
	v_mul_f32_e32 v185, v189, v141
	v_mul_f32_e32 v135, v190, v141
	s_waitcnt vmcnt(40)
	v_mul_f32_e32 v141, v191, v139
	v_mul_f32_e32 v136, v192, v139
	s_waitcnt vmcnt(39) lgkmcnt(2)
	v_mul_f32_e32 v139, v5, v144
	v_fmac_f32_e32 v185, v190, v138
	v_fma_f32 v186, v189, v138, -v135
	s_waitcnt vmcnt(34)
	v_fmac_f32_e32 v141, v192, v151
	v_fma_f32 v151, v191, v151, -v136
	ds_read_b128 v[135:138], v134 offset:704
	v_mul_f32_e32 v187, v7, v145
	v_mul_f32_e32 v144, v6, v144
	;; [unrolled: 1-line block ×3, first 2 shown]
	v_fmac_f32_e32 v139, v6, v150
	v_fmac_f32_e32 v187, v8, v148
	v_fma_f32 v144, v5, v150, -v144
	v_fma_f32 v145, v7, v148, -v145
	ds_read_b128 v[5:8], v134 offset:720
	s_waitcnt vmcnt(33) lgkmcnt(3)
	v_mul_f32_e32 v148, v1, v149
	v_mul_f32_e32 v149, v2, v149
	s_waitcnt vmcnt(32)
	v_mul_f32_e32 v150, v3, v147
	v_mul_f32_e32 v147, v4, v147
	s_waitcnt vmcnt(31) lgkmcnt(2)
	v_mul_f32_e32 v188, v9, v152
	v_fmac_f32_e32 v148, v2, v146
	v_fma_f32 v146, v1, v146, -v149
	s_waitcnt vmcnt(30)
	v_mul_f32_e32 v149, v11, v153
	v_mul_f32_e32 v153, v12, v153
	s_waitcnt vmcnt(26)
	v_fmac_f32_e32 v150, v4, v160
	v_fma_f32 v147, v3, v160, -v147
	ds_read_b128 v[1:4], v134 offset:736
	v_mul_f32_e32 v152, v10, v152
	v_fmac_f32_e32 v149, v12, v157
	v_fma_f32 v153, v11, v157, -v153
	s_waitcnt vmcnt(25) lgkmcnt(2)
	v_mul_f32_e32 v157, v135, v155
	v_mul_f32_e32 v155, v136, v155
	v_fmac_f32_e32 v188, v10, v159
	v_fma_f32 v152, v9, v159, -v152
	ds_read_b128 v[9:12], v134 offset:752
	v_fmac_f32_e32 v157, v136, v154
	v_fma_f32 v135, v135, v154, -v155
	s_clause 0x1
	buffer_load_dword v154, off, s[0:3], 0 offset:332
	buffer_load_dword v155, off, s[0:3], 0 offset:340
	s_waitcnt vmcnt(26)
	v_mul_f32_e32 v159, v137, v156
	v_mul_f32_e32 v156, v138, v156
	s_waitcnt vmcnt(25) lgkmcnt(2)
	v_mul_f32_e32 v160, v5, v161
	v_mul_f32_e32 v161, v6, v161
	s_waitcnt vmcnt(21)
	v_fmac_f32_e32 v159, v138, v168
	v_fma_f32 v136, v137, v168, -v156
	s_waitcnt vmcnt(20)
	v_mul_f32_e32 v137, v7, v167
	v_mul_f32_e32 v138, v8, v167
	v_fmac_f32_e32 v160, v6, v166
	v_fma_f32 v156, v5, v166, -v161
	s_clause 0x3
	buffer_load_dword v161, off, s[0:3], 0 offset:352
	buffer_load_dword v166, off, s[0:3], 0 offset:344
	;; [unrolled: 1-line block ×4, first 2 shown]
	v_fmac_f32_e32 v137, v8, v163
	v_fma_f32 v138, v7, v163, -v138
	s_waitcnt vmcnt(23) lgkmcnt(1)
	v_mul_f32_e32 v163, v1, v164
	s_waitcnt vmcnt(22)
	v_mul_f32_e32 v189, v3, v165
	v_mul_f32_e32 v5, v2, v164
	;; [unrolled: 1-line block ×3, first 2 shown]
	s_clause 0x1
	buffer_load_dword v164, off, s[0:3], 0 offset:348
	buffer_load_dword v165, off, s[0:3], 0 offset:356
	s_waitcnt vmcnt(18) lgkmcnt(0)
	v_mul_f32_e32 v192, v11, v173
	v_fmac_f32_e32 v189, v4, v174
	v_fmac_f32_e32 v163, v2, v162
	v_fma_f32 v174, v3, v174, -v6
	v_mul_f32_e32 v6, v12, v173
	v_fma_f32 v162, v1, v162, -v5
	v_mul_f32_e32 v191, v9, v172
	v_mul_f32_e32 v5, v10, v172
	v_fmac_f32_e32 v192, v12, v170
	v_fma_f32 v170, v11, v170, -v6
	v_add_f32_e32 v6, 0, v195
	v_fmac_f32_e32 v191, v10, v171
	v_fma_f32 v171, v9, v171, -v5
	v_add_f32_e32 v5, 0, v193
	buffer_load_dword v190, off, s[0:3], 0 offset:364
	v_add_f32_e32 v6, v6, v176
	ds_read_b128 v[1:4], v134 offset:768
	s_clause 0x3
	buffer_load_dword v172, off, s[0:3], 0 offset:384
	buffer_load_dword v173, off, s[0:3], 0 offset:376
	;; [unrolled: 1-line block ×4, first 2 shown]
	v_add_f32_e32 v5, v5, v194
	s_clause 0x2
	buffer_load_dword v194, off, s[0:3], 0 offset:372
	buffer_load_dword v176, off, s[0:3], 0 offset:380
	;; [unrolled: 1-line block ×3, first 2 shown]
	v_add_f32_e32 v6, v6, v199
	v_add_f32_e32 v5, v5, v196
	;; [unrolled: 1-line block ×4, first 2 shown]
	s_clause 0x2
	buffer_load_dword v196, off, s[0:3], 0 offset:396
	buffer_load_dword v197, off, s[0:3], 0 offset:404
	buffer_load_dword v199, off, s[0:3], 0 offset:412
	v_add_f32_e32 v6, v6, v142
	v_add_f32_e32 v5, v5, v198
	s_clause 0x2
	buffer_load_dword v198, off, s[0:3], 0 offset:420
	buffer_load_dword v202, off, s[0:3], 0 offset:428
	;; [unrolled: 1-line block ×3, first 2 shown]
	s_waitcnt vmcnt(31) lgkmcnt(0)
	v_mul_f32_e32 v143, v1, v169
	v_add_f32_e32 v6, v6, v140
	v_add_f32_e32 v5, v5, v200
	s_clause 0x2
	buffer_load_dword v200, off, s[0:3], 0 offset:444
	buffer_load_dword v204, off, s[0:3], 0 offset:452
	;; [unrolled: 1-line block ×3, first 2 shown]
	v_mul_f32_e32 v7, v2, v169
	v_add_f32_e32 v6, v6, v186
	v_add_f32_e32 v5, v5, v185
	s_clause 0x1
	buffer_load_dword v185, off, s[0:3], 0 offset:468
	buffer_load_dword v186, off, s[0:3], 0 offset:476
	v_fmac_f32_e32 v143, v2, v158
	v_add_f32_e32 v6, v6, v151
	s_clause 0x3
	buffer_load_dword v151, off, s[0:3], 0 offset:416
	buffer_load_dword v206, off, s[0:3], 0 offset:408
	buffer_load_dword v207, off, s[0:3], 0 offset:400
	buffer_load_dword v208, off, s[0:3], 0 offset:392
	v_add_f32_e32 v5, v5, v141
	v_add_f32_e32 v6, v6, v144
	v_fma_f32 v144, v1, v158, -v7
	v_add_f32_e32 v5, v5, v139
	v_add_f32_e32 v6, v6, v145
	;; [unrolled: 1-line block ×3, first 2 shown]
	s_clause 0x3
	buffer_load_dword v187, off, s[0:3], 0 offset:448
	buffer_load_dword v209, off, s[0:3], 0 offset:440
	;; [unrolled: 1-line block ×4, first 2 shown]
	v_add_f32_e32 v6, v6, v146
	v_add_f32_e32 v5, v5, v148
	;; [unrolled: 1-line block ×3, first 2 shown]
	s_waitcnt vmcnt(43)
	v_mul_f32_e32 v147, v3, v183
	v_add_f32_e32 v5, v5, v150
	v_add_f32_e32 v6, v6, v152
	s_waitcnt vmcnt(36)
	v_fmac_f32_e32 v147, v4, v184
	v_add_f32_e32 v5, v5, v188
	s_clause 0x3
	buffer_load_dword v188, off, s[0:3], 0 offset:472
	buffer_load_dword v212, off, s[0:3], 0 offset:464
	;; [unrolled: 1-line block ×4, first 2 shown]
	v_add_f32_e32 v6, v6, v153
	v_add_f32_e32 v5, v5, v149
	;; [unrolled: 1-line block ×4, first 2 shown]
	ds_read_b128 v[5:8], v134 offset:784
	v_add_f32_e32 v9, v1, v136
	v_mul_f32_e32 v1, v4, v183
	v_add_f32_e32 v10, v2, v159
	v_add_f32_e32 v135, v9, v156
	v_fma_f32 v148, v3, v184, -v1
	ds_read_b128 v[1:4], v134 offset:800
	v_add_f32_e32 v136, v10, v160
	ds_read_b128 v[9:12], v134 offset:816
	v_add_f32_e32 v135, v135, v138
	v_add_f32_e32 v136, v136, v137
	v_add_f32_e32 v139, v135, v162
	s_waitcnt lgkmcnt(2)
	v_mul_f32_e32 v138, v6, v181
	v_mul_f32_e32 v149, v5, v181
	;; [unrolled: 1-line block ×3, first 2 shown]
	v_fma_f32 v150, v5, v182, -v138
	v_add_f32_e32 v5, v136, v163
	v_fmac_f32_e32 v149, v6, v182
	v_add_f32_e32 v6, v139, v174
	ds_read_b128 v[135:138], v134 offset:832
	s_waitcnt lgkmcnt(2)
	v_mul_f32_e32 v140, v2, v179
	v_add_f32_e32 v5, v5, v189
	v_mul_f32_e32 v156, v1, v179
	v_add_f32_e32 v6, v6, v171
	v_mul_f32_e32 v139, v8, v180
	v_fma_f32 v159, v1, v177, -v140
	v_add_f32_e32 v5, v5, v191
	v_fmac_f32_e32 v156, v2, v177
	v_add_f32_e32 v1, v6, v170
	v_fma_f32 v158, v7, v178, -v139
	v_fmac_f32_e32 v153, v8, v178
	v_add_f32_e32 v2, v5, v192
	ds_read_b128 v[5:8], v134 offset:848
	ds_read_b128 v[139:142], v134 offset:864
	s_waitcnt vmcnt(38)
	v_mul_f32_e32 v157, v3, v154
	v_mul_f32_e32 v145, v4, v154
	s_waitcnt vmcnt(37) lgkmcnt(3)
	v_mul_f32_e32 v154, v9, v155
	v_mul_f32_e32 v146, v10, v155
	s_waitcnt vmcnt(34)
	v_fmac_f32_e32 v154, v10, v167
	v_add_f32_e32 v10, v1, v144
	v_fma_f32 v160, v9, v167, -v146
	v_add_f32_e32 v9, v2, v143
	s_waitcnt vmcnt(33)
	v_fma_f32 v155, v3, v168, -v145
	v_fmac_f32_e32 v157, v4, v168
	v_add_f32_e32 v10, v10, v148
	s_waitcnt vmcnt(32)
	v_mul_f32_e32 v162, v11, v164
	v_add_f32_e32 v9, v9, v147
	s_waitcnt vmcnt(31) lgkmcnt(2)
	v_mul_f32_e32 v163, v135, v165
	v_mul_f32_e32 v147, v136, v165
	v_add_f32_e32 v10, v10, v150
	v_mul_f32_e32 v148, v12, v164
	v_fmac_f32_e32 v162, v12, v166
	v_fmac_f32_e32 v163, v136, v161
	v_fma_f32 v161, v135, v161, -v147
	v_add_f32_e32 v135, v9, v149
	v_add_f32_e32 v158, v10, v158
	v_fma_f32 v166, v11, v166, -v148
	ds_read_b128 v[1:4], v134 offset:880
	ds_read_b128 v[143:146], v134 offset:896
	;; [unrolled: 1-line block ×4, first 2 shown]
	v_add_f32_e32 v153, v135, v153
	v_add_f32_e32 v158, v158, v159
	s_waitcnt vmcnt(30)
	v_mul_f32_e32 v164, v137, v190
	v_mul_f32_e32 v165, v138, v190
	v_add_f32_e32 v153, v153, v156
	v_add_f32_e32 v155, v158, v155
	s_waitcnt vmcnt(26)
	v_fmac_f32_e32 v164, v138, v201
	v_fma_f32 v138, v137, v201, -v165
	s_waitcnt vmcnt(25) lgkmcnt(5)
	v_mul_f32_e32 v159, v6, v194
	v_add_f32_e32 v153, v153, v157
	v_add_f32_e32 v155, v155, v160
	v_mul_f32_e32 v165, v5, v194
	s_waitcnt vmcnt(24)
	v_mul_f32_e32 v167, v8, v176
	v_fma_f32 v5, v5, v193, -v159
	v_add_f32_e32 v153, v153, v154
	v_add_f32_e32 v155, v155, v166
	v_mul_f32_e32 v156, v7, v176
	v_fmac_f32_e32 v165, v6, v193
	v_fma_f32 v7, v7, v173, -v167
	v_add_f32_e32 v153, v153, v162
	v_add_f32_e32 v155, v155, v161
	s_waitcnt vmcnt(23) lgkmcnt(4)
	v_mul_f32_e32 v158, v139, v195
	v_fmac_f32_e32 v156, v8, v173
	s_waitcnt vmcnt(22)
	v_mul_f32_e32 v157, v141, v196
	v_add_f32_e32 v153, v153, v163
	v_add_f32_e32 v138, v155, v138
	v_mul_f32_e32 v155, v140, v195
	v_fmac_f32_e32 v158, v140, v172
	s_waitcnt vmcnt(21) lgkmcnt(3)
	v_mul_f32_e32 v168, v1, v197
	v_add_f32_e32 v153, v153, v164
	v_add_f32_e32 v5, v138, v5
	v_mul_f32_e32 v138, v142, v196
	v_fma_f32 v139, v139, v172, -v155
	s_waitcnt vmcnt(20)
	v_mul_f32_e32 v160, v3, v199
	v_add_f32_e32 v8, v153, v165
	v_add_f32_e32 v5, v5, v7
	s_waitcnt vmcnt(8)
	v_fma_f32 v138, v141, v208, -v138
	v_fmac_f32_e32 v157, v142, v208
	v_fmac_f32_e32 v168, v2, v207
	v_add_f32_e32 v7, v8, v156
	v_mul_f32_e32 v8, v2, v197
	v_add_f32_e32 v5, v5, v139
	v_mul_f32_e32 v139, v4, v199
	s_waitcnt lgkmcnt(2)
	v_mul_f32_e32 v154, v143, v198
	v_add_f32_e32 v7, v7, v158
	v_fma_f32 v1, v1, v207, -v8
	v_add_f32_e32 v2, v5, v138
	v_fma_f32 v3, v3, v206, -v139
	v_fmac_f32_e32 v160, v4, v206
	v_add_f32_e32 v5, v7, v157
	v_mul_f32_e32 v7, v144, v198
	v_add_f32_e32 v1, v2, v1
	v_mul_f32_e32 v4, v146, v202
	v_mul_f32_e32 v169, v145, v202
	v_add_f32_e32 v2, v5, v168
	v_fma_f32 v5, v143, v151, -v7
	v_add_f32_e32 v1, v1, v3
	v_fmac_f32_e32 v154, v144, v151
	ds_read_b128 v[134:137], v134 offset:944
	v_add_f32_e32 v2, v2, v160
	s_waitcnt lgkmcnt(2)
	v_mul_f32_e32 v3, v10, v203
	s_waitcnt vmcnt(4)
	v_fma_f32 v4, v145, v211, -v4
	v_add_f32_e32 v1, v1, v5
	v_mul_f32_e32 v166, v9, v203
	v_fmac_f32_e32 v169, v146, v211
	v_add_f32_e32 v2, v2, v154
	v_mul_f32_e32 v5, v12, v200
	v_fma_f32 v3, v9, v210, -v3
	v_add_f32_e32 v1, v1, v4
	v_mul_f32_e32 v162, v11, v200
	v_fmac_f32_e32 v166, v10, v210
	v_add_f32_e32 v2, v2, v169
	s_waitcnt lgkmcnt(1)
	v_mul_f32_e32 v4, v148, v204
	v_fma_f32 v5, v11, v209, -v5
	v_add_f32_e32 v1, v1, v3
	v_mul_f32_e32 v170, v147, v204
	v_fmac_f32_e32 v162, v12, v209
	v_add_f32_e32 v2, v2, v166
	v_mul_f32_e32 v3, v150, v205
	v_fma_f32 v4, v147, v187, -v4
	v_add_f32_e32 v1, v1, v5
	v_mul_f32_e32 v161, v149, v205
	v_fmac_f32_e32 v170, v148, v187
	v_add_f32_e32 v2, v2, v162
	s_waitcnt lgkmcnt(0)
	v_mul_f32_e32 v5, v135, v185
	s_waitcnt vmcnt(1)
	v_fma_f32 v3, v149, v213, -v3
	v_add_f32_e32 v1, v1, v4
	v_mul_f32_e32 v163, v134, v185
	v_fmac_f32_e32 v161, v150, v213
	v_add_f32_e32 v2, v2, v170
	v_mul_f32_e32 v4, v137, v186
	v_fma_f32 v5, v134, v212, -v5
	v_add_f32_e32 v1, v1, v3
	v_mul_f32_e32 v6, v136, v186
	v_fmac_f32_e32 v163, v135, v212
	v_add_f32_e32 v2, v2, v161
	v_fma_f32 v3, v136, v188, -v4
	v_add_f32_e32 v1, v1, v5
	v_fmac_f32_e32 v6, v137, v188
	v_add_f32_e32 v2, v2, v163
	v_add_f32_e32 v1, v1, v3
	;; [unrolled: 1-line block ×3, first 2 shown]
	s_waitcnt vmcnt(0)
	v_sub_f32_e32 v1, v152, v1
	v_sub_f32_e32 v2, v175, v2
	buffer_store_dword v1, off, s[0:3], 0 offset:104
	buffer_store_dword v2, off, s[0:3], 0 offset:108
	v_cmpx_lt_u32_e32 12, v0
	s_cbranch_execz .LBB59_349
; %bb.348:
	s_clause 0x1
	buffer_load_dword v1, off, s[0:3], 0 offset:96
	buffer_load_dword v2, off, s[0:3], 0 offset:100
	v_mov_b32_e32 v3, 0
	buffer_store_dword v3, off, s[0:3], 0 offset:96
	buffer_store_dword v3, off, s[0:3], 0 offset:100
	s_waitcnt vmcnt(0)
	ds_write_b64 v133, v[1:2]
.LBB59_349:
	s_or_b32 exec_lo, exec_lo, s4
	s_waitcnt lgkmcnt(0)
	s_waitcnt_vscnt null, 0x0
	s_barrier
	buffer_gl0_inv
	s_clause 0x2c
	buffer_load_dword v11, off, s[0:3], 0 offset:108
	buffer_load_dword v12, off, s[0:3], 0 offset:116
	;; [unrolled: 1-line block ×45, first 2 shown]
	v_mov_b32_e32 v9, 0
	ds_read2_b64 v[5:8], v9 offset0:73 offset1:74
	ds_read2_b64 v[1:4], v9 offset0:75 offset1:76
	s_clause 0x9
	buffer_load_dword v182, off, s[0:3], 0 offset:284
	buffer_load_dword v179, off, s[0:3], 0 offset:292
	;; [unrolled: 1-line block ×10, first 2 shown]
	ds_read2_b64 v[186:189], v9 offset0:77 offset1:78
	ds_read2_b64 v[190:193], v9 offset0:79 offset1:80
	s_mov_b32 s4, exec_lo
	s_waitcnt vmcnt(54) lgkmcnt(3)
	v_mul_f32_e32 v194, v5, v11
	v_mul_f32_e32 v11, v6, v11
	s_waitcnt vmcnt(53)
	v_mul_f32_e32 v195, v7, v12
	v_mul_f32_e32 v12, v8, v12
	s_waitcnt vmcnt(52) lgkmcnt(2)
	v_mul_f32_e32 v196, v1, v134
	s_waitcnt vmcnt(49)
	v_fmac_f32_e32 v194, v6, v137
	v_fma_f32 v11, v5, v137, -v11
	s_waitcnt vmcnt(48)
	v_mul_f32_e32 v197, v3, v136
	v_mul_f32_e32 v5, v2, v134
	;; [unrolled: 1-line block ×3, first 2 shown]
	v_fmac_f32_e32 v195, v8, v135
	s_waitcnt vmcnt(43) lgkmcnt(1)
	v_mul_f32_e32 v198, v186, v144
	v_mul_f32_e32 v134, v187, v144
	v_fma_f32 v12, v7, v135, -v12
	v_fmac_f32_e32 v196, v2, v10
	v_fmac_f32_e32 v197, v4, v145
	v_fma_f32 v10, v1, v10, -v5
	v_fma_f32 v145, v3, v145, -v6
	ds_read2_b64 v[1:4], v9 offset0:81 offset1:82
	ds_read2_b64 v[5:8], v9 offset0:83 offset1:84
	s_waitcnt vmcnt(42)
	v_mul_f32_e32 v144, v188, v143
	v_mul_f32_e32 v135, v189, v143
	s_waitcnt vmcnt(41) lgkmcnt(2)
	v_mul_f32_e32 v143, v190, v141
	v_fmac_f32_e32 v198, v187, v140
	v_fma_f32 v186, v186, v140, -v134
	s_waitcnt vmcnt(40)
	v_mul_f32_e32 v187, v192, v142
	v_mul_f32_e32 v134, v191, v141
	;; [unrolled: 1-line block ×3, first 2 shown]
	v_fmac_f32_e32 v144, v189, v139
	v_fma_f32 v142, v188, v139, -v135
	v_fmac_f32_e32 v143, v191, v138
	s_waitcnt vmcnt(36)
	v_fmac_f32_e32 v187, v193, v153
	v_fma_f32 v188, v190, v138, -v134
	v_fma_f32 v153, v192, v153, -v136
	ds_read2_b64 v[134:137], v9 offset0:85 offset1:86
	ds_read2_b64 v[138:141], v9 offset0:87 offset1:88
	s_waitcnt vmcnt(35) lgkmcnt(3)
	v_mul_f32_e32 v189, v1, v151
	s_waitcnt vmcnt(34)
	v_mul_f32_e32 v190, v3, v152
	v_mul_f32_e32 v151, v2, v151
	;; [unrolled: 1-line block ×3, first 2 shown]
	s_waitcnt vmcnt(33) lgkmcnt(2)
	v_mul_f32_e32 v191, v5, v150
	v_mul_f32_e32 v150, v6, v150
	v_fmac_f32_e32 v189, v2, v148
	v_fmac_f32_e32 v190, v4, v147
	v_fma_f32 v148, v1, v148, -v151
	v_fma_f32 v147, v3, v147, -v152
	s_clause 0x1
	buffer_load_dword v151, off, s[0:3], 0 offset:324
	buffer_load_dword v152, off, s[0:3], 0 offset:332
	s_waitcnt vmcnt(34)
	v_mul_f32_e32 v192, v7, v149
	v_mul_f32_e32 v149, v8, v149
	v_fmac_f32_e32 v191, v6, v146
	v_fma_f32 v146, v5, v146, -v150
	ds_read2_b64 v[1:4], v9 offset0:89 offset1:90
	s_waitcnt vmcnt(29) lgkmcnt(2)
	v_mul_f32_e32 v150, v134, v161
	v_mul_f32_e32 v5, v135, v161
	s_waitcnt vmcnt(28)
	v_mul_f32_e32 v6, v137, v162
	v_fmac_f32_e32 v192, v8, v164
	v_fma_f32 v149, v7, v164, -v149
	v_fmac_f32_e32 v150, v135, v156
	v_fma_f32 v134, v134, v156, -v5
	v_fma_f32 v135, v136, v155, -v6
	ds_read2_b64 v[5:8], v9 offset0:91 offset1:92
	v_mul_f32_e32 v164, v136, v162
	s_waitcnt vmcnt(27) lgkmcnt(2)
	v_mul_f32_e32 v161, v138, v158
	s_waitcnt vmcnt(26)
	v_mul_f32_e32 v162, v140, v159
	v_mul_f32_e32 v158, v139, v158
	;; [unrolled: 1-line block ×3, first 2 shown]
	v_fmac_f32_e32 v164, v137, v155
	v_fmac_f32_e32 v161, v139, v154
	s_waitcnt vmcnt(22)
	v_fmac_f32_e32 v162, v141, v177
	v_fma_f32 v136, v138, v154, -v158
	v_fma_f32 v137, v140, v177, -v159
	s_clause 0x5
	buffer_load_dword v154, off, s[0:3], 0 offset:340
	buffer_load_dword v155, off, s[0:3], 0 offset:348
	;; [unrolled: 1-line block ×6, first 2 shown]
	s_waitcnt vmcnt(27) lgkmcnt(1)
	v_mul_f32_e32 v138, v1, v172
	s_waitcnt vmcnt(26)
	v_mul_f32_e32 v139, v3, v173
	v_mul_f32_e32 v140, v2, v172
	v_mul_f32_e32 v141, v4, v173
	v_add_f32_e32 v173, 0, v194
	v_fmac_f32_e32 v138, v2, v170
	v_fmac_f32_e32 v139, v4, v166
	v_fma_f32 v140, v1, v170, -v140
	v_fma_f32 v141, v3, v166, -v141
	ds_read2_b64 v[1:4], v9 offset0:93 offset1:94
	s_waitcnt vmcnt(25) lgkmcnt(1)
	v_mul_f32_e32 v166, v5, v167
	v_mul_f32_e32 v167, v6, v167
	buffer_load_dword v172, off, s[0:3], 0 offset:356
	s_waitcnt vmcnt(25)
	v_mul_f32_e32 v170, v7, v168
	v_mul_f32_e32 v168, v8, v168
	v_fmac_f32_e32 v166, v6, v165
	v_add_f32_e32 v6, 0, v11
	v_add_f32_e32 v11, v173, v195
	v_fma_f32 v165, v5, v165, -v167
	s_waitcnt vmcnt(21)
	v_fmac_f32_e32 v170, v8, v184
	v_fma_f32 v167, v7, v184, -v168
	v_add_f32_e32 v5, v6, v12
	v_add_f32_e32 v11, v11, v196
	s_clause 0x4
	buffer_load_dword v12, off, s[0:3], 0 offset:376
	buffer_load_dword v168, off, s[0:3], 0 offset:368
	;; [unrolled: 1-line block ×5, first 2 shown]
	v_add_f32_e32 v10, v5, v10
	v_add_f32_e32 v11, v11, v197
	ds_read2_b64 v[5:8], v9 offset0:95 offset1:96
	s_waitcnt vmcnt(25) lgkmcnt(1)
	v_mul_f32_e32 v194, v1, v183
	v_mul_f32_e32 v183, v2, v183
	v_add_f32_e32 v10, v10, v145
	v_add_f32_e32 v11, v11, v198
	s_clause 0x1
	buffer_load_dword v195, off, s[0:3], 0 offset:372
	buffer_load_dword v196, off, s[0:3], 0 offset:380
	v_fmac_f32_e32 v194, v2, v180
	v_fma_f32 v145, v1, v180, -v183
	v_add_f32_e32 v1, v10, v186
	v_add_f32_e32 v2, v11, v144
	buffer_load_dword v197, off, s[0:3], 0 offset:388
	s_waitcnt vmcnt(27)
	v_mul_f32_e32 v180, v3, v178
	v_mul_f32_e32 v10, v4, v178
	v_add_f32_e32 v1, v1, v142
	v_add_f32_e32 v2, v2, v143
	s_clause 0x2
	buffer_load_dword v183, off, s[0:3], 0 offset:396
	buffer_load_dword v186, off, s[0:3], 0 offset:404
	;; [unrolled: 1-line block ×3, first 2 shown]
	v_fmac_f32_e32 v180, v4, v174
	v_fma_f32 v10, v3, v174, -v10
	v_add_f32_e32 v2, v2, v187
	s_clause 0x1
	buffer_load_dword v174, off, s[0:3], 0 offset:420
	buffer_load_dword v198, off, s[0:3], 0 offset:428
	v_add_f32_e32 v1, v1, v188
	s_clause 0x2
	buffer_load_dword v187, off, s[0:3], 0 offset:436
	buffer_load_dword v188, off, s[0:3], 0 offset:444
	;; [unrolled: 1-line block ×3, first 2 shown]
	s_waitcnt vmcnt(34) lgkmcnt(0)
	v_mul_f32_e32 v11, v5, v182
	v_add_f32_e32 v2, v2, v189
	s_clause 0x2
	buffer_load_dword v189, off, s[0:3], 0 offset:460
	buffer_load_dword v200, off, s[0:3], 0 offset:468
	;; [unrolled: 1-line block ×3, first 2 shown]
	v_add_f32_e32 v1, v1, v153
	v_mul_f32_e32 v3, v6, v182
	v_fmac_f32_e32 v11, v6, v157
	v_add_f32_e32 v2, v2, v190
	s_clause 0x3
	buffer_load_dword v190, off, s[0:3], 0 offset:408
	buffer_load_dword v202, off, s[0:3], 0 offset:400
	;; [unrolled: 1-line block ×4, first 2 shown]
	v_add_f32_e32 v1, v1, v148
	v_fma_f32 v142, v5, v157, -v3
	v_add_f32_e32 v2, v2, v191
	v_add_f32_e32 v1, v1, v147
	;; [unrolled: 1-line block ×3, first 2 shown]
	s_clause 0x3
	buffer_load_dword v191, off, s[0:3], 0 offset:440
	buffer_load_dword v192, off, s[0:3], 0 offset:432
	;; [unrolled: 1-line block ×4, first 2 shown]
	v_add_f32_e32 v1, v1, v146
	s_waitcnt vmcnt(44)
	v_mul_f32_e32 v146, v7, v179
	v_add_f32_e32 v2, v2, v150
	v_add_f32_e32 v1, v1, v149
	s_waitcnt vmcnt(37)
	v_fmac_f32_e32 v146, v8, v181
	v_add_f32_e32 v2, v2, v164
	s_clause 0x4
	buffer_load_dword v164, off, s[0:3], 0 offset:472
	buffer_load_dword v207, off, s[0:3], 0 offset:464
	;; [unrolled: 1-line block ×5, first 2 shown]
	v_add_f32_e32 v1, v1, v134
	v_add_f32_e32 v2, v2, v161
	;; [unrolled: 1-line block ×6, first 2 shown]
	v_mul_f32_e32 v5, v8, v179
	v_add_f32_e32 v6, v1, v137
	ds_read2_b64 v[1:4], v9 offset0:97 offset1:98
	v_add_f32_e32 v138, v134, v139
	v_fma_f32 v147, v7, v181, -v5
	v_add_f32_e32 v135, v6, v140
	ds_read2_b64 v[5:8], v9 offset0:99 offset1:100
	v_add_f32_e32 v138, v138, v166
	v_add_f32_e32 v139, v135, v141
	ds_read2_b64 v[134:137], v9 offset0:101 offset1:102
	v_add_f32_e32 v143, v138, v170
	v_add_f32_e32 v139, v139, v165
	s_waitcnt lgkmcnt(2)
	v_mul_f32_e32 v140, v2, v175
	v_mul_f32_e32 v150, v1, v175
	;; [unrolled: 1-line block ×3, first 2 shown]
	v_fma_f32 v153, v1, v176, -v140
	v_add_f32_e32 v1, v139, v167
	v_fmac_f32_e32 v150, v2, v176
	v_add_f32_e32 v2, v143, v194
	s_waitcnt lgkmcnt(1)
	v_mul_f32_e32 v161, v5, v169
	v_mul_f32_e32 v144, v6, v169
	v_add_f32_e32 v1, v1, v145
	ds_read2_b64 v[138:141], v9 offset0:103 offset1:104
	v_add_f32_e32 v2, v2, v180
	v_fmac_f32_e32 v161, v6, v160
	v_fma_f32 v160, v5, v160, -v144
	v_add_f32_e32 v1, v1, v10
	v_mul_f32_e32 v143, v4, v171
	v_add_f32_e32 v5, v2, v11
	v_fmac_f32_e32 v157, v4, v163
	v_add_f32_e32 v6, v1, v142
	v_fma_f32 v10, v3, v163, -v143
	ds_read2_b64 v[1:4], v9 offset0:105 offset1:106
	ds_read2_b64 v[142:145], v9 offset0:107 offset1:108
	s_waitcnt vmcnt(40)
	v_mul_f32_e32 v148, v8, v151
	s_waitcnt vmcnt(39) lgkmcnt(3)
	v_mul_f32_e32 v165, v134, v152
	v_mul_f32_e32 v11, v135, v152
	;; [unrolled: 1-line block ×3, first 2 shown]
	s_waitcnt vmcnt(38)
	v_mul_f32_e32 v166, v136, v154
	s_waitcnt vmcnt(34)
	v_fmac_f32_e32 v165, v135, v159
	v_fma_f32 v159, v134, v159, -v11
	v_add_f32_e32 v11, v6, v147
	v_add_f32_e32 v135, v5, v146
	s_waitcnt vmcnt(33)
	v_fma_f32 v163, v7, v177, -v148
	v_fmac_f32_e32 v162, v8, v177
	v_fmac_f32_e32 v166, v137, v158
	v_add_f32_e32 v11, v11, v153
	v_add_f32_e32 v134, v135, v150
	v_mul_f32_e32 v135, v137, v154
	s_waitcnt lgkmcnt(2)
	v_mul_f32_e32 v154, v138, v155
	v_mul_f32_e32 v150, v139, v155
	v_add_f32_e32 v10, v11, v10
	v_add_f32_e32 v134, v134, v157
	v_fma_f32 v158, v136, v158, -v135
	s_waitcnt vmcnt(32)
	v_mul_f32_e32 v155, v141, v172
	v_fmac_f32_e32 v154, v139, v156
	v_add_f32_e32 v160, v10, v160
	v_add_f32_e32 v161, v134, v161
	v_fma_f32 v156, v138, v156, -v150
	v_mul_f32_e32 v157, v140, v172
	ds_read2_b64 v[5:8], v9 offset0:109 offset1:110
	ds_read2_b64 v[146:149], v9 offset0:111 offset1:112
	v_add_f32_e32 v160, v160, v163
	v_add_f32_e32 v161, v161, v162
	s_waitcnt vmcnt(28)
	v_fma_f32 v155, v140, v184, -v155
	s_waitcnt vmcnt(27) lgkmcnt(3)
	v_mul_f32_e32 v167, v2, v193
	v_fmac_f32_e32 v157, v141, v184
	v_add_f32_e32 v159, v160, v159
	v_add_f32_e32 v161, v161, v165
	v_mul_f32_e32 v162, v1, v193
	v_fma_f32 v1, v1, v173, -v167
	ds_read2_b64 v[134:137], v9 offset0:113 offset1:114
	ds_read2_b64 v[150:153], v9 offset0:115 offset1:116
	v_add_f32_e32 v158, v159, v158
	v_add_f32_e32 v161, v161, v166
	s_waitcnt vmcnt(26)
	v_mul_f32_e32 v169, v4, v195
	v_mul_f32_e32 v163, v3, v195
	v_fmac_f32_e32 v162, v2, v173
	v_add_f32_e32 v156, v158, v156
	v_add_f32_e32 v154, v161, v154
	s_waitcnt vmcnt(25) lgkmcnt(4)
	v_mul_f32_e32 v165, v142, v196
	v_mul_f32_e32 v167, v143, v196
	v_fma_f32 v3, v3, v168, -v169
	v_add_f32_e32 v155, v156, v155
	v_add_f32_e32 v154, v154, v157
	v_fmac_f32_e32 v163, v4, v168
	s_waitcnt vmcnt(24)
	v_mul_f32_e32 v156, v145, v197
	v_fmac_f32_e32 v165, v143, v12
	v_add_f32_e32 v1, v155, v1
	v_add_f32_e32 v154, v154, v162
	v_fma_f32 v12, v142, v12, -v167
	v_mul_f32_e32 v160, v144, v197
	s_waitcnt vmcnt(23) lgkmcnt(3)
	v_mul_f32_e32 v142, v6, v183
	v_add_f32_e32 v1, v1, v3
	v_add_f32_e32 v3, v154, v163
	v_mul_f32_e32 v2, v5, v183
	s_waitcnt vmcnt(22)
	v_mul_f32_e32 v166, v7, v186
	s_waitcnt vmcnt(21) lgkmcnt(2)
	v_mul_f32_e32 v159, v146, v178
	v_add_f32_e32 v1, v1, v12
	v_add_f32_e32 v3, v3, v165
	v_mul_f32_e32 v12, v8, v186
	s_waitcnt vmcnt(9)
	v_fma_f32 v143, v144, v204, -v156
	v_fmac_f32_e32 v160, v145, v204
	v_fma_f32 v5, v5, v203, -v142
	v_fmac_f32_e32 v2, v6, v203
	v_mul_f32_e32 v6, v147, v178
	v_add_f32_e32 v1, v1, v143
	v_add_f32_e32 v3, v3, v160
	v_fma_f32 v7, v7, v202, -v12
	v_fmac_f32_e32 v166, v8, v202
	v_mul_f32_e32 v4, v148, v174
	v_add_f32_e32 v1, v1, v5
	v_add_f32_e32 v2, v3, v2
	v_mul_f32_e32 v3, v149, v174
	v_fma_f32 v5, v146, v190, -v6
	v_fmac_f32_e32 v159, v147, v190
	v_add_f32_e32 v1, v1, v7
	v_add_f32_e32 v2, v2, v166
	s_waitcnt lgkmcnt(1)
	v_mul_f32_e32 v6, v135, v198
	s_waitcnt vmcnt(5)
	v_fma_f32 v3, v148, v206, -v3
	ds_read2_b64 v[138:141], v9 offset0:117 offset1:118
	ds_read_b64 v[10:11], v9 offset:952
	v_add_f32_e32 v1, v1, v5
	v_mul_f32_e32 v168, v134, v198
	v_fmac_f32_e32 v4, v149, v206
	v_add_f32_e32 v2, v2, v159
	v_mul_f32_e32 v5, v137, v187
	v_fma_f32 v6, v134, v205, -v6
	v_add_f32_e32 v1, v1, v3
	v_mul_f32_e32 v158, v136, v187
	v_fmac_f32_e32 v168, v135, v205
	v_add_f32_e32 v2, v2, v4
	s_waitcnt lgkmcnt(2)
	v_mul_f32_e32 v3, v151, v188
	v_fma_f32 v4, v136, v192, -v5
	v_add_f32_e32 v1, v1, v6
	v_mul_f32_e32 v161, v150, v188
	v_fmac_f32_e32 v158, v137, v192
	v_add_f32_e32 v2, v2, v168
	v_mul_f32_e32 v5, v153, v199
	v_fma_f32 v3, v150, v191, -v3
	v_add_f32_e32 v1, v1, v4
	v_mul_f32_e32 v169, v152, v199
	v_fmac_f32_e32 v161, v151, v191
	v_add_f32_e32 v2, v2, v158
	s_waitcnt lgkmcnt(1)
	v_mul_f32_e32 v4, v139, v189
	s_waitcnt vmcnt(1)
	v_fma_f32 v5, v152, v209, -v5
	v_add_f32_e32 v1, v1, v3
	v_mul_f32_e32 v157, v138, v189
	v_fmac_f32_e32 v169, v153, v209
	v_add_f32_e32 v2, v2, v161
	v_mul_f32_e32 v3, v141, v200
	v_fma_f32 v4, v138, v208, -v4
	v_add_f32_e32 v1, v1, v5
	v_mul_f32_e32 v170, v140, v200
	v_fmac_f32_e32 v157, v139, v208
	v_add_f32_e32 v2, v2, v169
	s_waitcnt lgkmcnt(0)
	v_mul_f32_e32 v5, v11, v201
	v_fma_f32 v3, v140, v207, -v3
	v_add_f32_e32 v1, v1, v4
	v_mul_f32_e32 v155, v10, v201
	v_fmac_f32_e32 v170, v141, v207
	v_add_f32_e32 v2, v2, v157
	v_fma_f32 v4, v10, v164, -v5
	v_add_f32_e32 v1, v1, v3
	v_fmac_f32_e32 v155, v11, v164
	v_add_f32_e32 v2, v2, v170
	v_add_f32_e32 v1, v1, v4
	;; [unrolled: 1-line block ×3, first 2 shown]
	s_waitcnt vmcnt(0)
	v_sub_f32_e32 v1, v210, v1
	v_sub_f32_e32 v2, v185, v2
	buffer_store_dword v1, off, s[0:3], 0 offset:96
	buffer_store_dword v2, off, s[0:3], 0 offset:100
	v_cmpx_lt_u32_e32 11, v0
	s_cbranch_execz .LBB59_351
; %bb.350:
	s_clause 0x1
	buffer_load_dword v1, off, s[0:3], 0 offset:88
	buffer_load_dword v2, off, s[0:3], 0 offset:92
	buffer_store_dword v9, off, s[0:3], 0 offset:88
	buffer_store_dword v9, off, s[0:3], 0 offset:92
	s_waitcnt vmcnt(0)
	ds_write_b64 v133, v[1:2]
.LBB59_351:
	s_or_b32 exec_lo, exec_lo, s4
	s_waitcnt lgkmcnt(0)
	s_waitcnt_vscnt null, 0x0
	s_barrier
	buffer_gl0_inv
	s_clause 0x33
	buffer_load_dword v168, off, s[0:3], 0 offset:100
	buffer_load_dword v169, off, s[0:3], 0 offset:108
	;; [unrolled: 1-line block ×52, first 2 shown]
	ds_read_b128 v[177:180], v9 offset:576
	ds_read_b128 v[181:184], v9 offset:592
	;; [unrolled: 1-line block ×3, first 2 shown]
	s_clause 0x1
	buffer_load_dword v174, off, s[0:3], 0 offset:292
	buffer_load_dword v175, off, s[0:3], 0 offset:300
	ds_read_b128 v[189:192], v9 offset:624
	s_mov_b32 s4, exec_lo
	s_waitcnt vmcnt(53) lgkmcnt(3)
	v_mul_f32_e32 v193, v177, v168
	v_mul_f32_e32 v194, v178, v168
	s_waitcnt vmcnt(52)
	v_mul_f32_e32 v195, v179, v169
	v_mul_f32_e32 v169, v180, v169
	buffer_load_dword v168, off, s[0:3], 0 offset:92
	s_waitcnt vmcnt(50)
	v_fmac_f32_e32 v193, v178, v7
	v_fma_f32 v194, v177, v7, -v194
	v_fmac_f32_e32 v195, v180, v5
	v_fma_f32 v169, v179, v5, -v169
	ds_read_b128 v[177:180], v9 offset:640
	s_waitcnt vmcnt(49) lgkmcnt(3)
	v_mul_f32_e32 v196, v181, v2
	s_waitcnt vmcnt(48)
	v_mul_f32_e32 v197, v183, v3
	v_mul_f32_e32 v2, v182, v2
	;; [unrolled: 1-line block ×3, first 2 shown]
	s_waitcnt vmcnt(47) lgkmcnt(2)
	v_mul_f32_e32 v198, v185, v6
	v_mul_f32_e32 v5, v186, v6
	v_fmac_f32_e32 v196, v182, v1
	v_fma_f32 v199, v181, v1, -v2
	s_waitcnt vmcnt(46)
	v_mul_f32_e32 v200, v187, v4
	v_mul_f32_e32 v6, v188, v4
	s_waitcnt vmcnt(42)
	v_fma_f32 v201, v183, v135, -v3
	ds_read_b128 v[1:4], v9 offset:656
	v_fmac_f32_e32 v197, v184, v135
	v_fmac_f32_e32 v198, v186, v134
	v_fma_f32 v185, v185, v134, -v5
	v_fmac_f32_e32 v200, v188, v11
	v_fma_f32 v11, v187, v11, -v6
	ds_read_b128 v[181:184], v9 offset:672
	s_waitcnt vmcnt(41) lgkmcnt(3)
	v_mul_f32_e32 v186, v189, v12
	v_mul_f32_e32 v5, v190, v12
	s_waitcnt vmcnt(40)
	v_mul_f32_e32 v12, v191, v10
	v_mul_f32_e32 v6, v192, v10
	s_waitcnt vmcnt(39) lgkmcnt(2)
	v_mul_f32_e32 v10, v177, v136
	v_fmac_f32_e32 v186, v190, v8
	v_fma_f32 v187, v189, v8, -v5
	v_mul_f32_e32 v134, v178, v136
	s_waitcnt vmcnt(38)
	v_mul_f32_e32 v135, v180, v137
	s_waitcnt vmcnt(34)
	v_fmac_f32_e32 v12, v192, v143
	v_fma_f32 v143, v191, v143, -v6
	ds_read_b128 v[5:8], v9 offset:688
	v_mul_f32_e32 v188, v179, v137
	v_fmac_f32_e32 v10, v178, v142
	v_fma_f32 v142, v177, v142, -v134
	v_fma_f32 v177, v179, v140, -v135
	ds_read_b128 v[134:137], v9 offset:704
	v_fmac_f32_e32 v188, v180, v140
	s_waitcnt vmcnt(33) lgkmcnt(3)
	v_mul_f32_e32 v178, v1, v141
	v_mul_f32_e32 v140, v2, v141
	s_waitcnt vmcnt(32)
	v_mul_f32_e32 v179, v3, v139
	v_mul_f32_e32 v139, v4, v139
	s_waitcnt vmcnt(31) lgkmcnt(2)
	v_mul_f32_e32 v180, v181, v144
	v_fmac_f32_e32 v178, v2, v138
	v_fma_f32 v189, v1, v138, -v140
	v_mul_f32_e32 v138, v182, v144
	s_waitcnt vmcnt(30)
	v_mul_f32_e32 v190, v183, v145
	v_mul_f32_e32 v140, v184, v145
	s_waitcnt vmcnt(26)
	v_fmac_f32_e32 v179, v4, v151
	v_fma_f32 v144, v3, v151, -v139
	ds_read_b128 v[1:4], v9 offset:720
	v_fmac_f32_e32 v180, v182, v150
	v_fma_f32 v145, v181, v150, -v138
	s_waitcnt vmcnt(25) lgkmcnt(2)
	v_mul_f32_e32 v150, v5, v149
	v_fmac_f32_e32 v190, v184, v148
	v_fma_f32 v148, v183, v148, -v140
	ds_read_b128 v[138:141], v9 offset:736
	v_mul_f32_e32 v149, v6, v149
	s_waitcnt vmcnt(24)
	v_mul_f32_e32 v151, v7, v147
	v_mul_f32_e32 v147, v8, v147
	s_waitcnt vmcnt(23) lgkmcnt(2)
	v_mul_f32_e32 v181, v134, v152
	v_fmac_f32_e32 v150, v6, v146
	v_mul_f32_e32 v6, v135, v152
	v_fma_f32 v5, v5, v146, -v149
	s_waitcnt vmcnt(22)
	v_mul_f32_e32 v146, v136, v153
	v_mul_f32_e32 v149, v137, v153
	s_waitcnt vmcnt(18)
	v_fmac_f32_e32 v151, v8, v160
	v_fma_f32 v7, v7, v160, -v147
	v_fmac_f32_e32 v181, v135, v159
	v_fma_f32 v6, v134, v159, -v6
	s_clause 0x5
	buffer_load_dword v147, off, s[0:3], 0 offset:316
	buffer_load_dword v152, off, s[0:3], 0 offset:320
	;; [unrolled: 1-line block ×6, first 2 shown]
	v_fma_f32 v134, v136, v155, -v149
	s_waitcnt vmcnt(23) lgkmcnt(1)
	v_mul_f32_e32 v135, v1, v156
	s_waitcnt vmcnt(22)
	v_mul_f32_e32 v149, v3, v157
	v_mul_f32_e32 v8, v2, v156
	;; [unrolled: 1-line block ×3, first 2 shown]
	v_fmac_f32_e32 v146, v137, v155
	v_fmac_f32_e32 v135, v2, v154
	s_waitcnt vmcnt(18)
	v_fmac_f32_e32 v149, v4, v167
	v_fma_f32 v137, v1, v154, -v8
	v_fma_f32 v154, v3, v167, -v136
	s_waitcnt vmcnt(17) lgkmcnt(0)
	v_mul_f32_e32 v167, v138, v165
	v_mul_f32_e32 v8, v139, v165
	s_clause 0x1
	buffer_load_dword v155, off, s[0:3], 0 offset:332
	buffer_load_dword v156, off, s[0:3], 0 offset:340
	ds_read_b128 v[1:4], v9 offset:752
	buffer_load_dword v157, off, s[0:3], 0 offset:348
	s_waitcnt vmcnt(19)
	v_mul_f32_e32 v183, v140, v166
	v_mul_f32_e32 v136, v141, v166
	v_fmac_f32_e32 v167, v139, v164
	v_fma_f32 v138, v138, v164, -v8
	s_clause 0x5
	buffer_load_dword v164, off, s[0:3], 0 offset:368
	buffer_load_dword v165, off, s[0:3], 0 offset:360
	;; [unrolled: 1-line block ×6, first 2 shown]
	v_fmac_f32_e32 v183, v141, v163
	v_fma_f32 v163, v140, v163, -v136
	v_add_f32_e32 v8, 0, v193
	v_add_f32_e32 v136, 0, v194
	;; [unrolled: 1-line block ×4, first 2 shown]
	buffer_load_dword v169, off, s[0:3], 0 offset:372
	s_waitcnt vmcnt(25) lgkmcnt(0)
	v_mul_f32_e32 v139, v2, v162
	v_add_f32_e32 v8, v8, v196
	v_add_f32_e32 v136, v136, v199
	s_waitcnt vmcnt(24)
	v_mul_f32_e32 v140, v4, v161
	s_clause 0x3
	buffer_load_dword v193, off, s[0:3], 0 offset:380
	buffer_load_dword v194, off, s[0:3], 0 offset:388
	;; [unrolled: 1-line block ×4, first 2 shown]
	v_add_f32_e32 v8, v8, v197
	v_add_f32_e32 v136, v136, v201
	v_mul_f32_e32 v197, v1, v162
	v_mul_f32_e32 v162, v3, v161
	v_add_f32_e32 v8, v8, v198
	v_add_f32_e32 v136, v136, v185
	v_fmac_f32_e32 v197, v2, v158
	v_fma_f32 v158, v1, v158, -v139
	s_clause 0x3
	buffer_load_dword v161, off, s[0:3], 0 offset:412
	buffer_load_dword v185, off, s[0:3], 0 offset:420
	;; [unrolled: 1-line block ×4, first 2 shown]
	v_add_f32_e32 v1, v8, v200
	v_add_f32_e32 v2, v136, v11
	s_waitcnt vmcnt(27)
	v_fmac_f32_e32 v162, v4, v176
	v_fma_f32 v11, v3, v176, -v140
	s_clause 0x1
	buffer_load_dword v176, off, s[0:3], 0 offset:444
	buffer_load_dword v200, off, s[0:3], 0 offset:452
	v_add_f32_e32 v1, v1, v186
	v_add_f32_e32 v2, v2, v187
	s_clause 0x6
	buffer_load_dword v186, off, s[0:3], 0 offset:460
	buffer_load_dword v187, off, s[0:3], 0 offset:468
	;; [unrolled: 1-line block ×7, first 2 shown]
	v_add_f32_e32 v1, v1, v12
	v_add_f32_e32 v2, v2, v143
	;; [unrolled: 1-line block ×6, first 2 shown]
	s_clause 0x3
	buffer_load_dword v177, off, s[0:3], 0 offset:432
	buffer_load_dword v188, off, s[0:3], 0 offset:424
	;; [unrolled: 1-line block ×4, first 2 shown]
	v_add_f32_e32 v1, v1, v178
	v_add_f32_e32 v2, v2, v189
	v_add_f32_e32 v1, v1, v179
	s_clause 0x4
	buffer_load_dword v178, off, s[0:3], 0 offset:464
	buffer_load_dword v179, off, s[0:3], 0 offset:456
	;; [unrolled: 1-line block ×5, first 2 shown]
	v_add_f32_e32 v2, v2, v144
	v_add_f32_e32 v1, v1, v180
	buffer_load_dword v180, off, s[0:3], 0 offset:472
	v_add_f32_e32 v2, v2, v145
	v_add_f32_e32 v1, v1, v190
	;; [unrolled: 1-line block ×5, first 2 shown]
	ds_read_b128 v[1:4], v9 offset:768
	v_add_f32_e32 v5, v5, v7
	v_add_f32_e32 v7, v8, v151
	v_add_f32_e32 v10, v5, v6
	v_add_f32_e32 v12, v7, v181
	ds_read_b128 v[5:8], v9 offset:784
	v_add_f32_e32 v10, v10, v134
	v_add_f32_e32 v12, v12, v146
	;; [unrolled: 1-line block ×4, first 2 shown]
	s_waitcnt vmcnt(44) lgkmcnt(1)
	v_mul_f32_e32 v150, v3, v175
	v_mul_f32_e32 v136, v4, v175
	;; [unrolled: 1-line block ×3, first 2 shown]
	v_add_f32_e32 v10, v10, v154
	v_add_f32_e32 v12, v12, v149
	v_mul_f32_e32 v134, v2, v174
	v_fmac_f32_e32 v150, v4, v172
	v_fma_f32 v151, v3, v172, -v136
	v_add_f32_e32 v10, v10, v138
	v_add_f32_e32 v12, v12, v167
	s_waitcnt lgkmcnt(0)
	v_mul_f32_e32 v154, v5, v171
	v_mul_f32_e32 v139, v6, v171
	v_fmac_f32_e32 v148, v2, v173
	v_fma_f32 v146, v1, v173, -v134
	ds_read_b128 v[1:4], v9 offset:800
	ds_read_b128 v[134:137], v9 offset:816
	v_add_f32_e32 v10, v10, v163
	v_fmac_f32_e32 v154, v6, v170
	v_fma_f32 v170, v5, v170, -v139
	v_add_f32_e32 v12, v12, v183
	v_add_f32_e32 v10, v10, v158
	;; [unrolled: 1-line block ×9, first 2 shown]
	s_waitcnt vmcnt(42)
	v_mul_f32_e32 v172, v7, v147
	v_mul_f32_e32 v140, v8, v147
	s_waitcnt vmcnt(40) lgkmcnt(1)
	v_mul_f32_e32 v163, v1, v153
	v_mul_f32_e32 v142, v2, v153
	s_waitcnt vmcnt(37)
	v_fmac_f32_e32 v172, v8, v182
	v_fma_f32 v171, v7, v182, -v140
	ds_read_b128 v[5:8], v9 offset:832
	ds_read_b128 v[138:141], v9 offset:848
	v_fmac_f32_e32 v163, v2, v152
	v_fma_f32 v152, v1, v152, -v142
	s_waitcnt vmcnt(36)
	v_mul_f32_e32 v153, v3, v155
	v_mul_f32_e32 v143, v4, v155
	s_waitcnt vmcnt(35) lgkmcnt(2)
	v_mul_f32_e32 v155, v134, v156
	v_mul_f32_e32 v147, v135, v156
	s_waitcnt vmcnt(34)
	v_mul_f32_e32 v12, v137, v157
	v_mul_f32_e32 v158, v136, v157
	v_fmac_f32_e32 v153, v4, v160
	v_fmac_f32_e32 v155, v135, v159
	v_fma_f32 v157, v134, v159, -v147
	s_waitcnt vmcnt(29) lgkmcnt(1)
	v_mul_f32_e32 v151, v5, v191
	v_fma_f32 v159, v136, v184, -v12
	v_mul_f32_e32 v12, v6, v191
	v_fma_f32 v156, v3, v160, -v143
	s_waitcnt vmcnt(28)
	v_mul_f32_e32 v150, v7, v192
	v_fmac_f32_e32 v151, v6, v166
	v_add_f32_e32 v6, v10, v170
	v_mul_f32_e32 v160, v8, v192
	v_add_f32_e32 v10, v11, v154
	v_fmac_f32_e32 v150, v8, v165
	ds_read_b128 v[1:4], v9 offset:864
	ds_read_b128 v[142:145], v9 offset:880
	v_add_f32_e32 v162, v6, v171
	v_fma_f32 v160, v7, v165, -v160
	v_add_f32_e32 v165, v10, v172
	v_fmac_f32_e32 v158, v137, v184
	v_fma_f32 v154, v5, v166, -v12
	v_add_f32_e32 v152, v162, v152
	s_waitcnt vmcnt(27) lgkmcnt(2)
	v_mul_f32_e32 v162, v139, v169
	v_add_f32_e32 v163, v165, v163
	v_mul_f32_e32 v166, v138, v169
	s_waitcnt vmcnt(26)
	v_mul_f32_e32 v167, v141, v193
	v_add_f32_e32 v152, v152, v156
	v_fma_f32 v138, v138, v164, -v162
	v_add_f32_e32 v153, v163, v153
	v_mul_f32_e32 v165, v140, v193
	v_fmac_f32_e32 v166, v139, v164
	v_add_f32_e32 v152, v152, v157
	ds_read_b128 v[134:137], v9 offset:896
	ds_read_b128 v[146:149], v9 offset:912
	v_add_f32_e32 v153, v153, v155
	s_waitcnt vmcnt(25) lgkmcnt(3)
	v_mul_f32_e32 v156, v1, v194
	s_waitcnt vmcnt(24)
	v_mul_f32_e32 v163, v3, v195
	v_add_f32_e32 v152, v152, v159
	s_waitcnt vmcnt(23) lgkmcnt(2)
	v_mul_f32_e32 v169, v142, v196
	v_add_f32_e32 v153, v153, v158
	s_waitcnt vmcnt(22)
	v_mul_f32_e32 v157, v144, v161
	s_waitcnt vmcnt(12)
	v_fmac_f32_e32 v163, v4, v203
	v_add_f32_e32 v152, v152, v154
	s_waitcnt vmcnt(10)
	v_fma_f32 v140, v140, v205, -v167
	v_add_f32_e32 v151, v153, v151
	v_fmac_f32_e32 v165, v141, v205
	v_fmac_f32_e32 v156, v2, v204
	v_add_f32_e32 v152, v152, v160
	v_fmac_f32_e32 v169, v143, v202
	v_add_f32_e32 v150, v151, v150
	v_mul_f32_e32 v151, v2, v194
	ds_read_b128 v[5:8], v9 offset:928
	ds_read_b128 v[9:12], v9 offset:944
	v_add_f32_e32 v138, v152, v138
	s_waitcnt lgkmcnt(3)
	v_mul_f32_e32 v155, v134, v185
	v_add_f32_e32 v141, v150, v166
	v_mul_f32_e32 v150, v4, v195
	v_fma_f32 v1, v1, v204, -v151
	v_add_f32_e32 v2, v138, v140
	v_mul_f32_e32 v140, v143, v196
	v_add_f32_e32 v138, v141, v165
	v_fma_f32 v3, v3, v203, -v150
	v_mul_f32_e32 v4, v145, v161
	v_add_f32_e32 v1, v2, v1
	s_waitcnt vmcnt(6)
	v_fmac_f32_e32 v157, v145, v207
	v_add_f32_e32 v2, v138, v156
	v_fma_f32 v138, v142, v202, -v140
	v_fma_f32 v4, v144, v207, -v4
	v_add_f32_e32 v1, v1, v3
	v_mul_f32_e32 v3, v135, v185
	v_add_f32_e32 v2, v2, v163
	v_mul_f32_e32 v170, v136, v198
	v_fmac_f32_e32 v155, v135, v206
	v_add_f32_e32 v1, v1, v138
	v_mul_f32_e32 v138, v137, v198
	v_add_f32_e32 v2, v2, v169
	v_fma_f32 v3, v134, v206, -v3
	s_waitcnt lgkmcnt(2)
	v_mul_f32_e32 v159, v146, v199
	v_add_f32_e32 v1, v1, v4
	v_mul_f32_e32 v4, v147, v199
	v_add_f32_e32 v2, v2, v157
	v_fma_f32 v134, v136, v188, -v138
	v_fmac_f32_e32 v170, v137, v188
	v_add_f32_e32 v1, v1, v3
	v_mul_f32_e32 v3, v149, v176
	v_add_f32_e32 v2, v2, v155
	v_fma_f32 v4, v146, v177, -v4
	v_mul_f32_e32 v158, v148, v176
	v_add_f32_e32 v1, v1, v134
	v_fmac_f32_e32 v159, v147, v177
	v_add_f32_e32 v2, v2, v170
	s_waitcnt lgkmcnt(1)
	v_mul_f32_e32 v134, v6, v200
	s_waitcnt vmcnt(2)
	v_fma_f32 v3, v148, v208, -v3
	v_add_f32_e32 v1, v1, v4
	v_mul_f32_e32 v171, v5, v200
	v_fmac_f32_e32 v158, v149, v208
	v_add_f32_e32 v2, v2, v159
	v_mul_f32_e32 v4, v8, v186
	v_fma_f32 v5, v5, v189, -v134
	v_add_f32_e32 v1, v1, v3
	v_mul_f32_e32 v154, v7, v186
	v_fmac_f32_e32 v171, v6, v189
	v_add_f32_e32 v2, v2, v158
	s_waitcnt lgkmcnt(0)
	v_mul_f32_e32 v3, v10, v187
	v_fma_f32 v4, v7, v179, -v4
	v_add_f32_e32 v1, v1, v5
	v_mul_f32_e32 v153, v9, v187
	v_fmac_f32_e32 v154, v8, v179
	v_add_f32_e32 v2, v2, v171
	v_mul_f32_e32 v5, v12, v201
	v_fma_f32 v3, v9, v178, -v3
	v_add_f32_e32 v1, v1, v4
	v_mul_f32_e32 v139, v11, v201
	v_fmac_f32_e32 v153, v10, v178
	v_add_f32_e32 v2, v2, v154
	s_waitcnt vmcnt(0)
	v_fma_f32 v4, v11, v180, -v5
	v_add_f32_e32 v1, v1, v3
	v_fmac_f32_e32 v139, v12, v180
	v_add_f32_e32 v2, v2, v153
	v_add_f32_e32 v1, v1, v4
	;; [unrolled: 1-line block ×3, first 2 shown]
	v_sub_f32_e32 v1, v209, v1
	v_sub_f32_e32 v2, v168, v2
	buffer_store_dword v1, off, s[0:3], 0 offset:88
	buffer_store_dword v2, off, s[0:3], 0 offset:92
	v_cmpx_lt_u32_e32 10, v0
	s_cbranch_execz .LBB59_353
; %bb.352:
	s_clause 0x1
	buffer_load_dword v1, off, s[0:3], 0 offset:80
	buffer_load_dword v2, off, s[0:3], 0 offset:84
	v_mov_b32_e32 v3, 0
	buffer_store_dword v3, off, s[0:3], 0 offset:80
	buffer_store_dword v3, off, s[0:3], 0 offset:84
	s_waitcnt vmcnt(0)
	ds_write_b64 v133, v[1:2]
.LBB59_353:
	s_or_b32 exec_lo, exec_lo, s4
	s_waitcnt lgkmcnt(0)
	s_waitcnt_vscnt null, 0x0
	s_barrier
	buffer_gl0_inv
	s_clause 0x33
	buffer_load_dword v11, off, s[0:3], 0 offset:92
	buffer_load_dword v12, off, s[0:3], 0 offset:100
	;; [unrolled: 1-line block ×52, first 2 shown]
	v_mov_b32_e32 v9, 0
	ds_read2_b64 v[5:8], v9 offset0:71 offset1:72
	ds_read2_b64 v[1:4], v9 offset0:73 offset1:74
	;; [unrolled: 1-line block ×3, first 2 shown]
	s_clause 0x2
	buffer_load_dword v183, off, s[0:3], 0 offset:284
	buffer_load_dword v184, off, s[0:3], 0 offset:292
	;; [unrolled: 1-line block ×3, first 2 shown]
	ds_read2_b64 v[190:193], v9 offset0:77 offset1:78
	s_mov_b32 s4, exec_lo
	s_waitcnt vmcnt(54) lgkmcnt(3)
	v_mul_f32_e32 v194, v5, v11
	s_waitcnt vmcnt(53)
	v_mul_f32_e32 v195, v7, v12
	v_mul_f32_e32 v11, v6, v11
	;; [unrolled: 1-line block ×3, first 2 shown]
	s_waitcnt vmcnt(50)
	v_fmac_f32_e32 v194, v6, v139
	v_fmac_f32_e32 v195, v8, v137
	v_fma_f32 v11, v5, v139, -v11
	v_fma_f32 v12, v7, v137, -v12
	ds_read2_b64 v[5:8], v9 offset0:79 offset1:80
	s_waitcnt vmcnt(49) lgkmcnt(3)
	v_mul_f32_e32 v196, v1, v134
	s_waitcnt vmcnt(48)
	v_mul_f32_e32 v197, v3, v135
	v_mul_f32_e32 v134, v2, v134
	;; [unrolled: 1-line block ×3, first 2 shown]
	s_waitcnt vmcnt(47) lgkmcnt(2)
	v_mul_f32_e32 v198, v186, v138
	v_mul_f32_e32 v137, v187, v138
	v_fmac_f32_e32 v196, v2, v10
	v_fma_f32 v10, v1, v10, -v134
	s_waitcnt vmcnt(46)
	v_mul_f32_e32 v199, v188, v136
	v_mul_f32_e32 v134, v189, v136
	s_waitcnt vmcnt(42)
	v_fmac_f32_e32 v197, v4, v145
	v_fma_f32 v145, v3, v145, -v135
	ds_read2_b64 v[1:4], v9 offset0:81 offset1:82
	v_fmac_f32_e32 v198, v187, v144
	v_fma_f32 v144, v186, v144, -v137
	v_fmac_f32_e32 v199, v189, v142
	v_fma_f32 v142, v188, v142, -v134
	ds_read2_b64 v[134:137], v9 offset0:83 offset1:84
	s_waitcnt vmcnt(41) lgkmcnt(3)
	v_mul_f32_e32 v186, v190, v143
	v_mul_f32_e32 v138, v191, v143
	s_waitcnt vmcnt(40)
	v_mul_f32_e32 v143, v192, v141
	v_mul_f32_e32 v139, v193, v141
	s_waitcnt vmcnt(39) lgkmcnt(2)
	v_mul_f32_e32 v187, v5, v146
	v_fmac_f32_e32 v186, v191, v140
	v_fma_f32 v188, v190, v140, -v138
	s_waitcnt vmcnt(38)
	v_mul_f32_e32 v189, v7, v147
	v_mul_f32_e32 v146, v6, v146
	v_mul_f32_e32 v147, v8, v147
	s_waitcnt vmcnt(34)
	v_fmac_f32_e32 v143, v193, v153
	v_fma_f32 v153, v192, v153, -v139
	ds_read2_b64 v[138:141], v9 offset0:85 offset1:86
	v_fmac_f32_e32 v187, v6, v152
	v_fmac_f32_e32 v189, v8, v150
	v_fma_f32 v146, v5, v152, -v146
	v_fma_f32 v147, v7, v150, -v147
	ds_read2_b64 v[5:8], v9 offset0:87 offset1:88
	s_waitcnt vmcnt(33) lgkmcnt(3)
	v_mul_f32_e32 v150, v1, v151
	v_mul_f32_e32 v151, v2, v151
	s_waitcnt vmcnt(32)
	v_mul_f32_e32 v152, v3, v149
	v_mul_f32_e32 v149, v4, v149
	s_waitcnt vmcnt(31) lgkmcnt(2)
	v_mul_f32_e32 v190, v134, v154
	v_fmac_f32_e32 v150, v2, v148
	v_fma_f32 v148, v1, v148, -v151
	s_waitcnt vmcnt(30)
	v_mul_f32_e32 v151, v136, v155
	v_mul_f32_e32 v155, v137, v155
	;; [unrolled: 1-line block ×3, first 2 shown]
	s_waitcnt vmcnt(26)
	v_fmac_f32_e32 v152, v4, v162
	v_fma_f32 v149, v3, v162, -v149
	v_fmac_f32_e32 v151, v137, v159
	v_fma_f32 v155, v136, v159, -v155
	s_waitcnt vmcnt(25) lgkmcnt(1)
	v_mul_f32_e32 v159, v138, v160
	v_mul_f32_e32 v160, v139, v160
	ds_read2_b64 v[1:4], v9 offset0:89 offset1:90
	v_fmac_f32_e32 v190, v135, v161
	v_fma_f32 v154, v134, v161, -v154
	s_waitcnt vmcnt(24)
	v_mul_f32_e32 v161, v140, v158
	v_mul_f32_e32 v158, v141, v158
	s_waitcnt vmcnt(23) lgkmcnt(1)
	v_mul_f32_e32 v162, v5, v163
	v_fmac_f32_e32 v159, v139, v156
	v_fma_f32 v138, v138, v156, -v160
	v_mul_f32_e32 v156, v6, v163
	ds_read2_b64 v[134:137], v9 offset0:91 offset1:92
	s_waitcnt vmcnt(22)
	v_mul_f32_e32 v139, v7, v165
	v_mul_f32_e32 v160, v8, v165
	s_waitcnt vmcnt(18)
	v_fmac_f32_e32 v161, v141, v173
	v_fma_f32 v140, v140, v173, -v158
	v_fmac_f32_e32 v162, v6, v172
	v_fma_f32 v5, v5, v172, -v156
	s_clause 0x5
	buffer_load_dword v141, off, s[0:3], 0 offset:308
	buffer_load_dword v156, off, s[0:3], 0 offset:312
	;; [unrolled: 1-line block ×6, first 2 shown]
	v_fmac_f32_e32 v139, v8, v171
	v_fma_f32 v6, v7, v171, -v160
	s_clause 0x1
	buffer_load_dword v160, off, s[0:3], 0 offset:324
	buffer_load_dword v171, off, s[0:3], 0 offset:332
	s_waitcnt vmcnt(25) lgkmcnt(1)
	v_mul_f32_e32 v173, v1, v169
	s_waitcnt vmcnt(24)
	v_mul_f32_e32 v191, v3, v170
	v_mul_f32_e32 v7, v2, v169
	v_mul_f32_e32 v8, v4, v170
	buffer_load_dword v169, off, s[0:3], 0 offset:340
	v_fmac_f32_e32 v173, v2, v167
	s_waitcnt vmcnt(21)
	v_fmac_f32_e32 v191, v4, v181
	v_fma_f32 v167, v1, v167, -v7
	v_fma_f32 v170, v3, v181, -v8
	ds_read2_b64 v[1:4], v9 offset0:93 offset1:94
	s_waitcnt vmcnt(20) lgkmcnt(1)
	v_mul_f32_e32 v181, v134, v179
	s_waitcnt vmcnt(19)
	v_mul_f32_e32 v192, v136, v180
	v_mul_f32_e32 v7, v135, v179
	;; [unrolled: 1-line block ×3, first 2 shown]
	s_clause 0x4
	buffer_load_dword v179, off, s[0:3], 0 offset:360
	buffer_load_dword v180, off, s[0:3], 0 offset:352
	;; [unrolled: 1-line block ×5, first 2 shown]
	v_fmac_f32_e32 v181, v135, v178
	v_fmac_f32_e32 v192, v137, v177
	v_fma_f32 v178, v134, v178, -v7
	v_add_f32_e32 v7, 0, v194
	v_fma_f32 v177, v136, v177, -v8
	buffer_load_dword v194, off, s[0:3], 0 offset:356
	v_add_f32_e32 v8, 0, v11
	v_add_f32_e32 v7, v7, v195
	buffer_load_dword v195, off, s[0:3], 0 offset:364
	v_add_f32_e32 v8, v8, v12
	v_add_f32_e32 v7, v7, v196
	s_waitcnt vmcnt(25) lgkmcnt(0)
	v_mul_f32_e32 v11, v1, v176
	v_mul_f32_e32 v12, v2, v176
	s_waitcnt vmcnt(24)
	v_mul_f32_e32 v176, v3, v175
	v_mul_f32_e32 v134, v4, v175
	v_fmac_f32_e32 v11, v2, v174
	v_add_f32_e32 v2, v7, v197
	v_fma_f32 v12, v1, v174, -v12
	s_clause 0x2
	buffer_load_dword v174, off, s[0:3], 0 offset:372
	buffer_load_dword v175, off, s[0:3], 0 offset:380
	;; [unrolled: 1-line block ×3, first 2 shown]
	v_add_f32_e32 v1, v8, v10
	buffer_load_dword v197, off, s[0:3], 0 offset:404
	v_add_f32_e32 v2, v2, v198
	s_waitcnt vmcnt(23)
	v_fmac_f32_e32 v176, v4, v182
	v_fma_f32 v10, v3, v182, -v134
	s_clause 0x5
	buffer_load_dword v182, off, s[0:3], 0 offset:396
	buffer_load_dword v198, off, s[0:3], 0 offset:392
	buffer_load_dword v202, off, s[0:3], 0 offset:384
	buffer_load_dword v203, off, s[0:3], 0 offset:376
	buffer_load_dword v204, off, s[0:3], 0 offset:368
	buffer_load_dword v205, off, s[0:3], 0 offset:412
	v_add_f32_e32 v1, v1, v145
	v_add_f32_e32 v2, v2, v199
	s_clause 0x1
	buffer_load_dword v199, off, s[0:3], 0 offset:420
	buffer_load_dword v206, off, s[0:3], 0 offset:428
	v_add_f32_e32 v1, v1, v144
	v_add_f32_e32 v2, v2, v186
	;; [unrolled: 1-line block ×6, first 2 shown]
	s_clause 0x5
	buffer_load_dword v186, off, s[0:3], 0 offset:436
	buffer_load_dword v188, off, s[0:3], 0 offset:444
	;; [unrolled: 1-line block ×6, first 2 shown]
	v_add_f32_e32 v2, v2, v189
	s_clause 0x3
	buffer_load_dword v189, off, s[0:3], 0 offset:424
	buffer_load_dword v210, off, s[0:3], 0 offset:416
	;; [unrolled: 1-line block ×4, first 2 shown]
	v_add_f32_e32 v1, v1, v153
	v_add_f32_e32 v2, v2, v150
	;; [unrolled: 1-line block ×6, first 2 shown]
	s_clause 0x3
	buffer_load_dword v190, off, s[0:3], 0 offset:456
	buffer_load_dword v213, off, s[0:3], 0 offset:448
	;; [unrolled: 1-line block ×4, first 2 shown]
	v_add_f32_e32 v1, v1, v148
	v_add_f32_e32 v2, v2, v151
	;; [unrolled: 1-line block ×5, first 2 shown]
	s_clause 0x1
	buffer_load_dword v154, off, s[0:3], 0 offset:472
	buffer_load_dword v216, off, s[0:3], 0 offset:464
	v_add_f32_e32 v7, v2, v161
	v_add_f32_e32 v1, v1, v155
	buffer_load_dword v155, off, s[0:3], 0 offset:80
	v_add_f32_e32 v7, v7, v162
	v_add_f32_e32 v1, v1, v138
	;; [unrolled: 1-line block ×4, first 2 shown]
	ds_read2_b64 v[1:4], v9 offset0:95 offset1:96
	v_add_f32_e32 v134, v134, v173
	v_add_f32_e32 v5, v8, v5
	;; [unrolled: 1-line block ×4, first 2 shown]
	ds_read2_b64 v[5:8], v9 offset0:97 offset1:98
	v_add_f32_e32 v138, v138, v181
	v_add_f32_e32 v135, v135, v167
	;; [unrolled: 1-line block ×4, first 2 shown]
	s_waitcnt vmcnt(47) lgkmcnt(1)
	v_mul_f32_e32 v142, v1, v183
	s_waitcnt vmcnt(46)
	v_mul_f32_e32 v146, v3, v184
	v_mul_f32_e32 v136, v2, v183
	;; [unrolled: 1-line block ×3, first 2 shown]
	v_add_f32_e32 v139, v139, v178
	v_fmac_f32_e32 v142, v2, v168
	v_fmac_f32_e32 v146, v4, v166
	v_fma_f32 v143, v1, v168, -v136
	v_fma_f32 v147, v3, v166, -v137
	v_add_f32_e32 v145, v139, v177
	ds_read2_b64 v[1:4], v9 offset0:99 offset1:100
	ds_read2_b64 v[134:137], v9 offset0:101 offset1:102
	s_waitcnt lgkmcnt(2)
	v_mul_f32_e32 v150, v5, v164
	v_mul_f32_e32 v140, v6, v164
	v_add_f32_e32 v12, v145, v12
	v_add_f32_e32 v11, v144, v11
	v_fmac_f32_e32 v150, v6, v157
	v_fma_f32 v152, v5, v157, -v140
	v_add_f32_e32 v10, v12, v10
	v_add_f32_e32 v11, v11, v176
	;; [unrolled: 1-line block ×8, first 2 shown]
	s_waitcnt vmcnt(44)
	v_mul_f32_e32 v151, v7, v141
	v_mul_f32_e32 v141, v8, v141
	s_waitcnt vmcnt(42) lgkmcnt(1)
	v_mul_f32_e32 v157, v1, v158
	v_mul_f32_e32 v144, v2, v158
	s_waitcnt vmcnt(39)
	v_fmac_f32_e32 v151, v8, v172
	v_fma_f32 v153, v7, v172, -v141
	ds_read2_b64 v[5:8], v9 offset0:103 offset1:104
	ds_read2_b64 v[138:141], v9 offset0:105 offset1:106
	s_waitcnt vmcnt(37) lgkmcnt(2)
	v_mul_f32_e32 v159, v134, v171
	v_mul_f32_e32 v148, v135, v171
	;; [unrolled: 1-line block ×3, first 2 shown]
	v_fmac_f32_e32 v157, v2, v156
	v_fma_f32 v156, v1, v156, -v144
	v_fmac_f32_e32 v159, v135, v163
	v_fma_f32 v161, v134, v163, -v148
	v_add_f32_e32 v10, v10, v153
	v_mul_f32_e32 v158, v3, v160
	v_fma_f32 v160, v3, v165, -v145
	s_waitcnt vmcnt(36)
	v_mul_f32_e32 v149, v137, v169
	v_mul_f32_e32 v12, v136, v169
	v_add_f32_e32 v156, v10, v156
	v_fmac_f32_e32 v158, v4, v165
	ds_read2_b64 v[1:4], v9 offset0:107 offset1:108
	ds_read2_b64 v[142:145], v9 offset0:109 offset1:110
	s_waitcnt vmcnt(32)
	v_fma_f32 v162, v136, v200, -v149
	v_fmac_f32_e32 v12, v137, v200
	v_add_f32_e32 v156, v156, v160
	s_waitcnt vmcnt(31) lgkmcnt(3)
	v_mul_f32_e32 v163, v5, v201
	v_mul_f32_e32 v150, v6, v201
	ds_read2_b64 v[134:137], v9 offset0:111 offset1:112
	ds_read2_b64 v[146:149], v9 offset0:113 offset1:114
	s_waitcnt vmcnt(30)
	v_mul_f32_e32 v152, v8, v194
	v_add_f32_e32 v156, v156, v161
	v_fmac_f32_e32 v163, v6, v193
	v_add_f32_e32 v6, v11, v151
	v_fma_f32 v165, v5, v193, -v150
	v_mul_f32_e32 v164, v7, v194
	v_add_f32_e32 v156, v156, v162
	v_fma_f32 v166, v7, v180, -v152
	v_add_f32_e32 v157, v6, v157
	s_waitcnt vmcnt(29) lgkmcnt(4)
	v_mul_f32_e32 v167, v139, v195
	v_fmac_f32_e32 v164, v8, v180
	v_add_f32_e32 v156, v156, v165
	ds_read2_b64 v[5:8], v9 offset0:115 offset1:116
	ds_read2_b64 v[150:153], v9 offset0:117 offset1:118
	ds_read_b64 v[10:11], v9 offset:952
	v_add_f32_e32 v157, v157, v158
	v_mul_f32_e32 v158, v138, v195
	s_waitcnt vmcnt(28)
	v_mul_f32_e32 v168, v141, v174
	v_fma_f32 v138, v138, v179, -v167
	v_add_f32_e32 v156, v156, v166
	v_add_f32_e32 v157, v157, v159
	v_mul_f32_e32 v160, v140, v174
	v_fmac_f32_e32 v158, v139, v179
	s_waitcnt vmcnt(27) lgkmcnt(6)
	v_mul_f32_e32 v159, v1, v175
	v_mul_f32_e32 v167, v2, v175
	v_add_f32_e32 v12, v157, v12
	s_waitcnt vmcnt(20)
	v_fma_f32 v140, v140, v204, -v168
	v_add_f32_e32 v138, v156, v138
	v_fmac_f32_e32 v160, v141, v204
	v_fmac_f32_e32 v159, v2, v203
	v_add_f32_e32 v12, v12, v163
	v_fma_f32 v1, v1, v203, -v167
	v_add_f32_e32 v2, v138, v140
	v_mul_f32_e32 v161, v3, v196
	s_waitcnt lgkmcnt(5)
	v_mul_f32_e32 v138, v143, v182
	v_add_f32_e32 v12, v12, v164
	v_mul_f32_e32 v164, v4, v196
	v_add_f32_e32 v1, v2, v1
	v_mul_f32_e32 v139, v142, v182
	v_fmac_f32_e32 v161, v4, v202
	v_add_f32_e32 v12, v12, v158
	v_fma_f32 v3, v3, v202, -v164
	v_mul_f32_e32 v4, v145, v197
	v_mul_f32_e32 v157, v144, v197
	v_fmac_f32_e32 v139, v143, v198
	v_add_f32_e32 v12, v12, v160
	v_add_f32_e32 v1, v1, v3
	s_waitcnt vmcnt(19) lgkmcnt(4)
	v_mul_f32_e32 v3, v135, v205
	s_waitcnt vmcnt(7)
	v_fma_f32 v4, v144, v212, -v4
	v_mul_f32_e32 v162, v134, v205
	v_add_f32_e32 v2, v12, v159
	v_fma_f32 v12, v142, v198, -v138
	v_fmac_f32_e32 v157, v145, v212
	v_fma_f32 v3, v134, v211, -v3
	v_mul_f32_e32 v141, v136, v199
	v_add_f32_e32 v2, v2, v161
	v_add_f32_e32 v1, v1, v12
	v_mul_f32_e32 v12, v137, v199
	v_fmac_f32_e32 v162, v135, v211
	s_waitcnt lgkmcnt(3)
	v_mul_f32_e32 v168, v146, v206
	v_add_f32_e32 v2, v2, v139
	v_add_f32_e32 v1, v1, v4
	v_mul_f32_e32 v4, v147, v206
	v_fma_f32 v12, v136, v210, -v12
	v_fmac_f32_e32 v141, v137, v210
	v_add_f32_e32 v2, v2, v157
	v_add_f32_e32 v1, v1, v3
	v_mul_f32_e32 v3, v149, v186
	v_fma_f32 v4, v146, v189, -v4
	v_mul_f32_e32 v163, v148, v186
	v_add_f32_e32 v2, v2, v162
	v_add_f32_e32 v1, v1, v12
	v_fmac_f32_e32 v168, v147, v189
	s_waitcnt lgkmcnt(2)
	v_mul_f32_e32 v12, v6, v188
	s_waitcnt vmcnt(3)
	v_fma_f32 v3, v148, v215, -v3
	v_add_f32_e32 v2, v2, v141
	v_add_f32_e32 v1, v1, v4
	v_mul_f32_e32 v165, v5, v188
	v_fmac_f32_e32 v163, v149, v215
	v_mul_f32_e32 v4, v8, v207
	v_add_f32_e32 v2, v2, v168
	v_fma_f32 v5, v5, v214, -v12
	v_add_f32_e32 v1, v1, v3
	v_mul_f32_e32 v169, v7, v207
	v_fmac_f32_e32 v165, v6, v214
	v_add_f32_e32 v2, v2, v163
	s_waitcnt lgkmcnt(1)
	v_mul_f32_e32 v3, v151, v208
	v_fma_f32 v4, v7, v213, -v4
	v_add_f32_e32 v1, v1, v5
	v_mul_f32_e32 v166, v150, v208
	v_fmac_f32_e32 v169, v8, v213
	v_add_f32_e32 v2, v2, v165
	v_mul_f32_e32 v5, v153, v209
	v_fma_f32 v3, v150, v190, -v3
	v_add_f32_e32 v1, v1, v4
	v_mul_f32_e32 v170, v152, v209
	v_fmac_f32_e32 v166, v151, v190
	v_add_f32_e32 v2, v2, v169
	s_waitcnt lgkmcnt(0)
	v_mul_f32_e32 v4, v11, v187
	s_waitcnt vmcnt(1)
	v_fma_f32 v5, v152, v216, -v5
	v_add_f32_e32 v1, v1, v3
	v_mul_f32_e32 v156, v10, v187
	v_fmac_f32_e32 v170, v153, v216
	v_add_f32_e32 v2, v2, v166
	v_fma_f32 v3, v10, v154, -v4
	v_add_f32_e32 v1, v1, v5
	v_fmac_f32_e32 v156, v11, v154
	v_add_f32_e32 v2, v2, v170
	v_add_f32_e32 v1, v1, v3
	;; [unrolled: 1-line block ×3, first 2 shown]
	s_waitcnt vmcnt(0)
	v_sub_f32_e32 v1, v155, v1
	v_sub_f32_e32 v2, v185, v2
	buffer_store_dword v1, off, s[0:3], 0 offset:80
	buffer_store_dword v2, off, s[0:3], 0 offset:84
	v_cmpx_lt_u32_e32 9, v0
	s_cbranch_execz .LBB59_355
; %bb.354:
	s_clause 0x1
	buffer_load_dword v1, off, s[0:3], 0 offset:72
	buffer_load_dword v2, off, s[0:3], 0 offset:76
	buffer_store_dword v9, off, s[0:3], 0 offset:72
	buffer_store_dword v9, off, s[0:3], 0 offset:76
	s_waitcnt vmcnt(0)
	ds_write_b64 v133, v[1:2]
.LBB59_355:
	s_or_b32 exec_lo, exec_lo, s4
	s_waitcnt lgkmcnt(0)
	s_waitcnt_vscnt null, 0x0
	s_barrier
	buffer_gl0_inv
	s_clause 0x35
	buffer_load_dword v1, off, s[0:3], 0 offset:84
	buffer_load_dword v3, off, s[0:3], 0 offset:92
	;; [unrolled: 1-line block ×54, first 2 shown]
	ds_read_b128 v[178:181], v9 offset:560
	ds_read_b128 v[182:185], v9 offset:576
	;; [unrolled: 1-line block ×4, first 2 shown]
	buffer_load_dword v172, off, s[0:3], 0 offset:76
	s_mov_b32 s4, exec_lo
	s_waitcnt vmcnt(54) lgkmcnt(3)
	v_mul_f32_e32 v194, v178, v1
	v_mul_f32_e32 v1, v179, v1
	s_waitcnt vmcnt(53)
	v_mul_f32_e32 v195, v180, v3
	v_mul_f32_e32 v3, v181, v3
	s_waitcnt vmcnt(52) lgkmcnt(2)
	v_mul_f32_e32 v196, v182, v5
	v_mul_f32_e32 v5, v183, v5
	s_waitcnt vmcnt(49)
	v_fma_f32 v197, v178, v7, -v1
	s_waitcnt vmcnt(48)
	v_mul_f32_e32 v1, v185, v6
	v_fmac_f32_e32 v194, v179, v7
	v_fmac_f32_e32 v195, v181, v4
	v_fma_f32 v199, v180, v4, -v3
	v_fmac_f32_e32 v196, v183, v2
	v_fma_f32 v182, v182, v2, -v5
	s_waitcnt vmcnt(44)
	v_fma_f32 v183, v184, v137, -v1
	ds_read_b128 v[1:4], v9 offset:624
	ds_read_b128 v[178:181], v9 offset:640
	v_mul_f32_e32 v198, v184, v6
	s_waitcnt vmcnt(43) lgkmcnt(3)
	v_mul_f32_e32 v184, v186, v136
	v_mul_f32_e32 v5, v187, v136
	s_waitcnt vmcnt(42)
	v_mul_f32_e32 v6, v189, v135
	s_waitcnt vmcnt(41) lgkmcnt(2)
	v_mul_f32_e32 v200, v190, v12
	v_fmac_f32_e32 v198, v185, v137
	v_mul_f32_e32 v185, v188, v135
	v_fmac_f32_e32 v184, v187, v11
	v_fma_f32 v11, v186, v11, -v5
	s_waitcnt vmcnt(40)
	v_mul_f32_e32 v186, v192, v134
	v_mul_f32_e32 v5, v191, v12
	v_mul_f32_e32 v7, v193, v134
	v_fmac_f32_e32 v185, v189, v10
	v_fma_f32 v10, v188, v10, -v6
	v_fmac_f32_e32 v200, v191, v8
	s_waitcnt vmcnt(36)
	v_fmac_f32_e32 v186, v193, v145
	v_fma_f32 v12, v190, v8, -v5
	v_fma_f32 v145, v192, v145, -v7
	ds_read_b128 v[5:8], v9 offset:656
	ds_read_b128 v[134:137], v9 offset:672
	s_waitcnt vmcnt(35) lgkmcnt(3)
	v_mul_f32_e32 v187, v1, v144
	v_mul_f32_e32 v144, v2, v144
	s_waitcnt vmcnt(34)
	v_mul_f32_e32 v188, v3, v143
	v_mul_f32_e32 v143, v4, v143
	s_waitcnt vmcnt(33) lgkmcnt(2)
	v_mul_f32_e32 v189, v178, v141
	v_fmac_f32_e32 v187, v2, v140
	v_fma_f32 v144, v1, v140, -v144
	s_waitcnt vmcnt(32)
	v_mul_f32_e32 v190, v180, v142
	v_mul_f32_e32 v1, v179, v141
	v_mul_f32_e32 v2, v181, v142
	v_fmac_f32_e32 v188, v4, v139
	v_fma_f32 v142, v3, v139, -v143
	v_fmac_f32_e32 v189, v179, v138
	s_waitcnt vmcnt(28)
	v_fmac_f32_e32 v190, v181, v152
	v_fma_f32 v143, v178, v138, -v1
	v_fma_f32 v152, v180, v152, -v2
	ds_read_b128 v[1:4], v9 offset:688
	ds_read_b128 v[138:141], v9 offset:704
	s_waitcnt vmcnt(27) lgkmcnt(3)
	v_mul_f32_e32 v178, v5, v151
	v_mul_f32_e32 v151, v6, v151
	s_waitcnt vmcnt(26)
	v_mul_f32_e32 v179, v7, v150
	v_mul_f32_e32 v150, v8, v150
	s_waitcnt vmcnt(25) lgkmcnt(2)
	v_mul_f32_e32 v180, v134, v149
	v_mul_f32_e32 v149, v135, v149
	v_fmac_f32_e32 v178, v6, v148
	v_fma_f32 v148, v5, v148, -v151
	s_waitcnt vmcnt(24)
	v_mul_f32_e32 v151, v136, v153
	v_mul_f32_e32 v5, v137, v153
	v_fmac_f32_e32 v179, v8, v147
	v_fma_f32 v147, v7, v147, -v150
	v_fmac_f32_e32 v180, v135, v146
	v_fma_f32 v146, v134, v146, -v149
	s_waitcnt vmcnt(20)
	v_fmac_f32_e32 v151, v137, v160
	v_fma_f32 v149, v136, v160, -v5
	ds_read_b128 v[5:8], v9 offset:720
	ds_read_b128 v[134:137], v9 offset:736
	s_waitcnt vmcnt(19) lgkmcnt(3)
	v_mul_f32_e32 v153, v2, v159
	v_mul_f32_e32 v150, v1, v159
	s_waitcnt vmcnt(18)
	v_mul_f32_e32 v159, v3, v158
	v_mul_f32_e32 v158, v4, v158
	s_waitcnt vmcnt(17) lgkmcnt(2)
	v_mul_f32_e32 v160, v138, v157
	v_fma_f32 v153, v1, v156, -v153
	s_waitcnt vmcnt(16)
	v_mul_f32_e32 v1, v141, v161
	v_mul_f32_e32 v157, v139, v157
	v_fmac_f32_e32 v150, v2, v156
	v_mul_f32_e32 v156, v140, v161
	v_fmac_f32_e32 v159, v4, v155
	v_fma_f32 v155, v3, v155, -v158
	s_clause 0x4
	buffer_load_dword v158, off, s[0:3], 0 offset:300
	buffer_load_dword v161, off, s[0:3], 0 offset:320
	;; [unrolled: 1-line block ×5, first 2 shown]
	v_fmac_f32_e32 v160, v139, v154
	s_waitcnt vmcnt(17)
	v_fma_f32 v139, v140, v169, -v1
	ds_read_b128 v[1:4], v9 offset:752
	v_fmac_f32_e32 v156, v141, v169
	v_fma_f32 v138, v138, v154, -v157
	s_waitcnt vmcnt(16) lgkmcnt(2)
	v_mul_f32_e32 v140, v5, v167
	v_mul_f32_e32 v141, v6, v167
	s_waitcnt vmcnt(15)
	v_mul_f32_e32 v154, v7, v166
	v_mul_f32_e32 v157, v8, v166
	buffer_load_dword v166, off, s[0:3], 0 offset:316
	v_fmac_f32_e32 v140, v6, v165
	v_fma_f32 v141, v5, v165, -v141
	buffer_load_dword v165, off, s[0:3], 0 offset:308
	v_fmac_f32_e32 v154, v8, v163
	v_fma_f32 v157, v7, v163, -v157
	s_waitcnt vmcnt(16) lgkmcnt(1)
	v_mul_f32_e32 v163, v134, v164
	v_mul_f32_e32 v5, v135, v164
	s_waitcnt vmcnt(15)
	v_mul_f32_e32 v6, v137, v168
	v_mul_f32_e32 v164, v136, v168
	v_fmac_f32_e32 v163, v135, v162
	v_fma_f32 v162, v134, v162, -v5
	s_waitcnt vmcnt(10)
	v_fma_f32 v167, v136, v177, -v6
	ds_read_b128 v[5:8], v9 offset:768
	s_waitcnt vmcnt(9) lgkmcnt(1)
	v_mul_f32_e32 v168, v1, v176
	v_mul_f32_e32 v134, v2, v176
	s_waitcnt vmcnt(8)
	v_mul_f32_e32 v193, v3, v175
	v_fmac_f32_e32 v164, v137, v177
	s_clause 0x2
	buffer_load_dword v169, off, s[0:3], 0 offset:324
	buffer_load_dword v176, off, s[0:3], 0 offset:332
	;; [unrolled: 1-line block ×3, first 2 shown]
	v_fmac_f32_e32 v168, v2, v174
	v_fma_f32 v174, v1, v174, -v134
	v_mul_f32_e32 v1, v4, v175
	v_fmac_f32_e32 v193, v4, v173
	v_add_f32_e32 v2, 0, v197
	s_clause 0x3
	buffer_load_dword v175, off, s[0:3], 0 offset:352
	buffer_load_dword v201, off, s[0:3], 0 offset:344
	;; [unrolled: 1-line block ×4, first 2 shown]
	v_fma_f32 v173, v3, v173, -v1
	v_add_f32_e32 v1, 0, v194
	v_add_f32_e32 v2, v2, v199
	buffer_load_dword v194, off, s[0:3], 0 offset:348
	v_add_f32_e32 v1, v1, v195
	v_add_f32_e32 v2, v2, v182
	s_waitcnt lgkmcnt(0)
	v_mul_f32_e32 v3, v6, v171
	v_add_f32_e32 v1, v1, v196
	s_clause 0x1
	buffer_load_dword v195, off, s[0:3], 0 offset:356
	buffer_load_dword v196, off, s[0:3], 0 offset:364
	v_add_f32_e32 v2, v2, v183
	v_add_f32_e32 v1, v1, v198
	;; [unrolled: 1-line block ×3, first 2 shown]
	v_fma_f32 v11, v5, v170, -v3
	v_add_f32_e32 v1, v1, v184
	s_clause 0x5
	buffer_load_dword v182, off, s[0:3], 0 offset:384
	buffer_load_dword v183, off, s[0:3], 0 offset:376
	;; [unrolled: 1-line block ×6, first 2 shown]
	v_add_f32_e32 v2, v2, v10
	v_add_f32_e32 v1, v1, v185
	buffer_load_dword v185, off, s[0:3], 0 offset:372
	v_mul_f32_e32 v10, v5, v171
	v_add_f32_e32 v2, v2, v12
	v_add_f32_e32 v1, v1, v200
	v_fmac_f32_e32 v10, v6, v170
	v_add_f32_e32 v2, v2, v145
	v_add_f32_e32 v1, v1, v186
	s_clause 0x2
	buffer_load_dword v186, off, s[0:3], 0 offset:396
	buffer_load_dword v200, off, s[0:3], 0 offset:404
	buffer_load_dword v204, off, s[0:3], 0 offset:412
	v_add_f32_e32 v2, v2, v144
	v_add_f32_e32 v1, v1, v187
	s_clause 0x2
	buffer_load_dword v187, off, s[0:3], 0 offset:420
	buffer_load_dword v205, off, s[0:3], 0 offset:428
	buffer_load_dword v206, off, s[0:3], 0 offset:436
	;; [unrolled: 6-line block ×3, first 2 shown]
	buffer_load_dword v209, off, s[0:3], 0 offset:476
	v_add_f32_e32 v2, v2, v143
	v_add_f32_e32 v1, v1, v189
	buffer_load_dword v189, off, s[0:3], 0 offset:468
	v_add_f32_e32 v2, v2, v152
	v_add_f32_e32 v1, v1, v190
	;; [unrolled: 1-line block ×4, first 2 shown]
	s_clause 0x3
	buffer_load_dword v178, off, s[0:3], 0 offset:416
	buffer_load_dword v190, off, s[0:3], 0 offset:408
	;; [unrolled: 1-line block ×4, first 2 shown]
	v_add_f32_e32 v2, v2, v147
	v_add_f32_e32 v1, v1, v179
	;; [unrolled: 1-line block ×4, first 2 shown]
	s_clause 0x7
	buffer_load_dword v179, off, s[0:3], 0 offset:448
	buffer_load_dword v180, off, s[0:3], 0 offset:440
	;; [unrolled: 1-line block ×8, first 2 shown]
	v_add_f32_e32 v2, v2, v149
	v_add_f32_e32 v1, v1, v151
	;; [unrolled: 1-line block ×8, first 2 shown]
	ds_read_b128 v[1:4], v9 offset:784
	v_add_f32_e32 v12, v5, v139
	v_add_f32_e32 v134, v6, v156
	;; [unrolled: 1-line block ×4, first 2 shown]
	ds_read_b128 v[134:137], v9 offset:816
	v_add_f32_e32 v12, v12, v157
	v_add_f32_e32 v138, v138, v154
	;; [unrolled: 1-line block ×3, first 2 shown]
	s_waitcnt vmcnt(46)
	v_mul_f32_e32 v150, v7, v158
	v_mul_f32_e32 v5, v8, v158
	s_waitcnt vmcnt(42)
	v_fmac_f32_e32 v150, v8, v192
	v_fma_f32 v151, v7, v192, -v5
	ds_read_b128 v[5:8], v9 offset:800
	s_waitcnt vmcnt(41) lgkmcnt(2)
	v_mul_f32_e32 v142, v4, v166
	s_waitcnt vmcnt(40)
	v_mul_f32_e32 v139, v2, v165
	v_mul_f32_e32 v152, v1, v165
	v_fma_f32 v157, v3, v181, -v142
	v_fma_f32 v153, v1, v191, -v139
	v_add_f32_e32 v1, v138, v163
	v_fmac_f32_e32 v152, v2, v191
	v_add_f32_e32 v2, v12, v167
	ds_read_b128 v[138:141], v9 offset:832
	v_mul_f32_e32 v12, v3, v166
	v_add_f32_e32 v1, v1, v164
	v_add_f32_e32 v2, v2, v174
	s_waitcnt vmcnt(39) lgkmcnt(1)
	v_mul_f32_e32 v143, v6, v169
	v_mul_f32_e32 v154, v5, v169
	v_add_f32_e32 v1, v1, v168
	s_waitcnt vmcnt(37)
	v_mul_f32_e32 v156, v134, v177
	v_fmac_f32_e32 v12, v4, v181
	v_fma_f32 v158, v5, v161, -v143
	v_add_f32_e32 v5, v2, v173
	v_fmac_f32_e32 v154, v6, v161
	v_add_f32_e32 v6, v1, v193
	v_mul_f32_e32 v146, v8, v176
	v_mul_f32_e32 v147, v135, v177
	v_add_f32_e32 v11, v5, v11
	s_waitcnt vmcnt(34)
	v_fmac_f32_e32 v156, v135, v202
	v_add_f32_e32 v10, v6, v10
	v_mul_f32_e32 v155, v7, v176
	s_waitcnt vmcnt(33)
	v_fma_f32 v159, v7, v203, -v146
	v_add_f32_e32 v11, v11, v151
	ds_read_b128 v[1:4], v9 offset:848
	ds_read_b128 v[142:145], v9 offset:864
	v_add_f32_e32 v10, v10, v150
	v_fmac_f32_e32 v155, v8, v203
	v_fma_f32 v160, v134, v202, -v147
	s_waitcnt vmcnt(31) lgkmcnt(2)
	v_mul_f32_e32 v162, v138, v195
	v_add_f32_e32 v11, v11, v153
	s_waitcnt vmcnt(30)
	v_mul_f32_e32 v163, v140, v196
	v_add_f32_e32 v10, v10, v152
	v_mul_f32_e32 v135, v139, v195
	v_fmac_f32_e32 v162, v139, v175
	v_add_f32_e32 v139, v11, v157
	v_mul_f32_e32 v164, v141, v196
	v_mul_f32_e32 v134, v137, v194
	;; [unrolled: 1-line block ×3, first 2 shown]
	v_fma_f32 v138, v138, v175, -v135
	s_waitcnt vmcnt(26)
	v_fmac_f32_e32 v163, v141, v197
	v_add_f32_e32 v141, v10, v12
	v_add_f32_e32 v139, v139, v158
	v_fma_f32 v165, v136, v201, -v134
	v_fmac_f32_e32 v161, v137, v201
	v_fma_f32 v140, v140, v197, -v164
	v_add_f32_e32 v141, v141, v154
	v_add_f32_e32 v139, v139, v159
	s_waitcnt vmcnt(23) lgkmcnt(1)
	v_mul_f32_e32 v158, v2, v185
	ds_read_b128 v[5:8], v9 offset:880
	ds_read_b128 v[146:149], v9 offset:896
	v_mul_f32_e32 v157, v1, v185
	v_add_f32_e32 v141, v141, v155
	v_add_f32_e32 v139, v139, v160
	v_mul_f32_e32 v164, v4, v198
	v_fma_f32 v1, v1, v184, -v158
	v_mul_f32_e32 v154, v3, v198
	v_add_f32_e32 v141, v141, v156
	v_add_f32_e32 v139, v139, v165
	v_fmac_f32_e32 v157, v2, v184
	v_fma_f32 v3, v3, v183, -v164
	s_waitcnt lgkmcnt(2)
	v_mul_f32_e32 v159, v142, v199
	v_add_f32_e32 v141, v141, v161
	v_add_f32_e32 v138, v139, v138
	v_fmac_f32_e32 v154, v4, v183
	s_waitcnt vmcnt(22)
	v_mul_f32_e32 v155, v144, v186
	v_fmac_f32_e32 v159, v143, v182
	v_add_f32_e32 v141, v141, v162
	v_add_f32_e32 v138, v138, v140
	ds_read_b128 v[134:137], v9 offset:912
	ds_read_b128 v[150:153], v9 offset:928
	s_waitcnt vmcnt(21) lgkmcnt(3)
	v_mul_f32_e32 v166, v5, v200
	s_waitcnt vmcnt(20)
	v_mul_f32_e32 v160, v7, v204
	v_add_f32_e32 v140, v141, v163
	v_mul_f32_e32 v141, v143, v199
	v_add_f32_e32 v1, v138, v1
	v_mul_f32_e32 v138, v145, v186
	s_waitcnt vmcnt(19) lgkmcnt(2)
	v_mul_f32_e32 v156, v146, v187
	v_add_f32_e32 v4, v140, v157
	v_fma_f32 v140, v142, v182, -v141
	v_add_f32_e32 v1, v1, v3
	s_waitcnt vmcnt(9)
	v_fmac_f32_e32 v166, v6, v210
	s_waitcnt vmcnt(8)
	v_fma_f32 v138, v144, v211, -v138
	v_add_f32_e32 v3, v4, v154
	v_mul_f32_e32 v4, v6, v200
	v_add_f32_e32 v1, v1, v140
	v_fmac_f32_e32 v155, v145, v211
	v_mul_f32_e32 v140, v8, v204
	v_add_f32_e32 v3, v3, v159
	v_fma_f32 v4, v5, v210, -v4
	v_add_f32_e32 v1, v1, v138
	v_mul_f32_e32 v5, v147, v187
	v_fma_f32 v6, v7, v190, -v140
	v_add_f32_e32 v3, v3, v155
	v_fmac_f32_e32 v160, v8, v190
	v_add_f32_e32 v1, v1, v4
	v_mul_f32_e32 v4, v149, v205
	v_fma_f32 v5, v146, v178, -v5
	v_add_f32_e32 v3, v3, v166
	v_mul_f32_e32 v167, v148, v205
	v_add_f32_e32 v1, v1, v6
	v_fmac_f32_e32 v156, v147, v178
	ds_read_b128 v[9:12], v9 offset:944
	v_add_f32_e32 v3, v3, v160
	s_waitcnt lgkmcnt(2)
	v_mul_f32_e32 v6, v135, v206
	s_waitcnt vmcnt(4)
	v_fma_f32 v4, v148, v213, -v4
	v_add_f32_e32 v1, v1, v5
	v_mul_f32_e32 v165, v134, v206
	v_fmac_f32_e32 v167, v149, v213
	v_add_f32_e32 v3, v3, v156
	v_mul_f32_e32 v5, v137, v188
	v_fma_f32 v6, v134, v212, -v6
	v_add_f32_e32 v1, v1, v4
	v_mul_f32_e32 v161, v136, v188
	v_fmac_f32_e32 v165, v135, v212
	v_add_f32_e32 v3, v3, v167
	s_waitcnt lgkmcnt(1)
	v_mul_f32_e32 v4, v151, v207
	v_fma_f32 v5, v136, v180, -v5
	v_add_f32_e32 v1, v1, v6
	v_mul_f32_e32 v168, v150, v207
	v_fmac_f32_e32 v161, v137, v180
	v_add_f32_e32 v3, v3, v165
	v_mul_f32_e32 v6, v153, v208
	v_fma_f32 v4, v150, v179, -v4
	v_add_f32_e32 v1, v1, v5
	v_mul_f32_e32 v139, v152, v208
	v_fmac_f32_e32 v168, v151, v179
	v_add_f32_e32 v3, v3, v161
	s_waitcnt lgkmcnt(0)
	v_mul_f32_e32 v5, v10, v189
	s_waitcnt vmcnt(1)
	v_fma_f32 v6, v152, v216, -v6
	v_add_f32_e32 v1, v1, v4
	v_mul_f32_e32 v162, v9, v189
	v_fmac_f32_e32 v139, v153, v216
	v_add_f32_e32 v3, v3, v168
	v_mul_f32_e32 v4, v12, v209
	v_fma_f32 v5, v9, v215, -v5
	v_add_f32_e32 v1, v1, v6
	v_mul_f32_e32 v2, v11, v209
	v_fmac_f32_e32 v162, v10, v215
	v_add_f32_e32 v3, v3, v139
	v_fma_f32 v4, v11, v214, -v4
	v_add_f32_e32 v1, v1, v5
	v_fmac_f32_e32 v2, v12, v214
	v_add_f32_e32 v3, v3, v162
	v_add_f32_e32 v1, v1, v4
	v_add_f32_e32 v2, v3, v2
	s_waitcnt vmcnt(0)
	v_sub_f32_e32 v1, v217, v1
	v_sub_f32_e32 v2, v172, v2
	buffer_store_dword v1, off, s[0:3], 0 offset:72
	buffer_store_dword v2, off, s[0:3], 0 offset:76
	v_cmpx_lt_u32_e32 8, v0
	s_cbranch_execz .LBB59_357
; %bb.356:
	s_clause 0x1
	buffer_load_dword v1, off, s[0:3], 0 offset:64
	buffer_load_dword v2, off, s[0:3], 0 offset:68
	v_mov_b32_e32 v3, 0
	buffer_store_dword v3, off, s[0:3], 0 offset:64
	buffer_store_dword v3, off, s[0:3], 0 offset:68
	s_waitcnt vmcnt(0)
	ds_write_b64 v133, v[1:2]
.LBB59_357:
	s_or_b32 exec_lo, exec_lo, s4
	s_waitcnt lgkmcnt(0)
	s_waitcnt_vscnt null, 0x0
	s_barrier
	buffer_gl0_inv
	s_clause 0x35
	buffer_load_dword v2, off, s[0:3], 0 offset:76
	buffer_load_dword v4, off, s[0:3], 0 offset:84
	;; [unrolled: 1-line block ×54, first 2 shown]
	v_mov_b32_e32 v1, 0
	ds_read2_b64 v[178:181], v1 offset0:69 offset1:70
	ds_read2_b64 v[182:185], v1 offset0:71 offset1:72
	buffer_load_dword v175, off, s[0:3], 0 offset:68
	ds_read2_b64 v[186:189], v1 offset0:73 offset1:74
	ds_read2_b64 v[190:193], v1 offset0:75 offset1:76
	s_mov_b32 s4, exec_lo
	s_waitcnt vmcnt(54) lgkmcnt(3)
	v_mul_f32_e32 v194, v178, v2
	v_mul_f32_e32 v2, v179, v2
	s_waitcnt vmcnt(53)
	v_mul_f32_e32 v195, v180, v4
	v_mul_f32_e32 v4, v181, v4
	s_waitcnt vmcnt(52) lgkmcnt(2)
	v_mul_f32_e32 v196, v182, v6
	v_mul_f32_e32 v6, v183, v6
	s_waitcnt vmcnt(49)
	v_fma_f32 v197, v178, v8, -v2
	s_waitcnt vmcnt(48)
	v_mul_f32_e32 v2, v185, v7
	v_fmac_f32_e32 v194, v179, v8
	v_fmac_f32_e32 v195, v181, v5
	v_fma_f32 v199, v180, v5, -v4
	v_fmac_f32_e32 v196, v183, v3
	v_fma_f32 v182, v182, v3, -v6
	s_waitcnt vmcnt(44)
	v_fma_f32 v183, v184, v137, -v2
	ds_read2_b64 v[2:5], v1 offset0:77 offset1:78
	ds_read2_b64 v[178:181], v1 offset0:79 offset1:80
	v_mul_f32_e32 v198, v184, v7
	s_waitcnt vmcnt(43) lgkmcnt(3)
	v_mul_f32_e32 v184, v186, v135
	v_mul_f32_e32 v6, v187, v135
	s_waitcnt vmcnt(42)
	v_mul_f32_e32 v7, v189, v136
	s_waitcnt vmcnt(41) lgkmcnt(2)
	v_mul_f32_e32 v200, v190, v134
	v_fmac_f32_e32 v198, v185, v137
	v_mul_f32_e32 v185, v188, v136
	v_mul_f32_e32 v8, v191, v134
	v_fmac_f32_e32 v184, v187, v11
	v_fma_f32 v11, v186, v11, -v6
	s_waitcnt vmcnt(40)
	v_mul_f32_e32 v186, v192, v12
	v_mul_f32_e32 v6, v193, v12
	v_fmac_f32_e32 v185, v189, v10
	v_fma_f32 v10, v188, v10, -v7
	v_fmac_f32_e32 v200, v191, v9
	v_fma_f32 v12, v190, v9, -v8
	s_waitcnt vmcnt(36)
	v_fmac_f32_e32 v186, v193, v145
	v_fma_f32 v145, v192, v145, -v6
	ds_read2_b64 v[6:9], v1 offset0:81 offset1:82
	ds_read2_b64 v[134:137], v1 offset0:83 offset1:84
	s_waitcnt vmcnt(35) lgkmcnt(3)
	v_mul_f32_e32 v187, v2, v144
	v_mul_f32_e32 v144, v3, v144
	s_waitcnt vmcnt(34)
	v_mul_f32_e32 v188, v4, v143
	v_mul_f32_e32 v143, v5, v143
	s_waitcnt vmcnt(33) lgkmcnt(2)
	v_mul_f32_e32 v189, v178, v141
	v_fmac_f32_e32 v187, v3, v140
	v_fma_f32 v144, v2, v140, -v144
	s_waitcnt vmcnt(32)
	v_mul_f32_e32 v190, v180, v142
	v_mul_f32_e32 v2, v179, v141
	;; [unrolled: 1-line block ×3, first 2 shown]
	v_fmac_f32_e32 v188, v5, v139
	v_fma_f32 v142, v4, v139, -v143
	v_fmac_f32_e32 v189, v179, v138
	s_waitcnt vmcnt(28)
	v_fmac_f32_e32 v190, v181, v153
	v_fma_f32 v143, v178, v138, -v2
	v_fma_f32 v153, v180, v153, -v3
	ds_read2_b64 v[2:5], v1 offset0:85 offset1:86
	ds_read2_b64 v[138:141], v1 offset0:87 offset1:88
	s_waitcnt vmcnt(27) lgkmcnt(3)
	v_mul_f32_e32 v178, v6, v152
	v_mul_f32_e32 v152, v7, v152
	s_waitcnt vmcnt(26)
	v_mul_f32_e32 v179, v8, v151
	v_mul_f32_e32 v151, v9, v151
	s_waitcnt vmcnt(25) lgkmcnt(2)
	v_mul_f32_e32 v180, v134, v150
	v_fmac_f32_e32 v178, v7, v148
	v_fma_f32 v148, v6, v148, -v152
	v_fmac_f32_e32 v179, v9, v147
	v_fma_f32 v147, v8, v147, -v151
	s_clause 0x4
	buffer_load_dword v151, off, s[0:3], 0 offset:292
	buffer_load_dword v152, off, s[0:3], 0 offset:312
	;; [unrolled: 1-line block ×5, first 2 shown]
	v_mul_f32_e32 v150, v135, v150
	s_waitcnt vmcnt(29)
	v_mul_f32_e32 v6, v137, v149
	v_mul_f32_e32 v193, v136, v149
	v_fmac_f32_e32 v180, v135, v146
	v_fma_f32 v134, v134, v146, -v150
	s_waitcnt vmcnt(24)
	v_fma_f32 v136, v136, v162, -v6
	ds_read2_b64 v[6:9], v1 offset0:89 offset1:90
	buffer_load_dword v150, off, s[0:3], 0 offset:300
	s_waitcnt lgkmcnt(2)
	v_mul_f32_e32 v135, v2, v154
	v_mul_f32_e32 v146, v3, v154
	v_fmac_f32_e32 v193, v137, v162
	s_waitcnt vmcnt(24)
	v_mul_f32_e32 v137, v4, v160
	v_mul_f32_e32 v149, v5, v160
	v_fmac_f32_e32 v135, v3, v158
	v_fma_f32 v146, v2, v158, -v146
	s_waitcnt vmcnt(23) lgkmcnt(1)
	v_mul_f32_e32 v154, v138, v157
	v_mul_f32_e32 v2, v139, v157
	s_waitcnt vmcnt(22)
	v_mul_f32_e32 v3, v141, v161
	v_fmac_f32_e32 v137, v5, v156
	v_fma_f32 v149, v4, v156, -v149
	s_clause 0x1
	buffer_load_dword v156, off, s[0:3], 0 offset:308
	buffer_load_dword v157, off, s[0:3], 0 offset:316
	v_mul_f32_e32 v158, v140, v161
	v_fmac_f32_e32 v154, v139, v155
	v_fma_f32 v138, v138, v155, -v2
	s_clause 0x1
	buffer_load_dword v155, off, s[0:3], 0 offset:324
	buffer_load_dword v160, off, s[0:3], 0 offset:332
	v_add_f32_e32 v139, 0, v194
	s_waitcnt vmcnt(22)
	v_fma_f32 v140, v140, v169, -v3
	ds_read2_b64 v[2:5], v1 offset0:91 offset1:92
	v_fmac_f32_e32 v158, v141, v169
	s_waitcnt vmcnt(21) lgkmcnt(1)
	v_mul_f32_e32 v141, v6, v168
	v_mul_f32_e32 v161, v7, v168
	v_add_f32_e32 v139, v139, v195
	v_add_f32_e32 v168, 0, v197
	s_waitcnt vmcnt(20)
	v_mul_f32_e32 v162, v8, v167
	v_mul_f32_e32 v167, v9, v167
	v_fmac_f32_e32 v141, v7, v166
	v_fma_f32 v161, v6, v166, -v161
	v_add_f32_e32 v6, v168, v199
	v_add_f32_e32 v7, v139, v196
	v_fmac_f32_e32 v162, v9, v165
	v_fma_f32 v165, v8, v165, -v167
	s_clause 0x3
	buffer_load_dword v166, off, s[0:3], 0 offset:344
	buffer_load_dword v167, off, s[0:3], 0 offset:336
	;; [unrolled: 1-line block ×4, first 2 shown]
	v_add_f32_e32 v6, v6, v182
	v_add_f32_e32 v139, v7, v198
	s_clause 0x2
	buffer_load_dword v182, off, s[0:3], 0 offset:340
	buffer_load_dword v194, off, s[0:3], 0 offset:348
	;; [unrolled: 1-line block ×3, first 2 shown]
	v_add_f32_e32 v183, v6, v183
	ds_read2_b64 v[6:9], v1 offset0:93 offset1:94
	v_add_f32_e32 v139, v139, v184
	s_waitcnt vmcnt(26) lgkmcnt(1)
	v_mul_f32_e32 v184, v2, v163
	v_mul_f32_e32 v163, v3, v163
	v_add_f32_e32 v11, v183, v11
	s_waitcnt vmcnt(25)
	v_mul_f32_e32 v183, v4, v164
	v_mul_f32_e32 v164, v5, v164
	v_fmac_f32_e32 v184, v3, v159
	v_add_f32_e32 v3, v139, v185
	v_fma_f32 v139, v2, v159, -v163
	v_add_f32_e32 v2, v11, v10
	s_waitcnt vmcnt(20)
	v_fmac_f32_e32 v183, v5, v177
	v_fma_f32 v159, v4, v177, -v164
	v_add_f32_e32 v10, v3, v200
	s_clause 0x4
	buffer_load_dword v163, off, s[0:3], 0 offset:376
	buffer_load_dword v164, off, s[0:3], 0 offset:368
	;; [unrolled: 1-line block ×5, first 2 shown]
	v_add_f32_e32 v12, v2, v12
	ds_read2_b64 v[2:5], v1 offset0:95 offset1:96
	v_add_f32_e32 v10, v10, v186
	s_clause 0x1
	buffer_load_dword v186, off, s[0:3], 0 offset:372
	buffer_load_dword v197, off, s[0:3], 0 offset:380
	s_waitcnt vmcnt(26) lgkmcnt(1)
	v_mul_f32_e32 v196, v6, v176
	v_mul_f32_e32 v176, v7, v176
	v_add_f32_e32 v12, v12, v145
	v_add_f32_e32 v10, v10, v187
	buffer_load_dword v187, off, s[0:3], 0 offset:388
	v_fmac_f32_e32 v196, v7, v174
	v_fma_f32 v145, v6, v174, -v176
	s_waitcnt vmcnt(26)
	v_mul_f32_e32 v174, v8, v173
	v_add_f32_e32 v7, v10, v188
	v_mul_f32_e32 v10, v9, v173
	v_add_f32_e32 v6, v12, v144
	s_clause 0x2
	buffer_load_dword v12, off, s[0:3], 0 offset:396
	buffer_load_dword v176, off, s[0:3], 0 offset:404
	;; [unrolled: 1-line block ×3, first 2 shown]
	v_add_f32_e32 v7, v7, v189
	v_fmac_f32_e32 v174, v9, v172
	v_fma_f32 v10, v8, v172, -v10
	s_clause 0x1
	buffer_load_dword v172, off, s[0:3], 0 offset:420
	buffer_load_dword v188, off, s[0:3], 0 offset:428
	v_add_f32_e32 v6, v6, v142
	v_add_f32_e32 v7, v7, v190
	s_clause 0x2
	buffer_load_dword v189, off, s[0:3], 0 offset:436
	buffer_load_dword v190, off, s[0:3], 0 offset:444
	;; [unrolled: 1-line block ×3, first 2 shown]
	s_waitcnt lgkmcnt(0)
	v_mul_f32_e32 v142, v2, v171
	v_mul_f32_e32 v8, v3, v171
	v_add_f32_e32 v6, v6, v143
	v_add_f32_e32 v7, v7, v178
	s_clause 0x2
	buffer_load_dword v178, off, s[0:3], 0 offset:460
	buffer_load_dword v199, off, s[0:3], 0 offset:468
	;; [unrolled: 1-line block ×3, first 2 shown]
	v_fmac_f32_e32 v142, v3, v170
	v_fma_f32 v143, v2, v170, -v8
	v_add_f32_e32 v6, v6, v153
	v_add_f32_e32 v7, v7, v179
	s_clause 0x3
	buffer_load_dword v179, off, s[0:3], 0 offset:408
	buffer_load_dword v201, off, s[0:3], 0 offset:400
	;; [unrolled: 1-line block ×4, first 2 shown]
	v_add_f32_e32 v6, v6, v148
	v_add_f32_e32 v7, v7, v180
	;; [unrolled: 1-line block ×4, first 2 shown]
	s_clause 0x8
	buffer_load_dword v180, off, s[0:3], 0 offset:440
	buffer_load_dword v193, off, s[0:3], 0 offset:432
	;; [unrolled: 1-line block ×9, first 2 shown]
	v_add_f32_e32 v6, v6, v134
	v_add_f32_e32 v7, v7, v135
	;; [unrolled: 1-line block ×11, first 2 shown]
	ds_read2_b64 v[6:9], v1 offset0:97 offset1:98
	v_add_f32_e32 v138, v134, v162
	v_add_f32_e32 v135, v3, v161
	;; [unrolled: 1-line block ×4, first 2 shown]
	ds_read2_b64 v[134:137], v1 offset0:101 offset1:102
	v_add_f32_e32 v144, v138, v183
	v_add_f32_e32 v139, v140, v139
	s_waitcnt vmcnt(48)
	v_mul_f32_e32 v146, v4, v151
	v_mul_f32_e32 v2, v5, v151
	s_waitcnt vmcnt(44)
	v_fmac_f32_e32 v146, v5, v192
	v_fma_f32 v147, v4, v192, -v2
	ds_read2_b64 v[2:5], v1 offset0:99 offset1:100
	s_waitcnt vmcnt(43) lgkmcnt(2)
	v_mul_f32_e32 v141, v7, v150
	v_mul_f32_e32 v151, v6, v150
	v_fma_f32 v150, v6, v191, -v141
	v_add_f32_e32 v6, v139, v159
	v_fmac_f32_e32 v151, v7, v191
	v_add_f32_e32 v7, v144, v196
	ds_read2_b64 v[138:141], v1 offset0:103 offset1:104
	v_add_f32_e32 v6, v6, v145
	s_waitcnt vmcnt(42)
	v_mul_f32_e32 v153, v8, v156
	v_add_f32_e32 v7, v7, v174
	s_waitcnt vmcnt(41) lgkmcnt(1)
	v_mul_f32_e32 v154, v2, v157
	v_mul_f32_e32 v145, v3, v157
	v_add_f32_e32 v6, v6, v10
	s_waitcnt vmcnt(39)
	v_mul_f32_e32 v149, v135, v160
	v_mul_f32_e32 v144, v9, v156
	v_fmac_f32_e32 v154, v3, v152
	v_mul_f32_e32 v156, v4, v155
	v_add_f32_e32 v3, v6, v143
	v_mul_f32_e32 v148, v5, v155
	v_mul_f32_e32 v155, v134, v160
	v_fma_f32 v157, v2, v152, -v145
	v_add_f32_e32 v2, v7, v142
	v_fma_f32 v10, v8, v181, -v144
	v_fmac_f32_e32 v153, v9, v181
	ds_read2_b64 v[6:9], v1 offset0:105 offset1:106
	ds_read2_b64 v[142:145], v1 offset0:107 offset1:108
	s_waitcnt vmcnt(36)
	v_fma_f32 v159, v134, v168, -v149
	v_add_f32_e32 v134, v3, v147
	v_fmac_f32_e32 v155, v135, v168
	v_add_f32_e32 v135, v2, v146
	s_waitcnt vmcnt(35)
	v_fma_f32 v158, v4, v169, -v148
	v_fmac_f32_e32 v156, v5, v169
	v_add_f32_e32 v134, v134, v150
	s_waitcnt vmcnt(34)
	v_mul_f32_e32 v160, v136, v182
	v_add_f32_e32 v135, v135, v151
	v_mul_f32_e32 v151, v137, v182
	s_waitcnt vmcnt(33) lgkmcnt(2)
	v_mul_f32_e32 v161, v138, v194
	v_add_f32_e32 v10, v134, v10
	v_mul_f32_e32 v150, v139, v194
	v_add_f32_e32 v135, v135, v153
	v_fmac_f32_e32 v160, v137, v167
	v_fma_f32 v167, v136, v167, -v151
	v_add_f32_e32 v157, v10, v157
	s_waitcnt vmcnt(32)
	v_mul_f32_e32 v165, v141, v195
	v_add_f32_e32 v154, v135, v154
	v_fmac_f32_e32 v161, v139, v166
	v_fma_f32 v166, v138, v166, -v150
	v_add_f32_e32 v157, v157, v158
	v_mul_f32_e32 v162, v140, v195
	v_add_f32_e32 v154, v154, v156
	s_waitcnt vmcnt(28)
	v_fma_f32 v165, v140, v11, -v165
	s_waitcnt vmcnt(27) lgkmcnt(1)
	v_mul_f32_e32 v168, v7, v185
	v_add_f32_e32 v157, v157, v159
	ds_read2_b64 v[2:5], v1 offset0:109 offset1:110
	ds_read2_b64 v[146:149], v1 offset0:111 offset1:112
	v_add_f32_e32 v154, v154, v155
	v_fmac_f32_e32 v162, v141, v11
	v_mul_f32_e32 v156, v6, v185
	v_add_f32_e32 v157, v157, v167
	s_waitcnt vmcnt(26)
	v_mul_f32_e32 v169, v9, v186
	v_add_f32_e32 v154, v154, v160
	v_fma_f32 v6, v6, v177, -v168
	v_mul_f32_e32 v158, v8, v186
	v_add_f32_e32 v157, v157, v166
	v_fmac_f32_e32 v156, v7, v177
	v_add_f32_e32 v154, v154, v161
	s_waitcnt vmcnt(25) lgkmcnt(2)
	v_mul_f32_e32 v168, v143, v197
	v_fma_f32 v8, v8, v164, -v169
	v_add_f32_e32 v157, v157, v165
	v_mul_f32_e32 v155, v142, v197
	v_add_f32_e32 v154, v154, v162
	v_fmac_f32_e32 v158, v9, v164
	s_waitcnt vmcnt(24)
	v_mul_f32_e32 v162, v145, v187
	v_add_f32_e32 v6, v157, v6
	v_fma_f32 v142, v142, v163, -v168
	v_add_f32_e32 v154, v154, v156
	v_mul_f32_e32 v159, v144, v187
	v_fmac_f32_e32 v155, v143, v163
	v_add_f32_e32 v6, v6, v8
	s_waitcnt vmcnt(23) lgkmcnt(1)
	v_mul_f32_e32 v7, v2, v12
	v_add_f32_e32 v8, v154, v158
	v_mul_f32_e32 v12, v3, v12
	ds_read2_b64 v[134:137], v1 offset0:113 offset1:114
	ds_read2_b64 v[150:153], v1 offset0:115 offset1:116
	v_add_f32_e32 v6, v6, v142
	s_waitcnt vmcnt(9)
	v_fma_f32 v143, v144, v203, -v162
	v_fmac_f32_e32 v159, v145, v203
	v_add_f32_e32 v8, v8, v155
	v_mul_f32_e32 v142, v5, v176
	v_fmac_f32_e32 v7, v3, v202
	v_fma_f32 v2, v2, v202, -v12
	v_add_f32_e32 v3, v6, v143
	v_mul_f32_e32 v160, v4, v176
	v_add_f32_e32 v6, v8, v159
	s_waitcnt lgkmcnt(2)
	v_mul_f32_e32 v8, v147, v173
	v_fma_f32 v4, v4, v201, -v142
	v_add_f32_e32 v2, v3, v2
	v_mul_f32_e32 v167, v146, v173
	v_fmac_f32_e32 v160, v5, v201
	v_add_f32_e32 v3, v6, v7
	v_mul_f32_e32 v5, v149, v172
	v_fma_f32 v6, v146, v179, -v8
	v_add_f32_e32 v2, v2, v4
	v_mul_f32_e32 v9, v148, v172
	v_fmac_f32_e32 v167, v147, v179
	v_add_f32_e32 v3, v3, v160
	s_waitcnt lgkmcnt(1)
	v_mul_f32_e32 v4, v135, v188
	s_waitcnt vmcnt(5)
	v_fma_f32 v5, v148, v205, -v5
	v_add_f32_e32 v2, v2, v6
	ds_read2_b64 v[138:141], v1 offset0:117 offset1:118
	ds_read_b64 v[10:11], v1 offset:952
	v_mul_f32_e32 v164, v134, v188
	v_fmac_f32_e32 v9, v149, v205
	v_add_f32_e32 v3, v3, v167
	v_mul_f32_e32 v6, v137, v189
	v_fma_f32 v4, v134, v204, -v4
	v_add_f32_e32 v2, v2, v5
	v_mul_f32_e32 v161, v136, v189
	v_fmac_f32_e32 v164, v135, v204
	v_add_f32_e32 v3, v3, v9
	s_waitcnt lgkmcnt(2)
	v_mul_f32_e32 v5, v151, v190
	v_fma_f32 v6, v136, v193, -v6
	v_add_f32_e32 v2, v2, v4
	v_mul_f32_e32 v166, v150, v190
	v_fmac_f32_e32 v161, v137, v193
	v_add_f32_e32 v3, v3, v164
	v_mul_f32_e32 v4, v153, v198
	v_fma_f32 v5, v150, v180, -v5
	v_add_f32_e32 v2, v2, v6
	v_mul_f32_e32 v169, v152, v198
	v_fmac_f32_e32 v166, v151, v180
	v_add_f32_e32 v3, v3, v161
	s_waitcnt lgkmcnt(1)
	v_mul_f32_e32 v6, v139, v178
	s_waitcnt vmcnt(1)
	v_fma_f32 v4, v152, v209, -v4
	v_add_f32_e32 v2, v2, v5
	v_mul_f32_e32 v165, v138, v178
	v_fmac_f32_e32 v169, v153, v209
	v_add_f32_e32 v3, v3, v166
	v_mul_f32_e32 v5, v141, v199
	v_fma_f32 v6, v138, v208, -v6
	v_add_f32_e32 v2, v2, v4
	v_mul_f32_e32 v170, v140, v199
	v_fmac_f32_e32 v165, v139, v208
	v_add_f32_e32 v3, v3, v169
	s_waitcnt lgkmcnt(0)
	v_mul_f32_e32 v4, v11, v200
	v_fma_f32 v5, v140, v207, -v5
	v_add_f32_e32 v2, v2, v6
	v_mul_f32_e32 v156, v10, v200
	v_fmac_f32_e32 v170, v141, v207
	v_add_f32_e32 v3, v3, v165
	v_fma_f32 v4, v10, v206, -v4
	v_add_f32_e32 v2, v2, v5
	v_fmac_f32_e32 v156, v11, v206
	v_add_f32_e32 v3, v3, v170
	v_add_f32_e32 v2, v2, v4
	;; [unrolled: 1-line block ×3, first 2 shown]
	s_waitcnt vmcnt(0)
	v_sub_f32_e32 v2, v210, v2
	v_sub_f32_e32 v3, v175, v3
	buffer_store_dword v2, off, s[0:3], 0 offset:64
	buffer_store_dword v3, off, s[0:3], 0 offset:68
	v_cmpx_lt_u32_e32 7, v0
	s_cbranch_execz .LBB59_359
; %bb.358:
	s_clause 0x1
	buffer_load_dword v2, off, s[0:3], 0 offset:56
	buffer_load_dword v3, off, s[0:3], 0 offset:60
	buffer_store_dword v1, off, s[0:3], 0 offset:56
	buffer_store_dword v1, off, s[0:3], 0 offset:60
	s_waitcnt vmcnt(0)
	ds_write_b64 v133, v[2:3]
.LBB59_359:
	s_or_b32 exec_lo, exec_lo, s4
	s_waitcnt lgkmcnt(0)
	s_waitcnt_vscnt null, 0x0
	s_barrier
	buffer_gl0_inv
	s_clause 0x3b
	buffer_load_dword v169, off, s[0:3], 0 offset:68
	buffer_load_dword v2, off, s[0:3], 0 offset:80
	buffer_load_dword v4, off, s[0:3], 0 offset:72
	buffer_load_dword v7, off, s[0:3], 0 offset:64
	buffer_load_dword v6, off, s[0:3], 0 offset:76
	buffer_load_dword v5, off, s[0:3], 0 offset:84
	buffer_load_dword v3, off, s[0:3], 0 offset:92
	buffer_load_dword v8, off, s[0:3], 0 offset:112
	buffer_load_dword v10, off, s[0:3], 0 offset:104
	buffer_load_dword v12, off, s[0:3], 0 offset:96
	buffer_load_dword v136, off, s[0:3], 0 offset:88
	buffer_load_dword v135, off, s[0:3], 0 offset:100
	buffer_load_dword v134, off, s[0:3], 0 offset:108
	buffer_load_dword v11, off, s[0:3], 0 offset:116
	buffer_load_dword v9, off, s[0:3], 0 offset:124
	buffer_load_dword v137, off, s[0:3], 0 offset:144
	buffer_load_dword v139, off, s[0:3], 0 offset:136
	buffer_load_dword v141, off, s[0:3], 0 offset:128
	buffer_load_dword v144, off, s[0:3], 0 offset:120
	buffer_load_dword v143, off, s[0:3], 0 offset:132
	buffer_load_dword v142, off, s[0:3], 0 offset:140
	buffer_load_dword v140, off, s[0:3], 0 offset:148
	buffer_load_dword v138, off, s[0:3], 0 offset:156
	buffer_load_dword v145, off, s[0:3], 0 offset:176
	buffer_load_dword v146, off, s[0:3], 0 offset:168
	buffer_load_dword v148, off, s[0:3], 0 offset:160
	buffer_load_dword v151, off, s[0:3], 0 offset:152
	buffer_load_dword v150, off, s[0:3], 0 offset:164
	buffer_load_dword v149, off, s[0:3], 0 offset:172
	buffer_load_dword v147, off, s[0:3], 0 offset:180
	buffer_load_dword v152, off, s[0:3], 0 offset:188
	buffer_load_dword v153, off, s[0:3], 0 offset:208
	buffer_load_dword v154, off, s[0:3], 0 offset:200
	buffer_load_dword v156, off, s[0:3], 0 offset:192
	buffer_load_dword v160, off, s[0:3], 0 offset:184
	buffer_load_dword v158, off, s[0:3], 0 offset:196
	buffer_load_dword v157, off, s[0:3], 0 offset:204
	buffer_load_dword v155, off, s[0:3], 0 offset:212
	buffer_load_dword v159, off, s[0:3], 0 offset:220
	buffer_load_dword v161, off, s[0:3], 0 offset:240
	buffer_load_dword v164, off, s[0:3], 0 offset:232
	buffer_load_dword v165, off, s[0:3], 0 offset:224
	buffer_load_dword v168, off, s[0:3], 0 offset:216
	buffer_load_dword v167, off, s[0:3], 0 offset:228
	buffer_load_dword v166, off, s[0:3], 0 offset:236
	buffer_load_dword v162, off, s[0:3], 0 offset:244
	buffer_load_dword v163, off, s[0:3], 0 offset:252
	buffer_load_dword v170, off, s[0:3], 0 offset:272
	buffer_load_dword v171, off, s[0:3], 0 offset:276
	buffer_load_dword v172, off, s[0:3], 0 offset:264
	buffer_load_dword v174, off, s[0:3], 0 offset:256
	buffer_load_dword v177, off, s[0:3], 0 offset:248
	buffer_load_dword v176, off, s[0:3], 0 offset:260
	buffer_load_dword v175, off, s[0:3], 0 offset:268
	buffer_load_dword v173, off, s[0:3], 0 offset:284
	buffer_load_dword v178, off, s[0:3], 0 offset:304
	buffer_load_dword v179, off, s[0:3], 0 offset:296
	buffer_load_dword v180, off, s[0:3], 0 offset:288
	buffer_load_dword v182, off, s[0:3], 0 offset:280
	buffer_load_dword v181, off, s[0:3], 0 offset:292
	ds_read_b128 v[183:186], v1 offset:544
	ds_read_b128 v[187:190], v1 offset:560
	;; [unrolled: 1-line block ×3, first 2 shown]
	s_mov_b32 s4, exec_lo
	s_waitcnt vmcnt(59) lgkmcnt(2)
	v_mul_f32_e32 v195, v183, v169
	v_mul_f32_e32 v196, v184, v169
	buffer_load_dword v169, off, s[0:3], 0 offset:60
	s_waitcnt vmcnt(56)
	v_mul_f32_e32 v197, v185, v6
	v_mul_f32_e32 v6, v186, v6
	v_fmac_f32_e32 v195, v184, v7
	v_fma_f32 v196, v183, v7, -v196
	s_waitcnt vmcnt(55) lgkmcnt(1)
	v_mul_f32_e32 v199, v187, v5
	v_fmac_f32_e32 v197, v186, v4
	v_fma_f32 v198, v185, v4, -v6
	v_mul_f32_e32 v183, v188, v5
	ds_read_b128 v[4:7], v1 offset:592
	v_fmac_f32_e32 v199, v188, v2
	s_waitcnt vmcnt(49) lgkmcnt(1)
	v_mul_f32_e32 v203, v191, v135
	v_mul_f32_e32 v201, v189, v3
	v_fma_f32 v200, v187, v2, -v183
	v_mul_f32_e32 v2, v190, v3
	ds_read_b128 v[183:186], v1 offset:608
	v_fmac_f32_e32 v203, v192, v12
	v_fmac_f32_e32 v201, v190, v136
	v_fma_f32 v202, v189, v136, -v2
	v_mul_f32_e32 v2, v192, v135
	ds_read_b128 v[187:190], v1 offset:624
	v_fma_f32 v12, v191, v12, -v2
	s_waitcnt vmcnt(48)
	v_mul_f32_e32 v191, v193, v134
	v_mul_f32_e32 v2, v194, v134
	s_waitcnt vmcnt(47) lgkmcnt(2)
	v_mul_f32_e32 v192, v4, v11
	v_fmac_f32_e32 v191, v194, v10
	v_fma_f32 v10, v193, v10, -v2
	v_mul_f32_e32 v2, v5, v11
	s_waitcnt vmcnt(46)
	v_mul_f32_e32 v193, v6, v9
	v_fmac_f32_e32 v192, v5, v8
	s_waitcnt vmcnt(41) lgkmcnt(1)
	v_mul_f32_e32 v194, v183, v143
	v_fma_f32 v11, v4, v8, -v2
	v_mul_f32_e32 v2, v7, v9
	v_fmac_f32_e32 v193, v7, v144
	v_fmac_f32_e32 v194, v184, v141
	s_waitcnt vmcnt(39) lgkmcnt(0)
	v_mul_f32_e32 v134, v188, v140
	v_fma_f32 v144, v6, v144, -v2
	v_mul_f32_e32 v6, v184, v143
	ds_read_b128 v[2:5], v1 offset:640
	v_mul_f32_e32 v143, v185, v142
	v_fma_f32 v141, v183, v141, -v6
	v_mul_f32_e32 v6, v186, v142
	v_fmac_f32_e32 v143, v186, v139
	v_mul_f32_e32 v142, v187, v140
	v_fma_f32 v140, v187, v137, -v134
	s_waitcnt vmcnt(38)
	v_mul_f32_e32 v183, v189, v138
	v_fma_f32 v139, v185, v139, -v6
	ds_read_b128 v[6:9], v1 offset:656
	v_mul_f32_e32 v134, v190, v138
	v_fmac_f32_e32 v142, v188, v137
	s_waitcnt vmcnt(34)
	v_fmac_f32_e32 v183, v190, v151
	v_fma_f32 v138, v189, v151, -v134
	ds_read_b128 v[134:137], v1 offset:672
	s_waitcnt vmcnt(33) lgkmcnt(2)
	v_mul_f32_e32 v151, v2, v150
	v_mul_f32_e32 v150, v3, v150
	v_fmac_f32_e32 v151, v3, v148
	v_fma_f32 v148, v2, v148, -v150
	s_waitcnt vmcnt(32)
	v_mul_f32_e32 v150, v4, v149
	v_mul_f32_e32 v2, v5, v149
	s_waitcnt vmcnt(31) lgkmcnt(1)
	v_mul_f32_e32 v149, v6, v147
	v_fmac_f32_e32 v150, v5, v146
	v_fma_f32 v146, v4, v146, -v2
	v_mul_f32_e32 v2, v7, v147
	s_waitcnt vmcnt(30)
	v_mul_f32_e32 v147, v8, v152
	v_mul_f32_e32 v152, v9, v152
	v_fmac_f32_e32 v149, v7, v145
	v_fma_f32 v145, v6, v145, -v2
	ds_read_b128 v[2:5], v1 offset:688
	s_waitcnt vmcnt(26)
	v_fmac_f32_e32 v147, v9, v160
	v_fma_f32 v152, v8, v160, -v152
	ds_read_b128 v[6:9], v1 offset:704
	s_waitcnt vmcnt(25) lgkmcnt(2)
	v_mul_f32_e32 v160, v134, v158
	v_mul_f32_e32 v158, v135, v158
	v_fmac_f32_e32 v160, v135, v156
	s_waitcnt vmcnt(24)
	v_mul_f32_e32 v135, v136, v157
	v_fma_f32 v134, v134, v156, -v158
	v_mul_f32_e32 v156, v137, v157
	buffer_load_dword v158, off, s[0:3], 0 offset:308
	v_fmac_f32_e32 v135, v137, v154
	buffer_load_dword v137, off, s[0:3], 0 offset:300
	v_fma_f32 v136, v136, v154, -v156
	s_waitcnt vmcnt(25) lgkmcnt(1)
	v_mul_f32_e32 v154, v2, v155
	v_mul_f32_e32 v155, v3, v155
	s_waitcnt vmcnt(24)
	v_mul_f32_e32 v156, v4, v159
	v_mul_f32_e32 v157, v5, v159
	v_fmac_f32_e32 v154, v3, v153
	v_fma_f32 v153, v2, v153, -v155
	s_waitcnt vmcnt(20)
	v_fmac_f32_e32 v156, v5, v168
	v_fma_f32 v155, v4, v168, -v157
	ds_read_b128 v[2:5], v1 offset:720
	s_waitcnt vmcnt(19) lgkmcnt(1)
	v_mul_f32_e32 v157, v6, v167
	v_mul_f32_e32 v159, v7, v167
	s_waitcnt vmcnt(18)
	v_mul_f32_e32 v167, v8, v166
	v_mul_f32_e32 v166, v9, v166
	buffer_load_dword v168, off, s[0:3], 0 offset:316
	v_fmac_f32_e32 v157, v7, v165
	v_fma_f32 v159, v6, v165, -v159
	v_add_f32_e32 v6, 0, v195
	v_add_f32_e32 v7, 0, v196
	v_fmac_f32_e32 v167, v9, v164
	v_fma_f32 v164, v8, v164, -v166
	s_clause 0x3
	buffer_load_dword v165, off, s[0:3], 0 offset:336
	buffer_load_dword v166, off, s[0:3], 0 offset:328
	;; [unrolled: 1-line block ×4, first 2 shown]
	v_add_f32_e32 v6, v6, v197
	v_add_f32_e32 v7, v7, v198
	s_clause 0x3
	buffer_load_dword v186, off, s[0:3], 0 offset:324
	buffer_load_dword v187, off, s[0:3], 0 offset:332
	;; [unrolled: 1-line block ×4, first 2 shown]
	v_add_f32_e32 v6, v6, v199
	v_add_f32_e32 v7, v7, v200
	s_waitcnt vmcnt(26) lgkmcnt(0)
	v_mul_f32_e32 v190, v2, v162
	v_mul_f32_e32 v8, v3, v162
	s_waitcnt vmcnt(25)
	v_mul_f32_e32 v162, v4, v163
	v_add_f32_e32 v6, v6, v201
	v_add_f32_e32 v7, v7, v202
	v_mul_f32_e32 v9, v5, v163
	v_fmac_f32_e32 v190, v3, v161
	v_fma_f32 v161, v2, v161, -v8
	v_add_f32_e32 v6, v6, v203
	v_add_f32_e32 v7, v7, v12
	s_waitcnt vmcnt(20)
	v_fmac_f32_e32 v162, v5, v177
	v_fma_f32 v163, v4, v177, -v9
	ds_read_b128 v[2:5], v1 offset:736
	v_add_f32_e32 v6, v6, v191
	v_add_f32_e32 v7, v7, v10
	s_clause 0x3
	buffer_load_dword v12, off, s[0:3], 0 offset:368
	buffer_load_dword v177, off, s[0:3], 0 offset:360
	;; [unrolled: 1-line block ×4, first 2 shown]
	v_add_f32_e32 v6, v6, v192
	v_add_f32_e32 v10, v7, v11
	s_clause 0x2
	buffer_load_dword v11, off, s[0:3], 0 offset:356
	buffer_load_dword v191, off, s[0:3], 0 offset:364
	;; [unrolled: 1-line block ×3, first 2 shown]
	v_add_f32_e32 v193, v6, v193
	ds_read_b128 v[6:9], v1 offset:752
	v_add_f32_e32 v10, v10, v144
	v_add_f32_e32 v193, v193, v194
	;; [unrolled: 1-line block ×3, first 2 shown]
	s_waitcnt vmcnt(26) lgkmcnt(1)
	v_mul_f32_e32 v144, v2, v176
	v_mul_f32_e32 v176, v3, v176
	s_waitcnt vmcnt(25)
	v_mul_f32_e32 v141, v5, v175
	v_mul_f32_e32 v194, v4, v175
	v_fmac_f32_e32 v144, v3, v174
	v_fma_f32 v174, v2, v174, -v176
	v_add_f32_e32 v2, v193, v143
	v_add_f32_e32 v3, v10, v139
	v_fma_f32 v143, v4, v172, -v141
	s_clause 0x3
	buffer_load_dword v10, off, s[0:3], 0 offset:380
	buffer_load_dword v175, off, s[0:3], 0 offset:388
	;; [unrolled: 1-line block ×4, first 2 shown]
	v_fmac_f32_e32 v194, v5, v172
	v_add_f32_e32 v2, v2, v142
	v_add_f32_e32 v3, v3, v140
	s_waitcnt lgkmcnt(0)
	v_mul_f32_e32 v142, v6, v171
	v_mul_f32_e32 v4, v7, v171
	s_clause 0x3
	buffer_load_dword v172, off, s[0:3], 0 offset:412
	buffer_load_dword v197, off, s[0:3], 0 offset:420
	;; [unrolled: 1-line block ×4, first 2 shown]
	v_add_f32_e32 v2, v2, v183
	v_add_f32_e32 v3, v3, v138
	s_clause 0x4
	buffer_load_dword v183, off, s[0:3], 0 offset:444
	buffer_load_dword v200, off, s[0:3], 0 offset:452
	;; [unrolled: 1-line block ×5, first 2 shown]
	v_fmac_f32_e32 v142, v7, v170
	v_add_f32_e32 v2, v2, v151
	v_add_f32_e32 v3, v3, v148
	v_fma_f32 v148, v6, v170, -v4
	s_clause 0x3
	buffer_load_dword v170, off, s[0:3], 0 offset:400
	buffer_load_dword v203, off, s[0:3], 0 offset:392
	;; [unrolled: 1-line block ×4, first 2 shown]
	v_add_f32_e32 v6, v2, v150
	v_add_f32_e32 v2, v3, v146
	;; [unrolled: 1-line block ×4, first 2 shown]
	s_waitcnt vmcnt(41)
	v_mul_f32_e32 v2, v9, v173
	v_mul_f32_e32 v145, v8, v173
	v_add_f32_e32 v6, v6, v147
	v_add_f32_e32 v7, v7, v152
	s_waitcnt vmcnt(37)
	v_fma_f32 v146, v8, v182, -v2
	ds_read_b128 v[2:5], v1 offset:768
	v_fmac_f32_e32 v145, v9, v182
	s_clause 0x3
	buffer_load_dword v173, off, s[0:3], 0 offset:432
	buffer_load_dword v182, off, s[0:3], 0 offset:424
	buffer_load_dword v206, off, s[0:3], 0 offset:416
	buffer_load_dword v207, off, s[0:3], 0 offset:408
	v_add_f32_e32 v7, v7, v134
	v_add_f32_e32 v6, v6, v160
	v_add_f32_e32 v134, v7, v136
	v_add_f32_e32 v135, v6, v135
	ds_read_b128 v[6:9], v1 offset:784
	v_add_f32_e32 v134, v134, v153
	v_add_f32_e32 v135, v135, v154
	s_waitcnt vmcnt(40) lgkmcnt(1)
	v_mul_f32_e32 v147, v2, v181
	v_mul_f32_e32 v136, v3, v181
	v_fmac_f32_e32 v147, v3, v180
	v_fma_f32 v149, v2, v180, -v136
	v_add_f32_e32 v2, v134, v155
	v_add_f32_e32 v3, v135, v156
	s_clause 0x3
	buffer_load_dword v154, off, s[0:3], 0 offset:464
	buffer_load_dword v155, off, s[0:3], 0 offset:456
	;; [unrolled: 1-line block ×4, first 2 shown]
	v_add_f32_e32 v2, v2, v159
	buffer_load_dword v159, off, s[0:3], 0 offset:472
	v_add_f32_e32 v3, v3, v157
	buffer_load_dword v157, off, s[0:3], 0 offset:56
	v_add_f32_e32 v2, v2, v164
	v_add_f32_e32 v135, v3, v167
	;; [unrolled: 1-line block ×13, first 2 shown]
	s_waitcnt vmcnt(44) lgkmcnt(0)
	v_mul_f32_e32 v152, v6, v158
	v_mul_f32_e32 v140, v7, v158
	s_waitcnt vmcnt(43)
	v_mul_f32_e32 v150, v4, v137
	v_mul_f32_e32 v134, v5, v137
	v_fmac_f32_e32 v152, v7, v178
	v_fma_f32 v158, v6, v178, -v140
	v_fmac_f32_e32 v150, v5, v179
	v_fma_f32 v151, v4, v179, -v134
	ds_read_b128 v[2:5], v1 offset:800
	ds_read_b128 v[134:137], v1 offset:816
	v_add_f32_e32 v179, v146, v149
	v_add_f32_e32 v151, v179, v151
	s_waitcnt vmcnt(42)
	v_mul_f32_e32 v153, v8, v168
	v_mul_f32_e32 v141, v9, v168
	s_waitcnt vmcnt(38)
	v_fmac_f32_e32 v153, v9, v185
	v_fma_f32 v162, v8, v185, -v141
	ds_read_b128 v[6:9], v1 offset:832
	ds_read_b128 v[138:141], v1 offset:848
	s_waitcnt vmcnt(36) lgkmcnt(3)
	v_mul_f32_e32 v164, v4, v187
	v_mul_f32_e32 v167, v5, v187
	;; [unrolled: 1-line block ×4, first 2 shown]
	s_waitcnt vmcnt(35) lgkmcnt(2)
	v_mul_f32_e32 v168, v134, v188
	v_fmac_f32_e32 v164, v5, v166
	v_fma_f32 v166, v4, v166, -v167
	v_add_f32_e32 v167, v142, v145
	v_fma_f32 v163, v2, v184, -v163
	v_fmac_f32_e32 v161, v3, v184
	v_mul_f32_e32 v148, v135, v188
	s_waitcnt vmcnt(34)
	v_mul_f32_e32 v178, v137, v189
	v_add_f32_e32 v167, v167, v147
	v_fmac_f32_e32 v168, v135, v165
	v_mul_f32_e32 v174, v136, v189
	v_fma_f32 v165, v134, v165, -v148
	ds_read_b128 v[2:5], v1 offset:864
	ds_read_b128 v[142:145], v1 offset:880
	v_add_f32_e32 v150, v167, v150
	s_waitcnt vmcnt(30)
	v_fma_f32 v178, v136, v196, -v178
	v_fmac_f32_e32 v174, v137, v196
	v_add_f32_e32 v150, v150, v152
	s_waitcnt vmcnt(29) lgkmcnt(3)
	v_mul_f32_e32 v179, v6, v11
	v_mul_f32_e32 v11, v7, v11
	s_waitcnt vmcnt(28)
	v_mul_f32_e32 v167, v8, v191
	v_mul_f32_e32 v180, v9, v191
	ds_read_b128 v[134:137], v1 offset:896
	ds_read_b128 v[146:149], v1 offset:912
	v_fmac_f32_e32 v179, v7, v195
	v_add_f32_e32 v7, v151, v158
	v_fmac_f32_e32 v167, v9, v177
	v_fma_f32 v158, v8, v177, -v180
	v_add_f32_e32 v177, v150, v153
	v_fma_f32 v11, v6, v195, -v11
	v_add_f32_e32 v162, v7, v162
	ds_read_b128 v[6:9], v1 offset:928
	ds_read_b128 v[150:153], v1 offset:944
	s_waitcnt vmcnt(27) lgkmcnt(6)
	v_mul_f32_e32 v1, v138, v192
	v_add_f32_e32 v161, v177, v161
	v_add_f32_e32 v162, v162, v163
	v_mul_f32_e32 v163, v139, v192
	v_fmac_f32_e32 v1, v139, v12
	v_add_f32_e32 v161, v161, v164
	v_add_f32_e32 v162, v162, v166
	s_waitcnt vmcnt(26)
	v_mul_f32_e32 v177, v140, v10
	v_mul_f32_e32 v10, v141, v10
	v_add_f32_e32 v161, v161, v168
	v_fma_f32 v12, v138, v12, -v163
	v_add_f32_e32 v162, v162, v165
	s_waitcnt vmcnt(25) lgkmcnt(5)
	v_mul_f32_e32 v166, v2, v175
	s_waitcnt vmcnt(24)
	v_mul_f32_e32 v164, v4, v176
	v_add_f32_e32 v161, v161, v174
	s_waitcnt vmcnt(23) lgkmcnt(4)
	v_mul_f32_e32 v180, v142, v193
	v_add_f32_e32 v162, v162, v178
	s_waitcnt vmcnt(22)
	v_mul_f32_e32 v165, v144, v172
	s_waitcnt vmcnt(21) lgkmcnt(3)
	v_mul_f32_e32 v168, v134, v197
	v_add_f32_e32 v161, v161, v179
	s_waitcnt vmcnt(20)
	v_mul_f32_e32 v181, v136, v198
	v_add_f32_e32 v11, v162, v11
	s_waitcnt vmcnt(12)
	v_fmac_f32_e32 v164, v5, v203
	s_waitcnt vmcnt(11)
	v_fmac_f32_e32 v166, v3, v204
	v_add_f32_e32 v139, v161, v167
	s_waitcnt vmcnt(10)
	v_fma_f32 v10, v140, v205, -v10
	v_add_f32_e32 v11, v11, v158
	v_mul_f32_e32 v158, v3, v175
	v_fmac_f32_e32 v177, v141, v205
	v_add_f32_e32 v1, v139, v1
	v_fmac_f32_e32 v180, v143, v170
	v_add_f32_e32 v11, v11, v12
	v_mul_f32_e32 v12, v5, v176
	v_fma_f32 v2, v2, v204, -v158
	v_add_f32_e32 v1, v1, v177
	s_waitcnt lgkmcnt(2)
	v_mul_f32_e32 v178, v146, v199
	v_add_f32_e32 v3, v11, v10
	v_mul_f32_e32 v10, v143, v193
	v_fma_f32 v4, v4, v203, -v12
	v_add_f32_e32 v1, v1, v166
	s_waitcnt vmcnt(7)
	v_fmac_f32_e32 v168, v135, v206
	v_add_f32_e32 v2, v3, v2
	v_mul_f32_e32 v3, v145, v172
	v_fma_f32 v5, v142, v170, -v10
	v_add_f32_e32 v1, v1, v164
	s_waitcnt vmcnt(6)
	v_fmac_f32_e32 v165, v145, v207
	v_add_f32_e32 v2, v2, v4
	v_mul_f32_e32 v4, v135, v197
	v_fma_f32 v3, v144, v207, -v3
	v_add_f32_e32 v1, v1, v180
	v_fmac_f32_e32 v181, v137, v182
	v_add_f32_e32 v2, v2, v5
	v_mul_f32_e32 v5, v137, v198
	v_fma_f32 v4, v134, v206, -v4
	v_add_f32_e32 v1, v1, v165
	v_mul_f32_e32 v174, v148, v183
	v_add_f32_e32 v2, v2, v3
	v_mul_f32_e32 v3, v147, v199
	v_fma_f32 v5, v136, v182, -v5
	v_add_f32_e32 v1, v1, v168
	v_fmac_f32_e32 v178, v147, v173
	v_add_f32_e32 v2, v2, v4
	v_mul_f32_e32 v4, v149, v183
	v_fma_f32 v3, v146, v173, -v3
	v_add_f32_e32 v1, v1, v181
	s_waitcnt lgkmcnt(1)
	v_mul_f32_e32 v184, v6, v200
	v_add_f32_e32 v2, v2, v5
	v_mul_f32_e32 v5, v7, v200
	s_waitcnt vmcnt(2)
	v_fma_f32 v4, v148, v160, -v4
	v_fmac_f32_e32 v174, v149, v160
	v_add_f32_e32 v1, v1, v178
	v_add_f32_e32 v2, v2, v3
	v_mul_f32_e32 v3, v9, v201
	v_fma_f32 v5, v6, v156, -v5
	v_mul_f32_e32 v162, v8, v201
	v_fmac_f32_e32 v184, v7, v156
	v_add_f32_e32 v2, v2, v4
	v_add_f32_e32 v1, v1, v174
	s_waitcnt lgkmcnt(0)
	v_mul_f32_e32 v4, v151, v202
	v_fma_f32 v3, v8, v155, -v3
	v_mul_f32_e32 v179, v150, v202
	v_add_f32_e32 v2, v2, v5
	v_fmac_f32_e32 v162, v9, v155
	v_add_f32_e32 v1, v1, v184
	v_mul_f32_e32 v5, v153, v171
	v_fma_f32 v4, v150, v154, -v4
	v_add_f32_e32 v2, v2, v3
	v_mul_f32_e32 v138, v152, v171
	v_fmac_f32_e32 v179, v151, v154
	v_add_f32_e32 v1, v1, v162
	s_waitcnt vmcnt(1)
	v_fma_f32 v3, v152, v159, -v5
	v_add_f32_e32 v2, v2, v4
	v_fmac_f32_e32 v138, v153, v159
	v_add_f32_e32 v1, v1, v179
	v_add_f32_e32 v2, v2, v3
	;; [unrolled: 1-line block ×3, first 2 shown]
	s_waitcnt vmcnt(0)
	v_sub_f32_e32 v2, v157, v2
	v_sub_f32_e32 v1, v169, v1
	buffer_store_dword v2, off, s[0:3], 0 offset:56
	buffer_store_dword v1, off, s[0:3], 0 offset:60
	v_cmpx_lt_u32_e32 6, v0
	s_cbranch_execz .LBB59_361
; %bb.360:
	s_clause 0x1
	buffer_load_dword v1, off, s[0:3], 0 offset:48
	buffer_load_dword v2, off, s[0:3], 0 offset:52
	v_mov_b32_e32 v3, 0
	buffer_store_dword v3, off, s[0:3], 0 offset:48
	buffer_store_dword v3, off, s[0:3], 0 offset:52
	s_waitcnt vmcnt(0)
	ds_write_b64 v133, v[1:2]
.LBB59_361:
	s_or_b32 exec_lo, exec_lo, s4
	s_waitcnt lgkmcnt(0)
	s_waitcnt_vscnt null, 0x0
	s_barrier
	buffer_gl0_inv
	s_clause 0x3b
	buffer_load_dword v9, off, s[0:3], 0 offset:60
	buffer_load_dword v2, off, s[0:3], 0 offset:72
	;; [unrolled: 1-line block ×60, first 2 shown]
	v_mov_b32_e32 v1, 0
	ds_read2_b64 v[179:182], v1 offset0:67 offset1:68
	ds_read2_b64 v[183:186], v1 offset0:69 offset1:70
	;; [unrolled: 1-line block ×3, first 2 shown]
	buffer_load_dword v196, off, s[0:3], 0 offset:52
	s_mov_b32 s4, exec_lo
	s_waitcnt vmcnt(60) lgkmcnt(2)
	v_mul_f32_e32 v195, v179, v9
	v_mul_f32_e32 v9, v180, v9
	s_waitcnt vmcnt(56)
	v_mul_f32_e32 v197, v181, v6
	v_mul_f32_e32 v6, v182, v6
	v_fmac_f32_e32 v195, v180, v7
	v_fma_f32 v9, v179, v7, -v9
	s_waitcnt vmcnt(55) lgkmcnt(1)
	v_mul_f32_e32 v199, v183, v5
	v_fmac_f32_e32 v197, v182, v4
	v_fma_f32 v198, v181, v4, -v6
	v_mul_f32_e32 v179, v184, v5
	ds_read2_b64 v[4:7], v1 offset0:73 offset1:74
	v_fmac_f32_e32 v199, v184, v2
	s_waitcnt vmcnt(54)
	v_mul_f32_e32 v201, v185, v3
	s_waitcnt vmcnt(49) lgkmcnt(1)
	v_mul_f32_e32 v202, v187, v168
	v_fma_f32 v200, v183, v2, -v179
	v_mul_f32_e32 v2, v186, v3
	ds_read2_b64 v[179:182], v1 offset0:75 offset1:76
	v_fmac_f32_e32 v201, v186, v169
	v_fmac_f32_e32 v202, v188, v164
	v_add_f32_e32 v9, 0, v9
	v_fma_f32 v169, v185, v169, -v2
	v_mul_f32_e32 v2, v188, v168
	ds_read2_b64 v[183:186], v1 offset0:77 offset1:78
	v_add_f32_e32 v9, v9, v198
	v_fma_f32 v168, v187, v164, -v2
	s_waitcnt vmcnt(48)
	v_mul_f32_e32 v187, v189, v165
	v_mul_f32_e32 v2, v190, v165
	v_add_f32_e32 v9, v9, v200
	s_waitcnt vmcnt(47) lgkmcnt(2)
	v_mul_f32_e32 v188, v4, v160
	v_fmac_f32_e32 v187, v190, v156
	v_fma_f32 v156, v189, v156, -v2
	v_mul_f32_e32 v2, v5, v160
	v_fmac_f32_e32 v188, v5, v144
	s_waitcnt vmcnt(46)
	v_mul_f32_e32 v189, v6, v153
	v_fma_f32 v144, v4, v144, -v2
	v_mul_f32_e32 v2, v7, v153
	s_waitcnt vmcnt(42)
	v_fmac_f32_e32 v189, v7, v167
	s_waitcnt vmcnt(41) lgkmcnt(1)
	v_mul_f32_e32 v153, v179, v166
	v_mul_f32_e32 v7, v180, v166
	v_fma_f32 v6, v6, v167, -v2
	ds_read2_b64 v[2:5], v1 offset0:79 offset1:80
	ds_read2_b64 v[164:167], v1 offset0:81 offset1:82
	v_fmac_f32_e32 v153, v180, v159
	v_fma_f32 v179, v179, v159, -v7
	s_waitcnt vmcnt(40)
	v_mul_f32_e32 v180, v181, v161
	v_mul_f32_e32 v7, v182, v161
	v_fmac_f32_e32 v180, v182, v151
	v_fma_f32 v181, v181, v151, -v7
	s_waitcnt vmcnt(39) lgkmcnt(2)
	v_mul_f32_e32 v182, v183, v157
	v_mul_f32_e32 v7, v184, v157
	s_waitcnt vmcnt(38)
	v_mul_f32_e32 v157, v185, v149
	v_fmac_f32_e32 v182, v184, v139
	v_fma_f32 v139, v183, v139, -v7
	v_mul_f32_e32 v7, v186, v149
	s_waitcnt vmcnt(34)
	v_fmac_f32_e32 v157, v186, v163
	s_waitcnt vmcnt(33) lgkmcnt(1)
	v_mul_f32_e32 v183, v2, v162
	s_waitcnt vmcnt(30) lgkmcnt(0)
	v_mul_f32_e32 v186, v166, v146
	v_fma_f32 v163, v185, v163, -v7
	v_mul_f32_e32 v7, v3, v162
	ds_read2_b64 v[159:162], v1 offset0:83 offset1:84
	v_mul_f32_e32 v185, v4, v154
	v_fmac_f32_e32 v183, v3, v152
	s_waitcnt vmcnt(26)
	v_fmac_f32_e32 v186, v167, v158
	v_fma_f32 v184, v2, v152, -v7
	v_mul_f32_e32 v2, v5, v154
	v_fmac_f32_e32 v185, v5, v142
	v_mul_f32_e32 v154, v164, v150
	v_mul_f32_e32 v7, v167, v146
	v_fma_f32 v142, v4, v142, -v2
	v_mul_f32_e32 v2, v165, v150
	v_fmac_f32_e32 v154, v165, v135
	v_fma_f32 v146, v166, v158, -v7
	ds_read2_b64 v[149:152], v1 offset0:87 offset1:88
	v_fma_f32 v135, v164, v135, -v2
	ds_read2_b64 v[2:5], v1 offset0:85 offset1:86
	s_waitcnt vmcnt(25) lgkmcnt(2)
	v_mul_f32_e32 v158, v159, v155
	v_mul_f32_e32 v7, v160, v155
	s_waitcnt vmcnt(24)
	v_mul_f32_e32 v155, v161, v147
	v_fmac_f32_e32 v158, v160, v145
	v_fma_f32 v145, v159, v145, -v7
	v_mul_f32_e32 v7, v162, v147
	v_fmac_f32_e32 v155, v162, v137
	s_clause 0x1
	buffer_load_dword v147, off, s[0:3], 0 offset:292
	buffer_load_dword v160, off, s[0:3], 0 offset:300
	v_fma_f32 v137, v161, v137, -v7
	buffer_load_dword v161, off, s[0:3], 0 offset:308
	s_waitcnt vmcnt(26) lgkmcnt(0)
	v_mul_f32_e32 v159, v2, v140
	v_mul_f32_e32 v7, v3, v140
	s_waitcnt vmcnt(25)
	v_mul_f32_e32 v140, v4, v138
	v_mul_f32_e32 v138, v5, v138
	v_fmac_f32_e32 v159, v3, v12
	v_fma_f32 v12, v2, v12, -v7
	s_waitcnt vmcnt(21)
	v_fmac_f32_e32 v140, v5, v148
	v_fma_f32 v138, v4, v148, -v138
	ds_read2_b64 v[2:5], v1 offset0:89 offset1:90
	s_waitcnt vmcnt(20)
	v_mul_f32_e32 v148, v149, v143
	v_mul_f32_e32 v7, v150, v143
	s_waitcnt vmcnt(19)
	v_mul_f32_e32 v143, v151, v141
	v_mul_f32_e32 v141, v152, v141
	v_fmac_f32_e32 v148, v150, v136
	v_fma_f32 v136, v149, v136, -v7
	v_add_f32_e32 v7, 0, v195
	v_fmac_f32_e32 v143, v152, v134
	v_fma_f32 v134, v151, v134, -v141
	s_clause 0x6
	buffer_load_dword v149, off, s[0:3], 0 offset:328
	buffer_load_dword v150, off, s[0:3], 0 offset:320
	;; [unrolled: 1-line block ×7, first 2 shown]
	v_add_f32_e32 v7, v7, v197
	buffer_load_dword v165, off, s[0:3], 0 offset:340
	v_add_f32_e32 v7, v7, v199
	s_waitcnt vmcnt(26) lgkmcnt(0)
	v_mul_f32_e32 v166, v2, v11
	v_mul_f32_e32 v11, v3, v11
	s_waitcnt vmcnt(25)
	v_mul_f32_e32 v167, v4, v10
	v_add_f32_e32 v7, v7, v201
	v_mul_f32_e32 v10, v5, v10
	v_fmac_f32_e32 v166, v3, v8
	v_fma_f32 v11, v2, v8, -v11
	v_add_f32_e32 v8, v9, v169
	v_add_f32_e32 v7, v7, v202
	s_waitcnt vmcnt(21)
	v_fmac_f32_e32 v167, v5, v191
	v_fma_f32 v10, v4, v191, -v10
	ds_read2_b64 v[2:5], v1 offset0:91 offset1:92
	v_add_f32_e32 v8, v8, v168
	v_add_f32_e32 v7, v7, v187
	s_clause 0x3
	buffer_load_dword v168, off, s[0:3], 0 offset:360
	buffer_load_dword v169, off, s[0:3], 0 offset:352
	;; [unrolled: 1-line block ×4, first 2 shown]
	v_add_f32_e32 v8, v8, v156
	v_add_f32_e32 v8, v8, v144
	;; [unrolled: 1-line block ×3, first 2 shown]
	s_clause 0x2
	buffer_load_dword v156, off, s[0:3], 0 offset:348
	buffer_load_dword v187, off, s[0:3], 0 offset:356
	;; [unrolled: 1-line block ×3, first 2 shown]
	v_add_f32_e32 v195, v8, v6
	v_add_f32_e32 v144, v144, v189
	ds_read2_b64 v[6:9], v1 offset0:93 offset1:94
	s_waitcnt vmcnt(27) lgkmcnt(1)
	v_mul_f32_e32 v189, v2, v178
	v_mul_f32_e32 v178, v3, v178
	v_add_f32_e32 v179, v195, v179
	s_waitcnt vmcnt(26)
	v_mul_f32_e32 v195, v4, v177
	v_mul_f32_e32 v177, v5, v177
	v_fmac_f32_e32 v189, v3, v176
	v_add_f32_e32 v3, v144, v153
	v_add_f32_e32 v144, v179, v181
	v_fma_f32 v153, v2, v176, -v178
	v_fmac_f32_e32 v195, v5, v174
	v_fma_f32 v174, v4, v174, -v177
	v_add_f32_e32 v2, v3, v180
	v_add_f32_e32 v3, v144, v139
	s_clause 0x7
	buffer_load_dword v176, off, s[0:3], 0 offset:372
	buffer_load_dword v177, off, s[0:3], 0 offset:380
	;; [unrolled: 1-line block ×8, first 2 shown]
	v_add_f32_e32 v2, v2, v182
	v_add_f32_e32 v3, v3, v163
	s_waitcnt vmcnt(33) lgkmcnt(0)
	v_mul_f32_e32 v144, v6, v173
	v_mul_f32_e32 v4, v7, v173
	s_clause 0x1
	buffer_load_dword v163, off, s[0:3], 0 offset:404
	buffer_load_dword v182, off, s[0:3], 0 offset:412
	v_add_f32_e32 v2, v2, v157
	v_add_f32_e32 v3, v3, v184
	v_fmac_f32_e32 v144, v7, v171
	v_fma_f32 v171, v6, v171, -v4
	s_clause 0x1
	buffer_load_dword v157, off, s[0:3], 0 offset:420
	buffer_load_dword v173, off, s[0:3], 0 offset:428
	v_add_f32_e32 v2, v2, v183
	v_add_f32_e32 v3, v3, v142
	s_clause 0x3
	buffer_load_dword v183, off, s[0:3], 0 offset:436
	buffer_load_dword v184, off, s[0:3], 0 offset:444
	;; [unrolled: 1-line block ×4, first 2 shown]
	s_waitcnt vmcnt(40)
	v_mul_f32_e32 v142, v8, v170
	v_add_f32_e32 v2, v2, v185
	v_add_f32_e32 v6, v3, v135
	v_mul_f32_e32 v3, v9, v170
	buffer_load_dword v185, off, s[0:3], 0 offset:468
	s_waitcnt vmcnt(37)
	v_fmac_f32_e32 v142, v9, v193
	v_add_f32_e32 v7, v2, v154
	v_add_f32_e32 v6, v6, v146
	v_fma_f32 v170, v8, v193, -v3
	ds_read2_b64 v[2:5], v1 offset0:95 offset1:96
	buffer_load_dword v154, off, s[0:3], 0 offset:476
	v_add_f32_e32 v7, v7, v186
	v_add_f32_e32 v6, v6, v145
	;; [unrolled: 1-line block ×3, first 2 shown]
	s_clause 0x3
	buffer_load_dword v158, off, s[0:3], 0 offset:424
	buffer_load_dword v186, off, s[0:3], 0 offset:416
	;; [unrolled: 1-line block ×4, first 2 shown]
	v_add_f32_e32 v6, v6, v137
	v_add_f32_e32 v135, v7, v155
	;; [unrolled: 1-line block ×3, first 2 shown]
	ds_read2_b64 v[6:9], v1 offset0:97 offset1:98
	v_add_f32_e32 v135, v135, v159
	v_add_f32_e32 v12, v12, v138
	s_waitcnt vmcnt(41) lgkmcnt(1)
	v_mul_f32_e32 v145, v2, v194
	v_mul_f32_e32 v137, v3, v194
	v_fmac_f32_e32 v145, v3, v192
	v_fma_f32 v146, v2, v192, -v137
	v_add_f32_e32 v3, v12, v136
	s_clause 0x6
	buffer_load_dword v12, off, s[0:3], 0 offset:456
	buffer_load_dword v155, off, s[0:3], 0 offset:448
	buffer_load_dword v159, off, s[0:3], 0 offset:440
	buffer_load_dword v192, off, s[0:3], 0 offset:432
	buffer_load_dword v194, off, s[0:3], 0 offset:472
	buffer_load_dword v202, off, s[0:3], 0 offset:464
	buffer_load_dword v203, off, s[0:3], 0 offset:48
	v_add_f32_e32 v2, v135, v140
	v_add_f32_e32 v3, v3, v134
	;; [unrolled: 1-line block ×18, first 2 shown]
	s_waitcnt vmcnt(46)
	v_mul_f32_e32 v11, v4, v147
	v_mul_f32_e32 v134, v5, v147
	s_waitcnt vmcnt(45) lgkmcnt(0)
	v_mul_f32_e32 v153, v6, v160
	v_mul_f32_e32 v139, v7, v160
	s_waitcnt vmcnt(44)
	v_mul_f32_e32 v160, v8, v161
	v_mul_f32_e32 v140, v9, v161
	v_fmac_f32_e32 v11, v5, v175
	v_fma_f32 v147, v4, v175, -v134
	ds_read2_b64 v[2:5], v1 offset0:99 offset1:100
	ds_read2_b64 v[134:137], v1 offset0:101 offset1:102
	v_fmac_f32_e32 v153, v7, v172
	v_fma_f32 v161, v6, v172, -v139
	v_add_f32_e32 v10, v10, v147
	v_add_f32_e32 v11, v146, v11
	;; [unrolled: 1-line block ×4, first 2 shown]
	s_waitcnt vmcnt(40)
	v_fmac_f32_e32 v160, v9, v141
	v_fma_f32 v166, v8, v141, -v140
	ds_read2_b64 v[6:9], v1 offset0:103 offset1:104
	ds_read2_b64 v[138:141], v1 offset0:105 offset1:106
	s_waitcnt vmcnt(39) lgkmcnt(3)
	v_mul_f32_e32 v167, v2, v152
	v_mul_f32_e32 v148, v3, v152
	s_waitcnt vmcnt(38)
	v_mul_f32_e32 v171, v4, v162
	v_mul_f32_e32 v144, v5, v162
	s_waitcnt vmcnt(37) lgkmcnt(2)
	v_mul_f32_e32 v162, v134, v164
	v_mul_f32_e32 v152, v135, v164
	v_fmac_f32_e32 v167, v3, v151
	v_fma_f32 v151, v2, v151, -v148
	v_fmac_f32_e32 v171, v5, v150
	v_fma_f32 v164, v4, v150, -v144
	s_waitcnt vmcnt(36)
	v_mul_f32_e32 v170, v136, v165
	v_mul_f32_e32 v148, v137, v165
	v_fma_f32 v165, v134, v149, -v152
	v_fmac_f32_e32 v162, v135, v149
	ds_read2_b64 v[2:5], v1 offset0:107 offset1:108
	ds_read2_b64 v[142:145], v1 offset0:109 offset1:110
	s_waitcnt vmcnt(32)
	v_fma_f32 v172, v136, v191, -v148
	v_fmac_f32_e32 v170, v137, v191
	ds_read2_b64 v[134:137], v1 offset0:111 offset1:112
	ds_read2_b64 v[146:149], v1 offset0:113 offset1:114
	s_waitcnt vmcnt(31) lgkmcnt(5)
	v_mul_f32_e32 v161, v6, v156
	v_mul_f32_e32 v150, v7, v156
	s_waitcnt vmcnt(30)
	v_mul_f32_e32 v152, v9, v187
	v_mul_f32_e32 v174, v8, v187
	v_fmac_f32_e32 v161, v7, v190
	v_add_f32_e32 v7, v10, v166
	v_add_f32_e32 v10, v11, v160
	v_fma_f32 v156, v6, v190, -v150
	v_fma_f32 v160, v8, v169, -v152
	v_fmac_f32_e32 v174, v9, v169
	v_add_f32_e32 v166, v7, v151
	v_add_f32_e32 v167, v10, v167
	ds_read2_b64 v[6:9], v1 offset0:115 offset1:116
	ds_read2_b64 v[150:153], v1 offset0:117 offset1:118
	ds_read_b64 v[10:11], v1 offset:952
	s_waitcnt vmcnt(28) lgkmcnt(7)
	v_mul_f32_e32 v175, v141, v176
	v_add_f32_e32 v164, v166, v164
	v_add_f32_e32 v167, v167, v171
	v_mul_f32_e32 v171, v139, v188
	v_mul_f32_e32 v166, v138, v188
	;; [unrolled: 1-line block ×3, first 2 shown]
	v_add_f32_e32 v164, v164, v165
	v_add_f32_e32 v162, v167, v162
	v_fma_f32 v138, v138, v168, -v171
	v_fmac_f32_e32 v166, v139, v168
	s_waitcnt vmcnt(27) lgkmcnt(6)
	v_mul_f32_e32 v165, v2, v177
	v_add_f32_e32 v164, v164, v172
	v_add_f32_e32 v162, v162, v170
	v_mul_f32_e32 v171, v3, v177
	s_waitcnt vmcnt(21)
	v_fma_f32 v140, v140, v198, -v175
	v_fmac_f32_e32 v169, v141, v198
	v_add_f32_e32 v156, v164, v156
	v_add_f32_e32 v161, v162, v161
	v_fmac_f32_e32 v165, v3, v197
	v_fma_f32 v2, v2, v197, -v171
	v_mul_f32_e32 v167, v4, v178
	v_add_f32_e32 v156, v156, v160
	v_add_f32_e32 v160, v161, v174
	v_mul_f32_e32 v161, v5, v178
	s_waitcnt lgkmcnt(5)
	v_mul_f32_e32 v139, v142, v179
	v_fmac_f32_e32 v167, v5, v181
	v_add_f32_e32 v138, v156, v138
	v_add_f32_e32 v156, v160, v166
	v_fma_f32 v4, v4, v181, -v161
	s_waitcnt vmcnt(20)
	v_mul_f32_e32 v5, v145, v163
	v_mul_f32_e32 v168, v144, v163
	v_add_f32_e32 v3, v138, v140
	v_add_f32_e32 v138, v156, v169
	v_mul_f32_e32 v140, v143, v179
	v_fmac_f32_e32 v139, v143, v180
	s_waitcnt vmcnt(19) lgkmcnt(4)
	v_mul_f32_e32 v170, v134, v182
	v_add_f32_e32 v2, v3, v2
	v_add_f32_e32 v3, v138, v165
	v_fma_f32 v138, v142, v180, -v140
	s_waitcnt vmcnt(18)
	v_mul_f32_e32 v141, v136, v157
	s_waitcnt vmcnt(8)
	v_fmac_f32_e32 v170, v135, v193
	v_add_f32_e32 v2, v2, v4
	v_add_f32_e32 v3, v3, v167
	v_mul_f32_e32 v4, v135, v182
	s_waitcnt vmcnt(7)
	v_fma_f32 v5, v144, v201, -v5
	v_fmac_f32_e32 v168, v145, v201
	v_add_f32_e32 v2, v2, v138
	v_add_f32_e32 v3, v3, v139
	v_mul_f32_e32 v138, v137, v157
	v_fma_f32 v4, v134, v193, -v4
	s_waitcnt lgkmcnt(3)
	v_mul_f32_e32 v172, v146, v173
	v_add_f32_e32 v2, v2, v5
	v_add_f32_e32 v3, v3, v168
	v_mul_f32_e32 v5, v147, v173
	v_fma_f32 v134, v136, v186, -v138
	v_fmac_f32_e32 v141, v137, v186
	v_add_f32_e32 v2, v2, v4
	v_add_f32_e32 v3, v3, v170
	v_mul_f32_e32 v4, v149, v183
	v_fma_f32 v5, v146, v158, -v5
	v_mul_f32_e32 v162, v148, v183
	v_add_f32_e32 v2, v2, v134
	v_fmac_f32_e32 v172, v147, v158
	v_add_f32_e32 v3, v3, v141
	s_waitcnt lgkmcnt(2)
	v_mul_f32_e32 v134, v7, v184
	s_waitcnt vmcnt(3)
	v_fma_f32 v4, v148, v192, -v4
	v_add_f32_e32 v2, v2, v5
	v_mul_f32_e32 v164, v6, v184
	v_fmac_f32_e32 v162, v149, v192
	v_add_f32_e32 v3, v3, v172
	v_mul_f32_e32 v5, v9, v199
	v_fma_f32 v6, v6, v159, -v134
	v_add_f32_e32 v2, v2, v4
	v_mul_f32_e32 v175, v8, v199
	v_fmac_f32_e32 v164, v7, v159
	v_add_f32_e32 v3, v3, v162
	s_waitcnt lgkmcnt(1)
	v_mul_f32_e32 v4, v151, v200
	v_fma_f32 v5, v8, v155, -v5
	v_add_f32_e32 v2, v2, v6
	v_mul_f32_e32 v174, v150, v200
	v_fmac_f32_e32 v175, v9, v155
	v_add_f32_e32 v3, v3, v164
	v_mul_f32_e32 v6, v153, v185
	v_fma_f32 v4, v150, v12, -v4
	v_add_f32_e32 v2, v2, v5
	v_mul_f32_e32 v176, v152, v185
	v_fmac_f32_e32 v174, v151, v12
	v_add_f32_e32 v3, v3, v175
	s_waitcnt lgkmcnt(0)
	v_mul_f32_e32 v5, v11, v154
	s_waitcnt vmcnt(1)
	v_fma_f32 v6, v152, v202, -v6
	v_add_f32_e32 v2, v2, v4
	v_mul_f32_e32 v160, v10, v154
	v_fmac_f32_e32 v176, v153, v202
	v_add_f32_e32 v3, v3, v174
	v_fma_f32 v4, v10, v194, -v5
	v_add_f32_e32 v2, v2, v6
	v_fmac_f32_e32 v160, v11, v194
	v_add_f32_e32 v3, v3, v176
	v_add_f32_e32 v2, v2, v4
	;; [unrolled: 1-line block ×3, first 2 shown]
	s_waitcnt vmcnt(0)
	v_sub_f32_e32 v2, v203, v2
	v_sub_f32_e32 v3, v196, v3
	buffer_store_dword v2, off, s[0:3], 0 offset:48
	buffer_store_dword v3, off, s[0:3], 0 offset:52
	v_cmpx_lt_u32_e32 5, v0
	s_cbranch_execz .LBB59_363
; %bb.362:
	s_clause 0x1
	buffer_load_dword v2, off, s[0:3], 0 offset:40
	buffer_load_dword v3, off, s[0:3], 0 offset:44
	buffer_store_dword v1, off, s[0:3], 0 offset:40
	buffer_store_dword v1, off, s[0:3], 0 offset:44
	s_waitcnt vmcnt(0)
	ds_write_b64 v133, v[2:3]
.LBB59_363:
	s_or_b32 exec_lo, exec_lo, s4
	s_waitcnt lgkmcnt(0)
	s_waitcnt_vscnt null, 0x0
	s_barrier
	buffer_gl0_inv
	s_clause 0x3c
	buffer_load_dword v9, off, s[0:3], 0 offset:52
	buffer_load_dword v10, off, s[0:3], 0 offset:60
	;; [unrolled: 1-line block ×61, first 2 shown]
	ds_read_b128 v[179:182], v1 offset:528
	ds_read_b128 v[183:186], v1 offset:544
	buffer_load_dword v194, off, s[0:3], 0 offset:44
	s_mov_b32 s4, exec_lo
	s_waitcnt vmcnt(61) lgkmcnt(1)
	v_mul_f32_e32 v192, v179, v9
	v_mul_f32_e32 v9, v180, v9
	s_waitcnt vmcnt(60)
	v_mul_f32_e32 v193, v181, v10
	v_mul_f32_e32 v10, v182, v10
	s_waitcnt vmcnt(57)
	v_fmac_f32_e32 v192, v180, v6
	v_fma_f32 v195, v179, v6, -v9
	v_fmac_f32_e32 v193, v182, v5
	v_fma_f32 v196, v181, v5, -v10
	ds_read_b128 v[179:182], v1 offset:560
	s_waitcnt vmcnt(56) lgkmcnt(1)
	v_mul_f32_e32 v197, v183, v4
	v_mul_f32_e32 v4, v184, v4
	s_waitcnt vmcnt(55)
	v_mul_f32_e32 v198, v185, v3
	v_mul_f32_e32 v3, v186, v3
	v_fmac_f32_e32 v197, v184, v2
	v_fma_f32 v183, v183, v2, -v4
	s_waitcnt vmcnt(51)
	v_fmac_f32_e32 v198, v186, v169
	v_fma_f32 v169, v185, v169, -v3
	ds_read_b128 v[2:5], v1 offset:576
	s_waitcnt vmcnt(50) lgkmcnt(1)
	v_mul_f32_e32 v184, v179, v168
	v_mul_f32_e32 v6, v180, v168
	s_waitcnt vmcnt(49)
	v_mul_f32_e32 v168, v181, v166
	v_mul_f32_e32 v9, v182, v166
	v_fmac_f32_e32 v184, v180, v162
	v_fma_f32 v162, v179, v162, -v6
	v_fmac_f32_e32 v168, v182, v155
	v_fma_f32 v155, v181, v155, -v9
	ds_read_b128 v[179:182], v1 offset:592
	s_waitcnt vmcnt(48) lgkmcnt(1)
	v_mul_f32_e32 v185, v2, v160
	v_mul_f32_e32 v6, v3, v160
	s_waitcnt vmcnt(47)
	v_mul_f32_e32 v186, v4, v158
	v_mul_f32_e32 v9, v5, v158
	v_fmac_f32_e32 v185, v3, v141
	v_fma_f32 v141, v2, v141, -v6
	s_waitcnt vmcnt(43)
	v_fmac_f32_e32 v186, v5, v167
	v_fma_f32 v199, v4, v167, -v9
	ds_read_b128 v[2:5], v1 offset:608
	s_waitcnt vmcnt(42) lgkmcnt(1)
	v_mul_f32_e32 v200, v179, v165
	v_mul_f32_e32 v6, v180, v165
	s_waitcnt vmcnt(41)
	v_mul_f32_e32 v201, v181, v164
	v_mul_f32_e32 v9, v182, v164
	ds_read_b128 v[164:167], v1 offset:624
	v_fmac_f32_e32 v200, v180, v156
	v_fma_f32 v156, v179, v156, -v6
	v_fmac_f32_e32 v201, v182, v150
	v_fma_f32 v179, v181, v150, -v9
	s_waitcnt vmcnt(40) lgkmcnt(1)
	v_mul_f32_e32 v180, v2, v154
	v_mul_f32_e32 v6, v3, v154
	s_waitcnt vmcnt(39)
	v_mul_f32_e32 v154, v4, v152
	v_mul_f32_e32 v9, v5, v152
	v_fmac_f32_e32 v180, v3, v137
	v_fma_f32 v137, v2, v137, -v6
	s_waitcnt vmcnt(35)
	v_fmac_f32_e32 v154, v5, v163
	v_fma_f32 v163, v4, v163, -v9
	ds_read_b128 v[2:5], v1 offset:640
	s_waitcnt vmcnt(34) lgkmcnt(1)
	v_mul_f32_e32 v181, v164, v161
	v_mul_f32_e32 v6, v165, v161
	s_waitcnt vmcnt(33)
	v_mul_f32_e32 v182, v166, v159
	v_mul_f32_e32 v9, v167, v159
	ds_read_b128 v[158:161], v1 offset:656
	v_fmac_f32_e32 v181, v165, v148
	v_fma_f32 v148, v164, v148, -v6
	v_fmac_f32_e32 v182, v167, v143
	v_fma_f32 v143, v166, v143, -v9
	s_waitcnt vmcnt(32) lgkmcnt(1)
	v_mul_f32_e32 v164, v2, v147
	v_mul_f32_e32 v6, v3, v147
	s_waitcnt vmcnt(31)
	v_mul_f32_e32 v147, v4, v145
	v_mul_f32_e32 v9, v5, v145
	v_fmac_f32_e32 v164, v3, v11
	v_fma_f32 v145, v2, v11, -v6
	s_waitcnt vmcnt(27)
	v_fmac_f32_e32 v147, v5, v157
	v_fma_f32 v157, v4, v157, -v9
	ds_read_b128 v[2:5], v1 offset:672
	s_waitcnt vmcnt(26) lgkmcnt(1)
	v_mul_f32_e32 v165, v158, v153
	v_mul_f32_e32 v6, v159, v153
	s_waitcnt vmcnt(25)
	v_mul_f32_e32 v166, v160, v151
	v_mul_f32_e32 v9, v161, v151
	ds_read_b128 v[150:153], v1 offset:688
	v_fmac_f32_e32 v165, v159, v142
	v_fma_f32 v142, v158, v142, -v6
	v_fmac_f32_e32 v166, v161, v138
	v_fma_f32 v138, v160, v138, -v9
	s_waitcnt vmcnt(24) lgkmcnt(1)
	v_mul_f32_e32 v158, v2, v140
	v_mul_f32_e32 v6, v3, v140
	s_waitcnt vmcnt(23)
	v_mul_f32_e32 v140, v4, v139
	v_mul_f32_e32 v9, v5, v139
	v_fmac_f32_e32 v158, v3, v8
	v_fma_f32 v139, v2, v8, -v6
	s_waitcnt vmcnt(19)
	v_fmac_f32_e32 v140, v5, v149
	v_fma_f32 v149, v4, v149, -v9
	ds_read_b128 v[2:5], v1 offset:704
	s_waitcnt vmcnt(18) lgkmcnt(1)
	v_mul_f32_e32 v159, v150, v146
	v_mul_f32_e32 v6, v151, v146
	s_waitcnt vmcnt(17)
	v_mul_f32_e32 v146, v152, v144
	v_mul_f32_e32 v8, v153, v144
	v_fmac_f32_e32 v159, v151, v136
	v_fma_f32 v136, v150, v136, -v6
	v_fmac_f32_e32 v146, v153, v12
	v_fma_f32 v12, v152, v12, -v8
	ds_read_b128 v[8:11], v1 offset:720
	s_waitcnt vmcnt(16) lgkmcnt(1)
	v_mul_f32_e32 v144, v2, v135
	v_mul_f32_e32 v6, v3, v135
	s_waitcnt vmcnt(15)
	v_mul_f32_e32 v135, v4, v134
	v_mul_f32_e32 v134, v5, v134
	v_fmac_f32_e32 v144, v3, v7
	v_fma_f32 v150, v2, v7, -v6
	s_waitcnt vmcnt(11)
	v_fmac_f32_e32 v135, v5, v178
	v_fma_f32 v134, v4, v178, -v134
	ds_read_b128 v[2:5], v1 offset:736
	s_waitcnt vmcnt(10) lgkmcnt(1)
	v_mul_f32_e32 v151, v8, v177
	v_mul_f32_e32 v6, v9, v177
	s_waitcnt vmcnt(9)
	v_mul_f32_e32 v7, v11, v176
	v_mul_f32_e32 v152, v10, v176
	buffer_load_dword v176, off, s[0:3], 0 offset:300
	v_fmac_f32_e32 v151, v9, v175
	v_fma_f32 v153, v8, v175, -v6
	v_fma_f32 v10, v10, v172, -v7
	ds_read_b128 v[6:9], v1 offset:752
	v_fmac_f32_e32 v152, v11, v172
	buffer_load_dword v11, off, s[0:3], 0 offset:292
	s_waitcnt vmcnt(10) lgkmcnt(1)
	v_mul_f32_e32 v160, v2, v174
	v_mul_f32_e32 v161, v3, v174
	s_waitcnt vmcnt(9)
	v_mul_f32_e32 v167, v4, v173
	v_mul_f32_e32 v172, v5, v173
	v_fmac_f32_e32 v160, v3, v171
	v_fma_f32 v161, v2, v171, -v161
	s_waitcnt vmcnt(5)
	v_fmac_f32_e32 v167, v5, v189
	v_fma_f32 v171, v4, v189, -v172
	ds_read_b128 v[2:5], v1 offset:768
	s_waitcnt vmcnt(4) lgkmcnt(1)
	v_mul_f32_e32 v172, v6, v190
	v_mul_f32_e32 v173, v7, v190
	s_waitcnt vmcnt(3)
	v_mul_f32_e32 v174, v8, v191
	v_mul_f32_e32 v175, v9, v191
	v_fmac_f32_e32 v172, v7, v188
	v_fma_f32 v173, v6, v188, -v173
	v_fmac_f32_e32 v174, v9, v187
	v_fma_f32 v175, v8, v187, -v175
	s_clause 0x4
	buffer_load_dword v177, off, s[0:3], 0 offset:320
	buffer_load_dword v178, off, s[0:3], 0 offset:312
	;; [unrolled: 1-line block ×5, first 2 shown]
	v_add_f32_e32 v7, 0, v192
	v_add_f32_e32 v6, 0, v195
	s_clause 0x1
	buffer_load_dword v190, off, s[0:3], 0 offset:316
	buffer_load_dword v191, off, s[0:3], 0 offset:324
	v_add_f32_e32 v7, v7, v193
	v_add_f32_e32 v6, v6, v196
	;; [unrolled: 1-line block ×4, first 2 shown]
	s_clause 0x1
	buffer_load_dword v183, off, s[0:3], 0 offset:332
	buffer_load_dword v192, off, s[0:3], 0 offset:340
	v_add_f32_e32 v7, v7, v198
	v_add_f32_e32 v6, v6, v169
	;; [unrolled: 1-line block ×4, first 2 shown]
	s_clause 0x3
	buffer_load_dword v162, off, s[0:3], 0 offset:352
	buffer_load_dword v169, off, s[0:3], 0 offset:344
	;; [unrolled: 1-line block ×4, first 2 shown]
	v_add_f32_e32 v7, v7, v168
	v_add_f32_e32 v6, v6, v155
	s_clause 0x2
	buffer_load_dword v155, off, s[0:3], 0 offset:348
	buffer_load_dword v168, off, s[0:3], 0 offset:356
	;; [unrolled: 1-line block ×3, first 2 shown]
	v_add_f32_e32 v7, v7, v185
	v_add_f32_e32 v6, v6, v141
	v_add_f32_e32 v7, v7, v186
	v_add_f32_e32 v6, v6, v199
	v_add_f32_e32 v7, v7, v200
	v_add_f32_e32 v6, v6, v156
	s_clause 0x4
	buffer_load_dword v156, off, s[0:3], 0 offset:384
	buffer_load_dword v185, off, s[0:3], 0 offset:376
	;; [unrolled: 1-line block ×5, first 2 shown]
	v_add_f32_e32 v7, v7, v201
	v_add_f32_e32 v6, v6, v179
	buffer_load_dword v179, off, s[0:3], 0 offset:372
	v_add_f32_e32 v7, v7, v180
	v_add_f32_e32 v6, v6, v137
	buffer_load_dword v180, off, s[0:3], 0 offset:388
	v_add_f32_e32 v7, v7, v154
	v_add_f32_e32 v6, v6, v163
	s_clause 0x4
	buffer_load_dword v163, off, s[0:3], 0 offset:396
	buffer_load_dword v198, off, s[0:3], 0 offset:404
	;; [unrolled: 1-line block ×5, first 2 shown]
	v_add_f32_e32 v7, v7, v181
	v_add_f32_e32 v6, v6, v148
	s_clause 0x3
	buffer_load_dword v181, off, s[0:3], 0 offset:436
	buffer_load_dword v201, off, s[0:3], 0 offset:444
	;; [unrolled: 1-line block ×4, first 2 shown]
	v_add_f32_e32 v7, v7, v182
	v_add_f32_e32 v6, v6, v143
	buffer_load_dword v182, off, s[0:3], 0 offset:460
	v_add_f32_e32 v7, v7, v164
	v_add_f32_e32 v6, v6, v145
	buffer_load_dword v164, off, s[0:3], 0 offset:476
	v_add_f32_e32 v7, v7, v147
	v_add_f32_e32 v6, v6, v157
	;; [unrolled: 1-line block ×3, first 2 shown]
	s_clause 0x3
	buffer_load_dword v157, off, s[0:3], 0 offset:416
	buffer_load_dword v165, off, s[0:3], 0 offset:408
	;; [unrolled: 1-line block ×4, first 2 shown]
	v_add_f32_e32 v6, v6, v142
	v_add_f32_e32 v7, v7, v166
	;; [unrolled: 1-line block ×4, first 2 shown]
	s_clause 0x6
	buffer_load_dword v158, off, s[0:3], 0 offset:448
	buffer_load_dword v166, off, s[0:3], 0 offset:440
	;; [unrolled: 1-line block ×7, first 2 shown]
	v_add_f32_e32 v6, v6, v139
	v_add_f32_e32 v7, v7, v140
	;; [unrolled: 1-line block ×4, first 2 shown]
	buffer_load_dword v159, off, s[0:3], 0 offset:40
	v_add_f32_e32 v6, v6, v136
	v_add_f32_e32 v7, v7, v146
	;; [unrolled: 1-line block ×3, first 2 shown]
	s_waitcnt vmcnt(46) lgkmcnt(0)
	v_mul_f32_e32 v12, v2, v11
	v_mul_f32_e32 v8, v3, v11
	v_fmac_f32_e32 v12, v3, v170
	v_fma_f32 v11, v2, v170, -v8
	v_add_f32_e32 v2, v6, v150
	v_add_f32_e32 v3, v7, v144
	ds_read_b128 v[6:9], v1 offset:784
	v_mul_f32_e32 v150, v4, v176
	v_add_f32_e32 v134, v2, v134
	v_mul_f32_e32 v2, v5, v176
	v_add_f32_e32 v135, v3, v135
	v_add_f32_e32 v138, v134, v153
	;; [unrolled: 1-line block ×3, first 2 shown]
	ds_read_b128 v[134:137], v1 offset:816
	v_add_f32_e32 v10, v138, v10
	v_add_f32_e32 v139, v139, v152
	s_waitcnt vmcnt(42)
	v_fmac_f32_e32 v150, v5, v188
	v_fma_f32 v170, v4, v188, -v2
	ds_read_b128 v[2:5], v1 offset:800
	s_waitcnt vmcnt(41) lgkmcnt(2)
	v_mul_f32_e32 v138, v7, v189
	v_mul_f32_e32 v151, v6, v189
	v_add_f32_e32 v10, v10, v161
	s_waitcnt vmcnt(40)
	v_mul_f32_e32 v142, v9, v190
	v_fma_f32 v152, v6, v187, -v138
	v_add_f32_e32 v6, v139, v160
	v_fmac_f32_e32 v151, v7, v187
	v_add_f32_e32 v7, v10, v171
	v_mul_f32_e32 v10, v8, v190
	ds_read_b128 v[138:141], v1 offset:832
	v_add_f32_e32 v6, v6, v167
	v_fma_f32 v153, v8, v178, -v142
	v_add_f32_e32 v7, v7, v173
	v_fmac_f32_e32 v10, v9, v178
	s_waitcnt vmcnt(37) lgkmcnt(2)
	v_mul_f32_e32 v147, v135, v192
	v_add_f32_e32 v6, v6, v172
	v_mul_f32_e32 v167, v134, v192
	s_waitcnt lgkmcnt(1)
	v_mul_f32_e32 v143, v3, v191
	v_mul_f32_e32 v160, v2, v191
	;; [unrolled: 1-line block ×4, first 2 shown]
	s_waitcnt vmcnt(34)
	v_fma_f32 v173, v134, v193, -v147
	v_fma_f32 v171, v2, v177, -v143
	v_add_f32_e32 v2, v7, v175
	v_fmac_f32_e32 v160, v3, v177
	v_add_f32_e32 v3, v6, v174
	s_waitcnt vmcnt(33)
	v_fma_f32 v172, v4, v195, -v146
	ds_read_b128 v[6:9], v1 offset:848
	ds_read_b128 v[142:145], v1 offset:864
	v_add_f32_e32 v11, v2, v11
	v_fmac_f32_e32 v161, v5, v195
	v_add_f32_e32 v12, v3, v12
	s_waitcnt vmcnt(32)
	v_mul_f32_e32 v134, v137, v155
	v_fmac_f32_e32 v167, v135, v193
	v_add_f32_e32 v11, v11, v170
	v_mul_f32_e32 v170, v136, v155
	v_add_f32_e32 v12, v12, v150
	s_waitcnt vmcnt(31) lgkmcnt(2)
	v_mul_f32_e32 v155, v138, v168
	v_mul_f32_e32 v135, v139, v168
	v_add_f32_e32 v11, v11, v152
	v_fmac_f32_e32 v170, v137, v169
	v_add_f32_e32 v12, v12, v151
	v_fma_f32 v169, v136, v169, -v134
	s_waitcnt vmcnt(30)
	v_mul_f32_e32 v168, v141, v184
	v_add_f32_e32 v11, v11, v153
	v_fmac_f32_e32 v155, v139, v162
	v_add_f32_e32 v10, v12, v10
	v_fma_f32 v162, v138, v162, -v135
	v_mul_f32_e32 v174, v140, v184
	v_add_f32_e32 v11, v11, v171
	s_waitcnt vmcnt(26)
	v_fma_f32 v168, v140, v196, -v168
	v_add_f32_e32 v10, v10, v160
	s_waitcnt vmcnt(24) lgkmcnt(1)
	v_mul_f32_e32 v12, v7, v179
	ds_read_b128 v[2:5], v1 offset:880
	ds_read_b128 v[146:149], v1 offset:896
	v_add_f32_e32 v11, v11, v172
	ds_read_b128 v[134:137], v1 offset:912
	ds_read_b128 v[150:153], v1 offset:928
	v_add_f32_e32 v10, v10, v161
	v_fmac_f32_e32 v174, v141, v196
	ds_read_b128 v[138:141], v1 offset:944
	v_add_f32_e32 v11, v11, v173
	v_mul_f32_e32 v1, v6, v179
	v_add_f32_e32 v10, v10, v167
	v_mul_f32_e32 v171, v9, v197
	v_fma_f32 v6, v6, v186, -v12
	v_add_f32_e32 v11, v11, v169
	v_mul_f32_e32 v160, v8, v197
	v_add_f32_e32 v10, v10, v170
	v_fmac_f32_e32 v1, v7, v186
	s_waitcnt vmcnt(23) lgkmcnt(5)
	v_mul_f32_e32 v12, v143, v180
	v_add_f32_e32 v11, v11, v162
	v_fma_f32 v8, v8, v185, -v171
	v_add_f32_e32 v10, v10, v155
	v_mul_f32_e32 v172, v142, v180
	v_fmac_f32_e32 v160, v9, v185
	v_add_f32_e32 v11, v11, v168
	s_waitcnt vmcnt(22)
	v_mul_f32_e32 v9, v145, v163
	v_add_f32_e32 v10, v10, v174
	v_mul_f32_e32 v161, v144, v163
	v_fmac_f32_e32 v172, v143, v156
	v_add_f32_e32 v6, v11, v6
	s_waitcnt vmcnt(21) lgkmcnt(4)
	v_mul_f32_e32 v175, v2, v198
	v_add_f32_e32 v1, v10, v1
	v_fma_f32 v10, v142, v156, -v12
	s_waitcnt vmcnt(8)
	v_fma_f32 v9, v144, v205, -v9
	v_add_f32_e32 v6, v6, v8
	v_mul_f32_e32 v8, v3, v198
	v_add_f32_e32 v1, v1, v160
	v_fmac_f32_e32 v161, v145, v205
	v_fmac_f32_e32 v175, v3, v204
	v_add_f32_e32 v6, v6, v10
	v_mul_f32_e32 v10, v5, v154
	v_add_f32_e32 v1, v1, v172
	v_fma_f32 v2, v2, v204, -v8
	v_mul_f32_e32 v173, v4, v154
	v_add_f32_e32 v3, v6, v9
	s_waitcnt lgkmcnt(3)
	v_mul_f32_e32 v6, v147, v199
	v_add_f32_e32 v1, v1, v161
	v_fma_f32 v4, v4, v165, -v10
	v_mul_f32_e32 v167, v146, v199
	v_add_f32_e32 v2, v3, v2
	v_fmac_f32_e32 v173, v5, v165
	v_add_f32_e32 v1, v1, v175
	v_mul_f32_e32 v3, v149, v200
	v_fma_f32 v5, v146, v157, -v6
	v_add_f32_e32 v2, v2, v4
	v_mul_f32_e32 v176, v148, v200
	v_fmac_f32_e32 v167, v147, v157
	v_add_f32_e32 v1, v1, v173
	s_waitcnt lgkmcnt(2)
	v_mul_f32_e32 v4, v135, v181
	s_waitcnt vmcnt(4)
	v_fma_f32 v3, v148, v207, -v3
	v_add_f32_e32 v2, v2, v5
	v_mul_f32_e32 v169, v134, v181
	v_fmac_f32_e32 v176, v149, v207
	v_add_f32_e32 v1, v1, v167
	v_mul_f32_e32 v5, v137, v201
	v_fma_f32 v4, v134, v206, -v4
	v_add_f32_e32 v2, v2, v3
	v_mul_f32_e32 v170, v136, v201
	v_fmac_f32_e32 v169, v135, v206
	v_add_f32_e32 v1, v1, v176
	s_waitcnt lgkmcnt(1)
	v_mul_f32_e32 v3, v151, v202
	v_fma_f32 v5, v136, v166, -v5
	v_add_f32_e32 v2, v2, v4
	v_mul_f32_e32 v177, v150, v202
	v_fmac_f32_e32 v170, v137, v166
	v_add_f32_e32 v1, v1, v169
	v_mul_f32_e32 v4, v153, v182
	v_fma_f32 v3, v150, v158, -v3
	v_add_f32_e32 v2, v2, v5
	v_mul_f32_e32 v162, v152, v182
	v_fmac_f32_e32 v177, v151, v158
	v_add_f32_e32 v1, v1, v170
	s_waitcnt lgkmcnt(0)
	v_mul_f32_e32 v5, v139, v203
	s_waitcnt vmcnt(1)
	v_fma_f32 v4, v152, v210, -v4
	v_add_f32_e32 v2, v2, v3
	v_mul_f32_e32 v155, v138, v203
	v_fmac_f32_e32 v162, v153, v210
	v_add_f32_e32 v1, v1, v177
	v_mul_f32_e32 v3, v141, v164
	v_fma_f32 v5, v138, v209, -v5
	v_add_f32_e32 v2, v2, v4
	v_mul_f32_e32 v7, v140, v164
	v_fmac_f32_e32 v155, v139, v209
	v_add_f32_e32 v1, v1, v162
	v_fma_f32 v3, v140, v208, -v3
	v_add_f32_e32 v2, v2, v5
	v_fmac_f32_e32 v7, v141, v208
	v_add_f32_e32 v1, v1, v155
	v_add_f32_e32 v2, v2, v3
	;; [unrolled: 1-line block ×3, first 2 shown]
	s_waitcnt vmcnt(0)
	v_sub_f32_e32 v2, v159, v2
	v_sub_f32_e32 v1, v194, v1
	buffer_store_dword v2, off, s[0:3], 0 offset:40
	buffer_store_dword v1, off, s[0:3], 0 offset:44
	v_cmpx_lt_u32_e32 4, v0
	s_cbranch_execz .LBB59_365
; %bb.364:
	s_clause 0x1
	buffer_load_dword v1, off, s[0:3], 0 offset:32
	buffer_load_dword v2, off, s[0:3], 0 offset:36
	v_mov_b32_e32 v3, 0
	buffer_store_dword v3, off, s[0:3], 0 offset:32
	buffer_store_dword v3, off, s[0:3], 0 offset:36
	s_waitcnt vmcnt(0)
	ds_write_b64 v133, v[1:2]
.LBB59_365:
	s_or_b32 exec_lo, exec_lo, s4
	s_waitcnt lgkmcnt(0)
	s_waitcnt_vscnt null, 0x0
	s_barrier
	buffer_gl0_inv
	s_clause 0x3c
	buffer_load_dword v2, off, s[0:3], 0 offset:44
	buffer_load_dword v3, off, s[0:3], 0 offset:52
	;; [unrolled: 1-line block ×61, first 2 shown]
	v_mov_b32_e32 v1, 0
	ds_read2_b64 v[182:185], v1 offset0:65 offset1:66
	ds_read2_b64 v[186:189], v1 offset0:67 offset1:68
	buffer_load_dword v180, off, s[0:3], 0 offset:36
	s_mov_b32 s4, exec_lo
	s_waitcnt vmcnt(61) lgkmcnt(1)
	v_mul_f32_e32 v193, v182, v2
	v_mul_f32_e32 v2, v183, v2
	s_waitcnt vmcnt(60)
	v_mul_f32_e32 v194, v184, v3
	v_mul_f32_e32 v3, v185, v3
	s_waitcnt vmcnt(59) lgkmcnt(0)
	v_mul_f32_e32 v195, v186, v4
	v_mul_f32_e32 v196, v187, v4
	s_waitcnt vmcnt(58)
	v_mul_f32_e32 v197, v188, v5
	v_mul_f32_e32 v198, v189, v5
	s_waitcnt vmcnt(55)
	v_fmac_f32_e32 v193, v183, v8
	v_fma_f32 v8, v182, v8, -v2
	v_fmac_f32_e32 v194, v185, v7
	v_fma_f32 v7, v184, v7, -v3
	ds_read2_b64 v[2:5], v1 offset0:69 offset1:70
	ds_read2_b64 v[182:185], v1 offset0:71 offset1:72
	v_fmac_f32_e32 v195, v187, v6
	v_fma_f32 v6, v186, v6, -v196
	s_waitcnt vmcnt(51)
	v_fma_f32 v186, v188, v164, -v198
	v_fmac_f32_e32 v197, v189, v164
	v_add_f32_e32 v8, 0, v8
	v_add_f32_e32 v7, v8, v7
	;; [unrolled: 1-line block ×3, first 2 shown]
	s_waitcnt vmcnt(50) lgkmcnt(1)
	v_mul_f32_e32 v187, v2, v161
	v_mul_f32_e32 v161, v3, v161
	s_waitcnt vmcnt(49)
	v_mul_f32_e32 v188, v4, v159
	v_mul_f32_e32 v159, v5, v159
	s_waitcnt vmcnt(48) lgkmcnt(0)
	v_mul_f32_e32 v189, v182, v156
	v_fmac_f32_e32 v187, v3, v143
	v_fma_f32 v143, v2, v143, -v161
	v_fmac_f32_e32 v188, v5, v139
	v_fma_f32 v159, v4, v139, -v159
	ds_read2_b64 v[2:5], v1 offset0:73 offset1:74
	v_mul_f32_e32 v156, v183, v156
	s_waitcnt vmcnt(47)
	v_mul_f32_e32 v196, v184, v154
	v_mul_f32_e32 v154, v185, v154
	v_fmac_f32_e32 v189, v183, v134
	v_fma_f32 v134, v182, v134, -v156
	s_waitcnt vmcnt(43)
	v_fmac_f32_e32 v196, v185, v169
	v_fma_f32 v161, v184, v169, -v154
	ds_read2_b64 v[182:185], v1 offset0:75 offset1:76
	s_waitcnt vmcnt(42) lgkmcnt(1)
	v_mul_f32_e32 v169, v2, v168
	v_mul_f32_e32 v139, v3, v168
	s_waitcnt vmcnt(41)
	v_mul_f32_e32 v168, v4, v167
	v_mul_f32_e32 v154, v5, v167
	v_fmac_f32_e32 v169, v3, v149
	v_fma_f32 v149, v2, v149, -v139
	v_fmac_f32_e32 v168, v5, v146
	v_fma_f32 v146, v4, v146, -v154
	ds_read2_b64 v[2:5], v1 offset0:77 offset1:78
	s_waitcnt vmcnt(40) lgkmcnt(1)
	v_mul_f32_e32 v167, v182, v165
	s_waitcnt vmcnt(39)
	v_mul_f32_e32 v198, v184, v163
	v_mul_f32_e32 v163, v185, v163
	;; [unrolled: 1-line block ×3, first 2 shown]
	v_fmac_f32_e32 v167, v183, v140
	s_waitcnt vmcnt(35)
	v_fmac_f32_e32 v198, v185, v166
	v_fma_f32 v183, v184, v166, -v163
	ds_read2_b64 v[163:166], v1 offset0:79 offset1:80
	v_fma_f32 v182, v182, v140, -v156
	s_waitcnt vmcnt(34) lgkmcnt(1)
	v_mul_f32_e32 v184, v2, v162
	v_mul_f32_e32 v139, v3, v162
	s_waitcnt vmcnt(33)
	v_mul_f32_e32 v162, v4, v160
	v_mul_f32_e32 v140, v5, v160
	v_fmac_f32_e32 v184, v3, v144
	v_fma_f32 v144, v2, v144, -v139
	v_fmac_f32_e32 v162, v5, v141
	v_fma_f32 v199, v4, v141, -v140
	ds_read2_b64 v[2:5], v1 offset0:81 offset1:82
	s_waitcnt vmcnt(32) lgkmcnt(1)
	v_mul_f32_e32 v160, v163, v157
	v_mul_f32_e32 v154, v164, v157
	s_waitcnt vmcnt(31)
	v_mul_f32_e32 v185, v165, v155
	v_mul_f32_e32 v155, v166, v155
	v_fmac_f32_e32 v160, v164, v135
	v_fma_f32 v135, v163, v135, -v154
	s_waitcnt vmcnt(27)
	v_fmac_f32_e32 v185, v166, v158
	v_fma_f32 v158, v165, v158, -v155
	ds_read2_b64 v[154:157], v1 offset0:83 offset1:84
	s_waitcnt vmcnt(26) lgkmcnt(1)
	v_mul_f32_e32 v163, v2, v153
	v_mul_f32_e32 v139, v3, v153
	s_waitcnt vmcnt(25)
	v_mul_f32_e32 v153, v4, v152
	v_mul_f32_e32 v140, v5, v152
	v_fmac_f32_e32 v163, v3, v138
	v_fma_f32 v164, v2, v138, -v139
	v_fmac_f32_e32 v153, v5, v136
	v_fma_f32 v136, v4, v136, -v140
	ds_read2_b64 v[2:5], v1 offset0:85 offset1:86
	s_waitcnt vmcnt(24) lgkmcnt(1)
	v_mul_f32_e32 v152, v154, v150
	v_mul_f32_e32 v141, v155, v150
	s_waitcnt vmcnt(23)
	v_mul_f32_e32 v150, v156, v148
	v_mul_f32_e32 v148, v157, v148
	v_fmac_f32_e32 v152, v155, v10
	v_fma_f32 v10, v154, v10, -v141
	ds_read2_b64 v[138:141], v1 offset0:87 offset1:88
	s_waitcnt vmcnt(19)
	v_fmac_f32_e32 v150, v157, v151
	v_fma_f32 v148, v156, v151, -v148
	buffer_load_dword v151, off, s[0:3], 0 offset:284
	s_waitcnt vmcnt(18) lgkmcnt(1)
	v_mul_f32_e32 v155, v4, v145
	v_mul_f32_e32 v145, v5, v145
	;; [unrolled: 1-line block ×4, first 2 shown]
	v_fmac_f32_e32 v155, v5, v11
	v_fma_f32 v11, v4, v11, -v145
	s_clause 0x4
	buffer_load_dword v145, off, s[0:3], 0 offset:292
	buffer_load_dword v157, off, s[0:3], 0 offset:312
	;; [unrolled: 1-line block ×5, first 2 shown]
	s_waitcnt vmcnt(22) lgkmcnt(0)
	v_mul_f32_e32 v156, v138, v142
	v_mul_f32_e32 v142, v139, v142
	v_fmac_f32_e32 v154, v3, v137
	v_fma_f32 v137, v2, v137, -v147
	s_waitcnt vmcnt(21)
	v_mul_f32_e32 v2, v141, v12
	v_mul_f32_e32 v147, v140, v12
	v_fmac_f32_e32 v156, v139, v9
	v_fma_f32 v12, v138, v9, -v142
	v_add_f32_e32 v9, 0, v193
	s_waitcnt vmcnt(17)
	v_fma_f32 v138, v140, v178, -v2
	ds_read2_b64 v[2:5], v1 offset0:89 offset1:90
	buffer_load_dword v139, off, s[0:3], 0 offset:300
	v_add_f32_e32 v140, v6, v186
	v_add_f32_e32 v8, v9, v194
	v_fmac_f32_e32 v147, v141, v178
	s_clause 0x2
	buffer_load_dword v142, off, s[0:3], 0 offset:308
	buffer_load_dword v178, off, s[0:3], 0 offset:316
	;; [unrolled: 1-line block ×3, first 2 shown]
	v_add_f32_e32 v140, v140, v143
	v_add_f32_e32 v7, v8, v195
	;; [unrolled: 1-line block ×4, first 2 shown]
	ds_read2_b64 v[6:9], v1 offset0:91 offset1:92
	buffer_load_dword v159, off, s[0:3], 0 offset:332
	v_add_f32_e32 v141, v141, v187
	s_waitcnt vmcnt(21) lgkmcnt(1)
	v_mul_f32_e32 v143, v2, v177
	v_mul_f32_e32 v177, v3, v177
	s_waitcnt vmcnt(20)
	v_mul_f32_e32 v187, v4, v176
	v_mul_f32_e32 v176, v5, v176
	v_fmac_f32_e32 v143, v3, v175
	v_fma_f32 v175, v2, v175, -v177
	v_add_f32_e32 v2, v141, v188
	v_fmac_f32_e32 v187, v5, v174
	v_fma_f32 v174, v4, v174, -v176
	s_clause 0x3
	buffer_load_dword v176, off, s[0:3], 0 offset:344
	buffer_load_dword v177, off, s[0:3], 0 offset:336
	;; [unrolled: 1-line block ×4, first 2 shown]
	v_add_f32_e32 v3, v140, v134
	v_add_f32_e32 v2, v2, v189
	s_waitcnt vmcnt(23) lgkmcnt(0)
	v_mul_f32_e32 v141, v6, v172
	v_add_f32_e32 v134, v3, v161
	s_clause 0x2
	buffer_load_dword v161, off, s[0:3], 0 offset:340
	buffer_load_dword v189, off, s[0:3], 0 offset:348
	;; [unrolled: 1-line block ×3, first 2 shown]
	v_add_f32_e32 v140, v2, v196
	ds_read2_b64 v[2:5], v1 offset0:93 offset1:94
	v_fmac_f32_e32 v141, v7, v170
	v_add_f32_e32 v134, v134, v149
	v_mul_f32_e32 v149, v7, v172
	v_add_f32_e32 v140, v140, v169
	s_waitcnt vmcnt(25)
	v_mul_f32_e32 v169, v8, v171
	v_mul_f32_e32 v171, v9, v171
	v_add_f32_e32 v7, v134, v146
	v_fma_f32 v146, v6, v170, -v149
	v_add_f32_e32 v6, v140, v168
	s_waitcnt vmcnt(21)
	v_fmac_f32_e32 v169, v9, v191
	v_fma_f32 v149, v8, v191, -v171
	v_add_f32_e32 v134, v7, v182
	s_clause 0x4
	buffer_load_dword v168, off, s[0:3], 0 offset:376
	buffer_load_dword v170, off, s[0:3], 0 offset:368
	buffer_load_dword v171, off, s[0:3], 0 offset:360
	buffer_load_dword v172, off, s[0:3], 0 offset:352
	buffer_load_dword v182, off, s[0:3], 0 offset:364
	v_add_f32_e32 v140, v6, v167
	ds_read2_b64 v[6:9], v1 offset0:95 offset1:96
	v_add_f32_e32 v134, v134, v183
	v_add_f32_e32 v140, v140, v198
	s_waitcnt vmcnt(25) lgkmcnt(1)
	v_mul_f32_e32 v183, v3, v192
	v_mul_f32_e32 v167, v2, v192
	v_add_f32_e32 v134, v134, v144
	s_clause 0x2
	buffer_load_dword v191, off, s[0:3], 0 offset:372
	buffer_load_dword v192, off, s[0:3], 0 offset:380
	;; [unrolled: 1-line block ×3, first 2 shown]
	v_fma_f32 v144, v2, v190, -v183
	v_add_f32_e32 v2, v140, v184
	v_fmac_f32_e32 v167, v3, v190
	v_add_f32_e32 v3, v134, v199
	s_waitcnt vmcnt(27)
	v_mul_f32_e32 v183, v4, v181
	s_clause 0x1
	buffer_load_dword v184, off, s[0:3], 0 offset:396
	buffer_load_dword v190, off, s[0:3], 0 offset:404
	v_add_f32_e32 v2, v2, v162
	v_mul_f32_e32 v134, v5, v181
	v_add_f32_e32 v3, v3, v135
	s_clause 0x2
	buffer_load_dword v162, off, s[0:3], 0 offset:412
	buffer_load_dword v181, off, s[0:3], 0 offset:420
	;; [unrolled: 1-line block ×3, first 2 shown]
	v_add_f32_e32 v2, v2, v160
	v_fmac_f32_e32 v183, v5, v179
	v_add_f32_e32 v3, v3, v158
	s_clause 0x2
	buffer_load_dword v158, off, s[0:3], 0 offset:436
	buffer_load_dword v160, off, s[0:3], 0 offset:444
	;; [unrolled: 1-line block ×3, first 2 shown]
	v_fma_f32 v179, v4, v179, -v134
	v_add_f32_e32 v2, v2, v185
	v_add_f32_e32 v3, v3, v164
	s_clause 0x2
	buffer_load_dword v164, off, s[0:3], 0 offset:460
	buffer_load_dword v185, off, s[0:3], 0 offset:468
	;; [unrolled: 1-line block ×3, first 2 shown]
	v_add_f32_e32 v2, v2, v163
	s_clause 0x7
	buffer_load_dword v163, off, s[0:3], 0 offset:408
	buffer_load_dword v199, off, s[0:3], 0 offset:400
	;; [unrolled: 1-line block ×8, first 2 shown]
	v_add_f32_e32 v3, v3, v136
	v_add_f32_e32 v2, v2, v153
	;; [unrolled: 1-line block ×8, first 2 shown]
	s_clause 0x3
	buffer_load_dword v154, off, s[0:3], 0 offset:472
	buffer_load_dword v207, off, s[0:3], 0 offset:464
	;; [unrolled: 1-line block ×4, first 2 shown]
	v_add_f32_e32 v3, v3, v11
	v_add_f32_e32 v2, v2, v155
	buffer_load_dword v155, off, s[0:3], 0 offset:32
	v_add_f32_e32 v3, v3, v12
	v_add_f32_e32 v2, v2, v156
	s_waitcnt vmcnt(49) lgkmcnt(0)
	v_mul_f32_e32 v10, v6, v151
	v_mul_f32_e32 v4, v7, v151
	v_fmac_f32_e32 v10, v7, v173
	v_fma_f32 v11, v6, v173, -v4
	v_add_f32_e32 v6, v3, v138
	v_add_f32_e32 v7, v2, v147
	ds_read2_b64 v[2:5], v1 offset0:97 offset1:98
	v_add_f32_e32 v12, v6, v175
	s_waitcnt vmcnt(48)
	v_mul_f32_e32 v147, v8, v145
	v_mul_f32_e32 v6, v9, v145
	v_add_f32_e32 v134, v7, v143
	v_add_f32_e32 v12, v12, v174
	s_waitcnt vmcnt(44)
	v_fmac_f32_e32 v147, v9, v200
	v_fma_f32 v148, v8, v200, -v6
	ds_read2_b64 v[6:9], v1 offset0:99 offset1:100
	v_add_f32_e32 v138, v134, v187
	v_add_f32_e32 v12, v12, v146
	ds_read2_b64 v[134:137], v1 offset0:101 offset1:102
	v_add_f32_e32 v138, v138, v141
	v_add_f32_e32 v12, v12, v149
	s_waitcnt vmcnt(43) lgkmcnt(2)
	v_mul_f32_e32 v150, v2, v139
	v_mul_f32_e32 v139, v3, v139
	v_fmac_f32_e32 v150, v3, v166
	v_fma_f32 v151, v2, v166, -v139
	v_add_f32_e32 v2, v138, v169
	v_add_f32_e32 v3, v12, v144
	ds_read2_b64 v[138:141], v1 offset0:103 offset1:104
	s_waitcnt vmcnt(42)
	v_mul_f32_e32 v12, v4, v142
	s_waitcnt vmcnt(41) lgkmcnt(2)
	v_mul_f32_e32 v143, v7, v178
	v_add_f32_e32 v2, v2, v167
	v_add_f32_e32 v3, v3, v179
	v_mul_f32_e32 v156, v6, v178
	v_mul_f32_e32 v142, v5, v142
	v_fma_f32 v153, v6, v157, -v143
	v_add_f32_e32 v2, v2, v183
	v_add_f32_e32 v6, v3, v11
	v_fmac_f32_e32 v156, v7, v157
	s_waitcnt vmcnt(39) lgkmcnt(1)
	v_mul_f32_e32 v167, v134, v159
	v_fma_f32 v152, v4, v165, -v142
	v_add_f32_e32 v7, v2, v10
	v_mul_f32_e32 v10, v135, v159
	v_add_f32_e32 v11, v6, v148
	v_fmac_f32_e32 v12, v5, v165
	v_mul_f32_e32 v146, v9, v186
	v_mul_f32_e32 v166, v8, v186
	s_waitcnt vmcnt(36)
	v_fma_f32 v159, v134, v188, -v10
	v_add_f32_e32 v10, v7, v147
	v_add_f32_e32 v11, v11, v151
	s_waitcnt vmcnt(35)
	v_fma_f32 v157, v8, v193, -v146
	ds_read2_b64 v[2:5], v1 offset0:105 offset1:106
	ds_read2_b64 v[142:145], v1 offset0:107 offset1:108
	v_fmac_f32_e32 v166, v9, v193
	v_add_f32_e32 v10, v10, v150
	v_add_f32_e32 v11, v11, v152
	s_waitcnt vmcnt(34)
	v_mul_f32_e32 v134, v137, v161
	v_fmac_f32_e32 v167, v135, v188
	v_mul_f32_e32 v165, v136, v161
	v_add_f32_e32 v10, v10, v12
	v_add_f32_e32 v12, v11, v153
	s_waitcnt vmcnt(33) lgkmcnt(2)
	v_mul_f32_e32 v135, v139, v189
	v_fma_f32 v174, v136, v177, -v134
	v_mul_f32_e32 v161, v138, v189
	v_add_f32_e32 v156, v10, v156
	v_add_f32_e32 v12, v12, v157
	v_fmac_f32_e32 v165, v137, v177
	s_waitcnt vmcnt(32)
	v_mul_f32_e32 v169, v140, v194
	v_mul_f32_e32 v173, v141, v194
	v_add_f32_e32 v156, v156, v166
	v_add_f32_e32 v12, v12, v159
	v_fma_f32 v175, v138, v176, -v135
	v_fmac_f32_e32 v161, v139, v176
	s_waitcnt vmcnt(28)
	v_fmac_f32_e32 v169, v141, v172
	v_add_f32_e32 v156, v156, v167
	v_add_f32_e32 v12, v12, v174
	v_fma_f32 v172, v140, v172, -v173
	s_waitcnt vmcnt(27) lgkmcnt(1)
	v_mul_f32_e32 v173, v3, v182
	ds_read2_b64 v[6:9], v1 offset0:109 offset1:110
	ds_read2_b64 v[146:149], v1 offset0:111 offset1:112
	v_add_f32_e32 v156, v156, v165
	v_add_f32_e32 v12, v12, v175
	v_mul_f32_e32 v157, v2, v182
	s_waitcnt vmcnt(26)
	v_mul_f32_e32 v176, v5, v191
	v_fma_f32 v2, v2, v171, -v173
	v_add_f32_e32 v156, v156, v161
	v_add_f32_e32 v12, v12, v172
	v_mul_f32_e32 v166, v4, v191
	v_fmac_f32_e32 v157, v3, v171
	s_waitcnt vmcnt(25) lgkmcnt(2)
	v_mul_f32_e32 v173, v143, v192
	v_add_f32_e32 v156, v156, v169
	v_fma_f32 v4, v4, v170, -v176
	v_add_f32_e32 v2, v12, v2
	v_mul_f32_e32 v159, v142, v192
	v_fmac_f32_e32 v166, v5, v170
	v_add_f32_e32 v12, v156, v157
	s_waitcnt vmcnt(24)
	v_mul_f32_e32 v169, v145, v195
	v_fma_f32 v142, v142, v168, -v173
	v_add_f32_e32 v2, v2, v4
	v_mul_f32_e32 v167, v144, v195
	v_fmac_f32_e32 v159, v143, v168
	v_add_f32_e32 v4, v12, v166
	s_waitcnt vmcnt(23) lgkmcnt(1)
	v_mul_f32_e32 v12, v7, v184
	v_add_f32_e32 v2, v2, v142
	ds_read2_b64 v[134:137], v1 offset0:113 offset1:114
	ds_read2_b64 v[150:153], v1 offset0:115 offset1:116
	s_waitcnt vmcnt(9)
	v_fma_f32 v143, v144, v202, -v169
	v_mul_f32_e32 v3, v6, v184
	v_fmac_f32_e32 v167, v145, v202
	v_add_f32_e32 v4, v4, v159
	v_mul_f32_e32 v142, v9, v190
	v_fma_f32 v6, v6, v201, -v12
	v_add_f32_e32 v2, v2, v143
	v_mul_f32_e32 v171, v8, v190
	v_fmac_f32_e32 v3, v7, v201
	v_add_f32_e32 v4, v4, v167
	s_waitcnt lgkmcnt(2)
	v_mul_f32_e32 v7, v147, v162
	v_fma_f32 v8, v8, v199, -v142
	v_add_f32_e32 v2, v2, v6
	v_mul_f32_e32 v165, v146, v162
	v_fmac_f32_e32 v171, v9, v199
	v_add_f32_e32 v3, v4, v3
	v_mul_f32_e32 v4, v149, v181
	v_fma_f32 v6, v146, v163, -v7
	v_add_f32_e32 v2, v2, v8
	v_mul_f32_e32 v5, v148, v181
	v_fmac_f32_e32 v165, v147, v163
	v_add_f32_e32 v3, v3, v171
	s_waitcnt lgkmcnt(1)
	v_mul_f32_e32 v7, v135, v196
	s_waitcnt vmcnt(5)
	v_fma_f32 v4, v148, v206, -v4
	v_add_f32_e32 v2, v2, v6
	ds_read2_b64 v[138:141], v1 offset0:117 offset1:118
	ds_read_b64 v[10:11], v1 offset:952
	v_mul_f32_e32 v170, v134, v196
	v_fmac_f32_e32 v5, v149, v206
	v_add_f32_e32 v3, v3, v165
	v_mul_f32_e32 v6, v137, v158
	v_fma_f32 v7, v134, v205, -v7
	v_add_f32_e32 v2, v2, v4
	v_mul_f32_e32 v161, v136, v158
	v_fmac_f32_e32 v170, v135, v205
	v_add_f32_e32 v3, v3, v5
	s_waitcnt lgkmcnt(2)
	v_mul_f32_e32 v4, v151, v160
	v_fma_f32 v5, v136, v204, -v6
	v_add_f32_e32 v2, v2, v7
	v_mul_f32_e32 v174, v150, v160
	v_fmac_f32_e32 v161, v137, v204
	v_add_f32_e32 v3, v3, v170
	v_mul_f32_e32 v6, v153, v197
	v_fma_f32 v4, v150, v203, -v4
	v_add_f32_e32 v2, v2, v5
	v_mul_f32_e32 v175, v152, v197
	v_fmac_f32_e32 v174, v151, v203
	v_add_f32_e32 v3, v3, v161
	s_waitcnt lgkmcnt(1)
	v_mul_f32_e32 v5, v139, v164
	s_waitcnt vmcnt(1)
	v_fma_f32 v6, v152, v209, -v6
	v_add_f32_e32 v2, v2, v4
	v_mul_f32_e32 v172, v138, v164
	v_fmac_f32_e32 v175, v153, v209
	v_add_f32_e32 v3, v3, v174
	v_mul_f32_e32 v4, v141, v185
	v_fma_f32 v5, v138, v208, -v5
	v_add_f32_e32 v2, v2, v6
	v_mul_f32_e32 v176, v140, v185
	v_fmac_f32_e32 v172, v139, v208
	v_add_f32_e32 v3, v3, v175
	s_waitcnt lgkmcnt(0)
	v_mul_f32_e32 v6, v11, v198
	v_fma_f32 v4, v140, v207, -v4
	v_add_f32_e32 v2, v2, v5
	v_mul_f32_e32 v156, v10, v198
	v_fmac_f32_e32 v176, v141, v207
	v_add_f32_e32 v3, v3, v172
	v_fma_f32 v5, v10, v154, -v6
	v_add_f32_e32 v2, v2, v4
	v_fmac_f32_e32 v156, v11, v154
	v_add_f32_e32 v3, v3, v176
	v_add_f32_e32 v2, v2, v5
	;; [unrolled: 1-line block ×3, first 2 shown]
	s_waitcnt vmcnt(0)
	v_sub_f32_e32 v2, v155, v2
	v_sub_f32_e32 v3, v180, v3
	buffer_store_dword v2, off, s[0:3], 0 offset:32
	buffer_store_dword v3, off, s[0:3], 0 offset:36
	v_cmpx_lt_u32_e32 3, v0
	s_cbranch_execz .LBB59_367
; %bb.366:
	s_clause 0x1
	buffer_load_dword v2, off, s[0:3], 0 offset:24
	buffer_load_dword v3, off, s[0:3], 0 offset:28
	buffer_store_dword v1, off, s[0:3], 0 offset:24
	buffer_store_dword v1, off, s[0:3], 0 offset:28
	s_waitcnt vmcnt(0)
	ds_write_b64 v133, v[2:3]
.LBB59_367:
	s_or_b32 exec_lo, exec_lo, s4
	s_waitcnt lgkmcnt(0)
	s_waitcnt_vscnt null, 0x0
	s_barrier
	buffer_gl0_inv
	s_clause 0x34
	buffer_load_dword v169, off, s[0:3], 0 offset:36
	buffer_load_dword v170, off, s[0:3], 0 offset:44
	;; [unrolled: 1-line block ×53, first 2 shown]
	ds_read_b128 v[177:180], v1 offset:512
	ds_read_b128 v[181:184], v1 offset:528
	;; [unrolled: 1-line block ×4, first 2 shown]
	s_mov_b32 s4, exec_lo
	s_waitcnt vmcnt(52) lgkmcnt(3)
	v_mul_f32_e32 v172, v177, v169
	v_mul_f32_e32 v193, v178, v169
	s_waitcnt vmcnt(51)
	v_mul_f32_e32 v169, v179, v170
	v_mul_f32_e32 v194, v180, v170
	buffer_load_dword v170, off, s[0:3], 0 offset:28
	s_waitcnt vmcnt(49)
	v_fmac_f32_e32 v172, v178, v6
	v_fma_f32 v193, v177, v6, -v193
	v_fmac_f32_e32 v169, v180, v5
	v_fma_f32 v194, v179, v5, -v194
	ds_read_b128 v[177:180], v1 offset:576
	s_waitcnt vmcnt(48) lgkmcnt(3)
	v_mul_f32_e32 v195, v181, v4
	v_mul_f32_e32 v4, v182, v4
	s_waitcnt vmcnt(47)
	v_mul_f32_e32 v196, v183, v3
	v_mul_f32_e32 v3, v184, v3
	s_waitcnt vmcnt(46) lgkmcnt(2)
	v_mul_f32_e32 v197, v185, v8
	v_fmac_f32_e32 v195, v182, v2
	v_fma_f32 v199, v181, v2, -v4
	s_waitcnt vmcnt(41)
	v_fmac_f32_e32 v196, v184, v135
	v_fma_f32 v135, v183, v135, -v3
	ds_read_b128 v[2:5], v1 offset:592
	ds_read_b128 v[181:184], v1 offset:608
	v_mul_f32_e32 v6, v186, v8
	v_mul_f32_e32 v198, v187, v7
	;; [unrolled: 1-line block ×3, first 2 shown]
	v_fmac_f32_e32 v197, v186, v134
	v_fma_f32 v134, v185, v134, -v6
	v_fmac_f32_e32 v198, v188, v11
	v_fma_f32 v11, v187, v11, -v7
	s_waitcnt vmcnt(40) lgkmcnt(3)
	v_mul_f32_e32 v185, v189, v12
	v_mul_f32_e32 v6, v190, v12
	s_waitcnt vmcnt(39)
	v_mul_f32_e32 v12, v191, v10
	v_mul_f32_e32 v7, v192, v10
	s_waitcnt vmcnt(34) lgkmcnt(2)
	v_mul_f32_e32 v187, v177, v166
	v_fmac_f32_e32 v185, v190, v9
	v_fma_f32 v186, v189, v9, -v6
	v_fmac_f32_e32 v12, v192, v167
	v_fma_f32 v167, v191, v167, -v7
	ds_read_b128 v[6:9], v1 offset:624
	v_mul_f32_e32 v166, v178, v166
	s_waitcnt vmcnt(33)
	v_mul_f32_e32 v188, v179, v165
	v_mul_f32_e32 v165, v180, v165
	s_waitcnt vmcnt(32) lgkmcnt(2)
	v_mul_f32_e32 v189, v2, v164
	v_mul_f32_e32 v164, v3, v164
	v_fmac_f32_e32 v187, v178, v159
	v_fma_f32 v166, v177, v159, -v166
	s_waitcnt vmcnt(31)
	v_mul_f32_e32 v177, v4, v163
	v_mul_f32_e32 v159, v5, v163
	v_fmac_f32_e32 v188, v180, v155
	v_fma_f32 v155, v179, v155, -v165
	s_waitcnt vmcnt(30) lgkmcnt(1)
	v_mul_f32_e32 v163, v181, v160
	v_mul_f32_e32 v165, v182, v160
	s_waitcnt vmcnt(29)
	v_mul_f32_e32 v178, v183, v161
	v_mul_f32_e32 v179, v184, v161
	buffer_load_dword v10, off, s[0:3], 0 offset:244
	v_fmac_f32_e32 v189, v3, v145
	v_fma_f32 v145, v2, v145, -v164
	s_waitcnt vmcnt(26)
	v_fmac_f32_e32 v177, v5, v162
	v_fma_f32 v164, v4, v162, -v159
	ds_read_b128 v[2:5], v1 offset:640
	ds_read_b128 v[159:162], v1 offset:656
	v_fmac_f32_e32 v163, v182, v158
	v_fma_f32 v158, v181, v158, -v165
	v_fmac_f32_e32 v178, v184, v156
	v_fma_f32 v156, v183, v156, -v179
	s_clause 0x4
	buffer_load_dword v165, off, s[0:3], 0 offset:252
	buffer_load_dword v179, off, s[0:3], 0 offset:272
	buffer_load_dword v180, off, s[0:3], 0 offset:264
	buffer_load_dword v181, off, s[0:3], 0 offset:256
	buffer_load_dword v182, off, s[0:3], 0 offset:248
	s_waitcnt vmcnt(30) lgkmcnt(2)
	v_mul_f32_e32 v183, v6, v151
	v_mul_f32_e32 v151, v7, v151
	s_waitcnt vmcnt(29)
	v_mul_f32_e32 v184, v8, v149
	v_mul_f32_e32 v149, v9, v149
	v_fmac_f32_e32 v183, v7, v141
	v_fma_f32 v141, v6, v141, -v151
	s_waitcnt vmcnt(25)
	v_fmac_f32_e32 v184, v9, v157
	v_fma_f32 v149, v8, v157, -v149
	ds_read_b128 v[6:9], v1 offset:672
	s_waitcnt vmcnt(24) lgkmcnt(2)
	v_mul_f32_e32 v151, v2, v154
	v_mul_f32_e32 v154, v3, v154
	s_waitcnt vmcnt(23)
	v_mul_f32_e32 v157, v4, v153
	v_mul_f32_e32 v153, v5, v153
	v_fmac_f32_e32 v151, v3, v146
	v_fma_f32 v146, v2, v146, -v154
	s_waitcnt vmcnt(22) lgkmcnt(1)
	v_mul_f32_e32 v154, v159, v150
	v_mul_f32_e32 v2, v160, v150
	v_fmac_f32_e32 v157, v5, v142
	v_fma_f32 v142, v4, v142, -v153
	s_waitcnt vmcnt(21)
	v_mul_f32_e32 v150, v161, v144
	v_mul_f32_e32 v3, v162, v144
	s_clause 0x1
	buffer_load_dword v144, off, s[0:3], 0 offset:260
	buffer_load_dword v153, off, s[0:3], 0 offset:268
	v_fmac_f32_e32 v154, v160, v137
	v_fma_f32 v137, v159, v137, -v2
	s_waitcnt vmcnt(19)
	v_fmac_f32_e32 v150, v162, v152
	v_fma_f32 v152, v161, v152, -v3
	ds_read_b128 v[2:5], v1 offset:688
	s_waitcnt vmcnt(18) lgkmcnt(1)
	v_mul_f32_e32 v159, v6, v148
	v_mul_f32_e32 v148, v7, v148
	s_waitcnt vmcnt(17)
	v_mul_f32_e32 v160, v8, v147
	v_mul_f32_e32 v147, v9, v147
	v_fmac_f32_e32 v159, v7, v143
	v_fma_f32 v143, v6, v143, -v148
	v_fmac_f32_e32 v160, v9, v138
	v_fma_f32 v138, v8, v138, -v147
	ds_read_b128 v[6:9], v1 offset:704
	buffer_load_dword v147, off, s[0:3], 0 offset:276
	s_waitcnt vmcnt(16) lgkmcnt(1)
	v_mul_f32_e32 v161, v4, v139
	v_mul_f32_e32 v139, v5, v139
	;; [unrolled: 1-line block ×4, first 2 shown]
	s_waitcnt vmcnt(12)
	v_fmac_f32_e32 v161, v5, v176
	v_fma_f32 v139, v4, v176, -v139
	buffer_load_dword v176, off, s[0:3], 0 offset:284
	v_fmac_f32_e32 v148, v3, v136
	v_fma_f32 v136, v2, v136, -v140
	s_waitcnt vmcnt(12) lgkmcnt(0)
	v_mul_f32_e32 v140, v6, v175
	v_mul_f32_e32 v162, v7, v175
	s_waitcnt vmcnt(11)
	v_mul_f32_e32 v175, v8, v174
	v_mul_f32_e32 v174, v9, v174
	ds_read_b128 v[2:5], v1 offset:720
	v_fmac_f32_e32 v140, v7, v173
	v_fma_f32 v162, v6, v173, -v162
	v_fmac_f32_e32 v175, v9, v171
	v_fma_f32 v171, v8, v171, -v174
	s_clause 0x4
	buffer_load_dword v173, off, s[0:3], 0 offset:304
	buffer_load_dword v174, off, s[0:3], 0 offset:296
	;; [unrolled: 1-line block ×5, first 2 shown]
	v_add_f32_e32 v6, 0, v193
	v_add_f32_e32 v7, 0, v172
	buffer_load_dword v193, off, s[0:3], 0 offset:300
	v_add_f32_e32 v6, v6, v194
	v_add_f32_e32 v7, v7, v169
	s_clause 0x1
	buffer_load_dword v169, off, s[0:3], 0 offset:308
	buffer_load_dword v172, off, s[0:3], 0 offset:316
	v_add_f32_e32 v6, v6, v199
	v_add_f32_e32 v7, v7, v195
	;; [unrolled: 1-line block ×4, first 2 shown]
	s_clause 0x3
	buffer_load_dword v194, off, s[0:3], 0 offset:336
	buffer_load_dword v195, off, s[0:3], 0 offset:328
	;; [unrolled: 1-line block ×4, first 2 shown]
	v_add_f32_e32 v6, v6, v134
	v_add_f32_e32 v7, v7, v197
	;; [unrolled: 1-line block ×4, first 2 shown]
	s_clause 0x3
	buffer_load_dword v11, off, s[0:3], 0 offset:324
	buffer_load_dword v197, off, s[0:3], 0 offset:332
	;; [unrolled: 1-line block ×4, first 2 shown]
	v_add_f32_e32 v6, v6, v186
	v_add_f32_e32 v7, v7, v185
	;; [unrolled: 1-line block ×14, first 2 shown]
	s_waitcnt vmcnt(25) lgkmcnt(0)
	v_mul_f32_e32 v134, v2, v10
	v_mul_f32_e32 v8, v3, v10
	v_fmac_f32_e32 v134, v3, v168
	s_waitcnt vmcnt(24)
	v_mul_f32_e32 v10, v4, v165
	v_mul_f32_e32 v9, v5, v165
	v_fma_f32 v135, v2, v168, -v8
	s_waitcnt vmcnt(20)
	v_fmac_f32_e32 v10, v5, v182
	v_fma_f32 v12, v4, v182, -v9
	ds_read_b128 v[2:5], v1 offset:736
	s_clause 0x6
	buffer_load_dword v165, off, s[0:3], 0 offset:368
	buffer_load_dword v166, off, s[0:3], 0 offset:360
	;; [unrolled: 1-line block ×7, first 2 shown]
	ds_read_b128 v[6:9], v1 offset:752
	s_waitcnt vmcnt(26) lgkmcnt(1)
	v_mul_f32_e32 v177, v2, v144
	v_mul_f32_e32 v144, v3, v144
	s_waitcnt vmcnt(25)
	v_mul_f32_e32 v164, v4, v153
	v_mul_f32_e32 v153, v5, v153
	v_fmac_f32_e32 v177, v3, v181
	v_add_f32_e32 v3, v145, v178
	v_fma_f32 v144, v2, v181, -v144
	v_add_f32_e32 v2, v158, v156
	v_fma_f32 v145, v4, v180, -v153
	s_clause 0x3
	buffer_load_dword v156, off, s[0:3], 0 offset:380
	buffer_load_dword v158, off, s[0:3], 0 offset:388
	;; [unrolled: 1-line block ×4, first 2 shown]
	v_add_f32_e32 v3, v3, v183
	v_fmac_f32_e32 v164, v5, v180
	v_add_f32_e32 v2, v2, v141
	s_clause 0x3
	buffer_load_dword v180, off, s[0:3], 0 offset:412
	buffer_load_dword v181, off, s[0:3], 0 offset:420
	;; [unrolled: 1-line block ×4, first 2 shown]
	v_add_f32_e32 v3, v3, v184
	s_waitcnt vmcnt(32) lgkmcnt(0)
	v_mul_f32_e32 v4, v7, v147
	v_add_f32_e32 v2, v2, v149
	v_mul_f32_e32 v149, v6, v147
	s_clause 0x3
	buffer_load_dword v184, off, s[0:3], 0 offset:444
	buffer_load_dword v187, off, s[0:3], 0 offset:452
	;; [unrolled: 1-line block ×4, first 2 shown]
	v_add_f32_e32 v3, v3, v151
	buffer_load_dword v201, off, s[0:3], 0 offset:476
	v_add_f32_e32 v2, v2, v146
	v_fmac_f32_e32 v149, v7, v179
	v_fma_f32 v146, v6, v179, -v4
	v_add_f32_e32 v6, v3, v157
	s_clause 0x3
	buffer_load_dword v157, off, s[0:3], 0 offset:400
	buffer_load_dword v179, off, s[0:3], 0 offset:392
	;; [unrolled: 1-line block ×4, first 2 shown]
	v_add_f32_e32 v2, v2, v142
	v_add_f32_e32 v6, v6, v154
	;; [unrolled: 1-line block ×3, first 2 shown]
	s_waitcnt vmcnt(40)
	v_mul_f32_e32 v2, v9, v176
	v_mul_f32_e32 v142, v8, v176
	v_add_f32_e32 v6, v6, v150
	v_add_f32_e32 v7, v7, v152
	;; [unrolled: 1-line block ×4, first 2 shown]
	s_waitcnt vmcnt(36)
	v_fma_f32 v147, v8, v191, -v2
	ds_read_b128 v[2:5], v1 offset:768
	v_fmac_f32_e32 v142, v9, v191
	s_clause 0x3
	buffer_load_dword v154, off, s[0:3], 0 offset:432
	buffer_load_dword v176, off, s[0:3], 0 offset:424
	;; [unrolled: 1-line block ×4, first 2 shown]
	v_add_f32_e32 v137, v7, v138
	v_add_f32_e32 v138, v6, v160
	ds_read_b128 v[6:9], v1 offset:784
	v_add_f32_e32 v136, v137, v136
	v_add_f32_e32 v138, v138, v148
	s_waitcnt vmcnt(39) lgkmcnt(1)
	v_mul_f32_e32 v150, v2, v192
	v_mul_f32_e32 v137, v3, v192
	s_waitcnt vmcnt(38)
	v_mul_f32_e32 v151, v4, v193
	v_fmac_f32_e32 v150, v3, v190
	v_fma_f32 v148, v2, v190, -v137
	v_add_f32_e32 v3, v138, v161
	s_clause 0x3
	buffer_load_dword v159, off, s[0:3], 0 offset:464
	buffer_load_dword v160, off, s[0:3], 0 offset:456
	;; [unrolled: 1-line block ×4, first 2 shown]
	v_add_f32_e32 v2, v136, v139
	buffer_load_dword v192, off, s[0:3], 0 offset:24
	v_mul_f32_e32 v136, v5, v193
	v_add_f32_e32 v3, v3, v140
	v_fmac_f32_e32 v151, v5, v174
	v_add_f32_e32 v2, v2, v162
	buffer_load_dword v162, off, s[0:3], 0 offset:472
	v_fma_f32 v152, v4, v174, -v136
	v_add_f32_e32 v137, v3, v175
	s_waitcnt vmcnt(43) lgkmcnt(0)
	v_mul_f32_e32 v153, v6, v169
	v_add_f32_e32 v2, v2, v171
	v_add_f32_e32 v139, v137, v134
	v_fmac_f32_e32 v153, v7, v173
	v_add_f32_e32 v138, v2, v135
	ds_read_b128 v[2:5], v1 offset:800
	ds_read_b128 v[134:137], v1 offset:816
	v_add_f32_e32 v10, v139, v10
	s_waitcnt vmcnt(42)
	v_mul_f32_e32 v139, v9, v172
	v_add_f32_e32 v12, v138, v12
	v_mul_f32_e32 v138, v7, v169
	v_mul_f32_e32 v169, v8, v172
	v_add_f32_e32 v10, v10, v177
	s_waitcnt vmcnt(38)
	v_fma_f32 v172, v8, v199, -v139
	v_add_f32_e32 v12, v12, v144
	v_fma_f32 v171, v6, v173, -v138
	v_fmac_f32_e32 v169, v9, v199
	ds_read_b128 v[6:9], v1 offset:832
	ds_read_b128 v[138:141], v1 offset:848
	v_add_f32_e32 v10, v10, v164
	v_add_f32_e32 v12, v12, v145
	;; [unrolled: 1-line block ×4, first 2 shown]
	s_waitcnt vmcnt(36) lgkmcnt(3)
	v_mul_f32_e32 v164, v4, v197
	s_waitcnt vmcnt(35) lgkmcnt(2)
	v_mul_f32_e32 v174, v134, v200
	v_mul_f32_e32 v146, v135, v200
	v_add_f32_e32 v10, v10, v142
	v_add_f32_e32 v12, v12, v147
	v_mul_f32_e32 v143, v5, v197
	v_fmac_f32_e32 v174, v135, v194
	v_fma_f32 v193, v134, v194, -v146
	v_add_f32_e32 v10, v10, v150
	v_add_f32_e32 v12, v12, v148
	v_mul_f32_e32 v173, v2, v11
	v_mul_f32_e32 v11, v3, v11
	v_fmac_f32_e32 v164, v5, v195
	v_add_f32_e32 v10, v10, v151
	v_add_f32_e32 v12, v12, v152
	v_fma_f32 v177, v4, v195, -v143
	v_fma_f32 v11, v2, v196, -v11
	v_fmac_f32_e32 v173, v3, v196
	v_add_f32_e32 v10, v10, v153
	s_waitcnt vmcnt(34)
	v_mul_f32_e32 v175, v136, v198
	v_mul_f32_e32 v147, v137, v198
	ds_read_b128 v[2:5], v1 offset:864
	ds_read_b128 v[142:145], v1 offset:880
	v_add_f32_e32 v10, v10, v169
	v_add_f32_e32 v10, v10, v173
	;; [unrolled: 1-line block ×4, first 2 shown]
	s_waitcnt vmcnt(29) lgkmcnt(3)
	v_mul_f32_e32 v194, v6, v155
	s_waitcnt vmcnt(28)
	v_mul_f32_e32 v195, v8, v182
	v_mul_f32_e32 v150, v7, v155
	;; [unrolled: 1-line block ×3, first 2 shown]
	v_fmac_f32_e32 v175, v137, v168
	v_fmac_f32_e32 v194, v7, v167
	v_add_f32_e32 v7, v12, v171
	v_fmac_f32_e32 v195, v9, v166
	v_fma_f32 v155, v8, v166, -v151
	v_fma_f32 v168, v136, v168, -v147
	;; [unrolled: 1-line block ×3, first 2 shown]
	v_add_f32_e32 v166, v7, v172
	v_add_f32_e32 v10, v10, v175
	ds_read_b128 v[134:137], v1 offset:896
	ds_read_b128 v[146:149], v1 offset:912
	;; [unrolled: 1-line block ×4, first 2 shown]
	s_waitcnt vmcnt(27) lgkmcnt(6)
	v_mul_f32_e32 v1, v138, v185
	v_add_f32_e32 v11, v166, v11
	v_mul_f32_e32 v166, v139, v185
	v_add_f32_e32 v10, v10, v194
	v_fmac_f32_e32 v1, v139, v165
	v_add_f32_e32 v11, v11, v177
	v_fma_f32 v138, v138, v165, -v166
	v_add_f32_e32 v10, v10, v195
	v_add_f32_e32 v11, v11, v193
	v_add_f32_e32 v1, v10, v1
	s_waitcnt vmcnt(26)
	v_mul_f32_e32 v167, v140, v156
	v_add_f32_e32 v11, v11, v168
	v_mul_f32_e32 v156, v141, v156
	s_waitcnt vmcnt(25) lgkmcnt(5)
	v_mul_f32_e32 v169, v2, v158
	s_waitcnt vmcnt(24)
	v_mul_f32_e32 v10, v5, v163
	v_mul_f32_e32 v164, v4, v163
	v_add_f32_e32 v11, v11, v12
	s_waitcnt vmcnt(23) lgkmcnt(4)
	v_mul_f32_e32 v171, v142, v178
	s_waitcnt vmcnt(22)
	v_mul_f32_e32 v172, v144, v180
	s_waitcnt vmcnt(21) lgkmcnt(3)
	v_mul_f32_e32 v173, v134, v181
	s_waitcnt vmcnt(20)
	v_mul_f32_e32 v174, v136, v183
	v_add_f32_e32 v11, v11, v155
	v_mul_f32_e32 v155, v3, v158
	s_waitcnt vmcnt(19) lgkmcnt(2)
	v_mul_f32_e32 v168, v146, v186
	s_waitcnt vmcnt(18)
	v_mul_f32_e32 v175, v148, v184
	s_waitcnt vmcnt(17) lgkmcnt(1)
	v_mul_f32_e32 v177, v6, v187
	v_add_f32_e32 v11, v11, v138
	s_waitcnt vmcnt(13)
	v_fmac_f32_e32 v171, v143, v157
	s_waitcnt vmcnt(12)
	v_fma_f32 v4, v4, v179, -v10
	s_waitcnt vmcnt(11)
	v_fmac_f32_e32 v169, v3, v202
	s_waitcnt vmcnt(10)
	v_fma_f32 v140, v140, v203, -v156
	v_fmac_f32_e32 v167, v141, v203
	v_fma_f32 v2, v2, v202, -v155
	v_fmac_f32_e32 v164, v5, v179
	v_mul_f32_e32 v12, v8, v188
	v_add_f32_e32 v3, v11, v140
	v_add_f32_e32 v1, v1, v167
	v_mul_f32_e32 v11, v143, v178
	s_waitcnt lgkmcnt(0)
	v_mul_f32_e32 v182, v150, v189
	v_mul_f32_e32 v139, v152, v201
	v_add_f32_e32 v2, v3, v2
	v_add_f32_e32 v1, v1, v169
	v_mul_f32_e32 v3, v145, v180
	v_fma_f32 v5, v142, v157, -v11
	v_add_f32_e32 v2, v2, v4
	v_add_f32_e32 v1, v1, v164
	v_mul_f32_e32 v4, v135, v181
	s_waitcnt vmcnt(8)
	v_fmac_f32_e32 v174, v137, v176
	s_waitcnt vmcnt(7)
	v_fmac_f32_e32 v173, v135, v191
	s_waitcnt vmcnt(6)
	v_fma_f32 v3, v144, v204, -v3
	v_add_f32_e32 v2, v2, v5
	v_fmac_f32_e32 v172, v145, v204
	v_add_f32_e32 v1, v1, v171
	v_mul_f32_e32 v5, v137, v183
	v_fma_f32 v4, v134, v191, -v4
	v_add_f32_e32 v2, v2, v3
	v_mul_f32_e32 v3, v147, v186
	v_add_f32_e32 v1, v1, v172
	v_fma_f32 v5, v136, v176, -v5
	v_fmac_f32_e32 v168, v147, v154
	v_add_f32_e32 v2, v2, v4
	v_mul_f32_e32 v4, v149, v184
	v_add_f32_e32 v1, v1, v173
	v_fma_f32 v3, v146, v154, -v3
	v_add_f32_e32 v2, v2, v5
	v_mul_f32_e32 v5, v7, v187
	v_add_f32_e32 v1, v1, v174
	v_add_f32_e32 v2, v2, v3
	v_mul_f32_e32 v3, v9, v188
	v_add_f32_e32 v1, v1, v168
	s_waitcnt vmcnt(4)
	v_fmac_f32_e32 v12, v9, v160
	s_waitcnt vmcnt(3)
	v_fma_f32 v5, v6, v161, -v5
	s_waitcnt vmcnt(2)
	v_fma_f32 v4, v148, v190, -v4
	v_fmac_f32_e32 v175, v149, v190
	v_fmac_f32_e32 v177, v7, v161
	v_fma_f32 v3, v8, v160, -v3
	v_fmac_f32_e32 v182, v151, v159
	v_add_f32_e32 v2, v2, v4
	v_add_f32_e32 v1, v1, v175
	v_mul_f32_e32 v4, v151, v189
	s_waitcnt vmcnt(0)
	v_fmac_f32_e32 v139, v153, v162
	v_add_f32_e32 v2, v2, v5
	v_add_f32_e32 v1, v1, v177
	v_mul_f32_e32 v5, v153, v201
	v_fma_f32 v4, v150, v159, -v4
	v_add_f32_e32 v2, v2, v3
	v_add_f32_e32 v1, v1, v12
	v_fma_f32 v3, v152, v162, -v5
	v_add_f32_e32 v2, v2, v4
	v_add_f32_e32 v1, v1, v182
	;; [unrolled: 1-line block ×4, first 2 shown]
	v_sub_f32_e32 v2, v192, v2
	v_sub_f32_e32 v1, v170, v1
	buffer_store_dword v2, off, s[0:3], 0 offset:24
	buffer_store_dword v1, off, s[0:3], 0 offset:28
	v_cmpx_lt_u32_e32 2, v0
	s_cbranch_execz .LBB59_369
; %bb.368:
	s_clause 0x1
	buffer_load_dword v1, off, s[0:3], 0 offset:16
	buffer_load_dword v2, off, s[0:3], 0 offset:20
	v_mov_b32_e32 v3, 0
	buffer_store_dword v3, off, s[0:3], 0 offset:16
	buffer_store_dword v3, off, s[0:3], 0 offset:20
	s_waitcnt vmcnt(0)
	ds_write_b64 v133, v[1:2]
.LBB59_369:
	s_or_b32 exec_lo, exec_lo, s4
	s_waitcnt lgkmcnt(0)
	s_waitcnt_vscnt null, 0x0
	s_barrier
	buffer_gl0_inv
	s_clause 0x34
	buffer_load_dword v2, off, s[0:3], 0 offset:28
	buffer_load_dword v3, off, s[0:3], 0 offset:36
	;; [unrolled: 1-line block ×53, first 2 shown]
	v_mov_b32_e32 v1, 0
	ds_read2_b64 v[177:180], v1 offset0:63 offset1:64
	ds_read2_b64 v[181:184], v1 offset0:65 offset1:66
	;; [unrolled: 1-line block ×4, first 2 shown]
	buffer_load_dword v176, off, s[0:3], 0 offset:20
	s_mov_b32 s4, exec_lo
	s_waitcnt vmcnt(53) lgkmcnt(3)
	v_mul_f32_e32 v193, v177, v2
	v_mul_f32_e32 v2, v178, v2
	s_waitcnt vmcnt(52)
	v_mul_f32_e32 v194, v179, v3
	v_mul_f32_e32 v3, v180, v3
	s_waitcnt vmcnt(49)
	v_fmac_f32_e32 v193, v178, v8
	v_fma_f32 v195, v177, v8, -v2
	v_fmac_f32_e32 v194, v180, v7
	v_fma_f32 v196, v179, v7, -v3
	ds_read2_b64 v[177:180], v1 offset0:71 offset1:72
	s_waitcnt vmcnt(48) lgkmcnt(3)
	v_mul_f32_e32 v197, v181, v6
	v_mul_f32_e32 v2, v182, v6
	s_waitcnt vmcnt(47)
	v_mul_f32_e32 v3, v184, v5
	v_mul_f32_e32 v198, v183, v5
	s_waitcnt vmcnt(46) lgkmcnt(2)
	v_mul_f32_e32 v6, v186, v10
	s_waitcnt vmcnt(45)
	v_mul_f32_e32 v7, v188, v9
	v_fmac_f32_e32 v197, v182, v4
	v_fma_f32 v181, v181, v4, -v2
	s_waitcnt vmcnt(41)
	v_fma_f32 v182, v183, v137, -v3
	ds_read2_b64 v[2:5], v1 offset0:73 offset1:74
	v_mul_f32_e32 v199, v185, v10
	v_mul_f32_e32 v10, v187, v9
	v_fmac_f32_e32 v198, v184, v137
	v_fma_f32 v183, v185, v136, -v6
	v_fma_f32 v184, v187, v134, -v7
	ds_read2_b64 v[6:9], v1 offset0:75 offset1:76
	v_fmac_f32_e32 v10, v188, v134
	s_waitcnt vmcnt(40) lgkmcnt(3)
	v_mul_f32_e32 v185, v189, v135
	v_mul_f32_e32 v134, v190, v135
	v_fmac_f32_e32 v199, v186, v136
	s_waitcnt vmcnt(39)
	v_mul_f32_e32 v186, v191, v12
	v_mul_f32_e32 v12, v192, v12
	v_fmac_f32_e32 v185, v190, v11
	v_fma_f32 v11, v189, v11, -v134
	ds_read2_b64 v[134:137], v1 offset0:77 offset1:78
	s_waitcnt vmcnt(35)
	v_fmac_f32_e32 v186, v192, v169
	v_fma_f32 v12, v191, v169, -v12
	s_waitcnt vmcnt(34) lgkmcnt(3)
	v_mul_f32_e32 v169, v177, v168
	v_mul_f32_e32 v168, v178, v168
	s_waitcnt vmcnt(33)
	v_mul_f32_e32 v188, v179, v167
	v_mul_f32_e32 v167, v180, v167
	s_waitcnt vmcnt(32) lgkmcnt(2)
	v_mul_f32_e32 v189, v2, v166
	v_mul_f32_e32 v166, v3, v166
	v_fmac_f32_e32 v169, v178, v161
	v_fma_f32 v168, v177, v161, -v168
	s_waitcnt vmcnt(31)
	v_mul_f32_e32 v177, v4, v165
	v_mul_f32_e32 v161, v5, v165
	v_fmac_f32_e32 v188, v180, v157
	v_fma_f32 v157, v179, v157, -v167
	s_waitcnt vmcnt(30) lgkmcnt(1)
	v_mul_f32_e32 v165, v6, v162
	v_mul_f32_e32 v167, v7, v162
	s_waitcnt vmcnt(29)
	v_mul_f32_e32 v178, v8, v163
	v_mul_f32_e32 v179, v9, v163
	buffer_load_dword v187, off, s[0:3], 0 offset:236
	v_fmac_f32_e32 v189, v3, v147
	v_fma_f32 v147, v2, v147, -v166
	s_waitcnt vmcnt(26)
	v_fmac_f32_e32 v177, v5, v164
	v_fma_f32 v166, v4, v164, -v161
	ds_read2_b64 v[2:5], v1 offset0:79 offset1:80
	ds_read2_b64 v[161:164], v1 offset0:81 offset1:82
	v_fmac_f32_e32 v165, v7, v160
	v_fma_f32 v160, v6, v160, -v167
	v_fmac_f32_e32 v178, v9, v158
	v_fma_f32 v158, v8, v158, -v179
	s_clause 0x4
	buffer_load_dword v167, off, s[0:3], 0 offset:244
	buffer_load_dword v179, off, s[0:3], 0 offset:264
	;; [unrolled: 1-line block ×5, first 2 shown]
	s_waitcnt vmcnt(30) lgkmcnt(2)
	v_mul_f32_e32 v192, v134, v153
	v_mul_f32_e32 v6, v135, v153
	s_waitcnt vmcnt(29)
	v_mul_f32_e32 v7, v137, v151
	v_mul_f32_e32 v153, v136, v151
	v_fmac_f32_e32 v192, v135, v143
	v_fma_f32 v134, v134, v143, -v6
	s_waitcnt vmcnt(25)
	v_fma_f32 v135, v136, v159, -v7
	ds_read2_b64 v[6:9], v1 offset0:83 offset1:84
	v_fmac_f32_e32 v153, v137, v159
	s_waitcnt vmcnt(24) lgkmcnt(2)
	v_mul_f32_e32 v136, v2, v156
	v_mul_f32_e32 v137, v3, v156
	s_waitcnt vmcnt(23)
	v_mul_f32_e32 v143, v4, v155
	v_mul_f32_e32 v151, v5, v155
	v_fmac_f32_e32 v136, v3, v148
	v_fma_f32 v137, v2, v148, -v137
	s_waitcnt vmcnt(22) lgkmcnt(1)
	v_mul_f32_e32 v148, v161, v152
	v_mul_f32_e32 v2, v162, v152
	v_fmac_f32_e32 v143, v5, v144
	v_fma_f32 v144, v4, v144, -v151
	s_waitcnt vmcnt(21)
	v_mul_f32_e32 v151, v163, v146
	v_mul_f32_e32 v3, v164, v146
	s_clause 0x1
	buffer_load_dword v146, off, s[0:3], 0 offset:252
	buffer_load_dword v152, off, s[0:3], 0 offset:260
	v_fmac_f32_e32 v148, v162, v139
	v_fma_f32 v139, v161, v139, -v2
	s_waitcnt vmcnt(19)
	v_fmac_f32_e32 v151, v164, v154
	v_fma_f32 v154, v163, v154, -v3
	ds_read2_b64 v[2:5], v1 offset0:85 offset1:86
	s_waitcnt vmcnt(18) lgkmcnt(1)
	v_mul_f32_e32 v155, v6, v150
	v_mul_f32_e32 v150, v7, v150
	s_waitcnt vmcnt(17)
	v_mul_f32_e32 v156, v8, v149
	v_mul_f32_e32 v149, v9, v149
	buffer_load_dword v164, off, s[0:3], 0 offset:276
	v_fmac_f32_e32 v155, v7, v145
	v_fma_f32 v145, v6, v145, -v150
	v_fmac_f32_e32 v156, v9, v140
	v_fma_f32 v140, v8, v140, -v149
	ds_read2_b64 v[6:9], v1 offset0:87 offset1:88
	buffer_load_dword v149, off, s[0:3], 0 offset:268
	s_waitcnt vmcnt(18) lgkmcnt(1)
	v_mul_f32_e32 v150, v2, v142
	v_mul_f32_e32 v142, v3, v142
	s_waitcnt vmcnt(17)
	v_mul_f32_e32 v159, v4, v141
	v_mul_f32_e32 v141, v5, v141
	v_fmac_f32_e32 v150, v3, v138
	v_fma_f32 v138, v2, v138, -v142
	s_waitcnt vmcnt(13)
	v_fmac_f32_e32 v159, v5, v175
	v_fma_f32 v141, v4, v175, -v141
	ds_read2_b64 v[2:5], v1 offset0:89 offset1:90
	s_waitcnt vmcnt(12) lgkmcnt(1)
	v_mul_f32_e32 v142, v6, v174
	v_mul_f32_e32 v161, v7, v174
	s_waitcnt vmcnt(11)
	v_mul_f32_e32 v162, v8, v173
	v_mul_f32_e32 v163, v9, v173
	v_fmac_f32_e32 v142, v7, v172
	v_fma_f32 v161, v6, v172, -v161
	v_fmac_f32_e32 v162, v9, v171
	v_fma_f32 v163, v8, v171, -v163
	s_clause 0x4
	buffer_load_dword v171, off, s[0:3], 0 offset:296
	buffer_load_dword v172, off, s[0:3], 0 offset:288
	;; [unrolled: 1-line block ×5, first 2 shown]
	v_add_f32_e32 v6, 0, v193
	v_add_f32_e32 v7, 0, v195
	buffer_load_dword v193, off, s[0:3], 0 offset:292
	v_add_f32_e32 v6, v6, v194
	v_add_f32_e32 v7, v7, v196
	;; [unrolled: 1-line block ×4, first 2 shown]
	s_clause 0x1
	buffer_load_dword v181, off, s[0:3], 0 offset:300
	buffer_load_dword v194, off, s[0:3], 0 offset:308
	v_add_f32_e32 v6, v6, v198
	v_add_f32_e32 v7, v7, v182
	s_clause 0x3
	buffer_load_dword v182, off, s[0:3], 0 offset:328
	buffer_load_dword v195, off, s[0:3], 0 offset:320
	;; [unrolled: 1-line block ×4, first 2 shown]
	v_add_f32_e32 v6, v6, v199
	v_add_f32_e32 v7, v7, v183
	;; [unrolled: 1-line block ×4, first 2 shown]
	s_clause 0x3
	buffer_load_dword v10, off, s[0:3], 0 offset:316
	buffer_load_dword v183, off, s[0:3], 0 offset:324
	;; [unrolled: 1-line block ×4, first 2 shown]
	v_add_f32_e32 v6, v6, v185
	v_add_f32_e32 v7, v7, v11
	;; [unrolled: 1-line block ×13, first 2 shown]
	s_waitcnt vmcnt(25) lgkmcnt(0)
	v_mul_f32_e32 v185, v2, v187
	v_mul_f32_e32 v8, v3, v187
	v_fmac_f32_e32 v185, v3, v170
	s_waitcnt vmcnt(24)
	v_mul_f32_e32 v11, v4, v167
	v_mul_f32_e32 v9, v5, v167
	v_fma_f32 v167, v2, v170, -v8
	s_waitcnt vmcnt(20)
	v_fmac_f32_e32 v11, v5, v191
	v_fma_f32 v12, v4, v191, -v9
	ds_read2_b64 v[2:5], v1 offset0:91 offset1:92
	s_clause 0x6
	buffer_load_dword v168, off, s[0:3], 0 offset:360
	buffer_load_dword v169, off, s[0:3], 0 offset:352
	;; [unrolled: 1-line block ×7, first 2 shown]
	ds_read2_b64 v[6:9], v1 offset0:93 offset1:94
	s_waitcnt vmcnt(26) lgkmcnt(1)
	v_mul_f32_e32 v177, v2, v146
	v_mul_f32_e32 v146, v3, v146
	s_waitcnt vmcnt(25)
	v_mul_f32_e32 v166, v4, v152
	v_mul_f32_e32 v152, v5, v152
	v_fmac_f32_e32 v177, v3, v190
	v_add_f32_e32 v3, v147, v165
	v_add_f32_e32 v147, v160, v158
	v_fma_f32 v146, v2, v190, -v146
	v_fmac_f32_e32 v166, v5, v180
	v_fma_f32 v152, v4, v180, -v152
	v_add_f32_e32 v2, v3, v178
	v_add_f32_e32 v3, v147, v134
	s_clause 0x7
	buffer_load_dword v158, off, s[0:3], 0 offset:372
	buffer_load_dword v160, off, s[0:3], 0 offset:380
	buffer_load_dword v165, off, s[0:3], 0 offset:388
	buffer_load_dword v178, off, s[0:3], 0 offset:396
	buffer_load_dword v180, off, s[0:3], 0 offset:392
	buffer_load_dword v189, off, s[0:3], 0 offset:384
	buffer_load_dword v190, off, s[0:3], 0 offset:376
	buffer_load_dword v191, off, s[0:3], 0 offset:368
	v_add_f32_e32 v2, v2, v192
	v_add_f32_e32 v3, v3, v135
	s_waitcnt vmcnt(31) lgkmcnt(0)
	v_mul_f32_e32 v147, v6, v149
	v_mul_f32_e32 v4, v7, v149
	s_clause 0x1
	buffer_load_dword v192, off, s[0:3], 0 offset:404
	buffer_load_dword v199, off, s[0:3], 0 offset:412
	v_add_f32_e32 v2, v2, v153
	v_add_f32_e32 v3, v3, v137
	v_fmac_f32_e32 v147, v7, v179
	v_fma_f32 v149, v6, v179, -v4
	s_clause 0x1
	buffer_load_dword v200, off, s[0:3], 0 offset:420
	buffer_load_dword v201, off, s[0:3], 0 offset:428
	v_add_f32_e32 v2, v2, v136
	v_add_f32_e32 v3, v3, v144
	s_clause 0x4
	buffer_load_dword v179, off, s[0:3], 0 offset:436
	buffer_load_dword v202, off, s[0:3], 0 offset:444
	buffer_load_dword v203, off, s[0:3], 0 offset:452
	buffer_load_dword v204, off, s[0:3], 0 offset:460
	buffer_load_dword v205, off, s[0:3], 0 offset:468
	v_add_f32_e32 v2, v2, v143
	v_add_f32_e32 v6, v3, v139
	v_mul_f32_e32 v3, v9, v164
	v_mul_f32_e32 v143, v8, v164
	buffer_load_dword v164, off, s[0:3], 0 offset:476
	v_add_f32_e32 v7, v2, v148
	v_add_f32_e32 v6, v6, v154
	;; [unrolled: 1-line block ×4, first 2 shown]
	s_waitcnt vmcnt(37)
	v_fma_f32 v144, v8, v174, -v3
	ds_read2_b64 v[2:5], v1 offset0:95 offset1:96
	v_fmac_f32_e32 v143, v9, v174
	v_add_f32_e32 v7, v7, v155
	s_clause 0x3
	buffer_load_dword v154, off, s[0:3], 0 offset:424
	buffer_load_dword v155, off, s[0:3], 0 offset:416
	;; [unrolled: 1-line block ×4, first 2 shown]
	v_add_f32_e32 v6, v6, v140
	v_add_f32_e32 v134, v7, v156
	;; [unrolled: 1-line block ×3, first 2 shown]
	ds_read2_b64 v[6:9], v1 offset0:97 offset1:98
	v_add_f32_e32 v134, v134, v150
	v_add_f32_e32 v135, v135, v141
	s_waitcnt vmcnt(40) lgkmcnt(1)
	v_mul_f32_e32 v145, v2, v175
	v_mul_f32_e32 v136, v3, v175
	s_waitcnt vmcnt(39)
	v_mul_f32_e32 v150, v4, v193
	v_fmac_f32_e32 v145, v3, v173
	v_fma_f32 v148, v2, v173, -v136
	v_add_f32_e32 v2, v134, v159
	v_add_f32_e32 v3, v135, v161
	s_clause 0x3
	buffer_load_dword v156, off, s[0:3], 0 offset:456
	buffer_load_dword v159, off, s[0:3], 0 offset:448
	;; [unrolled: 1-line block ×4, first 2 shown]
	v_mul_f32_e32 v134, v5, v193
	s_waitcnt vmcnt(42) lgkmcnt(0)
	v_mul_f32_e32 v153, v6, v181
	v_add_f32_e32 v2, v2, v142
	v_add_f32_e32 v3, v3, v163
	s_clause 0x1
	buffer_load_dword v163, off, s[0:3], 0 offset:472
	buffer_load_dword v175, off, s[0:3], 0 offset:464
	v_mul_f32_e32 v138, v7, v181
	s_waitcnt vmcnt(43)
	v_mul_f32_e32 v139, v9, v194
	v_add_f32_e32 v2, v2, v162
	buffer_load_dword v162, off, s[0:3], 0 offset:16
	v_add_f32_e32 v3, v3, v167
	v_mul_f32_e32 v167, v8, v194
	v_fmac_f32_e32 v150, v5, v172
	v_add_f32_e32 v135, v2, v185
	v_fma_f32 v151, v4, v172, -v134
	v_add_f32_e32 v12, v3, v12
	ds_read2_b64 v[2:5], v1 offset0:99 offset1:100
	v_fmac_f32_e32 v153, v7, v171
	v_add_f32_e32 v11, v135, v11
	ds_read2_b64 v[134:137], v1 offset0:101 offset1:102
	v_add_f32_e32 v12, v12, v146
	v_fma_f32 v171, v6, v171, -v138
	s_waitcnt vmcnt(40)
	v_fmac_f32_e32 v167, v9, v197
	v_add_f32_e32 v11, v11, v177
	v_add_f32_e32 v12, v12, v152
	v_fma_f32 v152, v8, v197, -v139
	ds_read2_b64 v[6:9], v1 offset0:103 offset1:104
	ds_read2_b64 v[138:141], v1 offset0:105 offset1:106
	v_add_f32_e32 v11, v11, v166
	v_add_f32_e32 v12, v12, v149
	;; [unrolled: 1-line block ×4, first 2 shown]
	s_waitcnt vmcnt(39) lgkmcnt(3)
	v_mul_f32_e32 v166, v2, v10
	v_mul_f32_e32 v10, v3, v10
	v_add_f32_e32 v11, v11, v143
	s_waitcnt vmcnt(38)
	v_mul_f32_e32 v142, v5, v183
	v_add_f32_e32 v12, v12, v148
	v_mul_f32_e32 v172, v4, v183
	v_fma_f32 v10, v2, v196, -v10
	v_add_f32_e32 v11, v11, v145
	v_fmac_f32_e32 v166, v3, v196
	v_add_f32_e32 v12, v12, v151
	s_waitcnt vmcnt(37) lgkmcnt(2)
	v_mul_f32_e32 v177, v134, v198
	v_mul_f32_e32 v146, v135, v198
	v_add_f32_e32 v11, v11, v150
	v_fma_f32 v183, v4, v195, -v142
	v_add_f32_e32 v12, v12, v171
	v_fmac_f32_e32 v172, v5, v195
	s_waitcnt vmcnt(36)
	v_mul_f32_e32 v147, v137, v184
	v_add_f32_e32 v11, v11, v153
	v_fmac_f32_e32 v177, v135, v182
	v_fma_f32 v182, v134, v182, -v146
	v_mul_f32_e32 v181, v136, v184
	ds_read2_b64 v[2:5], v1 offset0:107 offset1:108
	ds_read2_b64 v[142:145], v1 offset0:109 offset1:110
	v_add_f32_e32 v11, v11, v167
	v_add_f32_e32 v166, v11, v166
	;; [unrolled: 1-line block ×4, first 2 shown]
	s_waitcnt vmcnt(31) lgkmcnt(3)
	v_mul_f32_e32 v171, v6, v157
	v_mul_f32_e32 v150, v7, v157
	v_fma_f32 v184, v136, v186, -v147
	v_fmac_f32_e32 v181, v137, v186
	s_waitcnt vmcnt(30)
	v_mul_f32_e32 v151, v9, v187
	v_fmac_f32_e32 v171, v7, v170
	v_add_f32_e32 v7, v12, v152
	v_fma_f32 v12, v6, v170, -v150
	v_mul_f32_e32 v185, v8, v187
	v_add_f32_e32 v166, v166, v181
	v_fma_f32 v157, v8, v169, -v151
	v_add_f32_e32 v167, v7, v10
	s_waitcnt vmcnt(29) lgkmcnt(2)
	v_mul_f32_e32 v172, v139, v188
	v_fmac_f32_e32 v185, v9, v169
	v_mul_f32_e32 v169, v138, v188
	v_add_f32_e32 v166, v166, v171
	v_add_f32_e32 v167, v167, v183
	v_fma_f32 v138, v138, v168, -v172
	ds_read2_b64 v[134:137], v1 offset0:111 offset1:112
	ds_read2_b64 v[146:149], v1 offset0:113 offset1:114
	v_fmac_f32_e32 v169, v139, v168
	ds_read2_b64 v[6:9], v1 offset0:115 offset1:116
	ds_read2_b64 v[150:153], v1 offset0:117 offset1:118
	ds_read_b64 v[10:11], v1 offset:952
	v_add_f32_e32 v167, v167, v182
	v_add_f32_e32 v167, v167, v184
	s_waitcnt vmcnt(28)
	v_mul_f32_e32 v170, v140, v158
	v_mul_f32_e32 v158, v141, v158
	v_add_f32_e32 v12, v167, v12
	s_waitcnt vmcnt(27) lgkmcnt(6)
	v_mul_f32_e32 v182, v2, v160
	v_mul_f32_e32 v160, v3, v160
	s_waitcnt vmcnt(26)
	v_mul_f32_e32 v177, v4, v165
	v_mul_f32_e32 v165, v5, v165
	v_add_f32_e32 v12, v12, v157
	v_add_f32_e32 v157, v166, v185
	s_waitcnt vmcnt(21)
	v_fma_f32 v140, v140, v191, -v158
	v_fmac_f32_e32 v170, v141, v191
	v_fmac_f32_e32 v182, v3, v190
	v_add_f32_e32 v12, v12, v138
	v_add_f32_e32 v138, v157, v169
	v_fma_f32 v2, v2, v190, -v160
	v_fma_f32 v4, v4, v189, -v165
	s_waitcnt lgkmcnt(5)
	v_mul_f32_e32 v139, v142, v178
	v_add_f32_e32 v3, v12, v140
	v_add_f32_e32 v12, v138, v170
	v_mul_f32_e32 v138, v143, v178
	v_fmac_f32_e32 v177, v5, v189
	s_waitcnt vmcnt(20)
	v_mul_f32_e32 v5, v145, v192
	v_add_f32_e32 v2, v3, v2
	v_add_f32_e32 v3, v12, v182
	v_fma_f32 v12, v142, v180, -v138
	v_mul_f32_e32 v168, v144, v192
	v_fmac_f32_e32 v139, v143, v180
	v_add_f32_e32 v2, v2, v4
	v_add_f32_e32 v3, v3, v177
	s_waitcnt vmcnt(19) lgkmcnt(4)
	v_mul_f32_e32 v4, v135, v199
	v_mul_f32_e32 v172, v134, v199
	s_waitcnt vmcnt(18)
	v_mul_f32_e32 v141, v136, v200
	v_add_f32_e32 v2, v2, v12
	v_add_f32_e32 v3, v3, v139
	v_mul_f32_e32 v12, v137, v200
	s_waitcnt vmcnt(17) lgkmcnt(3)
	v_mul_f32_e32 v158, v146, v201
	s_waitcnt vmcnt(16)
	v_mul_f32_e32 v167, v148, v179
	s_waitcnt vmcnt(15) lgkmcnt(2)
	v_mul_f32_e32 v171, v6, v202
	s_waitcnt vmcnt(14)
	;; [unrolled: 4-line block ×3, first 2 shown]
	v_fma_f32 v12, v136, v155, -v12
	s_waitcnt vmcnt(8)
	v_fma_f32 v4, v134, v174, -v4
	s_waitcnt vmcnt(7)
	v_fma_f32 v5, v144, v206, -v5
	v_fmac_f32_e32 v168, v145, v206
	v_fmac_f32_e32 v172, v135, v174
	;; [unrolled: 1-line block ×4, first 2 shown]
	v_add_f32_e32 v2, v2, v5
	v_add_f32_e32 v3, v3, v168
	v_mul_f32_e32 v5, v147, v201
	v_mul_f32_e32 v183, v152, v205
	s_waitcnt lgkmcnt(0)
	v_mul_f32_e32 v157, v10, v164
	v_add_f32_e32 v2, v2, v4
	v_add_f32_e32 v3, v3, v172
	v_mul_f32_e32 v4, v149, v179
	v_fma_f32 v5, v146, v154, -v5
	v_add_f32_e32 v2, v2, v12
	v_add_f32_e32 v3, v3, v141
	v_mul_f32_e32 v12, v7, v202
	v_add_f32_e32 v2, v2, v5
	v_add_f32_e32 v3, v3, v158
	v_mul_f32_e32 v5, v9, v203
	s_waitcnt vmcnt(6)
	v_fmac_f32_e32 v166, v151, v156
	s_waitcnt vmcnt(5)
	v_fmac_f32_e32 v181, v9, v159
	s_waitcnt vmcnt(4)
	v_fma_f32 v6, v6, v161, -v12
	s_waitcnt vmcnt(3)
	v_fma_f32 v4, v148, v173, -v4
	v_fmac_f32_e32 v167, v149, v173
	v_fmac_f32_e32 v171, v7, v161
	v_fma_f32 v5, v8, v159, -v5
	s_waitcnt vmcnt(2)
	v_fmac_f32_e32 v157, v11, v163
	v_add_f32_e32 v2, v2, v4
	v_add_f32_e32 v3, v3, v167
	v_mul_f32_e32 v4, v151, v204
	s_waitcnt vmcnt(1)
	v_fmac_f32_e32 v183, v153, v175
	v_add_f32_e32 v2, v2, v6
	v_add_f32_e32 v3, v3, v171
	v_mul_f32_e32 v6, v153, v205
	v_fma_f32 v4, v150, v156, -v4
	v_add_f32_e32 v2, v2, v5
	v_add_f32_e32 v3, v3, v181
	v_mul_f32_e32 v5, v11, v164
	v_fma_f32 v6, v152, v175, -v6
	v_add_f32_e32 v2, v2, v4
	v_add_f32_e32 v3, v3, v166
	v_fma_f32 v4, v10, v163, -v5
	v_add_f32_e32 v2, v2, v6
	v_add_f32_e32 v3, v3, v183
	;; [unrolled: 1-line block ×4, first 2 shown]
	s_waitcnt vmcnt(0)
	v_sub_f32_e32 v2, v162, v2
	v_sub_f32_e32 v3, v176, v3
	buffer_store_dword v2, off, s[0:3], 0 offset:16
	buffer_store_dword v3, off, s[0:3], 0 offset:20
	v_cmpx_lt_u32_e32 1, v0
	s_cbranch_execz .LBB59_371
; %bb.370:
	s_clause 0x1
	buffer_load_dword v2, off, s[0:3], 0 offset:8
	buffer_load_dword v3, off, s[0:3], 0 offset:12
	buffer_store_dword v1, off, s[0:3], 0 offset:8
	buffer_store_dword v1, off, s[0:3], 0 offset:12
	s_waitcnt vmcnt(0)
	ds_write_b64 v133, v[2:3]
.LBB59_371:
	s_or_b32 exec_lo, exec_lo, s4
	s_waitcnt lgkmcnt(0)
	s_waitcnt_vscnt null, 0x0
	s_barrier
	buffer_gl0_inv
	s_clause 0x3c
	buffer_load_dword v168, off, s[0:3], 0 offset:20
	buffer_load_dword v169, off, s[0:3], 0 offset:28
	;; [unrolled: 1-line block ×61, first 2 shown]
	ds_read_b128 v[182:185], v1 offset:496
	ds_read_b128 v[186:189], v1 offset:512
	s_mov_b32 s4, exec_lo
	s_waitcnt vmcnt(60) lgkmcnt(1)
	v_mul_f32_e32 v178, v182, v168
	v_mul_f32_e32 v193, v183, v168
	s_waitcnt vmcnt(59)
	v_mul_f32_e32 v168, v184, v169
	v_mul_f32_e32 v194, v185, v169
	buffer_load_dword v169, off, s[0:3], 0 offset:12
	s_waitcnt vmcnt(57)
	v_fmac_f32_e32 v178, v183, v6
	v_fma_f32 v193, v182, v6, -v193
	v_fmac_f32_e32 v168, v185, v5
	v_fma_f32 v194, v184, v5, -v194
	ds_read_b128 v[182:185], v1 offset:528
	s_waitcnt vmcnt(56) lgkmcnt(1)
	v_mul_f32_e32 v195, v186, v4
	v_mul_f32_e32 v4, v187, v4
	s_waitcnt vmcnt(55)
	v_mul_f32_e32 v196, v188, v3
	v_mul_f32_e32 v3, v189, v3
	v_fmac_f32_e32 v195, v187, v2
	v_fma_f32 v186, v186, v2, -v4
	s_waitcnt vmcnt(51)
	v_fmac_f32_e32 v196, v189, v135
	v_fma_f32 v135, v188, v135, -v3
	ds_read_b128 v[2:5], v1 offset:544
	s_waitcnt vmcnt(50) lgkmcnt(1)
	v_mul_f32_e32 v187, v182, v134
	v_mul_f32_e32 v6, v183, v134
	s_waitcnt vmcnt(49)
	v_mul_f32_e32 v134, v184, v12
	v_mul_f32_e32 v12, v185, v12
	v_fmac_f32_e32 v187, v183, v11
	v_fma_f32 v11, v182, v11, -v6
	v_fmac_f32_e32 v134, v185, v8
	v_fma_f32 v12, v184, v8, -v12
	ds_read_b128 v[182:185], v1 offset:560
	s_waitcnt vmcnt(48) lgkmcnt(1)
	v_mul_f32_e32 v188, v2, v10
	v_mul_f32_e32 v6, v3, v10
	s_waitcnt vmcnt(47)
	v_mul_f32_e32 v10, v4, v9
	v_mul_f32_e32 v8, v5, v9
	v_fmac_f32_e32 v188, v3, v7
	v_fma_f32 v189, v2, v7, -v6
	s_waitcnt vmcnt(43)
	v_fmac_f32_e32 v10, v5, v167
	v_fma_f32 v167, v4, v167, -v8
	ds_read_b128 v[2:5], v1 offset:576
	s_waitcnt vmcnt(42) lgkmcnt(1)
	v_mul_f32_e32 v197, v182, v166
	v_mul_f32_e32 v6, v183, v166
	s_waitcnt vmcnt(41)
	v_mul_f32_e32 v166, v184, v165
	v_mul_f32_e32 v7, v185, v165
	v_fmac_f32_e32 v197, v183, v160
	v_fma_f32 v160, v182, v160, -v6
	v_fmac_f32_e32 v166, v185, v155
	v_fma_f32 v155, v184, v155, -v7
	ds_read_b128 v[6:9], v1 offset:592
	s_waitcnt vmcnt(40) lgkmcnt(1)
	v_mul_f32_e32 v165, v2, v159
	v_mul_f32_e32 v159, v3, v159
	s_waitcnt vmcnt(39)
	v_mul_f32_e32 v182, v4, v157
	v_mul_f32_e32 v157, v5, v157
	buffer_load_dword v183, off, s[0:3], 0 offset:260
	v_fmac_f32_e32 v165, v3, v143
	v_fma_f32 v143, v2, v143, -v159
	s_waitcnt vmcnt(36)
	v_fmac_f32_e32 v182, v5, v164
	v_fma_f32 v157, v4, v164, -v157
	ds_read_b128 v[2:5], v1 offset:608
	s_waitcnt vmcnt(35) lgkmcnt(1)
	v_mul_f32_e32 v159, v6, v163
	v_mul_f32_e32 v163, v7, v163
	s_waitcnt vmcnt(34)
	v_mul_f32_e32 v164, v8, v162
	v_mul_f32_e32 v162, v9, v162
	v_fmac_f32_e32 v159, v7, v153
	v_fma_f32 v153, v6, v153, -v163
	v_fmac_f32_e32 v164, v9, v148
	v_fma_f32 v148, v8, v148, -v162
	ds_read_b128 v[6:9], v1 offset:624
	s_waitcnt vmcnt(33) lgkmcnt(1)
	v_mul_f32_e32 v162, v2, v152
	v_mul_f32_e32 v152, v3, v152
	s_waitcnt vmcnt(32)
	v_mul_f32_e32 v163, v4, v150
	v_mul_f32_e32 v150, v5, v150
	v_fmac_f32_e32 v162, v3, v138
	v_fma_f32 v138, v2, v138, -v152
	s_waitcnt vmcnt(28)
	v_fmac_f32_e32 v163, v5, v161
	v_fma_f32 v150, v4, v161, -v150
	ds_read_b128 v[2:5], v1 offset:640
	s_waitcnt vmcnt(27) lgkmcnt(1)
	v_mul_f32_e32 v152, v6, v158
	v_mul_f32_e32 v158, v7, v158
	s_waitcnt vmcnt(26)
	v_mul_f32_e32 v161, v8, v156
	v_mul_f32_e32 v156, v9, v156
	v_fmac_f32_e32 v152, v7, v147
	v_fma_f32 v147, v6, v147, -v158
	v_fmac_f32_e32 v161, v9, v144
	v_fma_f32 v144, v8, v144, -v156
	ds_read_b128 v[6:9], v1 offset:656
	s_waitcnt vmcnt(25) lgkmcnt(1)
	v_mul_f32_e32 v156, v2, v146
	v_mul_f32_e32 v146, v3, v146
	s_waitcnt vmcnt(24)
	v_mul_f32_e32 v158, v4, v145
	v_mul_f32_e32 v145, v5, v145
	v_fmac_f32_e32 v156, v3, v137
	v_fma_f32 v137, v2, v137, -v146
	s_waitcnt vmcnt(20)
	v_fmac_f32_e32 v158, v5, v154
	v_fma_f32 v145, v4, v154, -v145
	ds_read_b128 v[2:5], v1 offset:672
	s_waitcnt vmcnt(19) lgkmcnt(1)
	v_mul_f32_e32 v146, v6, v151
	v_mul_f32_e32 v151, v7, v151
	s_waitcnt vmcnt(18)
	v_mul_f32_e32 v154, v8, v149
	v_mul_f32_e32 v149, v9, v149
	v_fmac_f32_e32 v146, v7, v142
	v_fma_f32 v142, v6, v142, -v151
	v_fmac_f32_e32 v154, v9, v139
	v_fma_f32 v139, v8, v139, -v149
	ds_read_b128 v[6:9], v1 offset:688
	s_waitcnt vmcnt(17) lgkmcnt(1)
	v_mul_f32_e32 v149, v2, v141
	v_mul_f32_e32 v141, v3, v141
	s_waitcnt vmcnt(16)
	v_mul_f32_e32 v151, v4, v140
	v_mul_f32_e32 v140, v5, v140
	v_fmac_f32_e32 v149, v3, v136
	v_fma_f32 v136, v2, v136, -v141
	s_waitcnt vmcnt(12)
	v_fmac_f32_e32 v151, v5, v177
	v_fma_f32 v140, v4, v177, -v140
	ds_read_b128 v[2:5], v1 offset:704
	s_waitcnt vmcnt(11) lgkmcnt(1)
	v_mul_f32_e32 v141, v6, v176
	v_mul_f32_e32 v176, v7, v176
	s_waitcnt vmcnt(10)
	v_mul_f32_e32 v177, v8, v175
	v_mul_f32_e32 v175, v9, v175
	v_fmac_f32_e32 v141, v7, v174
	v_fma_f32 v174, v6, v174, -v176
	v_fmac_f32_e32 v177, v9, v171
	v_fma_f32 v171, v8, v171, -v175
	ds_read_b128 v[6:9], v1 offset:720
	s_waitcnt vmcnt(9) lgkmcnt(1)
	v_mul_f32_e32 v175, v2, v173
	v_mul_f32_e32 v173, v3, v173
	s_waitcnt vmcnt(8)
	v_mul_f32_e32 v176, v4, v172
	v_mul_f32_e32 v172, v5, v172
	v_fmac_f32_e32 v175, v3, v170
	v_fma_f32 v170, v2, v170, -v173
	s_waitcnt vmcnt(4)
	v_fmac_f32_e32 v176, v5, v190
	v_fma_f32 v172, v4, v190, -v172
	ds_read_b128 v[2:5], v1 offset:736
	s_waitcnt vmcnt(3) lgkmcnt(1)
	v_mul_f32_e32 v173, v6, v191
	v_mul_f32_e32 v184, v7, v191
	buffer_load_dword v191, off, s[0:3], 0 offset:268
	s_waitcnt vmcnt(3)
	v_mul_f32_e32 v185, v8, v192
	v_mul_f32_e32 v190, v9, v192
	v_fmac_f32_e32 v173, v7, v181
	v_fma_f32 v181, v6, v181, -v184
	v_fmac_f32_e32 v185, v9, v180
	v_fma_f32 v180, v8, v180, -v190
	s_clause 0x4
	buffer_load_dword v184, off, s[0:3], 0 offset:288
	buffer_load_dword v190, off, s[0:3], 0 offset:280
	;; [unrolled: 1-line block ×5, first 2 shown]
	s_waitcnt vmcnt(6) lgkmcnt(0)
	v_mul_f32_e32 v199, v2, v183
	v_mul_f32_e32 v7, v3, v183
	v_fmac_f32_e32 v199, v3, v179
	v_fma_f32 v179, v2, v179, -v7
	s_waitcnt vmcnt(5)
	v_mul_f32_e32 v183, v4, v191
	v_mul_f32_e32 v2, v5, v191
	s_waitcnt vmcnt(1)
	v_fmac_f32_e32 v183, v5, v6
	v_fma_f32 v191, v4, v6, -v2
	ds_read_b128 v[2:5], v1 offset:752
	ds_read_b128 v[6:9], v1 offset:768
	s_waitcnt vmcnt(0) lgkmcnt(1)
	v_mul_f32_e32 v200, v2, v198
	v_mul_f32_e32 v198, v3, v198
	v_fmac_f32_e32 v200, v3, v192
	v_fma_f32 v192, v2, v192, -v198
	s_clause 0x1
	buffer_load_dword v2, off, s[0:3], 0 offset:284
	buffer_load_dword v3, off, s[0:3], 0 offset:292
	s_waitcnt vmcnt(1)
	v_mul_f32_e32 v198, v4, v2
	v_mul_f32_e32 v2, v5, v2
	v_fmac_f32_e32 v198, v5, v190
	v_fma_f32 v190, v4, v190, -v2
	v_add_f32_e32 v2, 0, v193
	v_add_f32_e32 v4, 0, v178
	;; [unrolled: 1-line block ×4, first 2 shown]
	buffer_load_dword v168, off, s[0:3], 0 offset:300
	v_add_f32_e32 v2, v2, v186
	v_add_f32_e32 v4, v4, v195
	;; [unrolled: 1-line block ×3, first 2 shown]
	s_clause 0x3
	buffer_load_dword v178, off, s[0:3], 0 offset:320
	buffer_load_dword v186, off, s[0:3], 0 offset:312
	;; [unrolled: 1-line block ×4, first 2 shown]
	v_add_f32_e32 v4, v4, v196
	v_add_f32_e32 v2, v2, v11
	buffer_load_dword v11, off, s[0:3], 0 offset:308
	v_add_f32_e32 v4, v4, v187
	v_add_f32_e32 v2, v2, v12
	s_clause 0x1
	buffer_load_dword v12, off, s[0:3], 0 offset:316
	buffer_load_dword v187, off, s[0:3], 0 offset:324
	v_add_f32_e32 v4, v4, v134
	v_add_f32_e32 v2, v2, v189
	s_clause 0x1
	buffer_load_dword v189, off, s[0:3], 0 offset:332
	buffer_load_dword v194, off, s[0:3], 0 offset:340
	v_add_f32_e32 v4, v4, v188
	v_add_f32_e32 v2, v2, v167
	;; [unrolled: 1-line block ×4, first 2 shown]
	s_clause 0x3
	buffer_load_dword v10, off, s[0:3], 0 offset:352
	buffer_load_dword v160, off, s[0:3], 0 offset:344
	;; [unrolled: 1-line block ×4, first 2 shown]
	v_add_f32_e32 v4, v4, v197
	v_add_f32_e32 v2, v2, v155
	buffer_load_dword v155, off, s[0:3], 0 offset:348
	v_add_f32_e32 v4, v4, v166
	s_clause 0x1
	buffer_load_dword v166, off, s[0:3], 0 offset:356
	buffer_load_dword v195, off, s[0:3], 0 offset:364
	v_add_f32_e32 v2, v2, v143
	v_add_f32_e32 v4, v4, v165
	;; [unrolled: 1-line block ×4, first 2 shown]
	s_clause 0x3
	buffer_load_dword v157, off, s[0:3], 0 offset:384
	buffer_load_dword v165, off, s[0:3], 0 offset:376
	;; [unrolled: 1-line block ×4, first 2 shown]
	v_add_f32_e32 v2, v2, v153
	v_add_f32_e32 v4, v4, v159
	buffer_load_dword v159, off, s[0:3], 0 offset:372
	v_add_f32_e32 v2, v2, v148
	v_add_f32_e32 v4, v4, v164
	buffer_load_dword v164, off, s[0:3], 0 offset:380
	v_add_f32_e32 v2, v2, v138
	v_add_f32_e32 v4, v4, v162
	s_clause 0x2
	buffer_load_dword v162, off, s[0:3], 0 offset:388
	buffer_load_dword v197, off, s[0:3], 0 offset:396
	;; [unrolled: 1-line block ×3, first 2 shown]
	v_add_f32_e32 v2, v2, v150
	v_add_f32_e32 v4, v4, v163
	s_clause 0x2
	buffer_load_dword v163, off, s[0:3], 0 offset:412
	buffer_load_dword v202, off, s[0:3], 0 offset:420
	;; [unrolled: 1-line block ×3, first 2 shown]
	v_add_f32_e32 v2, v2, v147
	buffer_load_dword v204, off, s[0:3], 0 offset:436
	v_add_f32_e32 v4, v4, v152
	s_clause 0x2
	buffer_load_dword v205, off, s[0:3], 0 offset:444
	buffer_load_dword v206, off, s[0:3], 0 offset:452
	;; [unrolled: 1-line block ×3, first 2 shown]
	v_add_f32_e32 v2, v2, v144
	v_add_f32_e32 v4, v4, v161
	buffer_load_dword v161, off, s[0:3], 0 offset:460
	v_add_f32_e32 v2, v2, v137
	v_add_f32_e32 v4, v4, v156
	buffer_load_dword v156, off, s[0:3], 0 offset:476
	v_add_f32_e32 v2, v2, v145
	v_add_f32_e32 v4, v4, v158
	s_clause 0x3
	buffer_load_dword v158, off, s[0:3], 0 offset:416
	buffer_load_dword v208, off, s[0:3], 0 offset:408
	;; [unrolled: 1-line block ×4, first 2 shown]
	v_add_f32_e32 v2, v2, v142
	v_add_f32_e32 v4, v4, v146
	s_waitcnt vmcnt(39) lgkmcnt(0)
	v_mul_f32_e32 v146, v6, v3
	v_mul_f32_e32 v3, v7, v3
	v_add_f32_e32 v2, v2, v139
	v_add_f32_e32 v4, v4, v154
	s_clause 0x3
	buffer_load_dword v154, off, s[0:3], 0 offset:448
	buffer_load_dword v211, off, s[0:3], 0 offset:440
	;; [unrolled: 1-line block ×4, first 2 shown]
	v_fmac_f32_e32 v146, v7, v184
	v_add_f32_e32 v2, v2, v136
	v_fma_f32 v147, v6, v184, -v3
	v_add_f32_e32 v4, v4, v149
	v_add_f32_e32 v2, v2, v140
	;; [unrolled: 1-line block ×4, first 2 shown]
	s_clause 0x3
	buffer_load_dword v174, off, s[0:3], 0 offset:472
	buffer_load_dword v214, off, s[0:3], 0 offset:464
	;; [unrolled: 1-line block ×4, first 2 shown]
	v_add_f32_e32 v4, v4, v141
	v_add_f32_e32 v2, v2, v171
	;; [unrolled: 1-line block ×5, first 2 shown]
	ds_read_b128 v[2:5], v1 offset:784
	v_add_f32_e32 v134, v6, v172
	v_add_f32_e32 v138, v134, v181
	;; [unrolled: 1-line block ×4, first 2 shown]
	s_waitcnt vmcnt(46)
	v_mul_f32_e32 v150, v8, v168
	v_mul_f32_e32 v6, v9, v168
	s_waitcnt vmcnt(42)
	v_fmac_f32_e32 v150, v9, v135
	v_fma_f32 v151, v8, v135, -v6
	v_add_f32_e32 v135, v7, v176
	ds_read_b128 v[6:9], v1 offset:800
	s_waitcnt vmcnt(41) lgkmcnt(1)
	v_mul_f32_e32 v152, v2, v11
	v_mul_f32_e32 v11, v3, v11
	v_add_f32_e32 v139, v135, v173
	ds_read_b128 v[134:137], v1 offset:816
	s_waitcnt vmcnt(40)
	v_mul_f32_e32 v168, v4, v12
	v_fmac_f32_e32 v152, v3, v193
	v_fma_f32 v11, v2, v193, -v11
	v_add_f32_e32 v139, v139, v185
	v_add_f32_e32 v3, v142, v191
	v_mul_f32_e32 v12, v5, v12
	v_fmac_f32_e32 v168, v5, v186
	v_add_f32_e32 v2, v139, v199
	ds_read_b128 v[138:141], v1 offset:832
	v_add_f32_e32 v3, v3, v192
	v_fma_f32 v12, v4, v186, -v12
	v_add_f32_e32 v2, v2, v183
	s_waitcnt vmcnt(39) lgkmcnt(2)
	v_mul_f32_e32 v142, v7, v187
	v_mul_f32_e32 v170, v6, v187
	s_waitcnt vmcnt(38)
	v_mul_f32_e32 v148, v9, v189
	v_mul_f32_e32 v171, v8, v189
	v_add_f32_e32 v2, v2, v200
	s_waitcnt vmcnt(37) lgkmcnt(1)
	v_mul_f32_e32 v172, v134, v194
	v_fma_f32 v173, v6, v178, -v142
	v_add_f32_e32 v6, v3, v190
	v_fmac_f32_e32 v170, v7, v178
	v_add_f32_e32 v7, v2, v198
	v_mul_f32_e32 v149, v135, v194
	s_waitcnt vmcnt(34)
	v_fmac_f32_e32 v172, v135, v167
	v_add_f32_e32 v135, v6, v147
	s_waitcnt vmcnt(32)
	v_mul_f32_e32 v176, v136, v155
	v_fma_f32 v175, v8, v188, -v148
	v_fma_f32 v167, v134, v167, -v149
	v_add_f32_e32 v134, v7, v146
	v_add_f32_e32 v135, v135, v151
	v_mul_f32_e32 v151, v137, v155
	s_waitcnt vmcnt(31) lgkmcnt(0)
	v_mul_f32_e32 v155, v138, v166
	ds_read_b128 v[2:5], v1 offset:848
	ds_read_b128 v[142:145], v1 offset:864
	v_add_f32_e32 v134, v134, v150
	v_add_f32_e32 v11, v135, v11
	v_mul_f32_e32 v135, v139, v166
	s_waitcnt vmcnt(30)
	v_mul_f32_e32 v166, v141, v195
	v_fmac_f32_e32 v155, v139, v10
	v_fmac_f32_e32 v171, v9, v188
	v_add_f32_e32 v11, v11, v12
	v_fma_f32 v10, v138, v10, -v135
	v_add_f32_e32 v138, v134, v152
	s_waitcnt vmcnt(26)
	v_fma_f32 v12, v140, v196, -v166
	v_fmac_f32_e32 v176, v137, v160
	v_add_f32_e32 v11, v11, v173
	v_fma_f32 v160, v136, v160, -v151
	v_add_f32_e32 v166, v138, v168
	v_mul_f32_e32 v177, v140, v195
	ds_read_b128 v[6:9], v1 offset:880
	ds_read_b128 v[146:149], v1 offset:896
	v_add_f32_e32 v11, v11, v175
	ds_read_b128 v[134:137], v1 offset:912
	ds_read_b128 v[150:153], v1 offset:928
	v_add_f32_e32 v166, v166, v170
	v_fmac_f32_e32 v177, v141, v196
	ds_read_b128 v[138:141], v1 offset:944
	v_add_f32_e32 v11, v11, v167
	s_waitcnt vmcnt(25) lgkmcnt(6)
	v_mul_f32_e32 v1, v2, v159
	v_add_f32_e32 v166, v166, v171
	v_mul_f32_e32 v159, v3, v159
	s_waitcnt vmcnt(24)
	v_mul_f32_e32 v168, v4, v164
	v_add_f32_e32 v11, v11, v160
	v_mul_f32_e32 v164, v5, v164
	v_add_f32_e32 v166, v166, v172
	v_fma_f32 v2, v2, v182, -v159
	v_fmac_f32_e32 v1, v3, v182
	v_add_f32_e32 v10, v11, v10
	v_fma_f32 v4, v4, v165, -v164
	v_add_f32_e32 v166, v166, v176
	s_waitcnt vmcnt(23) lgkmcnt(5)
	v_mul_f32_e32 v170, v142, v162
	v_fmac_f32_e32 v168, v5, v165
	v_add_f32_e32 v10, v10, v12
	s_waitcnt vmcnt(22)
	v_mul_f32_e32 v5, v145, v197
	v_add_f32_e32 v155, v166, v155
	v_mul_f32_e32 v171, v144, v197
	v_fmac_f32_e32 v170, v143, v157
	v_add_f32_e32 v2, v10, v2
	s_waitcnt vmcnt(8)
	v_fma_f32 v5, v144, v210, -v5
	v_add_f32_e32 v12, v155, v177
	v_mul_f32_e32 v155, v143, v162
	s_waitcnt lgkmcnt(4)
	v_mul_f32_e32 v173, v6, v201
	v_add_f32_e32 v2, v2, v4
	v_mul_f32_e32 v4, v7, v201
	v_add_f32_e32 v1, v12, v1
	v_fma_f32 v10, v142, v157, -v155
	v_fmac_f32_e32 v171, v145, v210
	v_mul_f32_e32 v167, v8, v163
	v_fma_f32 v4, v6, v209, -v4
	v_add_f32_e32 v1, v1, v168
	v_add_f32_e32 v2, v2, v10
	v_mul_f32_e32 v10, v9, v163
	v_fmac_f32_e32 v173, v7, v209
	s_waitcnt lgkmcnt(3)
	v_mul_f32_e32 v172, v146, v202
	v_add_f32_e32 v1, v1, v170
	v_add_f32_e32 v2, v2, v5
	v_mul_f32_e32 v5, v147, v202
	v_fma_f32 v6, v8, v208, -v10
	v_fmac_f32_e32 v167, v9, v208
	v_add_f32_e32 v1, v1, v171
	v_add_f32_e32 v2, v2, v4
	v_mul_f32_e32 v4, v149, v203
	v_fma_f32 v5, v146, v158, -v5
	v_mul_f32_e32 v175, v148, v203
	v_add_f32_e32 v1, v1, v173
	v_add_f32_e32 v2, v2, v6
	v_fmac_f32_e32 v172, v147, v158
	s_waitcnt lgkmcnt(2)
	v_mul_f32_e32 v6, v135, v204
	s_waitcnt vmcnt(4)
	v_fma_f32 v4, v148, v213, -v4
	v_add_f32_e32 v1, v1, v167
	v_add_f32_e32 v2, v2, v5
	v_mul_f32_e32 v160, v134, v204
	v_fmac_f32_e32 v175, v149, v213
	v_mul_f32_e32 v5, v137, v205
	v_add_f32_e32 v1, v1, v172
	v_fma_f32 v6, v134, v212, -v6
	v_add_f32_e32 v2, v2, v4
	v_mul_f32_e32 v176, v136, v205
	v_fmac_f32_e32 v160, v135, v212
	v_add_f32_e32 v1, v1, v175
	s_waitcnt lgkmcnt(1)
	v_mul_f32_e32 v4, v151, v206
	v_fma_f32 v5, v136, v211, -v5
	v_add_f32_e32 v2, v2, v6
	v_mul_f32_e32 v178, v150, v206
	v_fmac_f32_e32 v176, v137, v211
	v_add_f32_e32 v1, v1, v160
	v_mul_f32_e32 v6, v153, v161
	v_fma_f32 v4, v150, v154, -v4
	v_add_f32_e32 v2, v2, v5
	v_mul_f32_e32 v11, v152, v161
	v_fmac_f32_e32 v178, v151, v154
	v_add_f32_e32 v1, v1, v176
	s_waitcnt lgkmcnt(0)
	v_mul_f32_e32 v5, v139, v207
	s_waitcnt vmcnt(1)
	v_fma_f32 v6, v152, v215, -v6
	v_add_f32_e32 v2, v2, v4
	v_mul_f32_e32 v166, v138, v207
	v_fmac_f32_e32 v11, v153, v215
	v_add_f32_e32 v1, v1, v178
	v_mul_f32_e32 v4, v141, v156
	v_fma_f32 v5, v138, v214, -v5
	v_add_f32_e32 v2, v2, v6
	v_mul_f32_e32 v3, v140, v156
	v_fmac_f32_e32 v166, v139, v214
	v_add_f32_e32 v1, v1, v11
	v_fma_f32 v4, v140, v174, -v4
	v_add_f32_e32 v2, v2, v5
	v_fmac_f32_e32 v3, v141, v174
	v_add_f32_e32 v1, v1, v166
	v_add_f32_e32 v2, v2, v4
	;; [unrolled: 1-line block ×3, first 2 shown]
	s_waitcnt vmcnt(0)
	v_sub_f32_e32 v2, v216, v2
	v_sub_f32_e32 v1, v169, v1
	buffer_store_dword v2, off, s[0:3], 0 offset:8
	buffer_store_dword v1, off, s[0:3], 0 offset:12
	v_cmpx_ne_u32_e32 0, v0
	s_cbranch_execz .LBB59_373
; %bb.372:
	s_clause 0x1
	buffer_load_dword v0, off, s[0:3], 0
	buffer_load_dword v1, off, s[0:3], 0 offset:4
	v_mov_b32_e32 v2, 0
	buffer_store_dword v2, off, s[0:3], 0
	buffer_store_dword v2, off, s[0:3], 0 offset:4
	s_waitcnt vmcnt(0)
	ds_write_b64 v133, v[0:1]
.LBB59_373:
	s_or_b32 exec_lo, exec_lo, s4
	s_waitcnt lgkmcnt(0)
	s_waitcnt_vscnt null, 0x0
	s_barrier
	buffer_gl0_inv
	s_clause 0x3c
	buffer_load_dword v165, off, s[0:3], 0 offset:12
	buffer_load_dword v0, off, s[0:3], 0 offset:24
	;; [unrolled: 1-line block ×61, first 2 shown]
	v_mov_b32_e32 v6, 0
	ds_read2_b64 v[180:183], v6 offset0:61 offset1:62
	ds_read2_b64 v[184:187], v6 offset0:63 offset1:64
	;; [unrolled: 1-line block ×3, first 2 shown]
	s_and_b32 vcc_lo, exec_lo, s22
	s_waitcnt vmcnt(60) lgkmcnt(2)
	v_mul_f32_e32 v177, v180, v165
	v_mul_f32_e32 v195, v181, v165
	buffer_load_dword v165, off, s[0:3], 0 offset:4
	s_waitcnt vmcnt(57)
	v_mul_f32_e32 v196, v182, v4
	v_mul_f32_e32 v4, v183, v4
	v_fmac_f32_e32 v177, v181, v5
	v_fma_f32 v195, v180, v5, -v195
	s_waitcnt vmcnt(56) lgkmcnt(1)
	v_mul_f32_e32 v198, v184, v3
	v_fmac_f32_e32 v196, v183, v2
	v_fma_f32 v197, v182, v2, -v4
	v_mul_f32_e32 v180, v185, v3
	ds_read2_b64 v[2:5], v6 offset0:67 offset1:68
	v_fmac_f32_e32 v198, v185, v0
	s_waitcnt vmcnt(55)
	v_mul_f32_e32 v185, v186, v1
	v_fma_f32 v184, v184, v0, -v180
	v_mul_f32_e32 v0, v187, v1
	ds_read2_b64 v[180:183], v6 offset0:69 offset1:70
	s_waitcnt vmcnt(51)
	v_fmac_f32_e32 v185, v187, v134
	s_waitcnt vmcnt(49) lgkmcnt(2)
	v_mul_f32_e32 v187, v190, v12
	v_fma_f32 v134, v186, v134, -v0
	v_mul_f32_e32 v0, v189, v133
	v_mul_f32_e32 v186, v188, v133
	v_fmac_f32_e32 v187, v191, v9
	v_fma_f32 v133, v188, v11, -v0
	v_mul_f32_e32 v0, v191, v12
	v_fmac_f32_e32 v186, v189, v11
	s_waitcnt vmcnt(48) lgkmcnt(1)
	v_mul_f32_e32 v189, v2, v10
	s_waitcnt vmcnt(47)
	v_mul_f32_e32 v191, v4, v8
	v_fma_f32 v188, v190, v9, -v0
	v_mul_f32_e32 v0, v3, v10
	ds_read2_b64 v[9:12], v6 offset0:71 offset1:72
	v_fmac_f32_e32 v189, v3, v7
	s_waitcnt vmcnt(43)
	v_fmac_f32_e32 v191, v5, v167
	v_fma_f32 v190, v2, v7, -v0
	v_mul_f32_e32 v0, v5, v8
	s_waitcnt vmcnt(42) lgkmcnt(1)
	v_mul_f32_e32 v5, v180, v166
	v_mul_f32_e32 v7, v181, v166
	s_waitcnt vmcnt(41)
	v_mul_f32_e32 v166, v182, v162
	v_fma_f32 v4, v4, v167, -v0
	ds_read2_b64 v[0:3], v6 offset0:73 offset1:74
	v_fmac_f32_e32 v5, v181, v161
	v_fma_f32 v161, v180, v161, -v7
	v_mul_f32_e32 v7, v183, v162
	v_fmac_f32_e32 v166, v183, v155
	v_fma_f32 v162, v182, v155, -v7
	s_waitcnt vmcnt(40) lgkmcnt(1)
	v_mul_f32_e32 v167, v9, v159
	v_mul_f32_e32 v7, v10, v159
	ds_read2_b64 v[180:183], v6 offset0:75 offset1:76
	s_waitcnt vmcnt(39)
	v_mul_f32_e32 v159, v11, v152
	v_fmac_f32_e32 v167, v10, v144
	v_fma_f32 v144, v9, v144, -v7
	v_mul_f32_e32 v7, v12, v152
	s_waitcnt vmcnt(35)
	v_fmac_f32_e32 v159, v12, v164
	s_waitcnt vmcnt(34) lgkmcnt(1)
	v_mul_f32_e32 v152, v1, v163
	v_fma_f32 v11, v11, v164, -v7
	ds_read2_b64 v[7:10], v6 offset0:77 offset1:78
	v_mul_f32_e32 v12, v0, v163
	s_waitcnt vmcnt(33)
	v_mul_f32_e32 v163, v2, v157
	v_fma_f32 v152, v0, v156, -v152
	v_mul_f32_e32 v0, v3, v157
	v_fmac_f32_e32 v12, v1, v156
	v_fmac_f32_e32 v163, v3, v148
	s_waitcnt vmcnt(32) lgkmcnt(1)
	v_mul_f32_e32 v164, v180, v153
	v_mul_f32_e32 v153, v181, v153
	v_fma_f32 v148, v2, v148, -v0
	ds_read2_b64 v[0:3], v6 offset0:79 offset1:80
	v_fmac_f32_e32 v164, v181, v139
	v_fma_f32 v153, v180, v139, -v153
	s_waitcnt vmcnt(31)
	v_mul_f32_e32 v180, v182, v146
	v_mul_f32_e32 v139, v183, v146
	s_waitcnt vmcnt(25) lgkmcnt(1)
	v_mul_f32_e32 v181, v9, v150
	v_fmac_f32_e32 v180, v183, v160
	v_fma_f32 v146, v182, v160, -v139
	v_mul_f32_e32 v160, v7, v158
	v_mul_f32_e32 v139, v8, v158
	ds_read2_b64 v[155:158], v6 offset0:81 offset1:82
	v_fmac_f32_e32 v181, v10, v142
	v_fmac_f32_e32 v160, v8, v149
	v_fma_f32 v149, v7, v149, -v139
	v_mul_f32_e32 v7, v10, v150
	s_waitcnt vmcnt(24) lgkmcnt(1)
	v_mul_f32_e32 v150, v0, v147
	v_mul_f32_e32 v139, v1, v147
	s_waitcnt vmcnt(23)
	v_mul_f32_e32 v147, v2, v140
	v_fma_f32 v142, v9, v142, -v7
	ds_read2_b64 v[7:10], v6 offset0:83 offset1:84
	v_fmac_f32_e32 v150, v1, v136
	v_fma_f32 v136, v0, v136, -v139
	v_mul_f32_e32 v0, v3, v140
	s_waitcnt vmcnt(19)
	v_fmac_f32_e32 v147, v3, v154
	v_fma_f32 v154, v2, v154, -v0
	s_waitcnt vmcnt(18) lgkmcnt(1)
	v_mul_f32_e32 v182, v155, v151
	v_mul_f32_e32 v139, v156, v151
	ds_read2_b64 v[0:3], v6 offset0:85 offset1:86
	s_waitcnt vmcnt(17)
	v_mul_f32_e32 v151, v157, v145
	v_fmac_f32_e32 v182, v156, v143
	v_fma_f32 v143, v155, v143, -v139
	v_mul_f32_e32 v139, v158, v145
	v_fmac_f32_e32 v151, v158, v138
	s_waitcnt vmcnt(16) lgkmcnt(1)
	v_mul_f32_e32 v155, v7, v141
	v_mul_f32_e32 v156, v8, v141
	v_fma_f32 v145, v157, v138, -v139
	ds_read2_b64 v[138:141], v6 offset0:87 offset1:88
	v_fmac_f32_e32 v155, v8, v135
	v_fma_f32 v135, v7, v135, -v156
	s_waitcnt vmcnt(15)
	v_mul_f32_e32 v156, v9, v137
	v_mul_f32_e32 v7, v10, v137
	s_waitcnt vmcnt(10) lgkmcnt(1)
	v_mul_f32_e32 v157, v0, v174
	v_fmac_f32_e32 v156, v10, v175
	v_fma_f32 v137, v9, v175, -v7
	ds_read2_b64 v[7:10], v6 offset0:89 offset1:90
	v_mul_f32_e32 v158, v1, v174
	v_fmac_f32_e32 v157, v1, v172
	buffer_load_dword v175, off, s[0:3], 0 offset:260
	v_fma_f32 v158, v0, v172, -v158
	s_waitcnt vmcnt(10)
	v_mul_f32_e32 v172, v2, v173
	v_mul_f32_e32 v0, v3, v173
	s_waitcnt vmcnt(9) lgkmcnt(1)
	v_mul_f32_e32 v173, v138, v171
	s_waitcnt vmcnt(8)
	v_mul_f32_e32 v1, v141, v170
	v_fmac_f32_e32 v172, v3, v169
	v_fma_f32 v169, v2, v169, -v0
	v_mul_f32_e32 v0, v139, v171
	v_mul_f32_e32 v171, v140, v170
	buffer_load_dword v170, off, s[0:3], 0 offset:252
	v_fmac_f32_e32 v173, v139, v168
	s_waitcnt vmcnt(5)
	v_fma_f32 v139, v140, v192, -v1
	v_fma_f32 v138, v138, v168, -v0
	v_fmac_f32_e32 v171, v141, v192
	ds_read2_b64 v[0:3], v6 offset0:91 offset1:92
	s_waitcnt vmcnt(4) lgkmcnt(1)
	v_mul_f32_e32 v140, v7, v193
	v_mul_f32_e32 v141, v8, v193
	s_waitcnt vmcnt(3)
	v_mul_f32_e32 v168, v9, v194
	v_mul_f32_e32 v174, v10, v194
	v_fmac_f32_e32 v140, v8, v179
	v_fma_f32 v141, v7, v179, -v141
	v_fmac_f32_e32 v168, v10, v178
	v_fma_f32 v174, v9, v178, -v174
	s_clause 0x6
	buffer_load_dword v178, off, s[0:3], 0 offset:280
	buffer_load_dword v179, off, s[0:3], 0 offset:272
	;; [unrolled: 1-line block ×7, first 2 shown]
	v_add_f32_e32 v8, 0, v177
	v_add_f32_e32 v9, 0, v195
	buffer_load_dword v177, off, s[0:3], 0 offset:292
	v_add_f32_e32 v8, v8, v196
	v_add_f32_e32 v9, v9, v197
	;; [unrolled: 1-line block ×5, first 2 shown]
	s_clause 0x3
	buffer_load_dword v184, off, s[0:3], 0 offset:312
	buffer_load_dword v185, off, s[0:3], 0 offset:304
	;; [unrolled: 1-line block ×4, first 2 shown]
	v_add_f32_e32 v9, v9, v134
	buffer_load_dword v197, off, s[0:3], 0 offset:300
	v_add_f32_e32 v8, v8, v186
	s_clause 0x1
	buffer_load_dword v186, off, s[0:3], 0 offset:308
	buffer_load_dword v198, off, s[0:3], 0 offset:316
	v_add_f32_e32 v9, v9, v133
	v_add_f32_e32 v8, v8, v187
	;; [unrolled: 1-line block ×11, first 2 shown]
	s_waitcnt vmcnt(16) lgkmcnt(0)
	v_mul_f32_e32 v133, v3, v175
	s_waitcnt vmcnt(15)
	v_mul_f32_e32 v187, v0, v170
	v_mul_f32_e32 v10, v1, v170
	;; [unrolled: 1-line block ×3, first 2 shown]
	s_clause 0x1
	buffer_load_dword v175, off, s[0:3], 0 offset:324
	buffer_load_dword v188, off, s[0:3], 0 offset:332
	v_fmac_f32_e32 v187, v1, v176
	v_fma_f32 v176, v0, v176, -v10
	s_waitcnt vmcnt(13)
	v_fmac_f32_e32 v170, v3, v7
	v_fma_f32 v189, v2, v7, -v133
	v_add_f32_e32 v7, v8, v191
	ds_read2_b64 v[0:3], v6 offset0:93 offset1:94
	s_clause 0x3
	buffer_load_dword v161, off, s[0:3], 0 offset:344
	buffer_load_dword v190, off, s[0:3], 0 offset:336
	;; [unrolled: 1-line block ×4, first 2 shown]
	v_add_f32_e32 v5, v7, v5
	v_add_f32_e32 v5, v5, v166
	s_clause 0x1
	buffer_load_dword v162, off, s[0:3], 0 offset:340
	buffer_load_dword v166, off, s[0:3], 0 offset:348
	ds_read2_b64 v[7:10], v6 offset0:95 offset1:96
	v_add_f32_e32 v5, v5, v167
	v_add_f32_e32 v5, v5, v159
	s_waitcnt vmcnt(18) lgkmcnt(1)
	v_mul_f32_e32 v133, v1, v192
	v_mul_f32_e32 v11, v0, v192
	buffer_load_dword v159, off, s[0:3], 0 offset:356
	v_fma_f32 v144, v0, v183, -v133
	v_add_f32_e32 v0, v5, v12
	v_fmac_f32_e32 v11, v1, v183
	v_add_f32_e32 v1, v4, v148
	s_clause 0x3
	buffer_load_dword v12, off, s[0:3], 0 offset:376
	buffer_load_dword v167, off, s[0:3], 0 offset:368
	;; [unrolled: 1-line block ×4, first 2 shown]
	s_waitcnt vmcnt(22)
	v_mul_f32_e32 v5, v2, v193
	v_add_f32_e32 v0, v0, v163
	buffer_load_dword v163, off, s[0:3], 0 offset:364
	v_add_f32_e32 v1, v1, v153
	buffer_load_dword v153, off, s[0:3], 0 offset:372
	v_mul_f32_e32 v133, v3, v193
	v_add_f32_e32 v0, v0, v164
	v_fmac_f32_e32 v5, v3, v179
	v_add_f32_e32 v1, v1, v146
	v_fma_f32 v148, v2, v179, -v133
	v_add_f32_e32 v0, v0, v180
	s_clause 0x1
	buffer_load_dword v164, off, s[0:3], 0 offset:380
	buffer_load_dword v179, off, s[0:3], 0 offset:388
	v_add_f32_e32 v1, v1, v149
	s_clause 0x2
	buffer_load_dword v180, off, s[0:3], 0 offset:396
	buffer_load_dword v192, off, s[0:3], 0 offset:404
	;; [unrolled: 1-line block ×3, first 2 shown]
	s_waitcnt vmcnt(28) lgkmcnt(0)
	v_mul_f32_e32 v2, v8, v194
	v_add_f32_e32 v0, v0, v160
	s_clause 0x1
	buffer_load_dword v160, off, s[0:3], 0 offset:420
	buffer_load_dword v200, off, s[0:3], 0 offset:428
	v_add_f32_e32 v1, v1, v142
	s_waitcnt vmcnt(29)
	v_mul_f32_e32 v149, v9, v177
	v_fma_f32 v142, v7, v178, -v2
	v_add_f32_e32 v0, v0, v181
	s_clause 0x1
	buffer_load_dword v181, off, s[0:3], 0 offset:436
	buffer_load_dword v201, off, s[0:3], 0 offset:444
	v_add_f32_e32 v1, v1, v136
	s_clause 0x2
	buffer_load_dword v202, off, s[0:3], 0 offset:452
	buffer_load_dword v203, off, s[0:3], 0 offset:460
	;; [unrolled: 1-line block ×3, first 2 shown]
	s_waitcnt vmcnt(30)
	v_fmac_f32_e32 v149, v10, v196
	v_add_f32_e32 v0, v0, v150
	v_add_f32_e32 v1, v1, v154
	buffer_load_dword v154, off, s[0:3], 0 offset:476
	v_add_f32_e32 v0, v0, v147
	v_add_f32_e32 v1, v1, v143
	;; [unrolled: 1-line block ×3, first 2 shown]
	s_clause 0x3
	buffer_load_dword v182, off, s[0:3], 0 offset:408
	buffer_load_dword v205, off, s[0:3], 0 offset:400
	;; [unrolled: 1-line block ×4, first 2 shown]
	v_add_f32_e32 v1, v1, v145
	v_mul_f32_e32 v145, v7, v194
	v_add_f32_e32 v0, v0, v151
	v_add_f32_e32 v1, v1, v135
	v_fmac_f32_e32 v145, v8, v178
	v_add_f32_e32 v0, v0, v155
	s_clause 0x3
	buffer_load_dword v155, off, s[0:3], 0 offset:440
	buffer_load_dword v208, off, s[0:3], 0 offset:432
	;; [unrolled: 1-line block ×4, first 2 shown]
	v_add_f32_e32 v1, v1, v137
	v_add_f32_e32 v0, v0, v156
	;; [unrolled: 1-line block ×4, first 2 shown]
	s_clause 0x3
	buffer_load_dword v156, off, s[0:3], 0 offset:472
	buffer_load_dword v157, off, s[0:3], 0 offset:464
	;; [unrolled: 1-line block ×4, first 2 shown]
	v_add_f32_e32 v1, v1, v169
	buffer_load_dword v169, off, s[0:3], 0
	v_add_f32_e32 v0, v0, v172
	v_add_f32_e32 v1, v1, v138
	;; [unrolled: 1-line block ×4, first 2 shown]
	ds_read2_b64 v[0:3], v6 offset0:97 offset1:98
	v_add_f32_e32 v133, v7, v171
	v_mul_f32_e32 v7, v10, v177
	v_add_f32_e32 v134, v8, v141
	v_add_f32_e32 v137, v133, v140
	v_fma_f32 v146, v9, v196, -v7
	ds_read2_b64 v[7:10], v6 offset0:99 offset1:100
	v_add_f32_e32 v138, v134, v174
	ds_read2_b64 v[133:136], v6 offset0:101 offset1:102
	v_add_f32_e32 v137, v137, v168
	v_add_f32_e32 v138, v138, v176
	;; [unrolled: 1-line block ×3, first 2 shown]
	s_waitcnt vmcnt(43) lgkmcnt(2)
	v_mul_f32_e32 v139, v1, v197
	v_mul_f32_e32 v150, v0, v197
	s_waitcnt vmcnt(42)
	v_mul_f32_e32 v152, v2, v186
	v_fma_f32 v151, v0, v195, -v139
	v_add_f32_e32 v0, v138, v189
	v_fmac_f32_e32 v150, v1, v195
	v_add_f32_e32 v1, v141, v170
	ds_read2_b64 v[137:140], v6 offset0:103 offset1:104
	s_waitcnt vmcnt(41) lgkmcnt(2)
	v_mul_f32_e32 v168, v7, v198
	v_add_f32_e32 v0, v0, v144
	v_mul_f32_e32 v143, v8, v198
	v_add_f32_e32 v1, v1, v11
	v_mul_f32_e32 v141, v3, v186
	v_fmac_f32_e32 v168, v8, v184
	v_add_f32_e32 v0, v0, v148
	v_fma_f32 v172, v7, v184, -v143
	v_add_f32_e32 v5, v1, v5
	v_fma_f32 v171, v2, v185, -v141
	v_fmac_f32_e32 v152, v3, v185
	v_add_f32_e32 v7, v0, v142
	ds_read2_b64 v[0:3], v6 offset0:105 offset1:106
	ds_read2_b64 v[141:144], v6 offset0:107 offset1:108
	v_add_f32_e32 v5, v5, v145
	v_add_f32_e32 v5, v5, v149
	;; [unrolled: 1-line block ×3, first 2 shown]
	s_waitcnt vmcnt(40)
	v_mul_f32_e32 v11, v9, v175
	s_waitcnt vmcnt(39) lgkmcnt(3)
	v_mul_f32_e32 v8, v134, v188
	v_mul_f32_e32 v170, v133, v188
	;; [unrolled: 1-line block ×3, first 2 shown]
	s_waitcnt vmcnt(36)
	v_fma_f32 v174, v133, v191, -v8
	v_add_f32_e32 v133, v7, v146
	v_fmac_f32_e32 v170, v134, v191
	s_waitcnt vmcnt(35)
	v_fma_f32 v173, v9, v199, -v147
	v_fmac_f32_e32 v11, v10, v199
	ds_read2_b64 v[7:10], v6 offset0:109 offset1:110
	ds_read2_b64 v[145:148], v6 offset0:111 offset1:112
	v_add_f32_e32 v133, v133, v151
	s_waitcnt vmcnt(34)
	v_mul_f32_e32 v175, v135, v162
	v_mul_f32_e32 v134, v136, v162
	s_waitcnt vmcnt(33) lgkmcnt(4)
	v_mul_f32_e32 v162, v137, v166
	v_mul_f32_e32 v149, v138, v166
	v_fmac_f32_e32 v175, v136, v190
	v_fma_f32 v176, v135, v190, -v134
	v_fmac_f32_e32 v162, v138, v161
	v_fma_f32 v161, v137, v161, -v149
	v_add_f32_e32 v137, v133, v171
	v_add_f32_e32 v171, v5, v152
	ds_read2_b64 v[133:136], v6 offset0:113 offset1:114
	ds_read2_b64 v[149:152], v6 offset0:115 offset1:116
	s_waitcnt vmcnt(32)
	v_mul_f32_e32 v166, v139, v159
	v_add_f32_e32 v172, v137, v172
	v_add_f32_e32 v168, v171, v168
	v_mul_f32_e32 v159, v140, v159
	v_add_f32_e32 v172, v172, v173
	v_add_f32_e32 v11, v168, v11
	s_waitcnt vmcnt(28)
	v_fma_f32 v159, v139, v4, -v159
	v_fmac_f32_e32 v166, v140, v4
	s_waitcnt vmcnt(27) lgkmcnt(5)
	v_mul_f32_e32 v171, v0, v163
	v_add_f32_e32 v168, v172, v174
	v_add_f32_e32 v11, v11, v170
	v_mul_f32_e32 v163, v1, v163
	s_waitcnt vmcnt(26)
	v_mul_f32_e32 v173, v2, v153
	v_mul_f32_e32 v153, v3, v153
	v_add_f32_e32 v168, v168, v176
	v_add_f32_e32 v11, v11, v175
	v_fma_f32 v0, v0, v183, -v163
	v_fmac_f32_e32 v171, v1, v183
	s_waitcnt vmcnt(25) lgkmcnt(4)
	v_mul_f32_e32 v172, v141, v164
	v_add_f32_e32 v161, v168, v161
	v_add_f32_e32 v11, v11, v162
	v_mul_f32_e32 v164, v142, v164
	v_fma_f32 v2, v2, v167, -v153
	v_fmac_f32_e32 v173, v3, v167
	v_add_f32_e32 v159, v161, v159
	v_add_f32_e32 v11, v11, v166
	s_waitcnt vmcnt(24)
	v_mul_f32_e32 v167, v144, v179
	v_fmac_f32_e32 v172, v142, v12
	v_fma_f32 v12, v141, v12, -v164
	v_add_f32_e32 v0, v159, v0
	v_add_f32_e32 v11, v11, v171
	v_mul_f32_e32 v174, v143, v179
	s_waitcnt vmcnt(23) lgkmcnt(3)
	v_mul_f32_e32 v170, v7, v180
	s_waitcnt vmcnt(22)
	v_mul_f32_e32 v176, v9, v192
	v_add_f32_e32 v0, v0, v2
	v_add_f32_e32 v2, v11, v173
	v_mul_f32_e32 v11, v8, v180
	s_waitcnt vmcnt(21) lgkmcnt(2)
	v_mul_f32_e32 v1, v145, v193
	s_waitcnt vmcnt(20)
	v_mul_f32_e32 v163, v147, v160
	v_add_f32_e32 v0, v0, v12
	v_add_f32_e32 v2, v2, v172
	v_mul_f32_e32 v12, v10, v192
	s_waitcnt vmcnt(10)
	v_fma_f32 v7, v7, v206, -v11
	s_waitcnt vmcnt(9)
	v_fma_f32 v141, v143, v207, -v167
	v_fmac_f32_e32 v174, v144, v207
	v_fmac_f32_e32 v170, v8, v206
	v_mul_f32_e32 v8, v146, v193
	v_fma_f32 v9, v9, v205, -v12
	v_add_f32_e32 v0, v0, v141
	v_add_f32_e32 v2, v2, v174
	v_fmac_f32_e32 v176, v10, v205
	v_fma_f32 v8, v145, v182, -v8
	v_fmac_f32_e32 v1, v146, v182
	v_add_f32_e32 v0, v0, v7
	v_add_f32_e32 v2, v2, v170
	v_mul_f32_e32 v7, v148, v160
	ds_read2_b64 v[137:140], v6 offset0:117 offset1:118
	ds_read_b64 v[4:5], v6 offset:952
	s_waitcnt lgkmcnt(3)
	v_mul_f32_e32 v168, v133, v200
	v_add_f32_e32 v0, v0, v9
	v_add_f32_e32 v2, v2, v176
	v_mul_f32_e32 v9, v134, v200
	s_waitcnt vmcnt(5)
	v_fma_f32 v7, v147, v210, -v7
	v_fmac_f32_e32 v163, v148, v210
	v_add_f32_e32 v0, v0, v8
	v_add_f32_e32 v1, v2, v1
	v_mul_f32_e32 v2, v136, v181
	v_fma_f32 v8, v133, v209, -v9
	v_mul_f32_e32 v162, v135, v181
	v_add_f32_e32 v0, v0, v7
	v_fmac_f32_e32 v168, v134, v209
	v_add_f32_e32 v1, v1, v163
	s_waitcnt lgkmcnt(2)
	v_mul_f32_e32 v7, v150, v201
	v_fma_f32 v2, v135, v208, -v2
	v_add_f32_e32 v0, v0, v8
	v_mul_f32_e32 v3, v149, v201
	v_fmac_f32_e32 v162, v136, v208
	v_add_f32_e32 v1, v1, v168
	v_mul_f32_e32 v8, v152, v202
	v_fma_f32 v7, v149, v155, -v7
	v_add_f32_e32 v0, v0, v2
	v_mul_f32_e32 v153, v151, v202
	v_fmac_f32_e32 v3, v150, v155
	v_add_f32_e32 v1, v1, v162
	s_waitcnt lgkmcnt(1)
	v_mul_f32_e32 v2, v138, v203
	s_waitcnt vmcnt(1)
	v_fma_f32 v8, v151, v211, -v8
	v_add_f32_e32 v0, v0, v7
	v_mul_f32_e32 v161, v137, v203
	v_fmac_f32_e32 v153, v152, v211
	v_add_f32_e32 v1, v1, v3
	v_mul_f32_e32 v3, v140, v204
	v_fma_f32 v2, v137, v158, -v2
	v_add_f32_e32 v0, v0, v8
	v_mul_f32_e32 v166, v139, v204
	v_fmac_f32_e32 v161, v138, v158
	v_add_f32_e32 v1, v1, v153
	s_waitcnt lgkmcnt(0)
	v_mul_f32_e32 v7, v5, v154
	v_fma_f32 v3, v139, v157, -v3
	v_add_f32_e32 v0, v0, v2
	v_mul_f32_e32 v159, v4, v154
	v_fmac_f32_e32 v166, v140, v157
	v_add_f32_e32 v1, v1, v161
	v_fma_f32 v2, v4, v156, -v7
	v_add_f32_e32 v0, v0, v3
	v_fmac_f32_e32 v159, v5, v156
	v_add_f32_e32 v1, v1, v166
	v_add_f32_e32 v0, v0, v2
	;; [unrolled: 1-line block ×3, first 2 shown]
	s_waitcnt vmcnt(0)
	v_sub_f32_e32 v0, v169, v0
	v_sub_f32_e32 v1, v165, v1
	buffer_store_dword v0, off, s[0:3], 0
	buffer_store_dword v1, off, s[0:3], 0 offset:4
	s_cbranch_vccz .LBB59_492
; %bb.374:
	global_load_dword v0, v6, s[20:21] offset:232
	s_waitcnt vmcnt(0)
	v_add_nc_u32_e32 v0, -1, v0
	v_cmp_ne_u32_e32 vcc_lo, 58, v0
	s_cbranch_vccz .LBB59_376
; %bb.375:
	v_lshlrev_b32_e32 v0, 3, v0
	s_clause 0x3
	buffer_load_dword v1, v0, s[0:3], 0 offen
	buffer_load_dword v2, v0, s[0:3], 0 offen offset:4
	buffer_load_dword v3, off, s[0:3], 0 offset:468
	buffer_load_dword v4, off, s[0:3], 0 offset:464
	s_waitcnt vmcnt(3)
	buffer_store_dword v1, off, s[0:3], 0 offset:464
	s_waitcnt vmcnt(2)
	buffer_store_dword v2, off, s[0:3], 0 offset:468
	s_waitcnt vmcnt(1)
	buffer_store_dword v3, v0, s[0:3], 0 offen offset:4
	s_waitcnt vmcnt(0)
	buffer_store_dword v4, v0, s[0:3], 0 offen
.LBB59_376:
	v_mov_b32_e32 v0, 0
	global_load_dword v1, v0, s[20:21] offset:228
	s_waitcnt vmcnt(0)
	v_add_nc_u32_e32 v1, -1, v1
	v_cmp_eq_u32_e32 vcc_lo, 57, v1
	s_cbranch_vccnz .LBB59_378
; %bb.377:
	v_lshlrev_b32_e32 v1, 3, v1
	s_clause 0x3
	buffer_load_dword v2, v1, s[0:3], 0 offen
	buffer_load_dword v3, v1, s[0:3], 0 offen offset:4
	buffer_load_dword v4, off, s[0:3], 0 offset:456
	buffer_load_dword v5, off, s[0:3], 0 offset:460
	s_waitcnt vmcnt(3)
	buffer_store_dword v2, off, s[0:3], 0 offset:456
	s_waitcnt vmcnt(2)
	buffer_store_dword v3, off, s[0:3], 0 offset:460
	s_waitcnt vmcnt(1)
	buffer_store_dword v4, v1, s[0:3], 0 offen
	s_waitcnt vmcnt(0)
	buffer_store_dword v5, v1, s[0:3], 0 offen offset:4
.LBB59_378:
	global_load_dword v0, v0, s[20:21] offset:224
	s_waitcnt vmcnt(0)
	v_add_nc_u32_e32 v0, -1, v0
	v_cmp_eq_u32_e32 vcc_lo, 56, v0
	s_cbranch_vccnz .LBB59_380
; %bb.379:
	v_lshlrev_b32_e32 v0, 3, v0
	s_clause 0x3
	buffer_load_dword v1, v0, s[0:3], 0 offen
	buffer_load_dword v2, v0, s[0:3], 0 offen offset:4
	buffer_load_dword v3, off, s[0:3], 0 offset:452
	buffer_load_dword v4, off, s[0:3], 0 offset:448
	s_waitcnt vmcnt(3)
	buffer_store_dword v1, off, s[0:3], 0 offset:448
	s_waitcnt vmcnt(2)
	buffer_store_dword v2, off, s[0:3], 0 offset:452
	s_waitcnt vmcnt(1)
	buffer_store_dword v3, v0, s[0:3], 0 offen offset:4
	s_waitcnt vmcnt(0)
	buffer_store_dword v4, v0, s[0:3], 0 offen
.LBB59_380:
	v_mov_b32_e32 v0, 0
	global_load_dword v1, v0, s[20:21] offset:220
	s_waitcnt vmcnt(0)
	v_add_nc_u32_e32 v1, -1, v1
	v_cmp_eq_u32_e32 vcc_lo, 55, v1
	s_cbranch_vccnz .LBB59_382
; %bb.381:
	v_lshlrev_b32_e32 v1, 3, v1
	s_clause 0x3
	buffer_load_dword v2, v1, s[0:3], 0 offen
	buffer_load_dword v3, v1, s[0:3], 0 offen offset:4
	buffer_load_dword v4, off, s[0:3], 0 offset:440
	buffer_load_dword v5, off, s[0:3], 0 offset:444
	s_waitcnt vmcnt(3)
	buffer_store_dword v2, off, s[0:3], 0 offset:440
	s_waitcnt vmcnt(2)
	buffer_store_dword v3, off, s[0:3], 0 offset:444
	s_waitcnt vmcnt(1)
	buffer_store_dword v4, v1, s[0:3], 0 offen
	s_waitcnt vmcnt(0)
	buffer_store_dword v5, v1, s[0:3], 0 offen offset:4
.LBB59_382:
	global_load_dword v0, v0, s[20:21] offset:216
	s_waitcnt vmcnt(0)
	v_add_nc_u32_e32 v0, -1, v0
	v_cmp_eq_u32_e32 vcc_lo, 54, v0
	s_cbranch_vccnz .LBB59_384
; %bb.383:
	v_lshlrev_b32_e32 v0, 3, v0
	s_clause 0x3
	buffer_load_dword v1, v0, s[0:3], 0 offen
	buffer_load_dword v2, v0, s[0:3], 0 offen offset:4
	buffer_load_dword v3, off, s[0:3], 0 offset:436
	buffer_load_dword v4, off, s[0:3], 0 offset:432
	s_waitcnt vmcnt(3)
	buffer_store_dword v1, off, s[0:3], 0 offset:432
	s_waitcnt vmcnt(2)
	buffer_store_dword v2, off, s[0:3], 0 offset:436
	s_waitcnt vmcnt(1)
	buffer_store_dword v3, v0, s[0:3], 0 offen offset:4
	s_waitcnt vmcnt(0)
	buffer_store_dword v4, v0, s[0:3], 0 offen
.LBB59_384:
	;; [unrolled: 43-line block ×28, first 2 shown]
	v_mov_b32_e32 v0, 0
	global_load_dword v1, v0, s[20:21] offset:4
	s_waitcnt vmcnt(0)
	v_add_nc_u32_e32 v1, -1, v1
	v_cmp_eq_u32_e32 vcc_lo, 1, v1
	s_cbranch_vccnz .LBB59_490
; %bb.489:
	v_lshlrev_b32_e32 v1, 3, v1
	s_clause 0x3
	buffer_load_dword v2, v1, s[0:3], 0 offen
	buffer_load_dword v3, v1, s[0:3], 0 offen offset:4
	buffer_load_dword v4, off, s[0:3], 0 offset:8
	buffer_load_dword v5, off, s[0:3], 0 offset:12
	s_waitcnt vmcnt(3)
	buffer_store_dword v2, off, s[0:3], 0 offset:8
	s_waitcnt vmcnt(2)
	buffer_store_dword v3, off, s[0:3], 0 offset:12
	s_waitcnt vmcnt(1)
	buffer_store_dword v4, v1, s[0:3], 0 offen
	s_waitcnt vmcnt(0)
	buffer_store_dword v5, v1, s[0:3], 0 offen offset:4
.LBB59_490:
	global_load_dword v0, v0, s[20:21]
	s_waitcnt vmcnt(0)
	v_add_nc_u32_e32 v0, -1, v0
	v_cmp_eq_u32_e32 vcc_lo, 0, v0
	s_cbranch_vccnz .LBB59_492
; %bb.491:
	v_lshlrev_b32_e32 v0, 3, v0
	s_clause 0x3
	buffer_load_dword v1, v0, s[0:3], 0 offen
	buffer_load_dword v2, v0, s[0:3], 0 offen offset:4
	buffer_load_dword v3, off, s[0:3], 0 offset:4
	buffer_load_dword v4, off, s[0:3], 0
	s_waitcnt vmcnt(3)
	buffer_store_dword v1, off, s[0:3], 0
	s_waitcnt vmcnt(2)
	buffer_store_dword v2, off, s[0:3], 0 offset:4
	s_waitcnt vmcnt(1)
	buffer_store_dword v3, v0, s[0:3], 0 offen offset:4
	s_waitcnt vmcnt(0)
	buffer_store_dword v4, v0, s[0:3], 0 offen
.LBB59_492:
	s_clause 0x3e
	buffer_load_dword v0, off, s[0:3], 0
	buffer_load_dword v1, off, s[0:3], 0 offset:4
	buffer_load_dword v2, off, s[0:3], 0 offset:8
	buffer_load_dword v3, off, s[0:3], 0 offset:12
	buffer_load_dword v4, off, s[0:3], 0 offset:16
	buffer_load_dword v5, off, s[0:3], 0 offset:20
	buffer_load_dword v6, off, s[0:3], 0 offset:24
	buffer_load_dword v7, off, s[0:3], 0 offset:28
	buffer_load_dword v8, off, s[0:3], 0 offset:32
	buffer_load_dword v9, off, s[0:3], 0 offset:36
	buffer_load_dword v10, off, s[0:3], 0 offset:40
	buffer_load_dword v11, off, s[0:3], 0 offset:44
	buffer_load_dword v133, off, s[0:3], 0 offset:48
	buffer_load_dword v134, off, s[0:3], 0 offset:52
	buffer_load_dword v135, off, s[0:3], 0 offset:56
	buffer_load_dword v136, off, s[0:3], 0 offset:60
	buffer_load_dword v138, off, s[0:3], 0 offset:68
	buffer_load_dword v139, off, s[0:3], 0 offset:72
	buffer_load_dword v140, off, s[0:3], 0 offset:76
	buffer_load_dword v141, off, s[0:3], 0 offset:80
	buffer_load_dword v142, off, s[0:3], 0 offset:84
	buffer_load_dword v143, off, s[0:3], 0 offset:88
	buffer_load_dword v144, off, s[0:3], 0 offset:92
	buffer_load_dword v137, off, s[0:3], 0 offset:64
	buffer_load_dword v145, off, s[0:3], 0 offset:96
	buffer_load_dword v146, off, s[0:3], 0 offset:100
	buffer_load_dword v147, off, s[0:3], 0 offset:104
	buffer_load_dword v148, off, s[0:3], 0 offset:108
	buffer_load_dword v149, off, s[0:3], 0 offset:112
	buffer_load_dword v150, off, s[0:3], 0 offset:116
	buffer_load_dword v151, off, s[0:3], 0 offset:120
	buffer_load_dword v152, off, s[0:3], 0 offset:124
	buffer_load_dword v153, off, s[0:3], 0 offset:128
	buffer_load_dword v154, off, s[0:3], 0 offset:132
	buffer_load_dword v155, off, s[0:3], 0 offset:136
	buffer_load_dword v156, off, s[0:3], 0 offset:140
	buffer_load_dword v157, off, s[0:3], 0 offset:144
	buffer_load_dword v158, off, s[0:3], 0 offset:148
	buffer_load_dword v159, off, s[0:3], 0 offset:152
	buffer_load_dword v160, off, s[0:3], 0 offset:156
	buffer_load_dword v161, off, s[0:3], 0 offset:160
	buffer_load_dword v162, off, s[0:3], 0 offset:164
	buffer_load_dword v163, off, s[0:3], 0 offset:168
	buffer_load_dword v164, off, s[0:3], 0 offset:172
	buffer_load_dword v165, off, s[0:3], 0 offset:176
	buffer_load_dword v166, off, s[0:3], 0 offset:180
	buffer_load_dword v167, off, s[0:3], 0 offset:184
	buffer_load_dword v168, off, s[0:3], 0 offset:188
	buffer_load_dword v169, off, s[0:3], 0 offset:192
	buffer_load_dword v170, off, s[0:3], 0 offset:196
	buffer_load_dword v171, off, s[0:3], 0 offset:200
	buffer_load_dword v172, off, s[0:3], 0 offset:204
	buffer_load_dword v173, off, s[0:3], 0 offset:208
	buffer_load_dword v174, off, s[0:3], 0 offset:212
	buffer_load_dword v175, off, s[0:3], 0 offset:216
	buffer_load_dword v176, off, s[0:3], 0 offset:220
	buffer_load_dword v177, off, s[0:3], 0 offset:224
	buffer_load_dword v178, off, s[0:3], 0 offset:228
	buffer_load_dword v179, off, s[0:3], 0 offset:232
	buffer_load_dword v180, off, s[0:3], 0 offset:236
	buffer_load_dword v181, off, s[0:3], 0 offset:240
	buffer_load_dword v182, off, s[0:3], 0 offset:244
	buffer_load_dword v183, off, s[0:3], 0 offset:248
	s_clause 0x38
	buffer_load_dword v184, off, s[0:3], 0 offset:252
	buffer_load_dword v185, off, s[0:3], 0 offset:256
	;; [unrolled: 1-line block ×57, first 2 shown]
	s_waitcnt vmcnt(62)
	global_store_dwordx2 v[107:108], v[0:1], off
	global_store_dwordx2 v[111:112], v[2:3], off
	;; [unrolled: 1-line block ×29, first 2 shown]
	s_waitcnt vmcnt(60)
	global_store_dwordx2 v[67:68], v[179:180], off
	s_waitcnt vmcnt(58)
	global_store_dwordx2 v[69:70], v[181:182], off
	s_waitcnt vmcnt(56)
	global_store_dwordx2 v[71:72], v[183:184], off
	s_waitcnt vmcnt(54)
	global_store_dwordx2 v[73:74], v[185:186], off
	s_waitcnt vmcnt(52)
	global_store_dwordx2 v[75:76], v[187:188], off
	s_waitcnt vmcnt(50)
	global_store_dwordx2 v[77:78], v[189:190], off
	s_waitcnt vmcnt(48)
	global_store_dwordx2 v[79:80], v[191:192], off
	s_waitcnt vmcnt(46)
	global_store_dwordx2 v[81:82], v[193:194], off
	s_waitcnt vmcnt(44)
	global_store_dwordx2 v[83:84], v[195:196], off
	s_waitcnt vmcnt(42)
	global_store_dwordx2 v[85:86], v[197:198], off
	s_waitcnt vmcnt(40)
	global_store_dwordx2 v[87:88], v[199:200], off
	s_waitcnt vmcnt(38)
	global_store_dwordx2 v[89:90], v[201:202], off
	s_waitcnt vmcnt(36)
	global_store_dwordx2 v[91:92], v[203:204], off
	s_waitcnt vmcnt(34)
	global_store_dwordx2 v[93:94], v[205:206], off
	s_waitcnt vmcnt(32)
	global_store_dwordx2 v[95:96], v[207:208], off
	s_waitcnt vmcnt(30)
	global_store_dwordx2 v[97:98], v[209:210], off
	s_waitcnt vmcnt(28)
	global_store_dwordx2 v[99:100], v[211:212], off
	s_waitcnt vmcnt(26)
	global_store_dwordx2 v[101:102], v[213:214], off
	s_waitcnt vmcnt(24)
	global_store_dwordx2 v[103:104], v[215:216], off
	s_waitcnt vmcnt(22)
	global_store_dwordx2 v[105:106], v[217:218], off
	s_waitcnt vmcnt(20)
	global_store_dwordx2 v[109:110], v[219:220], off
	s_waitcnt vmcnt(18)
	global_store_dwordx2 v[113:114], v[221:222], off
	s_waitcnt vmcnt(16)
	global_store_dwordx2 v[115:116], v[223:224], off
	s_waitcnt vmcnt(14)
	global_store_dwordx2 v[117:118], v[225:226], off
	s_waitcnt vmcnt(12)
	global_store_dwordx2 v[119:120], v[227:228], off
	s_waitcnt vmcnt(10)
	global_store_dwordx2 v[121:122], v[229:230], off
	s_waitcnt vmcnt(8)
	global_store_dwordx2 v[123:124], v[231:232], off
	s_waitcnt vmcnt(6)
	global_store_dwordx2 v[125:126], v[233:234], off
	s_waitcnt vmcnt(4)
	global_store_dwordx2 v[127:128], v[235:236], off
	s_waitcnt vmcnt(2)
	global_store_dwordx2 v[129:130], v[237:238], off
	s_waitcnt vmcnt(0)
	global_store_dwordx2 v[131:132], v[239:240], off
	s_endpgm
	.section	.rodata,"a",@progbits
	.p2align	6, 0x0
	.amdhsa_kernel _ZN9rocsolver6v33100L18getri_kernel_smallILi60E19rocblas_complex_numIfEPS3_EEvT1_iilPiilS6_bb
		.amdhsa_group_segment_fixed_size 964
		.amdhsa_private_segment_fixed_size 496
		.amdhsa_kernarg_size 60
		.amdhsa_user_sgpr_count 6
		.amdhsa_user_sgpr_private_segment_buffer 1
		.amdhsa_user_sgpr_dispatch_ptr 0
		.amdhsa_user_sgpr_queue_ptr 0
		.amdhsa_user_sgpr_kernarg_segment_ptr 1
		.amdhsa_user_sgpr_dispatch_id 0
		.amdhsa_user_sgpr_flat_scratch_init 0
		.amdhsa_user_sgpr_private_segment_size 0
		.amdhsa_wavefront_size32 1
		.amdhsa_uses_dynamic_stack 0
		.amdhsa_system_sgpr_private_segment_wavefront_offset 1
		.amdhsa_system_sgpr_workgroup_id_x 1
		.amdhsa_system_sgpr_workgroup_id_y 0
		.amdhsa_system_sgpr_workgroup_id_z 0
		.amdhsa_system_sgpr_workgroup_info 0
		.amdhsa_system_vgpr_workitem_id 0
		.amdhsa_next_free_vgpr 254
		.amdhsa_next_free_sgpr 23
		.amdhsa_reserve_vcc 1
		.amdhsa_reserve_flat_scratch 0
		.amdhsa_float_round_mode_32 0
		.amdhsa_float_round_mode_16_64 0
		.amdhsa_float_denorm_mode_32 3
		.amdhsa_float_denorm_mode_16_64 3
		.amdhsa_dx10_clamp 1
		.amdhsa_ieee_mode 1
		.amdhsa_fp16_overflow 0
		.amdhsa_workgroup_processor_mode 1
		.amdhsa_memory_ordered 1
		.amdhsa_forward_progress 1
		.amdhsa_shared_vgpr_count 0
		.amdhsa_exception_fp_ieee_invalid_op 0
		.amdhsa_exception_fp_denorm_src 0
		.amdhsa_exception_fp_ieee_div_zero 0
		.amdhsa_exception_fp_ieee_overflow 0
		.amdhsa_exception_fp_ieee_underflow 0
		.amdhsa_exception_fp_ieee_inexact 0
		.amdhsa_exception_int_div_zero 0
	.end_amdhsa_kernel
	.section	.text._ZN9rocsolver6v33100L18getri_kernel_smallILi60E19rocblas_complex_numIfEPS3_EEvT1_iilPiilS6_bb,"axG",@progbits,_ZN9rocsolver6v33100L18getri_kernel_smallILi60E19rocblas_complex_numIfEPS3_EEvT1_iilPiilS6_bb,comdat
.Lfunc_end59:
	.size	_ZN9rocsolver6v33100L18getri_kernel_smallILi60E19rocblas_complex_numIfEPS3_EEvT1_iilPiilS6_bb, .Lfunc_end59-_ZN9rocsolver6v33100L18getri_kernel_smallILi60E19rocblas_complex_numIfEPS3_EEvT1_iilPiilS6_bb
                                        ; -- End function
	.set _ZN9rocsolver6v33100L18getri_kernel_smallILi60E19rocblas_complex_numIfEPS3_EEvT1_iilPiilS6_bb.num_vgpr, 254
	.set _ZN9rocsolver6v33100L18getri_kernel_smallILi60E19rocblas_complex_numIfEPS3_EEvT1_iilPiilS6_bb.num_agpr, 0
	.set _ZN9rocsolver6v33100L18getri_kernel_smallILi60E19rocblas_complex_numIfEPS3_EEvT1_iilPiilS6_bb.numbered_sgpr, 23
	.set _ZN9rocsolver6v33100L18getri_kernel_smallILi60E19rocblas_complex_numIfEPS3_EEvT1_iilPiilS6_bb.num_named_barrier, 0
	.set _ZN9rocsolver6v33100L18getri_kernel_smallILi60E19rocblas_complex_numIfEPS3_EEvT1_iilPiilS6_bb.private_seg_size, 496
	.set _ZN9rocsolver6v33100L18getri_kernel_smallILi60E19rocblas_complex_numIfEPS3_EEvT1_iilPiilS6_bb.uses_vcc, 1
	.set _ZN9rocsolver6v33100L18getri_kernel_smallILi60E19rocblas_complex_numIfEPS3_EEvT1_iilPiilS6_bb.uses_flat_scratch, 0
	.set _ZN9rocsolver6v33100L18getri_kernel_smallILi60E19rocblas_complex_numIfEPS3_EEvT1_iilPiilS6_bb.has_dyn_sized_stack, 0
	.set _ZN9rocsolver6v33100L18getri_kernel_smallILi60E19rocblas_complex_numIfEPS3_EEvT1_iilPiilS6_bb.has_recursion, 0
	.set _ZN9rocsolver6v33100L18getri_kernel_smallILi60E19rocblas_complex_numIfEPS3_EEvT1_iilPiilS6_bb.has_indirect_call, 0
	.section	.AMDGPU.csdata,"",@progbits
; Kernel info:
; codeLenInByte = 131608
; TotalNumSgprs: 25
; NumVgprs: 254
; ScratchSize: 496
; MemoryBound: 0
; FloatMode: 240
; IeeeMode: 1
; LDSByteSize: 964 bytes/workgroup (compile time only)
; SGPRBlocks: 0
; VGPRBlocks: 31
; NumSGPRsForWavesPerEU: 25
; NumVGPRsForWavesPerEU: 254
; Occupancy: 4
; WaveLimiterHint : 1
; COMPUTE_PGM_RSRC2:SCRATCH_EN: 1
; COMPUTE_PGM_RSRC2:USER_SGPR: 6
; COMPUTE_PGM_RSRC2:TRAP_HANDLER: 0
; COMPUTE_PGM_RSRC2:TGID_X_EN: 1
; COMPUTE_PGM_RSRC2:TGID_Y_EN: 0
; COMPUTE_PGM_RSRC2:TGID_Z_EN: 0
; COMPUTE_PGM_RSRC2:TIDIG_COMP_CNT: 0
	.section	.text._ZN9rocsolver6v33100L18getri_kernel_smallILi61E19rocblas_complex_numIfEPS3_EEvT1_iilPiilS6_bb,"axG",@progbits,_ZN9rocsolver6v33100L18getri_kernel_smallILi61E19rocblas_complex_numIfEPS3_EEvT1_iilPiilS6_bb,comdat
	.globl	_ZN9rocsolver6v33100L18getri_kernel_smallILi61E19rocblas_complex_numIfEPS3_EEvT1_iilPiilS6_bb ; -- Begin function _ZN9rocsolver6v33100L18getri_kernel_smallILi61E19rocblas_complex_numIfEPS3_EEvT1_iilPiilS6_bb
	.p2align	8
	.type	_ZN9rocsolver6v33100L18getri_kernel_smallILi61E19rocblas_complex_numIfEPS3_EEvT1_iilPiilS6_bb,@function
_ZN9rocsolver6v33100L18getri_kernel_smallILi61E19rocblas_complex_numIfEPS3_EEvT1_iilPiilS6_bb: ; @_ZN9rocsolver6v33100L18getri_kernel_smallILi61E19rocblas_complex_numIfEPS3_EEvT1_iilPiilS6_bb
; %bb.0:
	s_add_u32 s0, s0, s7
	s_addc_u32 s1, s1, 0
	s_mov_b32 s7, exec_lo
	v_cmpx_gt_u32_e32 61, v0
	s_cbranch_execz .LBB60_258
; %bb.1:
	s_clause 0x2
	s_load_dword s7, s[4:5], 0x38
	s_load_dwordx4 s[16:19], s[4:5], 0x10
	s_load_dwordx4 s[8:11], s[4:5], 0x28
                                        ; implicit-def: $sgpr20_sgpr21
	s_waitcnt lgkmcnt(0)
	s_bitcmp1_b32 s7, 8
	s_cselect_b32 s22, -1, 0
	s_bfe_u32 s12, s7, 0x10008
	s_ashr_i32 s7, s6, 31
	s_cmp_eq_u32 s12, 0
	s_cbranch_scc1 .LBB60_3
; %bb.2:
	s_load_dword s12, s[4:5], 0x20
	s_mul_i32 s13, s8, s7
	s_mul_hi_u32 s14, s8, s6
	s_mul_i32 s9, s9, s6
	s_add_i32 s13, s14, s13
	s_mul_i32 s8, s8, s6
	s_add_i32 s9, s13, s9
	s_lshl_b64 s[8:9], s[8:9], 2
	s_waitcnt lgkmcnt(0)
	s_ashr_i32 s13, s12, 31
	s_add_u32 s14, s18, s8
	s_addc_u32 s15, s19, s9
	s_lshl_b64 s[8:9], s[12:13], 2
	s_add_u32 s20, s14, s8
	s_addc_u32 s21, s15, s9
.LBB60_3:
	s_clause 0x1
	s_load_dwordx4 s[12:15], s[4:5], 0x0
	s_load_dword s8, s[4:5], 0x38
	s_mul_i32 s4, s16, s7
	s_mul_hi_u32 s5, s16, s6
	s_mul_i32 s9, s17, s6
	s_add_i32 s5, s5, s4
	s_mul_i32 s4, s16, s6
	s_add_i32 s5, s5, s9
	s_lshl_b64 s[4:5], s[4:5], 3
	s_waitcnt lgkmcnt(0)
	v_add3_u32 v1, s15, s15, v0
	s_ashr_i32 s17, s14, 31
	s_mov_b32 s16, s14
	s_add_u32 s9, s12, s4
	s_addc_u32 s12, s13, s5
	v_add_nc_u32_e32 v3, s15, v1
	v_ashrrev_i32_e32 v2, 31, v1
	s_lshl_b64 s[4:5], s[16:17], 3
	s_add_u32 s4, s9, s4
	v_add_nc_u32_e32 v5, s15, v3
	v_ashrrev_i32_e32 v4, 31, v3
	v_lshlrev_b64 v[1:2], 3, v[1:2]
	s_addc_u32 s5, s12, s5
	s_ashr_i32 s13, s15, 31
	v_ashrrev_i32_e32 v6, 31, v5
	v_add_nc_u32_e32 v7, s15, v5
	v_lshlrev_b64 v[3:4], 3, v[3:4]
	v_add_co_u32 v13, vcc_lo, s4, v1
	v_add_co_ci_u32_e64 v14, null, s5, v2, vcc_lo
	v_lshlrev_b64 v[1:2], 3, v[5:6]
	v_ashrrev_i32_e32 v8, 31, v7
	v_add_nc_u32_e32 v5, s15, v7
	v_add_co_u32 v15, vcc_lo, s4, v3
	v_add_co_ci_u32_e64 v16, null, s5, v4, vcc_lo
	v_lshlrev_b64 v[3:4], 3, v[7:8]
	v_ashrrev_i32_e32 v6, 31, v5
	v_add_nc_u32_e32 v7, s15, v5
	;; [unrolled: 5-line block ×41, first 2 shown]
	v_add_co_u32 v95, vcc_lo, s4, v3
	v_add_co_ci_u32_e64 v96, null, s5, v4, vcc_lo
	v_lshlrev_b64 v[3:4], 3, v[7:8]
	v_add_nc_u32_e32 v7, s15, v5
	v_ashrrev_i32_e32 v6, 31, v5
	v_add_co_u32 v97, vcc_lo, s4, v1
	v_add_co_ci_u32_e64 v98, null, s5, v2, vcc_lo
	v_ashrrev_i32_e32 v8, 31, v7
	v_lshlrev_b64 v[1:2], 3, v[5:6]
	v_add_co_u32 v99, vcc_lo, s4, v3
	v_add_nc_u32_e32 v6, s15, v7
	v_add_co_ci_u32_e64 v100, null, s5, v4, vcc_lo
	v_lshlrev_b64 v[4:5], 3, v[7:8]
	v_add_co_u32 v101, vcc_lo, s4, v1
	v_ashrrev_i32_e32 v7, 31, v6
	v_lshlrev_b32_e32 v3, 3, v0
	v_add_co_ci_u32_e64 v102, null, s5, v2, vcc_lo
	v_add_co_u32 v103, vcc_lo, s4, v4
	v_add_co_ci_u32_e64 v104, null, s5, v5, vcc_lo
	v_lshlrev_b64 v[4:5], 3, v[6:7]
	v_add_nc_u32_e32 v6, s15, v6
	v_add_co_u32 v107, s9, s4, v3
	s_mov_b32 s12, s15
	v_add_co_ci_u32_e64 v108, null, s5, 0, s9
	s_lshl_b64 s[12:13], s[12:13], 3
	v_ashrrev_i32_e32 v7, 31, v6
	v_add_co_u32 v111, vcc_lo, v107, s12
	v_add_co_ci_u32_e64 v112, null, s13, v108, vcc_lo
	v_add_co_u32 v105, vcc_lo, s4, v4
	v_add_co_ci_u32_e64 v106, null, s5, v5, vcc_lo
	v_lshlrev_b64 v[4:5], 3, v[6:7]
	v_add_nc_u32_e32 v6, s15, v6
	s_clause 0xc
	global_load_dwordx2 v[1:2], v3, s[4:5]
	global_load_dwordx2 v[8:9], v[111:112], off
	global_load_dwordx2 v[10:11], v[13:14], off
	;; [unrolled: 1-line block ×12, first 2 shown]
	v_ashrrev_i32_e32 v7, 31, v6
	v_add_co_u32 v109, vcc_lo, s4, v4
	v_add_co_ci_u32_e64 v110, null, s5, v5, vcc_lo
	v_lshlrev_b64 v[4:5], 3, v[6:7]
	v_add_nc_u32_e32 v6, s15, v6
	s_clause 0xf
	global_load_dwordx2 v[155:156], v[35:36], off
	global_load_dwordx2 v[157:158], v[37:38], off
	;; [unrolled: 1-line block ×16, first 2 shown]
	v_ashrrev_i32_e32 v7, 31, v6
	v_add_co_u32 v113, vcc_lo, s4, v4
	v_add_co_ci_u32_e64 v114, null, s5, v5, vcc_lo
	v_lshlrev_b64 v[4:5], 3, v[6:7]
	v_add_nc_u32_e32 v6, s15, v6
	s_clause 0x2
	global_load_dwordx2 v[187:188], v[67:68], off
	global_load_dwordx2 v[189:190], v[69:70], off
	;; [unrolled: 1-line block ×3, first 2 shown]
	s_bitcmp0_b32 s8, 0
	v_ashrrev_i32_e32 v7, 31, v6
	v_add_co_u32 v115, vcc_lo, s4, v4
	v_add_co_ci_u32_e64 v116, null, s5, v5, vcc_lo
	v_lshlrev_b64 v[4:5], 3, v[6:7]
	v_add_nc_u32_e32 v6, s15, v6
	v_ashrrev_i32_e32 v7, 31, v6
	v_add_co_u32 v117, vcc_lo, s4, v4
	v_add_co_ci_u32_e64 v118, null, s5, v5, vcc_lo
	v_lshlrev_b64 v[4:5], 3, v[6:7]
	v_add_nc_u32_e32 v6, s15, v6
	;; [unrolled: 5-line block ×4, first 2 shown]
	v_add_co_u32 v123, vcc_lo, s4, v4
	v_add_nc_u32_e32 v4, s15, v6
	v_ashrrev_i32_e32 v7, 31, v6
	v_add_co_ci_u32_e64 v124, null, s5, v5, vcc_lo
	v_add_nc_u32_e32 v129, s15, v4
	v_ashrrev_i32_e32 v5, 31, v4
	v_lshlrev_b64 v[6:7], 3, v[6:7]
	v_add_nc_u32_e32 v131, s15, v129
	v_ashrrev_i32_e32 v130, 31, v129
	v_lshlrev_b64 v[4:5], 3, v[4:5]
	v_add_co_u32 v125, vcc_lo, s4, v6
	v_add_nc_u32_e32 v133, s15, v131
	v_ashrrev_i32_e32 v132, 31, v131
	v_lshlrev_b64 v[129:130], 3, v[129:130]
	v_add_co_ci_u32_e64 v126, null, s5, v7, vcc_lo
	v_ashrrev_i32_e32 v134, 31, v133
	v_lshlrev_b64 v[131:132], 3, v[131:132]
	v_add_co_u32 v127, vcc_lo, s4, v4
	v_add_co_ci_u32_e64 v128, null, s5, v5, vcc_lo
	v_lshlrev_b64 v[133:134], 3, v[133:134]
	v_add_co_u32 v129, vcc_lo, s4, v129
	v_add_co_ci_u32_e64 v130, null, s5, v130, vcc_lo
	v_add_co_u32 v131, vcc_lo, s4, v131
	v_add_co_ci_u32_e64 v132, null, s5, v132, vcc_lo
	;; [unrolled: 2-line block ×3, first 2 shown]
	s_clause 0x1c
	global_load_dwordx2 v[6:7], v[73:74], off
	global_load_dwordx2 v[193:194], v[75:76], off
	;; [unrolled: 1-line block ×29, first 2 shown]
	s_mov_b32 s5, -1
	s_waitcnt vmcnt(60)
	buffer_store_dword v2, off, s[0:3], 0 offset:4
	buffer_store_dword v1, off, s[0:3], 0
	s_waitcnt vmcnt(59)
	buffer_store_dword v9, off, s[0:3], 0 offset:12
	buffer_store_dword v8, off, s[0:3], 0 offset:8
	s_waitcnt vmcnt(58)
	buffer_store_dword v11, off, s[0:3], 0 offset:20
	buffer_store_dword v10, off, s[0:3], 0 offset:16
	;; [unrolled: 3-line block ×60, first 2 shown]
	s_cbranch_scc1 .LBB60_256
; %bb.4:
	v_cmp_eq_u32_e64 s4, 0, v0
	s_and_saveexec_b32 s5, s4
; %bb.5:
	v_mov_b32_e32 v1, 0
	ds_write_b32 v1, v1 offset:488
; %bb.6:
	s_or_b32 exec_lo, exec_lo, s5
	v_lshl_add_u32 v5, v0, 3, 0
	s_waitcnt lgkmcnt(0)
	s_waitcnt_vscnt null, 0x0
	s_barrier
	buffer_gl0_inv
	s_clause 0x1
	buffer_load_dword v1, v5, s[0:3], 0 offen
	buffer_load_dword v2, v5, s[0:3], 0 offen offset:4
	s_waitcnt vmcnt(1)
	v_cmp_eq_f32_e32 vcc_lo, 0, v1
	s_waitcnt vmcnt(0)
	v_cmp_eq_f32_e64 s5, 0, v2
	s_and_b32 s5, vcc_lo, s5
	s_and_saveexec_b32 s8, s5
	s_cbranch_execz .LBB60_10
; %bb.7:
	v_mov_b32_e32 v1, 0
	s_mov_b32 s9, 0
	ds_read_b32 v2, v1 offset:488
	s_waitcnt lgkmcnt(0)
	v_readfirstlane_b32 s5, v2
	v_add_nc_u32_e32 v2, 1, v0
	s_cmp_eq_u32 s5, 0
	v_cmp_gt_i32_e32 vcc_lo, s5, v2
	s_cselect_b32 s12, -1, 0
	s_or_b32 s12, s12, vcc_lo
	s_and_b32 exec_lo, exec_lo, s12
	s_cbranch_execz .LBB60_10
; %bb.8:
	v_mov_b32_e32 v4, s5
.LBB60_9:                               ; =>This Inner Loop Header: Depth=1
	ds_cmpst_rtn_b32 v4, v1, v4, v2 offset:488
	s_waitcnt lgkmcnt(0)
	v_cmp_ne_u32_e32 vcc_lo, 0, v4
	v_cmp_le_i32_e64 s5, v4, v2
	s_and_b32 s5, vcc_lo, s5
	s_and_b32 s5, exec_lo, s5
	s_or_b32 s9, s5, s9
	s_andn2_b32 exec_lo, exec_lo, s9
	s_cbranch_execnz .LBB60_9
.LBB60_10:
	s_or_b32 exec_lo, exec_lo, s8
	v_mov_b32_e32 v1, 0
	s_barrier
	buffer_gl0_inv
	ds_read_b32 v2, v1 offset:488
	s_and_saveexec_b32 s5, s4
	s_cbranch_execz .LBB60_12
; %bb.11:
	s_lshl_b64 s[8:9], s[6:7], 2
	s_add_u32 s8, s10, s8
	s_addc_u32 s9, s11, s9
	s_waitcnt lgkmcnt(0)
	global_store_dword v1, v2, s[8:9]
.LBB60_12:
	s_or_b32 exec_lo, exec_lo, s5
	s_waitcnt lgkmcnt(0)
	v_cmp_ne_u32_e32 vcc_lo, 0, v2
	s_mov_b32 s5, 0
	s_cbranch_vccnz .LBB60_256
; %bb.13:
	s_clause 0x1
	buffer_load_dword v2, v5, s[0:3], 0 offen
	buffer_load_dword v4, v5, s[0:3], 0 offen offset:4
                                        ; implicit-def: $vgpr7
                                        ; implicit-def: $vgpr6
                                        ; implicit-def: $vgpr1
	s_waitcnt vmcnt(0)
	v_cmp_ngt_f32_e64 s5, |v2|, |v4|
	s_and_saveexec_b32 s8, s5
	s_xor_b32 s5, exec_lo, s8
	s_cbranch_execz .LBB60_15
; %bb.14:
	v_div_scale_f32 v1, null, v4, v4, v2
	v_div_scale_f32 v8, vcc_lo, v2, v4, v2
	v_rcp_f32_e32 v6, v1
	v_fma_f32 v7, -v1, v6, 1.0
	v_fmac_f32_e32 v6, v7, v6
	v_mul_f32_e32 v7, v8, v6
	v_fma_f32 v9, -v1, v7, v8
	v_fmac_f32_e32 v7, v9, v6
	v_fma_f32 v1, -v1, v7, v8
	v_div_fmas_f32 v1, v1, v6, v7
	v_div_fixup_f32 v1, v1, v4, v2
	v_fmac_f32_e32 v4, v2, v1
	v_div_scale_f32 v2, null, v4, v4, 1.0
	v_rcp_f32_e32 v6, v2
	v_fma_f32 v7, -v2, v6, 1.0
	v_fmac_f32_e32 v6, v7, v6
	v_div_scale_f32 v7, vcc_lo, 1.0, v4, 1.0
	v_mul_f32_e32 v8, v7, v6
	v_fma_f32 v9, -v2, v8, v7
	v_fmac_f32_e32 v8, v9, v6
	v_fma_f32 v2, -v2, v8, v7
	v_div_fmas_f32 v2, v2, v6, v8
	v_div_fixup_f32 v2, v2, v4, 1.0
                                        ; implicit-def: $vgpr4
	v_mul_f32_e32 v7, v1, v2
	v_xor_b32_e32 v6, 0x80000000, v2
                                        ; implicit-def: $vgpr2
	v_xor_b32_e32 v1, 0x80000000, v7
.LBB60_15:
	s_andn2_saveexec_b32 s5, s5
	s_cbranch_execz .LBB60_17
; %bb.16:
	v_div_scale_f32 v1, null, v2, v2, v4
	v_div_scale_f32 v8, vcc_lo, v4, v2, v4
	v_rcp_f32_e32 v6, v1
	v_fma_f32 v7, -v1, v6, 1.0
	v_fmac_f32_e32 v6, v7, v6
	v_mul_f32_e32 v7, v8, v6
	v_fma_f32 v9, -v1, v7, v8
	v_fmac_f32_e32 v7, v9, v6
	v_fma_f32 v1, -v1, v7, v8
	v_div_fmas_f32 v1, v1, v6, v7
	v_div_fixup_f32 v6, v1, v2, v4
	v_fmac_f32_e32 v2, v4, v6
	v_div_scale_f32 v1, null, v2, v2, 1.0
	v_div_scale_f32 v8, vcc_lo, 1.0, v2, 1.0
	v_rcp_f32_e32 v4, v1
	v_fma_f32 v7, -v1, v4, 1.0
	v_fmac_f32_e32 v4, v7, v4
	v_mul_f32_e32 v7, v8, v4
	v_fma_f32 v9, -v1, v7, v8
	v_fmac_f32_e32 v7, v9, v4
	v_fma_f32 v1, -v1, v7, v8
	v_div_fmas_f32 v1, v1, v4, v7
	v_div_fixup_f32 v7, v1, v2, 1.0
	v_xor_b32_e32 v1, 0x80000000, v7
	v_mul_f32_e64 v6, v6, -v7
.LBB60_17:
	s_or_b32 exec_lo, exec_lo, s5
	buffer_store_dword v7, v5, s[0:3], 0 offen
	buffer_store_dword v6, v5, s[0:3], 0 offen offset:4
	s_clause 0x1
	buffer_load_dword v8, off, s[0:3], 0 offset:12
	buffer_load_dword v7, off, s[0:3], 0 offset:8
	v_xor_b32_e32 v2, 0x80000000, v6
	v_add_nc_u32_e32 v4, 0x1f0, v3
	s_waitcnt vmcnt(0)
	ds_write2_b64 v3, v[1:2], v[7:8] offset1:62
	s_waitcnt lgkmcnt(0)
	s_waitcnt_vscnt null, 0x0
	s_barrier
	buffer_gl0_inv
	s_and_saveexec_b32 s5, s4
	s_cbranch_execz .LBB60_19
; %bb.18:
	s_clause 0x1
	buffer_load_dword v8, v5, s[0:3], 0 offen offset:4
	buffer_load_dword v9, v5, s[0:3], 0 offen
	ds_read_b64 v[1:2], v4
	v_mov_b32_e32 v6, 0
	ds_read_b64 v[6:7], v6 offset:8
	s_waitcnt vmcnt(1) lgkmcnt(1)
	v_mul_f32_e32 v10, v1, v8
	v_mul_f32_e32 v8, v2, v8
	s_waitcnt vmcnt(0)
	v_fmac_f32_e32 v10, v2, v9
	v_fma_f32 v1, v1, v9, -v8
	v_add_f32_e32 v2, 0, v10
	v_add_f32_e32 v1, 0, v1
	s_waitcnt lgkmcnt(0)
	v_mul_f32_e32 v8, v2, v7
	v_mul_f32_e32 v7, v1, v7
	v_fma_f32 v1, v1, v6, -v8
	v_fmac_f32_e32 v7, v2, v6
	buffer_store_dword v1, off, s[0:3], 0 offset:8
	buffer_store_dword v7, off, s[0:3], 0 offset:12
.LBB60_19:
	s_or_b32 exec_lo, exec_lo, s5
	s_waitcnt_vscnt null, 0x0
	s_barrier
	buffer_gl0_inv
	s_clause 0x1
	buffer_load_dword v1, off, s[0:3], 0 offset:16
	buffer_load_dword v2, off, s[0:3], 0 offset:20
	s_mov_b32 s5, exec_lo
	s_waitcnt vmcnt(0)
	ds_write_b64 v4, v[1:2]
	s_waitcnt lgkmcnt(0)
	s_barrier
	buffer_gl0_inv
	v_cmpx_gt_u32_e32 2, v0
	s_cbranch_execz .LBB60_23
; %bb.20:
	s_clause 0x1
	buffer_load_dword v6, v5, s[0:3], 0 offen offset:4
	buffer_load_dword v5, v5, s[0:3], 0 offen
	ds_read_b64 v[1:2], v4
	s_waitcnt vmcnt(1) lgkmcnt(0)
	v_mul_f32_e32 v7, v2, v6
	v_mul_f32_e32 v6, v1, v6
	s_waitcnt vmcnt(0)
	v_fma_f32 v1, v1, v5, -v7
	v_fmac_f32_e32 v6, v2, v5
	v_add_f32_e32 v2, 0, v1
	v_add_f32_e32 v1, 0, v6
	s_and_saveexec_b32 s8, s4
	s_cbranch_execz .LBB60_22
; %bb.21:
	s_clause 0x1
	buffer_load_dword v7, off, s[0:3], 0 offset:12
	buffer_load_dword v8, off, s[0:3], 0 offset:8
	v_mov_b32_e32 v5, 0
	ds_read_b64 v[5:6], v5 offset:504
	s_waitcnt vmcnt(1) lgkmcnt(0)
	v_mul_f32_e32 v9, v5, v7
	v_mul_f32_e32 v7, v6, v7
	s_waitcnt vmcnt(0)
	v_fmac_f32_e32 v9, v6, v8
	v_fma_f32 v5, v5, v8, -v7
	v_add_f32_e32 v1, v1, v9
	v_add_f32_e32 v2, v2, v5
.LBB60_22:
	s_or_b32 exec_lo, exec_lo, s8
	v_mov_b32_e32 v5, 0
	ds_read_b64 v[5:6], v5 offset:16
	s_waitcnt lgkmcnt(0)
	v_mul_f32_e32 v7, v1, v6
	v_mul_f32_e32 v6, v2, v6
	v_fma_f32 v2, v2, v5, -v7
	v_fmac_f32_e32 v6, v1, v5
	buffer_store_dword v2, off, s[0:3], 0 offset:16
	buffer_store_dword v6, off, s[0:3], 0 offset:20
.LBB60_23:
	s_or_b32 exec_lo, exec_lo, s5
	s_waitcnt_vscnt null, 0x0
	s_barrier
	buffer_gl0_inv
	s_clause 0x1
	buffer_load_dword v5, off, s[0:3], 0 offset:24
	buffer_load_dword v6, off, s[0:3], 0 offset:28
	v_add_nc_u32_e32 v1, -1, v0
	s_mov_b32 s4, exec_lo
	s_waitcnt vmcnt(0)
	ds_write_b64 v4, v[5:6]
	s_waitcnt lgkmcnt(0)
	s_barrier
	buffer_gl0_inv
	v_cmpx_gt_u32_e32 3, v0
	s_cbranch_execz .LBB60_27
; %bb.24:
	v_add_nc_u32_e32 v5, -1, v0
	v_add_nc_u32_e32 v6, 0x1f0, v3
	v_mov_b32_e32 v7, v3
	v_mov_b32_e32 v2, 0
	;; [unrolled: 1-line block ×3, first 2 shown]
	s_mov_b32 s5, 0
	.p2align	6
.LBB60_25:                              ; =>This Inner Loop Header: Depth=1
	s_clause 0x1
	buffer_load_dword v11, v7, s[0:3], 0 offen offset:4
	buffer_load_dword v12, v7, s[0:3], 0 offen
	ds_read_b64 v[9:10], v6
	v_add_nc_u32_e32 v5, 1, v5
	v_add_nc_u32_e32 v6, 8, v6
	;; [unrolled: 1-line block ×3, first 2 shown]
	v_cmp_lt_u32_e32 vcc_lo, 1, v5
	s_or_b32 s5, vcc_lo, s5
	s_waitcnt vmcnt(1) lgkmcnt(0)
	v_mul_f32_e32 v135, v10, v11
	v_mul_f32_e32 v11, v9, v11
	s_waitcnt vmcnt(0)
	v_fma_f32 v9, v9, v12, -v135
	v_fmac_f32_e32 v11, v10, v12
	v_add_f32_e32 v8, v8, v9
	v_add_f32_e32 v2, v2, v11
	s_andn2_b32 exec_lo, exec_lo, s5
	s_cbranch_execnz .LBB60_25
; %bb.26:
	s_or_b32 exec_lo, exec_lo, s5
	v_mov_b32_e32 v5, 0
	ds_read_b64 v[5:6], v5 offset:24
	s_waitcnt lgkmcnt(0)
	v_mul_f32_e32 v7, v2, v6
	v_mul_f32_e32 v6, v8, v6
	v_fma_f32 v7, v8, v5, -v7
	v_fmac_f32_e32 v6, v2, v5
	buffer_store_dword v7, off, s[0:3], 0 offset:24
	buffer_store_dword v6, off, s[0:3], 0 offset:28
.LBB60_27:
	s_or_b32 exec_lo, exec_lo, s4
	s_waitcnt_vscnt null, 0x0
	s_barrier
	buffer_gl0_inv
	s_clause 0x1
	buffer_load_dword v5, off, s[0:3], 0 offset:32
	buffer_load_dword v6, off, s[0:3], 0 offset:36
	s_mov_b32 s4, exec_lo
	s_waitcnt vmcnt(0)
	ds_write_b64 v4, v[5:6]
	s_waitcnt lgkmcnt(0)
	s_barrier
	buffer_gl0_inv
	v_cmpx_gt_u32_e32 4, v0
	s_cbranch_execz .LBB60_31
; %bb.28:
	v_add_nc_u32_e32 v5, -1, v0
	v_add_nc_u32_e32 v6, 0x1f0, v3
	v_mov_b32_e32 v7, v3
	v_mov_b32_e32 v2, 0
	;; [unrolled: 1-line block ×3, first 2 shown]
	s_mov_b32 s5, 0
	.p2align	6
.LBB60_29:                              ; =>This Inner Loop Header: Depth=1
	s_clause 0x1
	buffer_load_dword v11, v7, s[0:3], 0 offen offset:4
	buffer_load_dword v12, v7, s[0:3], 0 offen
	ds_read_b64 v[9:10], v6
	v_add_nc_u32_e32 v5, 1, v5
	v_add_nc_u32_e32 v6, 8, v6
	;; [unrolled: 1-line block ×3, first 2 shown]
	v_cmp_lt_u32_e32 vcc_lo, 2, v5
	s_or_b32 s5, vcc_lo, s5
	s_waitcnt vmcnt(1) lgkmcnt(0)
	v_mul_f32_e32 v135, v10, v11
	v_mul_f32_e32 v11, v9, v11
	s_waitcnt vmcnt(0)
	v_fma_f32 v9, v9, v12, -v135
	v_fmac_f32_e32 v11, v10, v12
	v_add_f32_e32 v8, v8, v9
	v_add_f32_e32 v2, v2, v11
	s_andn2_b32 exec_lo, exec_lo, s5
	s_cbranch_execnz .LBB60_29
; %bb.30:
	s_or_b32 exec_lo, exec_lo, s5
	v_mov_b32_e32 v5, 0
	ds_read_b64 v[5:6], v5 offset:32
	s_waitcnt lgkmcnt(0)
	v_mul_f32_e32 v7, v2, v6
	v_mul_f32_e32 v6, v8, v6
	v_fma_f32 v7, v8, v5, -v7
	v_fmac_f32_e32 v6, v2, v5
	buffer_store_dword v7, off, s[0:3], 0 offset:32
	buffer_store_dword v6, off, s[0:3], 0 offset:36
.LBB60_31:
	s_or_b32 exec_lo, exec_lo, s4
	s_waitcnt_vscnt null, 0x0
	s_barrier
	buffer_gl0_inv
	s_clause 0x1
	buffer_load_dword v5, off, s[0:3], 0 offset:40
	buffer_load_dword v6, off, s[0:3], 0 offset:44
	s_mov_b32 s4, exec_lo
	s_waitcnt vmcnt(0)
	ds_write_b64 v4, v[5:6]
	s_waitcnt lgkmcnt(0)
	s_barrier
	buffer_gl0_inv
	v_cmpx_gt_u32_e32 5, v0
	s_cbranch_execz .LBB60_35
; %bb.32:
	v_add_nc_u32_e32 v5, -1, v0
	v_add_nc_u32_e32 v6, 0x1f0, v3
	v_mov_b32_e32 v7, v3
	v_mov_b32_e32 v2, 0
	;; [unrolled: 1-line block ×3, first 2 shown]
	s_mov_b32 s5, 0
	.p2align	6
.LBB60_33:                              ; =>This Inner Loop Header: Depth=1
	s_clause 0x1
	buffer_load_dword v11, v7, s[0:3], 0 offen offset:4
	buffer_load_dword v12, v7, s[0:3], 0 offen
	ds_read_b64 v[9:10], v6
	v_add_nc_u32_e32 v5, 1, v5
	v_add_nc_u32_e32 v6, 8, v6
	;; [unrolled: 1-line block ×3, first 2 shown]
	v_cmp_lt_u32_e32 vcc_lo, 3, v5
	s_or_b32 s5, vcc_lo, s5
	s_waitcnt vmcnt(1) lgkmcnt(0)
	v_mul_f32_e32 v135, v10, v11
	v_mul_f32_e32 v11, v9, v11
	s_waitcnt vmcnt(0)
	v_fma_f32 v9, v9, v12, -v135
	v_fmac_f32_e32 v11, v10, v12
	v_add_f32_e32 v8, v8, v9
	v_add_f32_e32 v2, v2, v11
	s_andn2_b32 exec_lo, exec_lo, s5
	s_cbranch_execnz .LBB60_33
; %bb.34:
	s_or_b32 exec_lo, exec_lo, s5
	v_mov_b32_e32 v5, 0
	ds_read_b64 v[5:6], v5 offset:40
	s_waitcnt lgkmcnt(0)
	v_mul_f32_e32 v7, v2, v6
	v_mul_f32_e32 v6, v8, v6
	v_fma_f32 v7, v8, v5, -v7
	v_fmac_f32_e32 v6, v2, v5
	buffer_store_dword v7, off, s[0:3], 0 offset:40
	buffer_store_dword v6, off, s[0:3], 0 offset:44
.LBB60_35:
	s_or_b32 exec_lo, exec_lo, s4
	s_waitcnt_vscnt null, 0x0
	s_barrier
	buffer_gl0_inv
	s_clause 0x1
	buffer_load_dword v5, off, s[0:3], 0 offset:48
	buffer_load_dword v6, off, s[0:3], 0 offset:52
	s_mov_b32 s4, exec_lo
	s_waitcnt vmcnt(0)
	ds_write_b64 v4, v[5:6]
	s_waitcnt lgkmcnt(0)
	s_barrier
	buffer_gl0_inv
	v_cmpx_gt_u32_e32 6, v0
	s_cbranch_execz .LBB60_39
; %bb.36:
	v_add_nc_u32_e32 v5, -1, v0
	v_add_nc_u32_e32 v6, 0x1f0, v3
	v_mov_b32_e32 v7, v3
	v_mov_b32_e32 v2, 0
	v_mov_b32_e32 v8, 0
	s_mov_b32 s5, 0
	.p2align	6
.LBB60_37:                              ; =>This Inner Loop Header: Depth=1
	s_clause 0x1
	buffer_load_dword v11, v7, s[0:3], 0 offen offset:4
	buffer_load_dword v12, v7, s[0:3], 0 offen
	ds_read_b64 v[9:10], v6
	v_add_nc_u32_e32 v5, 1, v5
	v_add_nc_u32_e32 v6, 8, v6
	;; [unrolled: 1-line block ×3, first 2 shown]
	v_cmp_lt_u32_e32 vcc_lo, 4, v5
	s_or_b32 s5, vcc_lo, s5
	s_waitcnt vmcnt(1) lgkmcnt(0)
	v_mul_f32_e32 v135, v10, v11
	v_mul_f32_e32 v11, v9, v11
	s_waitcnt vmcnt(0)
	v_fma_f32 v9, v9, v12, -v135
	v_fmac_f32_e32 v11, v10, v12
	v_add_f32_e32 v8, v8, v9
	v_add_f32_e32 v2, v2, v11
	s_andn2_b32 exec_lo, exec_lo, s5
	s_cbranch_execnz .LBB60_37
; %bb.38:
	s_or_b32 exec_lo, exec_lo, s5
	v_mov_b32_e32 v5, 0
	ds_read_b64 v[5:6], v5 offset:48
	s_waitcnt lgkmcnt(0)
	v_mul_f32_e32 v7, v2, v6
	v_mul_f32_e32 v6, v8, v6
	v_fma_f32 v7, v8, v5, -v7
	v_fmac_f32_e32 v6, v2, v5
	buffer_store_dword v7, off, s[0:3], 0 offset:48
	buffer_store_dword v6, off, s[0:3], 0 offset:52
.LBB60_39:
	s_or_b32 exec_lo, exec_lo, s4
	s_waitcnt_vscnt null, 0x0
	s_barrier
	buffer_gl0_inv
	s_clause 0x1
	buffer_load_dword v5, off, s[0:3], 0 offset:56
	buffer_load_dword v6, off, s[0:3], 0 offset:60
	s_mov_b32 s4, exec_lo
	s_waitcnt vmcnt(0)
	ds_write_b64 v4, v[5:6]
	s_waitcnt lgkmcnt(0)
	s_barrier
	buffer_gl0_inv
	v_cmpx_gt_u32_e32 7, v0
	s_cbranch_execz .LBB60_43
; %bb.40:
	v_add_nc_u32_e32 v5, -1, v0
	v_add_nc_u32_e32 v6, 0x1f0, v3
	v_mov_b32_e32 v7, v3
	v_mov_b32_e32 v2, 0
	;; [unrolled: 1-line block ×3, first 2 shown]
	s_mov_b32 s5, 0
	.p2align	6
.LBB60_41:                              ; =>This Inner Loop Header: Depth=1
	s_clause 0x1
	buffer_load_dword v11, v7, s[0:3], 0 offen offset:4
	buffer_load_dword v12, v7, s[0:3], 0 offen
	ds_read_b64 v[9:10], v6
	v_add_nc_u32_e32 v5, 1, v5
	v_add_nc_u32_e32 v6, 8, v6
	;; [unrolled: 1-line block ×3, first 2 shown]
	v_cmp_lt_u32_e32 vcc_lo, 5, v5
	s_or_b32 s5, vcc_lo, s5
	s_waitcnt vmcnt(1) lgkmcnt(0)
	v_mul_f32_e32 v135, v10, v11
	v_mul_f32_e32 v11, v9, v11
	s_waitcnt vmcnt(0)
	v_fma_f32 v9, v9, v12, -v135
	v_fmac_f32_e32 v11, v10, v12
	v_add_f32_e32 v8, v8, v9
	v_add_f32_e32 v2, v2, v11
	s_andn2_b32 exec_lo, exec_lo, s5
	s_cbranch_execnz .LBB60_41
; %bb.42:
	s_or_b32 exec_lo, exec_lo, s5
	v_mov_b32_e32 v5, 0
	ds_read_b64 v[5:6], v5 offset:56
	s_waitcnt lgkmcnt(0)
	v_mul_f32_e32 v7, v2, v6
	v_mul_f32_e32 v6, v8, v6
	v_fma_f32 v7, v8, v5, -v7
	v_fmac_f32_e32 v6, v2, v5
	buffer_store_dword v7, off, s[0:3], 0 offset:56
	buffer_store_dword v6, off, s[0:3], 0 offset:60
.LBB60_43:
	s_or_b32 exec_lo, exec_lo, s4
	s_waitcnt_vscnt null, 0x0
	s_barrier
	buffer_gl0_inv
	s_clause 0x1
	buffer_load_dword v5, off, s[0:3], 0 offset:64
	buffer_load_dword v6, off, s[0:3], 0 offset:68
	s_mov_b32 s4, exec_lo
	s_waitcnt vmcnt(0)
	ds_write_b64 v4, v[5:6]
	s_waitcnt lgkmcnt(0)
	s_barrier
	buffer_gl0_inv
	v_cmpx_gt_u32_e32 8, v0
	s_cbranch_execz .LBB60_47
; %bb.44:
	v_add_nc_u32_e32 v5, -1, v0
	v_add_nc_u32_e32 v6, 0x1f0, v3
	v_mov_b32_e32 v7, v3
	v_mov_b32_e32 v2, 0
	;; [unrolled: 1-line block ×3, first 2 shown]
	s_mov_b32 s5, 0
	.p2align	6
.LBB60_45:                              ; =>This Inner Loop Header: Depth=1
	s_clause 0x1
	buffer_load_dword v11, v7, s[0:3], 0 offen offset:4
	buffer_load_dword v12, v7, s[0:3], 0 offen
	ds_read_b64 v[9:10], v6
	v_add_nc_u32_e32 v5, 1, v5
	v_add_nc_u32_e32 v6, 8, v6
	;; [unrolled: 1-line block ×3, first 2 shown]
	v_cmp_lt_u32_e32 vcc_lo, 6, v5
	s_or_b32 s5, vcc_lo, s5
	s_waitcnt vmcnt(1) lgkmcnt(0)
	v_mul_f32_e32 v135, v10, v11
	v_mul_f32_e32 v11, v9, v11
	s_waitcnt vmcnt(0)
	v_fma_f32 v9, v9, v12, -v135
	v_fmac_f32_e32 v11, v10, v12
	v_add_f32_e32 v8, v8, v9
	v_add_f32_e32 v2, v2, v11
	s_andn2_b32 exec_lo, exec_lo, s5
	s_cbranch_execnz .LBB60_45
; %bb.46:
	s_or_b32 exec_lo, exec_lo, s5
	v_mov_b32_e32 v5, 0
	ds_read_b64 v[5:6], v5 offset:64
	s_waitcnt lgkmcnt(0)
	v_mul_f32_e32 v7, v2, v6
	v_mul_f32_e32 v6, v8, v6
	v_fma_f32 v7, v8, v5, -v7
	v_fmac_f32_e32 v6, v2, v5
	buffer_store_dword v7, off, s[0:3], 0 offset:64
	buffer_store_dword v6, off, s[0:3], 0 offset:68
.LBB60_47:
	s_or_b32 exec_lo, exec_lo, s4
	s_waitcnt_vscnt null, 0x0
	s_barrier
	buffer_gl0_inv
	s_clause 0x1
	buffer_load_dword v5, off, s[0:3], 0 offset:72
	buffer_load_dword v6, off, s[0:3], 0 offset:76
	s_mov_b32 s4, exec_lo
	s_waitcnt vmcnt(0)
	ds_write_b64 v4, v[5:6]
	s_waitcnt lgkmcnt(0)
	s_barrier
	buffer_gl0_inv
	v_cmpx_gt_u32_e32 9, v0
	s_cbranch_execz .LBB60_51
; %bb.48:
	v_add_nc_u32_e32 v5, -1, v0
	v_add_nc_u32_e32 v6, 0x1f0, v3
	v_mov_b32_e32 v7, v3
	v_mov_b32_e32 v2, 0
	;; [unrolled: 1-line block ×3, first 2 shown]
	s_mov_b32 s5, 0
	.p2align	6
.LBB60_49:                              ; =>This Inner Loop Header: Depth=1
	s_clause 0x1
	buffer_load_dword v11, v7, s[0:3], 0 offen offset:4
	buffer_load_dword v12, v7, s[0:3], 0 offen
	ds_read_b64 v[9:10], v6
	v_add_nc_u32_e32 v5, 1, v5
	v_add_nc_u32_e32 v6, 8, v6
	;; [unrolled: 1-line block ×3, first 2 shown]
	v_cmp_lt_u32_e32 vcc_lo, 7, v5
	s_or_b32 s5, vcc_lo, s5
	s_waitcnt vmcnt(1) lgkmcnt(0)
	v_mul_f32_e32 v135, v10, v11
	v_mul_f32_e32 v11, v9, v11
	s_waitcnt vmcnt(0)
	v_fma_f32 v9, v9, v12, -v135
	v_fmac_f32_e32 v11, v10, v12
	v_add_f32_e32 v8, v8, v9
	v_add_f32_e32 v2, v2, v11
	s_andn2_b32 exec_lo, exec_lo, s5
	s_cbranch_execnz .LBB60_49
; %bb.50:
	s_or_b32 exec_lo, exec_lo, s5
	v_mov_b32_e32 v5, 0
	ds_read_b64 v[5:6], v5 offset:72
	s_waitcnt lgkmcnt(0)
	v_mul_f32_e32 v7, v2, v6
	v_mul_f32_e32 v6, v8, v6
	v_fma_f32 v7, v8, v5, -v7
	v_fmac_f32_e32 v6, v2, v5
	buffer_store_dword v7, off, s[0:3], 0 offset:72
	buffer_store_dword v6, off, s[0:3], 0 offset:76
.LBB60_51:
	s_or_b32 exec_lo, exec_lo, s4
	s_waitcnt_vscnt null, 0x0
	s_barrier
	buffer_gl0_inv
	s_clause 0x1
	buffer_load_dword v5, off, s[0:3], 0 offset:80
	buffer_load_dword v6, off, s[0:3], 0 offset:84
	s_mov_b32 s4, exec_lo
	s_waitcnt vmcnt(0)
	ds_write_b64 v4, v[5:6]
	s_waitcnt lgkmcnt(0)
	s_barrier
	buffer_gl0_inv
	v_cmpx_gt_u32_e32 10, v0
	s_cbranch_execz .LBB60_55
; %bb.52:
	v_add_nc_u32_e32 v5, -1, v0
	v_add_nc_u32_e32 v6, 0x1f0, v3
	v_mov_b32_e32 v7, v3
	v_mov_b32_e32 v2, 0
	v_mov_b32_e32 v8, 0
	s_mov_b32 s5, 0
	.p2align	6
.LBB60_53:                              ; =>This Inner Loop Header: Depth=1
	s_clause 0x1
	buffer_load_dword v11, v7, s[0:3], 0 offen offset:4
	buffer_load_dword v12, v7, s[0:3], 0 offen
	ds_read_b64 v[9:10], v6
	v_add_nc_u32_e32 v5, 1, v5
	v_add_nc_u32_e32 v6, 8, v6
	;; [unrolled: 1-line block ×3, first 2 shown]
	v_cmp_lt_u32_e32 vcc_lo, 8, v5
	s_or_b32 s5, vcc_lo, s5
	s_waitcnt vmcnt(1) lgkmcnt(0)
	v_mul_f32_e32 v135, v10, v11
	v_mul_f32_e32 v11, v9, v11
	s_waitcnt vmcnt(0)
	v_fma_f32 v9, v9, v12, -v135
	v_fmac_f32_e32 v11, v10, v12
	v_add_f32_e32 v8, v8, v9
	v_add_f32_e32 v2, v2, v11
	s_andn2_b32 exec_lo, exec_lo, s5
	s_cbranch_execnz .LBB60_53
; %bb.54:
	s_or_b32 exec_lo, exec_lo, s5
	v_mov_b32_e32 v5, 0
	ds_read_b64 v[5:6], v5 offset:80
	s_waitcnt lgkmcnt(0)
	v_mul_f32_e32 v7, v2, v6
	v_mul_f32_e32 v6, v8, v6
	v_fma_f32 v7, v8, v5, -v7
	v_fmac_f32_e32 v6, v2, v5
	buffer_store_dword v7, off, s[0:3], 0 offset:80
	buffer_store_dword v6, off, s[0:3], 0 offset:84
.LBB60_55:
	s_or_b32 exec_lo, exec_lo, s4
	s_waitcnt_vscnt null, 0x0
	s_barrier
	buffer_gl0_inv
	s_clause 0x1
	buffer_load_dword v5, off, s[0:3], 0 offset:88
	buffer_load_dword v6, off, s[0:3], 0 offset:92
	s_mov_b32 s4, exec_lo
	s_waitcnt vmcnt(0)
	ds_write_b64 v4, v[5:6]
	s_waitcnt lgkmcnt(0)
	s_barrier
	buffer_gl0_inv
	v_cmpx_gt_u32_e32 11, v0
	s_cbranch_execz .LBB60_59
; %bb.56:
	v_add_nc_u32_e32 v5, -1, v0
	v_add_nc_u32_e32 v6, 0x1f0, v3
	v_mov_b32_e32 v7, v3
	v_mov_b32_e32 v2, 0
	;; [unrolled: 1-line block ×3, first 2 shown]
	s_mov_b32 s5, 0
	.p2align	6
.LBB60_57:                              ; =>This Inner Loop Header: Depth=1
	s_clause 0x1
	buffer_load_dword v11, v7, s[0:3], 0 offen offset:4
	buffer_load_dword v12, v7, s[0:3], 0 offen
	ds_read_b64 v[9:10], v6
	v_add_nc_u32_e32 v5, 1, v5
	v_add_nc_u32_e32 v6, 8, v6
	;; [unrolled: 1-line block ×3, first 2 shown]
	v_cmp_lt_u32_e32 vcc_lo, 9, v5
	s_or_b32 s5, vcc_lo, s5
	s_waitcnt vmcnt(1) lgkmcnt(0)
	v_mul_f32_e32 v135, v10, v11
	v_mul_f32_e32 v11, v9, v11
	s_waitcnt vmcnt(0)
	v_fma_f32 v9, v9, v12, -v135
	v_fmac_f32_e32 v11, v10, v12
	v_add_f32_e32 v8, v8, v9
	v_add_f32_e32 v2, v2, v11
	s_andn2_b32 exec_lo, exec_lo, s5
	s_cbranch_execnz .LBB60_57
; %bb.58:
	s_or_b32 exec_lo, exec_lo, s5
	v_mov_b32_e32 v5, 0
	ds_read_b64 v[5:6], v5 offset:88
	s_waitcnt lgkmcnt(0)
	v_mul_f32_e32 v7, v2, v6
	v_mul_f32_e32 v6, v8, v6
	v_fma_f32 v7, v8, v5, -v7
	v_fmac_f32_e32 v6, v2, v5
	buffer_store_dword v7, off, s[0:3], 0 offset:88
	buffer_store_dword v6, off, s[0:3], 0 offset:92
.LBB60_59:
	s_or_b32 exec_lo, exec_lo, s4
	s_waitcnt_vscnt null, 0x0
	s_barrier
	buffer_gl0_inv
	s_clause 0x1
	buffer_load_dword v5, off, s[0:3], 0 offset:96
	buffer_load_dword v6, off, s[0:3], 0 offset:100
	s_mov_b32 s4, exec_lo
	s_waitcnt vmcnt(0)
	ds_write_b64 v4, v[5:6]
	s_waitcnt lgkmcnt(0)
	s_barrier
	buffer_gl0_inv
	v_cmpx_gt_u32_e32 12, v0
	s_cbranch_execz .LBB60_63
; %bb.60:
	v_add_nc_u32_e32 v5, -1, v0
	v_add_nc_u32_e32 v6, 0x1f0, v3
	v_mov_b32_e32 v7, v3
	v_mov_b32_e32 v2, 0
	;; [unrolled: 1-line block ×3, first 2 shown]
	s_mov_b32 s5, 0
	.p2align	6
.LBB60_61:                              ; =>This Inner Loop Header: Depth=1
	s_clause 0x1
	buffer_load_dword v11, v7, s[0:3], 0 offen offset:4
	buffer_load_dword v12, v7, s[0:3], 0 offen
	ds_read_b64 v[9:10], v6
	v_add_nc_u32_e32 v5, 1, v5
	v_add_nc_u32_e32 v6, 8, v6
	;; [unrolled: 1-line block ×3, first 2 shown]
	v_cmp_lt_u32_e32 vcc_lo, 10, v5
	s_or_b32 s5, vcc_lo, s5
	s_waitcnt vmcnt(1) lgkmcnt(0)
	v_mul_f32_e32 v135, v10, v11
	v_mul_f32_e32 v11, v9, v11
	s_waitcnt vmcnt(0)
	v_fma_f32 v9, v9, v12, -v135
	v_fmac_f32_e32 v11, v10, v12
	v_add_f32_e32 v8, v8, v9
	v_add_f32_e32 v2, v2, v11
	s_andn2_b32 exec_lo, exec_lo, s5
	s_cbranch_execnz .LBB60_61
; %bb.62:
	s_or_b32 exec_lo, exec_lo, s5
	v_mov_b32_e32 v5, 0
	ds_read_b64 v[5:6], v5 offset:96
	s_waitcnt lgkmcnt(0)
	v_mul_f32_e32 v7, v2, v6
	v_mul_f32_e32 v6, v8, v6
	v_fma_f32 v7, v8, v5, -v7
	v_fmac_f32_e32 v6, v2, v5
	buffer_store_dword v7, off, s[0:3], 0 offset:96
	buffer_store_dword v6, off, s[0:3], 0 offset:100
.LBB60_63:
	s_or_b32 exec_lo, exec_lo, s4
	s_waitcnt_vscnt null, 0x0
	s_barrier
	buffer_gl0_inv
	s_clause 0x1
	buffer_load_dword v5, off, s[0:3], 0 offset:104
	buffer_load_dword v6, off, s[0:3], 0 offset:108
	s_mov_b32 s4, exec_lo
	s_waitcnt vmcnt(0)
	ds_write_b64 v4, v[5:6]
	s_waitcnt lgkmcnt(0)
	s_barrier
	buffer_gl0_inv
	v_cmpx_gt_u32_e32 13, v0
	s_cbranch_execz .LBB60_67
; %bb.64:
	v_add_nc_u32_e32 v5, -1, v0
	v_add_nc_u32_e32 v6, 0x1f0, v3
	v_mov_b32_e32 v7, v3
	v_mov_b32_e32 v2, 0
	;; [unrolled: 1-line block ×3, first 2 shown]
	s_mov_b32 s5, 0
	.p2align	6
.LBB60_65:                              ; =>This Inner Loop Header: Depth=1
	s_clause 0x1
	buffer_load_dword v11, v7, s[0:3], 0 offen offset:4
	buffer_load_dword v12, v7, s[0:3], 0 offen
	ds_read_b64 v[9:10], v6
	v_add_nc_u32_e32 v5, 1, v5
	v_add_nc_u32_e32 v6, 8, v6
	;; [unrolled: 1-line block ×3, first 2 shown]
	v_cmp_lt_u32_e32 vcc_lo, 11, v5
	s_or_b32 s5, vcc_lo, s5
	s_waitcnt vmcnt(1) lgkmcnt(0)
	v_mul_f32_e32 v135, v10, v11
	v_mul_f32_e32 v11, v9, v11
	s_waitcnt vmcnt(0)
	v_fma_f32 v9, v9, v12, -v135
	v_fmac_f32_e32 v11, v10, v12
	v_add_f32_e32 v8, v8, v9
	v_add_f32_e32 v2, v2, v11
	s_andn2_b32 exec_lo, exec_lo, s5
	s_cbranch_execnz .LBB60_65
; %bb.66:
	s_or_b32 exec_lo, exec_lo, s5
	v_mov_b32_e32 v5, 0
	ds_read_b64 v[5:6], v5 offset:104
	s_waitcnt lgkmcnt(0)
	v_mul_f32_e32 v7, v2, v6
	v_mul_f32_e32 v6, v8, v6
	v_fma_f32 v7, v8, v5, -v7
	v_fmac_f32_e32 v6, v2, v5
	buffer_store_dword v7, off, s[0:3], 0 offset:104
	buffer_store_dword v6, off, s[0:3], 0 offset:108
.LBB60_67:
	s_or_b32 exec_lo, exec_lo, s4
	s_waitcnt_vscnt null, 0x0
	s_barrier
	buffer_gl0_inv
	s_clause 0x1
	buffer_load_dword v5, off, s[0:3], 0 offset:112
	buffer_load_dword v6, off, s[0:3], 0 offset:116
	s_mov_b32 s4, exec_lo
	s_waitcnt vmcnt(0)
	ds_write_b64 v4, v[5:6]
	s_waitcnt lgkmcnt(0)
	s_barrier
	buffer_gl0_inv
	v_cmpx_gt_u32_e32 14, v0
	s_cbranch_execz .LBB60_71
; %bb.68:
	v_add_nc_u32_e32 v5, -1, v0
	v_add_nc_u32_e32 v6, 0x1f0, v3
	v_mov_b32_e32 v7, v3
	v_mov_b32_e32 v2, 0
	;; [unrolled: 1-line block ×3, first 2 shown]
	s_mov_b32 s5, 0
	.p2align	6
.LBB60_69:                              ; =>This Inner Loop Header: Depth=1
	s_clause 0x1
	buffer_load_dword v11, v7, s[0:3], 0 offen offset:4
	buffer_load_dword v12, v7, s[0:3], 0 offen
	ds_read_b64 v[9:10], v6
	v_add_nc_u32_e32 v5, 1, v5
	v_add_nc_u32_e32 v6, 8, v6
	;; [unrolled: 1-line block ×3, first 2 shown]
	v_cmp_lt_u32_e32 vcc_lo, 12, v5
	s_or_b32 s5, vcc_lo, s5
	s_waitcnt vmcnt(1) lgkmcnt(0)
	v_mul_f32_e32 v135, v10, v11
	v_mul_f32_e32 v11, v9, v11
	s_waitcnt vmcnt(0)
	v_fma_f32 v9, v9, v12, -v135
	v_fmac_f32_e32 v11, v10, v12
	v_add_f32_e32 v8, v8, v9
	v_add_f32_e32 v2, v2, v11
	s_andn2_b32 exec_lo, exec_lo, s5
	s_cbranch_execnz .LBB60_69
; %bb.70:
	s_or_b32 exec_lo, exec_lo, s5
	v_mov_b32_e32 v5, 0
	ds_read_b64 v[5:6], v5 offset:112
	s_waitcnt lgkmcnt(0)
	v_mul_f32_e32 v7, v2, v6
	v_mul_f32_e32 v6, v8, v6
	v_fma_f32 v7, v8, v5, -v7
	v_fmac_f32_e32 v6, v2, v5
	buffer_store_dword v7, off, s[0:3], 0 offset:112
	buffer_store_dword v6, off, s[0:3], 0 offset:116
.LBB60_71:
	s_or_b32 exec_lo, exec_lo, s4
	s_waitcnt_vscnt null, 0x0
	s_barrier
	buffer_gl0_inv
	s_clause 0x1
	buffer_load_dword v5, off, s[0:3], 0 offset:120
	buffer_load_dword v6, off, s[0:3], 0 offset:124
	s_mov_b32 s4, exec_lo
	s_waitcnt vmcnt(0)
	ds_write_b64 v4, v[5:6]
	s_waitcnt lgkmcnt(0)
	s_barrier
	buffer_gl0_inv
	v_cmpx_gt_u32_e32 15, v0
	s_cbranch_execz .LBB60_75
; %bb.72:
	v_add_nc_u32_e32 v5, -1, v0
	v_add_nc_u32_e32 v6, 0x1f0, v3
	v_mov_b32_e32 v7, v3
	v_mov_b32_e32 v2, 0
	v_mov_b32_e32 v8, 0
	s_mov_b32 s5, 0
	.p2align	6
.LBB60_73:                              ; =>This Inner Loop Header: Depth=1
	s_clause 0x1
	buffer_load_dword v11, v7, s[0:3], 0 offen offset:4
	buffer_load_dword v12, v7, s[0:3], 0 offen
	ds_read_b64 v[9:10], v6
	v_add_nc_u32_e32 v5, 1, v5
	v_add_nc_u32_e32 v6, 8, v6
	;; [unrolled: 1-line block ×3, first 2 shown]
	v_cmp_lt_u32_e32 vcc_lo, 13, v5
	s_or_b32 s5, vcc_lo, s5
	s_waitcnt vmcnt(1) lgkmcnt(0)
	v_mul_f32_e32 v135, v10, v11
	v_mul_f32_e32 v11, v9, v11
	s_waitcnt vmcnt(0)
	v_fma_f32 v9, v9, v12, -v135
	v_fmac_f32_e32 v11, v10, v12
	v_add_f32_e32 v8, v8, v9
	v_add_f32_e32 v2, v2, v11
	s_andn2_b32 exec_lo, exec_lo, s5
	s_cbranch_execnz .LBB60_73
; %bb.74:
	s_or_b32 exec_lo, exec_lo, s5
	v_mov_b32_e32 v5, 0
	ds_read_b64 v[5:6], v5 offset:120
	s_waitcnt lgkmcnt(0)
	v_mul_f32_e32 v7, v2, v6
	v_mul_f32_e32 v6, v8, v6
	v_fma_f32 v7, v8, v5, -v7
	v_fmac_f32_e32 v6, v2, v5
	buffer_store_dword v7, off, s[0:3], 0 offset:120
	buffer_store_dword v6, off, s[0:3], 0 offset:124
.LBB60_75:
	s_or_b32 exec_lo, exec_lo, s4
	s_waitcnt_vscnt null, 0x0
	s_barrier
	buffer_gl0_inv
	s_clause 0x1
	buffer_load_dword v5, off, s[0:3], 0 offset:128
	buffer_load_dword v6, off, s[0:3], 0 offset:132
	s_mov_b32 s4, exec_lo
	s_waitcnt vmcnt(0)
	ds_write_b64 v4, v[5:6]
	s_waitcnt lgkmcnt(0)
	s_barrier
	buffer_gl0_inv
	v_cmpx_gt_u32_e32 16, v0
	s_cbranch_execz .LBB60_79
; %bb.76:
	v_add_nc_u32_e32 v5, -1, v0
	v_add_nc_u32_e32 v6, 0x1f0, v3
	v_mov_b32_e32 v7, v3
	v_mov_b32_e32 v2, 0
	;; [unrolled: 1-line block ×3, first 2 shown]
	s_mov_b32 s5, 0
	.p2align	6
.LBB60_77:                              ; =>This Inner Loop Header: Depth=1
	s_clause 0x1
	buffer_load_dword v11, v7, s[0:3], 0 offen offset:4
	buffer_load_dword v12, v7, s[0:3], 0 offen
	ds_read_b64 v[9:10], v6
	v_add_nc_u32_e32 v5, 1, v5
	v_add_nc_u32_e32 v6, 8, v6
	;; [unrolled: 1-line block ×3, first 2 shown]
	v_cmp_lt_u32_e32 vcc_lo, 14, v5
	s_or_b32 s5, vcc_lo, s5
	s_waitcnt vmcnt(1) lgkmcnt(0)
	v_mul_f32_e32 v135, v10, v11
	v_mul_f32_e32 v11, v9, v11
	s_waitcnt vmcnt(0)
	v_fma_f32 v9, v9, v12, -v135
	v_fmac_f32_e32 v11, v10, v12
	v_add_f32_e32 v8, v8, v9
	v_add_f32_e32 v2, v2, v11
	s_andn2_b32 exec_lo, exec_lo, s5
	s_cbranch_execnz .LBB60_77
; %bb.78:
	s_or_b32 exec_lo, exec_lo, s5
	v_mov_b32_e32 v5, 0
	ds_read_b64 v[5:6], v5 offset:128
	s_waitcnt lgkmcnt(0)
	v_mul_f32_e32 v7, v2, v6
	v_mul_f32_e32 v6, v8, v6
	v_fma_f32 v7, v8, v5, -v7
	v_fmac_f32_e32 v6, v2, v5
	buffer_store_dword v7, off, s[0:3], 0 offset:128
	buffer_store_dword v6, off, s[0:3], 0 offset:132
.LBB60_79:
	s_or_b32 exec_lo, exec_lo, s4
	s_waitcnt_vscnt null, 0x0
	s_barrier
	buffer_gl0_inv
	s_clause 0x1
	buffer_load_dword v5, off, s[0:3], 0 offset:136
	buffer_load_dword v6, off, s[0:3], 0 offset:140
	s_mov_b32 s4, exec_lo
	s_waitcnt vmcnt(0)
	ds_write_b64 v4, v[5:6]
	s_waitcnt lgkmcnt(0)
	s_barrier
	buffer_gl0_inv
	v_cmpx_gt_u32_e32 17, v0
	s_cbranch_execz .LBB60_83
; %bb.80:
	v_add_nc_u32_e32 v5, -1, v0
	v_add_nc_u32_e32 v6, 0x1f0, v3
	v_mov_b32_e32 v7, v3
	v_mov_b32_e32 v2, 0
	;; [unrolled: 1-line block ×3, first 2 shown]
	s_mov_b32 s5, 0
	.p2align	6
.LBB60_81:                              ; =>This Inner Loop Header: Depth=1
	s_clause 0x1
	buffer_load_dword v11, v7, s[0:3], 0 offen offset:4
	buffer_load_dword v12, v7, s[0:3], 0 offen
	ds_read_b64 v[9:10], v6
	v_add_nc_u32_e32 v5, 1, v5
	v_add_nc_u32_e32 v6, 8, v6
	;; [unrolled: 1-line block ×3, first 2 shown]
	v_cmp_lt_u32_e32 vcc_lo, 15, v5
	s_or_b32 s5, vcc_lo, s5
	s_waitcnt vmcnt(1) lgkmcnt(0)
	v_mul_f32_e32 v135, v10, v11
	v_mul_f32_e32 v11, v9, v11
	s_waitcnt vmcnt(0)
	v_fma_f32 v9, v9, v12, -v135
	v_fmac_f32_e32 v11, v10, v12
	v_add_f32_e32 v8, v8, v9
	v_add_f32_e32 v2, v2, v11
	s_andn2_b32 exec_lo, exec_lo, s5
	s_cbranch_execnz .LBB60_81
; %bb.82:
	s_or_b32 exec_lo, exec_lo, s5
	v_mov_b32_e32 v5, 0
	ds_read_b64 v[5:6], v5 offset:136
	s_waitcnt lgkmcnt(0)
	v_mul_f32_e32 v7, v2, v6
	v_mul_f32_e32 v6, v8, v6
	v_fma_f32 v7, v8, v5, -v7
	v_fmac_f32_e32 v6, v2, v5
	buffer_store_dword v7, off, s[0:3], 0 offset:136
	buffer_store_dword v6, off, s[0:3], 0 offset:140
.LBB60_83:
	s_or_b32 exec_lo, exec_lo, s4
	s_waitcnt_vscnt null, 0x0
	s_barrier
	buffer_gl0_inv
	s_clause 0x1
	buffer_load_dword v5, off, s[0:3], 0 offset:144
	buffer_load_dword v6, off, s[0:3], 0 offset:148
	s_mov_b32 s4, exec_lo
	s_waitcnt vmcnt(0)
	ds_write_b64 v4, v[5:6]
	s_waitcnt lgkmcnt(0)
	s_barrier
	buffer_gl0_inv
	v_cmpx_gt_u32_e32 18, v0
	s_cbranch_execz .LBB60_87
; %bb.84:
	v_add_nc_u32_e32 v5, -1, v0
	v_add_nc_u32_e32 v6, 0x1f0, v3
	v_mov_b32_e32 v7, v3
	v_mov_b32_e32 v2, 0
	;; [unrolled: 1-line block ×3, first 2 shown]
	s_mov_b32 s5, 0
	.p2align	6
.LBB60_85:                              ; =>This Inner Loop Header: Depth=1
	s_clause 0x1
	buffer_load_dword v11, v7, s[0:3], 0 offen offset:4
	buffer_load_dword v12, v7, s[0:3], 0 offen
	ds_read_b64 v[9:10], v6
	v_add_nc_u32_e32 v5, 1, v5
	v_add_nc_u32_e32 v6, 8, v6
	v_add_nc_u32_e32 v7, 8, v7
	v_cmp_lt_u32_e32 vcc_lo, 16, v5
	s_or_b32 s5, vcc_lo, s5
	s_waitcnt vmcnt(1) lgkmcnt(0)
	v_mul_f32_e32 v135, v10, v11
	v_mul_f32_e32 v11, v9, v11
	s_waitcnt vmcnt(0)
	v_fma_f32 v9, v9, v12, -v135
	v_fmac_f32_e32 v11, v10, v12
	v_add_f32_e32 v8, v8, v9
	v_add_f32_e32 v2, v2, v11
	s_andn2_b32 exec_lo, exec_lo, s5
	s_cbranch_execnz .LBB60_85
; %bb.86:
	s_or_b32 exec_lo, exec_lo, s5
	v_mov_b32_e32 v5, 0
	ds_read_b64 v[5:6], v5 offset:144
	s_waitcnt lgkmcnt(0)
	v_mul_f32_e32 v7, v2, v6
	v_mul_f32_e32 v6, v8, v6
	v_fma_f32 v7, v8, v5, -v7
	v_fmac_f32_e32 v6, v2, v5
	buffer_store_dword v7, off, s[0:3], 0 offset:144
	buffer_store_dword v6, off, s[0:3], 0 offset:148
.LBB60_87:
	s_or_b32 exec_lo, exec_lo, s4
	s_waitcnt_vscnt null, 0x0
	s_barrier
	buffer_gl0_inv
	s_clause 0x1
	buffer_load_dword v5, off, s[0:3], 0 offset:152
	buffer_load_dword v6, off, s[0:3], 0 offset:156
	s_mov_b32 s4, exec_lo
	s_waitcnt vmcnt(0)
	ds_write_b64 v4, v[5:6]
	s_waitcnt lgkmcnt(0)
	s_barrier
	buffer_gl0_inv
	v_cmpx_gt_u32_e32 19, v0
	s_cbranch_execz .LBB60_91
; %bb.88:
	v_add_nc_u32_e32 v5, -1, v0
	v_add_nc_u32_e32 v6, 0x1f0, v3
	v_mov_b32_e32 v7, v3
	v_mov_b32_e32 v2, 0
	;; [unrolled: 1-line block ×3, first 2 shown]
	s_mov_b32 s5, 0
	.p2align	6
.LBB60_89:                              ; =>This Inner Loop Header: Depth=1
	s_clause 0x1
	buffer_load_dword v11, v7, s[0:3], 0 offen offset:4
	buffer_load_dword v12, v7, s[0:3], 0 offen
	ds_read_b64 v[9:10], v6
	v_add_nc_u32_e32 v5, 1, v5
	v_add_nc_u32_e32 v6, 8, v6
	;; [unrolled: 1-line block ×3, first 2 shown]
	v_cmp_lt_u32_e32 vcc_lo, 17, v5
	s_or_b32 s5, vcc_lo, s5
	s_waitcnt vmcnt(1) lgkmcnt(0)
	v_mul_f32_e32 v135, v10, v11
	v_mul_f32_e32 v11, v9, v11
	s_waitcnt vmcnt(0)
	v_fma_f32 v9, v9, v12, -v135
	v_fmac_f32_e32 v11, v10, v12
	v_add_f32_e32 v8, v8, v9
	v_add_f32_e32 v2, v2, v11
	s_andn2_b32 exec_lo, exec_lo, s5
	s_cbranch_execnz .LBB60_89
; %bb.90:
	s_or_b32 exec_lo, exec_lo, s5
	v_mov_b32_e32 v5, 0
	ds_read_b64 v[5:6], v5 offset:152
	s_waitcnt lgkmcnt(0)
	v_mul_f32_e32 v7, v2, v6
	v_mul_f32_e32 v6, v8, v6
	v_fma_f32 v7, v8, v5, -v7
	v_fmac_f32_e32 v6, v2, v5
	buffer_store_dword v7, off, s[0:3], 0 offset:152
	buffer_store_dword v6, off, s[0:3], 0 offset:156
.LBB60_91:
	s_or_b32 exec_lo, exec_lo, s4
	s_waitcnt_vscnt null, 0x0
	s_barrier
	buffer_gl0_inv
	s_clause 0x1
	buffer_load_dword v5, off, s[0:3], 0 offset:160
	buffer_load_dword v6, off, s[0:3], 0 offset:164
	s_mov_b32 s4, exec_lo
	s_waitcnt vmcnt(0)
	ds_write_b64 v4, v[5:6]
	s_waitcnt lgkmcnt(0)
	s_barrier
	buffer_gl0_inv
	v_cmpx_gt_u32_e32 20, v0
	s_cbranch_execz .LBB60_95
; %bb.92:
	v_add_nc_u32_e32 v5, -1, v0
	v_add_nc_u32_e32 v6, 0x1f0, v3
	v_mov_b32_e32 v7, v3
	v_mov_b32_e32 v2, 0
	;; [unrolled: 1-line block ×3, first 2 shown]
	s_mov_b32 s5, 0
	.p2align	6
.LBB60_93:                              ; =>This Inner Loop Header: Depth=1
	s_clause 0x1
	buffer_load_dword v11, v7, s[0:3], 0 offen offset:4
	buffer_load_dword v12, v7, s[0:3], 0 offen
	ds_read_b64 v[9:10], v6
	v_add_nc_u32_e32 v5, 1, v5
	v_add_nc_u32_e32 v6, 8, v6
	;; [unrolled: 1-line block ×3, first 2 shown]
	v_cmp_lt_u32_e32 vcc_lo, 18, v5
	s_or_b32 s5, vcc_lo, s5
	s_waitcnt vmcnt(1) lgkmcnt(0)
	v_mul_f32_e32 v135, v10, v11
	v_mul_f32_e32 v11, v9, v11
	s_waitcnt vmcnt(0)
	v_fma_f32 v9, v9, v12, -v135
	v_fmac_f32_e32 v11, v10, v12
	v_add_f32_e32 v8, v8, v9
	v_add_f32_e32 v2, v2, v11
	s_andn2_b32 exec_lo, exec_lo, s5
	s_cbranch_execnz .LBB60_93
; %bb.94:
	s_or_b32 exec_lo, exec_lo, s5
	v_mov_b32_e32 v5, 0
	ds_read_b64 v[5:6], v5 offset:160
	s_waitcnt lgkmcnt(0)
	v_mul_f32_e32 v7, v2, v6
	v_mul_f32_e32 v6, v8, v6
	v_fma_f32 v7, v8, v5, -v7
	v_fmac_f32_e32 v6, v2, v5
	buffer_store_dword v7, off, s[0:3], 0 offset:160
	buffer_store_dword v6, off, s[0:3], 0 offset:164
.LBB60_95:
	s_or_b32 exec_lo, exec_lo, s4
	s_waitcnt_vscnt null, 0x0
	s_barrier
	buffer_gl0_inv
	s_clause 0x1
	buffer_load_dword v5, off, s[0:3], 0 offset:168
	buffer_load_dword v6, off, s[0:3], 0 offset:172
	s_mov_b32 s4, exec_lo
	s_waitcnt vmcnt(0)
	ds_write_b64 v4, v[5:6]
	s_waitcnt lgkmcnt(0)
	s_barrier
	buffer_gl0_inv
	v_cmpx_gt_u32_e32 21, v0
	s_cbranch_execz .LBB60_99
; %bb.96:
	v_add_nc_u32_e32 v5, -1, v0
	v_add_nc_u32_e32 v6, 0x1f0, v3
	v_mov_b32_e32 v7, v3
	v_mov_b32_e32 v2, 0
	;; [unrolled: 1-line block ×3, first 2 shown]
	s_mov_b32 s5, 0
	.p2align	6
.LBB60_97:                              ; =>This Inner Loop Header: Depth=1
	s_clause 0x1
	buffer_load_dword v11, v7, s[0:3], 0 offen offset:4
	buffer_load_dword v12, v7, s[0:3], 0 offen
	ds_read_b64 v[9:10], v6
	v_add_nc_u32_e32 v5, 1, v5
	v_add_nc_u32_e32 v6, 8, v6
	;; [unrolled: 1-line block ×3, first 2 shown]
	v_cmp_lt_u32_e32 vcc_lo, 19, v5
	s_or_b32 s5, vcc_lo, s5
	s_waitcnt vmcnt(1) lgkmcnt(0)
	v_mul_f32_e32 v135, v10, v11
	v_mul_f32_e32 v11, v9, v11
	s_waitcnt vmcnt(0)
	v_fma_f32 v9, v9, v12, -v135
	v_fmac_f32_e32 v11, v10, v12
	v_add_f32_e32 v8, v8, v9
	v_add_f32_e32 v2, v2, v11
	s_andn2_b32 exec_lo, exec_lo, s5
	s_cbranch_execnz .LBB60_97
; %bb.98:
	s_or_b32 exec_lo, exec_lo, s5
	v_mov_b32_e32 v5, 0
	ds_read_b64 v[5:6], v5 offset:168
	s_waitcnt lgkmcnt(0)
	v_mul_f32_e32 v7, v2, v6
	v_mul_f32_e32 v6, v8, v6
	v_fma_f32 v7, v8, v5, -v7
	v_fmac_f32_e32 v6, v2, v5
	buffer_store_dword v7, off, s[0:3], 0 offset:168
	buffer_store_dword v6, off, s[0:3], 0 offset:172
.LBB60_99:
	s_or_b32 exec_lo, exec_lo, s4
	s_waitcnt_vscnt null, 0x0
	s_barrier
	buffer_gl0_inv
	s_clause 0x1
	buffer_load_dword v5, off, s[0:3], 0 offset:176
	buffer_load_dword v6, off, s[0:3], 0 offset:180
	s_mov_b32 s4, exec_lo
	s_waitcnt vmcnt(0)
	ds_write_b64 v4, v[5:6]
	s_waitcnt lgkmcnt(0)
	s_barrier
	buffer_gl0_inv
	v_cmpx_gt_u32_e32 22, v0
	s_cbranch_execz .LBB60_103
; %bb.100:
	v_add_nc_u32_e32 v5, -1, v0
	v_add_nc_u32_e32 v6, 0x1f0, v3
	v_mov_b32_e32 v7, v3
	v_mov_b32_e32 v2, 0
	;; [unrolled: 1-line block ×3, first 2 shown]
	s_mov_b32 s5, 0
	.p2align	6
.LBB60_101:                             ; =>This Inner Loop Header: Depth=1
	s_clause 0x1
	buffer_load_dword v11, v7, s[0:3], 0 offen offset:4
	buffer_load_dword v12, v7, s[0:3], 0 offen
	ds_read_b64 v[9:10], v6
	v_add_nc_u32_e32 v5, 1, v5
	v_add_nc_u32_e32 v6, 8, v6
	;; [unrolled: 1-line block ×3, first 2 shown]
	v_cmp_lt_u32_e32 vcc_lo, 20, v5
	s_or_b32 s5, vcc_lo, s5
	s_waitcnt vmcnt(1) lgkmcnt(0)
	v_mul_f32_e32 v135, v10, v11
	v_mul_f32_e32 v11, v9, v11
	s_waitcnt vmcnt(0)
	v_fma_f32 v9, v9, v12, -v135
	v_fmac_f32_e32 v11, v10, v12
	v_add_f32_e32 v8, v8, v9
	v_add_f32_e32 v2, v2, v11
	s_andn2_b32 exec_lo, exec_lo, s5
	s_cbranch_execnz .LBB60_101
; %bb.102:
	s_or_b32 exec_lo, exec_lo, s5
	v_mov_b32_e32 v5, 0
	ds_read_b64 v[5:6], v5 offset:176
	s_waitcnt lgkmcnt(0)
	v_mul_f32_e32 v7, v2, v6
	v_mul_f32_e32 v6, v8, v6
	v_fma_f32 v7, v8, v5, -v7
	v_fmac_f32_e32 v6, v2, v5
	buffer_store_dword v7, off, s[0:3], 0 offset:176
	buffer_store_dword v6, off, s[0:3], 0 offset:180
.LBB60_103:
	s_or_b32 exec_lo, exec_lo, s4
	s_waitcnt_vscnt null, 0x0
	s_barrier
	buffer_gl0_inv
	s_clause 0x1
	buffer_load_dword v5, off, s[0:3], 0 offset:184
	buffer_load_dword v6, off, s[0:3], 0 offset:188
	s_mov_b32 s4, exec_lo
	s_waitcnt vmcnt(0)
	ds_write_b64 v4, v[5:6]
	s_waitcnt lgkmcnt(0)
	s_barrier
	buffer_gl0_inv
	v_cmpx_gt_u32_e32 23, v0
	s_cbranch_execz .LBB60_107
; %bb.104:
	v_add_nc_u32_e32 v5, -1, v0
	v_add_nc_u32_e32 v6, 0x1f0, v3
	v_mov_b32_e32 v7, v3
	v_mov_b32_e32 v2, 0
	;; [unrolled: 1-line block ×3, first 2 shown]
	s_mov_b32 s5, 0
	.p2align	6
.LBB60_105:                             ; =>This Inner Loop Header: Depth=1
	s_clause 0x1
	buffer_load_dword v11, v7, s[0:3], 0 offen offset:4
	buffer_load_dword v12, v7, s[0:3], 0 offen
	ds_read_b64 v[9:10], v6
	v_add_nc_u32_e32 v5, 1, v5
	v_add_nc_u32_e32 v6, 8, v6
	v_add_nc_u32_e32 v7, 8, v7
	v_cmp_lt_u32_e32 vcc_lo, 21, v5
	s_or_b32 s5, vcc_lo, s5
	s_waitcnt vmcnt(1) lgkmcnt(0)
	v_mul_f32_e32 v135, v10, v11
	v_mul_f32_e32 v11, v9, v11
	s_waitcnt vmcnt(0)
	v_fma_f32 v9, v9, v12, -v135
	v_fmac_f32_e32 v11, v10, v12
	v_add_f32_e32 v8, v8, v9
	v_add_f32_e32 v2, v2, v11
	s_andn2_b32 exec_lo, exec_lo, s5
	s_cbranch_execnz .LBB60_105
; %bb.106:
	s_or_b32 exec_lo, exec_lo, s5
	v_mov_b32_e32 v5, 0
	ds_read_b64 v[5:6], v5 offset:184
	s_waitcnt lgkmcnt(0)
	v_mul_f32_e32 v7, v2, v6
	v_mul_f32_e32 v6, v8, v6
	v_fma_f32 v7, v8, v5, -v7
	v_fmac_f32_e32 v6, v2, v5
	buffer_store_dword v7, off, s[0:3], 0 offset:184
	buffer_store_dword v6, off, s[0:3], 0 offset:188
.LBB60_107:
	s_or_b32 exec_lo, exec_lo, s4
	s_waitcnt_vscnt null, 0x0
	s_barrier
	buffer_gl0_inv
	s_clause 0x1
	buffer_load_dword v5, off, s[0:3], 0 offset:192
	buffer_load_dword v6, off, s[0:3], 0 offset:196
	s_mov_b32 s4, exec_lo
	s_waitcnt vmcnt(0)
	ds_write_b64 v4, v[5:6]
	s_waitcnt lgkmcnt(0)
	s_barrier
	buffer_gl0_inv
	v_cmpx_gt_u32_e32 24, v0
	s_cbranch_execz .LBB60_111
; %bb.108:
	v_add_nc_u32_e32 v5, -1, v0
	v_add_nc_u32_e32 v6, 0x1f0, v3
	v_mov_b32_e32 v7, v3
	v_mov_b32_e32 v2, 0
	;; [unrolled: 1-line block ×3, first 2 shown]
	s_mov_b32 s5, 0
	.p2align	6
.LBB60_109:                             ; =>This Inner Loop Header: Depth=1
	s_clause 0x1
	buffer_load_dword v11, v7, s[0:3], 0 offen offset:4
	buffer_load_dword v12, v7, s[0:3], 0 offen
	ds_read_b64 v[9:10], v6
	v_add_nc_u32_e32 v5, 1, v5
	v_add_nc_u32_e32 v6, 8, v6
	v_add_nc_u32_e32 v7, 8, v7
	v_cmp_lt_u32_e32 vcc_lo, 22, v5
	s_or_b32 s5, vcc_lo, s5
	s_waitcnt vmcnt(1) lgkmcnt(0)
	v_mul_f32_e32 v135, v10, v11
	v_mul_f32_e32 v11, v9, v11
	s_waitcnt vmcnt(0)
	v_fma_f32 v9, v9, v12, -v135
	v_fmac_f32_e32 v11, v10, v12
	v_add_f32_e32 v8, v8, v9
	v_add_f32_e32 v2, v2, v11
	s_andn2_b32 exec_lo, exec_lo, s5
	s_cbranch_execnz .LBB60_109
; %bb.110:
	s_or_b32 exec_lo, exec_lo, s5
	v_mov_b32_e32 v5, 0
	ds_read_b64 v[5:6], v5 offset:192
	s_waitcnt lgkmcnt(0)
	v_mul_f32_e32 v7, v2, v6
	v_mul_f32_e32 v6, v8, v6
	v_fma_f32 v7, v8, v5, -v7
	v_fmac_f32_e32 v6, v2, v5
	buffer_store_dword v7, off, s[0:3], 0 offset:192
	buffer_store_dword v6, off, s[0:3], 0 offset:196
.LBB60_111:
	s_or_b32 exec_lo, exec_lo, s4
	s_waitcnt_vscnt null, 0x0
	s_barrier
	buffer_gl0_inv
	s_clause 0x1
	buffer_load_dword v5, off, s[0:3], 0 offset:200
	buffer_load_dword v6, off, s[0:3], 0 offset:204
	s_mov_b32 s4, exec_lo
	s_waitcnt vmcnt(0)
	ds_write_b64 v4, v[5:6]
	s_waitcnt lgkmcnt(0)
	s_barrier
	buffer_gl0_inv
	v_cmpx_gt_u32_e32 25, v0
	s_cbranch_execz .LBB60_115
; %bb.112:
	v_add_nc_u32_e32 v5, -1, v0
	v_add_nc_u32_e32 v6, 0x1f0, v3
	v_mov_b32_e32 v7, v3
	v_mov_b32_e32 v2, 0
	;; [unrolled: 1-line block ×3, first 2 shown]
	s_mov_b32 s5, 0
	.p2align	6
.LBB60_113:                             ; =>This Inner Loop Header: Depth=1
	s_clause 0x1
	buffer_load_dword v11, v7, s[0:3], 0 offen offset:4
	buffer_load_dword v12, v7, s[0:3], 0 offen
	ds_read_b64 v[9:10], v6
	v_add_nc_u32_e32 v5, 1, v5
	v_add_nc_u32_e32 v6, 8, v6
	;; [unrolled: 1-line block ×3, first 2 shown]
	v_cmp_lt_u32_e32 vcc_lo, 23, v5
	s_or_b32 s5, vcc_lo, s5
	s_waitcnt vmcnt(1) lgkmcnt(0)
	v_mul_f32_e32 v135, v10, v11
	v_mul_f32_e32 v11, v9, v11
	s_waitcnt vmcnt(0)
	v_fma_f32 v9, v9, v12, -v135
	v_fmac_f32_e32 v11, v10, v12
	v_add_f32_e32 v8, v8, v9
	v_add_f32_e32 v2, v2, v11
	s_andn2_b32 exec_lo, exec_lo, s5
	s_cbranch_execnz .LBB60_113
; %bb.114:
	s_or_b32 exec_lo, exec_lo, s5
	v_mov_b32_e32 v5, 0
	ds_read_b64 v[5:6], v5 offset:200
	s_waitcnt lgkmcnt(0)
	v_mul_f32_e32 v7, v2, v6
	v_mul_f32_e32 v6, v8, v6
	v_fma_f32 v7, v8, v5, -v7
	v_fmac_f32_e32 v6, v2, v5
	buffer_store_dword v7, off, s[0:3], 0 offset:200
	buffer_store_dword v6, off, s[0:3], 0 offset:204
.LBB60_115:
	s_or_b32 exec_lo, exec_lo, s4
	s_waitcnt_vscnt null, 0x0
	s_barrier
	buffer_gl0_inv
	s_clause 0x1
	buffer_load_dword v5, off, s[0:3], 0 offset:208
	buffer_load_dword v6, off, s[0:3], 0 offset:212
	s_mov_b32 s4, exec_lo
	s_waitcnt vmcnt(0)
	ds_write_b64 v4, v[5:6]
	s_waitcnt lgkmcnt(0)
	s_barrier
	buffer_gl0_inv
	v_cmpx_gt_u32_e32 26, v0
	s_cbranch_execz .LBB60_119
; %bb.116:
	v_add_nc_u32_e32 v5, -1, v0
	v_add_nc_u32_e32 v6, 0x1f0, v3
	v_mov_b32_e32 v7, v3
	v_mov_b32_e32 v2, 0
	v_mov_b32_e32 v8, 0
	s_mov_b32 s5, 0
	.p2align	6
.LBB60_117:                             ; =>This Inner Loop Header: Depth=1
	s_clause 0x1
	buffer_load_dword v11, v7, s[0:3], 0 offen offset:4
	buffer_load_dword v12, v7, s[0:3], 0 offen
	ds_read_b64 v[9:10], v6
	v_add_nc_u32_e32 v5, 1, v5
	v_add_nc_u32_e32 v6, 8, v6
	;; [unrolled: 1-line block ×3, first 2 shown]
	v_cmp_lt_u32_e32 vcc_lo, 24, v5
	s_or_b32 s5, vcc_lo, s5
	s_waitcnt vmcnt(1) lgkmcnt(0)
	v_mul_f32_e32 v135, v10, v11
	v_mul_f32_e32 v11, v9, v11
	s_waitcnt vmcnt(0)
	v_fma_f32 v9, v9, v12, -v135
	v_fmac_f32_e32 v11, v10, v12
	v_add_f32_e32 v8, v8, v9
	v_add_f32_e32 v2, v2, v11
	s_andn2_b32 exec_lo, exec_lo, s5
	s_cbranch_execnz .LBB60_117
; %bb.118:
	s_or_b32 exec_lo, exec_lo, s5
	v_mov_b32_e32 v5, 0
	ds_read_b64 v[5:6], v5 offset:208
	s_waitcnt lgkmcnt(0)
	v_mul_f32_e32 v7, v2, v6
	v_mul_f32_e32 v6, v8, v6
	v_fma_f32 v7, v8, v5, -v7
	v_fmac_f32_e32 v6, v2, v5
	buffer_store_dword v7, off, s[0:3], 0 offset:208
	buffer_store_dword v6, off, s[0:3], 0 offset:212
.LBB60_119:
	s_or_b32 exec_lo, exec_lo, s4
	s_waitcnt_vscnt null, 0x0
	s_barrier
	buffer_gl0_inv
	s_clause 0x1
	buffer_load_dword v5, off, s[0:3], 0 offset:216
	buffer_load_dword v6, off, s[0:3], 0 offset:220
	s_mov_b32 s4, exec_lo
	s_waitcnt vmcnt(0)
	ds_write_b64 v4, v[5:6]
	s_waitcnt lgkmcnt(0)
	s_barrier
	buffer_gl0_inv
	v_cmpx_gt_u32_e32 27, v0
	s_cbranch_execz .LBB60_123
; %bb.120:
	v_add_nc_u32_e32 v5, -1, v0
	v_add_nc_u32_e32 v6, 0x1f0, v3
	v_mov_b32_e32 v7, v3
	v_mov_b32_e32 v2, 0
	;; [unrolled: 1-line block ×3, first 2 shown]
	s_mov_b32 s5, 0
	.p2align	6
.LBB60_121:                             ; =>This Inner Loop Header: Depth=1
	s_clause 0x1
	buffer_load_dword v11, v7, s[0:3], 0 offen offset:4
	buffer_load_dword v12, v7, s[0:3], 0 offen
	ds_read_b64 v[9:10], v6
	v_add_nc_u32_e32 v5, 1, v5
	v_add_nc_u32_e32 v6, 8, v6
	;; [unrolled: 1-line block ×3, first 2 shown]
	v_cmp_lt_u32_e32 vcc_lo, 25, v5
	s_or_b32 s5, vcc_lo, s5
	s_waitcnt vmcnt(1) lgkmcnt(0)
	v_mul_f32_e32 v135, v10, v11
	v_mul_f32_e32 v11, v9, v11
	s_waitcnt vmcnt(0)
	v_fma_f32 v9, v9, v12, -v135
	v_fmac_f32_e32 v11, v10, v12
	v_add_f32_e32 v8, v8, v9
	v_add_f32_e32 v2, v2, v11
	s_andn2_b32 exec_lo, exec_lo, s5
	s_cbranch_execnz .LBB60_121
; %bb.122:
	s_or_b32 exec_lo, exec_lo, s5
	v_mov_b32_e32 v5, 0
	ds_read_b64 v[5:6], v5 offset:216
	s_waitcnt lgkmcnt(0)
	v_mul_f32_e32 v7, v2, v6
	v_mul_f32_e32 v6, v8, v6
	v_fma_f32 v7, v8, v5, -v7
	v_fmac_f32_e32 v6, v2, v5
	buffer_store_dword v7, off, s[0:3], 0 offset:216
	buffer_store_dword v6, off, s[0:3], 0 offset:220
.LBB60_123:
	s_or_b32 exec_lo, exec_lo, s4
	s_waitcnt_vscnt null, 0x0
	s_barrier
	buffer_gl0_inv
	s_clause 0x1
	buffer_load_dword v5, off, s[0:3], 0 offset:224
	buffer_load_dword v6, off, s[0:3], 0 offset:228
	s_mov_b32 s4, exec_lo
	s_waitcnt vmcnt(0)
	ds_write_b64 v4, v[5:6]
	s_waitcnt lgkmcnt(0)
	s_barrier
	buffer_gl0_inv
	v_cmpx_gt_u32_e32 28, v0
	s_cbranch_execz .LBB60_127
; %bb.124:
	v_add_nc_u32_e32 v5, -1, v0
	v_add_nc_u32_e32 v6, 0x1f0, v3
	v_mov_b32_e32 v7, v3
	v_mov_b32_e32 v2, 0
	v_mov_b32_e32 v8, 0
	s_mov_b32 s5, 0
	.p2align	6
.LBB60_125:                             ; =>This Inner Loop Header: Depth=1
	s_clause 0x1
	buffer_load_dword v11, v7, s[0:3], 0 offen offset:4
	buffer_load_dword v12, v7, s[0:3], 0 offen
	ds_read_b64 v[9:10], v6
	v_add_nc_u32_e32 v5, 1, v5
	v_add_nc_u32_e32 v6, 8, v6
	;; [unrolled: 1-line block ×3, first 2 shown]
	v_cmp_lt_u32_e32 vcc_lo, 26, v5
	s_or_b32 s5, vcc_lo, s5
	s_waitcnt vmcnt(1) lgkmcnt(0)
	v_mul_f32_e32 v135, v10, v11
	v_mul_f32_e32 v11, v9, v11
	s_waitcnt vmcnt(0)
	v_fma_f32 v9, v9, v12, -v135
	v_fmac_f32_e32 v11, v10, v12
	v_add_f32_e32 v8, v8, v9
	v_add_f32_e32 v2, v2, v11
	s_andn2_b32 exec_lo, exec_lo, s5
	s_cbranch_execnz .LBB60_125
; %bb.126:
	s_or_b32 exec_lo, exec_lo, s5
	v_mov_b32_e32 v5, 0
	ds_read_b64 v[5:6], v5 offset:224
	s_waitcnt lgkmcnt(0)
	v_mul_f32_e32 v7, v2, v6
	v_mul_f32_e32 v6, v8, v6
	v_fma_f32 v7, v8, v5, -v7
	v_fmac_f32_e32 v6, v2, v5
	buffer_store_dword v7, off, s[0:3], 0 offset:224
	buffer_store_dword v6, off, s[0:3], 0 offset:228
.LBB60_127:
	s_or_b32 exec_lo, exec_lo, s4
	s_waitcnt_vscnt null, 0x0
	s_barrier
	buffer_gl0_inv
	s_clause 0x1
	buffer_load_dword v5, off, s[0:3], 0 offset:232
	buffer_load_dword v6, off, s[0:3], 0 offset:236
	s_mov_b32 s4, exec_lo
	s_waitcnt vmcnt(0)
	ds_write_b64 v4, v[5:6]
	s_waitcnt lgkmcnt(0)
	s_barrier
	buffer_gl0_inv
	v_cmpx_gt_u32_e32 29, v0
	s_cbranch_execz .LBB60_131
; %bb.128:
	v_add_nc_u32_e32 v5, -1, v0
	v_add_nc_u32_e32 v6, 0x1f0, v3
	v_mov_b32_e32 v7, v3
	v_mov_b32_e32 v2, 0
	;; [unrolled: 1-line block ×3, first 2 shown]
	s_mov_b32 s5, 0
	.p2align	6
.LBB60_129:                             ; =>This Inner Loop Header: Depth=1
	s_clause 0x1
	buffer_load_dword v11, v7, s[0:3], 0 offen offset:4
	buffer_load_dword v12, v7, s[0:3], 0 offen
	ds_read_b64 v[9:10], v6
	v_add_nc_u32_e32 v5, 1, v5
	v_add_nc_u32_e32 v6, 8, v6
	;; [unrolled: 1-line block ×3, first 2 shown]
	v_cmp_lt_u32_e32 vcc_lo, 27, v5
	s_or_b32 s5, vcc_lo, s5
	s_waitcnt vmcnt(1) lgkmcnt(0)
	v_mul_f32_e32 v135, v10, v11
	v_mul_f32_e32 v11, v9, v11
	s_waitcnt vmcnt(0)
	v_fma_f32 v9, v9, v12, -v135
	v_fmac_f32_e32 v11, v10, v12
	v_add_f32_e32 v8, v8, v9
	v_add_f32_e32 v2, v2, v11
	s_andn2_b32 exec_lo, exec_lo, s5
	s_cbranch_execnz .LBB60_129
; %bb.130:
	s_or_b32 exec_lo, exec_lo, s5
	v_mov_b32_e32 v5, 0
	ds_read_b64 v[5:6], v5 offset:232
	s_waitcnt lgkmcnt(0)
	v_mul_f32_e32 v7, v2, v6
	v_mul_f32_e32 v6, v8, v6
	v_fma_f32 v7, v8, v5, -v7
	v_fmac_f32_e32 v6, v2, v5
	buffer_store_dword v7, off, s[0:3], 0 offset:232
	buffer_store_dword v6, off, s[0:3], 0 offset:236
.LBB60_131:
	s_or_b32 exec_lo, exec_lo, s4
	s_waitcnt_vscnt null, 0x0
	s_barrier
	buffer_gl0_inv
	s_clause 0x1
	buffer_load_dword v5, off, s[0:3], 0 offset:240
	buffer_load_dword v6, off, s[0:3], 0 offset:244
	s_mov_b32 s4, exec_lo
	s_waitcnt vmcnt(0)
	ds_write_b64 v4, v[5:6]
	s_waitcnt lgkmcnt(0)
	s_barrier
	buffer_gl0_inv
	v_cmpx_gt_u32_e32 30, v0
	s_cbranch_execz .LBB60_135
; %bb.132:
	v_add_nc_u32_e32 v5, -1, v0
	v_add_nc_u32_e32 v6, 0x1f0, v3
	v_mov_b32_e32 v7, v3
	v_mov_b32_e32 v2, 0
	;; [unrolled: 1-line block ×3, first 2 shown]
	s_mov_b32 s5, 0
	.p2align	6
.LBB60_133:                             ; =>This Inner Loop Header: Depth=1
	s_clause 0x1
	buffer_load_dword v11, v7, s[0:3], 0 offen offset:4
	buffer_load_dword v12, v7, s[0:3], 0 offen
	ds_read_b64 v[9:10], v6
	v_add_nc_u32_e32 v5, 1, v5
	v_add_nc_u32_e32 v6, 8, v6
	;; [unrolled: 1-line block ×3, first 2 shown]
	v_cmp_lt_u32_e32 vcc_lo, 28, v5
	s_or_b32 s5, vcc_lo, s5
	s_waitcnt vmcnt(1) lgkmcnt(0)
	v_mul_f32_e32 v135, v10, v11
	v_mul_f32_e32 v11, v9, v11
	s_waitcnt vmcnt(0)
	v_fma_f32 v9, v9, v12, -v135
	v_fmac_f32_e32 v11, v10, v12
	v_add_f32_e32 v8, v8, v9
	v_add_f32_e32 v2, v2, v11
	s_andn2_b32 exec_lo, exec_lo, s5
	s_cbranch_execnz .LBB60_133
; %bb.134:
	s_or_b32 exec_lo, exec_lo, s5
	v_mov_b32_e32 v5, 0
	ds_read_b64 v[5:6], v5 offset:240
	s_waitcnt lgkmcnt(0)
	v_mul_f32_e32 v7, v2, v6
	v_mul_f32_e32 v6, v8, v6
	v_fma_f32 v7, v8, v5, -v7
	v_fmac_f32_e32 v6, v2, v5
	buffer_store_dword v7, off, s[0:3], 0 offset:240
	buffer_store_dword v6, off, s[0:3], 0 offset:244
.LBB60_135:
	s_or_b32 exec_lo, exec_lo, s4
	s_waitcnt_vscnt null, 0x0
	s_barrier
	buffer_gl0_inv
	s_clause 0x1
	buffer_load_dword v5, off, s[0:3], 0 offset:248
	buffer_load_dword v6, off, s[0:3], 0 offset:252
	s_mov_b32 s4, exec_lo
	s_waitcnt vmcnt(0)
	ds_write_b64 v4, v[5:6]
	s_waitcnt lgkmcnt(0)
	s_barrier
	buffer_gl0_inv
	v_cmpx_gt_u32_e32 31, v0
	s_cbranch_execz .LBB60_139
; %bb.136:
	v_add_nc_u32_e32 v5, -1, v0
	v_add_nc_u32_e32 v6, 0x1f0, v3
	v_mov_b32_e32 v7, v3
	v_mov_b32_e32 v2, 0
	;; [unrolled: 1-line block ×3, first 2 shown]
	s_mov_b32 s5, 0
	.p2align	6
.LBB60_137:                             ; =>This Inner Loop Header: Depth=1
	s_clause 0x1
	buffer_load_dword v11, v7, s[0:3], 0 offen offset:4
	buffer_load_dword v12, v7, s[0:3], 0 offen
	ds_read_b64 v[9:10], v6
	v_add_nc_u32_e32 v5, 1, v5
	v_add_nc_u32_e32 v6, 8, v6
	;; [unrolled: 1-line block ×3, first 2 shown]
	v_cmp_lt_u32_e32 vcc_lo, 29, v5
	s_or_b32 s5, vcc_lo, s5
	s_waitcnt vmcnt(1) lgkmcnt(0)
	v_mul_f32_e32 v135, v10, v11
	v_mul_f32_e32 v11, v9, v11
	s_waitcnt vmcnt(0)
	v_fma_f32 v9, v9, v12, -v135
	v_fmac_f32_e32 v11, v10, v12
	v_add_f32_e32 v8, v8, v9
	v_add_f32_e32 v2, v2, v11
	s_andn2_b32 exec_lo, exec_lo, s5
	s_cbranch_execnz .LBB60_137
; %bb.138:
	s_or_b32 exec_lo, exec_lo, s5
	v_mov_b32_e32 v5, 0
	ds_read_b64 v[5:6], v5 offset:248
	s_waitcnt lgkmcnt(0)
	v_mul_f32_e32 v7, v2, v6
	v_mul_f32_e32 v6, v8, v6
	v_fma_f32 v7, v8, v5, -v7
	v_fmac_f32_e32 v6, v2, v5
	buffer_store_dword v7, off, s[0:3], 0 offset:248
	buffer_store_dword v6, off, s[0:3], 0 offset:252
.LBB60_139:
	s_or_b32 exec_lo, exec_lo, s4
	s_waitcnt_vscnt null, 0x0
	s_barrier
	buffer_gl0_inv
	s_clause 0x1
	buffer_load_dword v5, off, s[0:3], 0 offset:256
	buffer_load_dword v6, off, s[0:3], 0 offset:260
	s_mov_b32 s4, exec_lo
	s_waitcnt vmcnt(0)
	ds_write_b64 v4, v[5:6]
	s_waitcnt lgkmcnt(0)
	s_barrier
	buffer_gl0_inv
	v_cmpx_gt_u32_e32 32, v0
	s_cbranch_execz .LBB60_143
; %bb.140:
	v_add_nc_u32_e32 v5, -1, v0
	v_add_nc_u32_e32 v6, 0x1f0, v3
	v_mov_b32_e32 v7, v3
	v_mov_b32_e32 v2, 0
	;; [unrolled: 1-line block ×3, first 2 shown]
	s_mov_b32 s5, 0
	.p2align	6
.LBB60_141:                             ; =>This Inner Loop Header: Depth=1
	s_clause 0x1
	buffer_load_dword v11, v7, s[0:3], 0 offen offset:4
	buffer_load_dword v12, v7, s[0:3], 0 offen
	ds_read_b64 v[9:10], v6
	v_add_nc_u32_e32 v5, 1, v5
	v_add_nc_u32_e32 v6, 8, v6
	;; [unrolled: 1-line block ×3, first 2 shown]
	v_cmp_lt_u32_e32 vcc_lo, 30, v5
	s_or_b32 s5, vcc_lo, s5
	s_waitcnt vmcnt(1) lgkmcnt(0)
	v_mul_f32_e32 v135, v10, v11
	v_mul_f32_e32 v11, v9, v11
	s_waitcnt vmcnt(0)
	v_fma_f32 v9, v9, v12, -v135
	v_fmac_f32_e32 v11, v10, v12
	v_add_f32_e32 v8, v8, v9
	v_add_f32_e32 v2, v2, v11
	s_andn2_b32 exec_lo, exec_lo, s5
	s_cbranch_execnz .LBB60_141
; %bb.142:
	s_or_b32 exec_lo, exec_lo, s5
	v_mov_b32_e32 v5, 0
	ds_read_b64 v[5:6], v5 offset:256
	s_waitcnt lgkmcnt(0)
	v_mul_f32_e32 v7, v2, v6
	v_mul_f32_e32 v6, v8, v6
	v_fma_f32 v7, v8, v5, -v7
	v_fmac_f32_e32 v6, v2, v5
	buffer_store_dword v7, off, s[0:3], 0 offset:256
	buffer_store_dword v6, off, s[0:3], 0 offset:260
.LBB60_143:
	s_or_b32 exec_lo, exec_lo, s4
	s_waitcnt_vscnt null, 0x0
	s_barrier
	buffer_gl0_inv
	s_clause 0x1
	buffer_load_dword v5, off, s[0:3], 0 offset:264
	buffer_load_dword v6, off, s[0:3], 0 offset:268
	s_mov_b32 s4, exec_lo
	s_waitcnt vmcnt(0)
	ds_write_b64 v4, v[5:6]
	s_waitcnt lgkmcnt(0)
	s_barrier
	buffer_gl0_inv
	v_cmpx_gt_u32_e32 33, v0
	s_cbranch_execz .LBB60_147
; %bb.144:
	v_add_nc_u32_e32 v5, -1, v0
	v_add_nc_u32_e32 v6, 0x1f0, v3
	v_mov_b32_e32 v7, v3
	v_mov_b32_e32 v2, 0
	;; [unrolled: 1-line block ×3, first 2 shown]
	s_mov_b32 s5, 0
	.p2align	6
.LBB60_145:                             ; =>This Inner Loop Header: Depth=1
	s_clause 0x1
	buffer_load_dword v11, v7, s[0:3], 0 offen offset:4
	buffer_load_dword v12, v7, s[0:3], 0 offen
	ds_read_b64 v[9:10], v6
	v_add_nc_u32_e32 v5, 1, v5
	v_add_nc_u32_e32 v6, 8, v6
	;; [unrolled: 1-line block ×3, first 2 shown]
	v_cmp_lt_u32_e32 vcc_lo, 31, v5
	s_or_b32 s5, vcc_lo, s5
	s_waitcnt vmcnt(1) lgkmcnt(0)
	v_mul_f32_e32 v135, v10, v11
	v_mul_f32_e32 v11, v9, v11
	s_waitcnt vmcnt(0)
	v_fma_f32 v9, v9, v12, -v135
	v_fmac_f32_e32 v11, v10, v12
	v_add_f32_e32 v8, v8, v9
	v_add_f32_e32 v2, v2, v11
	s_andn2_b32 exec_lo, exec_lo, s5
	s_cbranch_execnz .LBB60_145
; %bb.146:
	s_or_b32 exec_lo, exec_lo, s5
	v_mov_b32_e32 v5, 0
	ds_read_b64 v[5:6], v5 offset:264
	s_waitcnt lgkmcnt(0)
	v_mul_f32_e32 v7, v2, v6
	v_mul_f32_e32 v6, v8, v6
	v_fma_f32 v7, v8, v5, -v7
	v_fmac_f32_e32 v6, v2, v5
	buffer_store_dword v7, off, s[0:3], 0 offset:264
	buffer_store_dword v6, off, s[0:3], 0 offset:268
.LBB60_147:
	s_or_b32 exec_lo, exec_lo, s4
	s_waitcnt_vscnt null, 0x0
	s_barrier
	buffer_gl0_inv
	s_clause 0x1
	buffer_load_dword v5, off, s[0:3], 0 offset:272
	buffer_load_dword v6, off, s[0:3], 0 offset:276
	s_mov_b32 s4, exec_lo
	s_waitcnt vmcnt(0)
	ds_write_b64 v4, v[5:6]
	s_waitcnt lgkmcnt(0)
	s_barrier
	buffer_gl0_inv
	v_cmpx_gt_u32_e32 34, v0
	s_cbranch_execz .LBB60_151
; %bb.148:
	v_add_nc_u32_e32 v5, -1, v0
	v_add_nc_u32_e32 v6, 0x1f0, v3
	v_mov_b32_e32 v7, v3
	v_mov_b32_e32 v2, 0
	;; [unrolled: 1-line block ×3, first 2 shown]
	s_mov_b32 s5, 0
	.p2align	6
.LBB60_149:                             ; =>This Inner Loop Header: Depth=1
	s_clause 0x1
	buffer_load_dword v11, v7, s[0:3], 0 offen offset:4
	buffer_load_dword v12, v7, s[0:3], 0 offen
	ds_read_b64 v[9:10], v6
	v_add_nc_u32_e32 v5, 1, v5
	v_add_nc_u32_e32 v6, 8, v6
	;; [unrolled: 1-line block ×3, first 2 shown]
	v_cmp_lt_u32_e32 vcc_lo, 32, v5
	s_or_b32 s5, vcc_lo, s5
	s_waitcnt vmcnt(1) lgkmcnt(0)
	v_mul_f32_e32 v135, v10, v11
	v_mul_f32_e32 v11, v9, v11
	s_waitcnt vmcnt(0)
	v_fma_f32 v9, v9, v12, -v135
	v_fmac_f32_e32 v11, v10, v12
	v_add_f32_e32 v8, v8, v9
	v_add_f32_e32 v2, v2, v11
	s_andn2_b32 exec_lo, exec_lo, s5
	s_cbranch_execnz .LBB60_149
; %bb.150:
	s_or_b32 exec_lo, exec_lo, s5
	v_mov_b32_e32 v5, 0
	ds_read_b64 v[5:6], v5 offset:272
	s_waitcnt lgkmcnt(0)
	v_mul_f32_e32 v7, v2, v6
	v_mul_f32_e32 v6, v8, v6
	v_fma_f32 v7, v8, v5, -v7
	v_fmac_f32_e32 v6, v2, v5
	buffer_store_dword v7, off, s[0:3], 0 offset:272
	buffer_store_dword v6, off, s[0:3], 0 offset:276
.LBB60_151:
	s_or_b32 exec_lo, exec_lo, s4
	s_waitcnt_vscnt null, 0x0
	s_barrier
	buffer_gl0_inv
	s_clause 0x1
	buffer_load_dword v5, off, s[0:3], 0 offset:280
	buffer_load_dword v6, off, s[0:3], 0 offset:284
	s_mov_b32 s4, exec_lo
	s_waitcnt vmcnt(0)
	ds_write_b64 v4, v[5:6]
	s_waitcnt lgkmcnt(0)
	s_barrier
	buffer_gl0_inv
	v_cmpx_gt_u32_e32 35, v0
	s_cbranch_execz .LBB60_155
; %bb.152:
	v_add_nc_u32_e32 v5, -1, v0
	v_add_nc_u32_e32 v6, 0x1f0, v3
	v_mov_b32_e32 v7, v3
	v_mov_b32_e32 v2, 0
	v_mov_b32_e32 v8, 0
	s_mov_b32 s5, 0
	.p2align	6
.LBB60_153:                             ; =>This Inner Loop Header: Depth=1
	s_clause 0x1
	buffer_load_dword v11, v7, s[0:3], 0 offen offset:4
	buffer_load_dword v12, v7, s[0:3], 0 offen
	ds_read_b64 v[9:10], v6
	v_add_nc_u32_e32 v5, 1, v5
	v_add_nc_u32_e32 v6, 8, v6
	;; [unrolled: 1-line block ×3, first 2 shown]
	v_cmp_lt_u32_e32 vcc_lo, 33, v5
	s_or_b32 s5, vcc_lo, s5
	s_waitcnt vmcnt(1) lgkmcnt(0)
	v_mul_f32_e32 v135, v10, v11
	v_mul_f32_e32 v11, v9, v11
	s_waitcnt vmcnt(0)
	v_fma_f32 v9, v9, v12, -v135
	v_fmac_f32_e32 v11, v10, v12
	v_add_f32_e32 v8, v8, v9
	v_add_f32_e32 v2, v2, v11
	s_andn2_b32 exec_lo, exec_lo, s5
	s_cbranch_execnz .LBB60_153
; %bb.154:
	s_or_b32 exec_lo, exec_lo, s5
	v_mov_b32_e32 v5, 0
	ds_read_b64 v[5:6], v5 offset:280
	s_waitcnt lgkmcnt(0)
	v_mul_f32_e32 v7, v2, v6
	v_mul_f32_e32 v6, v8, v6
	v_fma_f32 v7, v8, v5, -v7
	v_fmac_f32_e32 v6, v2, v5
	buffer_store_dword v7, off, s[0:3], 0 offset:280
	buffer_store_dword v6, off, s[0:3], 0 offset:284
.LBB60_155:
	s_or_b32 exec_lo, exec_lo, s4
	s_waitcnt_vscnt null, 0x0
	s_barrier
	buffer_gl0_inv
	s_clause 0x1
	buffer_load_dword v5, off, s[0:3], 0 offset:288
	buffer_load_dword v6, off, s[0:3], 0 offset:292
	s_mov_b32 s4, exec_lo
	s_waitcnt vmcnt(0)
	ds_write_b64 v4, v[5:6]
	s_waitcnt lgkmcnt(0)
	s_barrier
	buffer_gl0_inv
	v_cmpx_gt_u32_e32 36, v0
	s_cbranch_execz .LBB60_159
; %bb.156:
	v_add_nc_u32_e32 v5, -1, v0
	v_add_nc_u32_e32 v6, 0x1f0, v3
	v_mov_b32_e32 v7, v3
	v_mov_b32_e32 v2, 0
	;; [unrolled: 1-line block ×3, first 2 shown]
	s_mov_b32 s5, 0
	.p2align	6
.LBB60_157:                             ; =>This Inner Loop Header: Depth=1
	s_clause 0x1
	buffer_load_dword v11, v7, s[0:3], 0 offen offset:4
	buffer_load_dword v12, v7, s[0:3], 0 offen
	ds_read_b64 v[9:10], v6
	v_add_nc_u32_e32 v5, 1, v5
	v_add_nc_u32_e32 v6, 8, v6
	;; [unrolled: 1-line block ×3, first 2 shown]
	v_cmp_lt_u32_e32 vcc_lo, 34, v5
	s_or_b32 s5, vcc_lo, s5
	s_waitcnt vmcnt(1) lgkmcnt(0)
	v_mul_f32_e32 v135, v10, v11
	v_mul_f32_e32 v11, v9, v11
	s_waitcnt vmcnt(0)
	v_fma_f32 v9, v9, v12, -v135
	v_fmac_f32_e32 v11, v10, v12
	v_add_f32_e32 v8, v8, v9
	v_add_f32_e32 v2, v2, v11
	s_andn2_b32 exec_lo, exec_lo, s5
	s_cbranch_execnz .LBB60_157
; %bb.158:
	s_or_b32 exec_lo, exec_lo, s5
	v_mov_b32_e32 v5, 0
	ds_read_b64 v[5:6], v5 offset:288
	s_waitcnt lgkmcnt(0)
	v_mul_f32_e32 v7, v2, v6
	v_mul_f32_e32 v6, v8, v6
	v_fma_f32 v7, v8, v5, -v7
	v_fmac_f32_e32 v6, v2, v5
	buffer_store_dword v7, off, s[0:3], 0 offset:288
	buffer_store_dword v6, off, s[0:3], 0 offset:292
.LBB60_159:
	s_or_b32 exec_lo, exec_lo, s4
	s_waitcnt_vscnt null, 0x0
	s_barrier
	buffer_gl0_inv
	s_clause 0x1
	buffer_load_dword v5, off, s[0:3], 0 offset:296
	buffer_load_dword v6, off, s[0:3], 0 offset:300
	s_mov_b32 s4, exec_lo
	s_waitcnt vmcnt(0)
	ds_write_b64 v4, v[5:6]
	s_waitcnt lgkmcnt(0)
	s_barrier
	buffer_gl0_inv
	v_cmpx_gt_u32_e32 37, v0
	s_cbranch_execz .LBB60_163
; %bb.160:
	v_add_nc_u32_e32 v5, -1, v0
	v_add_nc_u32_e32 v6, 0x1f0, v3
	v_mov_b32_e32 v7, v3
	v_mov_b32_e32 v2, 0
	;; [unrolled: 1-line block ×3, first 2 shown]
	s_mov_b32 s5, 0
	.p2align	6
.LBB60_161:                             ; =>This Inner Loop Header: Depth=1
	s_clause 0x1
	buffer_load_dword v11, v7, s[0:3], 0 offen offset:4
	buffer_load_dword v12, v7, s[0:3], 0 offen
	ds_read_b64 v[9:10], v6
	v_add_nc_u32_e32 v5, 1, v5
	v_add_nc_u32_e32 v6, 8, v6
	;; [unrolled: 1-line block ×3, first 2 shown]
	v_cmp_lt_u32_e32 vcc_lo, 35, v5
	s_or_b32 s5, vcc_lo, s5
	s_waitcnt vmcnt(1) lgkmcnt(0)
	v_mul_f32_e32 v135, v10, v11
	v_mul_f32_e32 v11, v9, v11
	s_waitcnt vmcnt(0)
	v_fma_f32 v9, v9, v12, -v135
	v_fmac_f32_e32 v11, v10, v12
	v_add_f32_e32 v8, v8, v9
	v_add_f32_e32 v2, v2, v11
	s_andn2_b32 exec_lo, exec_lo, s5
	s_cbranch_execnz .LBB60_161
; %bb.162:
	s_or_b32 exec_lo, exec_lo, s5
	v_mov_b32_e32 v5, 0
	ds_read_b64 v[5:6], v5 offset:296
	s_waitcnt lgkmcnt(0)
	v_mul_f32_e32 v7, v2, v6
	v_mul_f32_e32 v6, v8, v6
	v_fma_f32 v7, v8, v5, -v7
	v_fmac_f32_e32 v6, v2, v5
	buffer_store_dword v7, off, s[0:3], 0 offset:296
	buffer_store_dword v6, off, s[0:3], 0 offset:300
.LBB60_163:
	s_or_b32 exec_lo, exec_lo, s4
	s_waitcnt_vscnt null, 0x0
	s_barrier
	buffer_gl0_inv
	s_clause 0x1
	buffer_load_dword v5, off, s[0:3], 0 offset:304
	buffer_load_dword v6, off, s[0:3], 0 offset:308
	s_mov_b32 s4, exec_lo
	s_waitcnt vmcnt(0)
	ds_write_b64 v4, v[5:6]
	s_waitcnt lgkmcnt(0)
	s_barrier
	buffer_gl0_inv
	v_cmpx_gt_u32_e32 38, v0
	s_cbranch_execz .LBB60_167
; %bb.164:
	v_add_nc_u32_e32 v5, -1, v0
	v_add_nc_u32_e32 v6, 0x1f0, v3
	v_mov_b32_e32 v7, v3
	v_mov_b32_e32 v2, 0
	v_mov_b32_e32 v8, 0
	s_mov_b32 s5, 0
	.p2align	6
.LBB60_165:                             ; =>This Inner Loop Header: Depth=1
	s_clause 0x1
	buffer_load_dword v11, v7, s[0:3], 0 offen offset:4
	buffer_load_dword v12, v7, s[0:3], 0 offen
	ds_read_b64 v[9:10], v6
	v_add_nc_u32_e32 v5, 1, v5
	v_add_nc_u32_e32 v6, 8, v6
	v_add_nc_u32_e32 v7, 8, v7
	v_cmp_lt_u32_e32 vcc_lo, 36, v5
	s_or_b32 s5, vcc_lo, s5
	s_waitcnt vmcnt(1) lgkmcnt(0)
	v_mul_f32_e32 v135, v10, v11
	v_mul_f32_e32 v11, v9, v11
	s_waitcnt vmcnt(0)
	v_fma_f32 v9, v9, v12, -v135
	v_fmac_f32_e32 v11, v10, v12
	v_add_f32_e32 v8, v8, v9
	v_add_f32_e32 v2, v2, v11
	s_andn2_b32 exec_lo, exec_lo, s5
	s_cbranch_execnz .LBB60_165
; %bb.166:
	s_or_b32 exec_lo, exec_lo, s5
	v_mov_b32_e32 v5, 0
	ds_read_b64 v[5:6], v5 offset:304
	s_waitcnt lgkmcnt(0)
	v_mul_f32_e32 v7, v2, v6
	v_mul_f32_e32 v6, v8, v6
	v_fma_f32 v7, v8, v5, -v7
	v_fmac_f32_e32 v6, v2, v5
	buffer_store_dword v7, off, s[0:3], 0 offset:304
	buffer_store_dword v6, off, s[0:3], 0 offset:308
.LBB60_167:
	s_or_b32 exec_lo, exec_lo, s4
	s_waitcnt_vscnt null, 0x0
	s_barrier
	buffer_gl0_inv
	s_clause 0x1
	buffer_load_dword v5, off, s[0:3], 0 offset:312
	buffer_load_dword v6, off, s[0:3], 0 offset:316
	s_mov_b32 s4, exec_lo
	s_waitcnt vmcnt(0)
	ds_write_b64 v4, v[5:6]
	s_waitcnt lgkmcnt(0)
	s_barrier
	buffer_gl0_inv
	v_cmpx_gt_u32_e32 39, v0
	s_cbranch_execz .LBB60_171
; %bb.168:
	v_add_nc_u32_e32 v5, -1, v0
	v_add_nc_u32_e32 v6, 0x1f0, v3
	v_mov_b32_e32 v7, v3
	v_mov_b32_e32 v2, 0
	;; [unrolled: 1-line block ×3, first 2 shown]
	s_mov_b32 s5, 0
	.p2align	6
.LBB60_169:                             ; =>This Inner Loop Header: Depth=1
	s_clause 0x1
	buffer_load_dword v11, v7, s[0:3], 0 offen offset:4
	buffer_load_dword v12, v7, s[0:3], 0 offen
	ds_read_b64 v[9:10], v6
	v_add_nc_u32_e32 v5, 1, v5
	v_add_nc_u32_e32 v6, 8, v6
	;; [unrolled: 1-line block ×3, first 2 shown]
	v_cmp_lt_u32_e32 vcc_lo, 37, v5
	s_or_b32 s5, vcc_lo, s5
	s_waitcnt vmcnt(1) lgkmcnt(0)
	v_mul_f32_e32 v135, v10, v11
	v_mul_f32_e32 v11, v9, v11
	s_waitcnt vmcnt(0)
	v_fma_f32 v9, v9, v12, -v135
	v_fmac_f32_e32 v11, v10, v12
	v_add_f32_e32 v8, v8, v9
	v_add_f32_e32 v2, v2, v11
	s_andn2_b32 exec_lo, exec_lo, s5
	s_cbranch_execnz .LBB60_169
; %bb.170:
	s_or_b32 exec_lo, exec_lo, s5
	v_mov_b32_e32 v5, 0
	ds_read_b64 v[5:6], v5 offset:312
	s_waitcnt lgkmcnt(0)
	v_mul_f32_e32 v7, v2, v6
	v_mul_f32_e32 v6, v8, v6
	v_fma_f32 v7, v8, v5, -v7
	v_fmac_f32_e32 v6, v2, v5
	buffer_store_dword v7, off, s[0:3], 0 offset:312
	buffer_store_dword v6, off, s[0:3], 0 offset:316
.LBB60_171:
	s_or_b32 exec_lo, exec_lo, s4
	s_waitcnt_vscnt null, 0x0
	s_barrier
	buffer_gl0_inv
	s_clause 0x1
	buffer_load_dword v5, off, s[0:3], 0 offset:320
	buffer_load_dword v6, off, s[0:3], 0 offset:324
	s_mov_b32 s4, exec_lo
	s_waitcnt vmcnt(0)
	ds_write_b64 v4, v[5:6]
	s_waitcnt lgkmcnt(0)
	s_barrier
	buffer_gl0_inv
	v_cmpx_gt_u32_e32 40, v0
	s_cbranch_execz .LBB60_175
; %bb.172:
	v_add_nc_u32_e32 v5, -1, v0
	v_add_nc_u32_e32 v6, 0x1f0, v3
	v_mov_b32_e32 v7, v3
	v_mov_b32_e32 v2, 0
	;; [unrolled: 1-line block ×3, first 2 shown]
	s_mov_b32 s5, 0
	.p2align	6
.LBB60_173:                             ; =>This Inner Loop Header: Depth=1
	s_clause 0x1
	buffer_load_dword v11, v7, s[0:3], 0 offen offset:4
	buffer_load_dword v12, v7, s[0:3], 0 offen
	ds_read_b64 v[9:10], v6
	v_add_nc_u32_e32 v5, 1, v5
	v_add_nc_u32_e32 v6, 8, v6
	;; [unrolled: 1-line block ×3, first 2 shown]
	v_cmp_lt_u32_e32 vcc_lo, 38, v5
	s_or_b32 s5, vcc_lo, s5
	s_waitcnt vmcnt(1) lgkmcnt(0)
	v_mul_f32_e32 v135, v10, v11
	v_mul_f32_e32 v11, v9, v11
	s_waitcnt vmcnt(0)
	v_fma_f32 v9, v9, v12, -v135
	v_fmac_f32_e32 v11, v10, v12
	v_add_f32_e32 v8, v8, v9
	v_add_f32_e32 v2, v2, v11
	s_andn2_b32 exec_lo, exec_lo, s5
	s_cbranch_execnz .LBB60_173
; %bb.174:
	s_or_b32 exec_lo, exec_lo, s5
	v_mov_b32_e32 v5, 0
	ds_read_b64 v[5:6], v5 offset:320
	s_waitcnt lgkmcnt(0)
	v_mul_f32_e32 v7, v2, v6
	v_mul_f32_e32 v6, v8, v6
	v_fma_f32 v7, v8, v5, -v7
	v_fmac_f32_e32 v6, v2, v5
	buffer_store_dword v7, off, s[0:3], 0 offset:320
	buffer_store_dword v6, off, s[0:3], 0 offset:324
.LBB60_175:
	s_or_b32 exec_lo, exec_lo, s4
	s_waitcnt_vscnt null, 0x0
	s_barrier
	buffer_gl0_inv
	s_clause 0x1
	buffer_load_dword v5, off, s[0:3], 0 offset:328
	buffer_load_dword v6, off, s[0:3], 0 offset:332
	s_mov_b32 s4, exec_lo
	s_waitcnt vmcnt(0)
	ds_write_b64 v4, v[5:6]
	s_waitcnt lgkmcnt(0)
	s_barrier
	buffer_gl0_inv
	v_cmpx_gt_u32_e32 41, v0
	s_cbranch_execz .LBB60_179
; %bb.176:
	v_add_nc_u32_e32 v5, -1, v0
	v_add_nc_u32_e32 v6, 0x1f0, v3
	v_mov_b32_e32 v7, v3
	v_mov_b32_e32 v2, 0
	;; [unrolled: 1-line block ×3, first 2 shown]
	s_mov_b32 s5, 0
	.p2align	6
.LBB60_177:                             ; =>This Inner Loop Header: Depth=1
	s_clause 0x1
	buffer_load_dword v11, v7, s[0:3], 0 offen offset:4
	buffer_load_dword v12, v7, s[0:3], 0 offen
	ds_read_b64 v[9:10], v6
	v_add_nc_u32_e32 v5, 1, v5
	v_add_nc_u32_e32 v6, 8, v6
	v_add_nc_u32_e32 v7, 8, v7
	v_cmp_lt_u32_e32 vcc_lo, 39, v5
	s_or_b32 s5, vcc_lo, s5
	s_waitcnt vmcnt(1) lgkmcnt(0)
	v_mul_f32_e32 v135, v10, v11
	v_mul_f32_e32 v11, v9, v11
	s_waitcnt vmcnt(0)
	v_fma_f32 v9, v9, v12, -v135
	v_fmac_f32_e32 v11, v10, v12
	v_add_f32_e32 v8, v8, v9
	v_add_f32_e32 v2, v2, v11
	s_andn2_b32 exec_lo, exec_lo, s5
	s_cbranch_execnz .LBB60_177
; %bb.178:
	s_or_b32 exec_lo, exec_lo, s5
	v_mov_b32_e32 v5, 0
	ds_read_b64 v[5:6], v5 offset:328
	s_waitcnt lgkmcnt(0)
	v_mul_f32_e32 v7, v2, v6
	v_mul_f32_e32 v6, v8, v6
	v_fma_f32 v7, v8, v5, -v7
	v_fmac_f32_e32 v6, v2, v5
	buffer_store_dword v7, off, s[0:3], 0 offset:328
	buffer_store_dword v6, off, s[0:3], 0 offset:332
.LBB60_179:
	s_or_b32 exec_lo, exec_lo, s4
	s_waitcnt_vscnt null, 0x0
	s_barrier
	buffer_gl0_inv
	s_clause 0x1
	buffer_load_dword v5, off, s[0:3], 0 offset:336
	buffer_load_dword v6, off, s[0:3], 0 offset:340
	s_mov_b32 s4, exec_lo
	s_waitcnt vmcnt(0)
	ds_write_b64 v4, v[5:6]
	s_waitcnt lgkmcnt(0)
	s_barrier
	buffer_gl0_inv
	v_cmpx_gt_u32_e32 42, v0
	s_cbranch_execz .LBB60_183
; %bb.180:
	v_add_nc_u32_e32 v5, -1, v0
	v_add_nc_u32_e32 v6, 0x1f0, v3
	v_mov_b32_e32 v7, v3
	v_mov_b32_e32 v2, 0
	;; [unrolled: 1-line block ×3, first 2 shown]
	s_mov_b32 s5, 0
	.p2align	6
.LBB60_181:                             ; =>This Inner Loop Header: Depth=1
	s_clause 0x1
	buffer_load_dword v11, v7, s[0:3], 0 offen offset:4
	buffer_load_dword v12, v7, s[0:3], 0 offen
	ds_read_b64 v[9:10], v6
	v_add_nc_u32_e32 v5, 1, v5
	v_add_nc_u32_e32 v6, 8, v6
	;; [unrolled: 1-line block ×3, first 2 shown]
	v_cmp_lt_u32_e32 vcc_lo, 40, v5
	s_or_b32 s5, vcc_lo, s5
	s_waitcnt vmcnt(1) lgkmcnt(0)
	v_mul_f32_e32 v135, v10, v11
	v_mul_f32_e32 v11, v9, v11
	s_waitcnt vmcnt(0)
	v_fma_f32 v9, v9, v12, -v135
	v_fmac_f32_e32 v11, v10, v12
	v_add_f32_e32 v8, v8, v9
	v_add_f32_e32 v2, v2, v11
	s_andn2_b32 exec_lo, exec_lo, s5
	s_cbranch_execnz .LBB60_181
; %bb.182:
	s_or_b32 exec_lo, exec_lo, s5
	v_mov_b32_e32 v5, 0
	ds_read_b64 v[5:6], v5 offset:336
	s_waitcnt lgkmcnt(0)
	v_mul_f32_e32 v7, v2, v6
	v_mul_f32_e32 v6, v8, v6
	v_fma_f32 v7, v8, v5, -v7
	v_fmac_f32_e32 v6, v2, v5
	buffer_store_dword v7, off, s[0:3], 0 offset:336
	buffer_store_dword v6, off, s[0:3], 0 offset:340
.LBB60_183:
	s_or_b32 exec_lo, exec_lo, s4
	s_waitcnt_vscnt null, 0x0
	s_barrier
	buffer_gl0_inv
	s_clause 0x1
	buffer_load_dword v5, off, s[0:3], 0 offset:344
	buffer_load_dword v6, off, s[0:3], 0 offset:348
	s_mov_b32 s4, exec_lo
	s_waitcnt vmcnt(0)
	ds_write_b64 v4, v[5:6]
	s_waitcnt lgkmcnt(0)
	s_barrier
	buffer_gl0_inv
	v_cmpx_gt_u32_e32 43, v0
	s_cbranch_execz .LBB60_187
; %bb.184:
	v_add_nc_u32_e32 v5, -1, v0
	v_add_nc_u32_e32 v6, 0x1f0, v3
	v_mov_b32_e32 v7, v3
	v_mov_b32_e32 v2, 0
	;; [unrolled: 1-line block ×3, first 2 shown]
	s_mov_b32 s5, 0
	.p2align	6
.LBB60_185:                             ; =>This Inner Loop Header: Depth=1
	s_clause 0x1
	buffer_load_dword v11, v7, s[0:3], 0 offen offset:4
	buffer_load_dword v12, v7, s[0:3], 0 offen
	ds_read_b64 v[9:10], v6
	v_add_nc_u32_e32 v5, 1, v5
	v_add_nc_u32_e32 v6, 8, v6
	;; [unrolled: 1-line block ×3, first 2 shown]
	v_cmp_lt_u32_e32 vcc_lo, 41, v5
	s_or_b32 s5, vcc_lo, s5
	s_waitcnt vmcnt(1) lgkmcnt(0)
	v_mul_f32_e32 v135, v10, v11
	v_mul_f32_e32 v11, v9, v11
	s_waitcnt vmcnt(0)
	v_fma_f32 v9, v9, v12, -v135
	v_fmac_f32_e32 v11, v10, v12
	v_add_f32_e32 v8, v8, v9
	v_add_f32_e32 v2, v2, v11
	s_andn2_b32 exec_lo, exec_lo, s5
	s_cbranch_execnz .LBB60_185
; %bb.186:
	s_or_b32 exec_lo, exec_lo, s5
	v_mov_b32_e32 v5, 0
	ds_read_b64 v[5:6], v5 offset:344
	s_waitcnt lgkmcnt(0)
	v_mul_f32_e32 v7, v2, v6
	v_mul_f32_e32 v6, v8, v6
	v_fma_f32 v7, v8, v5, -v7
	v_fmac_f32_e32 v6, v2, v5
	buffer_store_dword v7, off, s[0:3], 0 offset:344
	buffer_store_dword v6, off, s[0:3], 0 offset:348
.LBB60_187:
	s_or_b32 exec_lo, exec_lo, s4
	s_waitcnt_vscnt null, 0x0
	s_barrier
	buffer_gl0_inv
	s_clause 0x1
	buffer_load_dword v5, off, s[0:3], 0 offset:352
	buffer_load_dword v6, off, s[0:3], 0 offset:356
	s_mov_b32 s4, exec_lo
	s_waitcnt vmcnt(0)
	ds_write_b64 v4, v[5:6]
	s_waitcnt lgkmcnt(0)
	s_barrier
	buffer_gl0_inv
	v_cmpx_gt_u32_e32 44, v0
	s_cbranch_execz .LBB60_191
; %bb.188:
	v_add_nc_u32_e32 v5, -1, v0
	v_add_nc_u32_e32 v6, 0x1f0, v3
	v_mov_b32_e32 v7, v3
	v_mov_b32_e32 v2, 0
	;; [unrolled: 1-line block ×3, first 2 shown]
	s_mov_b32 s5, 0
	.p2align	6
.LBB60_189:                             ; =>This Inner Loop Header: Depth=1
	s_clause 0x1
	buffer_load_dword v11, v7, s[0:3], 0 offen offset:4
	buffer_load_dword v12, v7, s[0:3], 0 offen
	ds_read_b64 v[9:10], v6
	v_add_nc_u32_e32 v5, 1, v5
	v_add_nc_u32_e32 v6, 8, v6
	v_add_nc_u32_e32 v7, 8, v7
	v_cmp_lt_u32_e32 vcc_lo, 42, v5
	s_or_b32 s5, vcc_lo, s5
	s_waitcnt vmcnt(1) lgkmcnt(0)
	v_mul_f32_e32 v135, v10, v11
	v_mul_f32_e32 v11, v9, v11
	s_waitcnt vmcnt(0)
	v_fma_f32 v9, v9, v12, -v135
	v_fmac_f32_e32 v11, v10, v12
	v_add_f32_e32 v8, v8, v9
	v_add_f32_e32 v2, v2, v11
	s_andn2_b32 exec_lo, exec_lo, s5
	s_cbranch_execnz .LBB60_189
; %bb.190:
	s_or_b32 exec_lo, exec_lo, s5
	v_mov_b32_e32 v5, 0
	ds_read_b64 v[5:6], v5 offset:352
	s_waitcnt lgkmcnt(0)
	v_mul_f32_e32 v7, v2, v6
	v_mul_f32_e32 v6, v8, v6
	v_fma_f32 v7, v8, v5, -v7
	v_fmac_f32_e32 v6, v2, v5
	buffer_store_dword v7, off, s[0:3], 0 offset:352
	buffer_store_dword v6, off, s[0:3], 0 offset:356
.LBB60_191:
	s_or_b32 exec_lo, exec_lo, s4
	s_waitcnt_vscnt null, 0x0
	s_barrier
	buffer_gl0_inv
	s_clause 0x1
	buffer_load_dword v5, off, s[0:3], 0 offset:360
	buffer_load_dword v6, off, s[0:3], 0 offset:364
	s_mov_b32 s4, exec_lo
	s_waitcnt vmcnt(0)
	ds_write_b64 v4, v[5:6]
	s_waitcnt lgkmcnt(0)
	s_barrier
	buffer_gl0_inv
	v_cmpx_gt_u32_e32 45, v0
	s_cbranch_execz .LBB60_195
; %bb.192:
	v_add_nc_u32_e32 v5, -1, v0
	v_add_nc_u32_e32 v6, 0x1f0, v3
	v_mov_b32_e32 v7, v3
	v_mov_b32_e32 v2, 0
	;; [unrolled: 1-line block ×3, first 2 shown]
	s_mov_b32 s5, 0
	.p2align	6
.LBB60_193:                             ; =>This Inner Loop Header: Depth=1
	s_clause 0x1
	buffer_load_dword v11, v7, s[0:3], 0 offen offset:4
	buffer_load_dword v12, v7, s[0:3], 0 offen
	ds_read_b64 v[9:10], v6
	v_add_nc_u32_e32 v5, 1, v5
	v_add_nc_u32_e32 v6, 8, v6
	;; [unrolled: 1-line block ×3, first 2 shown]
	v_cmp_lt_u32_e32 vcc_lo, 43, v5
	s_or_b32 s5, vcc_lo, s5
	s_waitcnt vmcnt(1) lgkmcnt(0)
	v_mul_f32_e32 v135, v10, v11
	v_mul_f32_e32 v11, v9, v11
	s_waitcnt vmcnt(0)
	v_fma_f32 v9, v9, v12, -v135
	v_fmac_f32_e32 v11, v10, v12
	v_add_f32_e32 v8, v8, v9
	v_add_f32_e32 v2, v2, v11
	s_andn2_b32 exec_lo, exec_lo, s5
	s_cbranch_execnz .LBB60_193
; %bb.194:
	s_or_b32 exec_lo, exec_lo, s5
	v_mov_b32_e32 v5, 0
	ds_read_b64 v[5:6], v5 offset:360
	s_waitcnt lgkmcnt(0)
	v_mul_f32_e32 v7, v2, v6
	v_mul_f32_e32 v6, v8, v6
	v_fma_f32 v7, v8, v5, -v7
	v_fmac_f32_e32 v6, v2, v5
	buffer_store_dword v7, off, s[0:3], 0 offset:360
	buffer_store_dword v6, off, s[0:3], 0 offset:364
.LBB60_195:
	s_or_b32 exec_lo, exec_lo, s4
	s_waitcnt_vscnt null, 0x0
	s_barrier
	buffer_gl0_inv
	s_clause 0x1
	buffer_load_dword v5, off, s[0:3], 0 offset:368
	buffer_load_dword v6, off, s[0:3], 0 offset:372
	s_mov_b32 s4, exec_lo
	s_waitcnt vmcnt(0)
	ds_write_b64 v4, v[5:6]
	s_waitcnt lgkmcnt(0)
	s_barrier
	buffer_gl0_inv
	v_cmpx_gt_u32_e32 46, v0
	s_cbranch_execz .LBB60_199
; %bb.196:
	v_add_nc_u32_e32 v5, -1, v0
	v_add_nc_u32_e32 v6, 0x1f0, v3
	v_mov_b32_e32 v7, v3
	v_mov_b32_e32 v2, 0
	;; [unrolled: 1-line block ×3, first 2 shown]
	s_mov_b32 s5, 0
	.p2align	6
.LBB60_197:                             ; =>This Inner Loop Header: Depth=1
	s_clause 0x1
	buffer_load_dword v11, v7, s[0:3], 0 offen offset:4
	buffer_load_dword v12, v7, s[0:3], 0 offen
	ds_read_b64 v[9:10], v6
	v_add_nc_u32_e32 v5, 1, v5
	v_add_nc_u32_e32 v6, 8, v6
	;; [unrolled: 1-line block ×3, first 2 shown]
	v_cmp_lt_u32_e32 vcc_lo, 44, v5
	s_or_b32 s5, vcc_lo, s5
	s_waitcnt vmcnt(1) lgkmcnt(0)
	v_mul_f32_e32 v135, v10, v11
	v_mul_f32_e32 v11, v9, v11
	s_waitcnt vmcnt(0)
	v_fma_f32 v9, v9, v12, -v135
	v_fmac_f32_e32 v11, v10, v12
	v_add_f32_e32 v8, v8, v9
	v_add_f32_e32 v2, v2, v11
	s_andn2_b32 exec_lo, exec_lo, s5
	s_cbranch_execnz .LBB60_197
; %bb.198:
	s_or_b32 exec_lo, exec_lo, s5
	v_mov_b32_e32 v5, 0
	ds_read_b64 v[5:6], v5 offset:368
	s_waitcnt lgkmcnt(0)
	v_mul_f32_e32 v7, v2, v6
	v_mul_f32_e32 v6, v8, v6
	v_fma_f32 v7, v8, v5, -v7
	v_fmac_f32_e32 v6, v2, v5
	buffer_store_dword v7, off, s[0:3], 0 offset:368
	buffer_store_dword v6, off, s[0:3], 0 offset:372
.LBB60_199:
	s_or_b32 exec_lo, exec_lo, s4
	s_waitcnt_vscnt null, 0x0
	s_barrier
	buffer_gl0_inv
	s_clause 0x1
	buffer_load_dword v5, off, s[0:3], 0 offset:376
	buffer_load_dword v6, off, s[0:3], 0 offset:380
	s_mov_b32 s4, exec_lo
	s_waitcnt vmcnt(0)
	ds_write_b64 v4, v[5:6]
	s_waitcnt lgkmcnt(0)
	s_barrier
	buffer_gl0_inv
	v_cmpx_gt_u32_e32 47, v0
	s_cbranch_execz .LBB60_203
; %bb.200:
	v_add_nc_u32_e32 v5, -1, v0
	v_add_nc_u32_e32 v6, 0x1f0, v3
	v_mov_b32_e32 v7, v3
	v_mov_b32_e32 v2, 0
	;; [unrolled: 1-line block ×3, first 2 shown]
	s_mov_b32 s5, 0
	.p2align	6
.LBB60_201:                             ; =>This Inner Loop Header: Depth=1
	s_clause 0x1
	buffer_load_dword v11, v7, s[0:3], 0 offen offset:4
	buffer_load_dword v12, v7, s[0:3], 0 offen
	ds_read_b64 v[9:10], v6
	v_add_nc_u32_e32 v5, 1, v5
	v_add_nc_u32_e32 v6, 8, v6
	;; [unrolled: 1-line block ×3, first 2 shown]
	v_cmp_lt_u32_e32 vcc_lo, 45, v5
	s_or_b32 s5, vcc_lo, s5
	s_waitcnt vmcnt(1) lgkmcnt(0)
	v_mul_f32_e32 v135, v10, v11
	v_mul_f32_e32 v11, v9, v11
	s_waitcnt vmcnt(0)
	v_fma_f32 v9, v9, v12, -v135
	v_fmac_f32_e32 v11, v10, v12
	v_add_f32_e32 v8, v8, v9
	v_add_f32_e32 v2, v2, v11
	s_andn2_b32 exec_lo, exec_lo, s5
	s_cbranch_execnz .LBB60_201
; %bb.202:
	s_or_b32 exec_lo, exec_lo, s5
	v_mov_b32_e32 v5, 0
	ds_read_b64 v[5:6], v5 offset:376
	s_waitcnt lgkmcnt(0)
	v_mul_f32_e32 v7, v2, v6
	v_mul_f32_e32 v6, v8, v6
	v_fma_f32 v7, v8, v5, -v7
	v_fmac_f32_e32 v6, v2, v5
	buffer_store_dword v7, off, s[0:3], 0 offset:376
	buffer_store_dword v6, off, s[0:3], 0 offset:380
.LBB60_203:
	s_or_b32 exec_lo, exec_lo, s4
	s_waitcnt_vscnt null, 0x0
	s_barrier
	buffer_gl0_inv
	s_clause 0x1
	buffer_load_dword v5, off, s[0:3], 0 offset:384
	buffer_load_dword v6, off, s[0:3], 0 offset:388
	s_mov_b32 s4, exec_lo
	s_waitcnt vmcnt(0)
	ds_write_b64 v4, v[5:6]
	s_waitcnt lgkmcnt(0)
	s_barrier
	buffer_gl0_inv
	v_cmpx_gt_u32_e32 48, v0
	s_cbranch_execz .LBB60_207
; %bb.204:
	v_add_nc_u32_e32 v5, -1, v0
	v_add_nc_u32_e32 v6, 0x1f0, v3
	v_mov_b32_e32 v7, v3
	v_mov_b32_e32 v2, 0
	;; [unrolled: 1-line block ×3, first 2 shown]
	s_mov_b32 s5, 0
	.p2align	6
.LBB60_205:                             ; =>This Inner Loop Header: Depth=1
	s_clause 0x1
	buffer_load_dword v11, v7, s[0:3], 0 offen offset:4
	buffer_load_dword v12, v7, s[0:3], 0 offen
	ds_read_b64 v[9:10], v6
	v_add_nc_u32_e32 v5, 1, v5
	v_add_nc_u32_e32 v6, 8, v6
	;; [unrolled: 1-line block ×3, first 2 shown]
	v_cmp_lt_u32_e32 vcc_lo, 46, v5
	s_or_b32 s5, vcc_lo, s5
	s_waitcnt vmcnt(1) lgkmcnt(0)
	v_mul_f32_e32 v135, v10, v11
	v_mul_f32_e32 v11, v9, v11
	s_waitcnt vmcnt(0)
	v_fma_f32 v9, v9, v12, -v135
	v_fmac_f32_e32 v11, v10, v12
	v_add_f32_e32 v8, v8, v9
	v_add_f32_e32 v2, v2, v11
	s_andn2_b32 exec_lo, exec_lo, s5
	s_cbranch_execnz .LBB60_205
; %bb.206:
	s_or_b32 exec_lo, exec_lo, s5
	v_mov_b32_e32 v5, 0
	ds_read_b64 v[5:6], v5 offset:384
	s_waitcnt lgkmcnt(0)
	v_mul_f32_e32 v7, v2, v6
	v_mul_f32_e32 v6, v8, v6
	v_fma_f32 v7, v8, v5, -v7
	v_fmac_f32_e32 v6, v2, v5
	buffer_store_dword v7, off, s[0:3], 0 offset:384
	buffer_store_dword v6, off, s[0:3], 0 offset:388
.LBB60_207:
	s_or_b32 exec_lo, exec_lo, s4
	s_waitcnt_vscnt null, 0x0
	s_barrier
	buffer_gl0_inv
	s_clause 0x1
	buffer_load_dword v5, off, s[0:3], 0 offset:392
	buffer_load_dword v6, off, s[0:3], 0 offset:396
	s_mov_b32 s4, exec_lo
	s_waitcnt vmcnt(0)
	ds_write_b64 v4, v[5:6]
	s_waitcnt lgkmcnt(0)
	s_barrier
	buffer_gl0_inv
	v_cmpx_gt_u32_e32 49, v0
	s_cbranch_execz .LBB60_211
; %bb.208:
	v_add_nc_u32_e32 v5, -1, v0
	v_add_nc_u32_e32 v6, 0x1f0, v3
	v_mov_b32_e32 v7, v3
	v_mov_b32_e32 v2, 0
	;; [unrolled: 1-line block ×3, first 2 shown]
	s_mov_b32 s5, 0
	.p2align	6
.LBB60_209:                             ; =>This Inner Loop Header: Depth=1
	s_clause 0x1
	buffer_load_dword v11, v7, s[0:3], 0 offen offset:4
	buffer_load_dword v12, v7, s[0:3], 0 offen
	ds_read_b64 v[9:10], v6
	v_add_nc_u32_e32 v5, 1, v5
	v_add_nc_u32_e32 v6, 8, v6
	v_add_nc_u32_e32 v7, 8, v7
	v_cmp_lt_u32_e32 vcc_lo, 47, v5
	s_or_b32 s5, vcc_lo, s5
	s_waitcnt vmcnt(1) lgkmcnt(0)
	v_mul_f32_e32 v135, v10, v11
	v_mul_f32_e32 v11, v9, v11
	s_waitcnt vmcnt(0)
	v_fma_f32 v9, v9, v12, -v135
	v_fmac_f32_e32 v11, v10, v12
	v_add_f32_e32 v8, v8, v9
	v_add_f32_e32 v2, v2, v11
	s_andn2_b32 exec_lo, exec_lo, s5
	s_cbranch_execnz .LBB60_209
; %bb.210:
	s_or_b32 exec_lo, exec_lo, s5
	v_mov_b32_e32 v5, 0
	ds_read_b64 v[5:6], v5 offset:392
	s_waitcnt lgkmcnt(0)
	v_mul_f32_e32 v7, v2, v6
	v_mul_f32_e32 v6, v8, v6
	v_fma_f32 v7, v8, v5, -v7
	v_fmac_f32_e32 v6, v2, v5
	buffer_store_dword v7, off, s[0:3], 0 offset:392
	buffer_store_dword v6, off, s[0:3], 0 offset:396
.LBB60_211:
	s_or_b32 exec_lo, exec_lo, s4
	s_waitcnt_vscnt null, 0x0
	s_barrier
	buffer_gl0_inv
	s_clause 0x1
	buffer_load_dword v5, off, s[0:3], 0 offset:400
	buffer_load_dword v6, off, s[0:3], 0 offset:404
	s_mov_b32 s4, exec_lo
	s_waitcnt vmcnt(0)
	ds_write_b64 v4, v[5:6]
	s_waitcnt lgkmcnt(0)
	s_barrier
	buffer_gl0_inv
	v_cmpx_gt_u32_e32 50, v0
	s_cbranch_execz .LBB60_215
; %bb.212:
	v_add_nc_u32_e32 v5, -1, v0
	v_add_nc_u32_e32 v6, 0x1f0, v3
	v_mov_b32_e32 v7, v3
	v_mov_b32_e32 v2, 0
	;; [unrolled: 1-line block ×3, first 2 shown]
	s_mov_b32 s5, 0
	.p2align	6
.LBB60_213:                             ; =>This Inner Loop Header: Depth=1
	s_clause 0x1
	buffer_load_dword v11, v7, s[0:3], 0 offen offset:4
	buffer_load_dword v12, v7, s[0:3], 0 offen
	ds_read_b64 v[9:10], v6
	v_add_nc_u32_e32 v5, 1, v5
	v_add_nc_u32_e32 v6, 8, v6
	v_add_nc_u32_e32 v7, 8, v7
	v_cmp_lt_u32_e32 vcc_lo, 48, v5
	s_or_b32 s5, vcc_lo, s5
	s_waitcnt vmcnt(1) lgkmcnt(0)
	v_mul_f32_e32 v135, v10, v11
	v_mul_f32_e32 v11, v9, v11
	s_waitcnt vmcnt(0)
	v_fma_f32 v9, v9, v12, -v135
	v_fmac_f32_e32 v11, v10, v12
	v_add_f32_e32 v8, v8, v9
	v_add_f32_e32 v2, v2, v11
	s_andn2_b32 exec_lo, exec_lo, s5
	s_cbranch_execnz .LBB60_213
; %bb.214:
	s_or_b32 exec_lo, exec_lo, s5
	v_mov_b32_e32 v5, 0
	ds_read_b64 v[5:6], v5 offset:400
	s_waitcnt lgkmcnt(0)
	v_mul_f32_e32 v7, v2, v6
	v_mul_f32_e32 v6, v8, v6
	v_fma_f32 v7, v8, v5, -v7
	v_fmac_f32_e32 v6, v2, v5
	buffer_store_dword v7, off, s[0:3], 0 offset:400
	buffer_store_dword v6, off, s[0:3], 0 offset:404
.LBB60_215:
	s_or_b32 exec_lo, exec_lo, s4
	s_waitcnt_vscnt null, 0x0
	s_barrier
	buffer_gl0_inv
	s_clause 0x1
	buffer_load_dword v5, off, s[0:3], 0 offset:408
	buffer_load_dword v6, off, s[0:3], 0 offset:412
	s_mov_b32 s4, exec_lo
	s_waitcnt vmcnt(0)
	ds_write_b64 v4, v[5:6]
	s_waitcnt lgkmcnt(0)
	s_barrier
	buffer_gl0_inv
	v_cmpx_gt_u32_e32 51, v0
	s_cbranch_execz .LBB60_219
; %bb.216:
	v_add_nc_u32_e32 v5, -1, v0
	v_add_nc_u32_e32 v6, 0x1f0, v3
	v_mov_b32_e32 v7, v3
	v_mov_b32_e32 v2, 0
	;; [unrolled: 1-line block ×3, first 2 shown]
	s_mov_b32 s5, 0
	.p2align	6
.LBB60_217:                             ; =>This Inner Loop Header: Depth=1
	s_clause 0x1
	buffer_load_dword v11, v7, s[0:3], 0 offen offset:4
	buffer_load_dword v12, v7, s[0:3], 0 offen
	ds_read_b64 v[9:10], v6
	v_add_nc_u32_e32 v5, 1, v5
	v_add_nc_u32_e32 v6, 8, v6
	v_add_nc_u32_e32 v7, 8, v7
	v_cmp_lt_u32_e32 vcc_lo, 49, v5
	s_or_b32 s5, vcc_lo, s5
	s_waitcnt vmcnt(1) lgkmcnt(0)
	v_mul_f32_e32 v135, v10, v11
	v_mul_f32_e32 v11, v9, v11
	s_waitcnt vmcnt(0)
	v_fma_f32 v9, v9, v12, -v135
	v_fmac_f32_e32 v11, v10, v12
	v_add_f32_e32 v8, v8, v9
	v_add_f32_e32 v2, v2, v11
	s_andn2_b32 exec_lo, exec_lo, s5
	s_cbranch_execnz .LBB60_217
; %bb.218:
	s_or_b32 exec_lo, exec_lo, s5
	v_mov_b32_e32 v5, 0
	ds_read_b64 v[5:6], v5 offset:408
	s_waitcnt lgkmcnt(0)
	v_mul_f32_e32 v7, v2, v6
	v_mul_f32_e32 v6, v8, v6
	v_fma_f32 v7, v8, v5, -v7
	v_fmac_f32_e32 v6, v2, v5
	buffer_store_dword v7, off, s[0:3], 0 offset:408
	buffer_store_dword v6, off, s[0:3], 0 offset:412
.LBB60_219:
	s_or_b32 exec_lo, exec_lo, s4
	s_waitcnt_vscnt null, 0x0
	s_barrier
	buffer_gl0_inv
	s_clause 0x1
	buffer_load_dword v5, off, s[0:3], 0 offset:416
	buffer_load_dword v6, off, s[0:3], 0 offset:420
	s_mov_b32 s4, exec_lo
	s_waitcnt vmcnt(0)
	ds_write_b64 v4, v[5:6]
	s_waitcnt lgkmcnt(0)
	s_barrier
	buffer_gl0_inv
	v_cmpx_gt_u32_e32 52, v0
	s_cbranch_execz .LBB60_223
; %bb.220:
	v_add_nc_u32_e32 v5, -1, v0
	v_add_nc_u32_e32 v6, 0x1f0, v3
	v_mov_b32_e32 v7, v3
	v_mov_b32_e32 v2, 0
	;; [unrolled: 1-line block ×3, first 2 shown]
	s_mov_b32 s5, 0
	.p2align	6
.LBB60_221:                             ; =>This Inner Loop Header: Depth=1
	s_clause 0x1
	buffer_load_dword v11, v7, s[0:3], 0 offen offset:4
	buffer_load_dword v12, v7, s[0:3], 0 offen
	ds_read_b64 v[9:10], v6
	v_add_nc_u32_e32 v5, 1, v5
	v_add_nc_u32_e32 v6, 8, v6
	;; [unrolled: 1-line block ×3, first 2 shown]
	v_cmp_lt_u32_e32 vcc_lo, 50, v5
	s_or_b32 s5, vcc_lo, s5
	s_waitcnt vmcnt(1) lgkmcnt(0)
	v_mul_f32_e32 v135, v10, v11
	v_mul_f32_e32 v11, v9, v11
	s_waitcnt vmcnt(0)
	v_fma_f32 v9, v9, v12, -v135
	v_fmac_f32_e32 v11, v10, v12
	v_add_f32_e32 v8, v8, v9
	v_add_f32_e32 v2, v2, v11
	s_andn2_b32 exec_lo, exec_lo, s5
	s_cbranch_execnz .LBB60_221
; %bb.222:
	s_or_b32 exec_lo, exec_lo, s5
	v_mov_b32_e32 v5, 0
	ds_read_b64 v[5:6], v5 offset:416
	s_waitcnt lgkmcnt(0)
	v_mul_f32_e32 v7, v2, v6
	v_mul_f32_e32 v6, v8, v6
	v_fma_f32 v7, v8, v5, -v7
	v_fmac_f32_e32 v6, v2, v5
	buffer_store_dword v7, off, s[0:3], 0 offset:416
	buffer_store_dword v6, off, s[0:3], 0 offset:420
.LBB60_223:
	s_or_b32 exec_lo, exec_lo, s4
	s_waitcnt_vscnt null, 0x0
	s_barrier
	buffer_gl0_inv
	s_clause 0x1
	buffer_load_dword v5, off, s[0:3], 0 offset:424
	buffer_load_dword v6, off, s[0:3], 0 offset:428
	s_mov_b32 s4, exec_lo
	s_waitcnt vmcnt(0)
	ds_write_b64 v4, v[5:6]
	s_waitcnt lgkmcnt(0)
	s_barrier
	buffer_gl0_inv
	v_cmpx_gt_u32_e32 53, v0
	s_cbranch_execz .LBB60_227
; %bb.224:
	v_add_nc_u32_e32 v5, -1, v0
	v_add_nc_u32_e32 v6, 0x1f0, v3
	v_mov_b32_e32 v7, v3
	v_mov_b32_e32 v2, 0
	;; [unrolled: 1-line block ×3, first 2 shown]
	s_mov_b32 s5, 0
	.p2align	6
.LBB60_225:                             ; =>This Inner Loop Header: Depth=1
	s_clause 0x1
	buffer_load_dword v11, v7, s[0:3], 0 offen offset:4
	buffer_load_dword v12, v7, s[0:3], 0 offen
	ds_read_b64 v[9:10], v6
	v_add_nc_u32_e32 v5, 1, v5
	v_add_nc_u32_e32 v6, 8, v6
	;; [unrolled: 1-line block ×3, first 2 shown]
	v_cmp_lt_u32_e32 vcc_lo, 51, v5
	s_or_b32 s5, vcc_lo, s5
	s_waitcnt vmcnt(1) lgkmcnt(0)
	v_mul_f32_e32 v135, v10, v11
	v_mul_f32_e32 v11, v9, v11
	s_waitcnt vmcnt(0)
	v_fma_f32 v9, v9, v12, -v135
	v_fmac_f32_e32 v11, v10, v12
	v_add_f32_e32 v8, v8, v9
	v_add_f32_e32 v2, v2, v11
	s_andn2_b32 exec_lo, exec_lo, s5
	s_cbranch_execnz .LBB60_225
; %bb.226:
	s_or_b32 exec_lo, exec_lo, s5
	v_mov_b32_e32 v5, 0
	ds_read_b64 v[5:6], v5 offset:424
	s_waitcnt lgkmcnt(0)
	v_mul_f32_e32 v7, v2, v6
	v_mul_f32_e32 v6, v8, v6
	v_fma_f32 v7, v8, v5, -v7
	v_fmac_f32_e32 v6, v2, v5
	buffer_store_dword v7, off, s[0:3], 0 offset:424
	buffer_store_dword v6, off, s[0:3], 0 offset:428
.LBB60_227:
	s_or_b32 exec_lo, exec_lo, s4
	s_waitcnt_vscnt null, 0x0
	s_barrier
	buffer_gl0_inv
	s_clause 0x1
	buffer_load_dword v5, off, s[0:3], 0 offset:432
	buffer_load_dword v6, off, s[0:3], 0 offset:436
	s_mov_b32 s4, exec_lo
	s_waitcnt vmcnt(0)
	ds_write_b64 v4, v[5:6]
	s_waitcnt lgkmcnt(0)
	s_barrier
	buffer_gl0_inv
	v_cmpx_gt_u32_e32 54, v0
	s_cbranch_execz .LBB60_231
; %bb.228:
	v_add_nc_u32_e32 v5, -1, v0
	v_add_nc_u32_e32 v6, 0x1f0, v3
	v_mov_b32_e32 v7, v3
	v_mov_b32_e32 v2, 0
	;; [unrolled: 1-line block ×3, first 2 shown]
	s_mov_b32 s5, 0
	.p2align	6
.LBB60_229:                             ; =>This Inner Loop Header: Depth=1
	s_clause 0x1
	buffer_load_dword v11, v7, s[0:3], 0 offen offset:4
	buffer_load_dword v12, v7, s[0:3], 0 offen
	ds_read_b64 v[9:10], v6
	v_add_nc_u32_e32 v5, 1, v5
	v_add_nc_u32_e32 v6, 8, v6
	;; [unrolled: 1-line block ×3, first 2 shown]
	v_cmp_lt_u32_e32 vcc_lo, 52, v5
	s_or_b32 s5, vcc_lo, s5
	s_waitcnt vmcnt(1) lgkmcnt(0)
	v_mul_f32_e32 v135, v10, v11
	v_mul_f32_e32 v11, v9, v11
	s_waitcnt vmcnt(0)
	v_fma_f32 v9, v9, v12, -v135
	v_fmac_f32_e32 v11, v10, v12
	v_add_f32_e32 v8, v8, v9
	v_add_f32_e32 v2, v2, v11
	s_andn2_b32 exec_lo, exec_lo, s5
	s_cbranch_execnz .LBB60_229
; %bb.230:
	s_or_b32 exec_lo, exec_lo, s5
	v_mov_b32_e32 v5, 0
	ds_read_b64 v[5:6], v5 offset:432
	s_waitcnt lgkmcnt(0)
	v_mul_f32_e32 v7, v2, v6
	v_mul_f32_e32 v6, v8, v6
	v_fma_f32 v7, v8, v5, -v7
	v_fmac_f32_e32 v6, v2, v5
	buffer_store_dword v7, off, s[0:3], 0 offset:432
	buffer_store_dword v6, off, s[0:3], 0 offset:436
.LBB60_231:
	s_or_b32 exec_lo, exec_lo, s4
	s_waitcnt_vscnt null, 0x0
	s_barrier
	buffer_gl0_inv
	s_clause 0x1
	buffer_load_dword v5, off, s[0:3], 0 offset:440
	buffer_load_dword v6, off, s[0:3], 0 offset:444
	s_mov_b32 s4, exec_lo
	s_waitcnt vmcnt(0)
	ds_write_b64 v4, v[5:6]
	s_waitcnt lgkmcnt(0)
	s_barrier
	buffer_gl0_inv
	v_cmpx_gt_u32_e32 55, v0
	s_cbranch_execz .LBB60_235
; %bb.232:
	v_add_nc_u32_e32 v5, -1, v0
	v_add_nc_u32_e32 v6, 0x1f0, v3
	v_mov_b32_e32 v7, v3
	v_mov_b32_e32 v2, 0
	v_mov_b32_e32 v8, 0
	s_mov_b32 s5, 0
	.p2align	6
.LBB60_233:                             ; =>This Inner Loop Header: Depth=1
	s_clause 0x1
	buffer_load_dword v11, v7, s[0:3], 0 offen offset:4
	buffer_load_dword v12, v7, s[0:3], 0 offen
	ds_read_b64 v[9:10], v6
	v_add_nc_u32_e32 v5, 1, v5
	v_add_nc_u32_e32 v6, 8, v6
	;; [unrolled: 1-line block ×3, first 2 shown]
	v_cmp_lt_u32_e32 vcc_lo, 53, v5
	s_or_b32 s5, vcc_lo, s5
	s_waitcnt vmcnt(1) lgkmcnt(0)
	v_mul_f32_e32 v135, v10, v11
	v_mul_f32_e32 v11, v9, v11
	s_waitcnt vmcnt(0)
	v_fma_f32 v9, v9, v12, -v135
	v_fmac_f32_e32 v11, v10, v12
	v_add_f32_e32 v8, v8, v9
	v_add_f32_e32 v2, v2, v11
	s_andn2_b32 exec_lo, exec_lo, s5
	s_cbranch_execnz .LBB60_233
; %bb.234:
	s_or_b32 exec_lo, exec_lo, s5
	v_mov_b32_e32 v5, 0
	ds_read_b64 v[5:6], v5 offset:440
	s_waitcnt lgkmcnt(0)
	v_mul_f32_e32 v7, v2, v6
	v_mul_f32_e32 v6, v8, v6
	v_fma_f32 v7, v8, v5, -v7
	v_fmac_f32_e32 v6, v2, v5
	buffer_store_dword v7, off, s[0:3], 0 offset:440
	buffer_store_dword v6, off, s[0:3], 0 offset:444
.LBB60_235:
	s_or_b32 exec_lo, exec_lo, s4
	s_waitcnt_vscnt null, 0x0
	s_barrier
	buffer_gl0_inv
	s_clause 0x1
	buffer_load_dword v5, off, s[0:3], 0 offset:448
	buffer_load_dword v6, off, s[0:3], 0 offset:452
	s_mov_b32 s4, exec_lo
	s_waitcnt vmcnt(0)
	ds_write_b64 v4, v[5:6]
	s_waitcnt lgkmcnt(0)
	s_barrier
	buffer_gl0_inv
	v_cmpx_gt_u32_e32 56, v0
	s_cbranch_execz .LBB60_239
; %bb.236:
	v_add_nc_u32_e32 v5, -1, v0
	v_add_nc_u32_e32 v6, 0x1f0, v3
	v_mov_b32_e32 v7, v3
	v_mov_b32_e32 v2, 0
	;; [unrolled: 1-line block ×3, first 2 shown]
	s_mov_b32 s5, 0
	.p2align	6
.LBB60_237:                             ; =>This Inner Loop Header: Depth=1
	s_clause 0x1
	buffer_load_dword v11, v7, s[0:3], 0 offen offset:4
	buffer_load_dword v12, v7, s[0:3], 0 offen
	ds_read_b64 v[9:10], v6
	v_add_nc_u32_e32 v5, 1, v5
	v_add_nc_u32_e32 v6, 8, v6
	;; [unrolled: 1-line block ×3, first 2 shown]
	v_cmp_lt_u32_e32 vcc_lo, 54, v5
	s_or_b32 s5, vcc_lo, s5
	s_waitcnt vmcnt(1) lgkmcnt(0)
	v_mul_f32_e32 v135, v10, v11
	v_mul_f32_e32 v11, v9, v11
	s_waitcnt vmcnt(0)
	v_fma_f32 v9, v9, v12, -v135
	v_fmac_f32_e32 v11, v10, v12
	v_add_f32_e32 v8, v8, v9
	v_add_f32_e32 v2, v2, v11
	s_andn2_b32 exec_lo, exec_lo, s5
	s_cbranch_execnz .LBB60_237
; %bb.238:
	s_or_b32 exec_lo, exec_lo, s5
	v_mov_b32_e32 v5, 0
	ds_read_b64 v[5:6], v5 offset:448
	s_waitcnt lgkmcnt(0)
	v_mul_f32_e32 v7, v2, v6
	v_mul_f32_e32 v6, v8, v6
	v_fma_f32 v7, v8, v5, -v7
	v_fmac_f32_e32 v6, v2, v5
	buffer_store_dword v7, off, s[0:3], 0 offset:448
	buffer_store_dword v6, off, s[0:3], 0 offset:452
.LBB60_239:
	s_or_b32 exec_lo, exec_lo, s4
	s_waitcnt_vscnt null, 0x0
	s_barrier
	buffer_gl0_inv
	s_clause 0x1
	buffer_load_dword v5, off, s[0:3], 0 offset:456
	buffer_load_dword v6, off, s[0:3], 0 offset:460
	s_mov_b32 s4, exec_lo
	s_waitcnt vmcnt(0)
	ds_write_b64 v4, v[5:6]
	s_waitcnt lgkmcnt(0)
	s_barrier
	buffer_gl0_inv
	v_cmpx_gt_u32_e32 57, v0
	s_cbranch_execz .LBB60_243
; %bb.240:
	v_add_nc_u32_e32 v5, -1, v0
	v_add_nc_u32_e32 v6, 0x1f0, v3
	v_mov_b32_e32 v7, v3
	v_mov_b32_e32 v2, 0
	;; [unrolled: 1-line block ×3, first 2 shown]
	s_mov_b32 s5, 0
	.p2align	6
.LBB60_241:                             ; =>This Inner Loop Header: Depth=1
	s_clause 0x1
	buffer_load_dword v11, v7, s[0:3], 0 offen offset:4
	buffer_load_dword v12, v7, s[0:3], 0 offen
	ds_read_b64 v[9:10], v6
	v_add_nc_u32_e32 v5, 1, v5
	v_add_nc_u32_e32 v6, 8, v6
	;; [unrolled: 1-line block ×3, first 2 shown]
	v_cmp_lt_u32_e32 vcc_lo, 55, v5
	s_or_b32 s5, vcc_lo, s5
	s_waitcnt vmcnt(1) lgkmcnt(0)
	v_mul_f32_e32 v135, v10, v11
	v_mul_f32_e32 v11, v9, v11
	s_waitcnt vmcnt(0)
	v_fma_f32 v9, v9, v12, -v135
	v_fmac_f32_e32 v11, v10, v12
	v_add_f32_e32 v8, v8, v9
	v_add_f32_e32 v2, v2, v11
	s_andn2_b32 exec_lo, exec_lo, s5
	s_cbranch_execnz .LBB60_241
; %bb.242:
	s_or_b32 exec_lo, exec_lo, s5
	v_mov_b32_e32 v5, 0
	ds_read_b64 v[5:6], v5 offset:456
	s_waitcnt lgkmcnt(0)
	v_mul_f32_e32 v7, v2, v6
	v_mul_f32_e32 v6, v8, v6
	v_fma_f32 v7, v8, v5, -v7
	v_fmac_f32_e32 v6, v2, v5
	buffer_store_dword v7, off, s[0:3], 0 offset:456
	buffer_store_dword v6, off, s[0:3], 0 offset:460
.LBB60_243:
	s_or_b32 exec_lo, exec_lo, s4
	s_waitcnt_vscnt null, 0x0
	s_barrier
	buffer_gl0_inv
	s_clause 0x1
	buffer_load_dword v5, off, s[0:3], 0 offset:464
	buffer_load_dword v6, off, s[0:3], 0 offset:468
	s_mov_b32 s4, exec_lo
	s_waitcnt vmcnt(0)
	ds_write_b64 v4, v[5:6]
	s_waitcnt lgkmcnt(0)
	s_barrier
	buffer_gl0_inv
	v_cmpx_gt_u32_e32 58, v0
	s_cbranch_execz .LBB60_247
; %bb.244:
	v_add_nc_u32_e32 v5, -1, v0
	v_add_nc_u32_e32 v6, 0x1f0, v3
	v_mov_b32_e32 v7, v3
	v_mov_b32_e32 v2, 0
	;; [unrolled: 1-line block ×3, first 2 shown]
	s_mov_b32 s5, 0
	.p2align	6
.LBB60_245:                             ; =>This Inner Loop Header: Depth=1
	s_clause 0x1
	buffer_load_dword v11, v7, s[0:3], 0 offen offset:4
	buffer_load_dword v12, v7, s[0:3], 0 offen
	ds_read_b64 v[9:10], v6
	v_add_nc_u32_e32 v5, 1, v5
	v_add_nc_u32_e32 v6, 8, v6
	;; [unrolled: 1-line block ×3, first 2 shown]
	v_cmp_lt_u32_e32 vcc_lo, 56, v5
	s_or_b32 s5, vcc_lo, s5
	s_waitcnt vmcnt(1) lgkmcnt(0)
	v_mul_f32_e32 v135, v10, v11
	v_mul_f32_e32 v11, v9, v11
	s_waitcnt vmcnt(0)
	v_fma_f32 v9, v9, v12, -v135
	v_fmac_f32_e32 v11, v10, v12
	v_add_f32_e32 v8, v8, v9
	v_add_f32_e32 v2, v2, v11
	s_andn2_b32 exec_lo, exec_lo, s5
	s_cbranch_execnz .LBB60_245
; %bb.246:
	s_or_b32 exec_lo, exec_lo, s5
	v_mov_b32_e32 v5, 0
	ds_read_b64 v[5:6], v5 offset:464
	s_waitcnt lgkmcnt(0)
	v_mul_f32_e32 v7, v2, v6
	v_mul_f32_e32 v6, v8, v6
	v_fma_f32 v7, v8, v5, -v7
	v_fmac_f32_e32 v6, v2, v5
	buffer_store_dword v7, off, s[0:3], 0 offset:464
	buffer_store_dword v6, off, s[0:3], 0 offset:468
.LBB60_247:
	s_or_b32 exec_lo, exec_lo, s4
	s_waitcnt_vscnt null, 0x0
	s_barrier
	buffer_gl0_inv
	s_clause 0x1
	buffer_load_dword v5, off, s[0:3], 0 offset:472
	buffer_load_dword v6, off, s[0:3], 0 offset:476
	s_mov_b32 s4, exec_lo
	s_waitcnt vmcnt(0)
	ds_write_b64 v4, v[5:6]
	s_waitcnt lgkmcnt(0)
	s_barrier
	buffer_gl0_inv
	v_cmpx_gt_u32_e32 59, v0
	s_cbranch_execz .LBB60_251
; %bb.248:
	v_add_nc_u32_e32 v5, -1, v0
	v_add_nc_u32_e32 v6, 0x1f0, v3
	v_mov_b32_e32 v7, v3
	v_mov_b32_e32 v2, 0
	;; [unrolled: 1-line block ×3, first 2 shown]
	s_mov_b32 s5, 0
	.p2align	6
.LBB60_249:                             ; =>This Inner Loop Header: Depth=1
	s_clause 0x1
	buffer_load_dword v11, v7, s[0:3], 0 offen offset:4
	buffer_load_dword v12, v7, s[0:3], 0 offen
	ds_read_b64 v[9:10], v6
	v_add_nc_u32_e32 v5, 1, v5
	v_add_nc_u32_e32 v6, 8, v6
	;; [unrolled: 1-line block ×3, first 2 shown]
	v_cmp_lt_u32_e32 vcc_lo, 57, v5
	s_or_b32 s5, vcc_lo, s5
	s_waitcnt vmcnt(1) lgkmcnt(0)
	v_mul_f32_e32 v135, v10, v11
	v_mul_f32_e32 v11, v9, v11
	s_waitcnt vmcnt(0)
	v_fma_f32 v9, v9, v12, -v135
	v_fmac_f32_e32 v11, v10, v12
	v_add_f32_e32 v8, v8, v9
	v_add_f32_e32 v2, v2, v11
	s_andn2_b32 exec_lo, exec_lo, s5
	s_cbranch_execnz .LBB60_249
; %bb.250:
	s_or_b32 exec_lo, exec_lo, s5
	v_mov_b32_e32 v5, 0
	ds_read_b64 v[5:6], v5 offset:472
	s_waitcnt lgkmcnt(0)
	v_mul_f32_e32 v7, v2, v6
	v_mul_f32_e32 v6, v8, v6
	v_fma_f32 v7, v8, v5, -v7
	v_fmac_f32_e32 v6, v2, v5
	buffer_store_dword v7, off, s[0:3], 0 offset:472
	buffer_store_dword v6, off, s[0:3], 0 offset:476
.LBB60_251:
	s_or_b32 exec_lo, exec_lo, s4
	s_waitcnt_vscnt null, 0x0
	s_barrier
	buffer_gl0_inv
	s_clause 0x1
	buffer_load_dword v5, off, s[0:3], 0 offset:480
	buffer_load_dword v6, off, s[0:3], 0 offset:484
	s_mov_b32 s4, exec_lo
	s_waitcnt vmcnt(0)
	ds_write_b64 v4, v[5:6]
	s_waitcnt lgkmcnt(0)
	s_barrier
	buffer_gl0_inv
	v_cmpx_ne_u32_e32 60, v0
	s_cbranch_execz .LBB60_255
; %bb.252:
	v_mov_b32_e32 v2, 0
	v_mov_b32_e32 v5, 0
	s_mov_b32 s5, 0
	.p2align	6
.LBB60_253:                             ; =>This Inner Loop Header: Depth=1
	s_clause 0x1
	buffer_load_dword v8, v3, s[0:3], 0 offen offset:4
	buffer_load_dword v9, v3, s[0:3], 0 offen
	ds_read_b64 v[6:7], v4
	v_add_nc_u32_e32 v1, 1, v1
	v_add_nc_u32_e32 v4, 8, v4
	v_add_nc_u32_e32 v3, 8, v3
	v_cmp_lt_u32_e32 vcc_lo, 58, v1
	s_or_b32 s5, vcc_lo, s5
	s_waitcnt vmcnt(1) lgkmcnt(0)
	v_mul_f32_e32 v10, v7, v8
	v_mul_f32_e32 v8, v6, v8
	s_waitcnt vmcnt(0)
	v_fma_f32 v6, v6, v9, -v10
	v_fmac_f32_e32 v8, v7, v9
	v_add_f32_e32 v5, v5, v6
	v_add_f32_e32 v2, v2, v8
	s_andn2_b32 exec_lo, exec_lo, s5
	s_cbranch_execnz .LBB60_253
; %bb.254:
	s_or_b32 exec_lo, exec_lo, s5
	v_mov_b32_e32 v1, 0
	ds_read_b64 v[3:4], v1 offset:480
	s_waitcnt lgkmcnt(0)
	v_mul_f32_e32 v1, v2, v4
	v_mul_f32_e32 v4, v5, v4
	v_fma_f32 v1, v5, v3, -v1
	v_fmac_f32_e32 v4, v2, v3
	buffer_store_dword v1, off, s[0:3], 0 offset:480
	buffer_store_dword v4, off, s[0:3], 0 offset:484
.LBB60_255:
	s_or_b32 exec_lo, exec_lo, s4
	s_mov_b32 s5, -1
	s_waitcnt_vscnt null, 0x0
	s_barrier
	buffer_gl0_inv
.LBB60_256:
	s_and_b32 vcc_lo, exec_lo, s5
	s_cbranch_vccz .LBB60_258
; %bb.257:
	s_lshl_b64 s[4:5], s[6:7], 2
	v_mov_b32_e32 v1, 0
	s_add_u32 s4, s10, s4
	s_addc_u32 s5, s11, s5
	global_load_dword v1, v1, s[4:5]
	s_waitcnt vmcnt(0)
	v_cmp_ne_u32_e32 vcc_lo, 0, v1
	s_cbranch_vccz .LBB60_259
.LBB60_258:
	s_endpgm
.LBB60_259:
	v_lshl_add_u32 v135, v0, 3, 0x1f0
	s_mov_b32 s4, exec_lo
	v_cmpx_eq_u32_e32 60, v0
	s_cbranch_execz .LBB60_261
; %bb.260:
	s_clause 0x1
	buffer_load_dword v1, off, s[0:3], 0 offset:472
	buffer_load_dword v2, off, s[0:3], 0 offset:476
	v_mov_b32_e32 v3, 0
	buffer_store_dword v3, off, s[0:3], 0 offset:472
	buffer_store_dword v3, off, s[0:3], 0 offset:476
	s_waitcnt vmcnt(0)
	ds_write_b64 v135, v[1:2]
.LBB60_261:
	s_or_b32 exec_lo, exec_lo, s4
	s_waitcnt lgkmcnt(0)
	s_waitcnt_vscnt null, 0x0
	s_barrier
	buffer_gl0_inv
	s_clause 0x3
	buffer_load_dword v4, off, s[0:3], 0 offset:484
	buffer_load_dword v5, off, s[0:3], 0 offset:480
	;; [unrolled: 1-line block ×4, first 2 shown]
	v_mov_b32_e32 v1, 0
	s_mov_b32 s4, exec_lo
	ds_read_b64 v[2:3], v1 offset:976
	s_waitcnt vmcnt(3) lgkmcnt(0)
	v_mul_f32_e32 v8, v3, v4
	v_mul_f32_e32 v4, v2, v4
	s_waitcnt vmcnt(2)
	v_fma_f32 v2, v2, v5, -v8
	v_fmac_f32_e32 v4, v3, v5
	v_add_f32_e32 v2, 0, v2
	v_add_f32_e32 v3, 0, v4
	s_waitcnt vmcnt(1)
	v_sub_f32_e32 v2, v6, v2
	s_waitcnt vmcnt(0)
	v_sub_f32_e32 v3, v7, v3
	buffer_store_dword v2, off, s[0:3], 0 offset:472
	buffer_store_dword v3, off, s[0:3], 0 offset:476
	v_cmpx_lt_u32_e32 58, v0
	s_cbranch_execz .LBB60_263
; %bb.262:
	s_clause 0x1
	buffer_load_dword v2, off, s[0:3], 0 offset:464
	buffer_load_dword v3, off, s[0:3], 0 offset:468
	buffer_store_dword v1, off, s[0:3], 0 offset:464
	buffer_store_dword v1, off, s[0:3], 0 offset:468
	s_waitcnt vmcnt(0)
	ds_write_b64 v135, v[2:3]
.LBB60_263:
	s_or_b32 exec_lo, exec_lo, s4
	s_waitcnt lgkmcnt(0)
	s_waitcnt_vscnt null, 0x0
	s_barrier
	buffer_gl0_inv
	s_clause 0x5
	buffer_load_dword v5, off, s[0:3], 0 offset:476
	buffer_load_dword v6, off, s[0:3], 0 offset:484
	;; [unrolled: 1-line block ×6, first 2 shown]
	ds_read2_b64 v[1:4], v1 offset0:121 offset1:122
	s_mov_b32 s4, exec_lo
	s_waitcnt vmcnt(5) lgkmcnt(0)
	v_mul_f32_e32 v11, v2, v5
	v_mul_f32_e32 v5, v1, v5
	s_waitcnt vmcnt(4)
	v_mul_f32_e32 v12, v3, v6
	v_mul_f32_e32 v6, v4, v6
	s_waitcnt vmcnt(3)
	v_fma_f32 v1, v1, v7, -v11
	v_fmac_f32_e32 v5, v2, v7
	s_waitcnt vmcnt(2)
	v_fmac_f32_e32 v12, v4, v8
	v_fma_f32 v2, v3, v8, -v6
	v_add_f32_e32 v1, 0, v1
	v_add_f32_e32 v3, 0, v5
	v_add_f32_e32 v1, v1, v2
	v_add_f32_e32 v2, v3, v12
	s_waitcnt vmcnt(1)
	v_sub_f32_e32 v1, v9, v1
	s_waitcnt vmcnt(0)
	v_sub_f32_e32 v2, v10, v2
	buffer_store_dword v1, off, s[0:3], 0 offset:464
	buffer_store_dword v2, off, s[0:3], 0 offset:468
	v_cmpx_lt_u32_e32 57, v0
	s_cbranch_execz .LBB60_265
; %bb.264:
	s_clause 0x1
	buffer_load_dword v1, off, s[0:3], 0 offset:456
	buffer_load_dword v2, off, s[0:3], 0 offset:460
	v_mov_b32_e32 v3, 0
	buffer_store_dword v3, off, s[0:3], 0 offset:456
	buffer_store_dword v3, off, s[0:3], 0 offset:460
	s_waitcnt vmcnt(0)
	ds_write_b64 v135, v[1:2]
.LBB60_265:
	s_or_b32 exec_lo, exec_lo, s4
	s_waitcnt lgkmcnt(0)
	s_waitcnt_vscnt null, 0x0
	s_barrier
	buffer_gl0_inv
	s_clause 0x7
	buffer_load_dword v8, off, s[0:3], 0 offset:468
	buffer_load_dword v9, off, s[0:3], 0 offset:476
	;; [unrolled: 1-line block ×8, first 2 shown]
	v_mov_b32_e32 v1, 0
	ds_read_b128 v[2:5], v1 offset:960
	ds_read_b64 v[6:7], v1 offset:976
	s_mov_b32 s4, exec_lo
	s_waitcnt vmcnt(7) lgkmcnt(1)
	v_mul_f32_e32 v139, v3, v8
	v_mul_f32_e32 v8, v2, v8
	s_waitcnt vmcnt(6)
	v_mul_f32_e32 v140, v4, v9
	v_mul_f32_e32 v9, v5, v9
	s_waitcnt vmcnt(5) lgkmcnt(0)
	v_mul_f32_e32 v141, v6, v10
	s_waitcnt vmcnt(4)
	v_fma_f32 v2, v2, v11, -v139
	v_fmac_f32_e32 v8, v3, v11
	v_mul_f32_e32 v3, v7, v10
	s_waitcnt vmcnt(3)
	v_fma_f32 v4, v4, v12, -v9
	v_fmac_f32_e32 v140, v5, v12
	v_add_f32_e32 v2, 0, v2
	v_add_f32_e32 v5, 0, v8
	s_waitcnt vmcnt(2)
	v_fma_f32 v3, v6, v136, -v3
	v_fmac_f32_e32 v141, v7, v136
	v_add_f32_e32 v2, v2, v4
	v_add_f32_e32 v4, v5, v140
	v_add_f32_e32 v2, v2, v3
	v_add_f32_e32 v3, v4, v141
	s_waitcnt vmcnt(1)
	v_sub_f32_e32 v2, v137, v2
	s_waitcnt vmcnt(0)
	v_sub_f32_e32 v3, v138, v3
	buffer_store_dword v2, off, s[0:3], 0 offset:456
	buffer_store_dword v3, off, s[0:3], 0 offset:460
	v_cmpx_lt_u32_e32 56, v0
	s_cbranch_execz .LBB60_267
; %bb.266:
	s_clause 0x1
	buffer_load_dword v2, off, s[0:3], 0 offset:448
	buffer_load_dword v3, off, s[0:3], 0 offset:452
	buffer_store_dword v1, off, s[0:3], 0 offset:448
	buffer_store_dword v1, off, s[0:3], 0 offset:452
	s_waitcnt vmcnt(0)
	ds_write_b64 v135, v[2:3]
.LBB60_267:
	s_or_b32 exec_lo, exec_lo, s4
	s_waitcnt lgkmcnt(0)
	s_waitcnt_vscnt null, 0x0
	s_barrier
	buffer_gl0_inv
	s_clause 0x9
	buffer_load_dword v10, off, s[0:3], 0 offset:460
	buffer_load_dword v11, off, s[0:3], 0 offset:468
	;; [unrolled: 1-line block ×10, first 2 shown]
	ds_read2_b64 v[2:5], v1 offset0:119 offset1:120
	ds_read2_b64 v[6:9], v1 offset0:121 offset1:122
	s_mov_b32 s4, exec_lo
	s_waitcnt vmcnt(9) lgkmcnt(1)
	v_mul_f32_e32 v1, v2, v10
	v_mul_f32_e32 v10, v3, v10
	s_waitcnt vmcnt(8)
	v_mul_f32_e32 v143, v4, v11
	v_mul_f32_e32 v11, v5, v11
	s_waitcnt vmcnt(7) lgkmcnt(0)
	v_mul_f32_e32 v144, v6, v12
	s_waitcnt vmcnt(5)
	v_fmac_f32_e32 v1, v3, v137
	v_fma_f32 v2, v2, v137, -v10
	v_mul_f32_e32 v3, v7, v12
	s_waitcnt vmcnt(4)
	v_fma_f32 v4, v4, v138, -v11
	v_fmac_f32_e32 v143, v5, v138
	v_add_f32_e32 v1, 0, v1
	v_add_f32_e32 v2, 0, v2
	v_mul_f32_e32 v5, v9, v136
	s_waitcnt vmcnt(3)
	v_fma_f32 v3, v6, v139, -v3
	v_mul_f32_e32 v145, v8, v136
	v_fmac_f32_e32 v144, v7, v139
	v_add_f32_e32 v2, v2, v4
	v_add_f32_e32 v1, v1, v143
	s_waitcnt vmcnt(2)
	v_fma_f32 v4, v8, v140, -v5
	v_fmac_f32_e32 v145, v9, v140
	v_add_f32_e32 v2, v2, v3
	v_add_f32_e32 v1, v1, v144
	;; [unrolled: 1-line block ×4, first 2 shown]
	s_waitcnt vmcnt(1)
	v_sub_f32_e32 v2, v141, v2
	s_waitcnt vmcnt(0)
	v_sub_f32_e32 v1, v142, v1
	buffer_store_dword v2, off, s[0:3], 0 offset:448
	buffer_store_dword v1, off, s[0:3], 0 offset:452
	v_cmpx_lt_u32_e32 55, v0
	s_cbranch_execz .LBB60_269
; %bb.268:
	s_clause 0x1
	buffer_load_dword v1, off, s[0:3], 0 offset:440
	buffer_load_dword v2, off, s[0:3], 0 offset:444
	v_mov_b32_e32 v3, 0
	buffer_store_dword v3, off, s[0:3], 0 offset:440
	buffer_store_dword v3, off, s[0:3], 0 offset:444
	s_waitcnt vmcnt(0)
	ds_write_b64 v135, v[1:2]
.LBB60_269:
	s_or_b32 exec_lo, exec_lo, s4
	s_waitcnt lgkmcnt(0)
	s_waitcnt_vscnt null, 0x0
	s_barrier
	buffer_gl0_inv
	s_clause 0xb
	buffer_load_dword v12, off, s[0:3], 0 offset:452
	buffer_load_dword v136, off, s[0:3], 0 offset:460
	;; [unrolled: 1-line block ×12, first 2 shown]
	v_mov_b32_e32 v1, 0
	ds_read_b128 v[2:5], v1 offset:944
	ds_read_b128 v[6:9], v1 offset:960
	ds_read_b64 v[10:11], v1 offset:976
	s_mov_b32 s4, exec_lo
	s_waitcnt vmcnt(11) lgkmcnt(2)
	v_mul_f32_e32 v147, v2, v12
	v_mul_f32_e32 v12, v3, v12
	s_waitcnt vmcnt(10)
	v_mul_f32_e32 v148, v4, v136
	v_mul_f32_e32 v136, v5, v136
	s_waitcnt vmcnt(9) lgkmcnt(1)
	v_mul_f32_e32 v149, v6, v137
	s_waitcnt vmcnt(6)
	v_fmac_f32_e32 v147, v3, v140
	v_fma_f32 v2, v2, v140, -v12
	v_mul_f32_e32 v3, v7, v137
	s_waitcnt vmcnt(5)
	v_fma_f32 v4, v4, v141, -v136
	v_fmac_f32_e32 v148, v5, v141
	v_add_f32_e32 v5, 0, v147
	v_add_f32_e32 v2, 0, v2
	v_mul_f32_e32 v12, v9, v138
	s_waitcnt vmcnt(4)
	v_fma_f32 v3, v6, v142, -v3
	v_mul_f32_e32 v150, v8, v138
	v_fmac_f32_e32 v149, v7, v142
	v_add_f32_e32 v2, v2, v4
	v_add_f32_e32 v4, v5, v148
	s_waitcnt lgkmcnt(0)
	v_mul_f32_e32 v5, v11, v139
	s_waitcnt vmcnt(3)
	v_fma_f32 v6, v8, v143, -v12
	v_mul_f32_e32 v151, v10, v139
	v_add_f32_e32 v2, v2, v3
	v_fmac_f32_e32 v150, v9, v143
	v_add_f32_e32 v3, v4, v149
	s_waitcnt vmcnt(2)
	v_fma_f32 v4, v10, v144, -v5
	v_fmac_f32_e32 v151, v11, v144
	v_add_f32_e32 v2, v2, v6
	v_add_f32_e32 v3, v3, v150
	;; [unrolled: 1-line block ×4, first 2 shown]
	s_waitcnt vmcnt(1)
	v_sub_f32_e32 v2, v145, v2
	s_waitcnt vmcnt(0)
	v_sub_f32_e32 v3, v146, v3
	buffer_store_dword v2, off, s[0:3], 0 offset:440
	buffer_store_dword v3, off, s[0:3], 0 offset:444
	v_cmpx_lt_u32_e32 54, v0
	s_cbranch_execz .LBB60_271
; %bb.270:
	s_clause 0x1
	buffer_load_dword v2, off, s[0:3], 0 offset:432
	buffer_load_dword v3, off, s[0:3], 0 offset:436
	buffer_store_dword v1, off, s[0:3], 0 offset:432
	buffer_store_dword v1, off, s[0:3], 0 offset:436
	s_waitcnt vmcnt(0)
	ds_write_b64 v135, v[2:3]
.LBB60_271:
	s_or_b32 exec_lo, exec_lo, s4
	s_waitcnt lgkmcnt(0)
	s_waitcnt_vscnt null, 0x0
	s_barrier
	buffer_gl0_inv
	s_clause 0xd
	buffer_load_dword v10, off, s[0:3], 0 offset:444
	buffer_load_dword v11, off, s[0:3], 0 offset:452
	;; [unrolled: 1-line block ×14, first 2 shown]
	ds_read2_b64 v[2:5], v1 offset0:117 offset1:118
	ds_read2_b64 v[6:9], v1 offset0:119 offset1:120
	;; [unrolled: 1-line block ×3, first 2 shown]
	s_mov_b32 s4, exec_lo
	s_waitcnt vmcnt(13) lgkmcnt(2)
	v_mul_f32_e32 v1, v2, v10
	v_mul_f32_e32 v10, v3, v10
	s_waitcnt vmcnt(12)
	v_mul_f32_e32 v151, v4, v11
	v_mul_f32_e32 v11, v5, v11
	s_waitcnt vmcnt(11) lgkmcnt(1)
	v_mul_f32_e32 v152, v6, v12
	s_waitcnt vmcnt(10)
	v_mul_f32_e32 v153, v8, v140
	s_waitcnt vmcnt(7)
	v_fma_f32 v2, v2, v143, -v10
	v_fmac_f32_e32 v1, v3, v143
	v_mul_f32_e32 v3, v7, v12
	s_waitcnt vmcnt(6)
	v_fma_f32 v4, v4, v144, -v11
	v_fmac_f32_e32 v151, v5, v144
	v_add_f32_e32 v2, 0, v2
	v_add_f32_e32 v1, 0, v1
	v_mul_f32_e32 v5, v9, v140
	s_waitcnt vmcnt(5)
	v_fma_f32 v3, v6, v145, -v3
	v_fmac_f32_e32 v152, v7, v145
	v_add_f32_e32 v2, v2, v4
	v_add_f32_e32 v1, v1, v151
	s_waitcnt lgkmcnt(0)
	v_mul_f32_e32 v4, v137, v141
	s_waitcnt vmcnt(4)
	v_fma_f32 v5, v8, v146, -v5
	v_mul_f32_e32 v154, v136, v141
	v_add_f32_e32 v2, v2, v3
	v_fmac_f32_e32 v153, v9, v146
	v_add_f32_e32 v1, v1, v152
	v_mul_f32_e32 v3, v139, v142
	s_waitcnt vmcnt(3)
	v_fma_f32 v4, v136, v147, -v4
	v_add_f32_e32 v2, v2, v5
	v_mul_f32_e32 v155, v138, v142
	v_fmac_f32_e32 v154, v137, v147
	v_add_f32_e32 v1, v1, v153
	s_waitcnt vmcnt(2)
	v_fma_f32 v3, v138, v148, -v3
	v_add_f32_e32 v2, v2, v4
	v_fmac_f32_e32 v155, v139, v148
	v_add_f32_e32 v1, v1, v154
	v_add_f32_e32 v2, v2, v3
	v_add_f32_e32 v1, v1, v155
	s_waitcnt vmcnt(1)
	v_sub_f32_e32 v2, v149, v2
	s_waitcnt vmcnt(0)
	v_sub_f32_e32 v1, v150, v1
	buffer_store_dword v2, off, s[0:3], 0 offset:432
	buffer_store_dword v1, off, s[0:3], 0 offset:436
	v_cmpx_lt_u32_e32 53, v0
	s_cbranch_execz .LBB60_273
; %bb.272:
	s_clause 0x1
	buffer_load_dword v1, off, s[0:3], 0 offset:424
	buffer_load_dword v2, off, s[0:3], 0 offset:428
	v_mov_b32_e32 v3, 0
	buffer_store_dword v3, off, s[0:3], 0 offset:424
	buffer_store_dword v3, off, s[0:3], 0 offset:428
	s_waitcnt vmcnt(0)
	ds_write_b64 v135, v[1:2]
.LBB60_273:
	s_or_b32 exec_lo, exec_lo, s4
	s_waitcnt lgkmcnt(0)
	s_waitcnt_vscnt null, 0x0
	s_barrier
	buffer_gl0_inv
	s_clause 0xf
	buffer_load_dword v12, off, s[0:3], 0 offset:436
	buffer_load_dword v140, off, s[0:3], 0 offset:444
	;; [unrolled: 1-line block ×16, first 2 shown]
	v_mov_b32_e32 v1, 0
	ds_read_b128 v[2:5], v1 offset:928
	ds_read_b128 v[6:9], v1 offset:944
	;; [unrolled: 1-line block ×3, first 2 shown]
	ds_read_b64 v[10:11], v1 offset:976
	s_mov_b32 s4, exec_lo
	s_waitcnt vmcnt(15) lgkmcnt(3)
	v_mul_f32_e32 v155, v2, v12
	v_mul_f32_e32 v12, v3, v12
	s_waitcnt vmcnt(14)
	v_mul_f32_e32 v156, v4, v140
	v_mul_f32_e32 v140, v5, v140
	s_waitcnt vmcnt(13) lgkmcnt(2)
	v_mul_f32_e32 v157, v6, v141
	s_waitcnt vmcnt(12)
	v_mul_f32_e32 v158, v8, v142
	s_waitcnt vmcnt(11) lgkmcnt(1)
	v_mul_f32_e32 v159, v136, v143
	s_waitcnt vmcnt(8)
	v_fma_f32 v2, v2, v146, -v12
	v_fmac_f32_e32 v155, v3, v146
	v_mul_f32_e32 v3, v7, v141
	s_waitcnt vmcnt(7)
	v_fma_f32 v4, v4, v147, -v140
	v_fmac_f32_e32 v156, v5, v147
	v_add_f32_e32 v2, 0, v2
	v_add_f32_e32 v5, 0, v155
	v_mul_f32_e32 v12, v9, v142
	s_waitcnt vmcnt(6)
	v_fma_f32 v3, v6, v148, -v3
	v_fmac_f32_e32 v157, v7, v148
	v_add_f32_e32 v2, v2, v4
	v_add_f32_e32 v4, v5, v156
	;; [unrolled: 6-line block ×3, first 2 shown]
	v_mul_f32_e32 v4, v139, v144
	s_waitcnt vmcnt(4)
	v_fma_f32 v5, v136, v150, -v5
	v_mul_f32_e32 v160, v138, v144
	v_add_f32_e32 v2, v2, v6
	v_fmac_f32_e32 v159, v137, v150
	v_add_f32_e32 v3, v3, v158
	s_waitcnt lgkmcnt(0)
	v_mul_f32_e32 v6, v11, v145
	s_waitcnt vmcnt(3)
	v_fma_f32 v4, v138, v151, -v4
	v_add_f32_e32 v2, v2, v5
	v_mul_f32_e32 v161, v10, v145
	v_fmac_f32_e32 v160, v139, v151
	v_add_f32_e32 v3, v3, v159
	s_waitcnt vmcnt(2)
	v_fma_f32 v5, v10, v152, -v6
	v_add_f32_e32 v2, v2, v4
	v_fmac_f32_e32 v161, v11, v152
	v_add_f32_e32 v3, v3, v160
	v_add_f32_e32 v2, v2, v5
	;; [unrolled: 1-line block ×3, first 2 shown]
	s_waitcnt vmcnt(1)
	v_sub_f32_e32 v2, v153, v2
	s_waitcnt vmcnt(0)
	v_sub_f32_e32 v3, v154, v3
	buffer_store_dword v2, off, s[0:3], 0 offset:424
	buffer_store_dword v3, off, s[0:3], 0 offset:428
	v_cmpx_lt_u32_e32 52, v0
	s_cbranch_execz .LBB60_275
; %bb.274:
	s_clause 0x1
	buffer_load_dword v2, off, s[0:3], 0 offset:416
	buffer_load_dword v3, off, s[0:3], 0 offset:420
	buffer_store_dword v1, off, s[0:3], 0 offset:416
	buffer_store_dword v1, off, s[0:3], 0 offset:420
	s_waitcnt vmcnt(0)
	ds_write_b64 v135, v[2:3]
.LBB60_275:
	s_or_b32 exec_lo, exec_lo, s4
	s_waitcnt lgkmcnt(0)
	s_waitcnt_vscnt null, 0x0
	s_barrier
	buffer_gl0_inv
	s_clause 0x11
	buffer_load_dword v10, off, s[0:3], 0 offset:428
	buffer_load_dword v11, off, s[0:3], 0 offset:436
	;; [unrolled: 1-line block ×18, first 2 shown]
	ds_read2_b64 v[2:5], v1 offset0:115 offset1:116
	ds_read2_b64 v[6:9], v1 offset0:117 offset1:118
	;; [unrolled: 1-line block ×4, first 2 shown]
	s_mov_b32 s4, exec_lo
	s_waitcnt vmcnt(17) lgkmcnt(3)
	v_mul_f32_e32 v1, v2, v10
	v_mul_f32_e32 v10, v3, v10
	s_waitcnt vmcnt(16)
	v_mul_f32_e32 v159, v4, v11
	v_mul_f32_e32 v11, v5, v11
	s_waitcnt vmcnt(15) lgkmcnt(2)
	v_mul_f32_e32 v160, v6, v12
	s_waitcnt vmcnt(14)
	v_mul_f32_e32 v161, v8, v144
	s_waitcnt vmcnt(13) lgkmcnt(1)
	v_mul_f32_e32 v162, v136, v145
	s_waitcnt vmcnt(12)
	v_mul_f32_e32 v163, v138, v146
	s_waitcnt vmcnt(9)
	v_fma_f32 v2, v2, v149, -v10
	v_fmac_f32_e32 v1, v3, v149
	v_mul_f32_e32 v3, v7, v12
	s_waitcnt vmcnt(8)
	v_fma_f32 v4, v4, v150, -v11
	v_fmac_f32_e32 v159, v5, v150
	v_add_f32_e32 v2, 0, v2
	v_add_f32_e32 v1, 0, v1
	v_mul_f32_e32 v5, v9, v144
	s_waitcnt vmcnt(7)
	v_fma_f32 v3, v6, v151, -v3
	v_fmac_f32_e32 v160, v7, v151
	v_add_f32_e32 v2, v2, v4
	v_add_f32_e32 v1, v1, v159
	;; [unrolled: 6-line block ×4, first 2 shown]
	s_waitcnt lgkmcnt(0)
	v_mul_f32_e32 v5, v141, v147
	s_waitcnt vmcnt(4)
	v_fma_f32 v3, v138, v154, -v3
	v_mul_f32_e32 v164, v140, v147
	v_add_f32_e32 v2, v2, v4
	v_fmac_f32_e32 v163, v139, v154
	v_add_f32_e32 v1, v1, v162
	v_mul_f32_e32 v4, v143, v148
	s_waitcnt vmcnt(3)
	v_fma_f32 v5, v140, v155, -v5
	v_add_f32_e32 v2, v2, v3
	v_mul_f32_e32 v165, v142, v148
	v_fmac_f32_e32 v164, v141, v155
	v_add_f32_e32 v1, v1, v163
	s_waitcnt vmcnt(2)
	v_fma_f32 v3, v142, v156, -v4
	v_add_f32_e32 v2, v2, v5
	v_fmac_f32_e32 v165, v143, v156
	v_add_f32_e32 v1, v1, v164
	v_add_f32_e32 v2, v2, v3
	;; [unrolled: 1-line block ×3, first 2 shown]
	s_waitcnt vmcnt(1)
	v_sub_f32_e32 v2, v157, v2
	s_waitcnt vmcnt(0)
	v_sub_f32_e32 v1, v158, v1
	buffer_store_dword v2, off, s[0:3], 0 offset:416
	buffer_store_dword v1, off, s[0:3], 0 offset:420
	v_cmpx_lt_u32_e32 51, v0
	s_cbranch_execz .LBB60_277
; %bb.276:
	s_clause 0x1
	buffer_load_dword v1, off, s[0:3], 0 offset:408
	buffer_load_dword v2, off, s[0:3], 0 offset:412
	v_mov_b32_e32 v3, 0
	buffer_store_dword v3, off, s[0:3], 0 offset:408
	buffer_store_dword v3, off, s[0:3], 0 offset:412
	s_waitcnt vmcnt(0)
	ds_write_b64 v135, v[1:2]
.LBB60_277:
	s_or_b32 exec_lo, exec_lo, s4
	s_waitcnt lgkmcnt(0)
	s_waitcnt_vscnt null, 0x0
	s_barrier
	buffer_gl0_inv
	s_clause 0x13
	buffer_load_dword v12, off, s[0:3], 0 offset:420
	buffer_load_dword v144, off, s[0:3], 0 offset:428
	;; [unrolled: 1-line block ×20, first 2 shown]
	v_mov_b32_e32 v1, 0
	ds_read_b128 v[2:5], v1 offset:912
	ds_read_b128 v[6:9], v1 offset:928
	;; [unrolled: 1-line block ×4, first 2 shown]
	ds_read_b64 v[10:11], v1 offset:976
	s_mov_b32 s4, exec_lo
	s_waitcnt vmcnt(19) lgkmcnt(4)
	v_mul_f32_e32 v163, v2, v12
	v_mul_f32_e32 v12, v3, v12
	s_waitcnt vmcnt(18)
	v_mul_f32_e32 v164, v4, v144
	v_mul_f32_e32 v144, v5, v144
	s_waitcnt vmcnt(17) lgkmcnt(3)
	v_mul_f32_e32 v165, v6, v145
	s_waitcnt vmcnt(16)
	v_mul_f32_e32 v166, v8, v146
	s_waitcnt vmcnt(15) lgkmcnt(2)
	v_mul_f32_e32 v167, v136, v147
	s_waitcnt vmcnt(14)
	;; [unrolled: 4-line block ×3, first 2 shown]
	v_fma_f32 v2, v2, v152, -v12
	v_fmac_f32_e32 v163, v3, v152
	v_mul_f32_e32 v3, v7, v145
	s_waitcnt vmcnt(9)
	v_fma_f32 v4, v4, v153, -v144
	v_fmac_f32_e32 v164, v5, v153
	v_add_f32_e32 v2, 0, v2
	v_add_f32_e32 v5, 0, v163
	v_mul_f32_e32 v12, v9, v146
	s_waitcnt vmcnt(8)
	v_fma_f32 v3, v6, v154, -v3
	v_fmac_f32_e32 v165, v7, v154
	v_add_f32_e32 v2, v2, v4
	v_add_f32_e32 v4, v5, v164
	;; [unrolled: 6-line block ×5, first 2 shown]
	v_mul_f32_e32 v5, v143, v150
	s_waitcnt vmcnt(4)
	v_fma_f32 v6, v140, v158, -v6
	v_mul_f32_e32 v170, v142, v150
	v_add_f32_e32 v2, v2, v4
	v_fmac_f32_e32 v169, v141, v158
	v_add_f32_e32 v3, v3, v168
	s_waitcnt lgkmcnt(0)
	v_mul_f32_e32 v4, v11, v151
	s_waitcnt vmcnt(3)
	v_fma_f32 v5, v142, v159, -v5
	v_add_f32_e32 v2, v2, v6
	v_mul_f32_e32 v171, v10, v151
	v_fmac_f32_e32 v170, v143, v159
	v_add_f32_e32 v3, v3, v169
	s_waitcnt vmcnt(2)
	v_fma_f32 v4, v10, v160, -v4
	v_add_f32_e32 v2, v2, v5
	v_fmac_f32_e32 v171, v11, v160
	v_add_f32_e32 v3, v3, v170
	v_add_f32_e32 v2, v2, v4
	;; [unrolled: 1-line block ×3, first 2 shown]
	s_waitcnt vmcnt(1)
	v_sub_f32_e32 v2, v161, v2
	s_waitcnt vmcnt(0)
	v_sub_f32_e32 v3, v162, v3
	buffer_store_dword v2, off, s[0:3], 0 offset:408
	buffer_store_dword v3, off, s[0:3], 0 offset:412
	v_cmpx_lt_u32_e32 50, v0
	s_cbranch_execz .LBB60_279
; %bb.278:
	s_clause 0x1
	buffer_load_dword v2, off, s[0:3], 0 offset:400
	buffer_load_dword v3, off, s[0:3], 0 offset:404
	buffer_store_dword v1, off, s[0:3], 0 offset:400
	buffer_store_dword v1, off, s[0:3], 0 offset:404
	s_waitcnt vmcnt(0)
	ds_write_b64 v135, v[2:3]
.LBB60_279:
	s_or_b32 exec_lo, exec_lo, s4
	s_waitcnt lgkmcnt(0)
	s_waitcnt_vscnt null, 0x0
	s_barrier
	buffer_gl0_inv
	s_clause 0x15
	buffer_load_dword v10, off, s[0:3], 0 offset:412
	buffer_load_dword v11, off, s[0:3], 0 offset:420
	;; [unrolled: 1-line block ×22, first 2 shown]
	ds_read2_b64 v[2:5], v1 offset0:113 offset1:114
	ds_read2_b64 v[6:9], v1 offset0:115 offset1:116
	;; [unrolled: 1-line block ×5, first 2 shown]
	s_mov_b32 s4, exec_lo
	s_waitcnt vmcnt(21) lgkmcnt(4)
	v_mul_f32_e32 v1, v2, v10
	v_mul_f32_e32 v10, v3, v10
	s_waitcnt vmcnt(20)
	v_mul_f32_e32 v167, v4, v11
	v_mul_f32_e32 v11, v5, v11
	s_waitcnt vmcnt(19) lgkmcnt(3)
	v_mul_f32_e32 v168, v6, v12
	s_waitcnt vmcnt(18)
	v_mul_f32_e32 v169, v8, v148
	s_waitcnt vmcnt(17) lgkmcnt(2)
	v_mul_f32_e32 v170, v136, v149
	s_waitcnt vmcnt(16)
	;; [unrolled: 4-line block ×3, first 2 shown]
	v_mul_f32_e32 v173, v142, v152
	s_waitcnt vmcnt(11)
	v_fma_f32 v2, v2, v155, -v10
	v_fmac_f32_e32 v1, v3, v155
	v_mul_f32_e32 v3, v7, v12
	s_waitcnt vmcnt(10)
	v_fma_f32 v4, v4, v156, -v11
	v_fmac_f32_e32 v167, v5, v156
	v_add_f32_e32 v2, 0, v2
	v_add_f32_e32 v1, 0, v1
	v_mul_f32_e32 v5, v9, v148
	s_waitcnt vmcnt(9)
	v_fma_f32 v3, v6, v157, -v3
	v_fmac_f32_e32 v168, v7, v157
	v_add_f32_e32 v2, v2, v4
	v_add_f32_e32 v1, v1, v167
	v_mul_f32_e32 v4, v137, v149
	s_waitcnt vmcnt(8)
	v_fma_f32 v5, v8, v158, -v5
	v_fmac_f32_e32 v169, v9, v158
	v_add_f32_e32 v2, v2, v3
	v_add_f32_e32 v1, v1, v168
	v_mul_f32_e32 v3, v139, v150
	s_waitcnt vmcnt(7)
	v_fma_f32 v4, v136, v159, -v4
	v_fmac_f32_e32 v170, v137, v159
	v_add_f32_e32 v2, v2, v5
	v_add_f32_e32 v1, v1, v169
	v_mul_f32_e32 v5, v141, v151
	s_waitcnt vmcnt(6)
	v_fma_f32 v3, v138, v160, -v3
	v_fmac_f32_e32 v171, v139, v160
	v_add_f32_e32 v2, v2, v4
	v_add_f32_e32 v1, v1, v170
	v_mul_f32_e32 v4, v143, v152
	s_waitcnt vmcnt(5)
	v_fma_f32 v5, v140, v161, -v5
	v_fmac_f32_e32 v172, v141, v161
	v_add_f32_e32 v2, v2, v3
	v_add_f32_e32 v1, v1, v171
	s_waitcnt lgkmcnt(0)
	v_mul_f32_e32 v3, v145, v153
	s_waitcnt vmcnt(4)
	v_fma_f32 v4, v142, v162, -v4
	v_mul_f32_e32 v174, v144, v153
	v_add_f32_e32 v2, v2, v5
	v_fmac_f32_e32 v173, v143, v162
	v_add_f32_e32 v1, v1, v172
	v_mul_f32_e32 v5, v147, v154
	s_waitcnt vmcnt(3)
	v_fma_f32 v3, v144, v163, -v3
	v_add_f32_e32 v2, v2, v4
	v_mul_f32_e32 v175, v146, v154
	v_fmac_f32_e32 v174, v145, v163
	v_add_f32_e32 v1, v1, v173
	s_waitcnt vmcnt(2)
	v_fma_f32 v4, v146, v164, -v5
	v_add_f32_e32 v2, v2, v3
	v_fmac_f32_e32 v175, v147, v164
	v_add_f32_e32 v1, v1, v174
	v_add_f32_e32 v2, v2, v4
	;; [unrolled: 1-line block ×3, first 2 shown]
	s_waitcnt vmcnt(1)
	v_sub_f32_e32 v2, v165, v2
	s_waitcnt vmcnt(0)
	v_sub_f32_e32 v1, v166, v1
	buffer_store_dword v2, off, s[0:3], 0 offset:400
	buffer_store_dword v1, off, s[0:3], 0 offset:404
	v_cmpx_lt_u32_e32 49, v0
	s_cbranch_execz .LBB60_281
; %bb.280:
	s_clause 0x1
	buffer_load_dword v1, off, s[0:3], 0 offset:392
	buffer_load_dword v2, off, s[0:3], 0 offset:396
	v_mov_b32_e32 v3, 0
	buffer_store_dword v3, off, s[0:3], 0 offset:392
	buffer_store_dword v3, off, s[0:3], 0 offset:396
	s_waitcnt vmcnt(0)
	ds_write_b64 v135, v[1:2]
.LBB60_281:
	s_or_b32 exec_lo, exec_lo, s4
	s_waitcnt lgkmcnt(0)
	s_waitcnt_vscnt null, 0x0
	s_barrier
	buffer_gl0_inv
	s_clause 0x17
	buffer_load_dword v12, off, s[0:3], 0 offset:404
	buffer_load_dword v148, off, s[0:3], 0 offset:412
	;; [unrolled: 1-line block ×24, first 2 shown]
	v_mov_b32_e32 v1, 0
	ds_read_b128 v[2:5], v1 offset:896
	ds_read_b128 v[6:9], v1 offset:912
	;; [unrolled: 1-line block ×5, first 2 shown]
	ds_read_b64 v[10:11], v1 offset:976
	s_mov_b32 s4, exec_lo
	s_waitcnt vmcnt(23) lgkmcnt(5)
	v_mul_f32_e32 v171, v2, v12
	v_mul_f32_e32 v12, v3, v12
	s_waitcnt vmcnt(22)
	v_mul_f32_e32 v172, v4, v148
	v_mul_f32_e32 v148, v5, v148
	s_waitcnt vmcnt(21) lgkmcnt(4)
	v_mul_f32_e32 v173, v6, v149
	s_waitcnt vmcnt(20)
	v_mul_f32_e32 v174, v8, v150
	s_waitcnt vmcnt(19) lgkmcnt(3)
	v_mul_f32_e32 v175, v136, v151
	s_waitcnt vmcnt(18)
	v_mul_f32_e32 v176, v138, v152
	s_waitcnt vmcnt(17) lgkmcnt(2)
	v_mul_f32_e32 v177, v140, v153
	s_waitcnt vmcnt(16)
	v_mul_f32_e32 v178, v142, v154
	s_waitcnt vmcnt(15) lgkmcnt(1)
	v_mul_f32_e32 v179, v144, v155
	s_waitcnt vmcnt(12)
	v_fma_f32 v2, v2, v158, -v12
	v_fmac_f32_e32 v171, v3, v158
	v_mul_f32_e32 v3, v7, v149
	s_waitcnt vmcnt(11)
	v_fma_f32 v4, v4, v159, -v148
	v_fmac_f32_e32 v172, v5, v159
	v_add_f32_e32 v2, 0, v2
	v_add_f32_e32 v5, 0, v171
	v_mul_f32_e32 v12, v9, v150
	s_waitcnt vmcnt(10)
	v_fma_f32 v3, v6, v160, -v3
	v_fmac_f32_e32 v173, v7, v160
	v_add_f32_e32 v2, v2, v4
	v_add_f32_e32 v4, v5, v172
	;; [unrolled: 6-line block ×7, first 2 shown]
	v_mul_f32_e32 v6, v147, v156
	s_waitcnt vmcnt(4)
	v_fma_f32 v4, v144, v166, -v4
	v_mul_f32_e32 v180, v146, v156
	v_add_f32_e32 v2, v2, v5
	v_fmac_f32_e32 v179, v145, v166
	v_add_f32_e32 v3, v3, v178
	s_waitcnt lgkmcnt(0)
	v_mul_f32_e32 v5, v11, v157
	s_waitcnt vmcnt(3)
	v_fma_f32 v6, v146, v167, -v6
	v_add_f32_e32 v2, v2, v4
	v_mul_f32_e32 v181, v10, v157
	v_fmac_f32_e32 v180, v147, v167
	v_add_f32_e32 v3, v3, v179
	s_waitcnt vmcnt(2)
	v_fma_f32 v4, v10, v168, -v5
	v_add_f32_e32 v2, v2, v6
	v_fmac_f32_e32 v181, v11, v168
	v_add_f32_e32 v3, v3, v180
	v_add_f32_e32 v2, v2, v4
	;; [unrolled: 1-line block ×3, first 2 shown]
	s_waitcnt vmcnt(1)
	v_sub_f32_e32 v2, v169, v2
	s_waitcnt vmcnt(0)
	v_sub_f32_e32 v3, v170, v3
	buffer_store_dword v2, off, s[0:3], 0 offset:392
	buffer_store_dword v3, off, s[0:3], 0 offset:396
	v_cmpx_lt_u32_e32 48, v0
	s_cbranch_execz .LBB60_283
; %bb.282:
	s_clause 0x1
	buffer_load_dword v2, off, s[0:3], 0 offset:384
	buffer_load_dword v3, off, s[0:3], 0 offset:388
	buffer_store_dword v1, off, s[0:3], 0 offset:384
	buffer_store_dword v1, off, s[0:3], 0 offset:388
	s_waitcnt vmcnt(0)
	ds_write_b64 v135, v[2:3]
.LBB60_283:
	s_or_b32 exec_lo, exec_lo, s4
	s_waitcnt lgkmcnt(0)
	s_waitcnt_vscnt null, 0x0
	s_barrier
	buffer_gl0_inv
	s_clause 0x19
	buffer_load_dword v10, off, s[0:3], 0 offset:396
	buffer_load_dword v11, off, s[0:3], 0 offset:404
	;; [unrolled: 1-line block ×26, first 2 shown]
	ds_read2_b64 v[2:5], v1 offset0:111 offset1:112
	ds_read2_b64 v[6:9], v1 offset0:113 offset1:114
	;; [unrolled: 1-line block ×6, first 2 shown]
	s_mov_b32 s4, exec_lo
	s_waitcnt vmcnt(25) lgkmcnt(5)
	v_mul_f32_e32 v1, v2, v10
	v_mul_f32_e32 v10, v3, v10
	s_waitcnt vmcnt(24)
	v_mul_f32_e32 v175, v4, v11
	v_mul_f32_e32 v11, v5, v11
	s_waitcnt vmcnt(23) lgkmcnt(4)
	v_mul_f32_e32 v176, v6, v12
	s_waitcnt vmcnt(22)
	v_mul_f32_e32 v177, v8, v152
	s_waitcnt vmcnt(21) lgkmcnt(3)
	v_mul_f32_e32 v178, v136, v153
	s_waitcnt vmcnt(20)
	;; [unrolled: 4-line block ×4, first 2 shown]
	v_mul_f32_e32 v183, v146, v158
	s_waitcnt vmcnt(13)
	v_fma_f32 v2, v2, v161, -v10
	v_fmac_f32_e32 v1, v3, v161
	v_mul_f32_e32 v3, v7, v12
	s_waitcnt vmcnt(12)
	v_fma_f32 v4, v4, v162, -v11
	v_fmac_f32_e32 v175, v5, v162
	v_add_f32_e32 v2, 0, v2
	v_add_f32_e32 v1, 0, v1
	v_mul_f32_e32 v5, v9, v152
	s_waitcnt vmcnt(11)
	v_fma_f32 v3, v6, v163, -v3
	v_fmac_f32_e32 v176, v7, v163
	v_add_f32_e32 v2, v2, v4
	v_add_f32_e32 v1, v1, v175
	;; [unrolled: 6-line block ×8, first 2 shown]
	s_waitcnt lgkmcnt(0)
	v_mul_f32_e32 v4, v149, v159
	s_waitcnt vmcnt(4)
	v_fma_f32 v5, v146, v170, -v5
	v_mul_f32_e32 v184, v148, v159
	v_add_f32_e32 v2, v2, v3
	v_fmac_f32_e32 v183, v147, v170
	v_add_f32_e32 v1, v1, v182
	v_mul_f32_e32 v3, v151, v160
	s_waitcnt vmcnt(3)
	v_fma_f32 v4, v148, v171, -v4
	v_add_f32_e32 v2, v2, v5
	v_mul_f32_e32 v185, v150, v160
	v_fmac_f32_e32 v184, v149, v171
	v_add_f32_e32 v1, v1, v183
	s_waitcnt vmcnt(2)
	v_fma_f32 v3, v150, v172, -v3
	v_add_f32_e32 v2, v2, v4
	v_fmac_f32_e32 v185, v151, v172
	v_add_f32_e32 v1, v1, v184
	v_add_f32_e32 v2, v2, v3
	;; [unrolled: 1-line block ×3, first 2 shown]
	s_waitcnt vmcnt(1)
	v_sub_f32_e32 v2, v173, v2
	s_waitcnt vmcnt(0)
	v_sub_f32_e32 v1, v174, v1
	buffer_store_dword v2, off, s[0:3], 0 offset:384
	buffer_store_dword v1, off, s[0:3], 0 offset:388
	v_cmpx_lt_u32_e32 47, v0
	s_cbranch_execz .LBB60_285
; %bb.284:
	s_clause 0x1
	buffer_load_dword v1, off, s[0:3], 0 offset:376
	buffer_load_dword v2, off, s[0:3], 0 offset:380
	v_mov_b32_e32 v3, 0
	buffer_store_dword v3, off, s[0:3], 0 offset:376
	buffer_store_dword v3, off, s[0:3], 0 offset:380
	s_waitcnt vmcnt(0)
	ds_write_b64 v135, v[1:2]
.LBB60_285:
	s_or_b32 exec_lo, exec_lo, s4
	s_waitcnt lgkmcnt(0)
	s_waitcnt_vscnt null, 0x0
	s_barrier
	buffer_gl0_inv
	s_clause 0x1b
	buffer_load_dword v12, off, s[0:3], 0 offset:388
	buffer_load_dword v152, off, s[0:3], 0 offset:396
	;; [unrolled: 1-line block ×28, first 2 shown]
	v_mov_b32_e32 v1, 0
	ds_read_b128 v[2:5], v1 offset:880
	ds_read_b128 v[6:9], v1 offset:896
	;; [unrolled: 1-line block ×6, first 2 shown]
	ds_read_b64 v[10:11], v1 offset:976
	s_mov_b32 s4, exec_lo
	s_waitcnt vmcnt(27) lgkmcnt(6)
	v_mul_f32_e32 v179, v2, v12
	v_mul_f32_e32 v12, v3, v12
	s_waitcnt vmcnt(26)
	v_mul_f32_e32 v180, v4, v152
	v_mul_f32_e32 v152, v5, v152
	s_waitcnt vmcnt(25) lgkmcnt(5)
	v_mul_f32_e32 v181, v6, v153
	s_waitcnt vmcnt(24)
	v_mul_f32_e32 v182, v8, v154
	s_waitcnt vmcnt(23) lgkmcnt(4)
	v_mul_f32_e32 v183, v136, v155
	s_waitcnt vmcnt(22)
	;; [unrolled: 4-line block ×5, first 2 shown]
	v_fma_f32 v2, v2, v164, -v12
	v_fmac_f32_e32 v179, v3, v164
	v_mul_f32_e32 v3, v7, v153
	s_waitcnt vmcnt(13)
	v_fma_f32 v4, v4, v165, -v152
	v_fmac_f32_e32 v180, v5, v165
	v_add_f32_e32 v2, 0, v2
	v_add_f32_e32 v5, 0, v179
	v_mul_f32_e32 v12, v9, v154
	s_waitcnt vmcnt(12)
	v_fma_f32 v3, v6, v166, -v3
	v_fmac_f32_e32 v181, v7, v166
	v_add_f32_e32 v2, v2, v4
	v_add_f32_e32 v4, v5, v180
	;; [unrolled: 6-line block ×9, first 2 shown]
	v_mul_f32_e32 v4, v151, v162
	s_waitcnt vmcnt(4)
	v_fma_f32 v5, v148, v174, -v5
	v_mul_f32_e32 v190, v150, v162
	v_add_f32_e32 v2, v2, v6
	v_fmac_f32_e32 v189, v149, v174
	v_add_f32_e32 v3, v3, v188
	s_waitcnt lgkmcnt(0)
	v_mul_f32_e32 v6, v11, v163
	s_waitcnt vmcnt(3)
	v_fma_f32 v4, v150, v175, -v4
	v_add_f32_e32 v2, v2, v5
	v_mul_f32_e32 v191, v10, v163
	v_fmac_f32_e32 v190, v151, v175
	v_add_f32_e32 v3, v3, v189
	s_waitcnt vmcnt(2)
	v_fma_f32 v5, v10, v176, -v6
	v_add_f32_e32 v2, v2, v4
	v_fmac_f32_e32 v191, v11, v176
	v_add_f32_e32 v3, v3, v190
	v_add_f32_e32 v2, v2, v5
	;; [unrolled: 1-line block ×3, first 2 shown]
	s_waitcnt vmcnt(1)
	v_sub_f32_e32 v2, v177, v2
	s_waitcnt vmcnt(0)
	v_sub_f32_e32 v3, v178, v3
	buffer_store_dword v2, off, s[0:3], 0 offset:376
	buffer_store_dword v3, off, s[0:3], 0 offset:380
	v_cmpx_lt_u32_e32 46, v0
	s_cbranch_execz .LBB60_287
; %bb.286:
	s_clause 0x1
	buffer_load_dword v2, off, s[0:3], 0 offset:368
	buffer_load_dword v3, off, s[0:3], 0 offset:372
	buffer_store_dword v1, off, s[0:3], 0 offset:368
	buffer_store_dword v1, off, s[0:3], 0 offset:372
	s_waitcnt vmcnt(0)
	ds_write_b64 v135, v[2:3]
.LBB60_287:
	s_or_b32 exec_lo, exec_lo, s4
	s_waitcnt lgkmcnt(0)
	s_waitcnt_vscnt null, 0x0
	s_barrier
	buffer_gl0_inv
	s_clause 0x1d
	buffer_load_dword v10, off, s[0:3], 0 offset:380
	buffer_load_dword v11, off, s[0:3], 0 offset:388
	;; [unrolled: 1-line block ×30, first 2 shown]
	ds_read2_b64 v[2:5], v1 offset0:109 offset1:110
	ds_read2_b64 v[6:9], v1 offset0:111 offset1:112
	;; [unrolled: 1-line block ×7, first 2 shown]
	s_mov_b32 s4, exec_lo
	s_waitcnt vmcnt(29) lgkmcnt(6)
	v_mul_f32_e32 v1, v2, v10
	v_mul_f32_e32 v10, v3, v10
	s_waitcnt vmcnt(28)
	v_mul_f32_e32 v183, v4, v11
	v_mul_f32_e32 v11, v5, v11
	s_waitcnt vmcnt(27) lgkmcnt(5)
	v_mul_f32_e32 v184, v6, v12
	s_waitcnt vmcnt(26)
	v_mul_f32_e32 v185, v8, v156
	s_waitcnt vmcnt(25) lgkmcnt(4)
	v_mul_f32_e32 v186, v136, v157
	s_waitcnt vmcnt(24)
	;; [unrolled: 4-line block ×5, first 2 shown]
	v_mul_f32_e32 v193, v150, v164
	s_waitcnt vmcnt(15)
	v_fma_f32 v2, v2, v167, -v10
	v_fmac_f32_e32 v1, v3, v167
	v_mul_f32_e32 v3, v7, v12
	s_waitcnt vmcnt(14)
	v_fma_f32 v4, v4, v168, -v11
	v_fmac_f32_e32 v183, v5, v168
	v_add_f32_e32 v2, 0, v2
	v_add_f32_e32 v1, 0, v1
	v_mul_f32_e32 v5, v9, v156
	s_waitcnt vmcnt(13)
	v_fma_f32 v3, v6, v169, -v3
	v_fmac_f32_e32 v184, v7, v169
	v_add_f32_e32 v2, v2, v4
	v_add_f32_e32 v1, v1, v183
	;; [unrolled: 6-line block ×10, first 2 shown]
	s_waitcnt lgkmcnt(0)
	v_mul_f32_e32 v5, v153, v165
	s_waitcnt vmcnt(4)
	v_fma_f32 v3, v150, v178, -v3
	v_mul_f32_e32 v194, v152, v165
	v_add_f32_e32 v2, v2, v4
	v_fmac_f32_e32 v193, v151, v178
	v_add_f32_e32 v1, v1, v192
	v_mul_f32_e32 v4, v155, v166
	s_waitcnt vmcnt(3)
	v_fma_f32 v5, v152, v179, -v5
	v_add_f32_e32 v2, v2, v3
	v_mul_f32_e32 v195, v154, v166
	v_fmac_f32_e32 v194, v153, v179
	v_add_f32_e32 v1, v1, v193
	s_waitcnt vmcnt(2)
	v_fma_f32 v3, v154, v180, -v4
	v_add_f32_e32 v2, v2, v5
	v_fmac_f32_e32 v195, v155, v180
	v_add_f32_e32 v1, v1, v194
	v_add_f32_e32 v2, v2, v3
	;; [unrolled: 1-line block ×3, first 2 shown]
	s_waitcnt vmcnt(1)
	v_sub_f32_e32 v2, v181, v2
	s_waitcnt vmcnt(0)
	v_sub_f32_e32 v1, v182, v1
	buffer_store_dword v2, off, s[0:3], 0 offset:368
	buffer_store_dword v1, off, s[0:3], 0 offset:372
	v_cmpx_lt_u32_e32 45, v0
	s_cbranch_execz .LBB60_289
; %bb.288:
	s_clause 0x1
	buffer_load_dword v1, off, s[0:3], 0 offset:360
	buffer_load_dword v2, off, s[0:3], 0 offset:364
	v_mov_b32_e32 v3, 0
	buffer_store_dword v3, off, s[0:3], 0 offset:360
	buffer_store_dword v3, off, s[0:3], 0 offset:364
	s_waitcnt vmcnt(0)
	ds_write_b64 v135, v[1:2]
.LBB60_289:
	s_or_b32 exec_lo, exec_lo, s4
	s_waitcnt lgkmcnt(0)
	s_waitcnt_vscnt null, 0x0
	s_barrier
	buffer_gl0_inv
	s_clause 0x1f
	buffer_load_dword v12, off, s[0:3], 0 offset:372
	buffer_load_dword v156, off, s[0:3], 0 offset:380
	;; [unrolled: 1-line block ×32, first 2 shown]
	v_mov_b32_e32 v1, 0
	ds_read_b128 v[2:5], v1 offset:864
	ds_read_b128 v[6:9], v1 offset:880
	;; [unrolled: 1-line block ×7, first 2 shown]
	ds_read_b64 v[10:11], v1 offset:976
	s_mov_b32 s4, exec_lo
	s_waitcnt vmcnt(31) lgkmcnt(7)
	v_mul_f32_e32 v187, v2, v12
	v_mul_f32_e32 v12, v3, v12
	s_waitcnt vmcnt(30)
	v_mul_f32_e32 v188, v4, v156
	v_mul_f32_e32 v156, v5, v156
	s_waitcnt vmcnt(29) lgkmcnt(6)
	v_mul_f32_e32 v189, v6, v157
	s_waitcnt vmcnt(28)
	v_mul_f32_e32 v190, v8, v158
	s_waitcnt vmcnt(27) lgkmcnt(5)
	v_mul_f32_e32 v191, v136, v159
	s_waitcnt vmcnt(26)
	;; [unrolled: 4-line block ×6, first 2 shown]
	v_fma_f32 v2, v2, v170, -v12
	v_fmac_f32_e32 v187, v3, v170
	v_mul_f32_e32 v3, v7, v157
	s_waitcnt vmcnt(15)
	v_fma_f32 v4, v4, v171, -v156
	v_fmac_f32_e32 v188, v5, v171
	v_add_f32_e32 v2, 0, v2
	v_add_f32_e32 v5, 0, v187
	v_mul_f32_e32 v12, v9, v158
	s_waitcnt vmcnt(14)
	v_fma_f32 v3, v6, v172, -v3
	v_fmac_f32_e32 v189, v7, v172
	v_add_f32_e32 v2, v2, v4
	v_add_f32_e32 v4, v5, v188
	;; [unrolled: 6-line block ×11, first 2 shown]
	v_mul_f32_e32 v5, v155, v168
	s_waitcnt vmcnt(4)
	v_fma_f32 v6, v152, v182, -v6
	v_mul_f32_e32 v200, v154, v168
	v_add_f32_e32 v2, v2, v4
	v_fmac_f32_e32 v199, v153, v182
	v_add_f32_e32 v3, v3, v198
	s_waitcnt lgkmcnt(0)
	v_mul_f32_e32 v4, v11, v169
	s_waitcnt vmcnt(3)
	v_fma_f32 v5, v154, v183, -v5
	v_add_f32_e32 v2, v2, v6
	v_mul_f32_e32 v201, v10, v169
	v_fmac_f32_e32 v200, v155, v183
	v_add_f32_e32 v3, v3, v199
	s_waitcnt vmcnt(2)
	v_fma_f32 v4, v10, v184, -v4
	v_add_f32_e32 v2, v2, v5
	v_fmac_f32_e32 v201, v11, v184
	v_add_f32_e32 v3, v3, v200
	v_add_f32_e32 v2, v2, v4
	;; [unrolled: 1-line block ×3, first 2 shown]
	s_waitcnt vmcnt(1)
	v_sub_f32_e32 v2, v185, v2
	s_waitcnt vmcnt(0)
	v_sub_f32_e32 v3, v186, v3
	buffer_store_dword v2, off, s[0:3], 0 offset:360
	buffer_store_dword v3, off, s[0:3], 0 offset:364
	v_cmpx_lt_u32_e32 44, v0
	s_cbranch_execz .LBB60_291
; %bb.290:
	s_clause 0x1
	buffer_load_dword v2, off, s[0:3], 0 offset:352
	buffer_load_dword v3, off, s[0:3], 0 offset:356
	buffer_store_dword v1, off, s[0:3], 0 offset:352
	buffer_store_dword v1, off, s[0:3], 0 offset:356
	s_waitcnt vmcnt(0)
	ds_write_b64 v135, v[2:3]
.LBB60_291:
	s_or_b32 exec_lo, exec_lo, s4
	s_waitcnt lgkmcnt(0)
	s_waitcnt_vscnt null, 0x0
	s_barrier
	buffer_gl0_inv
	s_clause 0x21
	buffer_load_dword v10, off, s[0:3], 0 offset:364
	buffer_load_dword v11, off, s[0:3], 0 offset:372
	;; [unrolled: 1-line block ×34, first 2 shown]
	ds_read2_b64 v[2:5], v1 offset0:107 offset1:108
	ds_read2_b64 v[6:9], v1 offset0:109 offset1:110
	;; [unrolled: 1-line block ×8, first 2 shown]
	s_mov_b32 s4, exec_lo
	s_waitcnt vmcnt(33) lgkmcnt(7)
	v_mul_f32_e32 v1, v2, v10
	v_mul_f32_e32 v10, v3, v10
	s_waitcnt vmcnt(32)
	v_mul_f32_e32 v191, v4, v11
	v_mul_f32_e32 v11, v5, v11
	s_waitcnt vmcnt(31) lgkmcnt(6)
	v_mul_f32_e32 v192, v6, v12
	s_waitcnt vmcnt(30)
	v_mul_f32_e32 v193, v8, v160
	s_waitcnt vmcnt(29) lgkmcnt(5)
	v_mul_f32_e32 v194, v136, v161
	s_waitcnt vmcnt(28)
	;; [unrolled: 4-line block ×6, first 2 shown]
	v_mul_f32_e32 v203, v154, v170
	s_waitcnt vmcnt(17)
	v_fma_f32 v2, v2, v173, -v10
	v_fmac_f32_e32 v1, v3, v173
	v_mul_f32_e32 v3, v7, v12
	s_waitcnt vmcnt(16)
	v_fma_f32 v4, v4, v174, -v11
	v_fmac_f32_e32 v191, v5, v174
	v_add_f32_e32 v2, 0, v2
	v_add_f32_e32 v1, 0, v1
	v_mul_f32_e32 v5, v9, v160
	s_waitcnt vmcnt(15)
	v_fma_f32 v3, v6, v175, -v3
	v_fmac_f32_e32 v192, v7, v175
	v_add_f32_e32 v2, v2, v4
	v_add_f32_e32 v1, v1, v191
	;; [unrolled: 6-line block ×12, first 2 shown]
	s_waitcnt lgkmcnt(0)
	v_mul_f32_e32 v3, v157, v171
	s_waitcnt vmcnt(4)
	v_fma_f32 v4, v154, v186, -v4
	v_mul_f32_e32 v204, v156, v171
	v_add_f32_e32 v2, v2, v5
	v_fmac_f32_e32 v203, v155, v186
	v_add_f32_e32 v1, v1, v202
	v_mul_f32_e32 v5, v159, v172
	s_waitcnt vmcnt(3)
	v_fma_f32 v3, v156, v187, -v3
	v_add_f32_e32 v2, v2, v4
	v_mul_f32_e32 v205, v158, v172
	v_fmac_f32_e32 v204, v157, v187
	v_add_f32_e32 v1, v1, v203
	s_waitcnt vmcnt(2)
	v_fma_f32 v4, v158, v188, -v5
	v_add_f32_e32 v2, v2, v3
	v_fmac_f32_e32 v205, v159, v188
	v_add_f32_e32 v1, v1, v204
	v_add_f32_e32 v2, v2, v4
	;; [unrolled: 1-line block ×3, first 2 shown]
	s_waitcnt vmcnt(1)
	v_sub_f32_e32 v2, v189, v2
	s_waitcnt vmcnt(0)
	v_sub_f32_e32 v1, v190, v1
	buffer_store_dword v2, off, s[0:3], 0 offset:352
	buffer_store_dword v1, off, s[0:3], 0 offset:356
	v_cmpx_lt_u32_e32 43, v0
	s_cbranch_execz .LBB60_293
; %bb.292:
	s_clause 0x1
	buffer_load_dword v1, off, s[0:3], 0 offset:344
	buffer_load_dword v2, off, s[0:3], 0 offset:348
	v_mov_b32_e32 v3, 0
	buffer_store_dword v3, off, s[0:3], 0 offset:344
	buffer_store_dword v3, off, s[0:3], 0 offset:348
	s_waitcnt vmcnt(0)
	ds_write_b64 v135, v[1:2]
.LBB60_293:
	s_or_b32 exec_lo, exec_lo, s4
	s_waitcnt lgkmcnt(0)
	s_waitcnt_vscnt null, 0x0
	s_barrier
	buffer_gl0_inv
	s_clause 0x23
	buffer_load_dword v12, off, s[0:3], 0 offset:356
	buffer_load_dword v160, off, s[0:3], 0 offset:364
	;; [unrolled: 1-line block ×36, first 2 shown]
	v_mov_b32_e32 v1, 0
	ds_read_b128 v[2:5], v1 offset:848
	ds_read_b128 v[6:9], v1 offset:864
	;; [unrolled: 1-line block ×8, first 2 shown]
	ds_read_b64 v[10:11], v1 offset:976
	s_mov_b32 s4, exec_lo
	s_waitcnt vmcnt(35) lgkmcnt(8)
	v_mul_f32_e32 v195, v2, v12
	v_mul_f32_e32 v12, v3, v12
	s_waitcnt vmcnt(34)
	v_mul_f32_e32 v196, v4, v160
	v_mul_f32_e32 v160, v5, v160
	s_waitcnt vmcnt(33) lgkmcnt(7)
	v_mul_f32_e32 v197, v6, v161
	s_waitcnt vmcnt(32)
	v_mul_f32_e32 v198, v8, v162
	s_waitcnt vmcnt(31) lgkmcnt(6)
	v_mul_f32_e32 v199, v136, v163
	s_waitcnt vmcnt(30)
	;; [unrolled: 4-line block ×7, first 2 shown]
	v_fma_f32 v2, v2, v176, -v12
	v_fmac_f32_e32 v195, v3, v176
	v_mul_f32_e32 v3, v7, v161
	s_waitcnt vmcnt(17)
	v_fma_f32 v4, v4, v177, -v160
	v_fmac_f32_e32 v196, v5, v177
	v_add_f32_e32 v2, 0, v2
	v_add_f32_e32 v5, 0, v195
	v_mul_f32_e32 v12, v9, v162
	s_waitcnt vmcnt(16)
	v_fma_f32 v3, v6, v178, -v3
	v_fmac_f32_e32 v197, v7, v178
	v_add_f32_e32 v2, v2, v4
	v_add_f32_e32 v4, v5, v196
	;; [unrolled: 6-line block ×13, first 2 shown]
	v_mul_f32_e32 v6, v159, v174
	s_waitcnt vmcnt(4)
	v_fma_f32 v4, v156, v190, -v4
	v_mul_f32_e32 v210, v158, v174
	v_add_f32_e32 v2, v2, v5
	v_fmac_f32_e32 v209, v157, v190
	v_add_f32_e32 v3, v3, v208
	s_waitcnt lgkmcnt(0)
	v_mul_f32_e32 v5, v11, v175
	s_waitcnt vmcnt(3)
	v_fma_f32 v6, v158, v191, -v6
	v_add_f32_e32 v2, v2, v4
	v_mul_f32_e32 v211, v10, v175
	v_fmac_f32_e32 v210, v159, v191
	v_add_f32_e32 v3, v3, v209
	s_waitcnt vmcnt(2)
	v_fma_f32 v4, v10, v192, -v5
	v_add_f32_e32 v2, v2, v6
	v_fmac_f32_e32 v211, v11, v192
	v_add_f32_e32 v3, v3, v210
	v_add_f32_e32 v2, v2, v4
	;; [unrolled: 1-line block ×3, first 2 shown]
	s_waitcnt vmcnt(1)
	v_sub_f32_e32 v2, v193, v2
	s_waitcnt vmcnt(0)
	v_sub_f32_e32 v3, v194, v3
	buffer_store_dword v2, off, s[0:3], 0 offset:344
	buffer_store_dword v3, off, s[0:3], 0 offset:348
	v_cmpx_lt_u32_e32 42, v0
	s_cbranch_execz .LBB60_295
; %bb.294:
	s_clause 0x1
	buffer_load_dword v2, off, s[0:3], 0 offset:336
	buffer_load_dword v3, off, s[0:3], 0 offset:340
	buffer_store_dword v1, off, s[0:3], 0 offset:336
	buffer_store_dword v1, off, s[0:3], 0 offset:340
	s_waitcnt vmcnt(0)
	ds_write_b64 v135, v[2:3]
.LBB60_295:
	s_or_b32 exec_lo, exec_lo, s4
	s_waitcnt lgkmcnt(0)
	s_waitcnt_vscnt null, 0x0
	s_barrier
	buffer_gl0_inv
	s_clause 0x25
	buffer_load_dword v10, off, s[0:3], 0 offset:348
	buffer_load_dword v11, off, s[0:3], 0 offset:356
	;; [unrolled: 1-line block ×38, first 2 shown]
	ds_read2_b64 v[2:5], v1 offset0:105 offset1:106
	ds_read2_b64 v[6:9], v1 offset0:107 offset1:108
	;; [unrolled: 1-line block ×9, first 2 shown]
	s_mov_b32 s4, exec_lo
	s_waitcnt vmcnt(37) lgkmcnt(8)
	v_mul_f32_e32 v1, v2, v10
	v_mul_f32_e32 v10, v3, v10
	s_waitcnt vmcnt(36)
	v_mul_f32_e32 v199, v4, v11
	v_mul_f32_e32 v11, v5, v11
	s_waitcnt vmcnt(35) lgkmcnt(7)
	v_mul_f32_e32 v200, v6, v12
	s_waitcnt vmcnt(34)
	v_mul_f32_e32 v201, v8, v164
	s_waitcnt vmcnt(33) lgkmcnt(6)
	v_mul_f32_e32 v202, v136, v165
	s_waitcnt vmcnt(32)
	;; [unrolled: 4-line block ×7, first 2 shown]
	v_mul_f32_e32 v213, v158, v176
	s_waitcnt vmcnt(19)
	v_fma_f32 v2, v2, v179, -v10
	v_fmac_f32_e32 v1, v3, v179
	v_mul_f32_e32 v3, v7, v12
	s_waitcnt vmcnt(18)
	v_fma_f32 v4, v4, v180, -v11
	v_fmac_f32_e32 v199, v5, v180
	v_add_f32_e32 v2, 0, v2
	v_add_f32_e32 v1, 0, v1
	v_mul_f32_e32 v5, v9, v164
	s_waitcnt vmcnt(17)
	v_fma_f32 v3, v6, v181, -v3
	v_fmac_f32_e32 v200, v7, v181
	v_add_f32_e32 v2, v2, v4
	v_add_f32_e32 v1, v1, v199
	;; [unrolled: 6-line block ×14, first 2 shown]
	s_waitcnt lgkmcnt(0)
	v_mul_f32_e32 v4, v161, v177
	s_waitcnt vmcnt(4)
	v_fma_f32 v5, v158, v194, -v5
	v_mul_f32_e32 v214, v160, v177
	v_add_f32_e32 v2, v2, v3
	v_fmac_f32_e32 v213, v159, v194
	v_add_f32_e32 v1, v1, v212
	v_mul_f32_e32 v3, v163, v178
	s_waitcnt vmcnt(3)
	v_fma_f32 v4, v160, v195, -v4
	v_add_f32_e32 v2, v2, v5
	v_mul_f32_e32 v215, v162, v178
	v_fmac_f32_e32 v214, v161, v195
	v_add_f32_e32 v1, v1, v213
	s_waitcnt vmcnt(2)
	v_fma_f32 v3, v162, v196, -v3
	v_add_f32_e32 v2, v2, v4
	v_fmac_f32_e32 v215, v163, v196
	v_add_f32_e32 v1, v1, v214
	v_add_f32_e32 v2, v2, v3
	;; [unrolled: 1-line block ×3, first 2 shown]
	s_waitcnt vmcnt(1)
	v_sub_f32_e32 v2, v197, v2
	s_waitcnt vmcnt(0)
	v_sub_f32_e32 v1, v198, v1
	buffer_store_dword v2, off, s[0:3], 0 offset:336
	buffer_store_dword v1, off, s[0:3], 0 offset:340
	v_cmpx_lt_u32_e32 41, v0
	s_cbranch_execz .LBB60_297
; %bb.296:
	s_clause 0x1
	buffer_load_dword v1, off, s[0:3], 0 offset:328
	buffer_load_dword v2, off, s[0:3], 0 offset:332
	v_mov_b32_e32 v3, 0
	buffer_store_dword v3, off, s[0:3], 0 offset:328
	buffer_store_dword v3, off, s[0:3], 0 offset:332
	s_waitcnt vmcnt(0)
	ds_write_b64 v135, v[1:2]
.LBB60_297:
	s_or_b32 exec_lo, exec_lo, s4
	s_waitcnt lgkmcnt(0)
	s_waitcnt_vscnt null, 0x0
	s_barrier
	buffer_gl0_inv
	s_clause 0x27
	buffer_load_dword v12, off, s[0:3], 0 offset:340
	buffer_load_dword v164, off, s[0:3], 0 offset:348
	;; [unrolled: 1-line block ×40, first 2 shown]
	v_mov_b32_e32 v1, 0
	ds_read_b128 v[2:5], v1 offset:832
	ds_read_b128 v[6:9], v1 offset:848
	;; [unrolled: 1-line block ×9, first 2 shown]
	ds_read_b64 v[10:11], v1 offset:976
	s_mov_b32 s4, exec_lo
	s_waitcnt vmcnt(39) lgkmcnt(9)
	v_mul_f32_e32 v203, v2, v12
	v_mul_f32_e32 v12, v3, v12
	s_waitcnt vmcnt(38)
	v_mul_f32_e32 v204, v4, v164
	v_mul_f32_e32 v164, v5, v164
	s_waitcnt vmcnt(37) lgkmcnt(8)
	v_mul_f32_e32 v205, v6, v165
	s_waitcnt vmcnt(36)
	v_mul_f32_e32 v206, v8, v166
	s_waitcnt vmcnt(35) lgkmcnt(7)
	v_mul_f32_e32 v207, v136, v167
	s_waitcnt vmcnt(34)
	;; [unrolled: 4-line block ×8, first 2 shown]
	v_fma_f32 v2, v2, v182, -v12
	v_fmac_f32_e32 v203, v3, v182
	v_mul_f32_e32 v3, v7, v165
	s_waitcnt vmcnt(19)
	v_fma_f32 v4, v4, v183, -v164
	v_fmac_f32_e32 v204, v5, v183
	v_add_f32_e32 v2, 0, v2
	v_add_f32_e32 v5, 0, v203
	v_mul_f32_e32 v12, v9, v166
	s_waitcnt vmcnt(18)
	v_fma_f32 v3, v6, v184, -v3
	v_fmac_f32_e32 v205, v7, v184
	v_add_f32_e32 v2, v2, v4
	v_add_f32_e32 v4, v5, v204
	;; [unrolled: 6-line block ×15, first 2 shown]
	v_mul_f32_e32 v4, v163, v180
	s_waitcnt vmcnt(4)
	v_fma_f32 v5, v160, v198, -v5
	v_mul_f32_e32 v220, v162, v180
	v_add_f32_e32 v2, v2, v6
	v_fmac_f32_e32 v219, v161, v198
	v_add_f32_e32 v3, v3, v218
	s_waitcnt lgkmcnt(0)
	v_mul_f32_e32 v6, v11, v181
	s_waitcnt vmcnt(3)
	v_fma_f32 v4, v162, v199, -v4
	v_add_f32_e32 v2, v2, v5
	v_mul_f32_e32 v221, v10, v181
	v_fmac_f32_e32 v220, v163, v199
	v_add_f32_e32 v3, v3, v219
	s_waitcnt vmcnt(2)
	v_fma_f32 v5, v10, v200, -v6
	v_add_f32_e32 v2, v2, v4
	v_fmac_f32_e32 v221, v11, v200
	v_add_f32_e32 v3, v3, v220
	v_add_f32_e32 v2, v2, v5
	;; [unrolled: 1-line block ×3, first 2 shown]
	s_waitcnt vmcnt(1)
	v_sub_f32_e32 v2, v201, v2
	s_waitcnt vmcnt(0)
	v_sub_f32_e32 v3, v202, v3
	buffer_store_dword v2, off, s[0:3], 0 offset:328
	buffer_store_dword v3, off, s[0:3], 0 offset:332
	v_cmpx_lt_u32_e32 40, v0
	s_cbranch_execz .LBB60_299
; %bb.298:
	s_clause 0x1
	buffer_load_dword v2, off, s[0:3], 0 offset:320
	buffer_load_dword v3, off, s[0:3], 0 offset:324
	buffer_store_dword v1, off, s[0:3], 0 offset:320
	buffer_store_dword v1, off, s[0:3], 0 offset:324
	s_waitcnt vmcnt(0)
	ds_write_b64 v135, v[2:3]
.LBB60_299:
	s_or_b32 exec_lo, exec_lo, s4
	s_waitcnt lgkmcnt(0)
	s_waitcnt_vscnt null, 0x0
	s_barrier
	buffer_gl0_inv
	s_clause 0x29
	buffer_load_dword v10, off, s[0:3], 0 offset:332
	buffer_load_dword v11, off, s[0:3], 0 offset:340
	;; [unrolled: 1-line block ×42, first 2 shown]
	ds_read2_b64 v[2:5], v1 offset0:103 offset1:104
	ds_read2_b64 v[6:9], v1 offset0:105 offset1:106
	;; [unrolled: 1-line block ×10, first 2 shown]
	s_mov_b32 s4, exec_lo
	s_waitcnt vmcnt(41) lgkmcnt(9)
	v_mul_f32_e32 v1, v2, v10
	v_mul_f32_e32 v10, v3, v10
	s_waitcnt vmcnt(40)
	v_mul_f32_e32 v207, v4, v11
	v_mul_f32_e32 v11, v5, v11
	s_waitcnt vmcnt(39) lgkmcnt(8)
	v_mul_f32_e32 v208, v6, v12
	s_waitcnt vmcnt(38)
	v_mul_f32_e32 v209, v8, v168
	s_waitcnt vmcnt(37) lgkmcnt(7)
	v_mul_f32_e32 v210, v136, v169
	s_waitcnt vmcnt(36)
	;; [unrolled: 4-line block ×8, first 2 shown]
	v_mul_f32_e32 v223, v162, v182
	s_waitcnt vmcnt(21)
	v_fma_f32 v2, v2, v185, -v10
	v_fmac_f32_e32 v1, v3, v185
	v_mul_f32_e32 v3, v7, v12
	s_waitcnt vmcnt(20)
	v_fma_f32 v4, v4, v186, -v11
	v_fmac_f32_e32 v207, v5, v186
	v_add_f32_e32 v2, 0, v2
	v_add_f32_e32 v1, 0, v1
	v_mul_f32_e32 v5, v9, v168
	s_waitcnt vmcnt(19)
	v_fma_f32 v3, v6, v187, -v3
	v_fmac_f32_e32 v208, v7, v187
	v_add_f32_e32 v2, v2, v4
	v_add_f32_e32 v1, v1, v207
	;; [unrolled: 6-line block ×16, first 2 shown]
	s_waitcnt lgkmcnt(0)
	v_mul_f32_e32 v5, v165, v183
	s_waitcnt vmcnt(4)
	v_fma_f32 v3, v162, v202, -v3
	v_mul_f32_e32 v224, v164, v183
	v_add_f32_e32 v2, v2, v4
	v_fmac_f32_e32 v223, v163, v202
	v_add_f32_e32 v1, v1, v222
	v_mul_f32_e32 v4, v167, v184
	s_waitcnt vmcnt(3)
	v_fma_f32 v5, v164, v203, -v5
	v_add_f32_e32 v2, v2, v3
	v_mul_f32_e32 v225, v166, v184
	v_fmac_f32_e32 v224, v165, v203
	v_add_f32_e32 v1, v1, v223
	s_waitcnt vmcnt(2)
	v_fma_f32 v3, v166, v204, -v4
	v_add_f32_e32 v2, v2, v5
	v_fmac_f32_e32 v225, v167, v204
	v_add_f32_e32 v1, v1, v224
	v_add_f32_e32 v2, v2, v3
	v_add_f32_e32 v1, v1, v225
	s_waitcnt vmcnt(1)
	v_sub_f32_e32 v2, v205, v2
	s_waitcnt vmcnt(0)
	v_sub_f32_e32 v1, v206, v1
	buffer_store_dword v2, off, s[0:3], 0 offset:320
	buffer_store_dword v1, off, s[0:3], 0 offset:324
	v_cmpx_lt_u32_e32 39, v0
	s_cbranch_execz .LBB60_301
; %bb.300:
	s_clause 0x1
	buffer_load_dword v1, off, s[0:3], 0 offset:312
	buffer_load_dword v2, off, s[0:3], 0 offset:316
	v_mov_b32_e32 v3, 0
	buffer_store_dword v3, off, s[0:3], 0 offset:312
	buffer_store_dword v3, off, s[0:3], 0 offset:316
	s_waitcnt vmcnt(0)
	ds_write_b64 v135, v[1:2]
.LBB60_301:
	s_or_b32 exec_lo, exec_lo, s4
	s_waitcnt lgkmcnt(0)
	s_waitcnt_vscnt null, 0x0
	s_barrier
	buffer_gl0_inv
	s_clause 0x2b
	buffer_load_dword v12, off, s[0:3], 0 offset:324
	buffer_load_dword v168, off, s[0:3], 0 offset:332
	;; [unrolled: 1-line block ×44, first 2 shown]
	v_mov_b32_e32 v1, 0
	ds_read_b128 v[2:5], v1 offset:816
	ds_read_b128 v[6:9], v1 offset:832
	ds_read_b128 v[136:139], v1 offset:848
	ds_read_b128 v[140:143], v1 offset:864
	ds_read_b128 v[144:147], v1 offset:880
	ds_read_b128 v[148:151], v1 offset:896
	ds_read_b128 v[152:155], v1 offset:912
	ds_read_b128 v[156:159], v1 offset:928
	ds_read_b128 v[160:163], v1 offset:944
	ds_read_b128 v[164:167], v1 offset:960
	ds_read_b64 v[10:11], v1 offset:976
	s_mov_b32 s4, exec_lo
	s_waitcnt vmcnt(43) lgkmcnt(10)
	v_mul_f32_e32 v211, v2, v12
	v_mul_f32_e32 v12, v3, v12
	s_waitcnt vmcnt(42)
	v_mul_f32_e32 v212, v4, v168
	v_mul_f32_e32 v168, v5, v168
	s_waitcnt vmcnt(41) lgkmcnt(9)
	v_mul_f32_e32 v213, v6, v169
	s_waitcnt vmcnt(40)
	v_mul_f32_e32 v214, v8, v170
	s_waitcnt vmcnt(39) lgkmcnt(8)
	v_mul_f32_e32 v215, v136, v171
	s_waitcnt vmcnt(38)
	;; [unrolled: 4-line block ×9, first 2 shown]
	v_fma_f32 v2, v2, v188, -v12
	v_fmac_f32_e32 v211, v3, v188
	v_mul_f32_e32 v3, v7, v169
	s_waitcnt vmcnt(21)
	v_fma_f32 v4, v4, v189, -v168
	v_fmac_f32_e32 v212, v5, v189
	v_add_f32_e32 v2, 0, v2
	v_add_f32_e32 v5, 0, v211
	v_mul_f32_e32 v12, v9, v170
	s_waitcnt vmcnt(20)
	v_fma_f32 v3, v6, v190, -v3
	v_fmac_f32_e32 v213, v7, v190
	v_add_f32_e32 v2, v2, v4
	v_add_f32_e32 v4, v5, v212
	;; [unrolled: 6-line block ×17, first 2 shown]
	v_mul_f32_e32 v5, v167, v186
	s_waitcnt vmcnt(4)
	v_fma_f32 v6, v164, v206, -v6
	v_mul_f32_e32 v230, v166, v186
	v_add_f32_e32 v2, v2, v4
	v_fmac_f32_e32 v229, v165, v206
	v_add_f32_e32 v3, v3, v228
	s_waitcnt lgkmcnt(0)
	v_mul_f32_e32 v4, v11, v187
	s_waitcnt vmcnt(3)
	v_fma_f32 v5, v166, v207, -v5
	v_add_f32_e32 v2, v2, v6
	v_mul_f32_e32 v231, v10, v187
	v_fmac_f32_e32 v230, v167, v207
	v_add_f32_e32 v3, v3, v229
	s_waitcnt vmcnt(2)
	v_fma_f32 v4, v10, v208, -v4
	v_add_f32_e32 v2, v2, v5
	v_fmac_f32_e32 v231, v11, v208
	v_add_f32_e32 v3, v3, v230
	v_add_f32_e32 v2, v2, v4
	;; [unrolled: 1-line block ×3, first 2 shown]
	s_waitcnt vmcnt(1)
	v_sub_f32_e32 v2, v209, v2
	s_waitcnt vmcnt(0)
	v_sub_f32_e32 v3, v210, v3
	buffer_store_dword v2, off, s[0:3], 0 offset:312
	buffer_store_dword v3, off, s[0:3], 0 offset:316
	v_cmpx_lt_u32_e32 38, v0
	s_cbranch_execz .LBB60_303
; %bb.302:
	s_clause 0x1
	buffer_load_dword v2, off, s[0:3], 0 offset:304
	buffer_load_dword v3, off, s[0:3], 0 offset:308
	buffer_store_dword v1, off, s[0:3], 0 offset:304
	buffer_store_dword v1, off, s[0:3], 0 offset:308
	s_waitcnt vmcnt(0)
	ds_write_b64 v135, v[2:3]
.LBB60_303:
	s_or_b32 exec_lo, exec_lo, s4
	s_waitcnt lgkmcnt(0)
	s_waitcnt_vscnt null, 0x0
	s_barrier
	buffer_gl0_inv
	s_clause 0x2d
	buffer_load_dword v10, off, s[0:3], 0 offset:316
	buffer_load_dword v11, off, s[0:3], 0 offset:324
	;; [unrolled: 1-line block ×46, first 2 shown]
	ds_read2_b64 v[2:5], v1 offset0:101 offset1:102
	ds_read2_b64 v[6:9], v1 offset0:103 offset1:104
	;; [unrolled: 1-line block ×11, first 2 shown]
	s_mov_b32 s4, exec_lo
	s_waitcnt vmcnt(45) lgkmcnt(10)
	v_mul_f32_e32 v1, v2, v10
	v_mul_f32_e32 v10, v3, v10
	s_waitcnt vmcnt(44)
	v_mul_f32_e32 v215, v4, v11
	v_mul_f32_e32 v11, v5, v11
	s_waitcnt vmcnt(43) lgkmcnt(9)
	v_mul_f32_e32 v216, v6, v12
	s_waitcnt vmcnt(42)
	v_mul_f32_e32 v217, v8, v172
	s_waitcnt vmcnt(41) lgkmcnt(8)
	v_mul_f32_e32 v218, v136, v173
	s_waitcnt vmcnt(40)
	;; [unrolled: 4-line block ×9, first 2 shown]
	v_mul_f32_e32 v233, v166, v188
	s_waitcnt vmcnt(23)
	v_fma_f32 v2, v2, v191, -v10
	v_fmac_f32_e32 v1, v3, v191
	v_mul_f32_e32 v3, v7, v12
	s_waitcnt vmcnt(22)
	v_fma_f32 v4, v4, v192, -v11
	v_fmac_f32_e32 v215, v5, v192
	v_add_f32_e32 v2, 0, v2
	v_add_f32_e32 v1, 0, v1
	v_mul_f32_e32 v5, v9, v172
	s_waitcnt vmcnt(21)
	v_fma_f32 v3, v6, v193, -v3
	v_fmac_f32_e32 v216, v7, v193
	v_add_f32_e32 v2, v2, v4
	v_add_f32_e32 v1, v1, v215
	;; [unrolled: 6-line block ×18, first 2 shown]
	s_waitcnt lgkmcnt(0)
	v_mul_f32_e32 v3, v169, v189
	s_waitcnt vmcnt(4)
	v_fma_f32 v4, v166, v210, -v4
	v_mul_f32_e32 v234, v168, v189
	v_add_f32_e32 v2, v2, v5
	v_fmac_f32_e32 v233, v167, v210
	v_add_f32_e32 v1, v1, v232
	v_mul_f32_e32 v5, v171, v190
	s_waitcnt vmcnt(3)
	v_fma_f32 v3, v168, v211, -v3
	v_add_f32_e32 v2, v2, v4
	v_mul_f32_e32 v235, v170, v190
	v_fmac_f32_e32 v234, v169, v211
	v_add_f32_e32 v1, v1, v233
	s_waitcnt vmcnt(2)
	v_fma_f32 v4, v170, v212, -v5
	v_add_f32_e32 v2, v2, v3
	v_fmac_f32_e32 v235, v171, v212
	v_add_f32_e32 v1, v1, v234
	v_add_f32_e32 v2, v2, v4
	;; [unrolled: 1-line block ×3, first 2 shown]
	s_waitcnt vmcnt(1)
	v_sub_f32_e32 v2, v213, v2
	s_waitcnt vmcnt(0)
	v_sub_f32_e32 v1, v214, v1
	buffer_store_dword v2, off, s[0:3], 0 offset:304
	buffer_store_dword v1, off, s[0:3], 0 offset:308
	v_cmpx_lt_u32_e32 37, v0
	s_cbranch_execz .LBB60_305
; %bb.304:
	s_clause 0x1
	buffer_load_dword v1, off, s[0:3], 0 offset:296
	buffer_load_dword v2, off, s[0:3], 0 offset:300
	v_mov_b32_e32 v3, 0
	buffer_store_dword v3, off, s[0:3], 0 offset:296
	buffer_store_dword v3, off, s[0:3], 0 offset:300
	s_waitcnt vmcnt(0)
	ds_write_b64 v135, v[1:2]
.LBB60_305:
	s_or_b32 exec_lo, exec_lo, s4
	s_waitcnt lgkmcnt(0)
	s_waitcnt_vscnt null, 0x0
	s_barrier
	buffer_gl0_inv
	s_clause 0x2f
	buffer_load_dword v12, off, s[0:3], 0 offset:308
	buffer_load_dword v172, off, s[0:3], 0 offset:316
	;; [unrolled: 1-line block ×48, first 2 shown]
	v_mov_b32_e32 v1, 0
	ds_read_b128 v[2:5], v1 offset:800
	ds_read_b128 v[6:9], v1 offset:816
	ds_read_b128 v[136:139], v1 offset:832
	ds_read_b128 v[140:143], v1 offset:848
	ds_read_b128 v[144:147], v1 offset:864
	ds_read_b128 v[148:151], v1 offset:880
	ds_read_b128 v[152:155], v1 offset:896
	ds_read_b128 v[156:159], v1 offset:912
	ds_read_b128 v[160:163], v1 offset:928
	ds_read_b128 v[164:167], v1 offset:944
	ds_read_b128 v[168:171], v1 offset:960
	ds_read_b64 v[10:11], v1 offset:976
	s_mov_b32 s4, exec_lo
	s_waitcnt vmcnt(47) lgkmcnt(11)
	v_mul_f32_e32 v219, v2, v12
	v_mul_f32_e32 v12, v3, v12
	s_waitcnt vmcnt(46)
	v_mul_f32_e32 v220, v4, v172
	v_mul_f32_e32 v172, v5, v172
	s_waitcnt vmcnt(45) lgkmcnt(10)
	v_mul_f32_e32 v221, v6, v173
	s_waitcnt vmcnt(44)
	v_mul_f32_e32 v222, v8, v174
	s_waitcnt vmcnt(43) lgkmcnt(9)
	v_mul_f32_e32 v223, v136, v175
	s_waitcnt vmcnt(42)
	;; [unrolled: 4-line block ×10, first 2 shown]
	v_fma_f32 v2, v2, v194, -v12
	v_fmac_f32_e32 v219, v3, v194
	v_mul_f32_e32 v3, v7, v173
	s_waitcnt vmcnt(23)
	v_fma_f32 v4, v4, v195, -v172
	v_fmac_f32_e32 v220, v5, v195
	v_add_f32_e32 v2, 0, v2
	v_add_f32_e32 v5, 0, v219
	v_mul_f32_e32 v12, v9, v174
	s_waitcnt vmcnt(22)
	v_fma_f32 v3, v6, v196, -v3
	v_fmac_f32_e32 v221, v7, v196
	v_add_f32_e32 v2, v2, v4
	v_add_f32_e32 v4, v5, v220
	;; [unrolled: 6-line block ×19, first 2 shown]
	v_mul_f32_e32 v6, v171, v192
	s_waitcnt vmcnt(4)
	v_fma_f32 v4, v168, v214, -v4
	v_mul_f32_e32 v240, v170, v192
	v_add_f32_e32 v2, v2, v5
	v_fmac_f32_e32 v239, v169, v214
	v_add_f32_e32 v3, v3, v238
	s_waitcnt lgkmcnt(0)
	v_mul_f32_e32 v5, v11, v193
	s_waitcnt vmcnt(3)
	v_fma_f32 v6, v170, v215, -v6
	v_add_f32_e32 v2, v2, v4
	v_mul_f32_e32 v241, v10, v193
	v_fmac_f32_e32 v240, v171, v215
	v_add_f32_e32 v3, v3, v239
	s_waitcnt vmcnt(2)
	v_fma_f32 v4, v10, v216, -v5
	v_add_f32_e32 v2, v2, v6
	v_fmac_f32_e32 v241, v11, v216
	v_add_f32_e32 v3, v3, v240
	v_add_f32_e32 v2, v2, v4
	;; [unrolled: 1-line block ×3, first 2 shown]
	s_waitcnt vmcnt(1)
	v_sub_f32_e32 v2, v217, v2
	s_waitcnt vmcnt(0)
	v_sub_f32_e32 v3, v218, v3
	buffer_store_dword v2, off, s[0:3], 0 offset:296
	buffer_store_dword v3, off, s[0:3], 0 offset:300
	v_cmpx_lt_u32_e32 36, v0
	s_cbranch_execz .LBB60_307
; %bb.306:
	s_clause 0x1
	buffer_load_dword v2, off, s[0:3], 0 offset:288
	buffer_load_dword v3, off, s[0:3], 0 offset:292
	buffer_store_dword v1, off, s[0:3], 0 offset:288
	buffer_store_dword v1, off, s[0:3], 0 offset:292
	s_waitcnt vmcnt(0)
	ds_write_b64 v135, v[2:3]
.LBB60_307:
	s_or_b32 exec_lo, exec_lo, s4
	s_waitcnt lgkmcnt(0)
	s_waitcnt_vscnt null, 0x0
	s_barrier
	buffer_gl0_inv
	s_clause 0x31
	buffer_load_dword v10, off, s[0:3], 0 offset:300
	buffer_load_dword v11, off, s[0:3], 0 offset:308
	;; [unrolled: 1-line block ×50, first 2 shown]
	ds_read2_b64 v[2:5], v1 offset0:99 offset1:100
	ds_read2_b64 v[6:9], v1 offset0:101 offset1:102
	;; [unrolled: 1-line block ×12, first 2 shown]
	s_mov_b32 s4, exec_lo
	s_waitcnt vmcnt(49) lgkmcnt(11)
	v_mul_f32_e32 v1, v2, v10
	v_mul_f32_e32 v10, v3, v10
	s_waitcnt vmcnt(48)
	v_mul_f32_e32 v223, v4, v11
	v_mul_f32_e32 v11, v5, v11
	s_waitcnt vmcnt(47) lgkmcnt(10)
	v_mul_f32_e32 v224, v6, v12
	s_waitcnt vmcnt(46)
	v_mul_f32_e32 v225, v8, v176
	s_waitcnt vmcnt(45) lgkmcnt(9)
	v_mul_f32_e32 v226, v136, v177
	s_waitcnt vmcnt(44)
	;; [unrolled: 4-line block ×10, first 2 shown]
	v_mul_f32_e32 v243, v170, v194
	s_waitcnt vmcnt(25)
	v_fma_f32 v2, v2, v197, -v10
	v_fmac_f32_e32 v1, v3, v197
	v_mul_f32_e32 v3, v7, v12
	s_waitcnt vmcnt(24)
	v_fma_f32 v4, v4, v198, -v11
	v_fmac_f32_e32 v223, v5, v198
	v_add_f32_e32 v2, 0, v2
	v_add_f32_e32 v1, 0, v1
	v_mul_f32_e32 v5, v9, v176
	s_waitcnt vmcnt(23)
	v_fma_f32 v3, v6, v199, -v3
	v_fmac_f32_e32 v224, v7, v199
	v_add_f32_e32 v2, v2, v4
	v_add_f32_e32 v1, v1, v223
	;; [unrolled: 6-line block ×20, first 2 shown]
	s_waitcnt lgkmcnt(0)
	v_mul_f32_e32 v4, v173, v195
	s_waitcnt vmcnt(4)
	v_fma_f32 v5, v170, v218, -v5
	v_mul_f32_e32 v244, v172, v195
	v_add_f32_e32 v2, v2, v3
	v_fmac_f32_e32 v243, v171, v218
	v_add_f32_e32 v1, v1, v242
	v_mul_f32_e32 v3, v175, v196
	s_waitcnt vmcnt(3)
	v_fma_f32 v4, v172, v219, -v4
	v_add_f32_e32 v2, v2, v5
	v_mul_f32_e32 v245, v174, v196
	v_fmac_f32_e32 v244, v173, v219
	v_add_f32_e32 v1, v1, v243
	s_waitcnt vmcnt(2)
	v_fma_f32 v3, v174, v220, -v3
	v_add_f32_e32 v2, v2, v4
	v_fmac_f32_e32 v245, v175, v220
	v_add_f32_e32 v1, v1, v244
	v_add_f32_e32 v2, v2, v3
	;; [unrolled: 1-line block ×3, first 2 shown]
	s_waitcnt vmcnt(1)
	v_sub_f32_e32 v2, v221, v2
	s_waitcnt vmcnt(0)
	v_sub_f32_e32 v1, v222, v1
	buffer_store_dword v2, off, s[0:3], 0 offset:288
	buffer_store_dword v1, off, s[0:3], 0 offset:292
	v_cmpx_lt_u32_e32 35, v0
	s_cbranch_execz .LBB60_309
; %bb.308:
	s_clause 0x1
	buffer_load_dword v1, off, s[0:3], 0 offset:280
	buffer_load_dword v2, off, s[0:3], 0 offset:284
	v_mov_b32_e32 v3, 0
	buffer_store_dword v3, off, s[0:3], 0 offset:280
	buffer_store_dword v3, off, s[0:3], 0 offset:284
	s_waitcnt vmcnt(0)
	ds_write_b64 v135, v[1:2]
.LBB60_309:
	s_or_b32 exec_lo, exec_lo, s4
	s_waitcnt lgkmcnt(0)
	s_waitcnt_vscnt null, 0x0
	s_barrier
	buffer_gl0_inv
	s_clause 0x33
	buffer_load_dword v12, off, s[0:3], 0 offset:292
	buffer_load_dword v176, off, s[0:3], 0 offset:300
	;; [unrolled: 1-line block ×52, first 2 shown]
	v_mov_b32_e32 v1, 0
	ds_read_b128 v[2:5], v1 offset:784
	ds_read_b128 v[6:9], v1 offset:800
	;; [unrolled: 1-line block ×12, first 2 shown]
	ds_read_b64 v[10:11], v1 offset:976
	s_mov_b32 s4, exec_lo
	s_waitcnt vmcnt(51) lgkmcnt(12)
	v_mul_f32_e32 v227, v2, v12
	v_mul_f32_e32 v12, v3, v12
	s_waitcnt vmcnt(50)
	v_mul_f32_e32 v228, v4, v176
	v_mul_f32_e32 v176, v5, v176
	s_waitcnt vmcnt(49) lgkmcnt(11)
	v_mul_f32_e32 v229, v6, v177
	s_waitcnt vmcnt(48)
	v_mul_f32_e32 v230, v8, v178
	s_waitcnt vmcnt(47) lgkmcnt(10)
	v_mul_f32_e32 v231, v136, v179
	s_waitcnt vmcnt(46)
	;; [unrolled: 4-line block ×11, first 2 shown]
	v_fma_f32 v2, v2, v200, -v12
	v_fmac_f32_e32 v227, v3, v200
	v_mul_f32_e32 v3, v7, v177
	s_waitcnt vmcnt(25)
	v_fma_f32 v4, v4, v201, -v176
	v_fmac_f32_e32 v228, v5, v201
	v_add_f32_e32 v2, 0, v2
	v_add_f32_e32 v5, 0, v227
	v_mul_f32_e32 v12, v9, v178
	s_waitcnt vmcnt(24)
	v_fma_f32 v3, v6, v202, -v3
	v_fmac_f32_e32 v229, v7, v202
	v_add_f32_e32 v2, v2, v4
	v_add_f32_e32 v4, v5, v228
	;; [unrolled: 6-line block ×21, first 2 shown]
	v_mul_f32_e32 v4, v175, v198
	s_waitcnt vmcnt(4)
	v_fma_f32 v5, v172, v222, -v5
	v_mul_f32_e32 v250, v174, v198
	v_add_f32_e32 v2, v2, v6
	v_fmac_f32_e32 v249, v173, v222
	v_add_f32_e32 v3, v3, v248
	s_waitcnt lgkmcnt(0)
	v_mul_f32_e32 v6, v11, v199
	s_waitcnt vmcnt(3)
	v_fma_f32 v4, v174, v223, -v4
	v_add_f32_e32 v2, v2, v5
	v_mul_f32_e32 v251, v10, v199
	v_fmac_f32_e32 v250, v175, v223
	v_add_f32_e32 v3, v3, v249
	s_waitcnt vmcnt(2)
	v_fma_f32 v5, v10, v224, -v6
	v_add_f32_e32 v2, v2, v4
	v_fmac_f32_e32 v251, v11, v224
	v_add_f32_e32 v3, v3, v250
	v_add_f32_e32 v2, v2, v5
	;; [unrolled: 1-line block ×3, first 2 shown]
	s_waitcnt vmcnt(1)
	v_sub_f32_e32 v2, v225, v2
	s_waitcnt vmcnt(0)
	v_sub_f32_e32 v3, v226, v3
	buffer_store_dword v2, off, s[0:3], 0 offset:280
	buffer_store_dword v3, off, s[0:3], 0 offset:284
	v_cmpx_lt_u32_e32 34, v0
	s_cbranch_execz .LBB60_311
; %bb.310:
	s_clause 0x1
	buffer_load_dword v2, off, s[0:3], 0 offset:272
	buffer_load_dword v3, off, s[0:3], 0 offset:276
	buffer_store_dword v1, off, s[0:3], 0 offset:272
	buffer_store_dword v1, off, s[0:3], 0 offset:276
	s_waitcnt vmcnt(0)
	ds_write_b64 v135, v[2:3]
.LBB60_311:
	s_or_b32 exec_lo, exec_lo, s4
	s_waitcnt lgkmcnt(0)
	s_waitcnt_vscnt null, 0x0
	s_barrier
	buffer_gl0_inv
	s_clause 0x35
	buffer_load_dword v12, off, s[0:3], 0 offset:284
	buffer_load_dword v140, off, s[0:3], 0 offset:292
	;; [unrolled: 1-line block ×54, first 2 shown]
	ds_read2_b64 v[4:7], v1 offset0:97 offset1:98
	ds_read2_b64 v[8:11], v1 offset0:99 offset1:100
	;; [unrolled: 1-line block ×3, first 2 shown]
	s_mov_b32 s4, exec_lo
	s_waitcnt vmcnt(53) lgkmcnt(2)
	v_mul_f32_e32 v194, v4, v12
	s_waitcnt vmcnt(52)
	v_mul_f32_e32 v195, v6, v140
	v_mul_f32_e32 v196, v7, v140
	ds_read2_b64 v[140:143], v1 offset0:103 offset1:104
	v_mul_f32_e32 v12, v5, v12
	s_waitcnt vmcnt(49)
	v_fmac_f32_e32 v194, v5, v146
	v_fmac_f32_e32 v195, v7, v145
	v_fma_f32 v145, v6, v145, -v196
	s_waitcnt vmcnt(48) lgkmcnt(2)
	v_mul_f32_e32 v196, v8, v147
	v_fma_f32 v12, v4, v146, -v12
	v_mul_f32_e32 v146, v9, v147
	s_waitcnt vmcnt(47)
	v_mul_f32_e32 v197, v10, v148
	v_mul_f32_e32 v147, v11, v148
	v_fmac_f32_e32 v196, v9, v144
	s_waitcnt vmcnt(42) lgkmcnt(1)
	v_mul_f32_e32 v198, v136, v151
	v_fma_f32 v148, v8, v144, -v146
	v_mul_f32_e32 v144, v137, v151
	ds_read2_b64 v[4:7], v1 offset0:105 offset1:106
	v_fmac_f32_e32 v197, v11, v150
	v_fma_f32 v150, v10, v150, -v147
	v_add_f32_e32 v12, 0, v12
	ds_read2_b64 v[8:11], v1 offset0:107 offset1:108
	s_waitcnt vmcnt(41)
	v_mul_f32_e32 v199, v138, v152
	s_waitcnt vmcnt(40) lgkmcnt(2)
	v_mul_f32_e32 v200, v140, v153
	v_mul_f32_e32 v147, v141, v153
	;; [unrolled: 1-line block ×3, first 2 shown]
	v_fmac_f32_e32 v198, v137, v149
	v_fma_f32 v149, v136, v149, -v144
	v_add_f32_e32 v136, 0, v194
	v_fmac_f32_e32 v200, v141, v2
	v_fma_f32 v194, v140, v2, -v147
	v_add_f32_e32 v2, v12, v145
	s_waitcnt vmcnt(39)
	v_mul_f32_e32 v201, v142, v154
	v_mul_f32_e32 v151, v143, v154
	v_fmac_f32_e32 v199, v139, v3
	v_fma_f32 v152, v138, v3, -v146
	v_add_f32_e32 v3, v136, v195
	v_add_f32_e32 v148, v2, v148
	s_waitcnt vmcnt(34)
	v_fmac_f32_e32 v201, v143, v159
	v_fma_f32 v159, v142, v159, -v151
	s_waitcnt lgkmcnt(1)
	v_mul_f32_e32 v202, v4, v155
	v_add_f32_e32 v151, v3, v196
	v_add_f32_e32 v148, v148, v150
	v_mul_f32_e32 v12, v5, v155
	s_waitcnt vmcnt(31) lgkmcnt(0)
	v_mul_f32_e32 v195, v10, v162
	v_fmac_f32_e32 v202, v5, v158
	v_add_f32_e32 v151, v151, v197
	v_add_f32_e32 v148, v148, v149
	v_fma_f32 v12, v4, v158, -v12
	v_mul_f32_e32 v158, v6, v160
	v_mul_f32_e32 v150, v7, v160
	v_add_f32_e32 v154, v151, v198
	v_mul_f32_e32 v160, v8, v161
	v_mul_f32_e32 v149, v9, v161
	v_add_f32_e32 v161, v148, v152
	v_mul_f32_e32 v153, v11, v162
	s_waitcnt vmcnt(27)
	v_fmac_f32_e32 v195, v11, v166
	v_add_f32_e32 v11, v154, v199
	ds_read2_b64 v[136:139], v1 offset0:109 offset1:110
	ds_read2_b64 v[144:147], v1 offset0:111 offset1:112
	v_add_f32_e32 v161, v161, v194
	v_fmac_f32_e32 v158, v7, v157
	v_fma_f32 v157, v6, v157, -v150
	v_add_f32_e32 v11, v11, v200
	v_fmac_f32_e32 v160, v9, v156
	v_add_f32_e32 v159, v161, v159
	v_fma_f32 v156, v8, v156, -v149
	v_fma_f32 v10, v10, v166, -v153
	v_add_f32_e32 v11, v11, v201
	ds_read2_b64 v[2:5], v1 offset0:113 offset1:114
	ds_read2_b64 v[140:143], v1 offset0:115 offset1:116
	v_add_f32_e32 v12, v159, v12
	ds_read2_b64 v[6:9], v1 offset0:117 offset1:118
	ds_read2_b64 v[148:151], v1 offset0:119 offset1:120
	;; [unrolled: 1-line block ×3, first 2 shown]
	v_add_f32_e32 v11, v11, v202
	v_add_f32_e32 v12, v12, v157
	;; [unrolled: 1-line block ×3, first 2 shown]
	s_waitcnt vmcnt(26) lgkmcnt(6)
	v_mul_f32_e32 v162, v137, v167
	v_add_f32_e32 v12, v12, v156
	v_mul_f32_e32 v1, v136, v167
	s_waitcnt vmcnt(25)
	v_mul_f32_e32 v167, v139, v168
	v_add_f32_e32 v11, v11, v160
	v_fma_f32 v136, v136, v165, -v162
	v_add_f32_e32 v10, v12, v10
	v_mul_f32_e32 v166, v138, v168
	v_fmac_f32_e32 v1, v137, v165
	v_add_f32_e32 v11, v11, v195
	s_waitcnt vmcnt(24) lgkmcnt(5)
	v_mul_f32_e32 v12, v145, v169
	v_fma_f32 v138, v138, v164, -v167
	v_add_f32_e32 v10, v10, v136
	v_mul_f32_e32 v161, v144, v169
	v_fmac_f32_e32 v166, v139, v164
	v_add_f32_e32 v1, v11, v1
	s_waitcnt vmcnt(23)
	v_mul_f32_e32 v11, v147, v170
	v_fma_f32 v12, v144, v163, -v12
	v_add_f32_e32 v10, v10, v138
	v_mul_f32_e32 v168, v146, v170
	v_fmac_f32_e32 v161, v145, v163
	v_add_f32_e32 v1, v1, v166
	s_waitcnt vmcnt(22) lgkmcnt(4)
	v_mul_f32_e32 v194, v2, v171
	v_mul_f32_e32 v136, v3, v171
	s_waitcnt vmcnt(9)
	v_fma_f32 v11, v146, v184, -v11
	v_add_f32_e32 v10, v10, v12
	v_fmac_f32_e32 v168, v147, v184
	v_add_f32_e32 v1, v1, v161
	v_mul_f32_e32 v12, v5, v172
	v_fmac_f32_e32 v194, v3, v183
	v_fma_f32 v2, v2, v183, -v136
	v_add_f32_e32 v3, v10, v11
	v_mul_f32_e32 v159, v4, v172
	v_add_f32_e32 v1, v1, v168
	s_waitcnt lgkmcnt(3)
	v_mul_f32_e32 v10, v141, v173
	v_fma_f32 v4, v4, v182, -v12
	v_add_f32_e32 v2, v3, v2
	v_mul_f32_e32 v196, v140, v173
	v_fmac_f32_e32 v159, v5, v182
	v_add_f32_e32 v1, v1, v194
	v_mul_f32_e32 v3, v143, v174
	v_fma_f32 v5, v140, v181, -v10
	v_add_f32_e32 v2, v2, v4
	v_mul_f32_e32 v197, v142, v174
	v_fmac_f32_e32 v196, v141, v181
	v_add_f32_e32 v1, v1, v159
	s_waitcnt lgkmcnt(2)
	v_mul_f32_e32 v4, v7, v175
	s_waitcnt vmcnt(5)
	v_fma_f32 v3, v142, v188, -v3
	v_add_f32_e32 v2, v2, v5
	v_mul_f32_e32 v157, v6, v175
	v_fmac_f32_e32 v197, v143, v188
	v_add_f32_e32 v1, v1, v196
	v_mul_f32_e32 v5, v9, v176
	v_fma_f32 v4, v6, v187, -v4
	v_add_f32_e32 v2, v2, v3
	v_mul_f32_e32 v158, v8, v176
	v_fmac_f32_e32 v157, v7, v187
	v_add_f32_e32 v1, v1, v197
	s_waitcnt lgkmcnt(1)
	v_mul_f32_e32 v3, v149, v177
	v_fma_f32 v5, v8, v186, -v5
	v_add_f32_e32 v2, v2, v4
	v_mul_f32_e32 v198, v148, v177
	v_fmac_f32_e32 v158, v9, v186
	v_add_f32_e32 v1, v1, v157
	v_mul_f32_e32 v4, v151, v178
	v_fma_f32 v3, v148, v185, -v3
	v_add_f32_e32 v2, v2, v5
	v_mul_f32_e32 v156, v150, v178
	v_fmac_f32_e32 v198, v149, v185
	v_add_f32_e32 v1, v1, v158
	s_waitcnt lgkmcnt(0)
	v_mul_f32_e32 v5, v153, v179
	s_waitcnt vmcnt(2)
	v_fma_f32 v4, v150, v191, -v4
	v_add_f32_e32 v2, v2, v3
	v_mul_f32_e32 v160, v152, v179
	v_fmac_f32_e32 v156, v151, v191
	v_add_f32_e32 v1, v1, v198
	v_mul_f32_e32 v3, v155, v180
	v_fma_f32 v5, v152, v190, -v5
	v_add_f32_e32 v2, v2, v4
	v_mul_f32_e32 v137, v154, v180
	v_fmac_f32_e32 v160, v153, v190
	v_add_f32_e32 v1, v1, v156
	v_fma_f32 v3, v154, v189, -v3
	v_add_f32_e32 v2, v2, v5
	v_fmac_f32_e32 v137, v155, v189
	v_add_f32_e32 v1, v1, v160
	v_add_f32_e32 v2, v2, v3
	;; [unrolled: 1-line block ×3, first 2 shown]
	s_waitcnt vmcnt(1)
	v_sub_f32_e32 v2, v192, v2
	s_waitcnt vmcnt(0)
	v_sub_f32_e32 v1, v193, v1
	buffer_store_dword v2, off, s[0:3], 0 offset:272
	buffer_store_dword v1, off, s[0:3], 0 offset:276
	v_cmpx_lt_u32_e32 33, v0
	s_cbranch_execz .LBB60_313
; %bb.312:
	s_clause 0x1
	buffer_load_dword v1, off, s[0:3], 0 offset:264
	buffer_load_dword v2, off, s[0:3], 0 offset:268
	v_mov_b32_e32 v3, 0
	buffer_store_dword v3, off, s[0:3], 0 offset:264
	buffer_store_dword v3, off, s[0:3], 0 offset:268
	s_waitcnt vmcnt(0)
	ds_write_b64 v135, v[1:2]
.LBB60_313:
	s_or_b32 exec_lo, exec_lo, s4
	s_waitcnt lgkmcnt(0)
	s_waitcnt_vscnt null, 0x0
	s_barrier
	buffer_gl0_inv
	s_clause 0x37
	buffer_load_dword v149, off, s[0:3], 0 offset:276
	buffer_load_dword v153, off, s[0:3], 0 offset:284
	;; [unrolled: 1-line block ×56, first 2 shown]
	v_mov_b32_e32 v1, 0
	ds_read_b128 v[137:140], v1 offset:768
	ds_read_b128 v[141:144], v1 offset:784
	;; [unrolled: 1-line block ×3, first 2 shown]
	s_mov_b32 s4, exec_lo
	s_waitcnt vmcnt(55) lgkmcnt(2)
	v_mul_f32_e32 v196, v137, v149
	v_mul_f32_e32 v197, v138, v149
	ds_read_b128 v[149:152], v1 offset:816
	s_waitcnt vmcnt(54)
	v_mul_f32_e32 v198, v139, v153
	v_mul_f32_e32 v153, v140, v153
	s_waitcnt vmcnt(51)
	v_fmac_f32_e32 v196, v138, v156
	v_fma_f32 v156, v137, v156, -v197
	s_waitcnt vmcnt(50) lgkmcnt(2)
	v_mul_f32_e32 v197, v141, v157
	v_fmac_f32_e32 v198, v140, v155
	v_fma_f32 v153, v139, v155, -v153
	s_waitcnt vmcnt(49)
	v_mul_f32_e32 v199, v143, v158
	v_mul_f32_e32 v155, v142, v157
	;; [unrolled: 1-line block ×3, first 2 shown]
	ds_read_b128 v[137:140], v1 offset:832
	v_fmac_f32_e32 v197, v142, v154
	s_waitcnt vmcnt(45)
	v_fmac_f32_e32 v199, v144, v162
	v_fma_f32 v154, v141, v154, -v155
	v_fma_f32 v157, v143, v162, -v157
	s_waitcnt vmcnt(44) lgkmcnt(2)
	v_mul_f32_e32 v162, v145, v163
	v_mul_f32_e32 v155, v146, v163
	ds_read_b128 v[141:144], v1 offset:848
	s_waitcnt vmcnt(43)
	v_mul_f32_e32 v163, v147, v164
	v_mul_f32_e32 v158, v148, v164
	v_add_f32_e32 v164, 0, v196
	v_fmac_f32_e32 v162, v146, v161
	v_fma_f32 v161, v145, v161, -v155
	v_add_f32_e32 v145, 0, v156
	s_waitcnt vmcnt(42) lgkmcnt(2)
	v_mul_f32_e32 v196, v149, v165
	v_add_f32_e32 v146, v164, v198
	v_mul_f32_e32 v155, v150, v165
	s_waitcnt vmcnt(41)
	v_mul_f32_e32 v198, v151, v166
	v_add_f32_e32 v145, v145, v153
	v_mul_f32_e32 v164, v152, v166
	s_waitcnt vmcnt(40) lgkmcnt(1)
	v_mul_f32_e32 v200, v137, v167
	v_fma_f32 v165, v147, v160, -v158
	v_fmac_f32_e32 v196, v150, v159
	v_fma_f32 v166, v149, v159, -v155
	v_add_f32_e32 v149, v146, v197
	v_add_f32_e32 v150, v145, v154
	v_mul_f32_e32 v158, v138, v167
	s_waitcnt vmcnt(37)
	v_fmac_f32_e32 v200, v138, v170
	s_waitcnt vmcnt(36)
	v_fmac_f32_e32 v198, v152, v171
	v_add_f32_e32 v138, v149, v199
	v_fma_f32 v167, v151, v171, -v164
	v_fma_f32 v170, v137, v170, -v158
	v_add_f32_e32 v137, v150, v157
	s_waitcnt vmcnt(35)
	v_mul_f32_e32 v171, v139, v172
	v_add_f32_e32 v138, v138, v162
	v_mul_f32_e32 v162, v140, v172
	s_waitcnt vmcnt(34) lgkmcnt(0)
	v_mul_f32_e32 v172, v141, v173
	v_add_f32_e32 v137, v137, v161
	v_mul_f32_e32 v161, v142, v173
	v_fmac_f32_e32 v163, v148, v160
	s_waitcnt vmcnt(33)
	v_mul_f32_e32 v197, v143, v174
	v_mul_f32_e32 v173, v144, v174
	v_fmac_f32_e32 v172, v142, v168
	v_fma_f32 v168, v141, v168, -v161
	v_add_f32_e32 v141, v137, v165
	v_add_f32_e32 v138, v138, v163
	s_waitcnt vmcnt(29)
	v_fmac_f32_e32 v197, v144, v178
	v_fma_f32 v173, v143, v178, -v173
	ds_read_b128 v[145:148], v1 offset:864
	ds_read_b128 v[153:156], v1 offset:880
	v_add_f32_e32 v178, v141, v166
	v_add_f32_e32 v174, v138, v196
	v_fmac_f32_e32 v171, v140, v169
	v_fma_f32 v169, v139, v169, -v162
	ds_read_b128 v[149:152], v1 offset:896
	ds_read_b128 v[157:160], v1 offset:912
	v_add_f32_e32 v167, v178, v167
	v_add_f32_e32 v174, v174, v198
	ds_read_b128 v[137:140], v1 offset:928
	ds_read_b128 v[161:164], v1 offset:944
	;; [unrolled: 1-line block ×3, first 2 shown]
	ds_read_b64 v[165:166], v1 offset:976
	v_add_f32_e32 v167, v167, v170
	v_add_f32_e32 v174, v174, v200
	;; [unrolled: 1-line block ×4, first 2 shown]
	s_waitcnt vmcnt(28) lgkmcnt(7)
	v_mul_f32_e32 v196, v145, v179
	v_mul_f32_e32 v179, v146, v179
	v_add_f32_e32 v167, v167, v168
	v_add_f32_e32 v168, v171, v172
	s_waitcnt vmcnt(27)
	v_mul_f32_e32 v178, v147, v180
	v_mul_f32_e32 v180, v148, v180
	v_fma_f32 v145, v145, v177, -v179
	v_add_f32_e32 v167, v167, v173
	v_fmac_f32_e32 v196, v146, v177
	v_add_f32_e32 v168, v168, v197
	s_waitcnt vmcnt(26) lgkmcnt(6)
	v_mul_f32_e32 v177, v154, v181
	v_fma_f32 v147, v147, v176, -v180
	v_add_f32_e32 v145, v167, v145
	v_mul_f32_e32 v198, v153, v181
	v_fmac_f32_e32 v178, v148, v176
	v_add_f32_e32 v167, v168, v196
	s_waitcnt vmcnt(25)
	v_mul_f32_e32 v173, v156, v182
	v_fma_f32 v153, v153, v175, -v177
	v_add_f32_e32 v145, v145, v147
	v_mul_f32_e32 v170, v155, v182
	v_fmac_f32_e32 v198, v154, v175
	v_add_f32_e32 v147, v167, v178
	s_waitcnt vmcnt(24) lgkmcnt(5)
	v_mul_f32_e32 v154, v150, v183
	s_waitcnt vmcnt(10)
	v_fma_f32 v155, v155, v189, -v173
	v_add_f32_e32 v145, v145, v153
	v_mul_f32_e32 v146, v149, v183
	v_fmac_f32_e32 v170, v156, v189
	v_add_f32_e32 v147, v147, v198
	v_mul_f32_e32 v153, v152, v184
	v_fma_f32 v149, v149, v188, -v154
	v_add_f32_e32 v145, v145, v155
	v_mul_f32_e32 v174, v151, v184
	v_fmac_f32_e32 v146, v150, v188
	v_add_f32_e32 v147, v147, v170
	s_waitcnt lgkmcnt(4)
	v_mul_f32_e32 v150, v158, v185
	v_fma_f32 v151, v151, v187, -v153
	v_add_f32_e32 v145, v145, v149
	v_mul_f32_e32 v169, v157, v185
	v_fmac_f32_e32 v174, v152, v187
	v_add_f32_e32 v146, v147, v146
	v_mul_f32_e32 v148, v159, v136
	v_mul_f32_e32 v136, v160, v136
	v_fma_f32 v147, v157, v186, -v150
	v_add_f32_e32 v145, v145, v151
	v_fmac_f32_e32 v169, v158, v186
	v_add_f32_e32 v146, v146, v174
	s_waitcnt lgkmcnt(3)
	v_mul_f32_e32 v176, v137, v11
	v_mul_f32_e32 v11, v138, v11
	s_waitcnt vmcnt(6)
	v_fma_f32 v136, v159, v193, -v136
	v_add_f32_e32 v145, v145, v147
	v_fmac_f32_e32 v148, v160, v193
	v_add_f32_e32 v146, v146, v169
	v_mul_f32_e32 v171, v139, v10
	v_mul_f32_e32 v10, v140, v10
	v_fma_f32 v11, v137, v192, -v11
	v_add_f32_e32 v136, v145, v136
	v_fmac_f32_e32 v176, v138, v192
	v_add_f32_e32 v137, v146, v148
	s_waitcnt lgkmcnt(2)
	v_mul_f32_e32 v172, v161, v9
	v_mul_f32_e32 v9, v162, v9
	v_fma_f32 v10, v139, v191, -v10
	v_add_f32_e32 v11, v136, v11
	v_fmac_f32_e32 v171, v140, v191
	v_add_f32_e32 v136, v137, v176
	v_mul_f32_e32 v179, v163, v7
	v_mul_f32_e32 v7, v164, v7
	v_fma_f32 v9, v161, v190, -v9
	v_add_f32_e32 v10, v11, v10
	v_fmac_f32_e32 v172, v162, v190
	v_add_f32_e32 v11, v136, v171
	s_waitcnt lgkmcnt(1)
	v_mul_f32_e32 v180, v141, v6
	v_mul_f32_e32 v6, v142, v6
	s_waitcnt vmcnt(2)
	v_fma_f32 v7, v163, v195, -v7
	v_add_f32_e32 v9, v10, v9
	v_fmac_f32_e32 v179, v164, v195
	v_add_f32_e32 v10, v11, v172
	v_mul_f32_e32 v181, v143, v2
	v_mul_f32_e32 v2, v144, v2
	v_fma_f32 v6, v141, v194, -v6
	v_add_f32_e32 v7, v9, v7
	v_fmac_f32_e32 v180, v142, v194
	v_add_f32_e32 v9, v10, v179
	s_waitcnt lgkmcnt(0)
	v_mul_f32_e32 v168, v165, v3
	v_mul_f32_e32 v3, v166, v3
	v_fma_f32 v2, v143, v12, -v2
	v_add_f32_e32 v6, v7, v6
	v_fmac_f32_e32 v181, v144, v12
	v_add_f32_e32 v7, v9, v180
	v_fma_f32 v3, v165, v8, -v3
	v_fmac_f32_e32 v168, v166, v8
	v_add_f32_e32 v2, v6, v2
	v_add_f32_e32 v6, v7, v181
	v_add_f32_e32 v2, v2, v3
	v_add_f32_e32 v3, v6, v168
	s_waitcnt vmcnt(1)
	v_sub_f32_e32 v2, v4, v2
	s_waitcnt vmcnt(0)
	v_sub_f32_e32 v3, v5, v3
	buffer_store_dword v2, off, s[0:3], 0 offset:264
	buffer_store_dword v3, off, s[0:3], 0 offset:268
	v_cmpx_lt_u32_e32 32, v0
	s_cbranch_execz .LBB60_315
; %bb.314:
	s_clause 0x1
	buffer_load_dword v2, off, s[0:3], 0 offset:256
	buffer_load_dword v3, off, s[0:3], 0 offset:260
	buffer_store_dword v1, off, s[0:3], 0 offset:256
	buffer_store_dword v1, off, s[0:3], 0 offset:260
	s_waitcnt vmcnt(0)
	ds_write_b64 v135, v[2:3]
.LBB60_315:
	s_or_b32 exec_lo, exec_lo, s4
	s_waitcnt lgkmcnt(0)
	s_waitcnt_vscnt null, 0x0
	s_barrier
	buffer_gl0_inv
	s_clause 0x39
	buffer_load_dword v156, off, s[0:3], 0 offset:268
	buffer_load_dword v157, off, s[0:3], 0 offset:276
	;; [unrolled: 1-line block ×58, first 2 shown]
	ds_read2_b64 v[144:147], v1 offset0:95 offset1:96
	ds_read2_b64 v[148:151], v1 offset0:97 offset1:98
	;; [unrolled: 1-line block ×3, first 2 shown]
	s_mov_b32 s4, exec_lo
	s_waitcnt vmcnt(57) lgkmcnt(2)
	v_mul_f32_e32 v195, v144, v156
	v_mul_f32_e32 v156, v145, v156
	s_waitcnt vmcnt(56)
	v_mul_f32_e32 v196, v146, v157
	v_mul_f32_e32 v157, v147, v157
	s_waitcnt vmcnt(53)
	v_fmac_f32_e32 v195, v145, v160
	v_fma_f32 v156, v144, v160, -v156
	v_fmac_f32_e32 v196, v147, v159
	v_fma_f32 v160, v146, v159, -v157
	ds_read2_b64 v[144:147], v1 offset0:101 offset1:102
	s_waitcnt vmcnt(52) lgkmcnt(2)
	v_mul_f32_e32 v197, v148, v161
	v_mul_f32_e32 v157, v149, v161
	s_waitcnt vmcnt(51)
	v_mul_f32_e32 v161, v150, v162
	v_mul_f32_e32 v159, v151, v162
	s_waitcnt vmcnt(50) lgkmcnt(1)
	v_mul_f32_e32 v198, v152, v163
	v_mul_f32_e32 v162, v153, v163
	s_waitcnt vmcnt(49)
	v_mul_f32_e32 v199, v154, v164
	v_mul_f32_e32 v163, v155, v164
	v_fmac_f32_e32 v197, v149, v158
	v_fma_f32 v164, v148, v158, -v157
	s_waitcnt vmcnt(45)
	v_fmac_f32_e32 v161, v151, v167
	v_fma_f32 v167, v150, v167, -v159
	ds_read2_b64 v[148:151], v1 offset0:103 offset1:104
	v_fmac_f32_e32 v198, v153, v166
	v_fma_f32 v166, v152, v166, -v162
	v_fmac_f32_e32 v199, v155, v165
	v_fma_f32 v200, v154, v165, -v163
	ds_read2_b64 v[152:155], v1 offset0:105 offset1:106
	v_add_f32_e32 v162, 0, v195
	s_waitcnt vmcnt(44) lgkmcnt(2)
	v_mul_f32_e32 v201, v144, v168
	v_mul_f32_e32 v157, v145, v168
	s_waitcnt vmcnt(43)
	v_mul_f32_e32 v168, v146, v169
	v_mul_f32_e32 v158, v147, v169
	v_add_f32_e32 v162, v162, v196
	v_fmac_f32_e32 v201, v145, v143
	v_fma_f32 v169, v144, v143, -v157
	s_waitcnt vmcnt(39)
	v_fmac_f32_e32 v168, v147, v173
	v_add_f32_e32 v147, 0, v156
	v_fma_f32 v173, v146, v173, -v158
	ds_read2_b64 v[143:146], v1 offset0:107 offset1:108
	ds_read2_b64 v[156:159], v1 offset0:109 offset1:110
	v_add_f32_e32 v162, v162, v197
	v_add_f32_e32 v147, v147, v160
	s_waitcnt vmcnt(38) lgkmcnt(3)
	v_mul_f32_e32 v195, v148, v174
	v_mul_f32_e32 v160, v149, v174
	s_waitcnt vmcnt(37)
	v_mul_f32_e32 v174, v150, v175
	v_mul_f32_e32 v163, v151, v175
	v_add_f32_e32 v147, v147, v164
	s_waitcnt vmcnt(36) lgkmcnt(2)
	v_mul_f32_e32 v175, v152, v176
	s_waitcnt vmcnt(35)
	v_mul_f32_e32 v196, v154, v177
	v_mul_f32_e32 v164, v153, v176
	v_fmac_f32_e32 v174, v151, v171
	v_add_f32_e32 v151, v147, v167
	v_add_f32_e32 v165, v162, v161
	v_mul_f32_e32 v167, v155, v177
	v_fmac_f32_e32 v175, v153, v170
	s_waitcnt vmcnt(31)
	v_fmac_f32_e32 v196, v155, v180
	v_fma_f32 v155, v152, v170, -v164
	v_add_f32_e32 v170, v151, v166
	v_fma_f32 v176, v150, v171, -v163
	v_add_f32_e32 v171, v165, v198
	v_fma_f32 v177, v154, v180, -v167
	s_waitcnt vmcnt(30) lgkmcnt(1)
	v_mul_f32_e32 v180, v143, v181
	v_add_f32_e32 v170, v170, v200
	v_mul_f32_e32 v181, v144, v181
	v_add_f32_e32 v171, v171, v199
	v_fmac_f32_e32 v195, v149, v172
	v_fmac_f32_e32 v180, v144, v179
	v_add_f32_e32 v144, v170, v169
	v_fma_f32 v172, v148, v172, -v160
	v_add_f32_e32 v169, v171, v201
	v_fma_f32 v179, v143, v179, -v181
	ds_read2_b64 v[147:150], v1 offset0:111 offset1:112
	ds_read2_b64 v[160:163], v1 offset0:113 offset1:114
	v_add_f32_e32 v173, v144, v173
	s_waitcnt vmcnt(29)
	v_mul_f32_e32 v197, v145, v182
	v_add_f32_e32 v181, v169, v168
	v_mul_f32_e32 v182, v146, v182
	ds_read2_b64 v[151:154], v1 offset0:115 offset1:116
	ds_read2_b64 v[164:167], v1 offset0:117 offset1:118
	v_add_f32_e32 v172, v173, v172
	v_fmac_f32_e32 v197, v146, v178
	v_add_f32_e32 v181, v181, v195
	v_fma_f32 v178, v145, v178, -v182
	ds_read2_b64 v[143:146], v1 offset0:119 offset1:120
	ds_read2_b64 v[168:171], v1 offset0:121 offset1:122
	v_add_f32_e32 v172, v172, v176
	s_waitcnt vmcnt(28) lgkmcnt(6)
	v_mul_f32_e32 v1, v156, v183
	v_add_f32_e32 v174, v181, v174
	v_mul_f32_e32 v173, v157, v183
	s_waitcnt vmcnt(27)
	v_mul_f32_e32 v183, v159, v184
	v_add_f32_e32 v155, v172, v155
	v_fmac_f32_e32 v1, v157, v12
	v_add_f32_e32 v174, v174, v175
	v_fma_f32 v12, v156, v12, -v173
	v_mul_f32_e32 v182, v158, v184
	v_add_f32_e32 v155, v155, v177
	s_waitcnt vmcnt(26) lgkmcnt(5)
	v_mul_f32_e32 v176, v147, v141
	v_add_f32_e32 v174, v174, v196
	v_mul_f32_e32 v141, v148, v141
	s_waitcnt vmcnt(11)
	v_fma_f32 v158, v158, v188, -v183
	v_add_f32_e32 v155, v155, v179
	v_fmac_f32_e32 v182, v159, v188
	v_add_f32_e32 v174, v174, v180
	v_mul_f32_e32 v181, v149, v140
	v_mul_f32_e32 v140, v150, v140
	v_add_f32_e32 v155, v155, v178
	v_fma_f32 v141, v147, v187, -v141
	v_add_f32_e32 v157, v174, v197
	v_fmac_f32_e32 v176, v148, v187
	s_waitcnt lgkmcnt(4)
	v_mul_f32_e32 v184, v160, v139
	v_add_f32_e32 v12, v155, v12
	v_mul_f32_e32 v139, v161, v139
	v_add_f32_e32 v1, v157, v1
	v_fma_f32 v140, v149, v186, -v140
	v_fmac_f32_e32 v181, v150, v186
	v_add_f32_e32 v12, v12, v158
	v_mul_f32_e32 v172, v162, v138
	v_add_f32_e32 v1, v1, v182
	v_mul_f32_e32 v138, v163, v138
	v_fma_f32 v139, v160, v185, -v139
	v_add_f32_e32 v12, v12, v141
	v_fmac_f32_e32 v184, v161, v185
	v_add_f32_e32 v1, v1, v176
	s_waitcnt lgkmcnt(3)
	v_mul_f32_e32 v175, v151, v136
	v_mul_f32_e32 v136, v152, v136
	v_add_f32_e32 v12, v12, v140
	s_waitcnt vmcnt(7)
	v_fma_f32 v138, v162, v192, -v138
	v_add_f32_e32 v1, v1, v181
	v_fmac_f32_e32 v172, v163, v192
	v_mul_f32_e32 v195, v153, v11
	v_add_f32_e32 v12, v12, v139
	v_mul_f32_e32 v11, v154, v11
	v_add_f32_e32 v1, v1, v184
	v_fma_f32 v136, v151, v191, -v136
	v_fmac_f32_e32 v175, v152, v191
	v_add_f32_e32 v12, v12, v138
	s_waitcnt lgkmcnt(2)
	v_mul_f32_e32 v177, v164, v10
	v_add_f32_e32 v1, v1, v172
	v_mul_f32_e32 v10, v165, v10
	v_fma_f32 v11, v153, v190, -v11
	v_add_f32_e32 v12, v12, v136
	v_fmac_f32_e32 v195, v154, v190
	v_add_f32_e32 v1, v1, v175
	v_mul_f32_e32 v196, v166, v8
	v_mul_f32_e32 v8, v167, v8
	v_fma_f32 v10, v164, v189, -v10
	v_add_f32_e32 v11, v12, v11
	v_fmac_f32_e32 v177, v165, v189
	v_add_f32_e32 v1, v1, v195
	s_waitcnt lgkmcnt(1)
	v_mul_f32_e32 v198, v143, v7
	v_mul_f32_e32 v7, v144, v7
	s_waitcnt vmcnt(3)
	v_fma_f32 v8, v166, v194, -v8
	v_add_f32_e32 v10, v11, v10
	v_fmac_f32_e32 v196, v167, v194
	v_add_f32_e32 v1, v1, v177
	v_mul_f32_e32 v179, v145, v6
	v_mul_f32_e32 v6, v146, v6
	v_fma_f32 v7, v143, v193, -v7
	v_add_f32_e32 v8, v10, v8
	v_fmac_f32_e32 v198, v144, v193
	v_add_f32_e32 v1, v1, v196
	s_waitcnt lgkmcnt(0)
	v_mul_f32_e32 v180, v168, v5
	v_mul_f32_e32 v5, v169, v5
	v_fma_f32 v6, v145, v142, -v6
	v_add_f32_e32 v7, v8, v7
	v_fmac_f32_e32 v179, v146, v142
	v_add_f32_e32 v1, v1, v198
	v_mul_f32_e32 v156, v170, v2
	v_mul_f32_e32 v2, v171, v2
	v_fma_f32 v5, v168, v137, -v5
	v_add_f32_e32 v6, v7, v6
	v_fmac_f32_e32 v180, v169, v137
	v_add_f32_e32 v1, v1, v179
	s_waitcnt vmcnt(2)
	v_fma_f32 v2, v170, v9, -v2
	v_fmac_f32_e32 v156, v171, v9
	v_add_f32_e32 v5, v6, v5
	v_add_f32_e32 v1, v1, v180
	;; [unrolled: 1-line block ×4, first 2 shown]
	s_waitcnt vmcnt(1)
	v_sub_f32_e32 v2, v3, v2
	s_waitcnt vmcnt(0)
	v_sub_f32_e32 v1, v4, v1
	buffer_store_dword v2, off, s[0:3], 0 offset:256
	buffer_store_dword v1, off, s[0:3], 0 offset:260
	v_cmpx_lt_u32_e32 31, v0
	s_cbranch_execz .LBB60_317
; %bb.316:
	s_clause 0x1
	buffer_load_dword v1, off, s[0:3], 0 offset:248
	buffer_load_dword v2, off, s[0:3], 0 offset:252
	v_mov_b32_e32 v3, 0
	buffer_store_dword v3, off, s[0:3], 0 offset:248
	buffer_store_dword v3, off, s[0:3], 0 offset:252
	s_waitcnt vmcnt(0)
	ds_write_b64 v135, v[1:2]
.LBB60_317:
	s_or_b32 exec_lo, exec_lo, s4
	s_waitcnt lgkmcnt(0)
	s_waitcnt_vscnt null, 0x0
	s_barrier
	buffer_gl0_inv
	s_clause 0x3b
	buffer_load_dword v167, off, s[0:3], 0 offset:260
	buffer_load_dword v168, off, s[0:3], 0 offset:268
	;; [unrolled: 1-line block ×60, first 2 shown]
	v_mov_b32_e32 v1, 0
	ds_read_b128 v[155:158], v1 offset:752
	ds_read_b128 v[159:162], v1 offset:768
	;; [unrolled: 1-line block ×3, first 2 shown]
	s_mov_b32 s4, exec_lo
	s_waitcnt vmcnt(59) lgkmcnt(2)
	v_mul_f32_e32 v197, v155, v167
	s_waitcnt vmcnt(58)
	v_mul_f32_e32 v198, v157, v168
	v_mul_f32_e32 v167, v156, v167
	;; [unrolled: 1-line block ×3, first 2 shown]
	s_waitcnt vmcnt(55)
	v_fmac_f32_e32 v197, v156, v170
	v_fmac_f32_e32 v198, v158, v169
	v_fma_f32 v167, v155, v170, -v167
	v_fma_f32 v168, v157, v169, -v168
	ds_read_b128 v[155:158], v1 offset:800
	s_waitcnt vmcnt(54) lgkmcnt(2)
	v_mul_f32_e32 v199, v159, v154
	v_mul_f32_e32 v154, v160, v154
	s_waitcnt vmcnt(53)
	v_mul_f32_e32 v200, v161, v153
	v_mul_f32_e32 v153, v162, v153
	v_add_f32_e32 v169, 0, v197
	v_fmac_f32_e32 v199, v160, v148
	v_fma_f32 v148, v159, v148, -v154
	s_waitcnt vmcnt(48)
	v_fmac_f32_e32 v200, v162, v173
	v_fma_f32 v173, v161, v173, -v153
	s_waitcnt vmcnt(47) lgkmcnt(1)
	v_mul_f32_e32 v153, v166, v174
	ds_read_b128 v[159:162], v1 offset:816
	v_mul_f32_e32 v201, v163, v151
	v_mul_f32_e32 v151, v164, v151
	;; [unrolled: 1-line block ×3, first 2 shown]
	v_fma_f32 v203, v165, v171, -v153
	v_fmac_f32_e32 v201, v164, v172
	v_fma_f32 v151, v163, v172, -v151
	v_fmac_f32_e32 v202, v166, v171
	s_waitcnt vmcnt(46) lgkmcnt(1)
	v_mul_f32_e32 v204, v155, v175
	s_waitcnt vmcnt(45)
	v_mul_f32_e32 v205, v157, v176
	v_mul_f32_e32 v153, v156, v175
	;; [unrolled: 1-line block ×3, first 2 shown]
	ds_read_b128 v[163:166], v1 offset:832
	v_fmac_f32_e32 v204, v156, v150
	v_add_f32_e32 v156, 0, v167
	s_waitcnt vmcnt(41)
	v_fmac_f32_e32 v205, v158, v179
	v_fma_f32 v179, v157, v179, -v154
	v_add_f32_e32 v158, v169, v198
	v_fma_f32 v150, v155, v150, -v153
	v_add_f32_e32 v157, v156, v168
	s_waitcnt vmcnt(39) lgkmcnt(1)
	v_mul_f32_e32 v171, v162, v181
	v_mul_f32_e32 v198, v161, v181
	v_add_f32_e32 v158, v158, v199
	ds_read_b128 v[153:156], v1 offset:848
	ds_read_b128 v[167:170], v1 offset:864
	v_add_f32_e32 v148, v157, v148
	v_fma_f32 v206, v161, v177, -v171
	v_mul_f32_e32 v157, v160, v180
	v_add_f32_e32 v158, v158, v200
	v_mul_f32_e32 v197, v159, v180
	v_add_f32_e32 v148, v148, v173
	v_fmac_f32_e32 v198, v162, v177
	v_fma_f32 v180, v159, v178, -v157
	v_add_f32_e32 v161, v158, v201
	s_waitcnt vmcnt(37) lgkmcnt(2)
	v_mul_f32_e32 v200, v165, v146
	v_add_f32_e32 v148, v148, v151
	v_fmac_f32_e32 v197, v160, v178
	v_mul_f32_e32 v146, v166, v146
	v_add_f32_e32 v151, v161, v202
	v_mul_f32_e32 v199, v163, v182
	v_add_f32_e32 v148, v148, v203
	v_mul_f32_e32 v175, v164, v182
	s_waitcnt vmcnt(33)
	v_fmac_f32_e32 v200, v166, v185
	v_add_f32_e32 v151, v151, v204
	v_fma_f32 v146, v165, v185, -v146
	v_add_f32_e32 v148, v148, v150
	v_fmac_f32_e32 v199, v164, v143
	v_fma_f32 v143, v163, v143, -v175
	v_add_f32_e32 v151, v151, v205
	s_waitcnt vmcnt(32) lgkmcnt(1)
	v_mul_f32_e32 v165, v153, v186
	v_add_f32_e32 v148, v148, v179
	v_mul_f32_e32 v150, v154, v186
	ds_read_b128 v[157:160], v1 offset:880
	ds_read_b128 v[171:174], v1 offset:896
	v_add_f32_e32 v185, v151, v197
	s_waitcnt vmcnt(30) lgkmcnt(2)
	v_mul_f32_e32 v186, v167, v141
	v_add_f32_e32 v148, v148, v180
	v_mul_f32_e32 v141, v168, v141
	v_mul_f32_e32 v166, v155, v187
	v_add_f32_e32 v185, v185, v198
	v_mul_f32_e32 v181, v156, v187
	v_add_f32_e32 v148, v148, v206
	v_fmac_f32_e32 v165, v154, v184
	v_fma_f32 v184, v153, v184, -v150
	v_add_f32_e32 v185, v185, v199
	v_fmac_f32_e32 v186, v168, v137
	v_add_f32_e32 v143, v148, v143
	v_fma_f32 v137, v167, v137, -v141
	v_fmac_f32_e32 v166, v156, v183
	v_add_f32_e32 v167, v185, v200
	v_fma_f32 v183, v155, v183, -v181
	v_add_f32_e32 v143, v143, v146
	s_waitcnt vmcnt(29)
	v_mul_f32_e32 v187, v169, v142
	v_mul_f32_e32 v142, v170, v142
	v_add_f32_e32 v165, v167, v165
	s_waitcnt vmcnt(28) lgkmcnt(1)
	v_mul_f32_e32 v197, v157, v138
	v_add_f32_e32 v143, v143, v184
	v_mul_f32_e32 v138, v158, v138
	s_waitcnt vmcnt(20)
	v_fma_f32 v142, v169, v191, -v142
	v_add_f32_e32 v165, v165, v166
	ds_read_b128 v[161:164], v1 offset:912
	ds_read_b128 v[175:178], v1 offset:928
	v_add_f32_e32 v143, v143, v183
	v_fmac_f32_e32 v187, v170, v191
	v_mul_f32_e32 v148, v159, v10
	v_mul_f32_e32 v10, v160, v10
	v_fma_f32 v138, v157, v190, -v138
	v_add_f32_e32 v137, v143, v137
	v_add_f32_e32 v143, v165, v186
	v_fmac_f32_e32 v197, v158, v190
	s_waitcnt lgkmcnt(2)
	v_mul_f32_e32 v141, v171, v8
	v_mul_f32_e32 v8, v172, v8
	v_add_f32_e32 v137, v137, v142
	v_add_f32_e32 v142, v143, v187
	v_fma_f32 v10, v159, v189, -v10
	v_fmac_f32_e32 v148, v160, v189
	v_mul_f32_e32 v168, v173, v6
	v_add_f32_e32 v137, v137, v138
	v_add_f32_e32 v138, v142, v197
	v_mul_f32_e32 v6, v174, v6
	v_fma_f32 v8, v171, v188, -v8
	v_fmac_f32_e32 v141, v172, v188
	v_add_f32_e32 v10, v137, v10
	v_add_f32_e32 v137, v138, v148
	s_waitcnt lgkmcnt(1)
	v_mul_f32_e32 v146, v161, v5
	v_mul_f32_e32 v5, v162, v5
	s_waitcnt vmcnt(8)
	v_fma_f32 v6, v173, v196, -v6
	v_add_f32_e32 v8, v10, v8
	v_fmac_f32_e32 v168, v174, v196
	v_add_f32_e32 v10, v137, v141
	ds_read_b128 v[153:156], v1 offset:944
	ds_read_b128 v[179:182], v1 offset:960
	ds_read_b64 v[150:151], v1 offset:976
	v_mul_f32_e32 v137, v164, v192
	v_fma_f32 v5, v161, v195, -v5
	v_add_f32_e32 v6, v8, v6
	v_mul_f32_e32 v169, v163, v192
	v_fmac_f32_e32 v146, v162, v195
	v_add_f32_e32 v8, v10, v168
	s_waitcnt lgkmcnt(3)
	v_mul_f32_e32 v10, v176, v193
	v_fma_f32 v137, v163, v194, -v137
	v_add_f32_e32 v5, v6, v5
	v_mul_f32_e32 v170, v175, v193
	v_fmac_f32_e32 v169, v164, v194
	v_add_f32_e32 v6, v8, v146
	v_mul_f32_e32 v8, v178, v147
	v_fma_f32 v10, v175, v152, -v10
	v_add_f32_e32 v5, v5, v137
	v_mul_f32_e32 v167, v177, v147
	v_fmac_f32_e32 v170, v176, v152
	v_add_f32_e32 v6, v6, v169
	s_waitcnt lgkmcnt(2)
	v_mul_f32_e32 v137, v154, v144
	s_waitcnt vmcnt(4)
	v_fma_f32 v8, v177, v149, -v8
	v_add_f32_e32 v5, v5, v10
	v_mul_f32_e32 v184, v153, v144
	v_fmac_f32_e32 v167, v178, v149
	v_add_f32_e32 v6, v6, v170
	v_mul_f32_e32 v10, v156, v140
	v_fma_f32 v137, v153, v145, -v137
	v_add_f32_e32 v5, v5, v8
	v_mul_f32_e32 v185, v155, v140
	v_fmac_f32_e32 v184, v154, v145
	v_add_f32_e32 v6, v6, v167
	s_waitcnt lgkmcnt(1)
	v_mul_f32_e32 v8, v180, v136
	v_fma_f32 v10, v155, v139, -v10
	v_add_f32_e32 v5, v5, v137
	v_mul_f32_e32 v166, v179, v136
	v_fmac_f32_e32 v185, v156, v139
	v_add_f32_e32 v6, v6, v184
	v_mul_f32_e32 v183, v181, v9
	v_mul_f32_e32 v9, v182, v9
	v_fma_f32 v8, v179, v12, -v8
	v_add_f32_e32 v5, v5, v10
	v_fmac_f32_e32 v166, v180, v12
	v_add_f32_e32 v6, v6, v185
	s_waitcnt lgkmcnt(0)
	v_mul_f32_e32 v165, v150, v4
	v_mul_f32_e32 v4, v151, v4
	s_waitcnt vmcnt(2)
	v_fma_f32 v9, v181, v11, -v9
	v_add_f32_e32 v5, v5, v8
	v_fmac_f32_e32 v183, v182, v11
	v_add_f32_e32 v6, v6, v166
	v_fma_f32 v4, v150, v7, -v4
	v_fmac_f32_e32 v165, v151, v7
	v_add_f32_e32 v5, v5, v9
	v_add_f32_e32 v6, v6, v183
	;; [unrolled: 1-line block ×4, first 2 shown]
	s_waitcnt vmcnt(1)
	v_sub_f32_e32 v2, v2, v4
	s_waitcnt vmcnt(0)
	v_sub_f32_e32 v3, v3, v5
	buffer_store_dword v2, off, s[0:3], 0 offset:248
	buffer_store_dword v3, off, s[0:3], 0 offset:252
	v_cmpx_lt_u32_e32 30, v0
	s_cbranch_execz .LBB60_319
; %bb.318:
	s_clause 0x1
	buffer_load_dword v2, off, s[0:3], 0 offset:240
	buffer_load_dword v3, off, s[0:3], 0 offset:244
	buffer_store_dword v1, off, s[0:3], 0 offset:240
	buffer_store_dword v1, off, s[0:3], 0 offset:244
	s_waitcnt vmcnt(0)
	ds_write_b64 v135, v[2:3]
.LBB60_319:
	s_or_b32 exec_lo, exec_lo, s4
	s_waitcnt lgkmcnt(0)
	s_waitcnt_vscnt null, 0x0
	s_barrier
	buffer_gl0_inv
	s_clause 0x3d
	buffer_load_dword v167, off, s[0:3], 0 offset:252
	buffer_load_dword v168, off, s[0:3], 0 offset:260
	;; [unrolled: 1-line block ×62, first 2 shown]
	ds_read2_b64 v[159:162], v1 offset0:93 offset1:94
	ds_read2_b64 v[163:166], v1 offset0:95 offset1:96
	s_mov_b32 s4, exec_lo
	s_waitcnt vmcnt(61) lgkmcnt(1)
	v_mul_f32_e32 v195, v159, v167
	s_waitcnt vmcnt(60)
	v_mul_f32_e32 v196, v161, v168
	v_mul_f32_e32 v167, v160, v167
	v_mul_f32_e32 v168, v162, v168
	s_waitcnt vmcnt(57)
	v_fmac_f32_e32 v195, v160, v170
	v_fmac_f32_e32 v196, v162, v169
	v_fma_f32 v167, v159, v170, -v167
	v_fma_f32 v197, v161, v169, -v168
	ds_read2_b64 v[159:162], v1 offset0:97 offset1:98
	s_waitcnt vmcnt(56) lgkmcnt(1)
	v_mul_f32_e32 v198, v163, v156
	v_mul_f32_e32 v156, v164, v156
	s_waitcnt vmcnt(55)
	v_mul_f32_e32 v199, v165, v157
	v_mul_f32_e32 v157, v166, v157
	v_fmac_f32_e32 v198, v164, v150
	v_fma_f32 v150, v163, v150, -v156
	s_waitcnt vmcnt(51)
	v_fmac_f32_e32 v199, v166, v171
	v_fma_f32 v171, v165, v171, -v157
	ds_read2_b64 v[163:166], v1 offset0:99 offset1:100
	v_add_f32_e32 v157, 0, v195
	v_add_f32_e32 v157, v157, v196
	s_waitcnt vmcnt(50) lgkmcnt(1)
	v_mul_f32_e32 v200, v159, v147
	v_mul_f32_e32 v147, v160, v147
	s_waitcnt vmcnt(49)
	v_mul_f32_e32 v201, v161, v146
	v_mul_f32_e32 v146, v162, v146
	v_fmac_f32_e32 v200, v160, v144
	v_fma_f32 v144, v159, v144, -v147
	v_fmac_f32_e32 v201, v162, v143
	v_fma_f32 v143, v161, v143, -v146
	ds_read2_b64 v[159:162], v1 offset0:101 offset1:102
	s_waitcnt vmcnt(48) lgkmcnt(1)
	v_mul_f32_e32 v146, v163, v9
	v_mul_f32_e32 v9, v164, v9
	s_waitcnt vmcnt(47)
	v_mul_f32_e32 v147, v165, v172
	v_mul_f32_e32 v156, v166, v172
	v_fmac_f32_e32 v146, v164, v5
	v_fma_f32 v5, v163, v5, -v9
	s_waitcnt vmcnt(43)
	v_fmac_f32_e32 v147, v166, v173
	v_fma_f32 v9, v165, v173, -v156
	ds_read2_b64 v[163:166], v1 offset0:103 offset1:104
	v_add_f32_e32 v156, 0, v167
	ds_read2_b64 v[167:170], v1 offset0:105 offset1:106
	v_add_f32_e32 v156, v156, v197
	s_waitcnt vmcnt(42) lgkmcnt(2)
	v_mul_f32_e32 v195, v159, v158
	v_mul_f32_e32 v158, v160, v158
	v_add_f32_e32 v150, v156, v150
	s_waitcnt vmcnt(41)
	v_mul_f32_e32 v197, v161, v151
	v_mul_f32_e32 v151, v162, v151
	v_fmac_f32_e32 v195, v160, v152
	v_fma_f32 v196, v159, v152, -v158
	v_add_f32_e32 v152, v157, v198
	v_add_f32_e32 v150, v150, v171
	ds_read2_b64 v[156:159], v1 offset0:107 offset1:108
	s_waitcnt vmcnt(40) lgkmcnt(2)
	v_mul_f32_e32 v198, v163, v148
	v_mul_f32_e32 v148, v164, v148
	v_add_f32_e32 v152, v152, v199
	v_add_f32_e32 v144, v150, v144
	s_waitcnt vmcnt(39)
	v_mul_f32_e32 v199, v165, v153
	v_fmac_f32_e32 v198, v164, v8
	v_fma_f32 v148, v163, v8, -v148
	v_add_f32_e32 v150, v152, v200
	v_add_f32_e32 v8, v144, v143
	v_mul_f32_e32 v171, v166, v153
	v_fmac_f32_e32 v197, v162, v10
	v_fma_f32 v10, v161, v10, -v151
	v_add_f32_e32 v143, v150, v201
	v_add_f32_e32 v5, v8, v5
	s_waitcnt vmcnt(34)
	v_fmac_f32_e32 v199, v166, v175
	v_fma_f32 v144, v165, v175, -v171
	s_waitcnt lgkmcnt(1)
	v_mul_f32_e32 v200, v167, v140
	v_add_f32_e32 v8, v143, v146
	v_add_f32_e32 v5, v5, v9
	s_waitcnt vmcnt(33)
	v_mul_f32_e32 v143, v169, v141
	v_mul_f32_e32 v9, v170, v141
	s_waitcnt vmcnt(32) lgkmcnt(0)
	v_mul_f32_e32 v146, v156, v138
	v_add_f32_e32 v8, v8, v147
	v_mul_f32_e32 v138, v157, v138
	v_add_f32_e32 v5, v5, v196
	s_waitcnt vmcnt(31)
	v_mul_f32_e32 v175, v159, v139
	v_fmac_f32_e32 v143, v170, v12
	v_fma_f32 v12, v169, v12, -v9
	v_fma_f32 v169, v156, v11, -v138
	v_add_f32_e32 v156, v8, v195
	v_add_f32_e32 v5, v5, v10
	s_waitcnt vmcnt(27)
	v_fma_f32 v170, v158, v179, -v175
	v_mul_f32_e32 v140, v168, v140
	ds_read2_b64 v[150:153], v1 offset0:109 offset1:110
	ds_read2_b64 v[160:163], v1 offset0:111 offset1:112
	v_add_f32_e32 v175, v156, v197
	v_add_f32_e32 v5, v5, v148
	v_fmac_f32_e32 v200, v168, v174
	v_fma_f32 v168, v167, v174, -v140
	v_mul_f32_e32 v147, v158, v139
	v_add_f32_e32 v175, v175, v198
	v_add_f32_e32 v5, v5, v144
	v_fmac_f32_e32 v146, v157, v11
	ds_read2_b64 v[164:167], v1 offset0:113 offset1:114
	ds_read2_b64 v[171:174], v1 offset0:115 offset1:116
	;; [unrolled: 1-line block ×4, first 2 shown]
	v_add_f32_e32 v175, v175, v199
	v_add_f32_e32 v5, v5, v168
	v_fmac_f32_e32 v147, v159, v179
	ds_read2_b64 v[156:159], v1 offset0:121 offset1:122
	v_add_f32_e32 v175, v175, v200
	v_add_f32_e32 v5, v5, v12
	s_waitcnt vmcnt(26) lgkmcnt(6)
	v_mul_f32_e32 v148, v151, v180
	v_mul_f32_e32 v1, v150, v180
	v_add_f32_e32 v143, v175, v143
	v_add_f32_e32 v5, v5, v169
	s_waitcnt vmcnt(25)
	v_mul_f32_e32 v180, v153, v181
	v_fma_f32 v148, v150, v178, -v148
	v_mul_f32_e32 v179, v152, v181
	v_add_f32_e32 v143, v143, v146
	v_add_f32_e32 v5, v5, v170
	v_fmac_f32_e32 v1, v151, v178
	v_fma_f32 v151, v152, v177, -v180
	s_waitcnt vmcnt(24) lgkmcnt(5)
	v_mul_f32_e32 v144, v160, v182
	v_add_f32_e32 v143, v143, v147
	v_mul_f32_e32 v147, v161, v182
	v_add_f32_e32 v5, v5, v148
	v_fmac_f32_e32 v179, v153, v177
	s_waitcnt vmcnt(23)
	v_mul_f32_e32 v181, v162, v183
	v_add_f32_e32 v1, v143, v1
	v_mul_f32_e32 v143, v163, v183
	v_fma_f32 v147, v160, v176, -v147
	v_add_f32_e32 v5, v5, v151
	v_fmac_f32_e32 v144, v161, v176
	v_add_f32_e32 v1, v1, v179
	s_waitcnt vmcnt(22) lgkmcnt(4)
	v_mul_f32_e32 v148, v165, v184
	s_waitcnt vmcnt(9)
	v_fma_f32 v143, v162, v189, -v143
	v_add_f32_e32 v5, v5, v147
	v_mul_f32_e32 v195, v164, v184
	v_fmac_f32_e32 v181, v163, v189
	v_add_f32_e32 v1, v1, v144
	v_mul_f32_e32 v144, v167, v185
	v_fma_f32 v147, v164, v188, -v148
	v_add_f32_e32 v5, v5, v143
	v_mul_f32_e32 v168, v166, v185
	v_fmac_f32_e32 v195, v165, v188
	v_add_f32_e32 v1, v1, v181
	s_waitcnt lgkmcnt(3)
	v_mul_f32_e32 v143, v172, v186
	v_fma_f32 v144, v166, v187, -v144
	v_add_f32_e32 v5, v5, v147
	v_mul_f32_e32 v196, v171, v186
	v_fmac_f32_e32 v168, v167, v187
	v_add_f32_e32 v1, v1, v195
	v_mul_f32_e32 v147, v174, v149
	v_fma_f32 v143, v171, v155, -v143
	v_add_f32_e32 v5, v5, v144
	v_mul_f32_e32 v197, v173, v149
	v_fmac_f32_e32 v196, v172, v155
	v_add_f32_e32 v1, v1, v168
	s_waitcnt lgkmcnt(2)
	v_mul_f32_e32 v12, v8, v142
	v_mul_f32_e32 v142, v9, v142
	s_waitcnt vmcnt(5)
	v_fma_f32 v144, v173, v154, -v147
	v_add_f32_e32 v5, v5, v143
	v_fmac_f32_e32 v197, v174, v154
	v_add_f32_e32 v1, v1, v196
	v_mul_f32_e32 v175, v10, v136
	v_mul_f32_e32 v136, v11, v136
	v_fma_f32 v8, v8, v145, -v142
	v_add_f32_e32 v5, v5, v144
	v_fmac_f32_e32 v12, v9, v145
	v_add_f32_e32 v1, v1, v197
	s_waitcnt lgkmcnt(1)
	v_mul_f32_e32 v198, v138, v7
	v_mul_f32_e32 v7, v139, v7
	v_fma_f32 v9, v10, v137, -v136
	v_add_f32_e32 v5, v5, v8
	v_fmac_f32_e32 v175, v11, v137
	v_add_f32_e32 v1, v1, v12
	v_mul_f32_e32 v169, v140, v4
	v_mul_f32_e32 v4, v141, v4
	v_fmac_f32_e32 v198, v139, v6
	v_fma_f32 v6, v138, v6, -v7
	v_add_f32_e32 v5, v5, v9
	v_add_f32_e32 v1, v1, v175
	s_waitcnt lgkmcnt(0)
	v_mul_f32_e32 v146, v156, v3
	v_mul_f32_e32 v3, v157, v3
	s_waitcnt vmcnt(2)
	v_fma_f32 v4, v140, v192, -v4
	v_add_f32_e32 v5, v5, v6
	v_fmac_f32_e32 v169, v141, v192
	v_add_f32_e32 v1, v1, v198
	v_mul_f32_e32 v150, v158, v2
	v_mul_f32_e32 v2, v159, v2
	v_fma_f32 v3, v156, v191, -v3
	v_add_f32_e32 v4, v5, v4
	v_fmac_f32_e32 v146, v157, v191
	v_add_f32_e32 v1, v1, v169
	v_fma_f32 v2, v158, v190, -v2
	v_fmac_f32_e32 v150, v159, v190
	v_add_f32_e32 v3, v4, v3
	v_add_f32_e32 v1, v1, v146
	;; [unrolled: 1-line block ×4, first 2 shown]
	s_waitcnt vmcnt(1)
	v_sub_f32_e32 v2, v193, v2
	s_waitcnt vmcnt(0)
	v_sub_f32_e32 v1, v194, v1
	buffer_store_dword v2, off, s[0:3], 0 offset:240
	buffer_store_dword v1, off, s[0:3], 0 offset:244
	v_cmpx_lt_u32_e32 29, v0
	s_cbranch_execz .LBB60_321
; %bb.320:
	s_clause 0x1
	buffer_load_dword v1, off, s[0:3], 0 offset:232
	buffer_load_dword v2, off, s[0:3], 0 offset:236
	v_mov_b32_e32 v3, 0
	buffer_store_dword v3, off, s[0:3], 0 offset:232
	buffer_store_dword v3, off, s[0:3], 0 offset:236
	s_waitcnt vmcnt(0)
	ds_write_b64 v135, v[1:2]
.LBB60_321:
	s_or_b32 exec_lo, exec_lo, s4
	s_waitcnt lgkmcnt(0)
	s_waitcnt_vscnt null, 0x0
	s_barrier
	buffer_gl0_inv
	s_clause 0x3e
	buffer_load_dword v9, off, s[0:3], 0 offset:244
	buffer_load_dword v12, off, s[0:3], 0 offset:252
	;; [unrolled: 1-line block ×64, first 2 shown]
	v_mov_b32_e32 v1, 0
	ds_read_b128 v[175:178], v1 offset:736
	ds_read_b128 v[179:182], v1 offset:752
	s_mov_b32 s4, exec_lo
	ds_read_b128 v[187:190], v1 offset:848
	s_waitcnt vmcnt(62) lgkmcnt(2)
	v_mul_f32_e32 v183, v175, v9
	v_mul_f32_e32 v184, v177, v12
	;; [unrolled: 1-line block ×4, first 2 shown]
	s_waitcnt vmcnt(59)
	v_fmac_f32_e32 v183, v176, v142
	v_fmac_f32_e32 v184, v178, v141
	v_fma_f32 v9, v175, v142, -v9
	v_fma_f32 v12, v177, v141, -v12
	ds_read_b128 v[175:178], v1 offset:768
	s_waitcnt vmcnt(58) lgkmcnt(2)
	v_mul_f32_e32 v141, v179, v138
	s_waitcnt vmcnt(57)
	v_mul_f32_e32 v142, v181, v139
	v_mul_f32_e32 v138, v180, v138
	;; [unrolled: 1-line block ×3, first 2 shown]
	v_add_f32_e32 v9, 0, v9
	v_fmac_f32_e32 v141, v180, v8
	s_waitcnt vmcnt(53)
	v_fmac_f32_e32 v142, v182, v165
	v_fma_f32 v8, v179, v8, -v138
	v_fma_f32 v138, v181, v165, -v139
	ds_read_b128 v[179:182], v1 offset:784
	v_add_f32_e32 v9, v9, v12
	v_add_f32_e32 v8, v9, v8
	s_waitcnt vmcnt(51) lgkmcnt(1)
	v_mul_f32_e32 v165, v177, v163
	v_mul_f32_e32 v163, v178, v163
	;; [unrolled: 1-line block ×4, first 2 shown]
	v_add_f32_e32 v8, v8, v138
	v_fmac_f32_e32 v165, v178, v156
	v_fma_f32 v156, v177, v156, -v163
	v_fmac_f32_e32 v139, v176, v160
	v_fma_f32 v160, v175, v160, -v164
	ds_read_b128 v[175:178], v1 offset:800
	s_waitcnt vmcnt(50) lgkmcnt(1)
	v_mul_f32_e32 v163, v179, v159
	v_mul_f32_e32 v159, v180, v159
	s_waitcnt vmcnt(49)
	v_mul_f32_e32 v205, v181, v157
	v_mul_f32_e32 v157, v182, v157
	v_add_f32_e32 v8, v8, v160
	v_fmac_f32_e32 v163, v180, v150
	v_fma_f32 v150, v179, v150, -v159
	v_add_f32_e32 v159, 0, v183
	s_waitcnt vmcnt(45)
	v_fmac_f32_e32 v205, v182, v173
	v_fma_f32 v157, v181, v173, -v157
	ds_read_b128 v[179:182], v1 offset:816
	v_add_f32_e32 v8, v8, v156
	v_add_f32_e32 v159, v159, v184
	ds_read_b128 v[183:186], v1 offset:832
	v_add_f32_e32 v8, v8, v150
	v_add_f32_e32 v12, v159, v141
	s_waitcnt vmcnt(34)
	v_mul_f32_e32 v150, v188, v154
	s_waitcnt lgkmcnt(2)
	v_mul_f32_e32 v159, v176, v171
	v_mul_f32_e32 v141, v175, v171
	v_add_f32_e32 v8, v8, v157
	v_add_f32_e32 v9, v12, v142
	v_mul_f32_e32 v138, v177, v167
	v_fma_f32 v12, v175, v168, -v159
	v_fmac_f32_e32 v141, v176, v168
	v_add_f32_e32 v9, v9, v139
	v_mul_f32_e32 v139, v178, v167
	v_add_f32_e32 v8, v8, v12
	s_waitcnt lgkmcnt(1)
	v_mul_f32_e32 v142, v179, v166
	v_mul_f32_e32 v159, v180, v166
	v_add_f32_e32 v9, v9, v165
	v_fma_f32 v139, v177, v148, -v139
	v_fmac_f32_e32 v138, v178, v148
	v_mul_f32_e32 v167, v182, v169
	v_fmac_f32_e32 v142, v180, v146
	v_add_f32_e32 v9, v9, v163
	v_fma_f32 v146, v179, v146, -v159
	v_add_f32_e32 v8, v8, v139
	v_mul_f32_e32 v160, v181, v169
	s_waitcnt lgkmcnt(0)
	v_mul_f32_e32 v148, v184, v158
	v_add_f32_e32 v9, v9, v205
	v_fma_f32 v167, v181, v174, -v167
	v_add_f32_e32 v146, v8, v146
	v_mul_f32_e32 v168, v183, v158
	ds_read_b128 v[163:166], v1 offset:864
	ds_read_b128 v[175:178], v1 offset:880
	v_add_f32_e32 v9, v9, v141
	v_fmac_f32_e32 v160, v182, v174
	v_fma_f32 v169, v183, v172, -v148
	v_mul_f32_e32 v148, v186, v161
	v_add_f32_e32 v146, v146, v167
	v_add_f32_e32 v9, v9, v138
	v_fmac_f32_e32 v168, v184, v172
	v_mul_f32_e32 v141, v185, v161
	v_mul_f32_e32 v12, v187, v154
	s_waitcnt vmcnt(33)
	v_mul_f32_e32 v138, v189, v155
	v_add_f32_e32 v139, v9, v142
	v_mul_f32_e32 v154, v190, v155
	v_fma_f32 v155, v185, v151, -v148
	v_add_f32_e32 v146, v146, v169
	v_fmac_f32_e32 v141, v186, v151
	v_add_f32_e32 v139, v139, v160
	v_fma_f32 v161, v187, v149, -v150
	v_fmac_f32_e32 v12, v188, v149
	v_add_f32_e32 v146, v146, v155
	s_waitcnt vmcnt(28)
	v_fma_f32 v142, v189, v162, -v154
	v_add_f32_e32 v139, v139, v168
	s_waitcnt vmcnt(27) lgkmcnt(1)
	v_mul_f32_e32 v154, v163, v152
	v_mul_f32_e32 v152, v164, v152
	v_add_f32_e32 v146, v146, v161
	ds_read_b128 v[156:159], v1 offset:896
	ds_read_b128 v[171:174], v1 offset:912
	v_add_f32_e32 v139, v139, v141
	v_fmac_f32_e32 v138, v190, v162
	s_waitcnt vmcnt(26)
	v_mul_f32_e32 v160, v165, v153
	v_mul_f32_e32 v153, v166, v153
	v_fmac_f32_e32 v154, v164, v147
	v_add_f32_e32 v12, v139, v12
	v_fma_f32 v147, v163, v147, -v152
	v_add_f32_e32 v142, v146, v142
	s_waitcnt lgkmcnt(2)
	v_mul_f32_e32 v162, v175, v145
	v_mul_f32_e32 v145, v176, v145
	v_add_f32_e32 v12, v12, v138
	v_fmac_f32_e32 v160, v166, v144
	v_fma_f32 v144, v165, v144, -v153
	v_add_f32_e32 v142, v142, v147
	s_waitcnt vmcnt(25)
	v_mul_f32_e32 v138, v178, v143
	v_add_f32_e32 v12, v12, v154
	v_fmac_f32_e32 v162, v176, v2
	v_fma_f32 v2, v175, v2, -v145
	v_add_f32_e32 v142, v142, v144
	v_mul_f32_e32 v167, v177, v143
	v_add_f32_e32 v12, v12, v160
	s_waitcnt vmcnt(24) lgkmcnt(1)
	v_mul_f32_e32 v152, v156, v140
	v_mul_f32_e32 v140, v157, v140
	s_waitcnt vmcnt(13)
	v_fma_f32 v138, v177, v191, -v138
	v_add_f32_e32 v2, v142, v2
	ds_read_b128 v[148:151], v1 offset:928
	ds_read_b128 v[179:182], v1 offset:944
	v_fmac_f32_e32 v167, v178, v191
	v_add_f32_e32 v12, v12, v162
	v_mul_f32_e32 v141, v158, v136
	v_mul_f32_e32 v136, v159, v136
	s_waitcnt vmcnt(10)
	v_fma_f32 v140, v156, v194, -v140
	v_add_f32_e32 v2, v2, v138
	v_fmac_f32_e32 v152, v157, v194
	v_add_f32_e32 v12, v12, v167
	s_waitcnt lgkmcnt(2)
	v_mul_f32_e32 v155, v171, v137
	v_mul_f32_e32 v137, v172, v137
	v_fma_f32 v136, v158, v193, -v136
	v_add_f32_e32 v2, v2, v140
	v_fmac_f32_e32 v141, v159, v193
	v_add_f32_e32 v12, v12, v152
	v_mul_f32_e32 v153, v173, v11
	v_mul_f32_e32 v11, v174, v11
	v_fma_f32 v137, v171, v192, -v137
	v_add_f32_e32 v2, v2, v136
	v_fmac_f32_e32 v155, v172, v192
	v_add_f32_e32 v12, v12, v141
	s_waitcnt lgkmcnt(1)
	v_mul_f32_e32 v163, v148, v10
	v_mul_f32_e32 v10, v149, v10
	s_waitcnt vmcnt(6)
	v_fma_f32 v11, v173, v198, -v11
	v_add_f32_e32 v2, v2, v137
	ds_read_b128 v[183:186], v1 offset:960
	ds_read_b64 v[8:9], v1 offset:976
	v_fmac_f32_e32 v153, v174, v198
	v_add_f32_e32 v12, v12, v155
	v_mul_f32_e32 v139, v150, v7
	v_mul_f32_e32 v7, v151, v7
	v_fma_f32 v10, v148, v197, -v10
	v_add_f32_e32 v2, v2, v11
	v_fmac_f32_e32 v163, v149, v197
	v_add_f32_e32 v11, v12, v153
	s_waitcnt lgkmcnt(2)
	v_mul_f32_e32 v161, v179, v6
	v_mul_f32_e32 v6, v180, v6
	v_fma_f32 v7, v150, v196, -v7
	v_add_f32_e32 v2, v2, v10
	v_fmac_f32_e32 v139, v151, v196
	v_add_f32_e32 v10, v11, v163
	v_mul_f32_e32 v164, v181, v5
	v_mul_f32_e32 v5, v182, v5
	v_fma_f32 v6, v179, v195, -v6
	v_add_f32_e32 v2, v2, v7
	v_fmac_f32_e32 v161, v180, v195
	v_add_f32_e32 v7, v10, v139
	s_waitcnt lgkmcnt(1)
	v_mul_f32_e32 v143, v183, v4
	v_mul_f32_e32 v4, v184, v4
	s_waitcnt vmcnt(2)
	v_fma_f32 v5, v181, v202, -v5
	v_add_f32_e32 v2, v2, v6
	v_fmac_f32_e32 v164, v182, v202
	v_add_f32_e32 v6, v7, v161
	v_mul_f32_e32 v146, v185, v3
	v_mul_f32_e32 v3, v186, v3
	v_fma_f32 v4, v183, v201, -v4
	v_add_f32_e32 v2, v2, v5
	v_fmac_f32_e32 v143, v184, v201
	v_add_f32_e32 v5, v6, v164
	s_waitcnt lgkmcnt(0)
	v_mul_f32_e32 v6, v9, v170
	v_fma_f32 v3, v185, v200, -v3
	v_add_f32_e32 v2, v2, v4
	v_mul_f32_e32 v147, v8, v170
	v_fmac_f32_e32 v146, v186, v200
	v_add_f32_e32 v4, v5, v143
	v_fma_f32 v5, v8, v199, -v6
	v_add_f32_e32 v2, v2, v3
	v_fmac_f32_e32 v147, v9, v199
	v_add_f32_e32 v3, v4, v146
	v_add_f32_e32 v2, v2, v5
	;; [unrolled: 1-line block ×3, first 2 shown]
	s_waitcnt vmcnt(1)
	v_sub_f32_e32 v2, v203, v2
	s_waitcnt vmcnt(0)
	v_sub_f32_e32 v3, v204, v3
	buffer_store_dword v2, off, s[0:3], 0 offset:232
	buffer_store_dword v3, off, s[0:3], 0 offset:236
	v_cmpx_lt_u32_e32 28, v0
	s_cbranch_execz .LBB60_323
; %bb.322:
	s_clause 0x1
	buffer_load_dword v2, off, s[0:3], 0 offset:224
	buffer_load_dword v3, off, s[0:3], 0 offset:228
	buffer_store_dword v1, off, s[0:3], 0 offset:224
	buffer_store_dword v1, off, s[0:3], 0 offset:228
	s_waitcnt vmcnt(0)
	ds_write_b64 v135, v[2:3]
.LBB60_323:
	s_or_b32 exec_lo, exec_lo, s4
	s_waitcnt lgkmcnt(0)
	s_waitcnt_vscnt null, 0x0
	s_barrier
	buffer_gl0_inv
	s_clause 0x31
	buffer_load_dword v10, off, s[0:3], 0 offset:236
	buffer_load_dword v11, off, s[0:3], 0 offset:244
	;; [unrolled: 1-line block ×50, first 2 shown]
	ds_read2_b64 v[2:5], v1 offset0:91 offset1:92
	s_clause 0x4
	buffer_load_dword v187, off, s[0:3], 0 offset:484
	buffer_load_dword v188, off, s[0:3], 0 offset:408
	;; [unrolled: 1-line block ×5, first 2 shown]
	ds_read2_b64 v[6:9], v1 offset0:93 offset1:94
	ds_read2_b64 v[136:139], v1 offset0:95 offset1:96
	s_clause 0x4
	buffer_load_dword v192, off, s[0:3], 0 offset:440
	buffer_load_dword v193, off, s[0:3], 0 offset:432
	buffer_load_dword v194, off, s[0:3], 0 offset:424
	buffer_load_dword v195, off, s[0:3], 0 offset:416
	buffer_load_dword v197, off, s[0:3], 0 offset:228
	s_mov_b32 s4, exec_lo
	s_waitcnt vmcnt(59) lgkmcnt(2)
	v_mul_f32_e32 v196, v3, v10
	v_mul_f32_e32 v10, v2, v10
	s_waitcnt vmcnt(58)
	v_mul_f32_e32 v198, v4, v11
	v_mul_f32_e32 v11, v5, v11
	s_waitcnt vmcnt(55)
	v_fma_f32 v196, v2, v141, -v196
	v_fmac_f32_e32 v10, v3, v141
	s_waitcnt vmcnt(54) lgkmcnt(1)
	v_mul_f32_e32 v141, v6, v142
	v_mul_f32_e32 v142, v7, v142
	v_fmac_f32_e32 v198, v5, v140
	v_fma_f32 v11, v4, v140, -v11
	ds_read2_b64 v[2:5], v1 offset0:97 offset1:98
	s_clause 0x3
	buffer_load_dword v199, off, s[0:3], 0 offset:472
	buffer_load_dword v200, off, s[0:3], 0 offset:464
	;; [unrolled: 1-line block ×4, first 2 shown]
	s_waitcnt vmcnt(57)
	v_mul_f32_e32 v140, v8, v143
	v_mul_f32_e32 v143, v9, v143
	v_fmac_f32_e32 v141, v7, v12
	v_fma_f32 v12, v6, v12, -v142
	s_waitcnt vmcnt(56) lgkmcnt(1)
	v_mul_f32_e32 v142, v136, v144
	v_mul_f32_e32 v6, v137, v144
	s_waitcnt vmcnt(51)
	v_mul_f32_e32 v144, v138, v149
	v_mul_f32_e32 v7, v139, v149
	v_fmac_f32_e32 v140, v9, v148
	v_fma_f32 v143, v8, v148, -v143
	v_fmac_f32_e32 v142, v137, v147
	v_fma_f32 v147, v136, v147, -v6
	;; [unrolled: 2-line block ×3, first 2 shown]
	ds_read2_b64 v[6:9], v1 offset0:99 offset1:100
	buffer_load_dword v203, off, s[0:3], 0 offset:480
	s_waitcnt vmcnt(51) lgkmcnt(1)
	v_mul_f32_e32 v148, v2, v150
	v_mul_f32_e32 v136, v3, v150
	s_waitcnt vmcnt(50)
	v_mul_f32_e32 v149, v4, v151
	v_mul_f32_e32 v137, v5, v151
	v_fmac_f32_e32 v148, v3, v145
	v_fma_f32 v145, v2, v145, -v136
	s_waitcnt vmcnt(46)
	v_fmac_f32_e32 v149, v5, v155
	v_fma_f32 v150, v4, v155, -v137
	ds_read2_b64 v[2:5], v1 offset0:101 offset1:102
	s_waitcnt vmcnt(45) lgkmcnt(1)
	v_mul_f32_e32 v151, v6, v156
	v_mul_f32_e32 v136, v7, v156
	buffer_load_dword v156, off, s[0:3], 0 offset:224
	v_fmac_f32_e32 v151, v7, v154
	v_fma_f32 v154, v6, v154, -v136
	v_add_f32_e32 v6, 0, v196
	v_add_f32_e32 v7, 0, v10
	s_waitcnt vmcnt(45)
	v_mul_f32_e32 v10, v9, v157
	v_add_f32_e32 v6, v6, v11
	v_add_f32_e32 v136, v7, v198
	v_mul_f32_e32 v11, v8, v157
	v_fma_f32 v10, v8, v153, -v10
	s_waitcnt vmcnt(43) lgkmcnt(0)
	v_mul_f32_e32 v155, v4, v159
	v_add_f32_e32 v12, v6, v12
	v_add_f32_e32 v141, v136, v141
	v_fmac_f32_e32 v11, v9, v153
	v_mul_f32_e32 v153, v2, v158
	ds_read2_b64 v[6:9], v1 offset0:103 offset1:104
	ds_read2_b64 v[136:139], v1 offset0:105 offset1:106
	v_add_f32_e32 v12, v12, v143
	v_add_f32_e32 v140, v141, v140
	v_mul_f32_e32 v143, v3, v158
	v_mul_f32_e32 v141, v5, v159
	v_fmac_f32_e32 v153, v3, v152
	v_add_f32_e32 v12, v12, v147
	v_add_f32_e32 v147, v140, v142
	v_fma_f32 v152, v2, v152, -v143
	s_waitcnt vmcnt(39)
	v_fmac_f32_e32 v155, v5, v163
	v_fma_f32 v157, v4, v163, -v141
	v_add_f32_e32 v12, v12, v146
	ds_read2_b64 v[2:5], v1 offset0:107 offset1:108
	ds_read2_b64 v[140:143], v1 offset0:109 offset1:110
	v_add_f32_e32 v144, v147, v144
	v_add_f32_e32 v12, v12, v145
	;; [unrolled: 1-line block ×3, first 2 shown]
	s_waitcnt vmcnt(38) lgkmcnt(3)
	v_mul_f32_e32 v158, v6, v164
	v_mul_f32_e32 v146, v7, v164
	v_add_f32_e32 v12, v12, v150
	s_waitcnt vmcnt(37)
	v_mul_f32_e32 v159, v8, v165
	v_add_f32_e32 v148, v144, v149
	v_mul_f32_e32 v147, v9, v165
	v_fmac_f32_e32 v158, v7, v162
	v_add_f32_e32 v12, v12, v154
	v_fma_f32 v162, v6, v162, -v146
	v_add_f32_e32 v154, v148, v151
	s_waitcnt vmcnt(36) lgkmcnt(2)
	v_mul_f32_e32 v163, v136, v166
	v_mul_f32_e32 v164, v137, v166
	v_add_f32_e32 v10, v12, v10
	s_waitcnt vmcnt(30) lgkmcnt(1)
	v_mul_f32_e32 v12, v2, v172
	v_add_f32_e32 v11, v154, v11
	v_mul_f32_e32 v154, v3, v172
	v_fmac_f32_e32 v159, v9, v161
	v_fma_f32 v161, v8, v161, -v147
	v_fmac_f32_e32 v12, v3, v170
	v_add_f32_e32 v3, v10, v152
	v_add_f32_e32 v10, v11, v153
	v_mul_f32_e32 v149, v139, v167
	v_fmac_f32_e32 v163, v137, v160
	v_fma_f32 v160, v136, v160, -v164
	v_add_f32_e32 v157, v3, v157
	v_add_f32_e32 v10, v10, v155
	v_mul_f32_e32 v165, v138, v167
	v_fma_f32 v164, v138, v171, -v149
	ds_read2_b64 v[6:9], v1 offset0:111 offset1:112
	ds_read2_b64 v[144:147], v1 offset0:113 offset1:114
	v_add_f32_e32 v157, v157, v162
	v_add_f32_e32 v10, v10, v158
	v_fmac_f32_e32 v165, v139, v171
	s_waitcnt vmcnt(29)
	v_mul_f32_e32 v167, v5, v173
	v_fma_f32 v11, v2, v170, -v154
	v_add_f32_e32 v157, v157, v161
	v_add_f32_e32 v10, v10, v159
	v_mul_f32_e32 v166, v4, v173
	v_fma_f32 v167, v4, v169, -v167
	s_waitcnt vmcnt(28) lgkmcnt(2)
	v_mul_f32_e32 v162, v141, v174
	v_add_f32_e32 v157, v157, v160
	v_add_f32_e32 v10, v10, v163
	ds_read2_b64 v[136:139], v1 offset0:115 offset1:116
	ds_read2_b64 v[148:151], v1 offset0:117 offset1:118
	v_fmac_f32_e32 v166, v5, v169
	ds_read2_b64 v[2:5], v1 offset0:119 offset1:120
	ds_read2_b64 v[152:155], v1 offset0:121 offset1:122
	v_add_f32_e32 v157, v157, v164
	v_add_f32_e32 v10, v10, v165
	v_mul_f32_e32 v1, v140, v174
	s_waitcnt vmcnt(27)
	v_mul_f32_e32 v169, v143, v175
	v_fma_f32 v140, v140, v168, -v162
	v_add_f32_e32 v11, v157, v11
	v_add_f32_e32 v10, v10, v12
	v_mul_f32_e32 v158, v142, v175
	v_fmac_f32_e32 v1, v141, v168
	s_waitcnt vmcnt(26) lgkmcnt(5)
	v_mul_f32_e32 v161, v6, v176
	v_add_f32_e32 v11, v11, v167
	v_add_f32_e32 v10, v10, v166
	v_mul_f32_e32 v162, v7, v176
	s_waitcnt vmcnt(11)
	v_fma_f32 v142, v142, v191, -v169
	v_fmac_f32_e32 v158, v143, v191
	v_add_f32_e32 v11, v11, v140
	v_add_f32_e32 v1, v10, v1
	v_mul_f32_e32 v10, v9, v177
	v_fmac_f32_e32 v161, v7, v190
	v_fma_f32 v6, v6, v190, -v162
	v_add_f32_e32 v7, v11, v142
	v_mul_f32_e32 v159, v8, v177
	v_add_f32_e32 v1, v1, v158
	s_waitcnt lgkmcnt(4)
	v_mul_f32_e32 v11, v145, v178
	v_fma_f32 v8, v8, v189, -v10
	v_add_f32_e32 v6, v7, v6
	v_mul_f32_e32 v170, v144, v178
	v_fmac_f32_e32 v159, v9, v189
	v_add_f32_e32 v1, v1, v161
	v_mul_f32_e32 v7, v147, v179
	v_fma_f32 v9, v144, v188, -v11
	v_add_f32_e32 v6, v6, v8
	v_mul_f32_e32 v160, v146, v179
	v_fmac_f32_e32 v170, v145, v188
	v_add_f32_e32 v1, v1, v159
	s_waitcnt lgkmcnt(3)
	v_mul_f32_e32 v8, v137, v180
	s_waitcnt vmcnt(7)
	v_fma_f32 v7, v146, v195, -v7
	v_add_f32_e32 v6, v6, v9
	v_mul_f32_e32 v163, v136, v180
	v_fmac_f32_e32 v160, v147, v195
	v_add_f32_e32 v1, v1, v170
	v_mul_f32_e32 v9, v139, v181
	v_fma_f32 v8, v136, v194, -v8
	v_add_f32_e32 v6, v6, v7
	v_mul_f32_e32 v171, v138, v181
	v_fmac_f32_e32 v163, v137, v194
	v_add_f32_e32 v1, v1, v160
	s_waitcnt lgkmcnt(2)
	v_mul_f32_e32 v7, v149, v182
	v_fma_f32 v9, v138, v193, -v9
	v_add_f32_e32 v6, v6, v8
	v_mul_f32_e32 v164, v148, v182
	v_fmac_f32_e32 v171, v139, v193
	v_add_f32_e32 v1, v1, v163
	v_mul_f32_e32 v8, v151, v183
	v_fma_f32 v7, v148, v192, -v7
	v_add_f32_e32 v6, v6, v9
	v_mul_f32_e32 v165, v150, v183
	v_fmac_f32_e32 v164, v149, v192
	v_add_f32_e32 v1, v1, v171
	s_waitcnt lgkmcnt(1)
	v_mul_f32_e32 v172, v2, v184
	v_mul_f32_e32 v9, v3, v184
	v_add_f32_e32 v6, v6, v7
	v_mul_f32_e32 v7, v5, v185
	v_add_f32_e32 v1, v1, v164
	v_mul_f32_e32 v157, v4, v185
	s_waitcnt lgkmcnt(0)
	v_mul_f32_e32 v12, v152, v186
	v_mul_f32_e32 v141, v154, v187
	s_waitcnt vmcnt(5)
	v_fmac_f32_e32 v12, v153, v199
	s_waitcnt vmcnt(4)
	v_fma_f32 v4, v4, v200, -v7
	s_waitcnt vmcnt(3)
	v_fmac_f32_e32 v172, v3, v201
	s_waitcnt vmcnt(2)
	v_fma_f32 v8, v150, v202, -v8
	v_fmac_f32_e32 v165, v151, v202
	v_fma_f32 v2, v2, v201, -v9
	v_fmac_f32_e32 v157, v5, v200
	v_add_f32_e32 v3, v6, v8
	v_add_f32_e32 v1, v1, v165
	v_mul_f32_e32 v6, v153, v186
	v_add_f32_e32 v2, v3, v2
	v_add_f32_e32 v1, v1, v172
	v_mul_f32_e32 v3, v155, v187
	v_fma_f32 v5, v152, v199, -v6
	v_add_f32_e32 v2, v2, v4
	v_add_f32_e32 v1, v1, v157
	s_waitcnt vmcnt(1)
	v_fma_f32 v3, v154, v203, -v3
	v_fmac_f32_e32 v141, v155, v203
	v_add_f32_e32 v2, v2, v5
	v_add_f32_e32 v1, v1, v12
	;; [unrolled: 1-line block ×4, first 2 shown]
	v_sub_f32_e32 v1, v197, v1
	s_waitcnt vmcnt(0)
	v_sub_f32_e32 v2, v156, v2
	buffer_store_dword v2, off, s[0:3], 0 offset:224
	buffer_store_dword v1, off, s[0:3], 0 offset:228
	v_cmpx_lt_u32_e32 27, v0
	s_cbranch_execz .LBB60_325
; %bb.324:
	s_clause 0x1
	buffer_load_dword v1, off, s[0:3], 0 offset:216
	buffer_load_dword v2, off, s[0:3], 0 offset:220
	v_mov_b32_e32 v3, 0
	buffer_store_dword v3, off, s[0:3], 0 offset:216
	buffer_store_dword v3, off, s[0:3], 0 offset:220
	s_waitcnt vmcnt(0)
	ds_write_b64 v135, v[1:2]
.LBB60_325:
	s_or_b32 exec_lo, exec_lo, s4
	s_waitcnt lgkmcnt(0)
	s_waitcnt_vscnt null, 0x0
	s_barrier
	buffer_gl0_inv
	s_clause 0x26
	buffer_load_dword v2, off, s[0:3], 0 offset:228
	buffer_load_dword v3, off, s[0:3], 0 offset:236
	buffer_load_dword v12, off, s[0:3], 0 offset:244
	buffer_load_dword v140, off, s[0:3], 0 offset:240
	buffer_load_dword v141, off, s[0:3], 0 offset:232
	buffer_load_dword v142, off, s[0:3], 0 offset:224
	buffer_load_dword v143, off, s[0:3], 0 offset:252
	buffer_load_dword v144, off, s[0:3], 0 offset:272
	buffer_load_dword v145, off, s[0:3], 0 offset:264
	buffer_load_dword v146, off, s[0:3], 0 offset:256
	buffer_load_dword v147, off, s[0:3], 0 offset:248
	buffer_load_dword v148, off, s[0:3], 0 offset:260
	buffer_load_dword v149, off, s[0:3], 0 offset:268
	buffer_load_dword v150, off, s[0:3], 0 offset:276
	buffer_load_dword v151, off, s[0:3], 0 offset:284
	buffer_load_dword v152, off, s[0:3], 0 offset:304
	buffer_load_dword v153, off, s[0:3], 0 offset:296
	buffer_load_dword v154, off, s[0:3], 0 offset:288
	buffer_load_dword v155, off, s[0:3], 0 offset:280
	buffer_load_dword v156, off, s[0:3], 0 offset:292
	buffer_load_dword v157, off, s[0:3], 0 offset:300
	buffer_load_dword v158, off, s[0:3], 0 offset:308
	buffer_load_dword v159, off, s[0:3], 0 offset:316
	buffer_load_dword v160, off, s[0:3], 0 offset:336
	buffer_load_dword v161, off, s[0:3], 0 offset:328
	buffer_load_dword v162, off, s[0:3], 0 offset:320
	buffer_load_dword v163, off, s[0:3], 0 offset:312
	buffer_load_dword v164, off, s[0:3], 0 offset:324
	buffer_load_dword v165, off, s[0:3], 0 offset:332
	buffer_load_dword v166, off, s[0:3], 0 offset:340
	buffer_load_dword v167, off, s[0:3], 0 offset:348
	buffer_load_dword v168, off, s[0:3], 0 offset:368
	buffer_load_dword v169, off, s[0:3], 0 offset:360
	buffer_load_dword v170, off, s[0:3], 0 offset:352
	buffer_load_dword v171, off, s[0:3], 0 offset:344
	buffer_load_dword v172, off, s[0:3], 0 offset:356
	buffer_load_dword v173, off, s[0:3], 0 offset:364
	buffer_load_dword v174, off, s[0:3], 0 offset:372
	buffer_load_dword v175, off, s[0:3], 0 offset:380
	v_mov_b32_e32 v1, 0
	s_clause 0x2
	buffer_load_dword v176, off, s[0:3], 0 offset:388
	buffer_load_dword v177, off, s[0:3], 0 offset:396
	;; [unrolled: 1-line block ×3, first 2 shown]
	s_mov_b32 s4, exec_lo
	ds_read_b128 v[4:7], v1 offset:720
	s_clause 0x1
	buffer_load_dword v179, off, s[0:3], 0 offset:412
	buffer_load_dword v180, off, s[0:3], 0 offset:420
	ds_read_b128 v[8:11], v1 offset:736
	s_clause 0xc
	buffer_load_dword v181, off, s[0:3], 0 offset:400
	buffer_load_dword v182, off, s[0:3], 0 offset:392
	;; [unrolled: 1-line block ×13, first 2 shown]
	ds_read_b128 v[136:139], v1 offset:752
	s_waitcnt vmcnt(56) lgkmcnt(2)
	v_mul_f32_e32 v194, v5, v2
	v_mul_f32_e32 v195, v4, v2
	s_waitcnt vmcnt(55)
	v_mul_f32_e32 v196, v6, v3
	v_mul_f32_e32 v2, v7, v3
	s_waitcnt vmcnt(54) lgkmcnt(1)
	v_mul_f32_e32 v197, v8, v12
	s_waitcnt vmcnt(51)
	v_fma_f32 v194, v4, v142, -v194
	v_fmac_f32_e32 v195, v5, v142
	v_fmac_f32_e32 v196, v7, v141
	v_fma_f32 v141, v6, v141, -v2
	ds_read_b128 v[2:5], v1 offset:768
	s_clause 0x3
	buffer_load_dword v198, off, s[0:3], 0 offset:432
	buffer_load_dword v199, off, s[0:3], 0 offset:424
	buffer_load_dword v200, off, s[0:3], 0 offset:416
	buffer_load_dword v201, off, s[0:3], 0 offset:408
	s_waitcnt vmcnt(54)
	v_mul_f32_e32 v142, v10, v143
	v_mul_f32_e32 v6, v11, v143
	;; [unrolled: 1-line block ×3, first 2 shown]
	v_fmac_f32_e32 v197, v9, v140
	s_waitcnt vmcnt(48) lgkmcnt(1)
	v_mul_f32_e32 v143, v139, v149
	v_fmac_f32_e32 v142, v11, v147
	v_fma_f32 v10, v10, v147, -v6
	v_mul_f32_e32 v11, v136, v148
	v_mul_f32_e32 v6, v137, v148
	v_fma_f32 v12, v8, v140, -v12
	v_mul_f32_e32 v140, v138, v149
	v_fma_f32 v143, v138, v145, -v143
	v_fmac_f32_e32 v11, v137, v146
	v_fma_f32 v146, v136, v146, -v6
	ds_read_b128 v[6:9], v1 offset:784
	s_clause 0x3
	buffer_load_dword v202, off, s[0:3], 0 offset:464
	buffer_load_dword v203, off, s[0:3], 0 offset:456
	;; [unrolled: 1-line block ×4, first 2 shown]
	v_fmac_f32_e32 v140, v139, v145
	v_add_f32_e32 v137, 0, v194
	s_waitcnt vmcnt(51) lgkmcnt(1)
	v_mul_f32_e32 v145, v2, v150
	v_mul_f32_e32 v136, v3, v150
	s_waitcnt vmcnt(50)
	v_mul_f32_e32 v147, v4, v151
	v_fmac_f32_e32 v145, v3, v144
	v_fma_f32 v144, v2, v144, -v136
	v_mul_f32_e32 v2, v5, v151
	s_waitcnt vmcnt(46)
	v_fmac_f32_e32 v147, v5, v155
	v_fma_f32 v148, v4, v155, -v2
	ds_read_b128 v[2:5], v1 offset:800
	s_waitcnt vmcnt(45) lgkmcnt(1)
	v_mul_f32_e32 v149, v6, v156
	v_mul_f32_e32 v136, v7, v156
	s_clause 0x1
	buffer_load_dword v156, off, s[0:3], 0 offset:480
	buffer_load_dword v194, off, s[0:3], 0 offset:472
	v_fmac_f32_e32 v149, v7, v154
	v_add_f32_e32 v7, 0, v195
	buffer_load_dword v195, off, s[0:3], 0 offset:216
	v_fma_f32 v150, v6, v154, -v136
	v_add_f32_e32 v6, v137, v141
	s_waitcnt vmcnt(47)
	v_mul_f32_e32 v136, v9, v157
	v_add_f32_e32 v7, v7, v196
	v_add_f32_e32 v6, v6, v12
	v_mul_f32_e32 v12, v8, v157
	v_add_f32_e32 v137, v7, v197
	v_fma_f32 v151, v8, v153, -v136
	s_waitcnt vmcnt(45) lgkmcnt(0)
	v_mul_f32_e32 v154, v4, v159
	v_add_f32_e32 v10, v6, v10
	v_fmac_f32_e32 v12, v9, v153
	v_add_f32_e32 v141, v137, v142
	v_mul_f32_e32 v153, v2, v158
	v_mul_f32_e32 v142, v3, v158
	v_add_f32_e32 v10, v10, v146
	ds_read_b128 v[6:9], v1 offset:816
	ds_read_b128 v[136:139], v1 offset:832
	v_add_f32_e32 v11, v141, v11
	v_mul_f32_e32 v141, v5, v159
	v_add_f32_e32 v10, v10, v143
	v_fmac_f32_e32 v153, v3, v152
	v_fma_f32 v152, v2, v152, -v142
	v_add_f32_e32 v11, v11, v140
	s_waitcnt vmcnt(41)
	v_fmac_f32_e32 v154, v5, v163
	v_add_f32_e32 v10, v10, v144
	v_fma_f32 v155, v4, v163, -v141
	ds_read_b128 v[2:5], v1 offset:848
	ds_read_b128 v[140:143], v1 offset:864
	v_add_f32_e32 v11, v11, v145
	v_add_f32_e32 v10, v10, v148
	;; [unrolled: 1-line block ×4, first 2 shown]
	s_waitcnt vmcnt(40) lgkmcnt(3)
	v_mul_f32_e32 v157, v6, v164
	v_mul_f32_e32 v144, v7, v164
	v_add_f32_e32 v11, v11, v149
	s_waitcnt vmcnt(39)
	v_mul_f32_e32 v158, v8, v165
	v_add_f32_e32 v10, v10, v151
	v_mul_f32_e32 v145, v9, v165
	v_fmac_f32_e32 v157, v7, v162
	v_add_f32_e32 v11, v11, v12
	v_fma_f32 v162, v6, v162, -v144
	v_add_f32_e32 v10, v10, v152
	s_waitcnt vmcnt(32) lgkmcnt(1)
	v_mul_f32_e32 v12, v2, v172
	v_mul_f32_e32 v152, v3, v172
	v_add_f32_e32 v11, v11, v153
	v_mul_f32_e32 v159, v136, v166
	v_mul_f32_e32 v148, v137, v166
	v_fmac_f32_e32 v12, v3, v170
	v_add_f32_e32 v3, v10, v155
	v_add_f32_e32 v10, v11, v154
	v_fmac_f32_e32 v158, v9, v161
	v_fma_f32 v161, v8, v161, -v145
	v_mul_f32_e32 v149, v139, v167
	v_add_f32_e32 v162, v3, v162
	v_add_f32_e32 v157, v10, v157
	v_fmac_f32_e32 v159, v137, v160
	v_fma_f32 v160, v136, v160, -v148
	v_mul_f32_e32 v163, v138, v167
	v_add_f32_e32 v161, v162, v161
	v_add_f32_e32 v157, v157, v158
	v_fma_f32 v164, v138, v171, -v149
	ds_read_b128 v[6:9], v1 offset:880
	ds_read_b128 v[144:147], v1 offset:896
	v_fmac_f32_e32 v163, v139, v171
	v_add_f32_e32 v160, v161, v160
	v_add_f32_e32 v157, v157, v159
	s_waitcnt vmcnt(31)
	v_mul_f32_e32 v165, v4, v173
	v_mul_f32_e32 v153, v5, v173
	v_fma_f32 v166, v2, v170, -v152
	v_add_f32_e32 v160, v160, v164
	v_add_f32_e32 v157, v157, v163
	v_fmac_f32_e32 v165, v5, v169
	v_fma_f32 v167, v4, v169, -v153
	s_waitcnt vmcnt(30) lgkmcnt(2)
	v_mul_f32_e32 v169, v141, v174
	v_add_f32_e32 v160, v160, v166
	v_mul_f32_e32 v162, v140, v174
	v_add_f32_e32 v12, v157, v12
	s_waitcnt vmcnt(29)
	v_mul_f32_e32 v170, v143, v175
	v_fma_f32 v140, v140, v168, -v169
	v_add_f32_e32 v160, v160, v167
	v_mul_f32_e32 v158, v142, v175
	v_fmac_f32_e32 v162, v141, v168
	v_add_f32_e32 v12, v12, v165
	s_waitcnt vmcnt(28) lgkmcnt(1)
	v_mul_f32_e32 v161, v6, v176
	v_mul_f32_e32 v168, v7, v176
	s_waitcnt vmcnt(20)
	v_fma_f32 v142, v142, v184, -v170
	v_add_f32_e32 v140, v160, v140
	ds_read_b128 v[136:139], v1 offset:912
	ds_read_b128 v[148:151], v1 offset:928
	v_fmac_f32_e32 v158, v143, v184
	v_add_f32_e32 v12, v12, v162
	v_mul_f32_e32 v165, v9, v177
	v_fmac_f32_e32 v161, v7, v183
	v_fma_f32 v6, v6, v183, -v168
	v_add_f32_e32 v7, v140, v142
	v_mul_f32_e32 v159, v8, v177
	v_add_f32_e32 v12, v12, v158
	s_waitcnt lgkmcnt(2)
	v_mul_f32_e32 v140, v145, v178
	v_fma_f32 v8, v8, v182, -v165
	v_add_f32_e32 v6, v7, v6
	v_mul_f32_e32 v141, v144, v178
	v_fmac_f32_e32 v159, v9, v182
	v_add_f32_e32 v7, v12, v161
	v_mul_f32_e32 v9, v147, v179
	v_fma_f32 v12, v144, v181, -v140
	v_add_f32_e32 v6, v6, v8
	v_mul_f32_e32 v164, v146, v179
	v_fmac_f32_e32 v141, v145, v181
	v_add_f32_e32 v7, v7, v159
	s_waitcnt lgkmcnt(1)
	v_mul_f32_e32 v8, v137, v180
	v_add_f32_e32 v6, v6, v12
	v_mul_f32_e32 v163, v136, v180
	ds_read_b128 v[2:5], v1 offset:944
	ds_read_b128 v[152:155], v1 offset:960
	ds_read_b64 v[10:11], v1 offset:976
	v_add_f32_e32 v7, v7, v141
	s_waitcnt vmcnt(19)
	v_mul_f32_e32 v12, v139, v185
	v_mul_f32_e32 v143, v138, v185
	s_waitcnt vmcnt(18) lgkmcnt(3)
	v_mul_f32_e32 v169, v148, v186
	s_waitcnt vmcnt(17)
	v_mul_f32_e32 v157, v150, v187
	s_waitcnt vmcnt(16) lgkmcnt(2)
	v_mul_f32_e32 v166, v2, v188
	s_waitcnt vmcnt(15)
	v_mul_f32_e32 v170, v4, v189
	s_waitcnt vmcnt(14) lgkmcnt(1)
	v_mul_f32_e32 v167, v152, v190
	s_waitcnt vmcnt(13)
	v_mul_f32_e32 v171, v154, v191
	s_waitcnt vmcnt(12) lgkmcnt(0)
	v_mul_f32_e32 v160, v10, v192
	s_waitcnt vmcnt(10)
	v_fmac_f32_e32 v169, v149, v198
	s_waitcnt vmcnt(9)
	v_fma_f32 v12, v138, v199, -v12
	s_waitcnt vmcnt(8)
	v_fma_f32 v8, v136, v200, -v8
	s_waitcnt vmcnt(7)
	v_fma_f32 v9, v146, v201, -v9
	v_fmac_f32_e32 v164, v147, v201
	v_fmac_f32_e32 v163, v137, v200
	;; [unrolled: 1-line block ×3, first 2 shown]
	v_add_f32_e32 v6, v6, v9
	v_add_f32_e32 v7, v7, v164
	v_mul_f32_e32 v9, v149, v186
	v_add_f32_e32 v6, v6, v8
	v_add_f32_e32 v7, v7, v163
	v_mul_f32_e32 v8, v151, v187
	v_fma_f32 v9, v148, v198, -v9
	s_waitcnt vmcnt(5)
	v_fmac_f32_e32 v170, v5, v203
	v_add_f32_e32 v6, v6, v12
	v_add_f32_e32 v7, v7, v143
	v_mul_f32_e32 v12, v3, v188
	s_waitcnt vmcnt(3)
	v_fma_f32 v8, v150, v205, -v8
	v_fmac_f32_e32 v157, v151, v205
	v_add_f32_e32 v6, v6, v9
	v_add_f32_e32 v7, v7, v169
	v_mul_f32_e32 v9, v5, v189
	v_fmac_f32_e32 v166, v3, v204
	v_fma_f32 v2, v2, v204, -v12
	v_add_f32_e32 v3, v6, v8
	v_add_f32_e32 v6, v7, v157
	v_mul_f32_e32 v7, v153, v190
	v_fma_f32 v4, v4, v203, -v9
	v_mul_f32_e32 v5, v155, v191
	v_add_f32_e32 v2, v3, v2
	v_add_f32_e32 v3, v6, v166
	v_fma_f32 v6, v152, v202, -v7
	v_fmac_f32_e32 v167, v153, v202
	v_add_f32_e32 v2, v2, v4
	v_add_f32_e32 v3, v3, v170
	v_mul_f32_e32 v4, v11, v192
	s_waitcnt vmcnt(1)
	v_fma_f32 v5, v154, v194, -v5
	v_fmac_f32_e32 v171, v155, v194
	v_add_f32_e32 v2, v2, v6
	v_add_f32_e32 v3, v3, v167
	v_fma_f32 v4, v10, v156, -v4
	v_fmac_f32_e32 v160, v11, v156
	v_add_f32_e32 v2, v2, v5
	v_add_f32_e32 v3, v3, v171
	;; [unrolled: 1-line block ×4, first 2 shown]
	s_waitcnt vmcnt(0)
	v_sub_f32_e32 v2, v195, v2
	v_sub_f32_e32 v3, v193, v3
	buffer_store_dword v2, off, s[0:3], 0 offset:216
	buffer_store_dword v3, off, s[0:3], 0 offset:220
	v_cmpx_lt_u32_e32 26, v0
	s_cbranch_execz .LBB60_327
; %bb.326:
	s_clause 0x1
	buffer_load_dword v2, off, s[0:3], 0 offset:208
	buffer_load_dword v3, off, s[0:3], 0 offset:212
	buffer_store_dword v1, off, s[0:3], 0 offset:208
	buffer_store_dword v1, off, s[0:3], 0 offset:212
	s_waitcnt vmcnt(0)
	ds_write_b64 v135, v[2:3]
.LBB60_327:
	s_or_b32 exec_lo, exec_lo, s4
	s_waitcnt lgkmcnt(0)
	s_waitcnt_vscnt null, 0x0
	s_barrier
	buffer_gl0_inv
	s_clause 0x24
	buffer_load_dword v10, off, s[0:3], 0 offset:220
	buffer_load_dword v11, off, s[0:3], 0 offset:228
	;; [unrolled: 1-line block ×37, first 2 shown]
	ds_read2_b64 v[2:5], v1 offset0:89 offset1:90
	s_clause 0x1
	buffer_load_dword v182, off, s[0:3], 0 offset:364
	buffer_load_dword v183, off, s[0:3], 0 offset:372
	ds_read2_b64 v[6:9], v1 offset0:91 offset1:92
	s_clause 0xa
	buffer_load_dword v184, off, s[0:3], 0 offset:380
	buffer_load_dword v185, off, s[0:3], 0 offset:388
	;; [unrolled: 1-line block ×11, first 2 shown]
	ds_read2_b64 v[136:139], v1 offset0:93 offset1:94
	ds_read2_b64 v[140:143], v1 offset0:95 offset1:96
	;; [unrolled: 1-line block ×3, first 2 shown]
	s_clause 0x7
	buffer_load_dword v197, off, s[0:3], 0 offset:212
	buffer_load_dword v198, off, s[0:3], 0 offset:436
	buffer_load_dword v199, off, s[0:3], 0 offset:444
	buffer_load_dword v200, off, s[0:3], 0 offset:452
	buffer_load_dword v201, off, s[0:3], 0 offset:460
	buffer_load_dword v202, off, s[0:3], 0 offset:468
	buffer_load_dword v203, off, s[0:3], 0 offset:476
	buffer_load_dword v204, off, s[0:3], 0 offset:484
	s_mov_b32 s4, exec_lo
	s_waitcnt vmcnt(57) lgkmcnt(4)
	v_mul_f32_e32 v195, v3, v10
	v_mul_f32_e32 v10, v2, v10
	s_waitcnt vmcnt(56)
	v_mul_f32_e32 v196, v4, v11
	v_mul_f32_e32 v11, v5, v11
	s_waitcnt vmcnt(53)
	v_fma_f32 v195, v2, v149, -v195
	v_fmac_f32_e32 v10, v3, v149
	v_fmac_f32_e32 v196, v5, v148
	v_fma_f32 v11, v4, v148, -v11
	s_waitcnt vmcnt(52) lgkmcnt(3)
	v_mul_f32_e32 v148, v6, v150
	v_mul_f32_e32 v2, v7, v150
	s_waitcnt vmcnt(51)
	v_mul_f32_e32 v3, v9, v151
	v_mul_f32_e32 v149, v8, v151
	s_waitcnt vmcnt(46) lgkmcnt(2)
	v_mul_f32_e32 v150, v136, v156
	v_fmac_f32_e32 v148, v7, v12
	v_fma_f32 v6, v6, v12, -v2
	v_fma_f32 v12, v8, v155, -v3
	v_mul_f32_e32 v2, v137, v156
	s_waitcnt vmcnt(45)
	v_mul_f32_e32 v151, v138, v157
	v_mul_f32_e32 v3, v139, v157
	s_clause 0x3
	buffer_load_dword v156, off, s[0:3], 0 offset:424
	buffer_load_dword v157, off, s[0:3], 0 offset:416
	;; [unrolled: 1-line block ×4, first 2 shown]
	v_fmac_f32_e32 v149, v9, v155
	v_fmac_f32_e32 v150, v137, v154
	v_fma_f32 v136, v136, v154, -v2
	v_fmac_f32_e32 v151, v139, v153
	v_fma_f32 v153, v138, v153, -v3
	s_waitcnt vmcnt(48) lgkmcnt(1)
	v_mul_f32_e32 v154, v140, v158
	v_mul_f32_e32 v2, v141, v158
	s_waitcnt vmcnt(47)
	v_mul_f32_e32 v155, v142, v159
	v_mul_f32_e32 v3, v143, v159
	s_waitcnt vmcnt(42) lgkmcnt(0)
	v_mul_f32_e32 v158, v144, v164
	v_mul_f32_e32 v7, v145, v164
	s_waitcnt vmcnt(41)
	v_mul_f32_e32 v159, v146, v165
	v_mul_f32_e32 v8, v147, v165
	v_fmac_f32_e32 v154, v141, v152
	v_fma_f32 v140, v140, v152, -v2
	v_fmac_f32_e32 v155, v143, v163
	v_fma_f32 v152, v142, v163, -v3
	ds_read2_b64 v[2:5], v1 offset0:99 offset1:100
	v_fmac_f32_e32 v158, v145, v162
	v_fma_f32 v144, v144, v162, -v7
	v_fmac_f32_e32 v159, v147, v161
	v_fma_f32 v145, v146, v161, -v8
	s_clause 0x7
	buffer_load_dword v161, off, s[0:3], 0 offset:456
	buffer_load_dword v162, off, s[0:3], 0 offset:448
	;; [unrolled: 1-line block ×8, first 2 shown]
	v_add_f32_e32 v7, 0, v195
	v_add_f32_e32 v8, 0, v10
	;; [unrolled: 1-line block ×4, first 2 shown]
	s_waitcnt vmcnt(48) lgkmcnt(0)
	v_mul_f32_e32 v10, v2, v166
	v_mul_f32_e32 v9, v3, v166
	v_fmac_f32_e32 v10, v3, v160
	v_fma_f32 v11, v2, v160, -v9
	v_add_f32_e32 v2, v7, v6
	v_add_f32_e32 v3, v8, v148
	ds_read2_b64 v[6:9], v1 offset0:101 offset1:102
	s_waitcnt vmcnt(47)
	v_mul_f32_e32 v160, v4, v167
	v_add_f32_e32 v12, v2, v12
	v_mul_f32_e32 v2, v5, v167
	v_add_f32_e32 v137, v3, v149
	s_waitcnt vmcnt(43)
	v_fmac_f32_e32 v160, v5, v171
	v_add_f32_e32 v12, v12, v136
	v_fma_f32 v166, v4, v171, -v2
	ds_read2_b64 v[2:5], v1 offset0:103 offset1:104
	v_add_f32_e32 v141, v137, v150
	ds_read2_b64 v[136:139], v1 offset0:105 offset1:106
	v_add_f32_e32 v12, v12, v153
	v_add_f32_e32 v141, v141, v151
	;; [unrolled: 1-line block ×3, first 2 shown]
	s_waitcnt vmcnt(42) lgkmcnt(2)
	v_mul_f32_e32 v142, v7, v172
	v_mul_f32_e32 v153, v6, v172
	s_waitcnt vmcnt(41)
	v_mul_f32_e32 v146, v9, v173
	v_fma_f32 v167, v6, v170, -v142
	v_add_f32_e32 v6, v141, v154
	v_fmac_f32_e32 v153, v7, v170
	v_add_f32_e32 v7, v12, v152
	v_mul_f32_e32 v12, v8, v173
	s_waitcnt vmcnt(40) lgkmcnt(1)
	v_mul_f32_e32 v170, v2, v174
	v_add_f32_e32 v6, v6, v155
	v_mul_f32_e32 v147, v3, v174
	v_add_f32_e32 v7, v7, v144
	ds_read2_b64 v[140:143], v1 offset0:107 offset1:108
	v_fmac_f32_e32 v170, v3, v168
	v_add_f32_e32 v6, v6, v158
	v_fma_f32 v168, v2, v168, -v147
	v_add_f32_e32 v2, v7, v145
	v_fma_f32 v152, v8, v169, -v146
	v_fmac_f32_e32 v12, v9, v169
	v_add_f32_e32 v3, v6, v159
	s_waitcnt vmcnt(39)
	v_mul_f32_e32 v148, v5, v175
	v_add_f32_e32 v11, v2, v11
	v_mul_f32_e32 v171, v4, v175
	s_waitcnt vmcnt(38) lgkmcnt(1)
	v_mul_f32_e32 v149, v137, v176
	v_add_f32_e32 v10, v3, v10
	s_waitcnt vmcnt(34)
	v_fma_f32 v159, v4, v180, -v148
	v_add_f32_e32 v11, v11, v166
	v_mul_f32_e32 v158, v136, v176
	ds_read2_b64 v[6:9], v1 offset0:109 offset1:110
	ds_read2_b64 v[144:147], v1 offset0:111 offset1:112
	v_add_f32_e32 v10, v10, v160
	v_fmac_f32_e32 v171, v5, v180
	v_add_f32_e32 v11, v11, v167
	v_fma_f32 v169, v136, v179, -v149
	s_waitcnt vmcnt(33)
	v_mul_f32_e32 v136, v139, v181
	v_add_f32_e32 v10, v10, v153
	v_fmac_f32_e32 v158, v137, v179
	v_add_f32_e32 v11, v11, v152
	v_mul_f32_e32 v166, v138, v181
	s_waitcnt vmcnt(32) lgkmcnt(2)
	v_mul_f32_e32 v137, v141, v182
	v_add_f32_e32 v10, v10, v12
	v_fma_f32 v173, v138, v178, -v136
	v_add_f32_e32 v11, v11, v168
	v_mul_f32_e32 v160, v140, v182
	v_fmac_f32_e32 v166, v139, v178
	v_add_f32_e32 v10, v10, v170
	s_waitcnt vmcnt(31)
	v_mul_f32_e32 v172, v143, v183
	v_add_f32_e32 v11, v11, v159
	v_fma_f32 v174, v140, v177, -v137
	v_mul_f32_e32 v167, v142, v183
	v_add_f32_e32 v10, v10, v171
	v_fmac_f32_e32 v160, v141, v177
	v_add_f32_e32 v11, v11, v169
	s_waitcnt vmcnt(24)
	v_fma_f32 v172, v142, v190, -v172
	s_waitcnt lgkmcnt(1)
	v_mul_f32_e32 v12, v7, v184
	v_add_f32_e32 v10, v10, v158
	ds_read2_b64 v[2:5], v1 offset0:113 offset1:114
	ds_read2_b64 v[148:151], v1 offset0:115 offset1:116
	v_add_f32_e32 v11, v11, v173
	ds_read2_b64 v[136:139], v1 offset0:117 offset1:118
	ds_read2_b64 v[152:155], v1 offset0:119 offset1:120
	v_fmac_f32_e32 v167, v143, v190
	v_add_f32_e32 v10, v10, v166
	ds_read2_b64 v[140:143], v1 offset0:121 offset1:122
	v_add_f32_e32 v11, v11, v174
	v_mul_f32_e32 v1, v6, v184
	v_mul_f32_e32 v170, v9, v185
	v_add_f32_e32 v10, v10, v160
	v_fma_f32 v6, v6, v189, -v12
	v_add_f32_e32 v11, v11, v172
	v_mul_f32_e32 v168, v8, v185
	v_fmac_f32_e32 v1, v7, v189
	v_add_f32_e32 v10, v10, v167
	s_waitcnt lgkmcnt(5)
	v_mul_f32_e32 v12, v145, v186
	v_fma_f32 v8, v8, v188, -v170
	v_add_f32_e32 v6, v11, v6
	v_mul_f32_e32 v159, v144, v186
	v_fmac_f32_e32 v168, v9, v188
	v_add_f32_e32 v1, v10, v1
	s_waitcnt vmcnt(23)
	v_mul_f32_e32 v9, v147, v191
	v_fma_f32 v10, v144, v187, -v12
	v_add_f32_e32 v6, v6, v8
	v_mul_f32_e32 v171, v146, v191
	v_fmac_f32_e32 v159, v145, v187
	v_add_f32_e32 v1, v1, v168
	s_waitcnt vmcnt(22) lgkmcnt(4)
	v_mul_f32_e32 v175, v2, v192
	v_mul_f32_e32 v8, v3, v192
	v_add_f32_e32 v6, v6, v10
	s_waitcnt vmcnt(21)
	v_mul_f32_e32 v10, v5, v193
	v_add_f32_e32 v1, v1, v159
	v_mul_f32_e32 v169, v4, v193
	s_waitcnt vmcnt(20) lgkmcnt(3)
	v_mul_f32_e32 v158, v148, v194
	s_waitcnt vmcnt(18)
	v_mul_f32_e32 v176, v150, v198
	s_waitcnt vmcnt(17) lgkmcnt(2)
	v_mul_f32_e32 v173, v136, v199
	s_waitcnt vmcnt(16)
	;; [unrolled: 4-line block ×4, first 2 shown]
	v_mul_f32_e32 v7, v142, v204
	s_waitcnt vmcnt(11)
	v_fmac_f32_e32 v158, v149, v156
	s_waitcnt vmcnt(10)
	v_fma_f32 v4, v4, v157, -v10
	s_waitcnt vmcnt(9)
	v_fmac_f32_e32 v175, v3, v205
	s_waitcnt vmcnt(8)
	v_fma_f32 v9, v146, v206, -v9
	v_fmac_f32_e32 v171, v147, v206
	v_fma_f32 v2, v2, v205, -v8
	v_fmac_f32_e32 v169, v5, v157
	v_add_f32_e32 v3, v6, v9
	v_add_f32_e32 v1, v1, v171
	v_mul_f32_e32 v6, v149, v194
	v_add_f32_e32 v2, v3, v2
	v_add_f32_e32 v1, v1, v175
	v_mul_f32_e32 v3, v151, v198
	v_fma_f32 v5, v148, v156, -v6
	v_add_f32_e32 v2, v2, v4
	v_add_f32_e32 v1, v1, v169
	v_mul_f32_e32 v4, v137, v199
	s_waitcnt vmcnt(5)
	v_fmac_f32_e32 v173, v137, v163
	s_waitcnt vmcnt(4)
	v_fma_f32 v3, v150, v164, -v3
	v_add_f32_e32 v2, v2, v5
	v_fmac_f32_e32 v176, v151, v164
	v_add_f32_e32 v1, v1, v158
	v_mul_f32_e32 v5, v139, v200
	v_fma_f32 v4, v136, v163, -v4
	v_add_f32_e32 v2, v2, v3
	v_mul_f32_e32 v3, v153, v201
	v_add_f32_e32 v1, v1, v176
	v_fma_f32 v5, v138, v162, -v5
	v_fmac_f32_e32 v166, v139, v162
	v_add_f32_e32 v2, v2, v4
	v_mul_f32_e32 v4, v155, v202
	v_add_f32_e32 v1, v1, v173
	v_fma_f32 v3, v152, v161, -v3
	v_fmac_f32_e32 v177, v153, v161
	v_add_f32_e32 v2, v2, v5
	v_mul_f32_e32 v5, v141, v203
	v_add_f32_e32 v1, v1, v166
	s_waitcnt vmcnt(1)
	v_fma_f32 v4, v154, v208, -v4
	v_fmac_f32_e32 v174, v155, v208
	v_add_f32_e32 v2, v2, v3
	v_mul_f32_e32 v3, v143, v204
	v_add_f32_e32 v1, v1, v177
	v_fma_f32 v5, v140, v207, -v5
	v_fmac_f32_e32 v160, v141, v207
	v_add_f32_e32 v2, v2, v4
	v_fma_f32 v3, v142, v165, -v3
	v_add_f32_e32 v1, v1, v174
	v_fmac_f32_e32 v7, v143, v165
	v_add_f32_e32 v2, v2, v5
	v_add_f32_e32 v1, v1, v160
	v_add_f32_e32 v2, v2, v3
	v_add_f32_e32 v1, v1, v7
	s_waitcnt vmcnt(0)
	v_sub_f32_e32 v2, v209, v2
	v_sub_f32_e32 v1, v197, v1
	buffer_store_dword v2, off, s[0:3], 0 offset:208
	buffer_store_dword v1, off, s[0:3], 0 offset:212
	v_cmpx_lt_u32_e32 25, v0
	s_cbranch_execz .LBB60_329
; %bb.328:
	s_clause 0x1
	buffer_load_dword v1, off, s[0:3], 0 offset:200
	buffer_load_dword v2, off, s[0:3], 0 offset:204
	v_mov_b32_e32 v3, 0
	buffer_store_dword v3, off, s[0:3], 0 offset:200
	buffer_store_dword v3, off, s[0:3], 0 offset:204
	s_waitcnt vmcnt(0)
	ds_write_b64 v135, v[1:2]
.LBB60_329:
	s_or_b32 exec_lo, exec_lo, s4
	s_waitcnt lgkmcnt(0)
	s_waitcnt_vscnt null, 0x0
	s_barrier
	buffer_gl0_inv
	s_clause 0x23
	buffer_load_dword v2, off, s[0:3], 0 offset:212
	buffer_load_dword v3, off, s[0:3], 0 offset:220
	;; [unrolled: 1-line block ×36, first 2 shown]
	v_mov_b32_e32 v1, 0
	s_clause 0x1
	buffer_load_dword v177, off, s[0:3], 0 offset:348
	buffer_load_dword v178, off, s[0:3], 0 offset:356
	s_mov_b32 s4, exec_lo
	ds_read_b128 v[4:7], v1 offset:704
	s_clause 0x7
	buffer_load_dword v179, off, s[0:3], 0 offset:364
	buffer_load_dword v180, off, s[0:3], 0 offset:372
	;; [unrolled: 1-line block ×8, first 2 shown]
	ds_read_b128 v[8:11], v1 offset:720
	s_clause 0x3
	buffer_load_dword v187, off, s[0:3], 0 offset:396
	buffer_load_dword v188, off, s[0:3], 0 offset:404
	;; [unrolled: 1-line block ×4, first 2 shown]
	ds_read_b128 v[136:139], v1 offset:736
	s_clause 0x4
	buffer_load_dword v191, off, s[0:3], 0 offset:428
	buffer_load_dword v192, off, s[0:3], 0 offset:436
	buffer_load_dword v193, off, s[0:3], 0 offset:444
	buffer_load_dword v194, off, s[0:3], 0 offset:452
	buffer_load_dword v195, off, s[0:3], 0 offset:204
	ds_read_b128 v[140:143], v1 offset:752
	s_waitcnt vmcnt(54) lgkmcnt(3)
	v_mul_f32_e32 v196, v5, v2
	v_mul_f32_e32 v197, v4, v2
	s_waitcnt vmcnt(53)
	v_mul_f32_e32 v198, v6, v3
	v_mul_f32_e32 v2, v7, v3
	s_waitcnt vmcnt(50)
	v_fma_f32 v196, v4, v145, -v196
	v_fmac_f32_e32 v197, v5, v145
	v_fmac_f32_e32 v198, v7, v144
	v_fma_f32 v144, v6, v144, -v2
	ds_read_b128 v[2:5], v1 offset:768
	s_waitcnt vmcnt(49) lgkmcnt(3)
	v_mul_f32_e32 v145, v8, v146
	v_mul_f32_e32 v6, v9, v146
	s_clause 0x7
	buffer_load_dword v200, off, s[0:3], 0 offset:460
	buffer_load_dword v201, off, s[0:3], 0 offset:468
	;; [unrolled: 1-line block ×8, first 2 shown]
	s_waitcnt vmcnt(56)
	v_mul_f32_e32 v146, v10, v147
	v_mul_f32_e32 v7, v11, v147
	s_waitcnt vmcnt(55) lgkmcnt(2)
	v_mul_f32_e32 v147, v136, v148
	v_mul_f32_e32 v148, v137, v148
	v_fmac_f32_e32 v145, v9, v12
	v_fma_f32 v12, v8, v12, -v6
	s_waitcnt vmcnt(54)
	v_mul_f32_e32 v6, v139, v149
	v_mul_f32_e32 v199, v138, v149
	s_waitcnt vmcnt(50)
	v_fmac_f32_e32 v146, v11, v153
	v_fma_f32 v11, v136, v152, -v148
	s_waitcnt vmcnt(49) lgkmcnt(1)
	v_mul_f32_e32 v148, v140, v154
	v_fma_f32 v136, v138, v151, -v6
	v_mul_f32_e32 v6, v141, v154
	v_fma_f32 v10, v10, v153, -v7
	v_fmac_f32_e32 v147, v137, v152
	v_fmac_f32_e32 v199, v139, v151
	s_waitcnt vmcnt(48)
	v_mul_f32_e32 v149, v142, v155
	v_mul_f32_e32 v7, v143, v155
	v_fmac_f32_e32 v148, v141, v150
	v_fma_f32 v140, v140, v150, -v6
	s_waitcnt vmcnt(43) lgkmcnt(0)
	v_mul_f32_e32 v150, v2, v160
	v_mul_f32_e32 v137, v3, v160
	s_waitcnt vmcnt(42)
	v_mul_f32_e32 v151, v4, v161
	v_mul_f32_e32 v138, v5, v161
	v_fmac_f32_e32 v149, v143, v159
	v_fma_f32 v141, v142, v159, -v7
	ds_read_b128 v[6:9], v1 offset:784
	v_fmac_f32_e32 v150, v3, v158
	v_fma_f32 v152, v2, v158, -v137
	v_fmac_f32_e32 v151, v5, v157
	v_fma_f32 v153, v4, v157, -v138
	s_clause 0x3
	buffer_load_dword v157, off, s[0:3], 0 offset:448
	buffer_load_dword v158, off, s[0:3], 0 offset:440
	;; [unrolled: 1-line block ×4, first 2 shown]
	v_add_f32_e32 v2, 0, v196
	s_clause 0x3
	buffer_load_dword v161, off, s[0:3], 0 offset:480
	buffer_load_dword v196, off, s[0:3], 0 offset:472
	;; [unrolled: 1-line block ×4, first 2 shown]
	v_add_f32_e32 v3, 0, v197
	buffer_load_dword v197, off, s[0:3], 0 offset:200
	v_add_f32_e32 v2, v2, v144
	v_add_f32_e32 v3, v3, v198
	;; [unrolled: 1-line block ×4, first 2 shown]
	s_waitcnt vmcnt(50) lgkmcnt(0)
	v_mul_f32_e32 v12, v6, v162
	v_mul_f32_e32 v4, v7, v162
	v_fmac_f32_e32 v12, v7, v156
	v_fma_f32 v144, v6, v156, -v4
	v_add_f32_e32 v6, v2, v10
	v_add_f32_e32 v7, v3, v146
	ds_read_b128 v[2:5], v1 offset:800
	v_add_f32_e32 v10, v6, v11
	s_waitcnt vmcnt(49)
	v_mul_f32_e32 v11, v8, v163
	v_mul_f32_e32 v6, v9, v163
	v_add_f32_e32 v137, v7, v147
	v_add_f32_e32 v10, v10, v136
	s_waitcnt vmcnt(45)
	v_fmac_f32_e32 v11, v9, v167
	v_fma_f32 v154, v8, v167, -v6
	ds_read_b128 v[6:9], v1 offset:816
	v_add_f32_e32 v142, v137, v199
	ds_read_b128 v[136:139], v1 offset:832
	v_add_f32_e32 v10, v10, v140
	v_add_f32_e32 v142, v142, v148
	;; [unrolled: 1-line block ×3, first 2 shown]
	s_waitcnt vmcnt(44) lgkmcnt(2)
	v_mul_f32_e32 v140, v3, v168
	v_mul_f32_e32 v155, v2, v168
	s_waitcnt vmcnt(43)
	v_mul_f32_e32 v145, v5, v169
	v_fma_f32 v156, v2, v166, -v140
	v_add_f32_e32 v2, v142, v149
	v_fmac_f32_e32 v155, v3, v166
	v_add_f32_e32 v3, v10, v152
	ds_read_b128 v[140:143], v1 offset:848
	v_mul_f32_e32 v10, v4, v169
	v_add_f32_e32 v2, v2, v150
	s_waitcnt vmcnt(42) lgkmcnt(2)
	v_mul_f32_e32 v146, v7, v170
	v_add_f32_e32 v3, v3, v153
	v_mul_f32_e32 v162, v6, v170
	s_waitcnt vmcnt(40) lgkmcnt(1)
	v_mul_f32_e32 v166, v136, v172
	v_add_f32_e32 v2, v2, v151
	v_fma_f32 v153, v6, v164, -v146
	v_add_f32_e32 v6, v3, v144
	v_fmac_f32_e32 v162, v7, v164
	s_waitcnt vmcnt(37)
	v_fmac_f32_e32 v166, v137, v175
	v_add_f32_e32 v7, v2, v12
	v_mul_f32_e32 v12, v137, v172
	v_add_f32_e32 v137, v6, v154
	v_fma_f32 v152, v4, v165, -v145
	v_fmac_f32_e32 v10, v5, v165
	v_add_f32_e32 v11, v7, v11
	v_fma_f32 v12, v136, v175, -v12
	v_add_f32_e32 v136, v137, v156
	v_mul_f32_e32 v148, v9, v171
	v_mul_f32_e32 v163, v8, v171
	v_add_f32_e32 v11, v11, v155
	ds_read_b128 v[2:5], v1 offset:864
	ds_read_b128 v[144:147], v1 offset:880
	v_add_f32_e32 v136, v136, v152
	s_waitcnt vmcnt(36)
	v_fma_f32 v164, v8, v176, -v148
	v_fmac_f32_e32 v163, v9, v176
	v_add_f32_e32 v10, v11, v10
	s_waitcnt vmcnt(35)
	v_mul_f32_e32 v137, v139, v177
	v_add_f32_e32 v171, v136, v153
	v_mul_f32_e32 v156, v138, v177
	s_waitcnt vmcnt(34) lgkmcnt(2)
	v_mul_f32_e32 v152, v141, v178
	v_add_f32_e32 v162, v10, v162
	v_fma_f32 v169, v138, v174, -v137
	v_add_f32_e32 v164, v171, v164
	v_mul_f32_e32 v165, v140, v178
	v_fmac_f32_e32 v156, v139, v174
	v_add_f32_e32 v162, v162, v163
	s_waitcnt vmcnt(33)
	v_mul_f32_e32 v168, v143, v179
	v_add_f32_e32 v12, v164, v12
	v_fma_f32 v170, v140, v173, -v152
	v_mul_f32_e32 v167, v142, v179
	v_add_f32_e32 v162, v162, v166
	v_fmac_f32_e32 v165, v141, v173
	v_add_f32_e32 v12, v12, v169
	s_waitcnt vmcnt(26)
	v_fma_f32 v168, v142, v186, -v168
	s_waitcnt lgkmcnt(1)
	v_mul_f32_e32 v172, v3, v180
	v_add_f32_e32 v156, v162, v156
	ds_read_b128 v[6:9], v1 offset:896
	ds_read_b128 v[148:151], v1 offset:912
	v_add_f32_e32 v12, v12, v170
	v_fmac_f32_e32 v167, v143, v186
	v_mul_f32_e32 v171, v2, v180
	v_add_f32_e32 v156, v156, v165
	v_mul_f32_e32 v173, v5, v181
	v_fma_f32 v2, v2, v185, -v172
	v_add_f32_e32 v12, v12, v168
	v_mul_f32_e32 v163, v4, v181
	v_fmac_f32_e32 v171, v3, v185
	v_add_f32_e32 v156, v156, v167
	s_waitcnt lgkmcnt(2)
	v_mul_f32_e32 v172, v145, v182
	v_fma_f32 v4, v4, v184, -v173
	v_add_f32_e32 v2, v12, v2
	v_mul_f32_e32 v164, v144, v182
	v_fmac_f32_e32 v163, v5, v184
	v_add_f32_e32 v12, v156, v171
	s_waitcnt vmcnt(25)
	v_mul_f32_e32 v167, v147, v187
	v_fma_f32 v144, v144, v183, -v172
	v_add_f32_e32 v2, v2, v4
	v_mul_f32_e32 v166, v146, v187
	v_fmac_f32_e32 v164, v145, v183
	v_add_f32_e32 v4, v12, v163
	s_waitcnt vmcnt(24) lgkmcnt(1)
	v_mul_f32_e32 v12, v7, v188
	v_add_f32_e32 v2, v2, v144
	ds_read_b128 v[136:139], v1 offset:928
	ds_read_b128 v[152:155], v1 offset:944
	v_mul_f32_e32 v3, v6, v188
	v_add_f32_e32 v4, v4, v164
	s_waitcnt vmcnt(23)
	v_mul_f32_e32 v144, v9, v189
	v_mul_f32_e32 v169, v8, v189
	s_waitcnt vmcnt(22) lgkmcnt(2)
	v_mul_f32_e32 v162, v148, v190
	s_waitcnt vmcnt(21)
	v_mul_f32_e32 v5, v150, v191
	ds_read_b128 v[140:143], v1 offset:960
	ds_read_b64 v[10:11], v1 offset:976
	s_waitcnt vmcnt(20) lgkmcnt(3)
	v_mul_f32_e32 v173, v136, v192
	s_waitcnt vmcnt(19)
	v_mul_f32_e32 v165, v138, v193
	s_waitcnt vmcnt(18) lgkmcnt(2)
	v_mul_f32_e32 v170, v152, v194
	s_waitcnt vmcnt(16)
	v_mul_f32_e32 v174, v154, v200
	s_waitcnt vmcnt(12)
	v_fmac_f32_e32 v162, v149, v204
	s_waitcnt vmcnt(11)
	v_fma_f32 v8, v8, v205, -v144
	s_waitcnt vmcnt(10)
	v_fma_f32 v6, v6, v206, -v12
	s_waitcnt vmcnt(9)
	v_fma_f32 v145, v146, v207, -v167
	v_fmac_f32_e32 v166, v147, v207
	v_fmac_f32_e32 v3, v7, v206
	v_mul_f32_e32 v7, v149, v190
	v_fmac_f32_e32 v169, v9, v205
	v_add_f32_e32 v2, v2, v145
	v_add_f32_e32 v4, v4, v166
	s_waitcnt lgkmcnt(1)
	v_mul_f32_e32 v168, v140, v201
	v_mul_f32_e32 v175, v142, v202
	s_waitcnt lgkmcnt(0)
	v_mul_f32_e32 v156, v10, v203
	v_add_f32_e32 v2, v2, v6
	v_add_f32_e32 v3, v4, v3
	v_mul_f32_e32 v4, v151, v191
	v_fma_f32 v6, v148, v204, -v7
	v_mul_f32_e32 v7, v137, v192
	v_add_f32_e32 v2, v2, v8
	v_add_f32_e32 v3, v3, v169
	;; [unrolled: 1-line block ×4, first 2 shown]
	v_mul_f32_e32 v6, v139, v193
	s_waitcnt vmcnt(8)
	v_fmac_f32_e32 v170, v153, v157
	s_waitcnt vmcnt(7)
	v_fmac_f32_e32 v165, v139, v158
	s_waitcnt vmcnt(6)
	v_fma_f32 v7, v136, v159, -v7
	s_waitcnt vmcnt(5)
	v_fma_f32 v4, v150, v160, -v4
	v_fmac_f32_e32 v5, v151, v160
	v_fmac_f32_e32 v173, v137, v159
	s_waitcnt vmcnt(1)
	v_fmac_f32_e32 v174, v155, v209
	v_fmac_f32_e32 v168, v141, v208
	v_add_f32_e32 v2, v2, v4
	v_add_f32_e32 v3, v3, v5
	v_mul_f32_e32 v4, v153, v194
	v_fma_f32 v5, v138, v158, -v6
	v_mul_f32_e32 v6, v155, v200
	v_add_f32_e32 v2, v2, v7
	v_add_f32_e32 v3, v3, v173
	v_fma_f32 v4, v152, v157, -v4
	v_fmac_f32_e32 v175, v143, v196
	v_fma_f32 v6, v154, v209, -v6
	v_add_f32_e32 v2, v2, v5
	v_add_f32_e32 v3, v3, v165
	v_mul_f32_e32 v5, v141, v201
	v_fmac_f32_e32 v156, v11, v161
	v_add_f32_e32 v2, v2, v4
	v_add_f32_e32 v3, v3, v170
	v_mul_f32_e32 v4, v143, v202
	v_fma_f32 v5, v140, v208, -v5
	v_add_f32_e32 v2, v2, v6
	v_add_f32_e32 v3, v3, v174
	v_mul_f32_e32 v6, v11, v203
	v_fma_f32 v4, v142, v196, -v4
	v_add_f32_e32 v2, v2, v5
	v_add_f32_e32 v3, v3, v168
	v_fma_f32 v5, v10, v161, -v6
	v_add_f32_e32 v2, v2, v4
	v_add_f32_e32 v3, v3, v175
	;; [unrolled: 1-line block ×4, first 2 shown]
	s_waitcnt vmcnt(0)
	v_sub_f32_e32 v2, v197, v2
	v_sub_f32_e32 v3, v195, v3
	buffer_store_dword v2, off, s[0:3], 0 offset:200
	buffer_store_dword v3, off, s[0:3], 0 offset:204
	v_cmpx_lt_u32_e32 24, v0
	s_cbranch_execz .LBB60_331
; %bb.330:
	s_clause 0x1
	buffer_load_dword v2, off, s[0:3], 0 offset:192
	buffer_load_dword v3, off, s[0:3], 0 offset:196
	buffer_store_dword v1, off, s[0:3], 0 offset:192
	buffer_store_dword v1, off, s[0:3], 0 offset:196
	s_waitcnt vmcnt(0)
	ds_write_b64 v135, v[2:3]
.LBB60_331:
	s_or_b32 exec_lo, exec_lo, s4
	s_waitcnt lgkmcnt(0)
	s_waitcnt_vscnt null, 0x0
	s_barrier
	buffer_gl0_inv
	s_clause 0x23
	buffer_load_dword v144, off, s[0:3], 0 offset:204
	buffer_load_dword v145, off, s[0:3], 0 offset:212
	;; [unrolled: 1-line block ×36, first 2 shown]
	ds_read2_b64 v[5:8], v1 offset0:87 offset1:88
	s_clause 0x2
	buffer_load_dword v180, off, s[0:3], 0 offset:340
	buffer_load_dword v181, off, s[0:3], 0 offset:348
	;; [unrolled: 1-line block ×3, first 2 shown]
	ds_read2_b64 v[9:12], v1 offset0:89 offset1:90
	s_clause 0x3
	buffer_load_dword v183, off, s[0:3], 0 offset:388
	buffer_load_dword v4, off, s[0:3], 0 offset:396
	;; [unrolled: 1-line block ×4, first 2 shown]
	ds_read2_b64 v[136:139], v1 offset0:91 offset1:92
	s_clause 0x6
	buffer_load_dword v184, off, s[0:3], 0 offset:364
	buffer_load_dword v185, off, s[0:3], 0 offset:372
	;; [unrolled: 1-line block ×7, first 2 shown]
	ds_read2_b64 v[140:143], v1 offset0:93 offset1:94
	buffer_load_dword v194, off, s[0:3], 0 offset:196
	s_mov_b32 s4, exec_lo
	s_waitcnt vmcnt(50) lgkmcnt(3)
	v_mul_f32_e32 v191, v6, v144
	v_mul_f32_e32 v192, v5, v144
	s_waitcnt vmcnt(49)
	v_mul_f32_e32 v193, v7, v145
	v_mul_f32_e32 v144, v8, v145
	s_waitcnt vmcnt(46)
	v_fma_f32 v191, v5, v147, -v191
	v_fmac_f32_e32 v192, v6, v147
	v_fmac_f32_e32 v193, v8, v146
	v_fma_f32 v195, v7, v146, -v144
	ds_read2_b64 v[5:8], v1 offset0:95 offset1:96
	ds_read2_b64 v[144:147], v1 offset0:97 offset1:98
	s_waitcnt vmcnt(45) lgkmcnt(4)
	v_mul_f32_e32 v196, v9, v149
	v_mul_f32_e32 v149, v10, v149
	s_waitcnt vmcnt(43) lgkmcnt(3)
	v_mul_f32_e32 v198, v136, v151
	v_mul_f32_e32 v151, v137, v151
	;; [unrolled: 1-line block ×3, first 2 shown]
	v_fmac_f32_e32 v196, v10, v148
	v_fma_f32 v148, v9, v148, -v149
	s_waitcnt vmcnt(42)
	v_mul_f32_e32 v9, v139, v152
	v_mul_f32_e32 v150, v12, v150
	;; [unrolled: 1-line block ×3, first 2 shown]
	s_waitcnt vmcnt(39)
	v_fmac_f32_e32 v198, v137, v155
	v_fma_f32 v136, v136, v155, -v151
	v_fma_f32 v137, v138, v154, -v9
	s_waitcnt vmcnt(37) lgkmcnt(2)
	v_mul_f32_e32 v138, v140, v157
	v_mul_f32_e32 v9, v141, v157
	s_waitcnt vmcnt(36)
	v_mul_f32_e32 v151, v142, v158
	v_mul_f32_e32 v10, v143, v158
	v_fmac_f32_e32 v197, v12, v156
	v_fma_f32 v150, v11, v156, -v150
	s_clause 0x3
	buffer_load_dword v156, off, s[0:3], 0 offset:420
	buffer_load_dword v199, off, s[0:3], 0 offset:428
	;; [unrolled: 1-line block ×4, first 2 shown]
	v_fmac_f32_e32 v149, v139, v154
	s_clause 0x4
	buffer_load_dword v202, off, s[0:3], 0 offset:452
	buffer_load_dword v203, off, s[0:3], 0 offset:460
	;; [unrolled: 1-line block ×5, first 2 shown]
	v_fmac_f32_e32 v138, v141, v153
	v_fma_f32 v139, v140, v153, -v9
	s_waitcnt vmcnt(44) lgkmcnt(1)
	v_mul_f32_e32 v140, v5, v159
	v_mul_f32_e32 v9, v6, v159
	s_waitcnt vmcnt(40)
	v_fmac_f32_e32 v151, v143, v163
	v_fma_f32 v141, v142, v163, -v10
	s_waitcnt vmcnt(39)
	v_mul_f32_e32 v152, v7, v164
	v_mul_f32_e32 v10, v8, v164
	s_clause 0x3
	buffer_load_dword v158, off, s[0:3], 0 offset:408
	buffer_load_dword v159, off, s[0:3], 0 offset:400
	;; [unrolled: 1-line block ×4, first 2 shown]
	v_fmac_f32_e32 v140, v6, v162
	v_fma_f32 v142, v5, v162, -v9
	v_fmac_f32_e32 v152, v8, v161
	v_fma_f32 v153, v7, v161, -v10
	ds_read2_b64 v[5:8], v1 offset0:99 offset1:100
	s_waitcnt vmcnt(42) lgkmcnt(1)
	v_mul_f32_e32 v154, v144, v165
	v_mul_f32_e32 v9, v145, v165
	s_waitcnt vmcnt(41)
	v_mul_f32_e32 v155, v146, v166
	v_mul_f32_e32 v10, v147, v166
	v_fmac_f32_e32 v154, v145, v160
	v_fma_f32 v144, v144, v160, -v9
	s_clause 0x3
	buffer_load_dword v160, off, s[0:3], 0 offset:440
	buffer_load_dword v161, off, s[0:3], 0 offset:432
	;; [unrolled: 1-line block ×4, first 2 shown]
	v_add_f32_e32 v9, 0, v191
	s_waitcnt vmcnt(41)
	v_fmac_f32_e32 v155, v147, v170
	v_fma_f32 v145, v146, v170, -v10
	v_add_f32_e32 v10, 0, v192
	v_add_f32_e32 v143, v9, v195
	;; [unrolled: 1-line block ×3, first 2 shown]
	ds_read2_b64 v[9:12], v1 offset0:101 offset1:102
	v_add_f32_e32 v143, v143, v148
	s_waitcnt vmcnt(40) lgkmcnt(1)
	v_mul_f32_e32 v148, v5, v171
	v_mul_f32_e32 v147, v6, v171
	v_add_f32_e32 v146, v146, v196
	s_waitcnt vmcnt(39)
	v_mul_f32_e32 v195, v7, v172
	v_fmac_f32_e32 v148, v6, v169
	v_fma_f32 v166, v5, v169, -v147
	s_clause 0x5
	buffer_load_dword v169, off, s[0:3], 0 offset:472
	buffer_load_dword v170, off, s[0:3], 0 offset:464
	;; [unrolled: 1-line block ×6, first 2 shown]
	v_add_f32_e32 v5, v143, v150
	v_add_f32_e32 v6, v146, v197
	v_fmac_f32_e32 v195, v8, v168
	v_add_f32_e32 v5, v5, v136
	v_add_f32_e32 v6, v6, v198
	v_mul_f32_e32 v136, v8, v172
	s_waitcnt vmcnt(43) lgkmcnt(0)
	v_mul_f32_e32 v147, v12, v174
	v_mul_f32_e32 v172, v9, v173
	v_add_f32_e32 v5, v5, v137
	v_add_f32_e32 v137, v6, v149
	v_fma_f32 v168, v7, v168, -v136
	v_fmac_f32_e32 v172, v10, v167
	v_add_f32_e32 v143, v5, v139
	ds_read2_b64 v[5:8], v1 offset0:103 offset1:104
	v_add_f32_e32 v146, v137, v138
	ds_read2_b64 v[136:139], v1 offset0:105 offset1:106
	v_add_f32_e32 v141, v143, v141
	v_mul_f32_e32 v143, v10, v173
	v_add_f32_e32 v146, v146, v151
	v_mul_f32_e32 v173, v11, v174
	s_waitcnt vmcnt(39)
	v_fma_f32 v174, v11, v178, -v147
	v_add_f32_e32 v149, v141, v142
	v_fma_f32 v167, v9, v167, -v143
	v_add_f32_e32 v146, v146, v140
	v_fmac_f32_e32 v173, v12, v178
	ds_read2_b64 v[9:12], v1 offset0:107 offset1:108
	ds_read2_b64 v[140:143], v1 offset0:109 offset1:110
	v_add_f32_e32 v147, v149, v153
	v_add_f32_e32 v146, v146, v152
	;; [unrolled: 1-line block ×3, first 2 shown]
	s_waitcnt vmcnt(38) lgkmcnt(3)
	v_mul_f32_e32 v178, v5, v179
	v_mul_f32_e32 v149, v6, v179
	s_waitcnt vmcnt(37)
	v_mul_f32_e32 v179, v7, v180
	v_mul_f32_e32 v150, v8, v180
	v_add_f32_e32 v146, v146, v154
	v_fmac_f32_e32 v178, v6, v177
	v_fma_f32 v177, v5, v177, -v149
	v_add_f32_e32 v149, v144, v145
	v_fmac_f32_e32 v179, v8, v176
	v_fma_f32 v176, v7, v176, -v150
	v_add_f32_e32 v150, v146, v155
	s_waitcnt vmcnt(35) lgkmcnt(2)
	v_mul_f32_e32 v152, v139, v182
	v_add_f32_e32 v153, v149, v166
	s_waitcnt vmcnt(30) lgkmcnt(1)
	v_mul_f32_e32 v154, v10, v184
	v_mul_f32_e32 v180, v136, v181
	;; [unrolled: 1-line block ×3, first 2 shown]
	s_waitcnt vmcnt(24)
	v_fma_f32 v166, v138, v190, -v152
	v_add_f32_e32 v152, v150, v148
	v_add_f32_e32 v153, v153, v168
	v_mul_f32_e32 v168, v9, v184
	v_fmac_f32_e32 v180, v137, v175
	v_fma_f32 v175, v136, v175, -v151
	v_add_f32_e32 v152, v152, v195
	v_mul_f32_e32 v181, v138, v182
	v_fmac_f32_e32 v168, v10, v189
	v_add_f32_e32 v10, v153, v167
	ds_read2_b64 v[5:8], v1 offset0:111 offset1:112
	ds_read2_b64 v[144:147], v1 offset0:113 offset1:114
	v_add_f32_e32 v152, v152, v172
	v_fmac_f32_e32 v181, v139, v190
	v_mul_f32_e32 v155, v12, v185
	v_add_f32_e32 v174, v10, v174
	v_fma_f32 v167, v9, v189, -v154
	v_add_f32_e32 v173, v152, v173
	v_mul_f32_e32 v182, v11, v185
	v_fma_f32 v172, v11, v188, -v155
	v_add_f32_e32 v174, v174, v177
	s_waitcnt lgkmcnt(2)
	v_mul_f32_e32 v177, v141, v186
	v_add_f32_e32 v173, v173, v178
	ds_read2_b64 v[136:139], v1 offset0:115 offset1:116
	ds_read2_b64 v[148:151], v1 offset0:117 offset1:118
	v_fmac_f32_e32 v182, v12, v188
	v_add_f32_e32 v174, v174, v176
	ds_read2_b64 v[9:12], v1 offset0:119 offset1:120
	ds_read2_b64 v[152:155], v1 offset0:121 offset1:122
	v_add_f32_e32 v173, v173, v179
	v_mul_f32_e32 v1, v140, v186
	v_mul_f32_e32 v178, v142, v183
	v_add_f32_e32 v174, v174, v175
	v_mul_f32_e32 v183, v143, v183
	v_add_f32_e32 v173, v173, v180
	v_fma_f32 v140, v140, v187, -v177
	v_fmac_f32_e32 v1, v141, v187
	v_add_f32_e32 v166, v174, v166
	s_waitcnt lgkmcnt(5)
	v_mul_f32_e32 v176, v5, v4
	v_add_f32_e32 v173, v173, v181
	v_mul_f32_e32 v4, v6, v4
	v_mul_f32_e32 v179, v7, v3
	v_add_f32_e32 v166, v166, v167
	v_mul_f32_e32 v3, v8, v3
	v_add_f32_e32 v168, v173, v168
	s_waitcnt lgkmcnt(4)
	v_mul_f32_e32 v184, v144, v2
	v_mul_f32_e32 v2, v145, v2
	v_add_f32_e32 v166, v166, v172
	v_add_f32_e32 v168, v168, v182
	;; [unrolled: 1-line block ×4, first 2 shown]
	s_waitcnt vmcnt(22)
	v_mul_f32_e32 v175, v146, v156
	s_waitcnt vmcnt(21) lgkmcnt(3)
	v_mul_f32_e32 v180, v136, v199
	s_waitcnt vmcnt(20)
	v_mul_f32_e32 v185, v138, v200
	s_waitcnt vmcnt(19) lgkmcnt(2)
	v_mul_f32_e32 v174, v148, v201
	;; [unrolled: 4-line block ×4, first 2 shown]
	s_waitcnt vmcnt(14)
	v_mul_f32_e32 v141, v154, v157
	s_waitcnt vmcnt(13)
	v_fma_f32 v2, v144, v158, -v2
	s_waitcnt vmcnt(12)
	v_fma_f32 v3, v7, v159, -v3
	;; [unrolled: 2-line block ×4, first 2 shown]
	v_fmac_f32_e32 v178, v143, v164
	v_fmac_f32_e32 v176, v6, v163
	;; [unrolled: 1-line block ×4, first 2 shown]
	v_add_f32_e32 v5, v140, v142
	v_add_f32_e32 v1, v1, v178
	;; [unrolled: 1-line block ×4, first 2 shown]
	v_mul_f32_e32 v5, v147, v156
	s_waitcnt vmcnt(6)
	v_fmac_f32_e32 v175, v147, v165
	v_fmac_f32_e32 v180, v137, v162
	v_add_f32_e32 v3, v4, v3
	v_add_f32_e32 v1, v1, v179
	v_mul_f32_e32 v4, v137, v199
	v_fma_f32 v5, v146, v165, -v5
	v_fmac_f32_e32 v185, v139, v161
	v_add_f32_e32 v2, v3, v2
	v_add_f32_e32 v1, v1, v184
	v_mul_f32_e32 v3, v139, v200
	v_fma_f32 v4, v136, v162, -v4
	;; [unrolled: 5-line block ×3, first 2 shown]
	s_waitcnt vmcnt(5)
	v_fmac_f32_e32 v173, v153, v169
	v_add_f32_e32 v2, v2, v4
	v_add_f32_e32 v1, v1, v180
	v_mul_f32_e32 v4, v151, v202
	v_fma_f32 v5, v148, v160, -v5
	s_waitcnt vmcnt(2)
	v_fmac_f32_e32 v181, v151, v191
	v_add_f32_e32 v2, v2, v3
	v_add_f32_e32 v1, v1, v185
	v_mul_f32_e32 v3, v10, v203
	v_fma_f32 v4, v150, v191, -v4
	v_fmac_f32_e32 v186, v10, v171
	v_add_f32_e32 v2, v2, v5
	v_add_f32_e32 v1, v1, v174
	v_mul_f32_e32 v5, v12, v204
	v_fma_f32 v3, v9, v171, -v3
	;; [unrolled: 5-line block ×3, first 2 shown]
	s_waitcnt vmcnt(1)
	v_fmac_f32_e32 v141, v155, v192
	v_add_f32_e32 v2, v2, v3
	v_add_f32_e32 v1, v1, v186
	v_mul_f32_e32 v3, v155, v157
	v_fma_f32 v4, v152, v169, -v4
	v_add_f32_e32 v2, v2, v5
	v_add_f32_e32 v1, v1, v167
	v_fma_f32 v3, v154, v192, -v3
	v_add_f32_e32 v2, v2, v4
	v_add_f32_e32 v1, v1, v173
	;; [unrolled: 1-line block ×4, first 2 shown]
	s_waitcnt vmcnt(0)
	v_sub_f32_e32 v2, v193, v2
	v_sub_f32_e32 v1, v194, v1
	buffer_store_dword v2, off, s[0:3], 0 offset:192
	buffer_store_dword v1, off, s[0:3], 0 offset:196
	v_cmpx_lt_u32_e32 23, v0
	s_cbranch_execz .LBB60_333
; %bb.332:
	s_clause 0x1
	buffer_load_dword v1, off, s[0:3], 0 offset:184
	buffer_load_dword v2, off, s[0:3], 0 offset:188
	v_mov_b32_e32 v3, 0
	buffer_store_dword v3, off, s[0:3], 0 offset:184
	buffer_store_dword v3, off, s[0:3], 0 offset:188
	s_waitcnt vmcnt(0)
	ds_write_b64 v135, v[1:2]
.LBB60_333:
	s_or_b32 exec_lo, exec_lo, s4
	s_waitcnt lgkmcnt(0)
	s_waitcnt_vscnt null, 0x0
	s_barrier
	buffer_gl0_inv
	s_clause 0x25
	buffer_load_dword v2, off, s[0:3], 0 offset:196
	buffer_load_dword v3, off, s[0:3], 0 offset:204
	;; [unrolled: 1-line block ×38, first 2 shown]
	v_mov_b32_e32 v1, 0
	ds_read_b128 v[4:7], v1 offset:688
	ds_read_b128 v[8:11], v1 offset:704
	s_clause 0x10
	buffer_load_dword v179, off, s[0:3], 0 offset:348
	buffer_load_dword v180, off, s[0:3], 0 offset:356
	;; [unrolled: 1-line block ×17, first 2 shown]
	ds_read_b128 v[136:139], v1 offset:720
	ds_read_b128 v[140:143], v1 offset:736
	s_mov_b32 s4, exec_lo
	s_waitcnt vmcnt(54) lgkmcnt(3)
	v_mul_f32_e32 v196, v5, v2
	v_mul_f32_e32 v197, v4, v2
	s_waitcnt vmcnt(53)
	v_mul_f32_e32 v198, v6, v3
	v_mul_f32_e32 v2, v7, v3
	s_waitcnt vmcnt(52) lgkmcnt(2)
	v_mul_f32_e32 v199, v8, v12
	v_mul_f32_e32 v3, v9, v12
	s_waitcnt vmcnt(49)
	v_fma_f32 v12, v4, v146, -v196
	s_waitcnt vmcnt(48)
	v_mul_f32_e32 v4, v11, v147
	v_fmac_f32_e32 v197, v5, v146
	v_mul_f32_e32 v146, v10, v147
	v_fmac_f32_e32 v198, v7, v145
	v_fma_f32 v145, v6, v145, -v2
	v_fmac_f32_e32 v199, v9, v144
	v_fma_f32 v144, v8, v144, -v3
	s_waitcnt vmcnt(44)
	v_fma_f32 v10, v10, v151, -v4
	ds_read_b128 v[2:5], v1 offset:752
	ds_read_b128 v[6:9], v1 offset:768
	v_fmac_f32_e32 v146, v11, v151
	s_waitcnt vmcnt(43) lgkmcnt(3)
	v_mul_f32_e32 v11, v136, v152
	v_mul_f32_e32 v147, v137, v152
	s_waitcnt vmcnt(42)
	v_mul_f32_e32 v151, v138, v153
	v_mul_f32_e32 v152, v139, v153
	s_waitcnt vmcnt(41) lgkmcnt(2)
	v_mul_f32_e32 v153, v140, v154
	v_mul_f32_e32 v154, v141, v154
	v_fmac_f32_e32 v11, v137, v150
	v_fma_f32 v136, v136, v150, -v147
	s_waitcnt vmcnt(40)
	v_mul_f32_e32 v137, v142, v155
	v_mul_f32_e32 v147, v143, v155
	v_fmac_f32_e32 v151, v139, v149
	v_fma_f32 v138, v138, v149, -v152
	v_fmac_f32_e32 v153, v141, v148
	v_fma_f32 v139, v140, v148, -v154
	s_waitcnt vmcnt(36)
	v_fmac_f32_e32 v137, v143, v159
	v_fma_f32 v140, v142, v159, -v147
	s_clause 0x3
	buffer_load_dword v196, off, s[0:3], 0 offset:412
	buffer_load_dword v200, off, s[0:3], 0 offset:420
	;; [unrolled: 1-line block ×4, first 2 shown]
	s_waitcnt vmcnt(39) lgkmcnt(1)
	v_mul_f32_e32 v141, v2, v160
	v_mul_f32_e32 v142, v3, v160
	s_waitcnt vmcnt(38)
	v_mul_f32_e32 v143, v4, v161
	v_mul_f32_e32 v147, v5, v161
	s_waitcnt vmcnt(37) lgkmcnt(0)
	v_mul_f32_e32 v149, v7, v162
	s_clause 0x3
	buffer_load_dword v159, off, s[0:3], 0 offset:444
	buffer_load_dword v203, off, s[0:3], 0 offset:452
	;; [unrolled: 1-line block ×4, first 2 shown]
	v_fmac_f32_e32 v141, v3, v158
	v_fma_f32 v142, v2, v158, -v142
	v_mul_f32_e32 v148, v6, v162
	v_fmac_f32_e32 v143, v5, v157
	v_fma_f32 v147, v4, v157, -v147
	ds_read_b128 v[2:5], v1 offset:784
	v_fma_f32 v149, v6, v156, -v149
	s_waitcnt vmcnt(40)
	v_mul_f32_e32 v6, v9, v163
	s_clause 0x1
	buffer_load_dword v160, off, s[0:3], 0 offset:476
	buffer_load_dword v157, off, s[0:3], 0 offset:484
	v_fmac_f32_e32 v148, v7, v156
	v_mul_f32_e32 v150, v8, v163
	s_waitcnt vmcnt(38)
	v_fma_f32 v152, v8, v167, -v6
	v_add_f32_e32 v6, 0, v12
	s_clause 0x3
	buffer_load_dword v12, off, s[0:3], 0 offset:432
	buffer_load_dword v156, off, s[0:3], 0 offset:424
	;; [unrolled: 1-line block ×4, first 2 shown]
	v_add_f32_e32 v7, 0, v197
	v_fmac_f32_e32 v150, v9, v167
	v_add_f32_e32 v6, v6, v145
	v_add_f32_e32 v145, v7, v198
	;; [unrolled: 1-line block ×3, first 2 shown]
	ds_read_b128 v[6:9], v1 offset:800
	s_waitcnt vmcnt(41) lgkmcnt(1)
	v_mul_f32_e32 v154, v2, v168
	v_mul_f32_e32 v155, v3, v168
	v_add_f32_e32 v145, v145, v199
	v_add_f32_e32 v10, v144, v10
	v_fmac_f32_e32 v154, v3, v166
	v_fma_f32 v144, v2, v166, -v155
	s_clause 0x6
	buffer_load_dword v162, off, s[0:3], 0 offset:464
	buffer_load_dword v163, off, s[0:3], 0 offset:456
	;; [unrolled: 1-line block ×7, first 2 shown]
	v_add_f32_e32 v2, v145, v146
	v_add_f32_e32 v3, v10, v136
	s_waitcnt vmcnt(47)
	v_mul_f32_e32 v10, v4, v169
	v_add_f32_e32 v2, v2, v11
	v_add_f32_e32 v3, v3, v138
	v_mul_f32_e32 v11, v5, v169
	v_fmac_f32_e32 v10, v5, v165
	s_waitcnt vmcnt(45) lgkmcnt(0)
	v_mul_f32_e32 v155, v8, v171
	v_add_f32_e32 v2, v2, v151
	v_add_f32_e32 v3, v3, v139
	v_fma_f32 v11, v4, v165, -v11
	s_waitcnt vmcnt(41)
	v_fmac_f32_e32 v155, v9, v175
	v_add_f32_e32 v136, v2, v153
	v_add_f32_e32 v140, v3, v140
	ds_read_b128 v[2:5], v1 offset:816
	v_mul_f32_e32 v153, v6, v170
	v_add_f32_e32 v145, v136, v137
	v_add_f32_e32 v140, v140, v142
	v_mul_f32_e32 v142, v7, v170
	ds_read_b128 v[136:139], v1 offset:832
	v_fmac_f32_e32 v153, v7, v164
	v_add_f32_e32 v141, v145, v141
	v_mul_f32_e32 v145, v9, v171
	v_add_f32_e32 v146, v140, v147
	v_fma_f32 v164, v6, v164, -v142
	v_fma_f32 v165, v8, v175, -v145
	v_add_f32_e32 v145, v141, v143
	v_add_f32_e32 v146, v146, v149
	ds_read_b128 v[6:9], v1 offset:848
	ds_read_b128 v[140:143], v1 offset:864
	v_add_f32_e32 v145, v145, v148
	s_waitcnt vmcnt(39) lgkmcnt(3)
	v_mul_f32_e32 v170, v4, v177
	v_mul_f32_e32 v148, v5, v177
	v_add_f32_e32 v146, v146, v152
	v_mul_f32_e32 v147, v3, v176
	v_add_f32_e32 v145, v145, v150
	v_fmac_f32_e32 v170, v5, v173
	v_fma_f32 v173, v4, v173, -v148
	v_add_f32_e32 v148, v146, v144
	v_mul_f32_e32 v169, v2, v176
	v_add_f32_e32 v150, v145, v154
	v_fma_f32 v152, v2, v174, -v147
	s_waitcnt vmcnt(38) lgkmcnt(2)
	v_mul_f32_e32 v171, v136, v178
	v_add_f32_e32 v11, v148, v11
	v_fmac_f32_e32 v169, v3, v174
	v_add_f32_e32 v10, v150, v10
	v_mul_f32_e32 v149, v137, v178
	s_waitcnt vmcnt(37)
	v_mul_f32_e32 v151, v139, v179
	v_add_f32_e32 v11, v11, v164
	s_waitcnt vmcnt(36) lgkmcnt(1)
	v_mul_f32_e32 v164, v6, v180
	v_add_f32_e32 v10, v10, v153
	v_mul_f32_e32 v153, v7, v180
	v_fmac_f32_e32 v171, v137, v172
	v_fma_f32 v172, v136, v172, -v149
	s_waitcnt vmcnt(31)
	v_fmac_f32_e32 v164, v7, v185
	v_add_f32_e32 v7, v11, v165
	v_add_f32_e32 v10, v10, v155
	v_mul_f32_e32 v175, v138, v179
	s_waitcnt vmcnt(30)
	v_fma_f32 v174, v138, v186, -v151
	ds_read_b128 v[2:5], v1 offset:880
	ds_read_b128 v[144:147], v1 offset:896
	v_add_f32_e32 v178, v7, v152
	v_add_f32_e32 v169, v10, v169
	v_fmac_f32_e32 v175, v139, v186
	v_mul_f32_e32 v154, v9, v181
	v_fma_f32 v165, v6, v185, -v153
	v_add_f32_e32 v173, v178, v173
	v_add_f32_e32 v169, v169, v170
	v_mul_f32_e32 v176, v8, v181
	v_fma_f32 v177, v8, v184, -v154
	s_waitcnt lgkmcnt(2)
	v_mul_f32_e32 v179, v141, v182
	v_add_f32_e32 v172, v173, v172
	v_add_f32_e32 v169, v169, v171
	v_fmac_f32_e32 v176, v9, v184
	v_mul_f32_e32 v178, v140, v182
	s_waitcnt vmcnt(29)
	v_mul_f32_e32 v180, v143, v187
	v_add_f32_e32 v172, v172, v174
	v_add_f32_e32 v169, v169, v175
	v_fma_f32 v140, v140, v183, -v179
	v_mul_f32_e32 v170, v142, v187
	v_fmac_f32_e32 v178, v141, v183
	v_add_f32_e32 v165, v172, v165
	v_add_f32_e32 v164, v169, v164
	s_waitcnt vmcnt(28) lgkmcnt(1)
	v_mul_f32_e32 v173, v2, v188
	v_mul_f32_e32 v179, v3, v188
	s_waitcnt vmcnt(22)
	v_fma_f32 v142, v142, v194, -v180
	v_add_f32_e32 v165, v165, v177
	v_add_f32_e32 v164, v164, v176
	ds_read_b128 v[136:139], v1 offset:912
	ds_read_b128 v[148:151], v1 offset:928
	v_fmac_f32_e32 v170, v143, v194
	v_mul_f32_e32 v176, v5, v189
	v_add_f32_e32 v140, v165, v140
	v_add_f32_e32 v164, v164, v178
	v_fmac_f32_e32 v173, v3, v193
	v_fma_f32 v2, v2, v193, -v179
	v_mul_f32_e32 v171, v4, v189
	v_add_f32_e32 v3, v140, v142
	v_add_f32_e32 v140, v164, v170
	s_waitcnt lgkmcnt(2)
	v_mul_f32_e32 v142, v145, v190
	v_fma_f32 v4, v4, v192, -v176
	v_mul_f32_e32 v141, v144, v190
	v_add_f32_e32 v2, v3, v2
	v_fmac_f32_e32 v171, v5, v192
	v_add_f32_e32 v3, v140, v173
	v_fma_f32 v140, v144, v191, -v142
	v_fmac_f32_e32 v141, v145, v191
	v_add_f32_e32 v2, v2, v4
	ds_read_b128 v[6:9], v1 offset:944
	ds_read_b128 v[152:155], v1 offset:960
	ds_read_b64 v[10:11], v1 offset:976
	v_add_f32_e32 v3, v3, v171
	v_add_f32_e32 v2, v2, v140
	;; [unrolled: 1-line block ×3, first 2 shown]
	s_waitcnt vmcnt(20)
	v_mul_f32_e32 v5, v147, v196
	v_mul_f32_e32 v174, v146, v196
	s_waitcnt vmcnt(19) lgkmcnt(4)
	v_mul_f32_e32 v4, v137, v200
	v_mul_f32_e32 v175, v136, v200
	s_waitcnt vmcnt(18)
	v_mul_f32_e32 v140, v139, v201
	v_mul_f32_e32 v143, v138, v201
	s_waitcnt vmcnt(17) lgkmcnt(3)
	v_mul_f32_e32 v180, v148, v202
	s_waitcnt vmcnt(16)
	v_mul_f32_e32 v169, v150, v159
	s_waitcnt vmcnt(15) lgkmcnt(2)
	v_mul_f32_e32 v172, v6, v203
	s_waitcnt vmcnt(14)
	;; [unrolled: 4-line block ×4, first 2 shown]
	v_fmac_f32_e32 v180, v149, v12
	s_waitcnt vmcnt(9)
	v_fmac_f32_e32 v143, v139, v156
	s_waitcnt vmcnt(8)
	v_fma_f32 v4, v136, v158, -v4
	s_waitcnt vmcnt(7)
	v_fma_f32 v5, v146, v161, -v5
	v_fmac_f32_e32 v174, v147, v161
	v_fmac_f32_e32 v175, v137, v158
	v_fma_f32 v136, v138, v156, -v140
	v_add_f32_e32 v2, v2, v5
	v_add_f32_e32 v3, v3, v174
	v_mul_f32_e32 v5, v149, v202
	v_add_f32_e32 v2, v2, v4
	v_add_f32_e32 v3, v3, v175
	v_mul_f32_e32 v4, v151, v159
	v_fma_f32 v5, v148, v12, -v5
	v_mul_f32_e32 v12, v7, v203
	v_add_f32_e32 v2, v2, v136
	v_add_f32_e32 v3, v3, v143
	s_waitcnt vmcnt(4)
	v_fmac_f32_e32 v172, v7, v166
	s_waitcnt vmcnt(3)
	v_fma_f32 v4, v150, v167, -v4
	v_fmac_f32_e32 v169, v151, v167
	v_add_f32_e32 v2, v2, v5
	v_add_f32_e32 v3, v3, v180
	v_mul_f32_e32 v5, v9, v204
	v_fma_f32 v6, v6, v166, -v12
	v_fmac_f32_e32 v181, v9, v163
	v_add_f32_e32 v2, v2, v4
	v_add_f32_e32 v3, v3, v169
	v_mul_f32_e32 v4, v153, v205
	;; [unrolled: 5-line block ×3, first 2 shown]
	v_fma_f32 v4, v152, v162, -v4
	s_waitcnt vmcnt(1)
	v_fmac_f32_e32 v182, v155, v197
	v_add_f32_e32 v2, v2, v5
	v_add_f32_e32 v3, v3, v181
	v_mul_f32_e32 v5, v11, v157
	v_fma_f32 v6, v154, v197, -v6
	v_fmac_f32_e32 v165, v11, v168
	v_add_f32_e32 v2, v2, v4
	v_add_f32_e32 v3, v3, v177
	v_fma_f32 v4, v10, v168, -v5
	v_add_f32_e32 v2, v2, v6
	v_add_f32_e32 v3, v3, v182
	v_add_f32_e32 v2, v2, v4
	v_add_f32_e32 v3, v3, v165
	s_waitcnt vmcnt(0)
	v_sub_f32_e32 v2, v198, v2
	v_sub_f32_e32 v3, v195, v3
	buffer_store_dword v2, off, s[0:3], 0 offset:184
	buffer_store_dword v3, off, s[0:3], 0 offset:188
	v_cmpx_lt_u32_e32 22, v0
	s_cbranch_execz .LBB60_335
; %bb.334:
	s_clause 0x1
	buffer_load_dword v2, off, s[0:3], 0 offset:176
	buffer_load_dword v3, off, s[0:3], 0 offset:180
	buffer_store_dword v1, off, s[0:3], 0 offset:176
	buffer_store_dword v1, off, s[0:3], 0 offset:180
	s_waitcnt vmcnt(0)
	ds_write_b64 v135, v[2:3]
.LBB60_335:
	s_or_b32 exec_lo, exec_lo, s4
	s_waitcnt lgkmcnt(0)
	s_waitcnt_vscnt null, 0x0
	s_barrier
	buffer_gl0_inv
	s_clause 0x1e
	buffer_load_dword v2, off, s[0:3], 0 offset:188
	buffer_load_dword v3, off, s[0:3], 0 offset:196
	;; [unrolled: 1-line block ×31, first 2 shown]
	ds_read2_b64 v[4:7], v1 offset0:85 offset1:86
	s_clause 0x3
	buffer_load_dword v180, off, s[0:3], 0 offset:328
	buffer_load_dword v181, off, s[0:3], 0 offset:320
	;; [unrolled: 1-line block ×4, first 2 shown]
	ds_read2_b64 v[8:11], v1 offset0:87 offset1:88
	s_clause 0xa
	buffer_load_dword v184, off, s[0:3], 0 offset:316
	buffer_load_dword v185, off, s[0:3], 0 offset:324
	;; [unrolled: 1-line block ×11, first 2 shown]
	ds_read2_b64 v[136:139], v1 offset0:89 offset1:90
	ds_read2_b64 v[140:143], v1 offset0:91 offset1:92
	;; [unrolled: 1-line block ×4, first 2 shown]
	buffer_load_dword v195, off, s[0:3], 0 offset:180
	s_mov_b32 s4, exec_lo
	s_waitcnt vmcnt(46) lgkmcnt(5)
	v_mul_f32_e32 v196, v5, v2
	v_mul_f32_e32 v197, v4, v2
	s_waitcnt vmcnt(45)
	v_mul_f32_e32 v198, v6, v3
	v_mul_f32_e32 v2, v7, v3
	s_waitcnt vmcnt(44) lgkmcnt(4)
	v_mul_f32_e32 v199, v8, v12
	v_mul_f32_e32 v3, v9, v12
	s_waitcnt vmcnt(41)
	v_fma_f32 v12, v4, v154, -v196
	v_fmac_f32_e32 v197, v5, v154
	s_waitcnt vmcnt(40)
	v_mul_f32_e32 v154, v10, v155
	v_mul_f32_e32 v4, v11, v155
	v_fmac_f32_e32 v198, v7, v153
	s_waitcnt vmcnt(35) lgkmcnt(3)
	v_mul_f32_e32 v155, v137, v160
	v_fma_f32 v153, v6, v153, -v2
	v_fmac_f32_e32 v154, v11, v159
	v_mul_f32_e32 v11, v136, v160
	v_fma_f32 v10, v10, v159, -v4
	s_waitcnt vmcnt(34)
	v_mul_f32_e32 v159, v138, v161
	v_mul_f32_e32 v160, v139, v161
	s_waitcnt vmcnt(33) lgkmcnt(2)
	v_mul_f32_e32 v161, v140, v162
	v_mul_f32_e32 v162, v141, v162
	v_fmac_f32_e32 v11, v137, v158
	v_fma_f32 v136, v136, v158, -v155
	s_waitcnt vmcnt(32)
	v_mul_f32_e32 v137, v142, v163
	v_mul_f32_e32 v155, v143, v163
	v_fmac_f32_e32 v199, v9, v152
	v_fma_f32 v152, v8, v152, -v3
	ds_read2_b64 v[2:5], v1 offset0:97 offset1:98
	ds_read2_b64 v[6:9], v1 offset0:99 offset1:100
	v_fmac_f32_e32 v159, v139, v157
	v_fma_f32 v138, v138, v157, -v160
	v_fmac_f32_e32 v161, v141, v156
	v_fma_f32 v139, v140, v156, -v162
	s_waitcnt vmcnt(28)
	v_fmac_f32_e32 v137, v143, v167
	v_fma_f32 v140, v142, v167, -v155
	s_clause 0x7
	buffer_load_dword v155, off, s[0:3], 0 offset:372
	buffer_load_dword v156, off, s[0:3], 0 offset:380
	;; [unrolled: 1-line block ×8, first 2 shown]
	s_waitcnt vmcnt(35) lgkmcnt(3)
	v_mul_f32_e32 v141, v144, v168
	v_mul_f32_e32 v142, v145, v168
	s_waitcnt vmcnt(34)
	v_mul_f32_e32 v143, v146, v169
	v_mul_f32_e32 v168, v147, v169
	s_waitcnt vmcnt(33) lgkmcnt(2)
	v_mul_f32_e32 v169, v148, v170
	v_mul_f32_e32 v170, v149, v170
	v_fmac_f32_e32 v141, v145, v166
	v_fma_f32 v142, v144, v166, -v142
	s_waitcnt vmcnt(32)
	v_mul_f32_e32 v144, v150, v171
	v_mul_f32_e32 v145, v151, v171
	v_fmac_f32_e32 v143, v147, v165
	v_fmac_f32_e32 v169, v149, v164
	v_fma_f32 v147, v148, v164, -v170
	s_waitcnt vmcnt(28)
	v_fmac_f32_e32 v144, v151, v175
	v_fma_f32 v145, v150, v175, -v145
	s_waitcnt vmcnt(27) lgkmcnt(1)
	v_mul_f32_e32 v148, v2, v176
	v_mul_f32_e32 v149, v3, v176
	s_waitcnt vmcnt(26)
	v_mul_f32_e32 v150, v4, v177
	v_mul_f32_e32 v151, v5, v177
	v_fma_f32 v146, v146, v165, -v168
	s_clause 0x8
	buffer_load_dword v165, off, s[0:3], 0 offset:404
	buffer_load_dword v166, off, s[0:3], 0 offset:412
	;; [unrolled: 1-line block ×9, first 2 shown]
	v_fmac_f32_e32 v148, v3, v174
	v_fma_f32 v149, v2, v174, -v149
	buffer_load_dword v174, off, s[0:3], 0 offset:476
	v_fmac_f32_e32 v150, v5, v173
	v_fma_f32 v151, v4, v173, -v151
	s_clause 0x4
	buffer_load_dword v173, off, s[0:3], 0 offset:484
	buffer_load_dword v177, off, s[0:3], 0 offset:424
	;; [unrolled: 1-line block ×5, first 2 shown]
	v_add_f32_e32 v3, 0, v197
	v_add_f32_e32 v2, 0, v12
	s_waitcnt vmcnt(40) lgkmcnt(0)
	v_mul_f32_e32 v4, v7, v178
	v_add_f32_e32 v3, v3, v198
	v_add_f32_e32 v2, v2, v153
	v_fma_f32 v153, v6, v172, -v4
	v_add_f32_e32 v3, v3, v199
	s_clause 0x3
	buffer_load_dword v12, off, s[0:3], 0 offset:456
	buffer_load_dword v197, off, s[0:3], 0 offset:448
	buffer_load_dword v198, off, s[0:3], 0 offset:440
	buffer_load_dword v199, off, s[0:3], 0 offset:432
	v_add_f32_e32 v2, v2, v152
	v_mul_f32_e32 v152, v6, v178
	v_add_f32_e32 v3, v3, v154
	s_waitcnt vmcnt(43)
	v_mul_f32_e32 v154, v8, v179
	v_add_f32_e32 v2, v2, v10
	s_clause 0x2
	buffer_load_dword v10, off, s[0:3], 0 offset:480
	buffer_load_dword v203, off, s[0:3], 0 offset:472
	;; [unrolled: 1-line block ×3, first 2 shown]
	v_fmac_f32_e32 v152, v7, v172
	v_add_f32_e32 v3, v3, v11
	buffer_load_dword v11, off, s[0:3], 0 offset:176
	v_add_f32_e32 v2, v2, v136
	s_waitcnt vmcnt(43)
	v_fmac_f32_e32 v154, v9, v183
	v_add_f32_e32 v3, v3, v159
	v_add_f32_e32 v2, v2, v138
	;; [unrolled: 1-line block ×4, first 2 shown]
	ds_read2_b64 v[2:5], v1 offset0:101 offset1:102
	v_add_f32_e32 v137, v7, v137
	v_add_f32_e32 v136, v6, v140
	v_mul_f32_e32 v6, v9, v179
	v_add_f32_e32 v141, v137, v141
	v_add_f32_e32 v140, v136, v142
	v_fma_f32 v159, v8, v183, -v6
	ds_read2_b64 v[6:9], v1 offset0:103 offset1:104
	ds_read2_b64 v[136:139], v1 offset0:105 offset1:106
	v_add_f32_e32 v141, v141, v143
	v_add_f32_e32 v140, v140, v146
	;; [unrolled: 1-line block ×3, first 2 shown]
	s_waitcnt vmcnt(42) lgkmcnt(2)
	v_mul_f32_e32 v142, v3, v184
	v_mul_f32_e32 v161, v2, v184
	v_fma_f32 v172, v2, v182, -v142
	v_add_f32_e32 v2, v141, v169
	v_fmac_f32_e32 v161, v3, v182
	v_add_f32_e32 v3, v146, v145
	ds_read2_b64 v[140:143], v1 offset0:107 offset1:108
	s_waitcnt vmcnt(41)
	v_mul_f32_e32 v169, v4, v185
	v_add_f32_e32 v2, v2, v144
	s_waitcnt vmcnt(40) lgkmcnt(2)
	v_mul_f32_e32 v178, v6, v186
	v_mul_f32_e32 v144, v7, v186
	v_add_f32_e32 v3, v3, v149
	s_waitcnt vmcnt(38) lgkmcnt(1)
	v_mul_f32_e32 v182, v136, v188
	v_add_f32_e32 v2, v2, v148
	v_fmac_f32_e32 v178, v7, v180
	v_fma_f32 v180, v6, v180, -v144
	v_add_f32_e32 v6, v3, v151
	v_mul_f32_e32 v148, v137, v188
	v_add_f32_e32 v7, v2, v150
	s_waitcnt vmcnt(33)
	v_fmac_f32_e32 v182, v137, v193
	v_mul_f32_e32 v145, v5, v185
	v_add_f32_e32 v137, v6, v153
	v_fma_f32 v184, v136, v193, -v148
	v_add_f32_e32 v136, v7, v152
	v_fmac_f32_e32 v169, v5, v181
	v_fma_f32 v181, v4, v181, -v145
	v_add_f32_e32 v137, v137, v159
	s_waitcnt lgkmcnt(0)
	v_mul_f32_e32 v153, v141, v190
	v_add_f32_e32 v136, v136, v154
	v_mul_f32_e32 v185, v140, v190
	v_mul_f32_e32 v149, v9, v187
	v_add_f32_e32 v137, v137, v172
	v_fma_f32 v188, v140, v191, -v153
	v_add_f32_e32 v140, v136, v161
	v_mul_f32_e32 v179, v8, v187
	s_waitcnt vmcnt(32)
	v_fma_f32 v183, v8, v194, -v149
	v_add_f32_e32 v161, v137, v181
	ds_read2_b64 v[2:5], v1 offset0:109 offset1:110
	ds_read2_b64 v[144:147], v1 offset0:111 offset1:112
	v_add_f32_e32 v169, v140, v169
	v_fmac_f32_e32 v179, v9, v194
	v_mul_f32_e32 v152, v139, v189
	v_add_f32_e32 v161, v161, v180
	v_mul_f32_e32 v159, v138, v189
	v_add_f32_e32 v169, v169, v178
	v_fmac_f32_e32 v185, v141, v191
	v_fma_f32 v187, v138, v192, -v152
	v_add_f32_e32 v161, v161, v183
	v_fmac_f32_e32 v159, v139, v192
	v_add_f32_e32 v169, v169, v179
	ds_read2_b64 v[6:9], v1 offset0:113 offset1:114
	ds_read2_b64 v[148:151], v1 offset0:115 offset1:116
	v_add_f32_e32 v161, v161, v184
	v_add_f32_e32 v169, v169, v182
	;; [unrolled: 1-line block ×6, first 2 shown]
	s_waitcnt vmcnt(30)
	v_mul_f32_e32 v172, v142, v155
	v_mul_f32_e32 v186, v143, v155
	ds_read2_b64 v[136:139], v1 offset0:117 offset1:118
	ds_read2_b64 v[152:155], v1 offset0:119 offset1:120
	s_waitcnt vmcnt(28) lgkmcnt(5)
	v_mul_f32_e32 v178, v4, v157
	v_mul_f32_e32 v157, v5, v157
	s_waitcnt vmcnt(27) lgkmcnt(4)
	v_mul_f32_e32 v180, v144, v158
	v_mul_f32_e32 v158, v145, v158
	s_waitcnt vmcnt(23)
	v_fmac_f32_e32 v172, v143, v167
	v_fma_f32 v167, v142, v167, -v186
	ds_read2_b64 v[140:143], v1 offset0:121 offset1:122
	v_mul_f32_e32 v1, v2, v156
	v_mul_f32_e32 v156, v3, v156
	v_add_f32_e32 v159, v159, v172
	v_fma_f32 v4, v4, v162, -v157
	v_fmac_f32_e32 v178, v5, v162
	v_fmac_f32_e32 v1, v3, v163
	v_fma_f32 v2, v2, v163, -v156
	v_add_f32_e32 v156, v161, v167
	v_fma_f32 v144, v144, v160, -v158
	v_fmac_f32_e32 v180, v145, v160
	v_add_f32_e32 v1, v159, v1
	v_add_f32_e32 v2, v156, v2
	s_waitcnt vmcnt(22)
	v_mul_f32_e32 v5, v147, v165
	v_mul_f32_e32 v179, v146, v165
	v_add_f32_e32 v2, v2, v4
	v_add_f32_e32 v1, v1, v178
	s_waitcnt vmcnt(21) lgkmcnt(4)
	v_mul_f32_e32 v4, v7, v166
	v_mul_f32_e32 v181, v6, v166
	s_waitcnt vmcnt(20)
	v_mul_f32_e32 v183, v8, v168
	v_add_f32_e32 v2, v2, v144
	v_add_f32_e32 v1, v1, v180
	v_mul_f32_e32 v144, v9, v168
	s_waitcnt vmcnt(9)
	v_fma_f32 v4, v6, v201, -v4
	s_waitcnt vmcnt(8)
	v_fma_f32 v5, v146, v202, -v5
	v_fmac_f32_e32 v179, v147, v202
	v_fmac_f32_e32 v181, v7, v201
	v_fma_f32 v6, v8, v200, -v144
	s_waitcnt lgkmcnt(3)
	v_mul_f32_e32 v182, v148, v171
	v_add_f32_e32 v2, v2, v5
	v_add_f32_e32 v1, v1, v179
	v_mul_f32_e32 v5, v149, v171
	v_fmac_f32_e32 v183, v9, v200
	v_mul_f32_e32 v184, v150, v164
	v_add_f32_e32 v2, v2, v4
	v_add_f32_e32 v1, v1, v181
	v_mul_f32_e32 v4, v151, v164
	v_fma_f32 v5, v148, v177, -v5
	v_fmac_f32_e32 v182, v149, v177
	v_add_f32_e32 v2, v2, v6
	v_add_f32_e32 v1, v1, v183
	s_waitcnt lgkmcnt(2)
	v_mul_f32_e32 v6, v137, v170
	s_waitcnt vmcnt(4)
	v_fma_f32 v4, v150, v199, -v4
	v_mul_f32_e32 v186, v136, v170
	v_add_f32_e32 v2, v2, v5
	v_fmac_f32_e32 v184, v151, v199
	v_add_f32_e32 v1, v1, v182
	v_mul_f32_e32 v5, v139, v175
	v_fma_f32 v6, v136, v198, -v6
	v_add_f32_e32 v2, v2, v4
	v_mul_f32_e32 v169, v138, v175
	v_fmac_f32_e32 v186, v137, v198
	v_add_f32_e32 v1, v1, v184
	s_waitcnt lgkmcnt(1)
	v_mul_f32_e32 v4, v153, v196
	v_fma_f32 v5, v138, v197, -v5
	v_add_f32_e32 v2, v2, v6
	v_mul_f32_e32 v187, v152, v196
	v_fmac_f32_e32 v169, v139, v197
	v_add_f32_e32 v1, v1, v186
	v_mul_f32_e32 v6, v155, v176
	v_fma_f32 v4, v152, v12, -v4
	v_add_f32_e32 v2, v2, v5
	v_mul_f32_e32 v188, v154, v176
	v_fmac_f32_e32 v187, v153, v12
	v_add_f32_e32 v1, v1, v169
	s_waitcnt lgkmcnt(0)
	v_mul_f32_e32 v5, v141, v174
	s_waitcnt vmcnt(1)
	v_fma_f32 v6, v154, v204, -v6
	v_add_f32_e32 v2, v2, v4
	v_mul_f32_e32 v185, v140, v174
	v_fmac_f32_e32 v188, v155, v204
	v_add_f32_e32 v1, v1, v187
	v_mul_f32_e32 v4, v143, v173
	v_fma_f32 v5, v140, v203, -v5
	v_add_f32_e32 v2, v2, v6
	v_mul_f32_e32 v3, v142, v173
	v_fmac_f32_e32 v185, v141, v203
	v_add_f32_e32 v1, v1, v188
	v_fma_f32 v4, v142, v10, -v4
	v_add_f32_e32 v2, v2, v5
	v_fmac_f32_e32 v3, v143, v10
	v_add_f32_e32 v1, v1, v185
	v_add_f32_e32 v2, v2, v4
	;; [unrolled: 1-line block ×3, first 2 shown]
	s_waitcnt vmcnt(0)
	v_sub_f32_e32 v2, v11, v2
	v_sub_f32_e32 v1, v195, v1
	buffer_store_dword v2, off, s[0:3], 0 offset:176
	buffer_store_dword v1, off, s[0:3], 0 offset:180
	v_cmpx_lt_u32_e32 21, v0
	s_cbranch_execz .LBB60_337
; %bb.336:
	s_clause 0x1
	buffer_load_dword v1, off, s[0:3], 0 offset:168
	buffer_load_dword v2, off, s[0:3], 0 offset:172
	v_mov_b32_e32 v3, 0
	buffer_store_dword v3, off, s[0:3], 0 offset:168
	buffer_store_dword v3, off, s[0:3], 0 offset:172
	s_waitcnt vmcnt(0)
	ds_write_b64 v135, v[1:2]
.LBB60_337:
	s_or_b32 exec_lo, exec_lo, s4
	s_waitcnt lgkmcnt(0)
	s_waitcnt_vscnt null, 0x0
	s_barrier
	buffer_gl0_inv
	s_clause 0x25
	buffer_load_dword v2, off, s[0:3], 0 offset:180
	buffer_load_dword v3, off, s[0:3], 0 offset:188
	;; [unrolled: 1-line block ×38, first 2 shown]
	v_mov_b32_e32 v1, 0
	ds_read_b128 v[4:7], v1 offset:672
	ds_read_b128 v[8:11], v1 offset:688
	s_clause 0x10
	buffer_load_dword v179, off, s[0:3], 0 offset:332
	buffer_load_dword v180, off, s[0:3], 0 offset:340
	;; [unrolled: 1-line block ×17, first 2 shown]
	ds_read_b128 v[136:139], v1 offset:704
	ds_read_b128 v[140:143], v1 offset:720
	s_mov_b32 s4, exec_lo
	s_waitcnt vmcnt(54) lgkmcnt(3)
	v_mul_f32_e32 v196, v5, v2
	v_mul_f32_e32 v197, v4, v2
	s_waitcnt vmcnt(53)
	v_mul_f32_e32 v198, v6, v3
	v_mul_f32_e32 v2, v7, v3
	s_waitcnt vmcnt(52) lgkmcnt(2)
	v_mul_f32_e32 v199, v8, v12
	v_mul_f32_e32 v3, v9, v12
	s_waitcnt vmcnt(49)
	v_fma_f32 v12, v4, v146, -v196
	v_fmac_f32_e32 v197, v5, v146
	s_waitcnt vmcnt(48)
	v_mul_f32_e32 v146, v10, v147
	v_mul_f32_e32 v4, v11, v147
	v_fmac_f32_e32 v198, v7, v145
	s_waitcnt vmcnt(43) lgkmcnt(1)
	v_mul_f32_e32 v147, v137, v152
	v_fma_f32 v145, v6, v145, -v2
	v_fmac_f32_e32 v199, v9, v144
	v_fma_f32 v144, v8, v144, -v3
	v_fmac_f32_e32 v146, v11, v151
	v_fma_f32 v10, v10, v151, -v4
	ds_read_b128 v[2:5], v1 offset:736
	ds_read_b128 v[6:9], v1 offset:752
	v_mul_f32_e32 v11, v136, v152
	s_waitcnt vmcnt(42)
	v_mul_f32_e32 v151, v138, v153
	v_mul_f32_e32 v152, v139, v153
	s_waitcnt vmcnt(41) lgkmcnt(2)
	v_mul_f32_e32 v153, v140, v154
	v_fma_f32 v147, v136, v150, -v147
	s_waitcnt vmcnt(40)
	v_mul_f32_e32 v136, v143, v155
	v_mul_f32_e32 v154, v141, v154
	v_fmac_f32_e32 v11, v137, v150
	v_fmac_f32_e32 v151, v139, v149
	v_fma_f32 v149, v138, v149, -v152
	s_clause 0x3
	buffer_load_dword v196, off, s[0:3], 0 offset:396
	buffer_load_dword v200, off, s[0:3], 0 offset:404
	;; [unrolled: 1-line block ×4, first 2 shown]
	v_fmac_f32_e32 v153, v141, v148
	s_waitcnt vmcnt(40)
	v_fma_f32 v141, v142, v159, -v136
	ds_read_b128 v[136:139], v1 offset:768
	v_mul_f32_e32 v150, v142, v155
	v_fma_f32 v140, v140, v148, -v154
	s_waitcnt vmcnt(39) lgkmcnt(2)
	v_mul_f32_e32 v142, v2, v160
	v_fmac_f32_e32 v150, v143, v159
	v_mul_f32_e32 v143, v3, v160
	s_waitcnt vmcnt(37) lgkmcnt(1)
	v_mul_f32_e32 v155, v7, v162
	v_mul_f32_e32 v148, v4, v161
	;; [unrolled: 1-line block ×4, first 2 shown]
	v_fmac_f32_e32 v142, v3, v158
	v_fma_f32 v143, v2, v158, -v143
	s_waitcnt vmcnt(36)
	v_mul_f32_e32 v158, v8, v163
	v_mul_f32_e32 v2, v9, v163
	v_fma_f32 v155, v6, v156, -v155
	v_fmac_f32_e32 v148, v5, v157
	v_fma_f32 v152, v4, v157, -v152
	s_clause 0x3
	buffer_load_dword v157, off, s[0:3], 0 offset:428
	buffer_load_dword v159, off, s[0:3], 0 offset:436
	;; [unrolled: 1-line block ×4, first 2 shown]
	s_waitcnt vmcnt(35) lgkmcnt(0)
	v_mul_f32_e32 v162, v136, v168
	v_mul_f32_e32 v6, v137, v168
	v_fmac_f32_e32 v154, v7, v156
	v_fmac_f32_e32 v158, v9, v167
	v_fma_f32 v156, v8, v167, -v2
	ds_read_b128 v[2:5], v1 offset:784
	s_waitcnt vmcnt(34)
	v_mul_f32_e32 v163, v138, v169
	v_mul_f32_e32 v7, v139, v169
	buffer_load_dword v167, off, s[0:3], 0 offset:460
	v_fmac_f32_e32 v162, v137, v166
	v_fma_f32 v166, v136, v166, -v6
	v_add_f32_e32 v6, 0, v12
	s_clause 0x6
	buffer_load_dword v12, off, s[0:3], 0 offset:468
	buffer_load_dword v168, off, s[0:3], 0 offset:476
	;; [unrolled: 1-line block ×7, first 2 shown]
	v_fmac_f32_e32 v163, v139, v165
	v_fma_f32 v165, v138, v165, -v7
	v_add_f32_e32 v7, 0, v197
	v_add_f32_e32 v6, v6, v145
	;; [unrolled: 1-line block ×4, first 2 shown]
	s_waitcnt vmcnt(41) lgkmcnt(0)
	v_mul_f32_e32 v8, v3, v170
	v_add_f32_e32 v7, v7, v199
	s_clause 0x8
	buffer_load_dword v197, off, s[0:3], 0 offset:448
	buffer_load_dword v198, off, s[0:3], 0 offset:440
	;; [unrolled: 1-line block ×9, first 2 shown]
	v_add_f32_e32 v6, v6, v10
	v_add_f32_e32 v7, v7, v146
	v_mul_f32_e32 v10, v2, v170
	v_add_f32_e32 v6, v6, v147
	v_add_f32_e32 v7, v7, v11
	v_fmac_f32_e32 v10, v3, v164
	v_fma_f32 v11, v2, v164, -v8
	v_add_f32_e32 v6, v6, v149
	v_add_f32_e32 v7, v7, v151
	s_waitcnt vmcnt(49)
	v_mul_f32_e32 v149, v4, v171
	v_add_f32_e32 v6, v6, v140
	v_add_f32_e32 v7, v7, v153
	s_waitcnt vmcnt(45)
	v_fmac_f32_e32 v149, v5, v175
	v_add_f32_e32 v2, v6, v141
	v_add_f32_e32 v3, v7, v150
	ds_read_b128 v[6:9], v1 offset:800
	v_add_f32_e32 v136, v2, v143
	v_mul_f32_e32 v2, v5, v171
	v_add_f32_e32 v137, v3, v142
	v_add_f32_e32 v140, v136, v152
	v_fma_f32 v150, v4, v175, -v2
	ds_read_b128 v[2:5], v1 offset:816
	v_add_f32_e32 v141, v137, v148
	ds_read_b128 v[136:139], v1 offset:832
	v_add_f32_e32 v140, v140, v155
	v_add_f32_e32 v141, v141, v154
	;; [unrolled: 1-line block ×3, first 2 shown]
	s_waitcnt vmcnt(44) lgkmcnt(2)
	v_mul_f32_e32 v142, v7, v176
	v_mul_f32_e32 v152, v6, v176
	s_waitcnt vmcnt(43)
	v_mul_f32_e32 v154, v8, v177
	v_fma_f32 v153, v6, v174, -v142
	v_add_f32_e32 v6, v141, v158
	v_fmac_f32_e32 v152, v7, v174
	v_add_f32_e32 v7, v144, v166
	ds_read_b128 v[140:143], v1 offset:848
	s_waitcnt vmcnt(42) lgkmcnt(2)
	v_mul_f32_e32 v145, v3, v178
	v_add_f32_e32 v6, v6, v162
	v_mul_f32_e32 v156, v2, v178
	v_add_f32_e32 v7, v7, v165
	v_mul_f32_e32 v144, v9, v177
	v_fmac_f32_e32 v154, v9, v173
	v_add_f32_e32 v6, v6, v163
	v_fma_f32 v163, v2, v172, -v145
	v_add_f32_e32 v2, v7, v11
	v_fmac_f32_e32 v156, v3, v172
	v_fma_f32 v155, v8, v173, -v144
	v_add_f32_e32 v3, v6, v10
	s_waitcnt vmcnt(40) lgkmcnt(1)
	v_mul_f32_e32 v10, v137, v180
	v_add_f32_e32 v11, v2, v150
	v_mul_f32_e32 v148, v5, v179
	v_mul_f32_e32 v158, v4, v179
	;; [unrolled: 1-line block ×3, first 2 shown]
	s_waitcnt vmcnt(35)
	v_fma_f32 v165, v136, v185, -v10
	v_add_f32_e32 v10, v3, v149
	v_add_f32_e32 v11, v11, v153
	s_waitcnt vmcnt(34)
	v_fma_f32 v164, v4, v186, -v148
	ds_read_b128 v[6:9], v1 offset:864
	ds_read_b128 v[144:147], v1 offset:880
	v_fmac_f32_e32 v158, v5, v186
	v_add_f32_e32 v10, v10, v152
	v_add_f32_e32 v11, v11, v155
	v_mul_f32_e32 v136, v139, v181
	v_fmac_f32_e32 v162, v137, v185
	v_mul_f32_e32 v166, v138, v181
	v_add_f32_e32 v10, v10, v154
	v_add_f32_e32 v163, v11, v163
	s_waitcnt lgkmcnt(2)
	v_mul_f32_e32 v137, v141, v182
	v_fma_f32 v173, v138, v184, -v136
	v_mul_f32_e32 v170, v140, v182
	v_add_f32_e32 v156, v10, v156
	v_add_f32_e32 v163, v163, v164
	v_fmac_f32_e32 v166, v139, v184
	s_waitcnt vmcnt(33)
	v_mul_f32_e32 v172, v143, v187
	v_fma_f32 v174, v140, v183, -v137
	v_add_f32_e32 v156, v156, v158
	v_add_f32_e32 v163, v163, v165
	v_mul_f32_e32 v171, v142, v187
	v_fmac_f32_e32 v170, v141, v183
	s_waitcnt vmcnt(26)
	v_fma_f32 v172, v142, v194, -v172
	v_add_f32_e32 v156, v156, v162
	v_add_f32_e32 v163, v163, v173
	s_waitcnt lgkmcnt(1)
	v_mul_f32_e32 v175, v7, v188
	ds_read_b128 v[2:5], v1 offset:896
	ds_read_b128 v[148:151], v1 offset:912
	v_fmac_f32_e32 v171, v143, v194
	v_add_f32_e32 v156, v156, v166
	v_add_f32_e32 v163, v163, v174
	v_mul_f32_e32 v164, v6, v188
	v_mul_f32_e32 v176, v9, v189
	v_fma_f32 v6, v6, v193, -v175
	v_add_f32_e32 v156, v156, v170
	v_add_f32_e32 v163, v163, v172
	v_mul_f32_e32 v158, v8, v189
	v_fmac_f32_e32 v164, v7, v193
	s_waitcnt lgkmcnt(2)
	v_mul_f32_e32 v175, v145, v190
	v_add_f32_e32 v156, v156, v171
	v_fma_f32 v8, v8, v192, -v176
	v_add_f32_e32 v6, v163, v6
	v_mul_f32_e32 v165, v144, v190
	v_fmac_f32_e32 v158, v9, v192
	v_add_f32_e32 v156, v156, v164
	v_fma_f32 v144, v144, v191, -v175
	v_add_f32_e32 v6, v6, v8
	v_fmac_f32_e32 v165, v145, v191
	ds_read_b128 v[136:139], v1 offset:928
	ds_read_b128 v[152:155], v1 offset:944
	v_add_f32_e32 v8, v156, v158
	ds_read_b128 v[140:143], v1 offset:960
	ds_read_b64 v[10:11], v1 offset:976
	v_add_f32_e32 v6, v6, v144
	v_add_f32_e32 v8, v8, v165
	s_waitcnt vmcnt(24)
	v_mul_f32_e32 v171, v147, v196
	v_mul_f32_e32 v162, v146, v196
	s_waitcnt vmcnt(23) lgkmcnt(5)
	v_mul_f32_e32 v7, v2, v200
	v_mul_f32_e32 v145, v3, v200
	s_waitcnt vmcnt(22)
	v_mul_f32_e32 v144, v5, v201
	v_mul_f32_e32 v173, v4, v201
	s_waitcnt vmcnt(21) lgkmcnt(4)
	v_mul_f32_e32 v166, v148, v202
	s_waitcnt vmcnt(20)
	v_mul_f32_e32 v9, v150, v157
	s_waitcnt vmcnt(19) lgkmcnt(3)
	v_mul_f32_e32 v176, v136, v159
	s_waitcnt vmcnt(18)
	;; [unrolled: 4-line block ×3, first 2 shown]
	v_mul_f32_e32 v177, v154, v167
	s_waitcnt vmcnt(12)
	v_fmac_f32_e32 v166, v149, v203
	s_waitcnt vmcnt(11)
	v_fma_f32 v4, v4, v204, -v144
	s_waitcnt vmcnt(10)
	v_fmac_f32_e32 v7, v3, v205
	s_waitcnt vmcnt(9)
	v_fma_f32 v146, v146, v206, -v171
	v_fmac_f32_e32 v162, v147, v206
	v_fma_f32 v2, v2, v205, -v145
	v_fmac_f32_e32 v173, v5, v204
	v_mul_f32_e32 v5, v151, v157
	v_add_f32_e32 v3, v6, v146
	v_add_f32_e32 v6, v8, v162
	v_mul_f32_e32 v8, v149, v202
	s_waitcnt lgkmcnt(1)
	v_mul_f32_e32 v172, v140, v12
	v_mul_f32_e32 v178, v142, v168
	v_add_f32_e32 v2, v3, v2
	v_add_f32_e32 v3, v6, v7
	v_fma_f32 v6, v148, v203, -v8
	s_waitcnt vmcnt(6)
	v_fmac_f32_e32 v176, v137, v199
	s_waitcnt vmcnt(5)
	v_fma_f32 v5, v150, v207, -v5
	v_add_f32_e32 v2, v2, v4
	v_add_f32_e32 v3, v3, v173
	v_mul_f32_e32 v4, v137, v159
	v_fmac_f32_e32 v9, v151, v207
	v_fmac_f32_e32 v170, v139, v198
	v_add_f32_e32 v2, v2, v6
	v_add_f32_e32 v3, v3, v166
	v_mul_f32_e32 v6, v139, v160
	v_fma_f32 v4, v136, v199, -v4
	v_fmac_f32_e32 v174, v153, v197
	v_add_f32_e32 v2, v2, v5
	v_add_f32_e32 v3, v3, v9
	v_mul_f32_e32 v5, v153, v161
	v_fma_f32 v6, v138, v198, -v6
	s_waitcnt vmcnt(1)
	v_fmac_f32_e32 v177, v155, v211
	v_add_f32_e32 v2, v2, v4
	v_add_f32_e32 v3, v3, v176
	v_mul_f32_e32 v4, v155, v167
	v_fma_f32 v5, v152, v197, -v5
	v_fmac_f32_e32 v172, v141, v210
	v_add_f32_e32 v2, v2, v6
	v_add_f32_e32 v3, v3, v170
	v_mul_f32_e32 v6, v141, v12
	v_fma_f32 v4, v154, v211, -v4
	s_waitcnt lgkmcnt(0)
	v_mul_f32_e32 v163, v10, v169
	v_add_f32_e32 v2, v2, v5
	v_add_f32_e32 v3, v3, v174
	v_mul_f32_e32 v5, v143, v168
	v_fma_f32 v6, v140, v210, -v6
	v_fmac_f32_e32 v178, v143, v209
	v_add_f32_e32 v2, v2, v4
	v_add_f32_e32 v3, v3, v177
	v_mul_f32_e32 v4, v11, v169
	v_fma_f32 v5, v142, v209, -v5
	v_fmac_f32_e32 v163, v11, v208
	v_add_f32_e32 v2, v2, v6
	v_add_f32_e32 v3, v3, v172
	v_fma_f32 v4, v10, v208, -v4
	v_add_f32_e32 v2, v2, v5
	v_add_f32_e32 v3, v3, v178
	;; [unrolled: 1-line block ×4, first 2 shown]
	s_waitcnt vmcnt(0)
	v_sub_f32_e32 v2, v212, v2
	v_sub_f32_e32 v3, v195, v3
	buffer_store_dword v2, off, s[0:3], 0 offset:168
	buffer_store_dword v3, off, s[0:3], 0 offset:172
	v_cmpx_lt_u32_e32 20, v0
	s_cbranch_execz .LBB60_339
; %bb.338:
	s_clause 0x1
	buffer_load_dword v2, off, s[0:3], 0 offset:160
	buffer_load_dword v3, off, s[0:3], 0 offset:164
	buffer_store_dword v1, off, s[0:3], 0 offset:160
	buffer_store_dword v1, off, s[0:3], 0 offset:164
	s_waitcnt vmcnt(0)
	ds_write_b64 v135, v[2:3]
.LBB60_339:
	s_or_b32 exec_lo, exec_lo, s4
	s_waitcnt lgkmcnt(0)
	s_waitcnt_vscnt null, 0x0
	s_barrier
	buffer_gl0_inv
	s_clause 0x23
	buffer_load_dword v10, off, s[0:3], 0 offset:172
	buffer_load_dword v11, off, s[0:3], 0 offset:180
	buffer_load_dword v12, off, s[0:3], 0 offset:184
	buffer_load_dword v152, off, s[0:3], 0 offset:176
	buffer_load_dword v153, off, s[0:3], 0 offset:168
	buffer_load_dword v154, off, s[0:3], 0 offset:188
	buffer_load_dword v155, off, s[0:3], 0 offset:196
	buffer_load_dword v156, off, s[0:3], 0 offset:204
	buffer_load_dword v157, off, s[0:3], 0 offset:212
	buffer_load_dword v158, off, s[0:3], 0 offset:216
	buffer_load_dword v159, off, s[0:3], 0 offset:208
	buffer_load_dword v160, off, s[0:3], 0 offset:200
	buffer_load_dword v161, off, s[0:3], 0 offset:192
	buffer_load_dword v162, off, s[0:3], 0 offset:220
	buffer_load_dword v163, off, s[0:3], 0 offset:228
	buffer_load_dword v164, off, s[0:3], 0 offset:236
	buffer_load_dword v165, off, s[0:3], 0 offset:244
	buffer_load_dword v166, off, s[0:3], 0 offset:248
	buffer_load_dword v167, off, s[0:3], 0 offset:240
	buffer_load_dword v168, off, s[0:3], 0 offset:232
	buffer_load_dword v169, off, s[0:3], 0 offset:224
	buffer_load_dword v170, off, s[0:3], 0 offset:252
	buffer_load_dword v171, off, s[0:3], 0 offset:260
	buffer_load_dword v172, off, s[0:3], 0 offset:268
	buffer_load_dword v173, off, s[0:3], 0 offset:276
	buffer_load_dword v174, off, s[0:3], 0 offset:280
	buffer_load_dword v175, off, s[0:3], 0 offset:272
	buffer_load_dword v176, off, s[0:3], 0 offset:264
	buffer_load_dword v177, off, s[0:3], 0 offset:256
	buffer_load_dword v178, off, s[0:3], 0 offset:284
	buffer_load_dword v179, off, s[0:3], 0 offset:292
	buffer_load_dword v180, off, s[0:3], 0 offset:312
	buffer_load_dword v181, off, s[0:3], 0 offset:304
	buffer_load_dword v182, off, s[0:3], 0 offset:296
	buffer_load_dword v183, off, s[0:3], 0 offset:288
	buffer_load_dword v184, off, s[0:3], 0 offset:300
	ds_read2_b64 v[2:5], v1 offset0:83 offset1:84
	s_clause 0x1
	buffer_load_dword v185, off, s[0:3], 0 offset:308
	buffer_load_dword v186, off, s[0:3], 0 offset:316
	ds_read2_b64 v[6:9], v1 offset0:85 offset1:86
	ds_read2_b64 v[136:139], v1 offset0:87 offset1:88
	s_clause 0x7
	buffer_load_dword v187, off, s[0:3], 0 offset:324
	buffer_load_dword v188, off, s[0:3], 0 offset:332
	;; [unrolled: 1-line block ×8, first 2 shown]
	ds_read2_b64 v[140:143], v1 offset0:89 offset1:90
	ds_read2_b64 v[144:147], v1 offset0:91 offset1:92
	;; [unrolled: 1-line block ×3, first 2 shown]
	buffer_load_dword v197, off, s[0:3], 0 offset:164
	s_mov_b32 s4, exec_lo
	s_waitcnt vmcnt(46) lgkmcnt(5)
	v_mul_f32_e32 v195, v3, v10
	v_mul_f32_e32 v10, v2, v10
	s_waitcnt vmcnt(45)
	v_mul_f32_e32 v196, v4, v11
	v_mul_f32_e32 v11, v5, v11
	s_waitcnt vmcnt(42)
	v_fma_f32 v195, v2, v153, -v195
	v_fmac_f32_e32 v10, v3, v153
	v_fmac_f32_e32 v196, v5, v152
	v_fma_f32 v11, v4, v152, -v11
	s_waitcnt vmcnt(41) lgkmcnt(4)
	v_mul_f32_e32 v152, v6, v154
	v_mul_f32_e32 v153, v7, v154
	s_waitcnt vmcnt(40)
	v_mul_f32_e32 v154, v8, v155
	v_mul_f32_e32 v155, v9, v155
	s_waitcnt vmcnt(39) lgkmcnt(3)
	v_mul_f32_e32 v198, v136, v156
	v_mul_f32_e32 v156, v137, v156
	v_fmac_f32_e32 v152, v7, v12
	v_fma_f32 v12, v6, v12, -v153
	s_waitcnt vmcnt(38)
	v_mul_f32_e32 v153, v138, v157
	v_mul_f32_e32 v6, v139, v157
	ds_read2_b64 v[2:5], v1 offset0:95 offset1:96
	s_waitcnt vmcnt(34)
	v_fmac_f32_e32 v154, v9, v161
	v_fma_f32 v155, v8, v161, -v155
	v_fmac_f32_e32 v198, v137, v160
	v_fma_f32 v136, v136, v160, -v156
	;; [unrolled: 2-line block ×3, first 2 shown]
	s_clause 0x7
	buffer_load_dword v156, off, s[0:3], 0 offset:356
	buffer_load_dword v157, off, s[0:3], 0 offset:364
	;; [unrolled: 1-line block ×8, first 2 shown]
	s_waitcnt vmcnt(41) lgkmcnt(3)
	v_mul_f32_e32 v6, v141, v162
	s_waitcnt vmcnt(40)
	v_mul_f32_e32 v7, v143, v163
	v_mul_f32_e32 v138, v140, v162
	;; [unrolled: 1-line block ×3, first 2 shown]
	s_waitcnt vmcnt(39) lgkmcnt(2)
	v_mul_f32_e32 v162, v144, v164
	v_fma_f32 v140, v140, v158, -v6
	s_waitcnt vmcnt(34)
	v_fma_f32 v142, v142, v169, -v7
	ds_read2_b64 v[6:9], v1 offset0:97 offset1:98
	v_mul_f32_e32 v163, v145, v164
	v_fmac_f32_e32 v138, v141, v158
	v_mul_f32_e32 v141, v146, v165
	v_mul_f32_e32 v158, v147, v165
	v_fmac_f32_e32 v139, v143, v169
	v_fmac_f32_e32 v162, v145, v168
	v_fma_f32 v143, v144, v168, -v163
	v_fmac_f32_e32 v141, v147, v167
	v_fma_f32 v144, v146, v167, -v158
	s_waitcnt vmcnt(33) lgkmcnt(2)
	v_mul_f32_e32 v145, v148, v170
	v_mul_f32_e32 v146, v149, v170
	s_waitcnt vmcnt(32)
	v_mul_f32_e32 v147, v150, v171
	s_waitcnt vmcnt(31) lgkmcnt(1)
	v_mul_f32_e32 v168, v2, v172
	v_mul_f32_e32 v169, v3, v172
	;; [unrolled: 1-line block ×3, first 2 shown]
	v_fmac_f32_e32 v145, v149, v166
	v_fma_f32 v146, v148, v166, -v146
	s_waitcnt vmcnt(30)
	v_mul_f32_e32 v148, v4, v173
	v_mul_f32_e32 v149, v5, v173
	s_waitcnt vmcnt(26)
	v_fmac_f32_e32 v147, v151, v177
	v_fmac_f32_e32 v168, v3, v176
	v_fma_f32 v151, v2, v176, -v169
	s_waitcnt vmcnt(25) lgkmcnt(0)
	v_mul_f32_e32 v176, v6, v178
	v_mul_f32_e32 v2, v7, v178
	v_add_f32_e32 v3, 0, v195
	s_clause 0x3
	buffer_load_dword v158, off, s[0:3], 0 offset:388
	buffer_load_dword v163, off, s[0:3], 0 offset:396
	buffer_load_dword v164, off, s[0:3], 0 offset:404
	buffer_load_dword v165, off, s[0:3], 0 offset:412
	v_fma_f32 v150, v150, v177, -v167
	s_clause 0x3
	buffer_load_dword v166, off, s[0:3], 0 offset:420
	buffer_load_dword v167, off, s[0:3], 0 offset:428
	;; [unrolled: 1-line block ×4, first 2 shown]
	v_fmac_f32_e32 v148, v5, v175
	v_fma_f32 v149, v4, v175, -v149
	s_clause 0x3
	buffer_load_dword v169, off, s[0:3], 0 offset:452
	buffer_load_dword v172, off, s[0:3], 0 offset:460
	;; [unrolled: 1-line block ×4, first 2 shown]
	v_add_f32_e32 v4, 0, v10
	buffer_load_dword v10, off, s[0:3], 0 offset:484
	v_fmac_f32_e32 v176, v7, v174
	v_fma_f32 v174, v6, v174, -v2
	v_add_f32_e32 v2, v3, v11
	s_clause 0x3
	buffer_load_dword v11, off, s[0:3], 0 offset:408
	buffer_load_dword v177, off, s[0:3], 0 offset:400
	;; [unrolled: 1-line block ×4, first 2 shown]
	v_add_f32_e32 v6, v4, v196
	v_add_f32_e32 v7, v2, v12
	s_waitcnt vmcnt(41)
	v_mul_f32_e32 v2, v9, v179
	v_mul_f32_e32 v12, v8, v179
	v_add_f32_e32 v6, v6, v152
	v_add_f32_e32 v7, v7, v155
	s_waitcnt vmcnt(37)
	v_fma_f32 v179, v8, v183, -v2
	ds_read2_b64 v[2:5], v1 offset0:99 offset1:100
	v_fmac_f32_e32 v12, v9, v183
	s_clause 0x3
	buffer_load_dword v183, off, s[0:3], 0 offset:440
	buffer_load_dword v196, off, s[0:3], 0 offset:432
	;; [unrolled: 1-line block ×4, first 2 shown]
	v_add_f32_e32 v7, v7, v136
	v_add_f32_e32 v6, v6, v154
	;; [unrolled: 1-line block ×6, first 2 shown]
	ds_read2_b64 v[6:9], v1 offset0:101 offset1:102
	v_add_f32_e32 v137, v137, v138
	s_waitcnt vmcnt(40) lgkmcnt(1)
	v_mul_f32_e32 v152, v2, v184
	v_mul_f32_e32 v140, v3, v184
	s_waitcnt vmcnt(39)
	v_mul_f32_e32 v154, v4, v185
	v_fmac_f32_e32 v152, v3, v182
	v_fma_f32 v153, v2, v182, -v140
	s_clause 0x4
	buffer_load_dword v182, off, s[0:3], 0 offset:472
	buffer_load_dword v184, off, s[0:3], 0 offset:464
	;; [unrolled: 1-line block ×5, first 2 shown]
	v_add_f32_e32 v3, v137, v139
	v_add_f32_e32 v2, v136, v142
	v_mul_f32_e32 v136, v5, v185
	v_fmac_f32_e32 v154, v5, v181
	v_add_f32_e32 v3, v3, v162
	buffer_load_dword v162, off, s[0:3], 0 offset:160
	v_add_f32_e32 v2, v2, v143
	v_fma_f32 v155, v4, v181, -v136
	s_waitcnt vmcnt(44) lgkmcnt(0)
	v_mul_f32_e32 v181, v6, v186
	v_add_f32_e32 v137, v3, v141
	v_mul_f32_e32 v142, v7, v186
	v_add_f32_e32 v2, v2, v144
	s_waitcnt vmcnt(43)
	v_mul_f32_e32 v185, v8, v187
	v_mul_f32_e32 v143, v9, v187
	v_add_f32_e32 v141, v137, v145
	ds_read2_b64 v[136:139], v1 offset0:105 offset1:106
	v_add_f32_e32 v140, v2, v146
	ds_read2_b64 v[2:5], v1 offset0:103 offset1:104
	v_fmac_f32_e32 v181, v7, v180
	v_add_f32_e32 v141, v141, v147
	v_fma_f32 v180, v6, v180, -v142
	v_add_f32_e32 v140, v140, v150
	s_waitcnt vmcnt(36)
	v_fmac_f32_e32 v185, v9, v194
	v_fma_f32 v186, v8, v194, -v143
	v_add_f32_e32 v145, v141, v168
	v_add_f32_e32 v144, v140, v151
	ds_read2_b64 v[6:9], v1 offset0:107 offset1:108
	ds_read2_b64 v[140:143], v1 offset0:109 offset1:110
	v_add_f32_e32 v145, v145, v148
	v_add_f32_e32 v144, v144, v149
	;; [unrolled: 1-line block ×3, first 2 shown]
	s_waitcnt lgkmcnt(3)
	v_mul_f32_e32 v148, v137, v190
	v_add_f32_e32 v144, v144, v174
	v_mul_f32_e32 v174, v136, v190
	s_waitcnt lgkmcnt(2)
	v_mul_f32_e32 v146, v3, v188
	v_add_f32_e32 v12, v145, v12
	v_mul_f32_e32 v168, v2, v188
	v_add_f32_e32 v149, v144, v179
	v_mul_f32_e32 v147, v5, v189
	v_fma_f32 v188, v2, v193, -v146
	v_add_f32_e32 v12, v12, v152
	v_mul_f32_e32 v187, v4, v189
	v_add_f32_e32 v153, v149, v153
	v_fmac_f32_e32 v168, v3, v193
	v_fma_f32 v189, v4, v192, -v147
	v_add_f32_e32 v12, v12, v154
	v_fmac_f32_e32 v187, v5, v192
	v_add_f32_e32 v152, v153, v155
	v_fmac_f32_e32 v174, v137, v191
	ds_read2_b64 v[2:5], v1 offset0:111 offset1:112
	ds_read2_b64 v[144:147], v1 offset0:113 offset1:114
	v_add_f32_e32 v12, v12, v181
	v_add_f32_e32 v12, v12, v185
	;; [unrolled: 1-line block ×5, first 2 shown]
	s_waitcnt vmcnt(34)
	v_mul_f32_e32 v176, v138, v156
	s_waitcnt vmcnt(33) lgkmcnt(3)
	v_mul_f32_e32 v190, v6, v157
	v_mul_f32_e32 v153, v7, v157
	;; [unrolled: 1-line block ×3, first 2 shown]
	v_fma_f32 v156, v136, v191, -v148
	s_waitcnt vmcnt(32)
	v_mul_f32_e32 v191, v8, v159
	s_waitcnt vmcnt(28)
	v_fmac_f32_e32 v190, v7, v200
	v_add_f32_e32 v7, v152, v180
	s_waitcnt vmcnt(27)
	v_fma_f32 v179, v138, v201, -v150
	v_fmac_f32_e32 v176, v139, v201
	v_mul_f32_e32 v154, v9, v159
	v_fma_f32 v157, v6, v200, -v153
	v_add_f32_e32 v180, v7, v186
	ds_read2_b64 v[136:139], v1 offset0:115 offset1:116
	ds_read2_b64 v[148:151], v1 offset0:117 offset1:118
	v_add_f32_e32 v12, v12, v176
	v_fmac_f32_e32 v191, v9, v199
	v_fma_f32 v159, v8, v199, -v154
	v_add_f32_e32 v180, v180, v188
	ds_read2_b64 v[6:9], v1 offset0:119 offset1:120
	ds_read2_b64 v[152:155], v1 offset0:121 offset1:122
	s_waitcnt lgkmcnt(6)
	v_mul_f32_e32 v1, v140, v160
	v_mul_f32_e32 v160, v141, v160
	v_add_f32_e32 v12, v12, v190
	v_add_f32_e32 v180, v180, v189
	v_fmac_f32_e32 v1, v141, v161
	v_fma_f32 v140, v140, v161, -v160
	v_add_f32_e32 v12, v12, v191
	v_add_f32_e32 v156, v180, v156
	;; [unrolled: 1-line block ×5, first 2 shown]
	s_waitcnt vmcnt(26)
	v_mul_f32_e32 v168, v142, v158
	v_mul_f32_e32 v158, v143, v158
	s_waitcnt vmcnt(25) lgkmcnt(5)
	v_mul_f32_e32 v181, v2, v163
	s_waitcnt vmcnt(24)
	v_mul_f32_e32 v12, v5, v164
	v_add_f32_e32 v156, v156, v159
	v_mul_f32_e32 v159, v3, v163
	v_mul_f32_e32 v185, v4, v164
	s_waitcnt vmcnt(23) lgkmcnt(4)
	v_mul_f32_e32 v186, v144, v165
	s_waitcnt vmcnt(22)
	v_mul_f32_e32 v180, v146, v166
	v_add_f32_e32 v140, v156, v140
	s_waitcnt vmcnt(21) lgkmcnt(3)
	v_mul_f32_e32 v174, v136, v167
	s_waitcnt vmcnt(20)
	v_mul_f32_e32 v187, v138, v170
	s_waitcnt vmcnt(12)
	v_fma_f32 v4, v4, v177, -v12
	s_waitcnt vmcnt(11)
	v_fmac_f32_e32 v181, v3, v178
	s_waitcnt vmcnt(10)
	v_fma_f32 v142, v142, v195, -v158
	v_fmac_f32_e32 v168, v143, v195
	v_fma_f32 v2, v2, v178, -v159
	v_fmac_f32_e32 v185, v5, v177
	v_fmac_f32_e32 v186, v145, v11
	v_add_f32_e32 v3, v140, v142
	v_add_f32_e32 v1, v1, v168
	v_mul_f32_e32 v140, v145, v165
	s_waitcnt lgkmcnt(2)
	v_mul_f32_e32 v179, v148, v171
	v_mul_f32_e32 v176, v150, v169
	v_add_f32_e32 v2, v3, v2
	v_add_f32_e32 v1, v1, v181
	v_mul_f32_e32 v3, v147, v166
	v_fma_f32 v5, v144, v11, -v140
	s_waitcnt vmcnt(6)
	v_fmac_f32_e32 v180, v147, v203
	v_add_f32_e32 v2, v2, v4
	v_add_f32_e32 v1, v1, v185
	v_mul_f32_e32 v4, v137, v167
	v_fma_f32 v3, v146, v203, -v3
	v_fmac_f32_e32 v174, v137, v202
	v_add_f32_e32 v2, v2, v5
	v_add_f32_e32 v1, v1, v186
	v_mul_f32_e32 v5, v139, v170
	v_fma_f32 v4, v136, v202, -v4
	;; [unrolled: 5-line block ×4, first 2 shown]
	s_waitcnt lgkmcnt(1)
	v_mul_f32_e32 v188, v6, v172
	v_add_f32_e32 v2, v2, v5
	v_add_f32_e32 v1, v1, v187
	v_mul_f32_e32 v5, v7, v172
	s_waitcnt vmcnt(2)
	v_fma_f32 v4, v150, v204, -v4
	v_fmac_f32_e32 v176, v151, v204
	v_add_f32_e32 v2, v2, v3
	v_add_f32_e32 v1, v1, v179
	v_mul_f32_e32 v3, v9, v173
	v_fma_f32 v5, v6, v198, -v5
	v_mul_f32_e32 v157, v8, v173
	v_add_f32_e32 v2, v2, v4
	v_fmac_f32_e32 v188, v7, v198
	v_add_f32_e32 v1, v1, v176
	s_waitcnt lgkmcnt(0)
	v_mul_f32_e32 v4, v153, v175
	v_fma_f32 v3, v8, v184, -v3
	v_add_f32_e32 v2, v2, v5
	v_mul_f32_e32 v189, v152, v175
	v_fmac_f32_e32 v157, v9, v184
	v_add_f32_e32 v1, v1, v188
	v_mul_f32_e32 v5, v155, v10
	v_fma_f32 v4, v152, v182, -v4
	v_add_f32_e32 v2, v2, v3
	v_mul_f32_e32 v141, v154, v10
	v_fmac_f32_e32 v189, v153, v182
	v_add_f32_e32 v1, v1, v157
	s_waitcnt vmcnt(1)
	v_fma_f32 v3, v154, v205, -v5
	v_add_f32_e32 v2, v2, v4
	v_fmac_f32_e32 v141, v155, v205
	v_add_f32_e32 v1, v1, v189
	v_add_f32_e32 v2, v2, v3
	;; [unrolled: 1-line block ×3, first 2 shown]
	s_waitcnt vmcnt(0)
	v_sub_f32_e32 v2, v162, v2
	v_sub_f32_e32 v1, v197, v1
	buffer_store_dword v2, off, s[0:3], 0 offset:160
	buffer_store_dword v1, off, s[0:3], 0 offset:164
	v_cmpx_lt_u32_e32 19, v0
	s_cbranch_execz .LBB60_341
; %bb.340:
	s_clause 0x1
	buffer_load_dword v1, off, s[0:3], 0 offset:152
	buffer_load_dword v2, off, s[0:3], 0 offset:156
	v_mov_b32_e32 v3, 0
	buffer_store_dword v3, off, s[0:3], 0 offset:152
	buffer_store_dword v3, off, s[0:3], 0 offset:156
	s_waitcnt vmcnt(0)
	ds_write_b64 v135, v[1:2]
.LBB60_341:
	s_or_b32 exec_lo, exec_lo, s4
	s_waitcnt lgkmcnt(0)
	s_waitcnt_vscnt null, 0x0
	s_barrier
	buffer_gl0_inv
	s_clause 0x23
	buffer_load_dword v2, off, s[0:3], 0 offset:164
	buffer_load_dword v1, off, s[0:3], 0 offset:172
	buffer_load_dword v11, off, s[0:3], 0 offset:176
	buffer_load_dword v12, off, s[0:3], 0 offset:168
	buffer_load_dword v153, off, s[0:3], 0 offset:160
	buffer_load_dword v154, off, s[0:3], 0 offset:180
	buffer_load_dword v155, off, s[0:3], 0 offset:188
	buffer_load_dword v156, off, s[0:3], 0 offset:196
	buffer_load_dword v157, off, s[0:3], 0 offset:208
	buffer_load_dword v158, off, s[0:3], 0 offset:200
	buffer_load_dword v159, off, s[0:3], 0 offset:192
	buffer_load_dword v160, off, s[0:3], 0 offset:184
	buffer_load_dword v161, off, s[0:3], 0 offset:204
	buffer_load_dword v162, off, s[0:3], 0 offset:212
	buffer_load_dword v163, off, s[0:3], 0 offset:220
	buffer_load_dword v164, off, s[0:3], 0 offset:240
	buffer_load_dword v165, off, s[0:3], 0 offset:232
	buffer_load_dword v166, off, s[0:3], 0 offset:224
	buffer_load_dword v167, off, s[0:3], 0 offset:216
	buffer_load_dword v168, off, s[0:3], 0 offset:228
	buffer_load_dword v169, off, s[0:3], 0 offset:236
	buffer_load_dword v170, off, s[0:3], 0 offset:244
	buffer_load_dword v171, off, s[0:3], 0 offset:252
	buffer_load_dword v172, off, s[0:3], 0 offset:260
	buffer_load_dword v173, off, s[0:3], 0 offset:272
	buffer_load_dword v174, off, s[0:3], 0 offset:264
	buffer_load_dword v175, off, s[0:3], 0 offset:256
	buffer_load_dword v176, off, s[0:3], 0 offset:248
	buffer_load_dword v177, off, s[0:3], 0 offset:268
	buffer_load_dword v178, off, s[0:3], 0 offset:276
	buffer_load_dword v179, off, s[0:3], 0 offset:284
	buffer_load_dword v180, off, s[0:3], 0 offset:304
	buffer_load_dword v181, off, s[0:3], 0 offset:296
	buffer_load_dword v182, off, s[0:3], 0 offset:288
	buffer_load_dword v183, off, s[0:3], 0 offset:280
	buffer_load_dword v184, off, s[0:3], 0 offset:292
	v_mov_b32_e32 v136, 0
	s_mov_b32 s4, exec_lo
	ds_read_b128 v[3:6], v136 offset:656
	s_clause 0x1
	buffer_load_dword v185, off, s[0:3], 0 offset:300
	buffer_load_dword v186, off, s[0:3], 0 offset:308
	ds_read_b128 v[7:10], v136 offset:672
	s_clause 0x8
	buffer_load_dword v187, off, s[0:3], 0 offset:316
	buffer_load_dword v188, off, s[0:3], 0 offset:324
	buffer_load_dword v189, off, s[0:3], 0 offset:332
	buffer_load_dword v190, off, s[0:3], 0 offset:340
	buffer_load_dword v191, off, s[0:3], 0 offset:336
	buffer_load_dword v192, off, s[0:3], 0 offset:328
	buffer_load_dword v193, off, s[0:3], 0 offset:320
	buffer_load_dword v194, off, s[0:3], 0 offset:312
	buffer_load_dword v195, off, s[0:3], 0 offset:348
	ds_read_b128 v[137:140], v136 offset:688
	ds_read_b128 v[141:144], v136 offset:704
	buffer_load_dword v196, off, s[0:3], 0 offset:156
	ds_read_b128 v[145:148], v136 offset:720
	ds_read_b128 v[149:152], v136 offset:736
	s_waitcnt vmcnt(47) lgkmcnt(5)
	v_mul_f32_e32 v197, v4, v2
	v_mul_f32_e32 v198, v3, v2
	s_waitcnt vmcnt(46)
	v_mul_f32_e32 v199, v5, v1
	v_mul_f32_e32 v1, v6, v1
	s_waitcnt vmcnt(43)
	v_fma_f32 v197, v3, v153, -v197
	v_fmac_f32_e32 v198, v4, v153
	s_waitcnt vmcnt(42) lgkmcnt(4)
	v_mul_f32_e32 v153, v7, v154
	v_mul_f32_e32 v154, v8, v154
	v_fmac_f32_e32 v199, v6, v12
	v_fma_f32 v12, v5, v12, -v1
	s_waitcnt vmcnt(41)
	v_mul_f32_e32 v200, v9, v155
	v_mul_f32_e32 v5, v10, v155
	v_fmac_f32_e32 v153, v8, v11
	v_fma_f32 v11, v7, v11, -v154
	s_waitcnt vmcnt(40) lgkmcnt(3)
	v_mul_f32_e32 v154, v137, v156
	v_mul_f32_e32 v6, v138, v156
	s_waitcnt vmcnt(36)
	v_fmac_f32_e32 v200, v10, v160
	v_fma_f32 v9, v9, v160, -v5
	s_waitcnt vmcnt(35)
	v_mul_f32_e32 v10, v139, v161
	v_mul_f32_e32 v5, v140, v161
	ds_read_b128 v[1:4], v136 offset:752
	s_waitcnt vmcnt(34) lgkmcnt(3)
	v_mul_f32_e32 v155, v141, v162
	v_mul_f32_e32 v7, v142, v162
	s_waitcnt vmcnt(33)
	v_mul_f32_e32 v156, v143, v163
	v_mul_f32_e32 v8, v144, v163
	v_fmac_f32_e32 v154, v138, v159
	v_fma_f32 v137, v137, v159, -v6
	v_fmac_f32_e32 v10, v140, v158
	v_fma_f32 v138, v139, v158, -v5
	s_clause 0x6
	buffer_load_dword v158, off, s[0:3], 0 offset:356
	buffer_load_dword v159, off, s[0:3], 0 offset:364
	;; [unrolled: 1-line block ×7, first 2 shown]
	v_fma_f32 v139, v141, v157, -v7
	s_waitcnt vmcnt(36)
	v_fma_f32 v140, v143, v167, -v8
	ds_read_b128 v[5:8], v136 offset:768
	v_fmac_f32_e32 v155, v142, v157
	v_fmac_f32_e32 v156, v144, v167
	s_waitcnt vmcnt(35) lgkmcnt(3)
	v_mul_f32_e32 v142, v146, v168
	s_waitcnt vmcnt(34)
	v_mul_f32_e32 v143, v147, v169
	v_mul_f32_e32 v144, v148, v169
	;; [unrolled: 1-line block ×3, first 2 shown]
	s_waitcnt vmcnt(33) lgkmcnt(2)
	v_mul_f32_e32 v157, v149, v170
	v_mul_f32_e32 v167, v150, v170
	v_fma_f32 v142, v145, v166, -v142
	s_waitcnt vmcnt(32)
	v_mul_f32_e32 v145, v151, v171
	v_fmac_f32_e32 v143, v148, v165
	v_fma_f32 v144, v147, v165, -v144
	s_waitcnt vmcnt(31) lgkmcnt(1)
	v_mul_f32_e32 v147, v1, v172
	v_mul_f32_e32 v148, v2, v172
	v_fmac_f32_e32 v141, v146, v166
	v_mul_f32_e32 v146, v152, v171
	v_fmac_f32_e32 v157, v150, v164
	v_fma_f32 v149, v149, v164, -v167
	s_waitcnt vmcnt(27)
	v_fmac_f32_e32 v145, v152, v176
	s_clause 0x7
	buffer_load_dword v164, off, s[0:3], 0 offset:380
	buffer_load_dword v165, off, s[0:3], 0 offset:388
	;; [unrolled: 1-line block ×8, first 2 shown]
	v_fmac_f32_e32 v147, v2, v175
	v_fma_f32 v148, v1, v175, -v148
	s_waitcnt vmcnt(33) lgkmcnt(0)
	v_mul_f32_e32 v152, v5, v178
	v_mul_f32_e32 v1, v6, v178
	v_add_f32_e32 v2, 0, v197
	v_fma_f32 v146, v151, v176, -v146
	v_mul_f32_e32 v150, v3, v177
	v_fmac_f32_e32 v152, v6, v173
	v_fma_f32 v173, v5, v173, -v1
	v_add_f32_e32 v1, 0, v198
	v_add_f32_e32 v2, v2, v12
	v_mul_f32_e32 v151, v4, v177
	s_clause 0x1
	buffer_load_dword v172, off, s[0:3], 0 offset:412
	buffer_load_dword v175, off, s[0:3], 0 offset:420
	v_fmac_f32_e32 v150, v4, v174
	v_add_f32_e32 v1, v1, v199
	v_add_f32_e32 v5, v2, v11
	s_waitcnt vmcnt(34)
	v_mul_f32_e32 v2, v8, v179
	v_fma_f32 v151, v3, v174, -v151
	s_clause 0x5
	buffer_load_dword v174, off, s[0:3], 0 offset:428
	buffer_load_dword v176, off, s[0:3], 0 offset:436
	;; [unrolled: 1-line block ×6, first 2 shown]
	v_mul_f32_e32 v202, v7, v179
	v_add_f32_e32 v6, v1, v153
	s_waitcnt vmcnt(36)
	v_fma_f32 v153, v7, v183, -v2
	ds_read_b128 v[1:4], v136 offset:784
	s_clause 0x1
	buffer_load_dword v199, off, s[0:3], 0 offset:476
	buffer_load_dword v179, off, s[0:3], 0 offset:484
	v_fmac_f32_e32 v202, v8, v183
	v_add_f32_e32 v6, v6, v200
	s_clause 0x3
	buffer_load_dword v183, off, s[0:3], 0 offset:432
	buffer_load_dword v200, off, s[0:3], 0 offset:424
	;; [unrolled: 1-line block ×4, first 2 shown]
	v_add_f32_e32 v5, v5, v9
	v_add_f32_e32 v6, v6, v154
	;; [unrolled: 1-line block ×6, first 2 shown]
	s_waitcnt vmcnt(41) lgkmcnt(0)
	v_mul_f32_e32 v154, v1, v184
	v_mul_f32_e32 v11, v2, v184
	v_add_f32_e32 v10, v5, v139
	ds_read_b128 v[5:8], v136 offset:800
	v_fmac_f32_e32 v154, v2, v182
	v_fma_f32 v155, v1, v182, -v11
	v_add_f32_e32 v1, v9, v156
	s_clause 0x6
	buffer_load_dword v156, off, s[0:3], 0 offset:464
	buffer_load_dword v182, off, s[0:3], 0 offset:456
	;; [unrolled: 1-line block ×7, first 2 shown]
	v_add_f32_e32 v10, v10, v140
	v_add_f32_e32 v1, v1, v141
	s_waitcnt vmcnt(47)
	v_mul_f32_e32 v9, v4, v185
	v_add_f32_e32 v2, v10, v142
	v_add_f32_e32 v1, v1, v143
	;; [unrolled: 1-line block ×4, first 2 shown]
	v_fma_f32 v157, v3, v181, -v9
	s_waitcnt vmcnt(46) lgkmcnt(0)
	v_mul_f32_e32 v139, v6, v186
	s_waitcnt vmcnt(45)
	v_mul_f32_e32 v140, v8, v187
	v_add_f32_e32 v2, v2, v149
	v_add_f32_e32 v138, v10, v145
	v_mul_f32_e32 v149, v3, v185
	v_mul_f32_e32 v185, v7, v187
	ds_read_b128 v[9:12], v136 offset:832
	v_add_f32_e32 v137, v2, v146
	v_add_f32_e32 v138, v138, v147
	v_fmac_f32_e32 v149, v4, v181
	v_mul_f32_e32 v181, v5, v186
	ds_read_b128 v[1:4], v136 offset:816
	v_add_f32_e32 v137, v137, v148
	v_add_f32_e32 v142, v138, v150
	s_waitcnt vmcnt(38)
	v_fmac_f32_e32 v185, v8, v194
	v_fmac_f32_e32 v181, v6, v180
	v_fma_f32 v180, v5, v180, -v139
	v_add_f32_e32 v141, v137, v151
	v_fma_f32 v151, v7, v194, -v140
	ds_read_b128 v[5:8], v136 offset:848
	ds_read_b128 v[137:140], v136 offset:864
	v_add_f32_e32 v142, v142, v152
	v_add_f32_e32 v141, v141, v173
	;; [unrolled: 1-line block ×3, first 2 shown]
	s_waitcnt lgkmcnt(3)
	v_mul_f32_e32 v145, v10, v190
	v_add_f32_e32 v141, v141, v153
	v_mul_f32_e32 v186, v9, v190
	s_waitcnt vmcnt(37)
	v_mul_f32_e32 v148, v12, v195
	v_add_f32_e32 v147, v142, v154
	s_waitcnt lgkmcnt(2)
	v_mul_f32_e32 v143, v2, v188
	v_add_f32_e32 v146, v141, v155
	v_mul_f32_e32 v150, v1, v188
	v_mul_f32_e32 v144, v4, v189
	v_add_f32_e32 v149, v147, v149
	v_fma_f32 v152, v1, v193, -v143
	v_add_f32_e32 v153, v146, v157
	v_mul_f32_e32 v173, v3, v189
	v_fmac_f32_e32 v150, v2, v193
	v_add_f32_e32 v149, v149, v181
	v_fma_f32 v188, v3, v192, -v144
	v_add_f32_e32 v153, v153, v180
	v_fmac_f32_e32 v173, v4, v192
	v_fma_f32 v155, v9, v191, -v145
	v_add_f32_e32 v149, v149, v185
	v_mul_f32_e32 v187, v11, v195
	v_fmac_f32_e32 v186, v10, v191
	ds_read_b128 v[1:4], v136 offset:880
	ds_read_b128 v[141:144], v136 offset:896
	s_waitcnt vmcnt(35) lgkmcnt(3)
	v_mul_f32_e32 v180, v5, v158
	s_waitcnt vmcnt(34)
	v_mul_f32_e32 v181, v7, v159
	v_mul_f32_e32 v154, v6, v158
	;; [unrolled: 1-line block ×3, first 2 shown]
	s_waitcnt vmcnt(33) lgkmcnt(2)
	v_mul_f32_e32 v185, v137, v160
	s_waitcnt vmcnt(30)
	v_fmac_f32_e32 v180, v6, v163
	v_add_f32_e32 v6, v153, v151
	v_fmac_f32_e32 v181, v8, v162
	v_fma_f32 v158, v7, v162, -v158
	v_fma_f32 v159, v5, v163, -v154
	v_add_f32_e32 v163, v149, v150
	v_add_f32_e32 v162, v6, v152
	s_waitcnt vmcnt(29)
	v_fma_f32 v157, v11, v201, -v148
	v_fmac_f32_e32 v187, v12, v201
	v_mul_f32_e32 v160, v138, v160
	v_add_f32_e32 v163, v163, v173
	v_add_f32_e32 v162, v162, v188
	v_fmac_f32_e32 v185, v138, v161
	ds_read_b128 v[9:12], v136 offset:912
	ds_read_b128 v[145:148], v136 offset:928
	v_fma_f32 v137, v137, v161, -v160
	v_add_f32_e32 v163, v163, v186
	v_add_f32_e32 v155, v162, v155
	s_waitcnt vmcnt(28)
	v_mul_f32_e32 v173, v139, v164
	v_mul_f32_e32 v164, v140, v164
	s_waitcnt vmcnt(27) lgkmcnt(3)
	v_mul_f32_e32 v162, v1, v165
	v_add_f32_e32 v160, v163, v187
	v_add_f32_e32 v155, v155, v157
	v_mul_f32_e32 v163, v2, v165
	s_waitcnt vmcnt(26)
	v_mul_f32_e32 v186, v3, v166
	s_waitcnt vmcnt(21)
	v_fma_f32 v139, v139, v171, -v164
	v_fmac_f32_e32 v173, v140, v171
	v_add_f32_e32 v155, v155, v159
	v_add_f32_e32 v159, v160, v180
	v_fmac_f32_e32 v162, v2, v170
	v_fma_f32 v1, v1, v170, -v163
	s_waitcnt lgkmcnt(2)
	v_mul_f32_e32 v138, v141, v167
	v_add_f32_e32 v155, v155, v158
	v_add_f32_e32 v158, v159, v181
	v_mul_f32_e32 v159, v4, v166
	v_fmac_f32_e32 v186, v4, v169
	v_fmac_f32_e32 v138, v142, v168
	v_add_f32_e32 v137, v155, v137
	v_add_f32_e32 v155, v158, v185
	v_fma_f32 v3, v3, v169, -v159
	s_waitcnt vmcnt(20)
	v_mul_f32_e32 v4, v144, v172
	v_mul_f32_e32 v157, v143, v172
	v_add_f32_e32 v2, v137, v139
	v_add_f32_e32 v137, v155, v173
	v_mul_f32_e32 v139, v142, v167
	s_waitcnt vmcnt(19) lgkmcnt(1)
	v_mul_f32_e32 v161, v9, v175
	ds_read_b128 v[5:8], v136 offset:944
	ds_read_b128 v[149:152], v136 offset:960
	ds_read_b64 v[153:154], v136 offset:976
	v_add_f32_e32 v1, v2, v1
	v_add_f32_e32 v2, v137, v162
	v_fma_f32 v137, v141, v168, -v139
	s_waitcnt vmcnt(18)
	v_mul_f32_e32 v140, v11, v174
	s_waitcnt vmcnt(17) lgkmcnt(3)
	v_mul_f32_e32 v164, v145, v176
	v_add_f32_e32 v1, v1, v3
	v_add_f32_e32 v2, v2, v186
	v_mul_f32_e32 v3, v10, v175
	s_waitcnt vmcnt(7)
	v_fma_f32 v4, v143, v204, -v4
	v_fmac_f32_e32 v157, v144, v204
	v_add_f32_e32 v1, v1, v137
	v_add_f32_e32 v2, v2, v138
	v_mul_f32_e32 v137, v12, v174
	v_fma_f32 v3, v9, v203, -v3
	v_fmac_f32_e32 v161, v10, v203
	v_add_f32_e32 v1, v1, v4
	v_add_f32_e32 v2, v2, v157
	v_mul_f32_e32 v4, v146, v176
	;; [unrolled: 5-line block ×3, first 2 shown]
	v_fma_f32 v4, v145, v183, -v4
	v_mul_f32_e32 v160, v147, v177
	v_add_f32_e32 v1, v1, v9
	v_fmac_f32_e32 v164, v146, v183
	v_add_f32_e32 v2, v2, v140
	s_waitcnt lgkmcnt(2)
	v_mul_f32_e32 v9, v6, v178
	v_mul_f32_e32 v165, v5, v178
	s_waitcnt vmcnt(3)
	v_fma_f32 v3, v147, v205, -v3
	v_add_f32_e32 v1, v1, v4
	v_fmac_f32_e32 v160, v148, v205
	v_add_f32_e32 v2, v2, v164
	v_mul_f32_e32 v4, v8, v197
	v_fma_f32 v5, v5, v184, -v9
	v_add_f32_e32 v1, v1, v3
	v_mul_f32_e32 v171, v7, v197
	v_fmac_f32_e32 v165, v6, v184
	v_add_f32_e32 v2, v2, v160
	s_waitcnt lgkmcnt(1)
	v_mul_f32_e32 v3, v150, v198
	v_fma_f32 v4, v7, v182, -v4
	v_add_f32_e32 v1, v1, v5
	v_mul_f32_e32 v166, v149, v198
	v_fmac_f32_e32 v171, v8, v182
	v_add_f32_e32 v2, v2, v165
	v_mul_f32_e32 v5, v152, v199
	v_fma_f32 v3, v149, v156, -v3
	v_add_f32_e32 v1, v1, v4
	v_mul_f32_e32 v180, v151, v199
	v_fmac_f32_e32 v166, v150, v156
	v_add_f32_e32 v2, v2, v171
	s_waitcnt lgkmcnt(0)
	v_mul_f32_e32 v4, v154, v179
	s_waitcnt vmcnt(1)
	v_fma_f32 v5, v151, v207, -v5
	v_add_f32_e32 v1, v1, v3
	v_mul_f32_e32 v158, v153, v179
	v_fmac_f32_e32 v180, v152, v207
	v_add_f32_e32 v2, v2, v166
	v_fma_f32 v3, v153, v206, -v4
	v_add_f32_e32 v1, v1, v5
	v_fmac_f32_e32 v158, v154, v206
	v_add_f32_e32 v2, v2, v180
	v_add_f32_e32 v1, v1, v3
	;; [unrolled: 1-line block ×3, first 2 shown]
	s_waitcnt vmcnt(0)
	v_sub_f32_e32 v1, v208, v1
	v_sub_f32_e32 v2, v196, v2
	buffer_store_dword v1, off, s[0:3], 0 offset:152
	buffer_store_dword v2, off, s[0:3], 0 offset:156
	v_cmpx_lt_u32_e32 18, v0
	s_cbranch_execz .LBB60_343
; %bb.342:
	s_clause 0x1
	buffer_load_dword v1, off, s[0:3], 0 offset:144
	buffer_load_dword v2, off, s[0:3], 0 offset:148
	buffer_store_dword v136, off, s[0:3], 0 offset:144
	buffer_store_dword v136, off, s[0:3], 0 offset:148
	s_waitcnt vmcnt(0)
	ds_write_b64 v135, v[1:2]
.LBB60_343:
	s_or_b32 exec_lo, exec_lo, s4
	s_waitcnt lgkmcnt(0)
	s_waitcnt_vscnt null, 0x0
	s_barrier
	buffer_gl0_inv
	s_clause 0x24
	buffer_load_dword v137, off, s[0:3], 0 offset:156
	buffer_load_dword v138, off, s[0:3], 0 offset:164
	;; [unrolled: 1-line block ×37, first 2 shown]
	ds_read2_b64 v[9:12], v136 offset0:81 offset1:82
	ds_read2_b64 v[5:8], v136 offset0:83 offset1:84
	s_clause 0x8
	buffer_load_dword v182, off, s[0:3], 0 offset:300
	buffer_load_dword v177, off, s[0:3], 0 offset:308
	;; [unrolled: 1-line block ×9, first 2 shown]
	ds_read2_b64 v[1:4], v136 offset0:85 offset1:86
	ds_read2_b64 v[183:186], v136 offset0:87 offset1:88
	;; [unrolled: 1-line block ×4, first 2 shown]
	buffer_load_dword v195, off, s[0:3], 0 offset:148
	s_mov_b32 s4, exec_lo
	s_waitcnt vmcnt(46) lgkmcnt(5)
	v_mul_f32_e32 v196, v9, v137
	s_waitcnt vmcnt(45)
	v_mul_f32_e32 v197, v11, v138
	v_mul_f32_e32 v137, v10, v137
	v_mul_f32_e32 v138, v12, v138
	s_waitcnt vmcnt(44) lgkmcnt(4)
	v_mul_f32_e32 v198, v5, v140
	v_mul_f32_e32 v140, v6, v140
	s_waitcnt vmcnt(41)
	v_fmac_f32_e32 v196, v10, v143
	v_fma_f32 v137, v9, v143, -v137
	s_waitcnt vmcnt(40)
	v_mul_f32_e32 v143, v7, v142
	v_mul_f32_e32 v9, v8, v142
	v_fmac_f32_e32 v197, v12, v141
	v_fma_f32 v138, v11, v141, -v138
	s_waitcnt vmcnt(35) lgkmcnt(3)
	v_mul_f32_e32 v141, v1, v150
	v_mul_f32_e32 v150, v2, v150
	v_fmac_f32_e32 v198, v6, v139
	v_fma_f32 v139, v5, v139, -v140
	v_fmac_f32_e32 v143, v8, v153
	v_fma_f32 v140, v7, v153, -v9
	s_waitcnt vmcnt(34)
	v_mul_f32_e32 v142, v3, v151
	v_mul_f32_e32 v151, v4, v151
	s_waitcnt vmcnt(33) lgkmcnt(2)
	v_mul_f32_e32 v153, v183, v149
	v_mul_f32_e32 v149, v184, v149
	v_fmac_f32_e32 v141, v2, v147
	v_fma_f32 v147, v1, v147, -v150
	s_waitcnt vmcnt(32)
	v_mul_f32_e32 v150, v185, v148
	v_mul_f32_e32 v1, v186, v148
	ds_read2_b64 v[5:8], v136 offset0:93 offset1:94
	ds_read2_b64 v[9:12], v136 offset0:95 offset1:96
	v_fmac_f32_e32 v142, v4, v145
	v_fma_f32 v145, v3, v145, -v151
	s_waitcnt vmcnt(31) lgkmcnt(3)
	v_mul_f32_e32 v151, v187, v146
	s_waitcnt vmcnt(30)
	v_mul_f32_e32 v148, v189, v152
	v_mul_f32_e32 v2, v188, v146
	;; [unrolled: 1-line block ×3, first 2 shown]
	v_fmac_f32_e32 v153, v184, v144
	v_fma_f32 v144, v183, v144, -v149
	s_waitcnt vmcnt(26)
	v_fmac_f32_e32 v150, v186, v164
	v_fma_f32 v146, v185, v164, -v1
	s_clause 0x7
	buffer_load_dword v149, off, s[0:3], 0 offset:340
	buffer_load_dword v152, off, s[0:3], 0 offset:344
	;; [unrolled: 1-line block ×8, first 2 shown]
	v_fmac_f32_e32 v151, v188, v159
	v_fmac_f32_e32 v148, v190, v157
	v_fma_f32 v159, v187, v159, -v2
	v_fma_f32 v157, v189, v157, -v3
	ds_read2_b64 v[1:4], v136 offset0:97 offset1:98
	s_waitcnt vmcnt(33) lgkmcnt(3)
	v_mul_f32_e32 v187, v191, v158
	v_mul_f32_e32 v158, v192, v158
	s_waitcnt vmcnt(32)
	v_mul_f32_e32 v189, v193, v156
	v_mul_f32_e32 v156, v194, v156
	buffer_load_dword v188, off, s[0:3], 0 offset:372
	v_fmac_f32_e32 v187, v192, v154
	v_fma_f32 v154, v191, v154, -v158
	s_waitcnt vmcnt(32) lgkmcnt(2)
	v_mul_f32_e32 v158, v5, v155
	s_waitcnt vmcnt(28)
	v_fmac_f32_e32 v189, v194, v170
	v_fma_f32 v156, v193, v170, -v156
	s_waitcnt vmcnt(27)
	v_mul_f32_e32 v170, v7, v169
	v_mul_f32_e32 v155, v6, v155
	;; [unrolled: 1-line block ×3, first 2 shown]
	s_waitcnt vmcnt(26) lgkmcnt(1)
	v_mul_f32_e32 v190, v9, v168
	v_mul_f32_e32 v168, v10, v168
	v_fmac_f32_e32 v158, v6, v167
	v_fmac_f32_e32 v170, v8, v166
	v_fma_f32 v155, v5, v167, -v155
	v_fma_f32 v166, v7, v166, -v169
	s_clause 0x4
	buffer_load_dword v167, off, s[0:3], 0 offset:380
	buffer_load_dword v169, off, s[0:3], 0 offset:392
	;; [unrolled: 1-line block ×5, first 2 shown]
	s_waitcnt vmcnt(30)
	v_mul_f32_e32 v194, v11, v165
	v_mul_f32_e32 v165, v12, v165
	v_fmac_f32_e32 v190, v10, v162
	v_fma_f32 v162, v9, v162, -v168
	s_waitcnt vmcnt(25) lgkmcnt(0)
	v_mul_f32_e32 v168, v1, v180
	v_mul_f32_e32 v9, v2, v180
	ds_read2_b64 v[5:8], v136 offset0:99 offset1:100
	v_fmac_f32_e32 v194, v12, v181
	v_fma_f32 v165, v11, v181, -v165
	s_clause 0x1
	buffer_load_dword v180, off, s[0:3], 0 offset:388
	buffer_load_dword v181, off, s[0:3], 0 offset:396
	v_fmac_f32_e32 v168, v2, v176
	v_fma_f32 v176, v1, v176, -v9
	v_add_f32_e32 v1, 0, v196
	s_waitcnt vmcnt(26)
	v_mul_f32_e32 v200, v3, v178
	v_mul_f32_e32 v10, v4, v178
	s_clause 0x2
	buffer_load_dword v178, off, s[0:3], 0 offset:404
	buffer_load_dword v201, off, s[0:3], 0 offset:412
	;; [unrolled: 1-line block ×3, first 2 shown]
	v_add_f32_e32 v1, v1, v197
	s_clause 0x6
	buffer_load_dword v196, off, s[0:3], 0 offset:428
	buffer_load_dword v203, off, s[0:3], 0 offset:436
	;; [unrolled: 1-line block ×7, first 2 shown]
	v_add_f32_e32 v1, v1, v198
	s_clause 0x4
	buffer_load_dword v198, off, s[0:3], 0 offset:476
	buffer_load_dword v208, off, s[0:3], 0 offset:424
	;; [unrolled: 1-line block ×5, first 2 shown]
	v_add_f32_e32 v2, 0, v137
	v_fmac_f32_e32 v200, v4, v175
	v_add_f32_e32 v1, v1, v143
	v_fma_f32 v175, v3, v175, -v10
	s_waitcnt vmcnt(40) lgkmcnt(0)
	v_mul_f32_e32 v3, v6, v182
	v_add_f32_e32 v2, v2, v138
	v_add_f32_e32 v1, v1, v141
	;; [unrolled: 1-line block ×6, first 2 shown]
	s_clause 0x6
	buffer_load_dword v153, off, s[0:3], 0 offset:456
	buffer_load_dword v212, off, s[0:3], 0 offset:448
	;; [unrolled: 1-line block ×7, first 2 shown]
	v_add_f32_e32 v2, v2, v147
	v_add_f32_e32 v1, v1, v150
	s_waitcnt vmcnt(46)
	v_mul_f32_e32 v150, v7, v177
	v_add_f32_e32 v2, v2, v145
	v_mul_f32_e32 v145, v5, v182
	v_add_f32_e32 v1, v1, v151
	s_waitcnt vmcnt(39)
	v_fmac_f32_e32 v150, v8, v179
	v_add_f32_e32 v2, v2, v144
	v_fmac_f32_e32 v145, v6, v160
	v_add_f32_e32 v1, v1, v148
	v_add_f32_e32 v2, v2, v146
	v_fma_f32 v146, v5, v160, -v3
	v_add_f32_e32 v6, v1, v187
	v_add_f32_e32 v2, v2, v159
	buffer_load_dword v159, off, s[0:3], 0 offset:144
	v_add_f32_e32 v10, v6, v189
	v_add_f32_e32 v2, v2, v157
	;; [unrolled: 1-line block ×4, first 2 shown]
	ds_read2_b64 v[1:4], v136 offset0:101 offset1:102
	v_add_f32_e32 v138, v138, v170
	v_add_f32_e32 v9, v5, v156
	v_mul_f32_e32 v5, v8, v177
	v_add_f32_e32 v137, v9, v155
	v_fma_f32 v151, v7, v179, -v5
	ds_read2_b64 v[5:8], v136 offset0:103 offset1:104
	ds_read2_b64 v[9:12], v136 offset0:105 offset1:106
	v_add_f32_e32 v137, v137, v166
	v_add_f32_e32 v141, v137, v162
	s_waitcnt lgkmcnt(2)
	v_mul_f32_e32 v139, v2, v173
	v_mul_f32_e32 v154, v1, v173
	;; [unrolled: 1-line block ×3, first 2 shown]
	v_fma_f32 v155, v1, v174, -v139
	v_add_f32_e32 v1, v138, v190
	v_fmac_f32_e32 v154, v2, v174
	v_add_f32_e32 v2, v141, v165
	ds_read2_b64 v[137:140], v136 offset0:107 offset1:108
	v_mul_f32_e32 v141, v4, v172
	v_add_f32_e32 v1, v1, v194
	s_waitcnt lgkmcnt(2)
	v_mul_f32_e32 v157, v5, v171
	v_mul_f32_e32 v142, v6, v171
	v_add_f32_e32 v2, v2, v176
	v_fmac_f32_e32 v156, v4, v163
	v_add_f32_e32 v1, v1, v168
	v_fmac_f32_e32 v157, v6, v161
	v_fma_f32 v161, v5, v161, -v142
	v_add_f32_e32 v5, v2, v175
	v_add_f32_e32 v6, v1, v200
	s_waitcnt vmcnt(38)
	v_mul_f32_e32 v158, v7, v149
	v_mul_f32_e32 v147, v8, v149
	s_waitcnt vmcnt(36) lgkmcnt(1)
	v_mul_f32_e32 v160, v9, v164
	v_mul_f32_e32 v148, v10, v164
	v_fma_f32 v149, v3, v163, -v141
	s_waitcnt vmcnt(33) lgkmcnt(0)
	v_mul_f32_e32 v165, v137, v185
	ds_read2_b64 v[1:4], v136 offset0:109 offset1:110
	ds_read2_b64 v[141:144], v136 offset0:111 offset1:112
	v_fmac_f32_e32 v160, v10, v152
	v_add_f32_e32 v10, v5, v146
	v_fma_f32 v163, v9, v152, -v148
	v_add_f32_e32 v9, v6, v145
	s_waitcnt vmcnt(31)
	v_fma_f32 v162, v7, v199, -v147
	v_fmac_f32_e32 v158, v8, v199
	v_add_f32_e32 v10, v10, v151
	v_mul_f32_e32 v151, v12, v184
	v_add_f32_e32 v9, v9, v150
	v_mul_f32_e32 v150, v138, v185
	v_mul_f32_e32 v164, v11, v184
	v_add_f32_e32 v10, v10, v155
	v_fma_f32 v168, v11, v183, -v151
	s_waitcnt vmcnt(30)
	v_mul_f32_e32 v155, v139, v188
	v_fma_f32 v170, v137, v186, -v150
	v_add_f32_e32 v137, v9, v154
	v_add_f32_e32 v154, v10, v149
	v_fmac_f32_e32 v164, v12, v183
	v_mul_f32_e32 v166, v140, v188
	v_fmac_f32_e32 v165, v138, v186
	v_add_f32_e32 v156, v137, v156
	v_add_f32_e32 v154, v154, v161
	s_waitcnt vmcnt(29) lgkmcnt(1)
	v_mul_f32_e32 v161, v2, v167
	ds_read2_b64 v[5:8], v136 offset0:113 offset1:114
	ds_read2_b64 v[145:148], v136 offset0:115 offset1:116
	;; [unrolled: 1-line block ×4, first 2 shown]
	v_add_f32_e32 v156, v156, v157
	v_add_f32_e32 v154, v154, v162
	s_waitcnt vmcnt(25)
	v_fmac_f32_e32 v155, v140, v193
	v_fma_f32 v140, v139, v193, -v166
	v_mul_f32_e32 v166, v1, v167
	v_add_f32_e32 v156, v156, v158
	v_add_f32_e32 v154, v154, v163
	v_fma_f32 v1, v1, v192, -v161
	ds_read2_b64 v[136:139], v136 offset0:121 offset1:122
	s_waitcnt vmcnt(24)
	v_mul_f32_e32 v167, v4, v180
	v_add_f32_e32 v156, v156, v160
	v_add_f32_e32 v154, v154, v168
	v_mul_f32_e32 v157, v3, v180
	v_fmac_f32_e32 v166, v2, v192
	v_fma_f32 v3, v3, v191, -v167
	v_add_f32_e32 v156, v156, v164
	v_add_f32_e32 v154, v154, v170
	s_waitcnt vmcnt(23) lgkmcnt(5)
	v_mul_f32_e32 v162, v141, v181
	v_fmac_f32_e32 v157, v4, v191
	s_waitcnt vmcnt(22)
	v_mul_f32_e32 v158, v143, v178
	v_add_f32_e32 v156, v156, v165
	v_add_f32_e32 v140, v154, v140
	v_fmac_f32_e32 v162, v142, v169
	s_waitcnt vmcnt(21) lgkmcnt(4)
	v_mul_f32_e32 v171, v5, v201
	s_waitcnt vmcnt(20)
	v_mul_f32_e32 v163, v7, v202
	v_add_f32_e32 v154, v156, v155
	v_mul_f32_e32 v155, v142, v181
	v_add_f32_e32 v1, v140, v1
	v_mul_f32_e32 v140, v144, v178
	s_waitcnt vmcnt(8)
	v_fmac_f32_e32 v158, v144, v211
	v_add_f32_e32 v4, v154, v166
	v_fma_f32 v141, v141, v169, -v155
	v_add_f32_e32 v1, v1, v3
	v_fma_f32 v140, v143, v211, -v140
	v_fmac_f32_e32 v171, v6, v210
	v_add_f32_e32 v3, v4, v157
	v_mul_f32_e32 v4, v6, v201
	v_add_f32_e32 v1, v1, v141
	v_mul_f32_e32 v141, v8, v202
	s_waitcnt lgkmcnt(3)
	v_mul_f32_e32 v160, v145, v196
	v_add_f32_e32 v3, v3, v162
	v_fma_f32 v4, v5, v210, -v4
	v_add_f32_e32 v1, v1, v140
	v_mul_f32_e32 v5, v146, v196
	v_fma_f32 v6, v7, v209, -v141
	v_add_f32_e32 v3, v3, v158
	v_fmac_f32_e32 v163, v8, v209
	v_add_f32_e32 v1, v1, v4
	v_mul_f32_e32 v4, v148, v203
	v_fma_f32 v5, v145, v208, -v5
	v_add_f32_e32 v3, v3, v171
	v_mul_f32_e32 v172, v147, v203
	v_add_f32_e32 v1, v1, v6
	v_fmac_f32_e32 v160, v146, v208
	s_waitcnt lgkmcnt(2)
	v_mul_f32_e32 v6, v10, v204
	v_add_f32_e32 v3, v3, v163
	s_waitcnt vmcnt(4)
	v_fma_f32 v4, v147, v214, -v4
	v_add_f32_e32 v1, v1, v5
	v_mul_f32_e32 v168, v9, v204
	v_fmac_f32_e32 v172, v148, v214
	v_add_f32_e32 v3, v3, v160
	v_mul_f32_e32 v5, v12, v197
	v_fma_f32 v6, v9, v213, -v6
	v_add_f32_e32 v1, v1, v4
	v_mul_f32_e32 v164, v11, v197
	v_fmac_f32_e32 v168, v10, v213
	v_add_f32_e32 v3, v3, v172
	s_waitcnt lgkmcnt(1)
	v_mul_f32_e32 v4, v150, v205
	v_fma_f32 v5, v11, v212, -v5
	v_add_f32_e32 v1, v1, v6
	v_mul_f32_e32 v173, v149, v205
	v_fmac_f32_e32 v164, v12, v212
	v_add_f32_e32 v3, v3, v168
	v_mul_f32_e32 v6, v152, v206
	v_fma_f32 v4, v149, v153, -v4
	v_add_f32_e32 v1, v1, v5
	v_mul_f32_e32 v170, v151, v206
	v_fmac_f32_e32 v173, v150, v153
	v_add_f32_e32 v3, v3, v164
	s_waitcnt lgkmcnt(0)
	v_mul_f32_e32 v5, v137, v198
	s_waitcnt vmcnt(1)
	v_fma_f32 v6, v151, v217, -v6
	v_add_f32_e32 v1, v1, v4
	v_mul_f32_e32 v165, v136, v198
	v_fmac_f32_e32 v170, v152, v217
	v_add_f32_e32 v3, v3, v173
	v_mul_f32_e32 v4, v139, v207
	v_fma_f32 v5, v136, v216, -v5
	v_add_f32_e32 v1, v1, v6
	v_mul_f32_e32 v2, v138, v207
	v_fmac_f32_e32 v165, v137, v216
	v_add_f32_e32 v3, v3, v170
	v_fma_f32 v4, v138, v215, -v4
	v_add_f32_e32 v1, v1, v5
	v_fmac_f32_e32 v2, v139, v215
	v_add_f32_e32 v3, v3, v165
	v_add_f32_e32 v1, v1, v4
	;; [unrolled: 1-line block ×3, first 2 shown]
	s_waitcnt vmcnt(0)
	v_sub_f32_e32 v1, v159, v1
	v_sub_f32_e32 v2, v195, v2
	buffer_store_dword v1, off, s[0:3], 0 offset:144
	buffer_store_dword v2, off, s[0:3], 0 offset:148
	v_cmpx_lt_u32_e32 17, v0
	s_cbranch_execz .LBB60_345
; %bb.344:
	s_clause 0x1
	buffer_load_dword v1, off, s[0:3], 0 offset:136
	buffer_load_dword v2, off, s[0:3], 0 offset:140
	v_mov_b32_e32 v3, 0
	buffer_store_dword v3, off, s[0:3], 0 offset:136
	buffer_store_dword v3, off, s[0:3], 0 offset:140
	s_waitcnt vmcnt(0)
	ds_write_b64 v135, v[1:2]
.LBB60_345:
	s_or_b32 exec_lo, exec_lo, s4
	s_waitcnt lgkmcnt(0)
	s_waitcnt_vscnt null, 0x0
	s_barrier
	buffer_gl0_inv
	s_clause 0x25
	buffer_load_dword v138, off, s[0:3], 0 offset:148
	buffer_load_dword v139, off, s[0:3], 0 offset:156
	;; [unrolled: 1-line block ×38, first 2 shown]
	v_mov_b32_e32 v136, 0
	ds_read_b128 v[9:12], v136 offset:640
	ds_read_b128 v[1:4], v136 offset:656
	s_clause 0x7
	buffer_load_dword v179, off, s[0:3], 0 offset:300
	buffer_load_dword v176, off, s[0:3], 0 offset:308
	;; [unrolled: 1-line block ×8, first 2 shown]
	ds_read_b128 v[5:8], v136 offset:672
	s_clause 0x9
	buffer_load_dword v174, off, s[0:3], 0 offset:332
	buffer_load_dword v161, off, s[0:3], 0 offset:336
	;; [unrolled: 1-line block ×10, first 2 shown]
	ds_read_b128 v[186:189], v136 offset:688
	s_mov_b32 s4, exec_lo
	s_waitcnt vmcnt(55) lgkmcnt(3)
	v_mul_f32_e32 v197, v9, v138
	v_mul_f32_e32 v138, v10, v138
	s_waitcnt vmcnt(54)
	v_mul_f32_e32 v198, v11, v139
	v_mul_f32_e32 v139, v12, v139
	s_waitcnt vmcnt(51)
	v_fmac_f32_e32 v197, v10, v144
	v_fma_f32 v144, v9, v144, -v138
	s_waitcnt vmcnt(50) lgkmcnt(2)
	v_mul_f32_e32 v199, v1, v143
	v_mul_f32_e32 v138, v2, v143
	v_fmac_f32_e32 v198, v12, v141
	v_fma_f32 v141, v11, v141, -v139
	ds_read_b128 v[9:12], v136 offset:704
	s_waitcnt vmcnt(49)
	v_mul_f32_e32 v143, v3, v142
	v_mul_f32_e32 v139, v4, v142
	v_fmac_f32_e32 v199, v2, v137
	v_fma_f32 v142, v1, v137, -v138
	s_waitcnt vmcnt(48) lgkmcnt(2)
	v_mul_f32_e32 v200, v5, v140
	v_mul_f32_e32 v137, v6, v140
	s_waitcnt vmcnt(44)
	v_fmac_f32_e32 v143, v4, v152
	v_fma_f32 v152, v3, v152, -v139
	ds_read_b128 v[1:4], v136 offset:720
	s_waitcnt vmcnt(43)
	v_mul_f32_e32 v201, v7, v150
	v_mul_f32_e32 v138, v8, v150
	v_fmac_f32_e32 v200, v6, v148
	v_fma_f32 v148, v5, v148, -v137
	s_waitcnt vmcnt(42) lgkmcnt(2)
	v_mul_f32_e32 v150, v186, v149
	v_fmac_f32_e32 v201, v8, v146
	v_fma_f32 v146, v7, v146, -v138
	ds_read_b128 v[5:8], v136 offset:736
	v_mul_f32_e32 v137, v187, v149
	s_waitcnt vmcnt(41)
	v_mul_f32_e32 v149, v188, v147
	v_mul_f32_e32 v138, v189, v147
	s_waitcnt vmcnt(40) lgkmcnt(2)
	v_mul_f32_e32 v147, v9, v151
	v_mul_f32_e32 v151, v10, v151
	v_fmac_f32_e32 v150, v187, v145
	v_fma_f32 v145, v186, v145, -v137
	s_waitcnt vmcnt(36)
	v_fmac_f32_e32 v149, v189, v160
	v_fma_f32 v160, v188, v160, -v138
	ds_read_b128 v[137:140], v136 offset:752
	s_waitcnt vmcnt(35)
	v_mul_f32_e32 v186, v11, v159
	v_mul_f32_e32 v159, v12, v159
	v_fmac_f32_e32 v147, v10, v156
	v_fma_f32 v151, v9, v156, -v151
	s_waitcnt vmcnt(34) lgkmcnt(2)
	v_mul_f32_e32 v156, v1, v157
	v_mul_f32_e32 v157, v2, v157
	v_fmac_f32_e32 v186, v12, v154
	v_fma_f32 v154, v11, v154, -v159
	ds_read_b128 v[9:12], v136 offset:768
	v_fmac_f32_e32 v156, v2, v153
	v_fma_f32 v153, v1, v153, -v157
	s_waitcnt vmcnt(32) lgkmcnt(2)
	v_mul_f32_e32 v157, v5, v158
	v_mul_f32_e32 v1, v6, v158
	;; [unrolled: 1-line block ×4, first 2 shown]
	s_waitcnt vmcnt(27)
	v_mul_f32_e32 v2, v8, v170
	v_fmac_f32_e32 v157, v6, v167
	v_add_f32_e32 v6, 0, v197
	v_fmac_f32_e32 v159, v4, v171
	v_fma_f32 v155, v3, v171, -v155
	v_mul_f32_e32 v171, v7, v170
	s_waitcnt vmcnt(26) lgkmcnt(1)
	v_mul_f32_e32 v158, v137, v169
	v_add_f32_e32 v6, v6, v198
	v_mul_f32_e32 v3, v138, v169
	s_waitcnt vmcnt(25)
	v_mul_f32_e32 v169, v139, v168
	v_mul_f32_e32 v4, v140, v168
	s_clause 0x6
	buffer_load_dword v168, off, s[0:3], 0 offset:372
	buffer_load_dword v170, off, s[0:3], 0 offset:384
	;; [unrolled: 1-line block ×7, first 2 shown]
	v_add_f32_e32 v6, v6, v199
	v_fma_f32 v167, v5, v167, -v1
	v_fmac_f32_e32 v158, v138, v164
	v_fma_f32 v137, v137, v164, -v3
	s_waitcnt vmcnt(27) lgkmcnt(0)
	v_mul_f32_e32 v164, v9, v183
	v_mul_f32_e32 v5, v10, v183
	v_add_f32_e32 v6, v6, v143
	v_fmac_f32_e32 v171, v8, v166
	v_fma_f32 v166, v7, v166, -v2
	v_fmac_f32_e32 v169, v140, v184
	v_fma_f32 v138, v139, v184, -v4
	buffer_load_dword v183, off, s[0:3], 0 offset:396
	s_waitcnt vmcnt(27)
	v_mul_f32_e32 v184, v11, v178
	v_fmac_f32_e32 v164, v10, v180
	v_fma_f32 v180, v9, v180, -v5
	v_add_f32_e32 v5, 0, v144
	v_mul_f32_e32 v7, v12, v178
	v_add_f32_e32 v6, v6, v200
	ds_read_b128 v[1:4], v136 offset:784
	s_clause 0x1
	buffer_load_dword v197, off, s[0:3], 0 offset:404
	buffer_load_dword v198, off, s[0:3], 0 offset:412
	v_add_f32_e32 v5, v5, v141
	buffer_load_dword v178, off, s[0:3], 0 offset:420
	v_fmac_f32_e32 v184, v12, v175
	v_fma_f32 v141, v11, v175, -v7
	s_clause 0x7
	buffer_load_dword v175, off, s[0:3], 0 offset:428
	buffer_load_dword v199, off, s[0:3], 0 offset:436
	;; [unrolled: 1-line block ×8, first 2 shown]
	v_add_f32_e32 v6, v6, v201
	s_clause 0x3
	buffer_load_dword v201, off, s[0:3], 0 offset:416
	buffer_load_dword v209, off, s[0:3], 0 offset:408
	;; [unrolled: 1-line block ×4, first 2 shown]
	v_add_f32_e32 v5, v5, v142
	s_clause 0x3
	buffer_load_dword v212, off, s[0:3], 0 offset:448
	buffer_load_dword v213, off, s[0:3], 0 offset:440
	buffer_load_dword v214, off, s[0:3], 0 offset:432
	buffer_load_dword v215, off, s[0:3], 0 offset:424
	v_add_f32_e32 v6, v6, v150
	v_add_f32_e32 v5, v5, v152
	;; [unrolled: 1-line block ×3, first 2 shown]
	s_waitcnt vmcnt(45) lgkmcnt(0)
	v_mul_f32_e32 v142, v1, v182
	v_add_f32_e32 v5, v5, v148
	v_mul_f32_e32 v7, v2, v182
	v_add_f32_e32 v6, v6, v147
	v_fmac_f32_e32 v142, v2, v162
	v_add_f32_e32 v5, v5, v146
	v_fma_f32 v143, v1, v162, -v7
	v_add_f32_e32 v6, v6, v186
	v_add_f32_e32 v5, v5, v145
	s_waitcnt vmcnt(44)
	v_mul_f32_e32 v145, v3, v179
	v_add_f32_e32 v6, v6, v156
	v_add_f32_e32 v5, v5, v160
	s_clause 0x4
	buffer_load_dword v160, off, s[0:3], 0 offset:480
	buffer_load_dword v186, off, s[0:3], 0 offset:472
	;; [unrolled: 1-line block ×5, first 2 shown]
	v_add_f32_e32 v1, v6, v159
	s_waitcnt vmcnt(42)
	v_fmac_f32_e32 v145, v4, v181
	v_add_f32_e32 v5, v5, v151
	v_add_f32_e32 v9, v1, v157
	v_mul_f32_e32 v1, v4, v179
	v_add_f32_e32 v5, v5, v154
	v_add_f32_e32 v139, v9, v171
	v_fma_f32 v146, v3, v181, -v1
	v_add_f32_e32 v5, v5, v153
	v_add_f32_e32 v139, v139, v158
	;; [unrolled: 1-line block ×3, first 2 shown]
	ds_read_b128 v[5:8], v136 offset:800
	v_add_f32_e32 v147, v139, v169
	v_add_f32_e32 v10, v2, v167
	ds_read_b128 v[1:4], v136 offset:816
	v_add_f32_e32 v140, v10, v166
	ds_read_b128 v[9:12], v136 offset:832
	v_add_f32_e32 v137, v140, v137
	s_waitcnt lgkmcnt(2)
	v_mul_f32_e32 v144, v6, v176
	v_mul_f32_e32 v149, v5, v176
	;; [unrolled: 1-line block ×3, first 2 shown]
	v_fma_f32 v150, v5, v177, -v144
	v_add_f32_e32 v5, v137, v138
	ds_read_b128 v[137:140], v136 offset:848
	v_fmac_f32_e32 v149, v6, v177
	v_add_f32_e32 v6, v147, v164
	s_waitcnt lgkmcnt(2)
	v_mul_f32_e32 v152, v1, v172
	v_add_f32_e32 v5, v5, v180
	v_mul_f32_e32 v147, v2, v172
	s_waitcnt vmcnt(39) lgkmcnt(1)
	v_mul_f32_e32 v156, v9, v190
	v_add_f32_e32 v6, v6, v184
	v_fmac_f32_e32 v152, v2, v163
	v_add_f32_e32 v5, v5, v141
	v_fma_f32 v154, v1, v163, -v147
	v_mul_f32_e32 v147, v10, v190
	v_add_f32_e32 v1, v6, v142
	v_mul_f32_e32 v144, v8, v173
	v_add_f32_e32 v2, v5, v143
	v_fmac_f32_e32 v156, v10, v161
	v_fma_f32 v158, v9, v161, -v147
	v_add_f32_e32 v10, v1, v145
	v_fma_f32 v153, v7, v165, -v144
	v_add_f32_e32 v9, v2, v146
	v_fmac_f32_e32 v151, v8, v165
	v_mul_f32_e32 v148, v4, v174
	v_add_f32_e32 v10, v10, v149
	s_waitcnt vmcnt(36) lgkmcnt(0)
	v_mul_f32_e32 v161, v137, v193
	v_add_f32_e32 v9, v9, v150
	v_mul_f32_e32 v150, v138, v193
	v_mul_f32_e32 v155, v3, v174
	v_add_f32_e32 v10, v10, v151
	s_waitcnt vmcnt(34)
	v_fma_f32 v157, v3, v195, -v148
	ds_read_b128 v[5:8], v136 offset:864
	ds_read_b128 v[141:144], v136 offset:880
	v_fma_f32 v165, v137, v194, -v150
	v_add_f32_e32 v137, v9, v153
	v_fmac_f32_e32 v155, v4, v195
	v_add_f32_e32 v166, v10, v152
	v_mul_f32_e32 v149, v12, v192
	v_mul_f32_e32 v159, v11, v192
	v_add_f32_e32 v167, v137, v154
	s_waitcnt vmcnt(33)
	v_mul_f32_e32 v163, v140, v196
	v_add_f32_e32 v155, v166, v155
	v_fma_f32 v164, v11, v191, -v149
	v_fmac_f32_e32 v159, v12, v191
	v_add_f32_e32 v157, v167, v157
	v_mul_f32_e32 v162, v139, v196
	v_add_f32_e32 v155, v155, v156
	v_fmac_f32_e32 v161, v138, v194
	ds_read_b128 v[1:4], v136 offset:896
	ds_read_b128 v[145:148], v136 offset:912
	v_add_f32_e32 v157, v157, v158
	ds_read_b128 v[9:12], v136 offset:928
	ds_read_b128 v[149:152], v136 offset:944
	v_add_f32_e32 v155, v155, v159
	v_add_f32_e32 v157, v157, v164
	;; [unrolled: 1-line block ×4, first 2 shown]
	s_waitcnt vmcnt(31) lgkmcnt(5)
	v_mul_f32_e32 v166, v5, v168
	v_mul_f32_e32 v168, v6, v168
	s_waitcnt vmcnt(27)
	v_fma_f32 v163, v139, v189, -v163
	v_fmac_f32_e32 v162, v140, v189
	s_waitcnt vmcnt(26)
	v_mul_f32_e32 v169, v8, v202
	v_fma_f32 v5, v5, v188, -v168
	v_mul_f32_e32 v167, v7, v202
	v_add_f32_e32 v157, v157, v163
	v_fmac_f32_e32 v166, v6, v188
	v_add_f32_e32 v155, v155, v162
	s_waitcnt vmcnt(25) lgkmcnt(4)
	v_mul_f32_e32 v168, v142, v203
	v_fma_f32 v7, v7, v187, -v169
	v_add_f32_e32 v5, v157, v5
	v_mul_f32_e32 v156, v141, v203
	v_fmac_f32_e32 v167, v8, v187
	v_add_f32_e32 v155, v155, v166
	s_waitcnt vmcnt(24)
	v_mul_f32_e32 v162, v144, v183
	v_fma_f32 v141, v141, v170, -v168
	v_add_f32_e32 v5, v5, v7
	v_mul_f32_e32 v158, v143, v183
	v_fmac_f32_e32 v156, v142, v170
	v_add_f32_e32 v7, v155, v167
	ds_read_b128 v[137:140], v136 offset:960
	ds_read_b64 v[153:154], v136 offset:976
	s_waitcnt vmcnt(23) lgkmcnt(5)
	v_mul_f32_e32 v6, v1, v197
	v_mul_f32_e32 v142, v2, v197
	v_add_f32_e32 v5, v5, v141
	v_add_f32_e32 v7, v7, v156
	s_waitcnt vmcnt(22)
	v_mul_f32_e32 v141, v4, v198
	v_mul_f32_e32 v159, v3, v198
	s_waitcnt vmcnt(21) lgkmcnt(4)
	v_mul_f32_e32 v164, v145, v178
	s_waitcnt vmcnt(20)
	v_mul_f32_e32 v8, v147, v175
	s_waitcnt vmcnt(19) lgkmcnt(3)
	v_mul_f32_e32 v169, v9, v199
	s_waitcnt vmcnt(10)
	v_fmac_f32_e32 v6, v2, v210
	s_waitcnt vmcnt(9)
	v_fma_f32 v143, v143, v211, -v162
	v_fmac_f32_e32 v158, v144, v211
	v_fma_f32 v1, v1, v210, -v142
	v_fma_f32 v3, v3, v209, -v141
	v_fmac_f32_e32 v159, v4, v209
	v_add_f32_e32 v2, v5, v143
	v_add_f32_e32 v5, v7, v158
	v_mul_f32_e32 v7, v146, v178
	v_mul_f32_e32 v4, v148, v175
	v_fmac_f32_e32 v164, v146, v201
	v_add_f32_e32 v1, v2, v1
	v_add_f32_e32 v2, v5, v6
	v_fma_f32 v5, v145, v201, -v7
	s_waitcnt vmcnt(5)
	v_fma_f32 v4, v147, v215, -v4
	v_fmac_f32_e32 v8, v148, v215
	v_add_f32_e32 v1, v1, v3
	v_add_f32_e32 v2, v2, v159
	v_mul_f32_e32 v3, v10, v199
	v_mul_f32_e32 v161, v11, v204
	v_fmac_f32_e32 v169, v10, v214
	v_add_f32_e32 v1, v1, v5
	v_add_f32_e32 v2, v2, v164
	v_mul_f32_e32 v5, v12, v204
	v_fma_f32 v3, v9, v214, -v3
	s_waitcnt lgkmcnt(2)
	v_mul_f32_e32 v165, v149, v205
	v_add_f32_e32 v1, v1, v4
	v_add_f32_e32 v2, v2, v8
	v_mul_f32_e32 v4, v150, v205
	v_fma_f32 v5, v11, v213, -v5
	v_fmac_f32_e32 v161, v12, v213
	v_add_f32_e32 v1, v1, v3
	v_add_f32_e32 v2, v2, v169
	v_mul_f32_e32 v3, v152, v206
	v_fma_f32 v4, v149, v212, -v4
	v_mul_f32_e32 v171, v151, v206
	v_add_f32_e32 v1, v1, v5
	v_fmac_f32_e32 v165, v150, v212
	v_add_f32_e32 v2, v2, v161
	s_waitcnt lgkmcnt(1)
	v_mul_f32_e32 v5, v138, v200
	s_waitcnt vmcnt(1)
	v_fma_f32 v3, v151, v217, -v3
	v_add_f32_e32 v1, v1, v4
	v_mul_f32_e32 v163, v137, v200
	v_fmac_f32_e32 v171, v152, v217
	v_add_f32_e32 v2, v2, v165
	v_mul_f32_e32 v4, v140, v207
	v_fma_f32 v5, v137, v216, -v5
	v_add_f32_e32 v1, v1, v3
	v_mul_f32_e32 v172, v139, v207
	v_fmac_f32_e32 v163, v138, v216
	v_add_f32_e32 v2, v2, v171
	s_waitcnt lgkmcnt(0)
	v_mul_f32_e32 v3, v154, v208
	v_fma_f32 v4, v139, v186, -v4
	v_add_f32_e32 v1, v1, v5
	v_mul_f32_e32 v157, v153, v208
	v_fmac_f32_e32 v172, v140, v186
	v_add_f32_e32 v2, v2, v163
	v_fma_f32 v3, v153, v160, -v3
	v_add_f32_e32 v1, v1, v4
	v_fmac_f32_e32 v157, v154, v160
	v_add_f32_e32 v2, v2, v172
	v_add_f32_e32 v1, v1, v3
	;; [unrolled: 1-line block ×3, first 2 shown]
	s_waitcnt vmcnt(0)
	v_sub_f32_e32 v1, v218, v1
	v_sub_f32_e32 v2, v185, v2
	buffer_store_dword v1, off, s[0:3], 0 offset:136
	buffer_store_dword v2, off, s[0:3], 0 offset:140
	v_cmpx_lt_u32_e32 16, v0
	s_cbranch_execz .LBB60_347
; %bb.346:
	s_clause 0x1
	buffer_load_dword v1, off, s[0:3], 0 offset:128
	buffer_load_dword v2, off, s[0:3], 0 offset:132
	buffer_store_dword v136, off, s[0:3], 0 offset:128
	buffer_store_dword v136, off, s[0:3], 0 offset:132
	s_waitcnt vmcnt(0)
	ds_write_b64 v135, v[1:2]
.LBB60_347:
	s_or_b32 exec_lo, exec_lo, s4
	s_waitcnt lgkmcnt(0)
	s_waitcnt_vscnt null, 0x0
	s_barrier
	buffer_gl0_inv
	s_clause 0x2b
	buffer_load_dword v157, off, s[0:3], 0 offset:140
	buffer_load_dword v158, off, s[0:3], 0 offset:148
	;; [unrolled: 1-line block ×44, first 2 shown]
	ds_read2_b64 v[9:12], v136 offset0:79 offset1:80
	s_clause 0x1
	buffer_load_dword v185, off, s[0:3], 0 offset:308
	buffer_load_dword v179, off, s[0:3], 0 offset:316
	ds_read2_b64 v[5:8], v136 offset0:81 offset1:82
	ds_read2_b64 v[1:4], v136 offset0:83 offset1:84
	s_clause 0x7
	buffer_load_dword v180, off, s[0:3], 0 offset:324
	buffer_load_dword v169, off, s[0:3], 0 offset:332
	buffer_load_dword v166, off, s[0:3], 0 offset:340
	buffer_load_dword v190, off, s[0:3], 0 offset:348
	buffer_load_dword v191, off, s[0:3], 0 offset:344
	buffer_load_dword v192, off, s[0:3], 0 offset:336
	buffer_load_dword v193, off, s[0:3], 0 offset:328
	buffer_load_dword v194, off, s[0:3], 0 offset:320
	ds_read2_b64 v[186:189], v136 offset0:85 offset1:86
	buffer_load_dword v197, off, s[0:3], 0 offset:132
	s_mov_b32 s4, exec_lo
	s_waitcnt vmcnt(54) lgkmcnt(3)
	v_mul_f32_e32 v195, v9, v157
	s_waitcnt vmcnt(53)
	v_mul_f32_e32 v196, v11, v158
	v_mul_f32_e32 v157, v10, v157
	;; [unrolled: 1-line block ×3, first 2 shown]
	s_waitcnt vmcnt(50)
	v_fmac_f32_e32 v195, v10, v143
	v_fmac_f32_e32 v196, v12, v142
	v_fma_f32 v143, v9, v143, -v157
	v_fma_f32 v142, v11, v142, -v158
	ds_read2_b64 v[9:12], v136 offset0:87 offset1:88
	s_waitcnt vmcnt(49) lgkmcnt(3)
	v_mul_f32_e32 v157, v5, v140
	v_mul_f32_e32 v140, v6, v140
	s_waitcnt vmcnt(48)
	v_mul_f32_e32 v158, v7, v139
	v_mul_f32_e32 v139, v8, v139
	s_waitcnt vmcnt(47) lgkmcnt(2)
	v_mul_f32_e32 v198, v1, v138
	v_fmac_f32_e32 v157, v6, v137
	v_fma_f32 v199, v5, v137, -v140
	s_waitcnt vmcnt(46)
	v_mul_f32_e32 v200, v3, v141
	v_mul_f32_e32 v137, v2, v138
	;; [unrolled: 1-line block ×3, first 2 shown]
	s_waitcnt vmcnt(42)
	v_fmac_f32_e32 v158, v8, v149
	v_fma_f32 v141, v7, v149, -v139
	ds_read2_b64 v[5:8], v136 offset0:89 offset1:90
	v_fmac_f32_e32 v198, v2, v148
	v_fmac_f32_e32 v200, v4, v146
	v_fma_f32 v148, v1, v148, -v137
	v_fma_f32 v146, v3, v146, -v138
	ds_read2_b64 v[1:4], v136 offset0:91 offset1:92
	s_waitcnt vmcnt(41) lgkmcnt(3)
	v_mul_f32_e32 v149, v186, v147
	v_mul_f32_e32 v137, v187, v147
	s_waitcnt vmcnt(40)
	v_mul_f32_e32 v147, v188, v145
	v_mul_f32_e32 v138, v189, v145
	s_waitcnt vmcnt(39) lgkmcnt(2)
	v_mul_f32_e32 v145, v9, v150
	v_fmac_f32_e32 v149, v187, v144
	v_fma_f32 v144, v186, v144, -v137
	s_waitcnt vmcnt(34)
	v_fmac_f32_e32 v147, v189, v159
	v_fma_f32 v159, v188, v159, -v138
	ds_read2_b64 v[137:140], v136 offset0:93 offset1:94
	v_mul_f32_e32 v186, v11, v151
	v_mul_f32_e32 v151, v12, v151
	;; [unrolled: 1-line block ×3, first 2 shown]
	v_fmac_f32_e32 v145, v10, v156
	s_waitcnt vmcnt(32) lgkmcnt(2)
	v_mul_f32_e32 v187, v7, v153
	v_fmac_f32_e32 v186, v12, v154
	v_fma_f32 v151, v11, v154, -v151
	v_mul_f32_e32 v154, v5, v155
	v_mul_f32_e32 v155, v6, v155
	;; [unrolled: 1-line block ×3, first 2 shown]
	v_fma_f32 v150, v9, v156, -v150
	ds_read2_b64 v[9:12], v136 offset0:95 offset1:96
	v_fmac_f32_e32 v154, v6, v152
	v_fma_f32 v152, v5, v152, -v155
	s_waitcnt vmcnt(31) lgkmcnt(2)
	v_mul_f32_e32 v155, v1, v160
	v_mul_f32_e32 v5, v2, v160
	buffer_load_dword v156, off, s[0:3], 0 offset:356
	s_waitcnt vmcnt(28)
	v_fmac_f32_e32 v187, v8, v173
	v_fma_f32 v153, v7, v173, -v153
	s_clause 0x3
	buffer_load_dword v160, off, s[0:3], 0 offset:376
	buffer_load_dword v173, off, s[0:3], 0 offset:368
	;; [unrolled: 1-line block ×4, first 2 shown]
	s_waitcnt vmcnt(31)
	v_mul_f32_e32 v201, v3, v172
	v_mul_f32_e32 v6, v4, v172
	v_fmac_f32_e32 v155, v2, v167
	v_fma_f32 v167, v1, v167, -v5
	s_waitcnt vmcnt(30) lgkmcnt(1)
	v_mul_f32_e32 v172, v137, v164
	s_waitcnt vmcnt(29)
	v_mul_f32_e32 v202, v139, v165
	v_mul_f32_e32 v1, v138, v164
	;; [unrolled: 1-line block ×3, first 2 shown]
	s_clause 0x2
	buffer_load_dword v164, off, s[0:3], 0 offset:364
	buffer_load_dword v165, off, s[0:3], 0 offset:372
	buffer_load_dword v203, off, s[0:3], 0 offset:380
	v_fmac_f32_e32 v201, v4, v163
	v_fma_f32 v163, v3, v163, -v6
	v_fmac_f32_e32 v172, v138, v161
	v_fma_f32 v137, v137, v161, -v1
	s_waitcnt vmcnt(28)
	v_fma_f32 v138, v139, v184, -v2
	ds_read2_b64 v[1:4], v136 offset0:97 offset1:98
	s_waitcnt vmcnt(27) lgkmcnt(1)
	v_mul_f32_e32 v5, v10, v182
	v_add_f32_e32 v6, 0, v195
	v_fmac_f32_e32 v202, v140, v184
	v_add_f32_e32 v7, 0, v143
	v_mul_f32_e32 v139, v9, v182
	v_fma_f32 v140, v9, v178, -v5
	v_add_f32_e32 v5, v6, v196
	s_waitcnt vmcnt(26)
	v_mul_f32_e32 v161, v11, v181
	v_add_f32_e32 v6, v7, v142
	v_mul_f32_e32 v8, v12, v181
	v_fmac_f32_e32 v139, v10, v178
	v_add_f32_e32 v5, v5, v157
	s_clause 0x3
	buffer_load_dword v178, off, s[0:3], 0 offset:388
	buffer_load_dword v181, off, s[0:3], 0 offset:396
	;; [unrolled: 1-line block ×4, first 2 shown]
	v_add_f32_e32 v6, v6, v199
	v_fmac_f32_e32 v161, v12, v176
	v_fma_f32 v142, v11, v176, -v8
	v_add_f32_e32 v5, v5, v158
	s_clause 0x3
	buffer_load_dword v157, off, s[0:3], 0 offset:420
	buffer_load_dword v176, off, s[0:3], 0 offset:428
	;; [unrolled: 1-line block ×4, first 2 shown]
	v_add_f32_e32 v6, v6, v141
	s_waitcnt vmcnt(33) lgkmcnt(0)
	v_mul_f32_e32 v141, v1, v174
	v_mul_f32_e32 v7, v2, v174
	v_add_f32_e32 v5, v5, v198
	s_clause 0x3
	buffer_load_dword v158, off, s[0:3], 0 offset:452
	buffer_load_dword v199, off, s[0:3], 0 offset:460
	;; [unrolled: 1-line block ×4, first 2 shown]
	v_add_f32_e32 v6, v6, v148
	buffer_load_dword v174, off, s[0:3], 0 offset:484
	v_fmac_f32_e32 v141, v2, v170
	v_fma_f32 v143, v1, v170, -v7
	v_add_f32_e32 v5, v5, v200
	s_clause 0x3
	buffer_load_dword v170, off, s[0:3], 0 offset:408
	buffer_load_dword v198, off, s[0:3], 0 offset:400
	;; [unrolled: 1-line block ×4, first 2 shown]
	v_add_f32_e32 v1, v6, v146
	v_add_f32_e32 v5, v5, v149
	;; [unrolled: 1-line block ×3, first 2 shown]
	s_waitcnt vmcnt(41)
	v_mul_f32_e32 v144, v3, v168
	v_mul_f32_e32 v1, v4, v168
	v_add_f32_e32 v5, v5, v147
	v_add_f32_e32 v6, v6, v159
	s_waitcnt vmcnt(37)
	v_fmac_f32_e32 v144, v4, v183
	v_fma_f32 v146, v3, v183, -v1
	ds_read2_b64 v[1:4], v136 offset0:99 offset1:100
	s_clause 0x3
	buffer_load_dword v159, off, s[0:3], 0 offset:440
	buffer_load_dword v168, off, s[0:3], 0 offset:432
	buffer_load_dword v183, off, s[0:3], 0 offset:424
	buffer_load_dword v207, off, s[0:3], 0 offset:416
	v_add_f32_e32 v6, v6, v150
	v_add_f32_e32 v5, v5, v145
	;; [unrolled: 1-line block ×4, first 2 shown]
	ds_read2_b64 v[5:8], v136 offset0:101 offset1:102
	v_add_f32_e32 v9, v9, v152
	v_add_f32_e32 v10, v10, v154
	s_waitcnt vmcnt(40) lgkmcnt(1)
	v_mul_f32_e32 v145, v1, v177
	v_mul_f32_e32 v11, v2, v177
	s_waitcnt vmcnt(39)
	v_mul_f32_e32 v149, v3, v185
	v_fmac_f32_e32 v145, v2, v175
	v_fma_f32 v147, v1, v175, -v11
	v_add_f32_e32 v1, v9, v153
	s_clause 0x3
	buffer_load_dword v153, off, s[0:3], 0 offset:472
	buffer_load_dword v154, off, s[0:3], 0 offset:464
	;; [unrolled: 1-line block ×4, first 2 shown]
	v_add_f32_e32 v2, v10, v187
	v_mul_f32_e32 v9, v4, v185
	v_fmac_f32_e32 v149, v4, v171
	v_add_f32_e32 v1, v1, v167
	buffer_load_dword v167, off, s[0:3], 0 offset:480
	v_add_f32_e32 v2, v2, v155
	buffer_load_dword v155, off, s[0:3], 0 offset:128
	v_fma_f32 v150, v3, v171, -v9
	v_add_f32_e32 v1, v1, v163
	s_waitcnt vmcnt(44) lgkmcnt(0)
	v_mul_f32_e32 v151, v5, v179
	v_add_f32_e32 v10, v2, v201
	s_waitcnt vmcnt(43)
	v_mul_f32_e32 v152, v7, v180
	v_mul_f32_e32 v163, v8, v180
	v_add_f32_e32 v137, v1, v137
	ds_read2_b64 v[1:4], v136 offset0:103 offset1:104
	v_add_f32_e32 v148, v10, v172
	ds_read2_b64 v[9:12], v136 offset0:105 offset1:106
	v_fmac_f32_e32 v151, v6, v162
	v_add_f32_e32 v137, v137, v138
	v_mul_f32_e32 v138, v6, v179
	v_add_f32_e32 v148, v148, v202
	s_waitcnt vmcnt(36)
	v_fmac_f32_e32 v152, v8, v194
	v_fma_f32 v163, v7, v194, -v163
	v_add_f32_e32 v171, v137, v140
	v_fma_f32 v162, v5, v162, -v138
	v_add_f32_e32 v148, v148, v139
	ds_read2_b64 v[5:8], v136 offset0:107 offset1:108
	ds_read2_b64 v[137:140], v136 offset0:109 offset1:110
	v_add_f32_e32 v142, v171, v142
	v_add_f32_e32 v148, v148, v161
	;; [unrolled: 1-line block ×3, first 2 shown]
	s_waitcnt lgkmcnt(3)
	v_mul_f32_e32 v171, v1, v169
	v_add_f32_e32 v141, v148, v141
	v_mul_f32_e32 v169, v2, v169
	v_mul_f32_e32 v161, v3, v166
	v_add_f32_e32 v146, v142, v146
	v_mul_f32_e32 v166, v4, v166
	v_add_f32_e32 v180, v141, v144
	v_fma_f32 v169, v1, v193, -v169
	v_fmac_f32_e32 v171, v2, v193
	v_add_f32_e32 v186, v146, v147
	s_waitcnt lgkmcnt(2)
	v_mul_f32_e32 v148, v10, v190
	v_add_f32_e32 v180, v180, v145
	v_fma_f32 v166, v3, v192, -v166
	v_mul_f32_e32 v172, v9, v190
	v_add_f32_e32 v150, v186, v150
	v_fmac_f32_e32 v161, v4, v192
	v_add_f32_e32 v149, v180, v149
	v_fma_f32 v185, v9, v191, -v148
	v_fmac_f32_e32 v172, v10, v191
	ds_read2_b64 v[1:4], v136 offset0:111 offset1:112
	ds_read2_b64 v[141:144], v136 offset0:113 offset1:114
	v_add_f32_e32 v149, v149, v151
	s_waitcnt vmcnt(34)
	v_mul_f32_e32 v179, v11, v156
	v_mul_f32_e32 v156, v12, v156
	s_waitcnt vmcnt(30)
	v_fmac_f32_e32 v179, v12, v189
	v_fma_f32 v156, v11, v189, -v156
	ds_read2_b64 v[9:12], v136 offset0:115 offset1:116
	ds_read2_b64 v[145:148], v136 offset0:117 offset1:118
	s_waitcnt vmcnt(29) lgkmcnt(5)
	v_mul_f32_e32 v186, v5, v164
	v_mul_f32_e32 v164, v6, v164
	s_waitcnt vmcnt(28)
	v_mul_f32_e32 v180, v7, v165
	v_mul_f32_e32 v165, v8, v165
	v_fmac_f32_e32 v186, v6, v188
	v_add_f32_e32 v6, v150, v162
	v_fma_f32 v162, v5, v188, -v164
	v_fma_f32 v164, v7, v173, -v165
	v_add_f32_e32 v165, v149, v152
	v_fmac_f32_e32 v180, v8, v173
	v_add_f32_e32 v163, v6, v163
	ds_read2_b64 v[5:8], v136 offset0:119 offset1:120
	ds_read2_b64 v[149:152], v136 offset0:121 offset1:122
	s_waitcnt vmcnt(27) lgkmcnt(6)
	v_mul_f32_e32 v136, v137, v203
	v_add_f32_e32 v165, v165, v171
	v_add_f32_e32 v163, v163, v169
	v_mul_f32_e32 v169, v138, v203
	s_waitcnt vmcnt(26)
	v_mul_f32_e32 v173, v140, v178
	v_add_f32_e32 v161, v165, v161
	v_mul_f32_e32 v171, v139, v178
	v_add_f32_e32 v163, v163, v166
	v_fma_f32 v137, v137, v160, -v169
	v_fmac_f32_e32 v136, v138, v160
	v_add_f32_e32 v161, v161, v172
	s_waitcnt vmcnt(25) lgkmcnt(5)
	v_mul_f32_e32 v166, v1, v181
	v_add_f32_e32 v163, v163, v185
	s_waitcnt vmcnt(24)
	v_mul_f32_e32 v165, v3, v182
	s_waitcnt vmcnt(23) lgkmcnt(4)
	v_mul_f32_e32 v178, v141, v184
	v_add_f32_e32 v161, v161, v179
	s_waitcnt vmcnt(22)
	v_mul_f32_e32 v185, v143, v157
	v_add_f32_e32 v156, v163, v156
	s_waitcnt vmcnt(21) lgkmcnt(3)
	v_mul_f32_e32 v172, v9, v176
	s_waitcnt vmcnt(20)
	v_mul_f32_e32 v187, v11, v195
	v_add_f32_e32 v161, v161, v186
	s_waitcnt vmcnt(12)
	v_fmac_f32_e32 v165, v4, v198
	v_add_f32_e32 v156, v156, v162
	s_waitcnt vmcnt(10)
	v_fma_f32 v139, v139, v206, -v173
	v_fmac_f32_e32 v171, v140, v206
	v_add_f32_e32 v160, v161, v180
	v_mul_f32_e32 v161, v2, v181
	v_add_f32_e32 v156, v156, v164
	v_mul_f32_e32 v140, v4, v182
	v_fmac_f32_e32 v166, v2, v200
	v_add_f32_e32 v136, v160, v136
	v_fma_f32 v1, v1, v200, -v161
	v_add_f32_e32 v137, v156, v137
	v_fma_f32 v3, v3, v198, -v140
	v_mul_f32_e32 v4, v144, v157
	v_add_f32_e32 v136, v136, v171
	v_fmac_f32_e32 v178, v142, v170
	v_add_f32_e32 v2, v137, v139
	v_mul_f32_e32 v137, v142, v184
	s_waitcnt vmcnt(6)
	v_fma_f32 v4, v143, v207, -v4
	v_fmac_f32_e32 v185, v144, v207
	v_fmac_f32_e32 v172, v10, v183
	v_add_f32_e32 v1, v2, v1
	v_add_f32_e32 v2, v136, v166
	v_fma_f32 v136, v141, v170, -v137
	s_waitcnt lgkmcnt(2)
	v_mul_f32_e32 v163, v145, v196
	v_fmac_f32_e32 v187, v12, v168
	v_add_f32_e32 v1, v1, v3
	v_add_f32_e32 v2, v2, v165
	v_mul_f32_e32 v3, v10, v176
	v_mul_f32_e32 v179, v147, v158
	v_fmac_f32_e32 v163, v146, v159
	v_add_f32_e32 v1, v1, v136
	v_add_f32_e32 v2, v2, v178
	v_mul_f32_e32 v136, v12, v195
	v_fma_f32 v3, v9, v183, -v3
	s_waitcnt lgkmcnt(1)
	v_mul_f32_e32 v188, v5, v199
	v_add_f32_e32 v1, v1, v4
	v_add_f32_e32 v2, v2, v185
	v_mul_f32_e32 v4, v146, v196
	v_fma_f32 v9, v11, v168, -v136
	v_mul_f32_e32 v162, v7, v204
	v_add_f32_e32 v1, v1, v3
	v_add_f32_e32 v2, v2, v172
	v_mul_f32_e32 v3, v148, v158
	v_fma_f32 v4, v145, v159, -v4
	s_waitcnt vmcnt(2)
	v_fmac_f32_e32 v179, v148, v177
	v_add_f32_e32 v1, v1, v9
	v_add_f32_e32 v2, v2, v187
	v_mul_f32_e32 v9, v6, v199
	v_fma_f32 v3, v147, v177, -v3
	v_fmac_f32_e32 v188, v6, v175
	v_add_f32_e32 v1, v1, v4
	v_add_f32_e32 v2, v2, v163
	v_mul_f32_e32 v4, v8, v204
	v_fma_f32 v5, v5, v175, -v9
	s_waitcnt lgkmcnt(0)
	v_mul_f32_e32 v186, v149, v205
	v_add_f32_e32 v1, v1, v3
	v_add_f32_e32 v2, v2, v179
	v_mul_f32_e32 v3, v150, v205
	v_fma_f32 v4, v7, v154, -v4
	v_fmac_f32_e32 v162, v8, v154
	v_add_f32_e32 v1, v1, v5
	v_add_f32_e32 v2, v2, v188
	v_mul_f32_e32 v5, v152, v174
	v_fma_f32 v3, v149, v153, -v3
	v_mul_f32_e32 v138, v151, v174
	v_add_f32_e32 v1, v1, v4
	v_fmac_f32_e32 v186, v150, v153
	v_add_f32_e32 v2, v2, v162
	s_waitcnt vmcnt(1)
	v_fma_f32 v4, v151, v167, -v5
	v_fmac_f32_e32 v138, v152, v167
	v_add_f32_e32 v1, v1, v3
	v_add_f32_e32 v2, v2, v186
	v_add_f32_e32 v1, v1, v4
	v_add_f32_e32 v2, v2, v138
	s_waitcnt vmcnt(0)
	v_sub_f32_e32 v1, v155, v1
	v_sub_f32_e32 v2, v197, v2
	buffer_store_dword v1, off, s[0:3], 0 offset:128
	buffer_store_dword v2, off, s[0:3], 0 offset:132
	v_cmpx_lt_u32_e32 15, v0
	s_cbranch_execz .LBB60_349
; %bb.348:
	s_clause 0x1
	buffer_load_dword v1, off, s[0:3], 0 offset:120
	buffer_load_dword v2, off, s[0:3], 0 offset:124
	v_mov_b32_e32 v3, 0
	buffer_store_dword v3, off, s[0:3], 0 offset:120
	buffer_store_dword v3, off, s[0:3], 0 offset:124
	s_waitcnt vmcnt(0)
	ds_write_b64 v135, v[1:2]
.LBB60_349:
	s_or_b32 exec_lo, exec_lo, s4
	s_waitcnt lgkmcnt(0)
	s_waitcnt_vscnt null, 0x0
	s_barrier
	buffer_gl0_inv
	s_clause 0x2b
	buffer_load_dword v138, off, s[0:3], 0 offset:132
	buffer_load_dword v139, off, s[0:3], 0 offset:140
	;; [unrolled: 1-line block ×44, first 2 shown]
	v_mov_b32_e32 v136, 0
	ds_read_b128 v[9:12], v136 offset:624
	ds_read_b128 v[5:8], v136 offset:640
	s_clause 0x1
	buffer_load_dword v185, off, s[0:3], 0 offset:300
	buffer_load_dword v180, off, s[0:3], 0 offset:308
	ds_read_b128 v[1:4], v136 offset:656
	s_clause 0x9
	buffer_load_dword v179, off, s[0:3], 0 offset:316
	buffer_load_dword v167, off, s[0:3], 0 offset:324
	;; [unrolled: 1-line block ×10, first 2 shown]
	ds_read_b128 v[187:190], v136 offset:672
	s_mov_b32 s4, exec_lo
	s_waitcnt vmcnt(55) lgkmcnt(3)
	v_mul_f32_e32 v197, v9, v138
	v_mul_f32_e32 v138, v10, v138
	s_waitcnt vmcnt(54)
	v_mul_f32_e32 v198, v11, v139
	v_mul_f32_e32 v139, v12, v139
	s_waitcnt vmcnt(51)
	v_fmac_f32_e32 v197, v10, v144
	v_fma_f32 v144, v9, v144, -v138
	s_waitcnt vmcnt(50) lgkmcnt(2)
	v_mul_f32_e32 v199, v5, v143
	v_mul_f32_e32 v138, v6, v143
	v_fmac_f32_e32 v198, v12, v140
	v_fma_f32 v143, v11, v140, -v139
	ds_read_b128 v[9:12], v136 offset:688
	s_waitcnt vmcnt(49)
	v_mul_f32_e32 v200, v7, v141
	v_mul_f32_e32 v139, v8, v141
	v_fmac_f32_e32 v199, v6, v137
	v_fma_f32 v141, v5, v137, -v138
	s_waitcnt vmcnt(48) lgkmcnt(2)
	v_mul_f32_e32 v201, v1, v142
	v_mul_f32_e32 v137, v2, v142
	s_waitcnt vmcnt(44)
	v_fmac_f32_e32 v200, v8, v151
	v_fma_f32 v142, v7, v151, -v139
	ds_read_b128 v[5:8], v136 offset:704
	s_waitcnt vmcnt(43)
	v_mul_f32_e32 v151, v3, v150
	v_mul_f32_e32 v138, v4, v150
	v_fmac_f32_e32 v201, v2, v148
	v_fma_f32 v148, v1, v148, -v137
	s_waitcnt vmcnt(42) lgkmcnt(2)
	v_mul_f32_e32 v150, v187, v149
	v_mul_f32_e32 v137, v188, v149
	v_fmac_f32_e32 v151, v4, v146
	v_fma_f32 v146, v3, v146, -v138
	ds_read_b128 v[1:4], v136 offset:720
	s_waitcnt vmcnt(41)
	v_mul_f32_e32 v149, v189, v147
	v_mul_f32_e32 v138, v190, v147
	v_fmac_f32_e32 v150, v188, v145
	v_fma_f32 v145, v187, v145, -v137
	s_waitcnt vmcnt(40) lgkmcnt(2)
	v_mul_f32_e32 v147, v9, v152
	s_waitcnt vmcnt(36)
	v_fmac_f32_e32 v149, v190, v159
	v_fma_f32 v159, v189, v159, -v138
	ds_read_b128 v[137:140], v136 offset:736
	v_mul_f32_e32 v152, v10, v152
	s_waitcnt vmcnt(35)
	v_mul_f32_e32 v187, v11, v158
	v_mul_f32_e32 v158, v12, v158
	v_fmac_f32_e32 v147, v10, v156
	v_fma_f32 v152, v9, v156, -v152
	s_waitcnt vmcnt(34) lgkmcnt(2)
	v_mul_f32_e32 v156, v5, v157
	v_mul_f32_e32 v157, v6, v157
	v_fmac_f32_e32 v187, v12, v154
	v_fma_f32 v154, v11, v154, -v158
	s_waitcnt vmcnt(33)
	v_mul_f32_e32 v158, v7, v155
	v_mul_f32_e32 v155, v8, v155
	v_fmac_f32_e32 v156, v6, v153
	v_fma_f32 v153, v5, v153, -v157
	s_waitcnt vmcnt(32) lgkmcnt(1)
	v_mul_f32_e32 v157, v1, v160
	v_mul_f32_e32 v5, v2, v160
	ds_read_b128 v[9:12], v136 offset:752
	s_waitcnt vmcnt(28)
	v_fmac_f32_e32 v158, v8, v173
	v_fma_f32 v155, v7, v173, -v155
	s_clause 0x3
	buffer_load_dword v160, off, s[0:3], 0 offset:368
	buffer_load_dword v173, off, s[0:3], 0 offset:360
	;; [unrolled: 1-line block ×4, first 2 shown]
	s_waitcnt vmcnt(31)
	v_mul_f32_e32 v190, v3, v171
	v_mul_f32_e32 v6, v4, v171
	v_fmac_f32_e32 v157, v2, v169
	v_fma_f32 v169, v1, v169, -v5
	s_waitcnt vmcnt(30) lgkmcnt(1)
	v_mul_f32_e32 v171, v137, v165
	s_waitcnt vmcnt(29)
	v_mul_f32_e32 v202, v139, v166
	v_mul_f32_e32 v1, v138, v165
	;; [unrolled: 1-line block ×3, first 2 shown]
	s_clause 0x2
	buffer_load_dword v165, off, s[0:3], 0 offset:356
	buffer_load_dword v166, off, s[0:3], 0 offset:364
	;; [unrolled: 1-line block ×3, first 2 shown]
	v_fmac_f32_e32 v190, v4, v163
	v_fma_f32 v163, v3, v163, -v6
	v_fmac_f32_e32 v171, v138, v162
	v_fma_f32 v137, v137, v162, -v1
	s_waitcnt vmcnt(28)
	v_fma_f32 v138, v139, v184, -v2
	ds_read_b128 v[1:4], v136 offset:768
	v_add_f32_e32 v5, 0, v197
	s_waitcnt vmcnt(27) lgkmcnt(1)
	v_mul_f32_e32 v6, v10, v181
	v_add_f32_e32 v8, 0, v144
	v_fmac_f32_e32 v202, v140, v184
	v_mul_f32_e32 v139, v9, v181
	v_add_f32_e32 v5, v5, v198
	v_fma_f32 v144, v9, v178, -v6
	v_add_f32_e32 v6, v8, v143
	s_waitcnt vmcnt(26)
	v_mul_f32_e32 v140, v11, v182
	v_mul_f32_e32 v7, v12, v182
	v_add_f32_e32 v5, v5, v199
	v_fmac_f32_e32 v139, v10, v178
	v_add_f32_e32 v6, v6, v141
	v_fmac_f32_e32 v140, v12, v177
	v_fma_f32 v162, v11, v177, -v7
	v_add_f32_e32 v5, v5, v200
	s_clause 0x7
	buffer_load_dword v177, off, s[0:3], 0 offset:380
	buffer_load_dword v178, off, s[0:3], 0 offset:388
	;; [unrolled: 1-line block ×8, first 2 shown]
	v_add_f32_e32 v6, v6, v142
	s_clause 0x1
	buffer_load_dword v200, off, s[0:3], 0 offset:412
	buffer_load_dword v204, off, s[0:3], 0 offset:420
	s_waitcnt vmcnt(35) lgkmcnt(0)
	v_mul_f32_e32 v141, v1, v174
	v_mul_f32_e32 v7, v2, v174
	v_add_f32_e32 v5, v5, v201
	s_waitcnt vmcnt(34)
	v_mul_f32_e32 v143, v3, v170
	s_clause 0x1
	buffer_load_dword v174, off, s[0:3], 0 offset:428
	buffer_load_dword v201, off, s[0:3], 0 offset:436
	v_fmac_f32_e32 v141, v2, v172
	v_fma_f32 v142, v1, v172, -v7
	v_add_f32_e32 v1, v6, v148
	v_add_f32_e32 v2, v5, v151
	s_clause 0x3
	buffer_load_dword v172, off, s[0:3], 0 offset:444
	buffer_load_dword v205, off, s[0:3], 0 offset:452
	;; [unrolled: 1-line block ×4, first 2 shown]
	s_waitcnt vmcnt(36)
	v_fmac_f32_e32 v143, v4, v183
	buffer_load_dword v208, off, s[0:3], 0 offset:476
	v_add_f32_e32 v1, v1, v146
	v_add_f32_e32 v5, v2, v150
	v_mul_f32_e32 v2, v4, v170
	buffer_load_dword v170, off, s[0:3], 0 offset:484
	v_add_f32_e32 v6, v1, v145
	v_add_f32_e32 v5, v5, v149
	v_fma_f32 v145, v3, v183, -v2
	ds_read_b128 v[1:4], v136 offset:784
	v_add_f32_e32 v6, v6, v159
	v_add_f32_e32 v5, v5, v147
	s_clause 0x3
	buffer_load_dword v159, off, s[0:3], 0 offset:432
	buffer_load_dword v183, off, s[0:3], 0 offset:424
	;; [unrolled: 1-line block ×4, first 2 shown]
	v_add_f32_e32 v6, v6, v152
	v_add_f32_e32 v5, v5, v187
	;; [unrolled: 1-line block ×4, first 2 shown]
	ds_read_b128 v[5:8], v136 offset:800
	v_add_f32_e32 v9, v9, v153
	v_add_f32_e32 v10, v10, v158
	s_waitcnt vmcnt(41) lgkmcnt(1)
	v_mul_f32_e32 v146, v1, v176
	v_mul_f32_e32 v11, v2, v176
	s_waitcnt vmcnt(40)
	v_mul_f32_e32 v148, v3, v185
	v_fmac_f32_e32 v146, v2, v175
	v_fma_f32 v147, v1, v175, -v11
	v_add_f32_e32 v1, v9, v155
	v_add_f32_e32 v2, v10, v157
	s_clause 0x3
	buffer_load_dword v155, off, s[0:3], 0 offset:464
	buffer_load_dword v156, off, s[0:3], 0 offset:456
	buffer_load_dword v157, off, s[0:3], 0 offset:448
	buffer_load_dword v158, off, s[0:3], 0 offset:440
	v_mul_f32_e32 v9, v4, v185
	v_fmac_f32_e32 v148, v4, v168
	v_add_f32_e32 v1, v1, v169
	s_clause 0x1
	buffer_load_dword v169, off, s[0:3], 0 offset:480
	buffer_load_dword v175, off, s[0:3], 0 offset:472
	v_add_f32_e32 v2, v2, v190
	s_waitcnt vmcnt(45) lgkmcnt(0)
	v_mul_f32_e32 v150, v5, v180
	s_waitcnt vmcnt(44)
	v_mul_f32_e32 v151, v7, v179
	v_add_f32_e32 v1, v1, v163
	buffer_load_dword v163, off, s[0:3], 0 offset:120
	v_add_f32_e32 v2, v2, v171
	v_fma_f32 v149, v3, v168, -v9
	v_fmac_f32_e32 v150, v6, v161
	v_add_f32_e32 v10, v1, v137
	s_waitcnt vmcnt(38)
	v_fmac_f32_e32 v151, v8, v195
	v_add_f32_e32 v137, v2, v202
	ds_read_b128 v[1:4], v136 offset:816
	v_add_f32_e32 v138, v10, v138
	ds_read_b128 v[9:12], v136 offset:832
	v_add_f32_e32 v137, v137, v139
	v_mul_f32_e32 v139, v6, v180
	v_add_f32_e32 v138, v138, v144
	v_mul_f32_e32 v144, v8, v179
	v_add_f32_e32 v153, v137, v140
	v_fma_f32 v152, v5, v161, -v139
	v_fma_f32 v154, v7, v195, -v144
	v_add_f32_e32 v144, v138, v162
	v_add_f32_e32 v141, v153, v141
	ds_read_b128 v[5:8], v136 offset:848
	ds_read_b128 v[137:140], v136 offset:864
	v_add_f32_e32 v142, v144, v142
	v_add_f32_e32 v141, v141, v143
	s_waitcnt lgkmcnt(3)
	v_mul_f32_e32 v161, v2, v167
	v_mul_f32_e32 v153, v1, v167
	v_mul_f32_e32 v144, v4, v164
	v_add_f32_e32 v142, v142, v145
	v_add_f32_e32 v146, v141, v146
	v_fma_f32 v161, v1, v194, -v161
	v_mul_f32_e32 v162, v3, v164
	v_fmac_f32_e32 v153, v2, v194
	v_add_f32_e32 v147, v142, v147
	v_add_f32_e32 v179, v146, v148
	s_waitcnt lgkmcnt(2)
	v_mul_f32_e32 v145, v10, v192
	v_fma_f32 v168, v3, v193, -v144
	v_mul_f32_e32 v164, v9, v192
	v_add_f32_e32 v149, v147, v149
	v_add_f32_e32 v150, v179, v150
	v_fmac_f32_e32 v162, v4, v193
	s_waitcnt vmcnt(37)
	v_mul_f32_e32 v171, v12, v196
	v_fma_f32 v176, v9, v191, -v145
	v_add_f32_e32 v149, v149, v152
	v_mul_f32_e32 v167, v11, v196
	v_fmac_f32_e32 v164, v10, v191
	ds_read_b128 v[1:4], v136 offset:880
	ds_read_b128 v[141:144], v136 offset:896
	v_add_f32_e32 v149, v149, v154
	v_add_f32_e32 v161, v149, v161
	;; [unrolled: 1-line block ×4, first 2 shown]
	s_waitcnt vmcnt(32)
	v_fma_f32 v171, v11, v189, -v171
	v_fmac_f32_e32 v167, v12, v189
	ds_read_b128 v[9:12], v136 offset:912
	ds_read_b128 v[145:148], v136 offset:928
	v_add_f32_e32 v161, v161, v171
	s_waitcnt vmcnt(31) lgkmcnt(5)
	v_mul_f32_e32 v179, v5, v165
	s_waitcnt vmcnt(30)
	v_mul_f32_e32 v180, v7, v166
	v_mul_f32_e32 v152, v6, v165
	;; [unrolled: 1-line block ×3, first 2 shown]
	s_waitcnt vmcnt(29) lgkmcnt(4)
	v_mul_f32_e32 v185, v138, v203
	v_fmac_f32_e32 v179, v6, v188
	v_add_f32_e32 v6, v150, v151
	v_fmac_f32_e32 v180, v8, v173
	v_fma_f32 v165, v7, v173, -v165
	v_fma_f32 v166, v5, v188, -v152
	v_add_f32_e32 v173, v6, v153
	ds_read_b128 v[5:8], v136 offset:944
	ds_read_b128 v[149:152], v136 offset:960
	ds_read_b64 v[153:154], v136 offset:976
	v_add_f32_e32 v161, v161, v166
	v_add_f32_e32 v162, v173, v162
	v_mul_f32_e32 v173, v137, v203
	v_fma_f32 v137, v137, v160, -v185
	s_waitcnt vmcnt(28)
	v_mul_f32_e32 v168, v139, v177
	v_mul_f32_e32 v177, v140, v177
	v_add_f32_e32 v162, v162, v164
	v_fmac_f32_e32 v173, v138, v160
	v_add_f32_e32 v161, v161, v165
	s_waitcnt vmcnt(27) lgkmcnt(6)
	v_mul_f32_e32 v164, v1, v178
	v_mul_f32_e32 v171, v2, v178
	v_add_f32_e32 v160, v162, v167
	s_waitcnt vmcnt(21)
	v_fma_f32 v139, v139, v199, -v177
	v_add_f32_e32 v137, v161, v137
	v_fmac_f32_e32 v168, v140, v199
	v_mul_f32_e32 v165, v4, v181
	v_add_f32_e32 v160, v160, v179
	v_fmac_f32_e32 v164, v2, v198
	v_fma_f32 v1, v1, v198, -v171
	v_add_f32_e32 v2, v137, v139
	v_mul_f32_e32 v176, v3, v181
	v_add_f32_e32 v160, v160, v180
	s_waitcnt lgkmcnt(5)
	v_mul_f32_e32 v139, v142, v182
	v_fma_f32 v3, v3, v197, -v165
	v_add_f32_e32 v1, v2, v1
	v_mul_f32_e32 v138, v141, v182
	v_add_f32_e32 v160, v160, v173
	v_fmac_f32_e32 v176, v4, v197
	s_waitcnt vmcnt(20)
	v_mul_f32_e32 v4, v144, v200
	v_add_f32_e32 v1, v1, v3
	v_mul_f32_e32 v162, v143, v200
	v_add_f32_e32 v137, v160, v168
	v_fmac_f32_e32 v138, v142, v184
	s_waitcnt vmcnt(19) lgkmcnt(4)
	v_mul_f32_e32 v3, v10, v204
	v_mul_f32_e32 v167, v9, v204
	s_waitcnt vmcnt(18)
	v_mul_f32_e32 v140, v11, v174
	v_add_f32_e32 v2, v137, v164
	v_fma_f32 v137, v141, v184, -v139
	s_waitcnt vmcnt(7)
	v_fma_f32 v4, v143, v210, -v4
	v_fmac_f32_e32 v162, v144, v210
	v_fma_f32 v3, v9, v209, -v3
	v_add_f32_e32 v2, v2, v176
	v_add_f32_e32 v1, v1, v137
	v_mul_f32_e32 v137, v12, v174
	v_fmac_f32_e32 v167, v10, v209
	s_waitcnt lgkmcnt(3)
	v_mul_f32_e32 v177, v145, v201
	v_add_f32_e32 v2, v2, v138
	v_add_f32_e32 v1, v1, v4
	v_mul_f32_e32 v4, v146, v201
	v_fma_f32 v9, v11, v183, -v137
	v_fmac_f32_e32 v140, v12, v183
	v_add_f32_e32 v2, v2, v162
	v_add_f32_e32 v1, v1, v3
	v_mul_f32_e32 v3, v148, v172
	v_fma_f32 v4, v145, v159, -v4
	v_mul_f32_e32 v166, v147, v172
	v_add_f32_e32 v2, v2, v167
	v_add_f32_e32 v1, v1, v9
	v_fmac_f32_e32 v177, v146, v159
	s_waitcnt lgkmcnt(2)
	v_mul_f32_e32 v9, v6, v205
	v_mul_f32_e32 v178, v5, v205
	v_add_f32_e32 v2, v2, v140
	s_waitcnt vmcnt(3)
	v_fma_f32 v3, v147, v158, -v3
	v_add_f32_e32 v1, v1, v4
	v_fmac_f32_e32 v166, v148, v158
	v_mul_f32_e32 v4, v8, v206
	v_add_f32_e32 v2, v2, v177
	v_fma_f32 v5, v5, v157, -v9
	v_add_f32_e32 v1, v1, v3
	v_mul_f32_e32 v179, v7, v206
	v_fmac_f32_e32 v178, v6, v157
	v_add_f32_e32 v2, v2, v166
	s_waitcnt lgkmcnt(1)
	v_mul_f32_e32 v3, v150, v207
	v_fma_f32 v4, v7, v156, -v4
	v_add_f32_e32 v1, v1, v5
	v_mul_f32_e32 v180, v149, v207
	v_fmac_f32_e32 v179, v8, v156
	v_add_f32_e32 v2, v2, v178
	v_mul_f32_e32 v5, v152, v208
	v_fma_f32 v3, v149, v155, -v3
	v_add_f32_e32 v1, v1, v4
	v_mul_f32_e32 v181, v151, v208
	v_fmac_f32_e32 v180, v150, v155
	v_add_f32_e32 v2, v2, v179
	s_waitcnt lgkmcnt(0)
	v_mul_f32_e32 v4, v154, v170
	s_waitcnt vmcnt(1)
	v_fma_f32 v5, v151, v175, -v5
	v_add_f32_e32 v1, v1, v3
	v_mul_f32_e32 v161, v153, v170
	v_fmac_f32_e32 v181, v152, v175
	v_add_f32_e32 v2, v2, v180
	v_fma_f32 v3, v153, v169, -v4
	v_add_f32_e32 v1, v1, v5
	v_fmac_f32_e32 v161, v154, v169
	v_add_f32_e32 v2, v2, v181
	v_add_f32_e32 v1, v1, v3
	;; [unrolled: 1-line block ×3, first 2 shown]
	s_waitcnt vmcnt(0)
	v_sub_f32_e32 v1, v163, v1
	v_sub_f32_e32 v2, v186, v2
	buffer_store_dword v1, off, s[0:3], 0 offset:120
	buffer_store_dword v2, off, s[0:3], 0 offset:124
	v_cmpx_lt_u32_e32 14, v0
	s_cbranch_execz .LBB60_351
; %bb.350:
	s_clause 0x1
	buffer_load_dword v1, off, s[0:3], 0 offset:112
	buffer_load_dword v2, off, s[0:3], 0 offset:116
	buffer_store_dword v136, off, s[0:3], 0 offset:112
	buffer_store_dword v136, off, s[0:3], 0 offset:116
	s_waitcnt vmcnt(0)
	ds_write_b64 v135, v[1:2]
.LBB60_351:
	s_or_b32 exec_lo, exec_lo, s4
	s_waitcnt lgkmcnt(0)
	s_waitcnt_vscnt null, 0x0
	s_barrier
	buffer_gl0_inv
	s_clause 0x2c
	buffer_load_dword v177, off, s[0:3], 0 offset:124
	buffer_load_dword v178, off, s[0:3], 0 offset:132
	;; [unrolled: 1-line block ×45, first 2 shown]
	ds_read2_b64 v[5:8], v136 offset0:77 offset1:78
	buffer_load_dword v171, off, s[0:3], 0 offset:300
	ds_read2_b64 v[1:4], v136 offset0:79 offset1:80
	ds_read2_b64 v[187:190], v136 offset0:81 offset1:82
	s_clause 0x7
	buffer_load_dword v185, off, s[0:3], 0 offset:308
	buffer_load_dword v183, off, s[0:3], 0 offset:316
	;; [unrolled: 1-line block ×8, first 2 shown]
	ds_read2_b64 v[191:194], v136 offset0:83 offset1:84
	s_mov_b32 s4, exec_lo
	s_waitcnt vmcnt(53) lgkmcnt(3)
	v_mul_f32_e32 v195, v5, v177
	s_waitcnt vmcnt(52)
	v_mul_f32_e32 v196, v7, v178
	v_mul_f32_e32 v197, v6, v177
	;; [unrolled: 1-line block ×3, first 2 shown]
	buffer_load_dword v177, off, s[0:3], 0 offset:116
	s_waitcnt vmcnt(50)
	v_fmac_f32_e32 v195, v6, v139
	v_fmac_f32_e32 v196, v8, v138
	v_fma_f32 v197, v5, v139, -v197
	v_fma_f32 v178, v7, v138, -v178
	ds_read2_b64 v[5:8], v136 offset0:85 offset1:86
	s_waitcnt vmcnt(49) lgkmcnt(3)
	v_mul_f32_e32 v198, v1, v12
	v_mul_f32_e32 v12, v2, v12
	s_waitcnt vmcnt(48)
	v_mul_f32_e32 v199, v3, v11
	v_mul_f32_e32 v11, v4, v11
	s_waitcnt vmcnt(47) lgkmcnt(2)
	v_mul_f32_e32 v200, v187, v10
	v_fmac_f32_e32 v198, v2, v9
	v_fma_f32 v201, v1, v9, -v12
	s_waitcnt vmcnt(46)
	v_mul_f32_e32 v202, v189, v137
	v_mul_f32_e32 v9, v188, v10
	;; [unrolled: 1-line block ×3, first 2 shown]
	s_waitcnt vmcnt(42)
	v_fmac_f32_e32 v199, v4, v145
	v_fma_f32 v145, v3, v145, -v11
	ds_read2_b64 v[1:4], v136 offset0:87 offset1:88
	v_fmac_f32_e32 v200, v188, v144
	v_fmac_f32_e32 v202, v190, v142
	v_fma_f32 v144, v187, v144, -v9
	v_fma_f32 v142, v189, v142, -v10
	ds_read2_b64 v[9:12], v136 offset0:89 offset1:90
	s_waitcnt vmcnt(41) lgkmcnt(3)
	v_mul_f32_e32 v187, v191, v143
	v_mul_f32_e32 v137, v192, v143
	s_waitcnt vmcnt(40)
	v_mul_f32_e32 v143, v193, v141
	v_mul_f32_e32 v138, v194, v141
	s_waitcnt vmcnt(39) lgkmcnt(2)
	v_mul_f32_e32 v141, v5, v146
	v_fmac_f32_e32 v187, v192, v140
	v_fma_f32 v188, v191, v140, -v137
	s_waitcnt vmcnt(34)
	v_fmac_f32_e32 v143, v194, v153
	v_fma_f32 v153, v193, v153, -v138
	ds_read2_b64 v[137:140], v136 offset0:91 offset1:92
	v_mul_f32_e32 v189, v7, v147
	v_mul_f32_e32 v146, v6, v146
	;; [unrolled: 1-line block ×3, first 2 shown]
	v_fmac_f32_e32 v141, v6, v152
	v_fmac_f32_e32 v189, v8, v150
	v_fma_f32 v146, v5, v152, -v146
	v_fma_f32 v147, v7, v150, -v147
	ds_read2_b64 v[5:8], v136 offset0:93 offset1:94
	s_waitcnt vmcnt(33) lgkmcnt(3)
	v_mul_f32_e32 v150, v1, v151
	v_mul_f32_e32 v151, v2, v151
	s_waitcnt vmcnt(32)
	v_mul_f32_e32 v152, v3, v149
	v_mul_f32_e32 v149, v4, v149
	s_waitcnt vmcnt(31) lgkmcnt(2)
	v_mul_f32_e32 v190, v9, v154
	v_fmac_f32_e32 v150, v2, v148
	v_fma_f32 v148, v1, v148, -v151
	s_waitcnt vmcnt(30)
	v_mul_f32_e32 v151, v11, v155
	v_mul_f32_e32 v155, v12, v155
	s_waitcnt vmcnt(26)
	v_fmac_f32_e32 v152, v4, v162
	v_fma_f32 v149, v3, v162, -v149
	ds_read2_b64 v[1:4], v136 offset0:95 offset1:96
	v_mul_f32_e32 v154, v10, v154
	v_fmac_f32_e32 v151, v12, v159
	v_fma_f32 v155, v11, v159, -v155
	s_waitcnt vmcnt(25) lgkmcnt(2)
	v_mul_f32_e32 v159, v137, v157
	v_mul_f32_e32 v157, v138, v157
	v_fmac_f32_e32 v190, v10, v161
	v_fma_f32 v154, v9, v161, -v154
	ds_read2_b64 v[9:12], v136 offset0:97 offset1:98
	v_fmac_f32_e32 v159, v138, v156
	v_fma_f32 v137, v137, v156, -v157
	s_clause 0x1
	buffer_load_dword v156, off, s[0:3], 0 offset:340
	buffer_load_dword v157, off, s[0:3], 0 offset:348
	s_waitcnt vmcnt(26)
	v_mul_f32_e32 v161, v139, v158
	v_mul_f32_e32 v158, v140, v158
	s_waitcnt vmcnt(25) lgkmcnt(2)
	v_mul_f32_e32 v162, v5, v163
	v_mul_f32_e32 v163, v6, v163
	s_waitcnt vmcnt(21)
	v_fmac_f32_e32 v161, v140, v170
	v_fma_f32 v138, v139, v170, -v158
	s_waitcnt vmcnt(20)
	v_mul_f32_e32 v139, v7, v169
	v_mul_f32_e32 v140, v8, v169
	v_fmac_f32_e32 v162, v6, v168
	v_fma_f32 v158, v5, v168, -v163
	s_clause 0x3
	buffer_load_dword v163, off, s[0:3], 0 offset:360
	buffer_load_dword v168, off, s[0:3], 0 offset:352
	;; [unrolled: 1-line block ×4, first 2 shown]
	v_fmac_f32_e32 v139, v8, v165
	v_fma_f32 v140, v7, v165, -v140
	s_waitcnt vmcnt(23) lgkmcnt(1)
	v_mul_f32_e32 v165, v1, v166
	s_waitcnt vmcnt(22)
	v_mul_f32_e32 v191, v3, v167
	v_mul_f32_e32 v5, v2, v166
	;; [unrolled: 1-line block ×3, first 2 shown]
	s_clause 0x1
	buffer_load_dword v166, off, s[0:3], 0 offset:356
	buffer_load_dword v167, off, s[0:3], 0 offset:364
	s_waitcnt vmcnt(18) lgkmcnt(0)
	v_mul_f32_e32 v194, v11, v175
	v_fmac_f32_e32 v191, v4, v176
	v_fmac_f32_e32 v165, v2, v164
	v_fma_f32 v176, v3, v176, -v6
	v_mul_f32_e32 v6, v12, v175
	v_fma_f32 v164, v1, v164, -v5
	v_mul_f32_e32 v193, v9, v174
	v_mul_f32_e32 v5, v10, v174
	v_fmac_f32_e32 v194, v12, v172
	v_fma_f32 v172, v11, v172, -v6
	v_add_f32_e32 v6, 0, v197
	v_fmac_f32_e32 v193, v10, v173
	v_fma_f32 v173, v9, v173, -v5
	v_add_f32_e32 v5, 0, v195
	buffer_load_dword v192, off, s[0:3], 0 offset:372
	v_add_f32_e32 v6, v6, v178
	ds_read2_b64 v[1:4], v136 offset0:99 offset1:100
	s_clause 0x3
	buffer_load_dword v174, off, s[0:3], 0 offset:392
	buffer_load_dword v175, off, s[0:3], 0 offset:384
	;; [unrolled: 1-line block ×4, first 2 shown]
	v_add_f32_e32 v5, v5, v196
	s_clause 0x2
	buffer_load_dword v196, off, s[0:3], 0 offset:380
	buffer_load_dword v178, off, s[0:3], 0 offset:388
	;; [unrolled: 1-line block ×3, first 2 shown]
	v_add_f32_e32 v6, v6, v201
	v_add_f32_e32 v5, v5, v198
	;; [unrolled: 1-line block ×4, first 2 shown]
	s_clause 0x2
	buffer_load_dword v198, off, s[0:3], 0 offset:404
	buffer_load_dword v199, off, s[0:3], 0 offset:412
	;; [unrolled: 1-line block ×3, first 2 shown]
	v_add_f32_e32 v6, v6, v144
	v_add_f32_e32 v5, v5, v200
	s_clause 0x2
	buffer_load_dword v200, off, s[0:3], 0 offset:428
	buffer_load_dword v204, off, s[0:3], 0 offset:436
	;; [unrolled: 1-line block ×3, first 2 shown]
	s_waitcnt vmcnt(31) lgkmcnt(0)
	v_mul_f32_e32 v145, v1, v171
	v_add_f32_e32 v6, v6, v142
	v_add_f32_e32 v5, v5, v202
	s_clause 0x2
	buffer_load_dword v202, off, s[0:3], 0 offset:452
	buffer_load_dword v206, off, s[0:3], 0 offset:460
	;; [unrolled: 1-line block ×3, first 2 shown]
	v_mul_f32_e32 v7, v2, v171
	v_add_f32_e32 v6, v6, v188
	v_add_f32_e32 v5, v5, v187
	s_clause 0x1
	buffer_load_dword v187, off, s[0:3], 0 offset:476
	buffer_load_dword v188, off, s[0:3], 0 offset:484
	v_fmac_f32_e32 v145, v2, v160
	v_add_f32_e32 v6, v6, v153
	s_clause 0x3
	buffer_load_dword v153, off, s[0:3], 0 offset:424
	buffer_load_dword v208, off, s[0:3], 0 offset:416
	;; [unrolled: 1-line block ×4, first 2 shown]
	v_add_f32_e32 v5, v5, v143
	v_add_f32_e32 v6, v6, v146
	v_fma_f32 v146, v1, v160, -v7
	v_add_f32_e32 v5, v5, v141
	v_add_f32_e32 v6, v6, v147
	;; [unrolled: 1-line block ×3, first 2 shown]
	s_clause 0x3
	buffer_load_dword v189, off, s[0:3], 0 offset:456
	buffer_load_dword v211, off, s[0:3], 0 offset:448
	;; [unrolled: 1-line block ×4, first 2 shown]
	v_add_f32_e32 v6, v6, v148
	v_add_f32_e32 v5, v5, v150
	;; [unrolled: 1-line block ×3, first 2 shown]
	s_waitcnt vmcnt(43)
	v_mul_f32_e32 v149, v3, v185
	v_add_f32_e32 v5, v5, v152
	v_add_f32_e32 v6, v6, v154
	s_waitcnt vmcnt(36)
	v_fmac_f32_e32 v149, v4, v186
	v_add_f32_e32 v5, v5, v190
	s_clause 0x3
	buffer_load_dword v190, off, s[0:3], 0 offset:480
	buffer_load_dword v214, off, s[0:3], 0 offset:472
	;; [unrolled: 1-line block ×4, first 2 shown]
	v_add_f32_e32 v6, v6, v155
	v_add_f32_e32 v5, v5, v151
	;; [unrolled: 1-line block ×4, first 2 shown]
	ds_read2_b64 v[5:8], v136 offset0:101 offset1:102
	v_add_f32_e32 v9, v1, v138
	v_mul_f32_e32 v1, v4, v185
	v_add_f32_e32 v10, v2, v161
	v_add_f32_e32 v137, v9, v158
	v_fma_f32 v150, v3, v186, -v1
	ds_read2_b64 v[1:4], v136 offset0:103 offset1:104
	v_add_f32_e32 v138, v10, v162
	ds_read2_b64 v[9:12], v136 offset0:105 offset1:106
	v_add_f32_e32 v137, v137, v140
	v_add_f32_e32 v138, v138, v139
	;; [unrolled: 1-line block ×3, first 2 shown]
	s_waitcnt lgkmcnt(2)
	v_mul_f32_e32 v140, v6, v183
	v_mul_f32_e32 v151, v5, v183
	;; [unrolled: 1-line block ×3, first 2 shown]
	v_fma_f32 v152, v5, v184, -v140
	v_add_f32_e32 v5, v138, v165
	v_fmac_f32_e32 v151, v6, v184
	v_add_f32_e32 v6, v141, v176
	ds_read2_b64 v[137:140], v136 offset0:107 offset1:108
	s_waitcnt lgkmcnt(2)
	v_mul_f32_e32 v142, v2, v181
	v_add_f32_e32 v5, v5, v191
	v_mul_f32_e32 v158, v1, v181
	v_add_f32_e32 v6, v6, v173
	v_mul_f32_e32 v141, v8, v182
	v_fma_f32 v161, v1, v179, -v142
	v_add_f32_e32 v5, v5, v193
	v_fmac_f32_e32 v158, v2, v179
	v_add_f32_e32 v1, v6, v172
	v_fma_f32 v160, v7, v180, -v141
	v_fmac_f32_e32 v155, v8, v180
	v_add_f32_e32 v2, v5, v194
	ds_read2_b64 v[5:8], v136 offset0:109 offset1:110
	ds_read2_b64 v[141:144], v136 offset0:111 offset1:112
	s_waitcnt vmcnt(38)
	v_mul_f32_e32 v159, v3, v156
	v_mul_f32_e32 v147, v4, v156
	s_waitcnt vmcnt(37) lgkmcnt(3)
	v_mul_f32_e32 v156, v9, v157
	v_mul_f32_e32 v148, v10, v157
	s_waitcnt vmcnt(34)
	v_fmac_f32_e32 v156, v10, v169
	v_add_f32_e32 v10, v1, v146
	v_fma_f32 v162, v9, v169, -v148
	v_add_f32_e32 v9, v2, v145
	s_waitcnt vmcnt(33)
	v_fma_f32 v157, v3, v170, -v147
	v_fmac_f32_e32 v159, v4, v170
	v_add_f32_e32 v10, v10, v150
	s_waitcnt vmcnt(32)
	v_mul_f32_e32 v164, v11, v166
	v_add_f32_e32 v9, v9, v149
	s_waitcnt vmcnt(31) lgkmcnt(2)
	v_mul_f32_e32 v165, v137, v167
	v_mul_f32_e32 v149, v138, v167
	v_add_f32_e32 v10, v10, v152
	v_mul_f32_e32 v150, v12, v166
	v_fmac_f32_e32 v164, v12, v168
	v_fmac_f32_e32 v165, v138, v163
	v_fma_f32 v163, v137, v163, -v149
	v_add_f32_e32 v137, v9, v151
	v_add_f32_e32 v160, v10, v160
	v_fma_f32 v168, v11, v168, -v150
	ds_read2_b64 v[1:4], v136 offset0:113 offset1:114
	ds_read2_b64 v[145:148], v136 offset0:115 offset1:116
	;; [unrolled: 1-line block ×4, first 2 shown]
	v_add_f32_e32 v155, v137, v155
	v_add_f32_e32 v160, v160, v161
	s_waitcnt vmcnt(30)
	v_mul_f32_e32 v166, v139, v192
	v_mul_f32_e32 v167, v140, v192
	v_add_f32_e32 v155, v155, v158
	v_add_f32_e32 v157, v160, v157
	s_waitcnt vmcnt(26)
	v_fmac_f32_e32 v166, v140, v203
	v_fma_f32 v140, v139, v203, -v167
	s_waitcnt vmcnt(25) lgkmcnt(5)
	v_mul_f32_e32 v161, v6, v196
	v_add_f32_e32 v155, v155, v159
	v_add_f32_e32 v157, v157, v162
	v_mul_f32_e32 v167, v5, v196
	s_waitcnt vmcnt(24)
	v_mul_f32_e32 v169, v8, v178
	v_fma_f32 v5, v5, v195, -v161
	v_add_f32_e32 v155, v155, v156
	v_add_f32_e32 v157, v157, v168
	v_mul_f32_e32 v158, v7, v178
	v_fmac_f32_e32 v167, v6, v195
	v_fma_f32 v7, v7, v175, -v169
	v_add_f32_e32 v155, v155, v164
	v_add_f32_e32 v157, v157, v163
	s_waitcnt vmcnt(23) lgkmcnt(4)
	v_mul_f32_e32 v160, v141, v197
	v_fmac_f32_e32 v158, v8, v175
	s_waitcnt vmcnt(22)
	v_mul_f32_e32 v159, v143, v198
	v_add_f32_e32 v155, v155, v165
	v_add_f32_e32 v140, v157, v140
	v_mul_f32_e32 v157, v142, v197
	v_fmac_f32_e32 v160, v142, v174
	s_waitcnt vmcnt(21) lgkmcnt(3)
	v_mul_f32_e32 v170, v1, v199
	v_add_f32_e32 v155, v155, v166
	v_add_f32_e32 v5, v140, v5
	v_mul_f32_e32 v140, v144, v198
	v_fma_f32 v141, v141, v174, -v157
	s_waitcnt vmcnt(20)
	v_mul_f32_e32 v162, v3, v201
	v_add_f32_e32 v8, v155, v167
	v_add_f32_e32 v5, v5, v7
	s_waitcnt vmcnt(8)
	v_fma_f32 v140, v143, v210, -v140
	v_fmac_f32_e32 v159, v144, v210
	v_fmac_f32_e32 v170, v2, v209
	v_add_f32_e32 v7, v8, v158
	v_mul_f32_e32 v8, v2, v199
	v_add_f32_e32 v5, v5, v141
	v_mul_f32_e32 v141, v4, v201
	s_waitcnt lgkmcnt(2)
	v_mul_f32_e32 v156, v145, v200
	v_add_f32_e32 v7, v7, v160
	v_fma_f32 v1, v1, v209, -v8
	v_add_f32_e32 v2, v5, v140
	v_fma_f32 v3, v3, v208, -v141
	v_fmac_f32_e32 v162, v4, v208
	v_add_f32_e32 v5, v7, v159
	v_mul_f32_e32 v7, v146, v200
	v_add_f32_e32 v1, v2, v1
	v_mul_f32_e32 v4, v148, v204
	v_mul_f32_e32 v171, v147, v204
	v_add_f32_e32 v2, v5, v170
	v_fma_f32 v5, v145, v153, -v7
	v_add_f32_e32 v1, v1, v3
	v_fmac_f32_e32 v156, v146, v153
	ds_read2_b64 v[136:139], v136 offset0:121 offset1:122
	v_add_f32_e32 v2, v2, v162
	s_waitcnt lgkmcnt(2)
	v_mul_f32_e32 v3, v10, v205
	s_waitcnt vmcnt(4)
	v_fma_f32 v4, v147, v213, -v4
	v_add_f32_e32 v1, v1, v5
	v_mul_f32_e32 v168, v9, v205
	v_fmac_f32_e32 v171, v148, v213
	v_add_f32_e32 v2, v2, v156
	v_mul_f32_e32 v5, v12, v202
	v_fma_f32 v3, v9, v212, -v3
	v_add_f32_e32 v1, v1, v4
	v_mul_f32_e32 v164, v11, v202
	v_fmac_f32_e32 v168, v10, v212
	v_add_f32_e32 v2, v2, v171
	s_waitcnt lgkmcnt(1)
	v_mul_f32_e32 v4, v150, v206
	v_fma_f32 v5, v11, v211, -v5
	v_add_f32_e32 v1, v1, v3
	v_mul_f32_e32 v172, v149, v206
	v_fmac_f32_e32 v164, v12, v211
	v_add_f32_e32 v2, v2, v168
	v_mul_f32_e32 v3, v152, v207
	v_fma_f32 v4, v149, v189, -v4
	v_add_f32_e32 v1, v1, v5
	v_mul_f32_e32 v163, v151, v207
	v_fmac_f32_e32 v172, v150, v189
	v_add_f32_e32 v2, v2, v164
	s_waitcnt lgkmcnt(0)
	v_mul_f32_e32 v5, v137, v187
	s_waitcnt vmcnt(1)
	v_fma_f32 v3, v151, v215, -v3
	v_add_f32_e32 v1, v1, v4
	v_mul_f32_e32 v165, v136, v187
	v_fmac_f32_e32 v163, v152, v215
	v_add_f32_e32 v2, v2, v172
	v_mul_f32_e32 v4, v139, v188
	v_fma_f32 v5, v136, v214, -v5
	v_add_f32_e32 v1, v1, v3
	v_mul_f32_e32 v6, v138, v188
	v_fmac_f32_e32 v165, v137, v214
	v_add_f32_e32 v2, v2, v163
	v_fma_f32 v3, v138, v190, -v4
	v_add_f32_e32 v1, v1, v5
	v_fmac_f32_e32 v6, v139, v190
	v_add_f32_e32 v2, v2, v165
	v_add_f32_e32 v1, v1, v3
	;; [unrolled: 1-line block ×3, first 2 shown]
	s_waitcnt vmcnt(0)
	v_sub_f32_e32 v1, v154, v1
	v_sub_f32_e32 v2, v177, v2
	buffer_store_dword v1, off, s[0:3], 0 offset:112
	buffer_store_dword v2, off, s[0:3], 0 offset:116
	v_cmpx_lt_u32_e32 13, v0
	s_cbranch_execz .LBB60_353
; %bb.352:
	s_clause 0x1
	buffer_load_dword v1, off, s[0:3], 0 offset:104
	buffer_load_dword v2, off, s[0:3], 0 offset:108
	v_mov_b32_e32 v3, 0
	buffer_store_dword v3, off, s[0:3], 0 offset:104
	buffer_store_dword v3, off, s[0:3], 0 offset:108
	s_waitcnt vmcnt(0)
	ds_write_b64 v135, v[1:2]
.LBB60_353:
	s_or_b32 exec_lo, exec_lo, s4
	s_waitcnt lgkmcnt(0)
	s_waitcnt_vscnt null, 0x0
	s_barrier
	buffer_gl0_inv
	s_clause 0x2c
	buffer_load_dword v11, off, s[0:3], 0 offset:116
	buffer_load_dword v12, off, s[0:3], 0 offset:124
	;; [unrolled: 1-line block ×45, first 2 shown]
	v_mov_b32_e32 v9, 0
	ds_read_b128 v[5:8], v9 offset:608
	ds_read_b128 v[1:4], v9 offset:624
	s_clause 0x9
	buffer_load_dword v184, off, s[0:3], 0 offset:292
	buffer_load_dword v181, off, s[0:3], 0 offset:300
	;; [unrolled: 1-line block ×10, first 2 shown]
	ds_read_b128 v[188:191], v9 offset:640
	ds_read_b128 v[192:195], v9 offset:656
	s_mov_b32 s4, exec_lo
	s_waitcnt vmcnt(54) lgkmcnt(3)
	v_mul_f32_e32 v196, v5, v11
	v_mul_f32_e32 v11, v6, v11
	s_waitcnt vmcnt(53)
	v_mul_f32_e32 v197, v7, v12
	v_mul_f32_e32 v12, v8, v12
	s_waitcnt vmcnt(52) lgkmcnt(2)
	v_mul_f32_e32 v198, v1, v136
	s_waitcnt vmcnt(49)
	v_fmac_f32_e32 v196, v6, v139
	v_fma_f32 v11, v5, v139, -v11
	s_waitcnt vmcnt(48)
	v_mul_f32_e32 v199, v3, v138
	v_mul_f32_e32 v5, v2, v136
	;; [unrolled: 1-line block ×3, first 2 shown]
	v_fmac_f32_e32 v197, v8, v137
	s_waitcnt vmcnt(43) lgkmcnt(1)
	v_mul_f32_e32 v200, v188, v146
	v_mul_f32_e32 v136, v189, v146
	v_fma_f32 v12, v7, v137, -v12
	v_fmac_f32_e32 v198, v2, v10
	v_fmac_f32_e32 v199, v4, v147
	v_fma_f32 v10, v1, v10, -v5
	v_fma_f32 v147, v3, v147, -v6
	ds_read_b128 v[1:4], v9 offset:672
	ds_read_b128 v[5:8], v9 offset:688
	s_waitcnt vmcnt(42)
	v_mul_f32_e32 v146, v190, v145
	v_mul_f32_e32 v137, v191, v145
	s_waitcnt vmcnt(41) lgkmcnt(2)
	v_mul_f32_e32 v145, v192, v143
	v_fmac_f32_e32 v200, v189, v142
	v_fma_f32 v188, v188, v142, -v136
	s_waitcnt vmcnt(40)
	v_mul_f32_e32 v189, v194, v144
	v_mul_f32_e32 v136, v193, v143
	;; [unrolled: 1-line block ×3, first 2 shown]
	v_fmac_f32_e32 v146, v191, v141
	v_fma_f32 v144, v190, v141, -v137
	v_fmac_f32_e32 v145, v193, v140
	s_waitcnt vmcnt(36)
	v_fmac_f32_e32 v189, v195, v155
	v_fma_f32 v190, v192, v140, -v136
	v_fma_f32 v155, v194, v155, -v138
	ds_read_b128 v[136:139], v9 offset:704
	ds_read_b128 v[140:143], v9 offset:720
	s_waitcnt vmcnt(35) lgkmcnt(3)
	v_mul_f32_e32 v191, v1, v153
	s_waitcnt vmcnt(34)
	v_mul_f32_e32 v192, v3, v154
	v_mul_f32_e32 v153, v2, v153
	;; [unrolled: 1-line block ×3, first 2 shown]
	s_waitcnt vmcnt(33) lgkmcnt(2)
	v_mul_f32_e32 v193, v5, v152
	v_mul_f32_e32 v152, v6, v152
	v_fmac_f32_e32 v191, v2, v150
	v_fmac_f32_e32 v192, v4, v149
	v_fma_f32 v150, v1, v150, -v153
	v_fma_f32 v149, v3, v149, -v154
	s_clause 0x1
	buffer_load_dword v153, off, s[0:3], 0 offset:332
	buffer_load_dword v154, off, s[0:3], 0 offset:340
	s_waitcnt vmcnt(34)
	v_mul_f32_e32 v194, v7, v151
	v_mul_f32_e32 v151, v8, v151
	v_fmac_f32_e32 v193, v6, v148
	v_fma_f32 v148, v5, v148, -v152
	ds_read_b128 v[1:4], v9 offset:736
	s_waitcnt vmcnt(29) lgkmcnt(2)
	v_mul_f32_e32 v152, v136, v163
	v_mul_f32_e32 v5, v137, v163
	s_waitcnt vmcnt(28)
	v_mul_f32_e32 v6, v139, v164
	v_fmac_f32_e32 v194, v8, v166
	v_fma_f32 v151, v7, v166, -v151
	v_fmac_f32_e32 v152, v137, v158
	v_fma_f32 v136, v136, v158, -v5
	v_fma_f32 v137, v138, v157, -v6
	ds_read_b128 v[5:8], v9 offset:752
	v_mul_f32_e32 v166, v138, v164
	s_waitcnt vmcnt(27) lgkmcnt(2)
	v_mul_f32_e32 v163, v140, v160
	s_waitcnt vmcnt(26)
	v_mul_f32_e32 v164, v142, v161
	v_mul_f32_e32 v160, v141, v160
	;; [unrolled: 1-line block ×3, first 2 shown]
	v_fmac_f32_e32 v166, v139, v157
	v_fmac_f32_e32 v163, v141, v156
	s_waitcnt vmcnt(22)
	v_fmac_f32_e32 v164, v143, v179
	v_fma_f32 v138, v140, v156, -v160
	v_fma_f32 v139, v142, v179, -v161
	s_clause 0x5
	buffer_load_dword v156, off, s[0:3], 0 offset:348
	buffer_load_dword v157, off, s[0:3], 0 offset:356
	;; [unrolled: 1-line block ×6, first 2 shown]
	s_waitcnt vmcnt(27) lgkmcnt(1)
	v_mul_f32_e32 v140, v1, v174
	s_waitcnt vmcnt(26)
	v_mul_f32_e32 v141, v3, v175
	v_mul_f32_e32 v142, v2, v174
	;; [unrolled: 1-line block ×3, first 2 shown]
	v_add_f32_e32 v175, 0, v196
	v_fmac_f32_e32 v140, v2, v172
	v_fmac_f32_e32 v141, v4, v168
	v_fma_f32 v142, v1, v172, -v142
	v_fma_f32 v143, v3, v168, -v143
	ds_read_b128 v[1:4], v9 offset:768
	s_waitcnt vmcnt(25) lgkmcnt(1)
	v_mul_f32_e32 v168, v5, v169
	v_mul_f32_e32 v169, v6, v169
	buffer_load_dword v174, off, s[0:3], 0 offset:364
	s_waitcnt vmcnt(25)
	v_mul_f32_e32 v172, v7, v170
	v_mul_f32_e32 v170, v8, v170
	v_fmac_f32_e32 v168, v6, v167
	v_add_f32_e32 v6, 0, v11
	v_add_f32_e32 v11, v175, v197
	v_fma_f32 v167, v5, v167, -v169
	s_waitcnt vmcnt(21)
	v_fmac_f32_e32 v172, v8, v186
	v_fma_f32 v169, v7, v186, -v170
	v_add_f32_e32 v5, v6, v12
	v_add_f32_e32 v11, v11, v198
	s_clause 0x4
	buffer_load_dword v12, off, s[0:3], 0 offset:384
	buffer_load_dword v170, off, s[0:3], 0 offset:376
	;; [unrolled: 1-line block ×5, first 2 shown]
	v_add_f32_e32 v10, v5, v10
	v_add_f32_e32 v11, v11, v199
	ds_read_b128 v[5:8], v9 offset:784
	s_waitcnt vmcnt(25) lgkmcnt(1)
	v_mul_f32_e32 v196, v1, v185
	v_mul_f32_e32 v185, v2, v185
	v_add_f32_e32 v10, v10, v147
	v_add_f32_e32 v11, v11, v200
	s_clause 0x1
	buffer_load_dword v197, off, s[0:3], 0 offset:380
	buffer_load_dword v198, off, s[0:3], 0 offset:388
	v_fmac_f32_e32 v196, v2, v182
	v_fma_f32 v147, v1, v182, -v185
	v_add_f32_e32 v1, v10, v188
	v_add_f32_e32 v2, v11, v146
	buffer_load_dword v199, off, s[0:3], 0 offset:396
	s_waitcnt vmcnt(27)
	v_mul_f32_e32 v182, v3, v180
	v_mul_f32_e32 v10, v4, v180
	v_add_f32_e32 v1, v1, v144
	v_add_f32_e32 v2, v2, v145
	s_clause 0x2
	buffer_load_dword v185, off, s[0:3], 0 offset:404
	buffer_load_dword v188, off, s[0:3], 0 offset:412
	;; [unrolled: 1-line block ×3, first 2 shown]
	v_fmac_f32_e32 v182, v4, v176
	v_fma_f32 v10, v3, v176, -v10
	v_add_f32_e32 v2, v2, v189
	s_clause 0x1
	buffer_load_dword v176, off, s[0:3], 0 offset:428
	buffer_load_dword v200, off, s[0:3], 0 offset:436
	v_add_f32_e32 v1, v1, v190
	s_clause 0x2
	buffer_load_dword v189, off, s[0:3], 0 offset:444
	buffer_load_dword v190, off, s[0:3], 0 offset:452
	;; [unrolled: 1-line block ×3, first 2 shown]
	s_waitcnt vmcnt(34) lgkmcnt(0)
	v_mul_f32_e32 v11, v5, v184
	v_add_f32_e32 v2, v2, v191
	s_clause 0x2
	buffer_load_dword v191, off, s[0:3], 0 offset:468
	buffer_load_dword v202, off, s[0:3], 0 offset:476
	;; [unrolled: 1-line block ×3, first 2 shown]
	v_add_f32_e32 v1, v1, v155
	v_mul_f32_e32 v3, v6, v184
	v_fmac_f32_e32 v11, v6, v159
	v_add_f32_e32 v2, v2, v192
	s_clause 0x3
	buffer_load_dword v192, off, s[0:3], 0 offset:416
	buffer_load_dword v204, off, s[0:3], 0 offset:408
	;; [unrolled: 1-line block ×4, first 2 shown]
	v_add_f32_e32 v1, v1, v150
	v_fma_f32 v144, v5, v159, -v3
	v_add_f32_e32 v2, v2, v193
	v_add_f32_e32 v1, v1, v149
	;; [unrolled: 1-line block ×3, first 2 shown]
	s_clause 0x3
	buffer_load_dword v193, off, s[0:3], 0 offset:448
	buffer_load_dword v194, off, s[0:3], 0 offset:440
	;; [unrolled: 1-line block ×4, first 2 shown]
	v_add_f32_e32 v1, v1, v148
	s_waitcnt vmcnt(44)
	v_mul_f32_e32 v148, v7, v181
	v_add_f32_e32 v2, v2, v152
	v_add_f32_e32 v1, v1, v151
	s_waitcnt vmcnt(37)
	v_fmac_f32_e32 v148, v8, v183
	v_add_f32_e32 v2, v2, v166
	s_clause 0x4
	buffer_load_dword v166, off, s[0:3], 0 offset:480
	buffer_load_dword v209, off, s[0:3], 0 offset:472
	;; [unrolled: 1-line block ×5, first 2 shown]
	v_add_f32_e32 v1, v1, v136
	v_add_f32_e32 v2, v2, v163
	;; [unrolled: 1-line block ×6, first 2 shown]
	v_mul_f32_e32 v5, v8, v181
	v_add_f32_e32 v6, v1, v139
	ds_read_b128 v[1:4], v9 offset:800
	v_add_f32_e32 v140, v136, v141
	v_fma_f32 v149, v7, v183, -v5
	v_add_f32_e32 v137, v6, v142
	ds_read_b128 v[5:8], v9 offset:816
	v_add_f32_e32 v140, v140, v168
	v_add_f32_e32 v141, v137, v143
	ds_read_b128 v[136:139], v9 offset:832
	v_add_f32_e32 v145, v140, v172
	v_add_f32_e32 v141, v141, v167
	s_waitcnt lgkmcnt(2)
	v_mul_f32_e32 v142, v2, v177
	v_mul_f32_e32 v152, v1, v177
	;; [unrolled: 1-line block ×3, first 2 shown]
	v_fma_f32 v155, v1, v178, -v142
	v_add_f32_e32 v1, v141, v169
	v_fmac_f32_e32 v152, v2, v178
	v_add_f32_e32 v2, v145, v196
	s_waitcnt lgkmcnt(1)
	v_mul_f32_e32 v163, v5, v171
	v_mul_f32_e32 v146, v6, v171
	v_add_f32_e32 v1, v1, v147
	ds_read_b128 v[140:143], v9 offset:848
	v_add_f32_e32 v2, v2, v182
	v_fmac_f32_e32 v163, v6, v162
	v_fma_f32 v162, v5, v162, -v146
	v_add_f32_e32 v1, v1, v10
	v_mul_f32_e32 v145, v4, v173
	v_add_f32_e32 v5, v2, v11
	v_fmac_f32_e32 v159, v4, v165
	v_add_f32_e32 v6, v1, v144
	v_fma_f32 v10, v3, v165, -v145
	ds_read_b128 v[1:4], v9 offset:864
	ds_read_b128 v[144:147], v9 offset:880
	s_waitcnt vmcnt(40)
	v_mul_f32_e32 v150, v8, v153
	s_waitcnt vmcnt(39) lgkmcnt(3)
	v_mul_f32_e32 v167, v136, v154
	v_mul_f32_e32 v11, v137, v154
	;; [unrolled: 1-line block ×3, first 2 shown]
	s_waitcnt vmcnt(38)
	v_mul_f32_e32 v168, v138, v156
	s_waitcnt vmcnt(34)
	v_fmac_f32_e32 v167, v137, v161
	v_fma_f32 v161, v136, v161, -v11
	v_add_f32_e32 v11, v6, v149
	v_add_f32_e32 v137, v5, v148
	s_waitcnt vmcnt(33)
	v_fma_f32 v165, v7, v179, -v150
	v_fmac_f32_e32 v164, v8, v179
	v_fmac_f32_e32 v168, v139, v160
	v_add_f32_e32 v11, v11, v155
	v_add_f32_e32 v136, v137, v152
	v_mul_f32_e32 v137, v139, v156
	s_waitcnt lgkmcnt(2)
	v_mul_f32_e32 v156, v140, v157
	v_mul_f32_e32 v152, v141, v157
	v_add_f32_e32 v10, v11, v10
	v_add_f32_e32 v136, v136, v159
	v_fma_f32 v160, v138, v160, -v137
	s_waitcnt vmcnt(32)
	v_mul_f32_e32 v157, v143, v174
	v_fmac_f32_e32 v156, v141, v158
	v_add_f32_e32 v162, v10, v162
	v_add_f32_e32 v163, v136, v163
	v_fma_f32 v158, v140, v158, -v152
	v_mul_f32_e32 v159, v142, v174
	ds_read_b128 v[5:8], v9 offset:896
	ds_read_b128 v[148:151], v9 offset:912
	v_add_f32_e32 v162, v162, v165
	v_add_f32_e32 v163, v163, v164
	s_waitcnt vmcnt(28)
	v_fma_f32 v157, v142, v186, -v157
	s_waitcnt vmcnt(27) lgkmcnt(3)
	v_mul_f32_e32 v169, v2, v195
	v_fmac_f32_e32 v159, v143, v186
	v_add_f32_e32 v161, v162, v161
	v_add_f32_e32 v163, v163, v167
	v_mul_f32_e32 v164, v1, v195
	v_fma_f32 v1, v1, v175, -v169
	ds_read_b128 v[136:139], v9 offset:928
	ds_read_b128 v[152:155], v9 offset:944
	v_add_f32_e32 v160, v161, v160
	v_add_f32_e32 v163, v163, v168
	s_waitcnt vmcnt(26)
	v_mul_f32_e32 v171, v4, v197
	v_mul_f32_e32 v165, v3, v197
	v_fmac_f32_e32 v164, v2, v175
	v_add_f32_e32 v158, v160, v158
	v_add_f32_e32 v156, v163, v156
	s_waitcnt vmcnt(25) lgkmcnt(4)
	v_mul_f32_e32 v167, v144, v198
	v_mul_f32_e32 v169, v145, v198
	v_fma_f32 v3, v3, v170, -v171
	v_add_f32_e32 v157, v158, v157
	v_add_f32_e32 v156, v156, v159
	v_fmac_f32_e32 v165, v4, v170
	s_waitcnt vmcnt(24)
	v_mul_f32_e32 v158, v147, v199
	v_fmac_f32_e32 v167, v145, v12
	v_add_f32_e32 v1, v157, v1
	v_add_f32_e32 v156, v156, v164
	v_fma_f32 v12, v144, v12, -v169
	v_mul_f32_e32 v162, v146, v199
	s_waitcnt vmcnt(23) lgkmcnt(3)
	v_mul_f32_e32 v144, v6, v185
	v_add_f32_e32 v1, v1, v3
	v_add_f32_e32 v3, v156, v165
	v_mul_f32_e32 v2, v5, v185
	s_waitcnt vmcnt(22)
	v_mul_f32_e32 v168, v7, v188
	s_waitcnt vmcnt(21) lgkmcnt(2)
	v_mul_f32_e32 v161, v148, v180
	v_add_f32_e32 v1, v1, v12
	v_add_f32_e32 v3, v3, v167
	v_mul_f32_e32 v12, v8, v188
	s_waitcnt vmcnt(9)
	v_fma_f32 v145, v146, v206, -v158
	v_fmac_f32_e32 v162, v147, v206
	v_fma_f32 v5, v5, v205, -v144
	v_fmac_f32_e32 v2, v6, v205
	v_mul_f32_e32 v6, v149, v180
	v_add_f32_e32 v1, v1, v145
	v_add_f32_e32 v3, v3, v162
	v_fma_f32 v7, v7, v204, -v12
	v_fmac_f32_e32 v168, v8, v204
	v_mul_f32_e32 v4, v150, v176
	v_add_f32_e32 v1, v1, v5
	v_add_f32_e32 v2, v3, v2
	v_mul_f32_e32 v3, v151, v176
	v_fma_f32 v5, v148, v192, -v6
	v_fmac_f32_e32 v161, v149, v192
	v_add_f32_e32 v1, v1, v7
	v_add_f32_e32 v2, v2, v168
	s_waitcnt lgkmcnt(1)
	v_mul_f32_e32 v6, v137, v200
	s_waitcnt vmcnt(5)
	v_fma_f32 v3, v150, v208, -v3
	ds_read_b128 v[140:143], v9 offset:960
	ds_read_b64 v[10:11], v9 offset:976
	v_add_f32_e32 v1, v1, v5
	v_mul_f32_e32 v170, v136, v200
	v_fmac_f32_e32 v4, v151, v208
	v_add_f32_e32 v2, v2, v161
	v_mul_f32_e32 v5, v139, v189
	v_fma_f32 v6, v136, v207, -v6
	v_add_f32_e32 v1, v1, v3
	v_mul_f32_e32 v160, v138, v189
	v_fmac_f32_e32 v170, v137, v207
	v_add_f32_e32 v2, v2, v4
	s_waitcnt lgkmcnt(2)
	v_mul_f32_e32 v3, v153, v190
	v_fma_f32 v4, v138, v194, -v5
	v_add_f32_e32 v1, v1, v6
	v_mul_f32_e32 v163, v152, v190
	v_fmac_f32_e32 v160, v139, v194
	v_add_f32_e32 v2, v2, v170
	v_mul_f32_e32 v5, v155, v201
	v_fma_f32 v3, v152, v193, -v3
	v_add_f32_e32 v1, v1, v4
	v_mul_f32_e32 v171, v154, v201
	v_fmac_f32_e32 v163, v153, v193
	v_add_f32_e32 v2, v2, v160
	s_waitcnt lgkmcnt(1)
	v_mul_f32_e32 v4, v141, v191
	s_waitcnt vmcnt(1)
	v_fma_f32 v5, v154, v211, -v5
	v_add_f32_e32 v1, v1, v3
	v_mul_f32_e32 v159, v140, v191
	v_fmac_f32_e32 v171, v155, v211
	v_add_f32_e32 v2, v2, v163
	v_mul_f32_e32 v3, v143, v202
	v_fma_f32 v4, v140, v210, -v4
	v_add_f32_e32 v1, v1, v5
	v_mul_f32_e32 v172, v142, v202
	v_fmac_f32_e32 v159, v141, v210
	v_add_f32_e32 v2, v2, v171
	s_waitcnt lgkmcnt(0)
	v_mul_f32_e32 v5, v11, v203
	v_fma_f32 v3, v142, v209, -v3
	v_add_f32_e32 v1, v1, v4
	v_mul_f32_e32 v157, v10, v203
	v_fmac_f32_e32 v172, v143, v209
	v_add_f32_e32 v2, v2, v159
	v_fma_f32 v4, v10, v166, -v5
	v_add_f32_e32 v1, v1, v3
	v_fmac_f32_e32 v157, v11, v166
	v_add_f32_e32 v2, v2, v172
	v_add_f32_e32 v1, v1, v4
	;; [unrolled: 1-line block ×3, first 2 shown]
	s_waitcnt vmcnt(0)
	v_sub_f32_e32 v1, v212, v1
	v_sub_f32_e32 v2, v187, v2
	buffer_store_dword v1, off, s[0:3], 0 offset:104
	buffer_store_dword v2, off, s[0:3], 0 offset:108
	v_cmpx_lt_u32_e32 12, v0
	s_cbranch_execz .LBB60_355
; %bb.354:
	s_clause 0x1
	buffer_load_dword v1, off, s[0:3], 0 offset:96
	buffer_load_dword v2, off, s[0:3], 0 offset:100
	buffer_store_dword v9, off, s[0:3], 0 offset:96
	buffer_store_dword v9, off, s[0:3], 0 offset:100
	s_waitcnt vmcnt(0)
	ds_write_b64 v135, v[1:2]
.LBB60_355:
	s_or_b32 exec_lo, exec_lo, s4
	s_waitcnt lgkmcnt(0)
	s_waitcnt_vscnt null, 0x0
	s_barrier
	buffer_gl0_inv
	s_clause 0x33
	buffer_load_dword v170, off, s[0:3], 0 offset:108
	buffer_load_dword v171, off, s[0:3], 0 offset:116
	;; [unrolled: 1-line block ×52, first 2 shown]
	ds_read2_b64 v[179:182], v9 offset0:75 offset1:76
	ds_read2_b64 v[183:186], v9 offset0:77 offset1:78
	;; [unrolled: 1-line block ×3, first 2 shown]
	s_clause 0x1
	buffer_load_dword v176, off, s[0:3], 0 offset:300
	buffer_load_dword v177, off, s[0:3], 0 offset:308
	ds_read2_b64 v[191:194], v9 offset0:81 offset1:82
	s_mov_b32 s4, exec_lo
	s_waitcnt vmcnt(53) lgkmcnt(3)
	v_mul_f32_e32 v195, v179, v170
	v_mul_f32_e32 v196, v180, v170
	s_waitcnt vmcnt(52)
	v_mul_f32_e32 v197, v181, v171
	v_mul_f32_e32 v171, v182, v171
	buffer_load_dword v170, off, s[0:3], 0 offset:100
	s_waitcnt vmcnt(50)
	v_fmac_f32_e32 v195, v180, v7
	v_fma_f32 v196, v179, v7, -v196
	v_fmac_f32_e32 v197, v182, v5
	v_fma_f32 v171, v181, v5, -v171
	ds_read2_b64 v[179:182], v9 offset0:83 offset1:84
	s_waitcnt vmcnt(49) lgkmcnt(3)
	v_mul_f32_e32 v198, v183, v2
	s_waitcnt vmcnt(48)
	v_mul_f32_e32 v199, v185, v3
	v_mul_f32_e32 v2, v184, v2
	;; [unrolled: 1-line block ×3, first 2 shown]
	s_waitcnt vmcnt(47) lgkmcnt(2)
	v_mul_f32_e32 v200, v187, v6
	v_mul_f32_e32 v5, v188, v6
	v_fmac_f32_e32 v198, v184, v1
	v_fma_f32 v201, v183, v1, -v2
	s_waitcnt vmcnt(46)
	v_mul_f32_e32 v202, v189, v4
	v_mul_f32_e32 v6, v190, v4
	s_waitcnt vmcnt(42)
	v_fma_f32 v203, v185, v137, -v3
	ds_read2_b64 v[1:4], v9 offset0:85 offset1:86
	v_fmac_f32_e32 v199, v186, v137
	v_fmac_f32_e32 v200, v188, v136
	v_fma_f32 v187, v187, v136, -v5
	v_fmac_f32_e32 v202, v190, v11
	v_fma_f32 v11, v189, v11, -v6
	ds_read2_b64 v[183:186], v9 offset0:87 offset1:88
	s_waitcnt vmcnt(41) lgkmcnt(3)
	v_mul_f32_e32 v188, v191, v12
	v_mul_f32_e32 v5, v192, v12
	s_waitcnt vmcnt(40)
	v_mul_f32_e32 v12, v193, v10
	v_mul_f32_e32 v6, v194, v10
	s_waitcnt vmcnt(39) lgkmcnt(2)
	v_mul_f32_e32 v10, v179, v138
	v_fmac_f32_e32 v188, v192, v8
	v_fma_f32 v189, v191, v8, -v5
	v_mul_f32_e32 v136, v180, v138
	s_waitcnt vmcnt(38)
	v_mul_f32_e32 v137, v182, v139
	s_waitcnt vmcnt(34)
	v_fmac_f32_e32 v12, v194, v145
	v_fma_f32 v145, v193, v145, -v6
	ds_read2_b64 v[5:8], v9 offset0:89 offset1:90
	v_mul_f32_e32 v190, v181, v139
	v_fmac_f32_e32 v10, v180, v144
	v_fma_f32 v144, v179, v144, -v136
	v_fma_f32 v179, v181, v142, -v137
	ds_read2_b64 v[136:139], v9 offset0:91 offset1:92
	v_fmac_f32_e32 v190, v182, v142
	s_waitcnt vmcnt(33) lgkmcnt(3)
	v_mul_f32_e32 v180, v1, v143
	v_mul_f32_e32 v142, v2, v143
	s_waitcnt vmcnt(32)
	v_mul_f32_e32 v181, v3, v141
	v_mul_f32_e32 v141, v4, v141
	s_waitcnt vmcnt(31) lgkmcnt(2)
	v_mul_f32_e32 v182, v183, v146
	v_fmac_f32_e32 v180, v2, v140
	v_fma_f32 v191, v1, v140, -v142
	v_mul_f32_e32 v140, v184, v146
	s_waitcnt vmcnt(30)
	v_mul_f32_e32 v192, v185, v147
	v_mul_f32_e32 v142, v186, v147
	s_waitcnt vmcnt(26)
	v_fmac_f32_e32 v181, v4, v153
	v_fma_f32 v146, v3, v153, -v141
	ds_read2_b64 v[1:4], v9 offset0:93 offset1:94
	v_fmac_f32_e32 v182, v184, v152
	v_fma_f32 v147, v183, v152, -v140
	s_waitcnt vmcnt(25) lgkmcnt(2)
	v_mul_f32_e32 v152, v5, v151
	v_fmac_f32_e32 v192, v186, v150
	v_fma_f32 v150, v185, v150, -v142
	ds_read2_b64 v[140:143], v9 offset0:95 offset1:96
	v_mul_f32_e32 v151, v6, v151
	s_waitcnt vmcnt(24)
	v_mul_f32_e32 v153, v7, v149
	v_mul_f32_e32 v149, v8, v149
	s_waitcnt vmcnt(23) lgkmcnt(2)
	v_mul_f32_e32 v183, v136, v154
	v_fmac_f32_e32 v152, v6, v148
	v_mul_f32_e32 v6, v137, v154
	v_fma_f32 v5, v5, v148, -v151
	s_waitcnt vmcnt(22)
	v_mul_f32_e32 v148, v138, v155
	v_mul_f32_e32 v151, v139, v155
	s_waitcnt vmcnt(18)
	v_fmac_f32_e32 v153, v8, v162
	v_fma_f32 v7, v7, v162, -v149
	v_fmac_f32_e32 v183, v137, v161
	v_fma_f32 v6, v136, v161, -v6
	s_clause 0x5
	buffer_load_dword v149, off, s[0:3], 0 offset:324
	buffer_load_dword v154, off, s[0:3], 0 offset:328
	;; [unrolled: 1-line block ×6, first 2 shown]
	v_fma_f32 v136, v138, v157, -v151
	s_waitcnt vmcnt(23) lgkmcnt(1)
	v_mul_f32_e32 v137, v1, v158
	s_waitcnt vmcnt(22)
	v_mul_f32_e32 v151, v3, v159
	v_mul_f32_e32 v8, v2, v158
	;; [unrolled: 1-line block ×3, first 2 shown]
	v_fmac_f32_e32 v148, v139, v157
	v_fmac_f32_e32 v137, v2, v156
	s_waitcnt vmcnt(18)
	v_fmac_f32_e32 v151, v4, v169
	v_fma_f32 v139, v1, v156, -v8
	v_fma_f32 v156, v3, v169, -v138
	s_waitcnt vmcnt(17) lgkmcnt(0)
	v_mul_f32_e32 v169, v140, v167
	v_mul_f32_e32 v8, v141, v167
	s_clause 0x1
	buffer_load_dword v157, off, s[0:3], 0 offset:340
	buffer_load_dword v158, off, s[0:3], 0 offset:348
	ds_read2_b64 v[1:4], v9 offset0:97 offset1:98
	buffer_load_dword v159, off, s[0:3], 0 offset:356
	s_waitcnt vmcnt(19)
	v_mul_f32_e32 v185, v142, v168
	v_mul_f32_e32 v138, v143, v168
	v_fmac_f32_e32 v169, v141, v166
	v_fma_f32 v140, v140, v166, -v8
	s_clause 0x5
	buffer_load_dword v166, off, s[0:3], 0 offset:376
	buffer_load_dword v167, off, s[0:3], 0 offset:368
	;; [unrolled: 1-line block ×6, first 2 shown]
	v_fmac_f32_e32 v185, v143, v165
	v_fma_f32 v165, v142, v165, -v138
	v_add_f32_e32 v8, 0, v195
	v_add_f32_e32 v138, 0, v196
	;; [unrolled: 1-line block ×4, first 2 shown]
	buffer_load_dword v171, off, s[0:3], 0 offset:380
	s_waitcnt vmcnt(25) lgkmcnt(0)
	v_mul_f32_e32 v141, v2, v164
	v_add_f32_e32 v8, v8, v198
	v_add_f32_e32 v138, v138, v201
	s_waitcnt vmcnt(24)
	v_mul_f32_e32 v142, v4, v163
	s_clause 0x3
	buffer_load_dword v195, off, s[0:3], 0 offset:388
	buffer_load_dword v196, off, s[0:3], 0 offset:396
	;; [unrolled: 1-line block ×4, first 2 shown]
	v_add_f32_e32 v8, v8, v199
	v_add_f32_e32 v138, v138, v203
	v_mul_f32_e32 v199, v1, v164
	v_mul_f32_e32 v164, v3, v163
	v_add_f32_e32 v8, v8, v200
	v_add_f32_e32 v138, v138, v187
	v_fmac_f32_e32 v199, v2, v160
	v_fma_f32 v160, v1, v160, -v141
	s_clause 0x3
	buffer_load_dword v163, off, s[0:3], 0 offset:420
	buffer_load_dword v187, off, s[0:3], 0 offset:428
	;; [unrolled: 1-line block ×4, first 2 shown]
	v_add_f32_e32 v1, v8, v202
	v_add_f32_e32 v2, v138, v11
	s_waitcnt vmcnt(27)
	v_fmac_f32_e32 v164, v4, v178
	v_fma_f32 v11, v3, v178, -v142
	s_clause 0x1
	buffer_load_dword v178, off, s[0:3], 0 offset:452
	buffer_load_dword v202, off, s[0:3], 0 offset:460
	v_add_f32_e32 v1, v1, v188
	v_add_f32_e32 v2, v2, v189
	s_clause 0x6
	buffer_load_dword v188, off, s[0:3], 0 offset:468
	buffer_load_dword v189, off, s[0:3], 0 offset:476
	;; [unrolled: 1-line block ×7, first 2 shown]
	v_add_f32_e32 v1, v1, v12
	v_add_f32_e32 v2, v2, v145
	;; [unrolled: 1-line block ×6, first 2 shown]
	s_clause 0x3
	buffer_load_dword v179, off, s[0:3], 0 offset:440
	buffer_load_dword v190, off, s[0:3], 0 offset:432
	;; [unrolled: 1-line block ×4, first 2 shown]
	v_add_f32_e32 v1, v1, v180
	v_add_f32_e32 v2, v2, v191
	;; [unrolled: 1-line block ×3, first 2 shown]
	s_clause 0x4
	buffer_load_dword v180, off, s[0:3], 0 offset:472
	buffer_load_dword v181, off, s[0:3], 0 offset:464
	;; [unrolled: 1-line block ×5, first 2 shown]
	v_add_f32_e32 v2, v2, v146
	v_add_f32_e32 v1, v1, v182
	buffer_load_dword v182, off, s[0:3], 0 offset:480
	v_add_f32_e32 v2, v2, v147
	v_add_f32_e32 v1, v1, v192
	;; [unrolled: 1-line block ×5, first 2 shown]
	ds_read2_b64 v[1:4], v9 offset0:99 offset1:100
	v_add_f32_e32 v5, v5, v7
	v_add_f32_e32 v7, v8, v153
	;; [unrolled: 1-line block ×4, first 2 shown]
	ds_read2_b64 v[5:8], v9 offset0:101 offset1:102
	v_add_f32_e32 v10, v10, v136
	v_add_f32_e32 v12, v12, v148
	;; [unrolled: 1-line block ×4, first 2 shown]
	s_waitcnt vmcnt(44) lgkmcnt(1)
	v_mul_f32_e32 v152, v3, v177
	v_mul_f32_e32 v138, v4, v177
	;; [unrolled: 1-line block ×3, first 2 shown]
	v_add_f32_e32 v10, v10, v156
	v_add_f32_e32 v12, v12, v151
	v_mul_f32_e32 v136, v2, v176
	v_fmac_f32_e32 v152, v4, v174
	v_fma_f32 v153, v3, v174, -v138
	v_add_f32_e32 v10, v10, v140
	v_add_f32_e32 v12, v12, v169
	s_waitcnt lgkmcnt(0)
	v_mul_f32_e32 v156, v5, v173
	v_mul_f32_e32 v141, v6, v173
	v_fmac_f32_e32 v150, v2, v175
	v_fma_f32 v148, v1, v175, -v136
	ds_read2_b64 v[1:4], v9 offset0:103 offset1:104
	ds_read2_b64 v[136:139], v9 offset0:105 offset1:106
	v_add_f32_e32 v10, v10, v165
	v_fmac_f32_e32 v156, v6, v172
	v_fma_f32 v172, v5, v172, -v141
	v_add_f32_e32 v12, v12, v185
	v_add_f32_e32 v10, v10, v160
	;; [unrolled: 1-line block ×9, first 2 shown]
	s_waitcnt vmcnt(42)
	v_mul_f32_e32 v174, v7, v149
	v_mul_f32_e32 v142, v8, v149
	s_waitcnt vmcnt(40) lgkmcnt(1)
	v_mul_f32_e32 v165, v1, v155
	v_mul_f32_e32 v144, v2, v155
	s_waitcnt vmcnt(37)
	v_fmac_f32_e32 v174, v8, v184
	v_fma_f32 v173, v7, v184, -v142
	ds_read2_b64 v[5:8], v9 offset0:107 offset1:108
	ds_read2_b64 v[140:143], v9 offset0:109 offset1:110
	v_fmac_f32_e32 v165, v2, v154
	v_fma_f32 v154, v1, v154, -v144
	s_waitcnt vmcnt(36)
	v_mul_f32_e32 v155, v3, v157
	v_mul_f32_e32 v145, v4, v157
	s_waitcnt vmcnt(35) lgkmcnt(2)
	v_mul_f32_e32 v157, v136, v158
	v_mul_f32_e32 v149, v137, v158
	s_waitcnt vmcnt(34)
	v_mul_f32_e32 v12, v139, v159
	v_mul_f32_e32 v160, v138, v159
	v_fmac_f32_e32 v155, v4, v162
	v_fmac_f32_e32 v157, v137, v161
	v_fma_f32 v159, v136, v161, -v149
	s_waitcnt vmcnt(29) lgkmcnt(1)
	v_mul_f32_e32 v153, v5, v193
	v_fma_f32 v161, v138, v186, -v12
	v_mul_f32_e32 v12, v6, v193
	v_fma_f32 v158, v3, v162, -v145
	s_waitcnt vmcnt(28)
	v_mul_f32_e32 v152, v7, v194
	v_fmac_f32_e32 v153, v6, v168
	v_add_f32_e32 v6, v10, v172
	v_mul_f32_e32 v162, v8, v194
	v_add_f32_e32 v10, v11, v156
	v_fmac_f32_e32 v152, v8, v167
	ds_read2_b64 v[1:4], v9 offset0:111 offset1:112
	ds_read2_b64 v[144:147], v9 offset0:113 offset1:114
	v_add_f32_e32 v164, v6, v173
	v_fma_f32 v162, v7, v167, -v162
	v_add_f32_e32 v167, v10, v174
	v_fmac_f32_e32 v160, v139, v186
	v_fma_f32 v156, v5, v168, -v12
	v_add_f32_e32 v154, v164, v154
	s_waitcnt vmcnt(27) lgkmcnt(2)
	v_mul_f32_e32 v164, v141, v171
	v_add_f32_e32 v165, v167, v165
	v_mul_f32_e32 v168, v140, v171
	s_waitcnt vmcnt(26)
	v_mul_f32_e32 v169, v143, v195
	v_add_f32_e32 v154, v154, v158
	v_fma_f32 v140, v140, v166, -v164
	v_add_f32_e32 v155, v165, v155
	v_mul_f32_e32 v167, v142, v195
	v_fmac_f32_e32 v168, v141, v166
	v_add_f32_e32 v154, v154, v159
	ds_read2_b64 v[136:139], v9 offset0:115 offset1:116
	ds_read2_b64 v[148:151], v9 offset0:117 offset1:118
	v_add_f32_e32 v155, v155, v157
	s_waitcnt vmcnt(25) lgkmcnt(3)
	v_mul_f32_e32 v158, v1, v196
	s_waitcnt vmcnt(24)
	v_mul_f32_e32 v165, v3, v197
	v_add_f32_e32 v154, v154, v161
	s_waitcnt vmcnt(23) lgkmcnt(2)
	v_mul_f32_e32 v171, v144, v198
	v_add_f32_e32 v155, v155, v160
	s_waitcnt vmcnt(22)
	v_mul_f32_e32 v159, v146, v163
	s_waitcnt vmcnt(12)
	v_fmac_f32_e32 v165, v4, v205
	v_add_f32_e32 v154, v154, v156
	s_waitcnt vmcnt(10)
	v_fma_f32 v142, v142, v207, -v169
	v_add_f32_e32 v153, v155, v153
	v_fmac_f32_e32 v167, v143, v207
	v_fmac_f32_e32 v158, v2, v206
	v_add_f32_e32 v154, v154, v162
	v_fmac_f32_e32 v171, v145, v204
	v_add_f32_e32 v152, v153, v152
	v_mul_f32_e32 v153, v2, v196
	ds_read2_b64 v[5:8], v9 offset0:119 offset1:120
	ds_read2_b64 v[9:12], v9 offset0:121 offset1:122
	v_add_f32_e32 v140, v154, v140
	s_waitcnt lgkmcnt(3)
	v_mul_f32_e32 v157, v136, v187
	v_add_f32_e32 v143, v152, v168
	v_mul_f32_e32 v152, v4, v197
	v_fma_f32 v1, v1, v206, -v153
	v_add_f32_e32 v2, v140, v142
	v_mul_f32_e32 v142, v145, v198
	v_add_f32_e32 v140, v143, v167
	v_fma_f32 v3, v3, v205, -v152
	v_mul_f32_e32 v4, v147, v163
	v_add_f32_e32 v1, v2, v1
	s_waitcnt vmcnt(6)
	v_fmac_f32_e32 v159, v147, v209
	v_add_f32_e32 v2, v140, v158
	v_fma_f32 v140, v144, v204, -v142
	v_fma_f32 v4, v146, v209, -v4
	v_add_f32_e32 v1, v1, v3
	v_mul_f32_e32 v3, v137, v187
	v_add_f32_e32 v2, v2, v165
	v_mul_f32_e32 v172, v138, v200
	v_fmac_f32_e32 v157, v137, v208
	v_add_f32_e32 v1, v1, v140
	v_mul_f32_e32 v140, v139, v200
	v_add_f32_e32 v2, v2, v171
	v_fma_f32 v3, v136, v208, -v3
	s_waitcnt lgkmcnt(2)
	v_mul_f32_e32 v161, v148, v201
	v_add_f32_e32 v1, v1, v4
	v_mul_f32_e32 v4, v149, v201
	v_add_f32_e32 v2, v2, v159
	v_fma_f32 v136, v138, v190, -v140
	v_fmac_f32_e32 v172, v139, v190
	v_add_f32_e32 v1, v1, v3
	v_mul_f32_e32 v3, v151, v178
	v_add_f32_e32 v2, v2, v157
	v_fma_f32 v4, v148, v179, -v4
	v_mul_f32_e32 v160, v150, v178
	v_add_f32_e32 v1, v1, v136
	v_fmac_f32_e32 v161, v149, v179
	v_add_f32_e32 v2, v2, v172
	s_waitcnt lgkmcnt(1)
	v_mul_f32_e32 v136, v6, v202
	s_waitcnt vmcnt(2)
	v_fma_f32 v3, v150, v210, -v3
	v_add_f32_e32 v1, v1, v4
	v_mul_f32_e32 v173, v5, v202
	v_fmac_f32_e32 v160, v151, v210
	v_add_f32_e32 v2, v2, v161
	v_mul_f32_e32 v4, v8, v188
	v_fma_f32 v5, v5, v191, -v136
	v_add_f32_e32 v1, v1, v3
	v_mul_f32_e32 v156, v7, v188
	v_fmac_f32_e32 v173, v6, v191
	v_add_f32_e32 v2, v2, v160
	s_waitcnt lgkmcnt(0)
	v_mul_f32_e32 v3, v10, v189
	v_fma_f32 v4, v7, v181, -v4
	v_add_f32_e32 v1, v1, v5
	v_mul_f32_e32 v155, v9, v189
	v_fmac_f32_e32 v156, v8, v181
	v_add_f32_e32 v2, v2, v173
	v_mul_f32_e32 v5, v12, v203
	v_fma_f32 v3, v9, v180, -v3
	v_add_f32_e32 v1, v1, v4
	v_mul_f32_e32 v141, v11, v203
	v_fmac_f32_e32 v155, v10, v180
	v_add_f32_e32 v2, v2, v156
	s_waitcnt vmcnt(0)
	v_fma_f32 v4, v11, v182, -v5
	v_add_f32_e32 v1, v1, v3
	v_fmac_f32_e32 v141, v12, v182
	v_add_f32_e32 v2, v2, v155
	v_add_f32_e32 v1, v1, v4
	;; [unrolled: 1-line block ×3, first 2 shown]
	v_sub_f32_e32 v1, v211, v1
	v_sub_f32_e32 v2, v170, v2
	buffer_store_dword v1, off, s[0:3], 0 offset:96
	buffer_store_dword v2, off, s[0:3], 0 offset:100
	v_cmpx_lt_u32_e32 11, v0
	s_cbranch_execz .LBB60_357
; %bb.356:
	s_clause 0x1
	buffer_load_dword v1, off, s[0:3], 0 offset:88
	buffer_load_dword v2, off, s[0:3], 0 offset:92
	v_mov_b32_e32 v3, 0
	buffer_store_dword v3, off, s[0:3], 0 offset:88
	buffer_store_dword v3, off, s[0:3], 0 offset:92
	s_waitcnt vmcnt(0)
	ds_write_b64 v135, v[1:2]
.LBB60_357:
	s_or_b32 exec_lo, exec_lo, s4
	s_waitcnt lgkmcnt(0)
	s_waitcnt_vscnt null, 0x0
	s_barrier
	buffer_gl0_inv
	s_clause 0x33
	buffer_load_dword v11, off, s[0:3], 0 offset:100
	buffer_load_dword v12, off, s[0:3], 0 offset:108
	buffer_load_dword v10, off, s[0:3], 0 offset:112
	buffer_load_dword v139, off, s[0:3], 0 offset:104
	buffer_load_dword v141, off, s[0:3], 0 offset:96
	buffer_load_dword v136, off, s[0:3], 0 offset:116
	buffer_load_dword v137, off, s[0:3], 0 offset:124
	buffer_load_dword v140, off, s[0:3], 0 offset:132
	buffer_load_dword v138, off, s[0:3], 0 offset:140
	buffer_load_dword v142, off, s[0:3], 0 offset:144
	buffer_load_dword v144, off, s[0:3], 0 offset:136
	buffer_load_dword v146, off, s[0:3], 0 offset:128
	buffer_load_dword v147, off, s[0:3], 0 offset:120
	buffer_load_dword v145, off, s[0:3], 0 offset:148
	buffer_load_dword v143, off, s[0:3], 0 offset:156
	buffer_load_dword v148, off, s[0:3], 0 offset:164
	buffer_load_dword v149, off, s[0:3], 0 offset:172
	buffer_load_dword v150, off, s[0:3], 0 offset:176
	buffer_load_dword v152, off, s[0:3], 0 offset:168
	buffer_load_dword v154, off, s[0:3], 0 offset:160
	buffer_load_dword v155, off, s[0:3], 0 offset:152
	buffer_load_dword v153, off, s[0:3], 0 offset:180
	buffer_load_dword v151, off, s[0:3], 0 offset:188
	buffer_load_dword v156, off, s[0:3], 0 offset:196
	buffer_load_dword v157, off, s[0:3], 0 offset:204
	buffer_load_dword v158, off, s[0:3], 0 offset:208
	buffer_load_dword v161, off, s[0:3], 0 offset:200
	buffer_load_dword v163, off, s[0:3], 0 offset:192
	buffer_load_dword v164, off, s[0:3], 0 offset:184
	buffer_load_dword v162, off, s[0:3], 0 offset:212
	buffer_load_dword v160, off, s[0:3], 0 offset:220
	buffer_load_dword v165, off, s[0:3], 0 offset:228
	buffer_load_dword v167, off, s[0:3], 0 offset:236
	buffer_load_dword v169, off, s[0:3], 0 offset:240
	buffer_load_dword v173, off, s[0:3], 0 offset:232
	buffer_load_dword v174, off, s[0:3], 0 offset:224
	buffer_load_dword v175, off, s[0:3], 0 offset:216
	buffer_load_dword v171, off, s[0:3], 0 offset:244
	buffer_load_dword v172, off, s[0:3], 0 offset:252
	buffer_load_dword v176, off, s[0:3], 0 offset:272
	buffer_load_dword v179, off, s[0:3], 0 offset:264
	buffer_load_dword v180, off, s[0:3], 0 offset:256
	buffer_load_dword v183, off, s[0:3], 0 offset:248
	buffer_load_dword v181, off, s[0:3], 0 offset:260
	buffer_load_dword v182, off, s[0:3], 0 offset:268
	buffer_load_dword v178, off, s[0:3], 0 offset:276
	buffer_load_dword v177, off, s[0:3], 0 offset:284
	buffer_load_dword v159, off, s[0:3], 0 offset:304
	buffer_load_dword v166, off, s[0:3], 0 offset:308
	buffer_load_dword v168, off, s[0:3], 0 offset:296
	buffer_load_dword v170, off, s[0:3], 0 offset:288
	buffer_load_dword v184, off, s[0:3], 0 offset:280
	v_mov_b32_e32 v9, 0
	ds_read_b128 v[5:8], v9 offset:592
	ds_read_b128 v[1:4], v9 offset:608
	;; [unrolled: 1-line block ×3, first 2 shown]
	s_clause 0x2
	buffer_load_dword v185, off, s[0:3], 0 offset:292
	buffer_load_dword v186, off, s[0:3], 0 offset:300
	buffer_load_dword v187, off, s[0:3], 0 offset:92
	ds_read_b128 v[192:195], v9 offset:640
	s_mov_b32 s4, exec_lo
	s_waitcnt vmcnt(54) lgkmcnt(3)
	v_mul_f32_e32 v196, v5, v11
	s_waitcnt vmcnt(53)
	v_mul_f32_e32 v197, v7, v12
	v_mul_f32_e32 v11, v6, v11
	;; [unrolled: 1-line block ×3, first 2 shown]
	s_waitcnt vmcnt(50)
	v_fmac_f32_e32 v196, v6, v141
	v_fmac_f32_e32 v197, v8, v139
	v_fma_f32 v11, v5, v141, -v11
	v_fma_f32 v12, v7, v139, -v12
	ds_read_b128 v[5:8], v9 offset:656
	s_waitcnt vmcnt(49) lgkmcnt(3)
	v_mul_f32_e32 v198, v1, v136
	s_waitcnt vmcnt(48)
	v_mul_f32_e32 v199, v3, v137
	v_mul_f32_e32 v136, v2, v136
	;; [unrolled: 1-line block ×3, first 2 shown]
	s_waitcnt vmcnt(47) lgkmcnt(2)
	v_mul_f32_e32 v200, v188, v140
	v_mul_f32_e32 v139, v189, v140
	v_fmac_f32_e32 v198, v2, v10
	v_fma_f32 v10, v1, v10, -v136
	s_waitcnt vmcnt(46)
	v_mul_f32_e32 v201, v190, v138
	v_mul_f32_e32 v136, v191, v138
	s_waitcnt vmcnt(42)
	v_fmac_f32_e32 v199, v4, v147
	v_fma_f32 v147, v3, v147, -v137
	ds_read_b128 v[1:4], v9 offset:672
	v_fmac_f32_e32 v200, v189, v146
	v_fma_f32 v146, v188, v146, -v139
	v_fmac_f32_e32 v201, v191, v144
	v_fma_f32 v144, v190, v144, -v136
	ds_read_b128 v[136:139], v9 offset:688
	s_waitcnt vmcnt(41) lgkmcnt(3)
	v_mul_f32_e32 v188, v192, v145
	v_mul_f32_e32 v140, v193, v145
	s_waitcnt vmcnt(40)
	v_mul_f32_e32 v145, v194, v143
	v_mul_f32_e32 v141, v195, v143
	s_waitcnt vmcnt(39) lgkmcnt(2)
	v_mul_f32_e32 v189, v5, v148
	v_fmac_f32_e32 v188, v193, v142
	v_fma_f32 v190, v192, v142, -v140
	s_waitcnt vmcnt(38)
	v_mul_f32_e32 v191, v7, v149
	v_mul_f32_e32 v148, v6, v148
	;; [unrolled: 1-line block ×3, first 2 shown]
	s_waitcnt vmcnt(34)
	v_fmac_f32_e32 v145, v195, v155
	v_fma_f32 v155, v194, v155, -v141
	ds_read_b128 v[140:143], v9 offset:704
	v_fmac_f32_e32 v189, v6, v154
	v_fmac_f32_e32 v191, v8, v152
	v_fma_f32 v148, v5, v154, -v148
	v_fma_f32 v149, v7, v152, -v149
	ds_read_b128 v[5:8], v9 offset:720
	s_waitcnt vmcnt(33) lgkmcnt(3)
	v_mul_f32_e32 v152, v1, v153
	v_mul_f32_e32 v153, v2, v153
	s_waitcnt vmcnt(32)
	v_mul_f32_e32 v154, v3, v151
	v_mul_f32_e32 v151, v4, v151
	s_waitcnt vmcnt(31) lgkmcnt(2)
	v_mul_f32_e32 v192, v136, v156
	v_fmac_f32_e32 v152, v2, v150
	v_fma_f32 v150, v1, v150, -v153
	s_waitcnt vmcnt(30)
	v_mul_f32_e32 v153, v138, v157
	v_mul_f32_e32 v157, v139, v157
	;; [unrolled: 1-line block ×3, first 2 shown]
	s_waitcnt vmcnt(26)
	v_fmac_f32_e32 v154, v4, v164
	v_fma_f32 v151, v3, v164, -v151
	v_fmac_f32_e32 v153, v139, v161
	v_fma_f32 v157, v138, v161, -v157
	s_waitcnt vmcnt(25) lgkmcnt(1)
	v_mul_f32_e32 v161, v140, v162
	v_mul_f32_e32 v162, v141, v162
	ds_read_b128 v[1:4], v9 offset:736
	v_fmac_f32_e32 v192, v137, v163
	v_fma_f32 v156, v136, v163, -v156
	s_waitcnt vmcnt(24)
	v_mul_f32_e32 v163, v142, v160
	v_mul_f32_e32 v160, v143, v160
	s_waitcnt vmcnt(23) lgkmcnt(1)
	v_mul_f32_e32 v164, v5, v165
	v_fmac_f32_e32 v161, v141, v158
	v_fma_f32 v140, v140, v158, -v162
	v_mul_f32_e32 v158, v6, v165
	ds_read_b128 v[136:139], v9 offset:752
	s_waitcnt vmcnt(22)
	v_mul_f32_e32 v141, v7, v167
	v_mul_f32_e32 v162, v8, v167
	s_waitcnt vmcnt(18)
	v_fmac_f32_e32 v163, v143, v175
	v_fma_f32 v142, v142, v175, -v160
	v_fmac_f32_e32 v164, v6, v174
	v_fma_f32 v5, v5, v174, -v158
	s_clause 0x5
	buffer_load_dword v143, off, s[0:3], 0 offset:316
	buffer_load_dword v158, off, s[0:3], 0 offset:320
	;; [unrolled: 1-line block ×6, first 2 shown]
	v_fmac_f32_e32 v141, v8, v173
	v_fma_f32 v6, v7, v173, -v162
	s_clause 0x1
	buffer_load_dword v162, off, s[0:3], 0 offset:332
	buffer_load_dword v173, off, s[0:3], 0 offset:340
	s_waitcnt vmcnt(25) lgkmcnt(1)
	v_mul_f32_e32 v175, v1, v171
	s_waitcnt vmcnt(24)
	v_mul_f32_e32 v193, v3, v172
	v_mul_f32_e32 v7, v2, v171
	;; [unrolled: 1-line block ×3, first 2 shown]
	buffer_load_dword v171, off, s[0:3], 0 offset:348
	v_fmac_f32_e32 v175, v2, v169
	s_waitcnt vmcnt(21)
	v_fmac_f32_e32 v193, v4, v183
	v_fma_f32 v169, v1, v169, -v7
	v_fma_f32 v172, v3, v183, -v8
	ds_read_b128 v[1:4], v9 offset:768
	s_waitcnt vmcnt(20) lgkmcnt(1)
	v_mul_f32_e32 v183, v136, v181
	s_waitcnt vmcnt(19)
	v_mul_f32_e32 v194, v138, v182
	v_mul_f32_e32 v7, v137, v181
	v_mul_f32_e32 v8, v139, v182
	s_clause 0x4
	buffer_load_dword v181, off, s[0:3], 0 offset:368
	buffer_load_dword v182, off, s[0:3], 0 offset:360
	;; [unrolled: 1-line block ×5, first 2 shown]
	v_fmac_f32_e32 v183, v137, v180
	v_fmac_f32_e32 v194, v139, v179
	v_fma_f32 v180, v136, v180, -v7
	v_add_f32_e32 v7, 0, v196
	v_fma_f32 v179, v138, v179, -v8
	buffer_load_dword v196, off, s[0:3], 0 offset:364
	v_add_f32_e32 v8, 0, v11
	v_add_f32_e32 v7, v7, v197
	buffer_load_dword v197, off, s[0:3], 0 offset:372
	v_add_f32_e32 v8, v8, v12
	v_add_f32_e32 v7, v7, v198
	s_waitcnt vmcnt(25) lgkmcnt(0)
	v_mul_f32_e32 v11, v1, v178
	v_mul_f32_e32 v12, v2, v178
	s_waitcnt vmcnt(24)
	v_mul_f32_e32 v178, v3, v177
	v_mul_f32_e32 v136, v4, v177
	v_fmac_f32_e32 v11, v2, v176
	v_add_f32_e32 v2, v7, v199
	v_fma_f32 v12, v1, v176, -v12
	s_clause 0x2
	buffer_load_dword v176, off, s[0:3], 0 offset:380
	buffer_load_dword v177, off, s[0:3], 0 offset:388
	;; [unrolled: 1-line block ×3, first 2 shown]
	v_add_f32_e32 v1, v8, v10
	buffer_load_dword v199, off, s[0:3], 0 offset:412
	v_add_f32_e32 v2, v2, v200
	s_waitcnt vmcnt(23)
	v_fmac_f32_e32 v178, v4, v184
	v_fma_f32 v10, v3, v184, -v136
	s_clause 0x5
	buffer_load_dword v184, off, s[0:3], 0 offset:404
	buffer_load_dword v200, off, s[0:3], 0 offset:400
	;; [unrolled: 1-line block ×6, first 2 shown]
	v_add_f32_e32 v1, v1, v147
	v_add_f32_e32 v2, v2, v201
	s_clause 0x1
	buffer_load_dword v201, off, s[0:3], 0 offset:428
	buffer_load_dword v208, off, s[0:3], 0 offset:436
	v_add_f32_e32 v1, v1, v146
	v_add_f32_e32 v2, v2, v188
	;; [unrolled: 1-line block ×6, first 2 shown]
	s_clause 0x5
	buffer_load_dword v188, off, s[0:3], 0 offset:444
	buffer_load_dword v190, off, s[0:3], 0 offset:452
	;; [unrolled: 1-line block ×6, first 2 shown]
	v_add_f32_e32 v2, v2, v191
	s_clause 0x3
	buffer_load_dword v191, off, s[0:3], 0 offset:432
	buffer_load_dword v212, off, s[0:3], 0 offset:424
	;; [unrolled: 1-line block ×4, first 2 shown]
	v_add_f32_e32 v1, v1, v155
	v_add_f32_e32 v2, v2, v152
	v_add_f32_e32 v1, v1, v148
	v_add_f32_e32 v2, v2, v154
	v_add_f32_e32 v1, v1, v149
	v_add_f32_e32 v2, v2, v192
	s_clause 0x3
	buffer_load_dword v192, off, s[0:3], 0 offset:464
	buffer_load_dword v215, off, s[0:3], 0 offset:456
	;; [unrolled: 1-line block ×4, first 2 shown]
	v_add_f32_e32 v1, v1, v150
	v_add_f32_e32 v2, v2, v153
	;; [unrolled: 1-line block ×5, first 2 shown]
	s_clause 0x1
	buffer_load_dword v156, off, s[0:3], 0 offset:480
	buffer_load_dword v218, off, s[0:3], 0 offset:472
	v_add_f32_e32 v7, v2, v163
	v_add_f32_e32 v1, v1, v157
	buffer_load_dword v157, off, s[0:3], 0 offset:88
	v_add_f32_e32 v7, v7, v164
	v_add_f32_e32 v1, v1, v140
	;; [unrolled: 1-line block ×4, first 2 shown]
	ds_read_b128 v[1:4], v9 offset:784
	v_add_f32_e32 v136, v136, v175
	v_add_f32_e32 v5, v8, v5
	;; [unrolled: 1-line block ×4, first 2 shown]
	ds_read_b128 v[5:8], v9 offset:800
	v_add_f32_e32 v140, v140, v183
	v_add_f32_e32 v137, v137, v169
	;; [unrolled: 1-line block ×4, first 2 shown]
	s_waitcnt vmcnt(47) lgkmcnt(1)
	v_mul_f32_e32 v144, v1, v185
	s_waitcnt vmcnt(46)
	v_mul_f32_e32 v148, v3, v186
	v_mul_f32_e32 v138, v2, v185
	;; [unrolled: 1-line block ×3, first 2 shown]
	v_add_f32_e32 v141, v141, v180
	v_fmac_f32_e32 v144, v2, v170
	v_fmac_f32_e32 v148, v4, v168
	v_fma_f32 v145, v1, v170, -v138
	v_fma_f32 v149, v3, v168, -v139
	v_add_f32_e32 v147, v141, v179
	ds_read_b128 v[1:4], v9 offset:816
	ds_read_b128 v[136:139], v9 offset:832
	s_waitcnt lgkmcnt(2)
	v_mul_f32_e32 v152, v5, v166
	v_mul_f32_e32 v142, v6, v166
	v_add_f32_e32 v12, v147, v12
	v_add_f32_e32 v11, v146, v11
	v_fmac_f32_e32 v152, v6, v159
	v_fma_f32 v154, v5, v159, -v142
	v_add_f32_e32 v10, v12, v10
	v_add_f32_e32 v11, v11, v178
	;; [unrolled: 1-line block ×8, first 2 shown]
	s_waitcnt vmcnt(44)
	v_mul_f32_e32 v153, v7, v143
	v_mul_f32_e32 v143, v8, v143
	s_waitcnt vmcnt(42) lgkmcnt(1)
	v_mul_f32_e32 v159, v1, v160
	v_mul_f32_e32 v146, v2, v160
	s_waitcnt vmcnt(39)
	v_fmac_f32_e32 v153, v8, v174
	v_fma_f32 v155, v7, v174, -v143
	ds_read_b128 v[5:8], v9 offset:848
	ds_read_b128 v[140:143], v9 offset:864
	s_waitcnt vmcnt(37) lgkmcnt(2)
	v_mul_f32_e32 v161, v136, v173
	v_mul_f32_e32 v150, v137, v173
	;; [unrolled: 1-line block ×3, first 2 shown]
	v_fmac_f32_e32 v159, v2, v158
	v_fma_f32 v158, v1, v158, -v146
	v_fmac_f32_e32 v161, v137, v165
	v_fma_f32 v163, v136, v165, -v150
	v_add_f32_e32 v10, v10, v155
	v_mul_f32_e32 v160, v3, v162
	v_fma_f32 v162, v3, v167, -v147
	s_waitcnt vmcnt(36)
	v_mul_f32_e32 v151, v139, v171
	v_mul_f32_e32 v12, v138, v171
	v_add_f32_e32 v158, v10, v158
	v_fmac_f32_e32 v160, v4, v167
	ds_read_b128 v[1:4], v9 offset:880
	ds_read_b128 v[144:147], v9 offset:896
	s_waitcnt vmcnt(32)
	v_fma_f32 v164, v138, v202, -v151
	v_fmac_f32_e32 v12, v139, v202
	v_add_f32_e32 v158, v158, v162
	s_waitcnt vmcnt(31) lgkmcnt(3)
	v_mul_f32_e32 v165, v5, v203
	v_mul_f32_e32 v152, v6, v203
	ds_read_b128 v[136:139], v9 offset:912
	ds_read_b128 v[148:151], v9 offset:928
	s_waitcnt vmcnt(30)
	v_mul_f32_e32 v154, v8, v196
	v_add_f32_e32 v158, v158, v163
	v_fmac_f32_e32 v165, v6, v195
	v_add_f32_e32 v6, v11, v153
	v_fma_f32 v167, v5, v195, -v152
	v_mul_f32_e32 v166, v7, v196
	v_add_f32_e32 v158, v158, v164
	v_fma_f32 v168, v7, v182, -v154
	v_add_f32_e32 v159, v6, v159
	s_waitcnt vmcnt(29) lgkmcnt(4)
	v_mul_f32_e32 v169, v141, v197
	v_fmac_f32_e32 v166, v8, v182
	v_add_f32_e32 v158, v158, v167
	ds_read_b128 v[5:8], v9 offset:944
	ds_read_b128 v[152:155], v9 offset:960
	ds_read_b64 v[10:11], v9 offset:976
	v_add_f32_e32 v159, v159, v160
	v_mul_f32_e32 v160, v140, v197
	s_waitcnt vmcnt(28)
	v_mul_f32_e32 v170, v143, v176
	v_fma_f32 v140, v140, v181, -v169
	v_add_f32_e32 v158, v158, v168
	v_add_f32_e32 v159, v159, v161
	v_mul_f32_e32 v162, v142, v176
	v_fmac_f32_e32 v160, v141, v181
	s_waitcnt vmcnt(27) lgkmcnt(6)
	v_mul_f32_e32 v161, v1, v177
	v_mul_f32_e32 v169, v2, v177
	v_add_f32_e32 v12, v159, v12
	s_waitcnt vmcnt(20)
	v_fma_f32 v142, v142, v206, -v170
	v_add_f32_e32 v140, v158, v140
	v_fmac_f32_e32 v162, v143, v206
	v_fmac_f32_e32 v161, v2, v205
	v_add_f32_e32 v12, v12, v165
	v_fma_f32 v1, v1, v205, -v169
	v_add_f32_e32 v2, v140, v142
	v_mul_f32_e32 v163, v3, v198
	s_waitcnt lgkmcnt(5)
	v_mul_f32_e32 v140, v145, v184
	v_add_f32_e32 v12, v12, v166
	v_mul_f32_e32 v166, v4, v198
	v_add_f32_e32 v1, v2, v1
	v_mul_f32_e32 v141, v144, v184
	v_fmac_f32_e32 v163, v4, v204
	v_add_f32_e32 v12, v12, v160
	v_fma_f32 v3, v3, v204, -v166
	v_mul_f32_e32 v4, v147, v199
	v_mul_f32_e32 v159, v146, v199
	v_fmac_f32_e32 v141, v145, v200
	v_add_f32_e32 v12, v12, v162
	v_add_f32_e32 v1, v1, v3
	s_waitcnt vmcnt(19) lgkmcnt(4)
	v_mul_f32_e32 v3, v137, v207
	s_waitcnt vmcnt(7)
	v_fma_f32 v4, v146, v214, -v4
	v_mul_f32_e32 v164, v136, v207
	v_add_f32_e32 v2, v12, v161
	v_fma_f32 v12, v144, v200, -v140
	v_fmac_f32_e32 v159, v147, v214
	v_fma_f32 v3, v136, v213, -v3
	v_mul_f32_e32 v143, v138, v201
	v_add_f32_e32 v2, v2, v163
	v_add_f32_e32 v1, v1, v12
	v_mul_f32_e32 v12, v139, v201
	v_fmac_f32_e32 v164, v137, v213
	s_waitcnt lgkmcnt(3)
	v_mul_f32_e32 v170, v148, v208
	v_add_f32_e32 v2, v2, v141
	v_add_f32_e32 v1, v1, v4
	v_mul_f32_e32 v4, v149, v208
	v_fma_f32 v12, v138, v212, -v12
	v_fmac_f32_e32 v143, v139, v212
	v_add_f32_e32 v2, v2, v159
	v_add_f32_e32 v1, v1, v3
	v_mul_f32_e32 v3, v151, v188
	v_fma_f32 v4, v148, v191, -v4
	v_mul_f32_e32 v165, v150, v188
	v_add_f32_e32 v2, v2, v164
	v_add_f32_e32 v1, v1, v12
	v_fmac_f32_e32 v170, v149, v191
	s_waitcnt lgkmcnt(2)
	v_mul_f32_e32 v12, v6, v190
	s_waitcnt vmcnt(3)
	v_fma_f32 v3, v150, v217, -v3
	v_add_f32_e32 v2, v2, v143
	v_add_f32_e32 v1, v1, v4
	v_mul_f32_e32 v167, v5, v190
	v_fmac_f32_e32 v165, v151, v217
	v_mul_f32_e32 v4, v8, v209
	v_add_f32_e32 v2, v2, v170
	v_fma_f32 v5, v5, v216, -v12
	v_add_f32_e32 v1, v1, v3
	v_mul_f32_e32 v171, v7, v209
	v_fmac_f32_e32 v167, v6, v216
	v_add_f32_e32 v2, v2, v165
	s_waitcnt lgkmcnt(1)
	v_mul_f32_e32 v3, v153, v210
	v_fma_f32 v4, v7, v215, -v4
	v_add_f32_e32 v1, v1, v5
	v_mul_f32_e32 v168, v152, v210
	v_fmac_f32_e32 v171, v8, v215
	v_add_f32_e32 v2, v2, v167
	v_mul_f32_e32 v5, v155, v211
	v_fma_f32 v3, v152, v192, -v3
	v_add_f32_e32 v1, v1, v4
	v_mul_f32_e32 v172, v154, v211
	v_fmac_f32_e32 v168, v153, v192
	v_add_f32_e32 v2, v2, v171
	s_waitcnt lgkmcnt(0)
	v_mul_f32_e32 v4, v11, v189
	s_waitcnt vmcnt(1)
	v_fma_f32 v5, v154, v218, -v5
	v_add_f32_e32 v1, v1, v3
	v_mul_f32_e32 v158, v10, v189
	v_fmac_f32_e32 v172, v155, v218
	v_add_f32_e32 v2, v2, v168
	v_fma_f32 v3, v10, v156, -v4
	v_add_f32_e32 v1, v1, v5
	v_fmac_f32_e32 v158, v11, v156
	v_add_f32_e32 v2, v2, v172
	v_add_f32_e32 v1, v1, v3
	v_add_f32_e32 v2, v2, v158
	s_waitcnt vmcnt(0)
	v_sub_f32_e32 v1, v157, v1
	v_sub_f32_e32 v2, v187, v2
	buffer_store_dword v1, off, s[0:3], 0 offset:88
	buffer_store_dword v2, off, s[0:3], 0 offset:92
	v_cmpx_lt_u32_e32 10, v0
	s_cbranch_execz .LBB60_359
; %bb.358:
	s_clause 0x1
	buffer_load_dword v1, off, s[0:3], 0 offset:80
	buffer_load_dword v2, off, s[0:3], 0 offset:84
	buffer_store_dword v9, off, s[0:3], 0 offset:80
	buffer_store_dword v9, off, s[0:3], 0 offset:84
	s_waitcnt vmcnt(0)
	ds_write_b64 v135, v[1:2]
.LBB60_359:
	s_or_b32 exec_lo, exec_lo, s4
	s_waitcnt lgkmcnt(0)
	s_waitcnt_vscnt null, 0x0
	s_barrier
	buffer_gl0_inv
	s_clause 0x35
	buffer_load_dword v1, off, s[0:3], 0 offset:92
	buffer_load_dword v3, off, s[0:3], 0 offset:100
	;; [unrolled: 1-line block ×54, first 2 shown]
	ds_read2_b64 v[180:183], v9 offset0:73 offset1:74
	ds_read2_b64 v[184:187], v9 offset0:75 offset1:76
	;; [unrolled: 1-line block ×4, first 2 shown]
	buffer_load_dword v174, off, s[0:3], 0 offset:84
	s_mov_b32 s4, exec_lo
	s_waitcnt vmcnt(54) lgkmcnt(3)
	v_mul_f32_e32 v196, v180, v1
	v_mul_f32_e32 v1, v181, v1
	s_waitcnt vmcnt(53)
	v_mul_f32_e32 v197, v182, v3
	v_mul_f32_e32 v3, v183, v3
	s_waitcnt vmcnt(52) lgkmcnt(2)
	v_mul_f32_e32 v198, v184, v5
	v_mul_f32_e32 v5, v185, v5
	s_waitcnt vmcnt(49)
	v_fma_f32 v199, v180, v7, -v1
	s_waitcnt vmcnt(48)
	v_mul_f32_e32 v1, v187, v6
	v_fmac_f32_e32 v196, v181, v7
	v_fmac_f32_e32 v197, v183, v4
	v_fma_f32 v201, v182, v4, -v3
	v_fmac_f32_e32 v198, v185, v2
	v_fma_f32 v184, v184, v2, -v5
	s_waitcnt vmcnt(44)
	v_fma_f32 v185, v186, v139, -v1
	ds_read2_b64 v[1:4], v9 offset0:81 offset1:82
	ds_read2_b64 v[180:183], v9 offset0:83 offset1:84
	v_mul_f32_e32 v200, v186, v6
	s_waitcnt vmcnt(43) lgkmcnt(3)
	v_mul_f32_e32 v186, v188, v138
	v_mul_f32_e32 v5, v189, v138
	s_waitcnt vmcnt(42)
	v_mul_f32_e32 v6, v191, v137
	s_waitcnt vmcnt(41) lgkmcnt(2)
	v_mul_f32_e32 v202, v192, v12
	v_fmac_f32_e32 v200, v187, v139
	v_mul_f32_e32 v187, v190, v137
	v_fmac_f32_e32 v186, v189, v11
	v_fma_f32 v11, v188, v11, -v5
	s_waitcnt vmcnt(40)
	v_mul_f32_e32 v188, v194, v136
	v_mul_f32_e32 v5, v193, v12
	;; [unrolled: 1-line block ×3, first 2 shown]
	v_fmac_f32_e32 v187, v191, v10
	v_fma_f32 v10, v190, v10, -v6
	v_fmac_f32_e32 v202, v193, v8
	s_waitcnt vmcnt(36)
	v_fmac_f32_e32 v188, v195, v147
	v_fma_f32 v12, v192, v8, -v5
	v_fma_f32 v147, v194, v147, -v7
	ds_read2_b64 v[5:8], v9 offset0:85 offset1:86
	ds_read2_b64 v[136:139], v9 offset0:87 offset1:88
	s_waitcnt vmcnt(35) lgkmcnt(3)
	v_mul_f32_e32 v189, v1, v146
	v_mul_f32_e32 v146, v2, v146
	s_waitcnt vmcnt(34)
	v_mul_f32_e32 v190, v3, v145
	v_mul_f32_e32 v145, v4, v145
	s_waitcnt vmcnt(33) lgkmcnt(2)
	v_mul_f32_e32 v191, v180, v143
	v_fmac_f32_e32 v189, v2, v142
	v_fma_f32 v146, v1, v142, -v146
	s_waitcnt vmcnt(32)
	v_mul_f32_e32 v192, v182, v144
	v_mul_f32_e32 v1, v181, v143
	;; [unrolled: 1-line block ×3, first 2 shown]
	v_fmac_f32_e32 v190, v4, v141
	v_fma_f32 v144, v3, v141, -v145
	v_fmac_f32_e32 v191, v181, v140
	s_waitcnt vmcnt(28)
	v_fmac_f32_e32 v192, v183, v154
	v_fma_f32 v145, v180, v140, -v1
	v_fma_f32 v154, v182, v154, -v2
	ds_read2_b64 v[1:4], v9 offset0:89 offset1:90
	ds_read2_b64 v[140:143], v9 offset0:91 offset1:92
	s_waitcnt vmcnt(27) lgkmcnt(3)
	v_mul_f32_e32 v180, v5, v153
	v_mul_f32_e32 v153, v6, v153
	s_waitcnt vmcnt(26)
	v_mul_f32_e32 v181, v7, v152
	v_mul_f32_e32 v152, v8, v152
	s_waitcnt vmcnt(25) lgkmcnt(2)
	v_mul_f32_e32 v182, v136, v151
	v_mul_f32_e32 v151, v137, v151
	v_fmac_f32_e32 v180, v6, v150
	v_fma_f32 v150, v5, v150, -v153
	s_waitcnt vmcnt(24)
	v_mul_f32_e32 v153, v138, v155
	v_mul_f32_e32 v5, v139, v155
	v_fmac_f32_e32 v181, v8, v149
	v_fma_f32 v149, v7, v149, -v152
	v_fmac_f32_e32 v182, v137, v148
	v_fma_f32 v148, v136, v148, -v151
	s_waitcnt vmcnt(20)
	v_fmac_f32_e32 v153, v139, v162
	v_fma_f32 v151, v138, v162, -v5
	ds_read2_b64 v[5:8], v9 offset0:93 offset1:94
	ds_read2_b64 v[136:139], v9 offset0:95 offset1:96
	s_waitcnt vmcnt(19) lgkmcnt(3)
	v_mul_f32_e32 v155, v2, v161
	v_mul_f32_e32 v152, v1, v161
	s_waitcnt vmcnt(18)
	v_mul_f32_e32 v161, v3, v160
	v_mul_f32_e32 v160, v4, v160
	s_waitcnt vmcnt(17) lgkmcnt(2)
	v_mul_f32_e32 v162, v140, v159
	v_fma_f32 v155, v1, v158, -v155
	s_waitcnt vmcnt(16)
	v_mul_f32_e32 v1, v143, v163
	v_mul_f32_e32 v159, v141, v159
	v_fmac_f32_e32 v152, v2, v158
	v_mul_f32_e32 v158, v142, v163
	v_fmac_f32_e32 v161, v4, v157
	v_fma_f32 v157, v3, v157, -v160
	s_clause 0x4
	buffer_load_dword v160, off, s[0:3], 0 offset:308
	buffer_load_dword v163, off, s[0:3], 0 offset:328
	;; [unrolled: 1-line block ×5, first 2 shown]
	v_fmac_f32_e32 v162, v141, v156
	s_waitcnt vmcnt(17)
	v_fma_f32 v141, v142, v171, -v1
	ds_read2_b64 v[1:4], v9 offset0:97 offset1:98
	v_fmac_f32_e32 v158, v143, v171
	v_fma_f32 v140, v140, v156, -v159
	s_waitcnt vmcnt(16) lgkmcnt(2)
	v_mul_f32_e32 v142, v5, v169
	v_mul_f32_e32 v143, v6, v169
	s_waitcnt vmcnt(15)
	v_mul_f32_e32 v156, v7, v168
	v_mul_f32_e32 v159, v8, v168
	buffer_load_dword v168, off, s[0:3], 0 offset:324
	v_fmac_f32_e32 v142, v6, v167
	v_fma_f32 v143, v5, v167, -v143
	buffer_load_dword v167, off, s[0:3], 0 offset:316
	v_fmac_f32_e32 v156, v8, v165
	v_fma_f32 v159, v7, v165, -v159
	s_waitcnt vmcnt(16) lgkmcnt(1)
	v_mul_f32_e32 v165, v136, v166
	v_mul_f32_e32 v5, v137, v166
	s_waitcnt vmcnt(15)
	v_mul_f32_e32 v6, v139, v170
	v_mul_f32_e32 v166, v138, v170
	v_fmac_f32_e32 v165, v137, v164
	v_fma_f32 v164, v136, v164, -v5
	s_waitcnt vmcnt(10)
	v_fma_f32 v169, v138, v179, -v6
	ds_read2_b64 v[5:8], v9 offset0:99 offset1:100
	s_waitcnt vmcnt(9) lgkmcnt(1)
	v_mul_f32_e32 v170, v1, v178
	v_mul_f32_e32 v136, v2, v178
	s_waitcnt vmcnt(8)
	v_mul_f32_e32 v195, v3, v177
	v_fmac_f32_e32 v166, v139, v179
	s_clause 0x2
	buffer_load_dword v171, off, s[0:3], 0 offset:332
	buffer_load_dword v178, off, s[0:3], 0 offset:340
	;; [unrolled: 1-line block ×3, first 2 shown]
	v_fmac_f32_e32 v170, v2, v176
	v_fma_f32 v176, v1, v176, -v136
	v_mul_f32_e32 v1, v4, v177
	v_fmac_f32_e32 v195, v4, v175
	v_add_f32_e32 v2, 0, v199
	s_clause 0x3
	buffer_load_dword v177, off, s[0:3], 0 offset:360
	buffer_load_dword v203, off, s[0:3], 0 offset:352
	;; [unrolled: 1-line block ×4, first 2 shown]
	v_fma_f32 v175, v3, v175, -v1
	v_add_f32_e32 v1, 0, v196
	v_add_f32_e32 v2, v2, v201
	buffer_load_dword v196, off, s[0:3], 0 offset:356
	v_add_f32_e32 v1, v1, v197
	v_add_f32_e32 v2, v2, v184
	s_waitcnt lgkmcnt(0)
	v_mul_f32_e32 v3, v6, v173
	v_add_f32_e32 v1, v1, v198
	s_clause 0x1
	buffer_load_dword v197, off, s[0:3], 0 offset:364
	buffer_load_dword v198, off, s[0:3], 0 offset:372
	v_add_f32_e32 v2, v2, v185
	v_add_f32_e32 v1, v1, v200
	;; [unrolled: 1-line block ×3, first 2 shown]
	v_fma_f32 v11, v5, v172, -v3
	v_add_f32_e32 v1, v1, v186
	s_clause 0x5
	buffer_load_dword v184, off, s[0:3], 0 offset:392
	buffer_load_dword v185, off, s[0:3], 0 offset:384
	;; [unrolled: 1-line block ×6, first 2 shown]
	v_add_f32_e32 v2, v2, v10
	v_add_f32_e32 v1, v1, v187
	buffer_load_dword v187, off, s[0:3], 0 offset:380
	v_mul_f32_e32 v10, v5, v173
	v_add_f32_e32 v2, v2, v12
	v_add_f32_e32 v1, v1, v202
	v_fmac_f32_e32 v10, v6, v172
	v_add_f32_e32 v2, v2, v147
	v_add_f32_e32 v1, v1, v188
	s_clause 0x2
	buffer_load_dword v188, off, s[0:3], 0 offset:404
	buffer_load_dword v202, off, s[0:3], 0 offset:412
	buffer_load_dword v206, off, s[0:3], 0 offset:420
	v_add_f32_e32 v2, v2, v146
	v_add_f32_e32 v1, v1, v189
	s_clause 0x2
	buffer_load_dword v189, off, s[0:3], 0 offset:428
	buffer_load_dword v207, off, s[0:3], 0 offset:436
	buffer_load_dword v208, off, s[0:3], 0 offset:444
	;; [unrolled: 6-line block ×3, first 2 shown]
	buffer_load_dword v211, off, s[0:3], 0 offset:484
	v_add_f32_e32 v2, v2, v145
	v_add_f32_e32 v1, v1, v191
	buffer_load_dword v191, off, s[0:3], 0 offset:476
	v_add_f32_e32 v2, v2, v154
	v_add_f32_e32 v1, v1, v192
	;; [unrolled: 1-line block ×4, first 2 shown]
	s_clause 0x3
	buffer_load_dword v180, off, s[0:3], 0 offset:424
	buffer_load_dword v192, off, s[0:3], 0 offset:416
	;; [unrolled: 1-line block ×4, first 2 shown]
	v_add_f32_e32 v2, v2, v149
	v_add_f32_e32 v1, v1, v181
	v_add_f32_e32 v2, v2, v148
	v_add_f32_e32 v1, v1, v182
	s_clause 0x7
	buffer_load_dword v181, off, s[0:3], 0 offset:456
	buffer_load_dword v182, off, s[0:3], 0 offset:448
	;; [unrolled: 1-line block ×8, first 2 shown]
	v_add_f32_e32 v2, v2, v151
	v_add_f32_e32 v1, v1, v153
	;; [unrolled: 1-line block ×8, first 2 shown]
	ds_read2_b64 v[1:4], v9 offset0:101 offset1:102
	v_add_f32_e32 v12, v5, v141
	v_add_f32_e32 v136, v6, v158
	;; [unrolled: 1-line block ×4, first 2 shown]
	ds_read2_b64 v[136:139], v9 offset0:105 offset1:106
	v_add_f32_e32 v12, v12, v159
	v_add_f32_e32 v140, v140, v156
	;; [unrolled: 1-line block ×3, first 2 shown]
	s_waitcnt vmcnt(46)
	v_mul_f32_e32 v152, v7, v160
	v_mul_f32_e32 v5, v8, v160
	s_waitcnt vmcnt(42)
	v_fmac_f32_e32 v152, v8, v194
	v_fma_f32 v153, v7, v194, -v5
	ds_read2_b64 v[5:8], v9 offset0:103 offset1:104
	s_waitcnt vmcnt(41) lgkmcnt(2)
	v_mul_f32_e32 v144, v4, v168
	s_waitcnt vmcnt(40)
	v_mul_f32_e32 v141, v2, v167
	v_mul_f32_e32 v154, v1, v167
	v_fma_f32 v159, v3, v183, -v144
	v_fma_f32 v155, v1, v193, -v141
	v_add_f32_e32 v1, v140, v165
	v_fmac_f32_e32 v154, v2, v193
	v_add_f32_e32 v2, v12, v169
	ds_read2_b64 v[140:143], v9 offset0:107 offset1:108
	v_mul_f32_e32 v12, v3, v168
	v_add_f32_e32 v1, v1, v166
	v_add_f32_e32 v2, v2, v176
	s_waitcnt vmcnt(39) lgkmcnt(1)
	v_mul_f32_e32 v145, v6, v171
	v_mul_f32_e32 v156, v5, v171
	v_add_f32_e32 v1, v1, v170
	s_waitcnt vmcnt(37)
	v_mul_f32_e32 v158, v136, v179
	v_fmac_f32_e32 v12, v4, v183
	v_fma_f32 v160, v5, v163, -v145
	v_add_f32_e32 v5, v2, v175
	v_fmac_f32_e32 v156, v6, v163
	v_add_f32_e32 v6, v1, v195
	v_mul_f32_e32 v148, v8, v178
	v_mul_f32_e32 v149, v137, v179
	v_add_f32_e32 v11, v5, v11
	s_waitcnt vmcnt(34)
	v_fmac_f32_e32 v158, v137, v204
	v_add_f32_e32 v10, v6, v10
	v_mul_f32_e32 v157, v7, v178
	s_waitcnt vmcnt(33)
	v_fma_f32 v161, v7, v205, -v148
	v_add_f32_e32 v11, v11, v153
	ds_read2_b64 v[1:4], v9 offset0:109 offset1:110
	ds_read2_b64 v[144:147], v9 offset0:111 offset1:112
	v_add_f32_e32 v10, v10, v152
	v_fmac_f32_e32 v157, v8, v205
	v_fma_f32 v162, v136, v204, -v149
	s_waitcnt vmcnt(31) lgkmcnt(2)
	v_mul_f32_e32 v164, v140, v197
	v_add_f32_e32 v11, v11, v155
	s_waitcnt vmcnt(30)
	v_mul_f32_e32 v165, v142, v198
	v_add_f32_e32 v10, v10, v154
	v_mul_f32_e32 v137, v141, v197
	v_fmac_f32_e32 v164, v141, v177
	v_add_f32_e32 v141, v11, v159
	v_mul_f32_e32 v166, v143, v198
	v_mul_f32_e32 v136, v139, v196
	;; [unrolled: 1-line block ×3, first 2 shown]
	v_fma_f32 v140, v140, v177, -v137
	s_waitcnt vmcnt(26)
	v_fmac_f32_e32 v165, v143, v199
	v_add_f32_e32 v143, v10, v12
	v_add_f32_e32 v141, v141, v160
	v_fma_f32 v167, v138, v203, -v136
	v_fmac_f32_e32 v163, v139, v203
	v_fma_f32 v142, v142, v199, -v166
	v_add_f32_e32 v143, v143, v156
	v_add_f32_e32 v141, v141, v161
	s_waitcnt vmcnt(23) lgkmcnt(1)
	v_mul_f32_e32 v160, v2, v187
	ds_read2_b64 v[5:8], v9 offset0:113 offset1:114
	ds_read2_b64 v[148:151], v9 offset0:115 offset1:116
	v_mul_f32_e32 v159, v1, v187
	v_add_f32_e32 v143, v143, v157
	v_add_f32_e32 v141, v141, v162
	v_mul_f32_e32 v166, v4, v200
	v_fma_f32 v1, v1, v186, -v160
	v_mul_f32_e32 v156, v3, v200
	v_add_f32_e32 v143, v143, v158
	v_add_f32_e32 v141, v141, v167
	v_fmac_f32_e32 v159, v2, v186
	v_fma_f32 v3, v3, v185, -v166
	s_waitcnt lgkmcnt(2)
	v_mul_f32_e32 v161, v144, v201
	v_add_f32_e32 v143, v143, v163
	v_add_f32_e32 v140, v141, v140
	v_fmac_f32_e32 v156, v4, v185
	s_waitcnt vmcnt(22)
	v_mul_f32_e32 v157, v146, v188
	v_fmac_f32_e32 v161, v145, v184
	v_add_f32_e32 v143, v143, v164
	v_add_f32_e32 v140, v140, v142
	ds_read2_b64 v[136:139], v9 offset0:117 offset1:118
	ds_read2_b64 v[152:155], v9 offset0:119 offset1:120
	s_waitcnt vmcnt(21) lgkmcnt(3)
	v_mul_f32_e32 v168, v5, v202
	s_waitcnt vmcnt(20)
	v_mul_f32_e32 v162, v7, v206
	v_add_f32_e32 v142, v143, v165
	v_mul_f32_e32 v143, v145, v201
	v_add_f32_e32 v1, v140, v1
	v_mul_f32_e32 v140, v147, v188
	s_waitcnt vmcnt(19) lgkmcnt(2)
	v_mul_f32_e32 v158, v148, v189
	v_add_f32_e32 v4, v142, v159
	v_fma_f32 v142, v144, v184, -v143
	v_add_f32_e32 v1, v1, v3
	s_waitcnt vmcnt(9)
	v_fmac_f32_e32 v168, v6, v212
	s_waitcnt vmcnt(8)
	v_fma_f32 v140, v146, v213, -v140
	v_add_f32_e32 v3, v4, v156
	v_mul_f32_e32 v4, v6, v202
	v_add_f32_e32 v1, v1, v142
	v_fmac_f32_e32 v157, v147, v213
	v_mul_f32_e32 v142, v8, v206
	v_add_f32_e32 v3, v3, v161
	v_fma_f32 v4, v5, v212, -v4
	v_add_f32_e32 v1, v1, v140
	v_mul_f32_e32 v5, v149, v189
	v_fma_f32 v6, v7, v192, -v142
	v_add_f32_e32 v3, v3, v157
	v_fmac_f32_e32 v162, v8, v192
	v_add_f32_e32 v1, v1, v4
	v_mul_f32_e32 v4, v151, v207
	v_fma_f32 v5, v148, v180, -v5
	v_add_f32_e32 v3, v3, v168
	v_mul_f32_e32 v169, v150, v207
	v_add_f32_e32 v1, v1, v6
	v_fmac_f32_e32 v158, v149, v180
	ds_read2_b64 v[9:12], v9 offset0:121 offset1:122
	v_add_f32_e32 v3, v3, v162
	s_waitcnt lgkmcnt(2)
	v_mul_f32_e32 v6, v137, v208
	s_waitcnt vmcnt(4)
	v_fma_f32 v4, v150, v215, -v4
	v_add_f32_e32 v1, v1, v5
	v_mul_f32_e32 v167, v136, v208
	v_fmac_f32_e32 v169, v151, v215
	v_add_f32_e32 v3, v3, v158
	v_mul_f32_e32 v5, v139, v190
	v_fma_f32 v6, v136, v214, -v6
	v_add_f32_e32 v1, v1, v4
	v_mul_f32_e32 v163, v138, v190
	v_fmac_f32_e32 v167, v137, v214
	v_add_f32_e32 v3, v3, v169
	s_waitcnt lgkmcnt(1)
	v_mul_f32_e32 v4, v153, v209
	v_fma_f32 v5, v138, v182, -v5
	v_add_f32_e32 v1, v1, v6
	v_mul_f32_e32 v170, v152, v209
	v_fmac_f32_e32 v163, v139, v182
	v_add_f32_e32 v3, v3, v167
	v_mul_f32_e32 v6, v155, v210
	v_fma_f32 v4, v152, v181, -v4
	v_add_f32_e32 v1, v1, v5
	v_mul_f32_e32 v141, v154, v210
	v_fmac_f32_e32 v170, v153, v181
	v_add_f32_e32 v3, v3, v163
	s_waitcnt lgkmcnt(0)
	v_mul_f32_e32 v5, v10, v191
	s_waitcnt vmcnt(1)
	v_fma_f32 v6, v154, v218, -v6
	v_add_f32_e32 v1, v1, v4
	v_mul_f32_e32 v164, v9, v191
	v_fmac_f32_e32 v141, v155, v218
	v_add_f32_e32 v3, v3, v170
	v_mul_f32_e32 v4, v12, v211
	v_fma_f32 v5, v9, v217, -v5
	v_add_f32_e32 v1, v1, v6
	v_mul_f32_e32 v2, v11, v211
	v_fmac_f32_e32 v164, v10, v217
	v_add_f32_e32 v3, v3, v141
	v_fma_f32 v4, v11, v216, -v4
	v_add_f32_e32 v1, v1, v5
	v_fmac_f32_e32 v2, v12, v216
	v_add_f32_e32 v3, v3, v164
	v_add_f32_e32 v1, v1, v4
	;; [unrolled: 1-line block ×3, first 2 shown]
	s_waitcnt vmcnt(0)
	v_sub_f32_e32 v1, v219, v1
	v_sub_f32_e32 v2, v174, v2
	buffer_store_dword v1, off, s[0:3], 0 offset:80
	buffer_store_dword v2, off, s[0:3], 0 offset:84
	v_cmpx_lt_u32_e32 9, v0
	s_cbranch_execz .LBB60_361
; %bb.360:
	s_clause 0x1
	buffer_load_dword v1, off, s[0:3], 0 offset:72
	buffer_load_dword v2, off, s[0:3], 0 offset:76
	v_mov_b32_e32 v3, 0
	buffer_store_dword v3, off, s[0:3], 0 offset:72
	buffer_store_dword v3, off, s[0:3], 0 offset:76
	s_waitcnt vmcnt(0)
	ds_write_b64 v135, v[1:2]
.LBB60_361:
	s_or_b32 exec_lo, exec_lo, s4
	s_waitcnt lgkmcnt(0)
	s_waitcnt_vscnt null, 0x0
	s_barrier
	buffer_gl0_inv
	s_clause 0x35
	buffer_load_dword v2, off, s[0:3], 0 offset:84
	buffer_load_dword v4, off, s[0:3], 0 offset:92
	;; [unrolled: 1-line block ×54, first 2 shown]
	v_mov_b32_e32 v1, 0
	ds_read_b128 v[180:183], v1 offset:576
	ds_read_b128 v[184:187], v1 offset:592
	buffer_load_dword v177, off, s[0:3], 0 offset:76
	ds_read_b128 v[188:191], v1 offset:608
	ds_read_b128 v[192:195], v1 offset:624
	s_mov_b32 s4, exec_lo
	s_waitcnt vmcnt(54) lgkmcnt(3)
	v_mul_f32_e32 v196, v180, v2
	v_mul_f32_e32 v2, v181, v2
	s_waitcnt vmcnt(53)
	v_mul_f32_e32 v197, v182, v4
	v_mul_f32_e32 v4, v183, v4
	s_waitcnt vmcnt(52) lgkmcnt(2)
	v_mul_f32_e32 v198, v184, v6
	v_mul_f32_e32 v6, v185, v6
	s_waitcnt vmcnt(49)
	v_fma_f32 v199, v180, v8, -v2
	s_waitcnt vmcnt(48)
	v_mul_f32_e32 v2, v187, v7
	v_fmac_f32_e32 v196, v181, v8
	v_fmac_f32_e32 v197, v183, v5
	v_fma_f32 v201, v182, v5, -v4
	v_fmac_f32_e32 v198, v185, v3
	v_fma_f32 v184, v184, v3, -v6
	s_waitcnt vmcnt(44)
	v_fma_f32 v185, v186, v139, -v2
	ds_read_b128 v[2:5], v1 offset:640
	ds_read_b128 v[180:183], v1 offset:656
	v_mul_f32_e32 v200, v186, v7
	s_waitcnt vmcnt(43) lgkmcnt(3)
	v_mul_f32_e32 v186, v188, v137
	v_mul_f32_e32 v6, v189, v137
	s_waitcnt vmcnt(42)
	v_mul_f32_e32 v7, v191, v138
	s_waitcnt vmcnt(41) lgkmcnt(2)
	v_mul_f32_e32 v202, v192, v136
	v_fmac_f32_e32 v200, v187, v139
	v_mul_f32_e32 v187, v190, v138
	v_mul_f32_e32 v8, v193, v136
	v_fmac_f32_e32 v186, v189, v11
	v_fma_f32 v11, v188, v11, -v6
	s_waitcnt vmcnt(40)
	v_mul_f32_e32 v188, v194, v12
	v_mul_f32_e32 v6, v195, v12
	v_fmac_f32_e32 v187, v191, v10
	v_fma_f32 v10, v190, v10, -v7
	v_fmac_f32_e32 v202, v193, v9
	v_fma_f32 v12, v192, v9, -v8
	s_waitcnt vmcnt(36)
	v_fmac_f32_e32 v188, v195, v147
	v_fma_f32 v147, v194, v147, -v6
	ds_read_b128 v[6:9], v1 offset:672
	ds_read_b128 v[136:139], v1 offset:688
	s_waitcnt vmcnt(35) lgkmcnt(3)
	v_mul_f32_e32 v189, v2, v146
	v_mul_f32_e32 v146, v3, v146
	s_waitcnt vmcnt(34)
	v_mul_f32_e32 v190, v4, v145
	v_mul_f32_e32 v145, v5, v145
	s_waitcnt vmcnt(33) lgkmcnt(2)
	v_mul_f32_e32 v191, v180, v143
	v_fmac_f32_e32 v189, v3, v142
	v_fma_f32 v146, v2, v142, -v146
	s_waitcnt vmcnt(32)
	v_mul_f32_e32 v192, v182, v144
	v_mul_f32_e32 v2, v181, v143
	;; [unrolled: 1-line block ×3, first 2 shown]
	v_fmac_f32_e32 v190, v5, v141
	v_fma_f32 v144, v4, v141, -v145
	v_fmac_f32_e32 v191, v181, v140
	s_waitcnt vmcnt(28)
	v_fmac_f32_e32 v192, v183, v155
	v_fma_f32 v145, v180, v140, -v2
	v_fma_f32 v155, v182, v155, -v3
	ds_read_b128 v[2:5], v1 offset:704
	ds_read_b128 v[140:143], v1 offset:720
	s_waitcnt vmcnt(27) lgkmcnt(3)
	v_mul_f32_e32 v180, v6, v154
	v_mul_f32_e32 v154, v7, v154
	s_waitcnt vmcnt(26)
	v_mul_f32_e32 v181, v8, v153
	v_mul_f32_e32 v153, v9, v153
	s_waitcnt vmcnt(25) lgkmcnt(2)
	v_mul_f32_e32 v182, v136, v152
	v_fmac_f32_e32 v180, v7, v150
	v_fma_f32 v150, v6, v150, -v154
	v_fmac_f32_e32 v181, v9, v149
	v_fma_f32 v149, v8, v149, -v153
	s_clause 0x4
	buffer_load_dword v153, off, s[0:3], 0 offset:300
	buffer_load_dword v154, off, s[0:3], 0 offset:320
	buffer_load_dword v183, off, s[0:3], 0 offset:312
	buffer_load_dword v193, off, s[0:3], 0 offset:304
	buffer_load_dword v194, off, s[0:3], 0 offset:296
	v_mul_f32_e32 v152, v137, v152
	s_waitcnt vmcnt(29)
	v_mul_f32_e32 v6, v139, v151
	v_mul_f32_e32 v195, v138, v151
	v_fmac_f32_e32 v182, v137, v148
	v_fma_f32 v136, v136, v148, -v152
	s_waitcnt vmcnt(24)
	v_fma_f32 v138, v138, v164, -v6
	ds_read_b128 v[6:9], v1 offset:736
	buffer_load_dword v152, off, s[0:3], 0 offset:308
	s_waitcnt lgkmcnt(2)
	v_mul_f32_e32 v137, v2, v156
	v_mul_f32_e32 v148, v3, v156
	v_fmac_f32_e32 v195, v139, v164
	s_waitcnt vmcnt(24)
	v_mul_f32_e32 v139, v4, v162
	v_mul_f32_e32 v151, v5, v162
	v_fmac_f32_e32 v137, v3, v160
	v_fma_f32 v148, v2, v160, -v148
	s_waitcnt vmcnt(23) lgkmcnt(1)
	v_mul_f32_e32 v156, v140, v159
	v_mul_f32_e32 v2, v141, v159
	s_waitcnt vmcnt(22)
	v_mul_f32_e32 v3, v143, v163
	v_fmac_f32_e32 v139, v5, v158
	v_fma_f32 v151, v4, v158, -v151
	s_clause 0x1
	buffer_load_dword v158, off, s[0:3], 0 offset:316
	buffer_load_dword v159, off, s[0:3], 0 offset:324
	v_mul_f32_e32 v160, v142, v163
	v_fmac_f32_e32 v156, v141, v157
	v_fma_f32 v140, v140, v157, -v2
	s_clause 0x1
	buffer_load_dword v157, off, s[0:3], 0 offset:332
	buffer_load_dword v162, off, s[0:3], 0 offset:340
	v_add_f32_e32 v141, 0, v196
	s_waitcnt vmcnt(22)
	v_fma_f32 v142, v142, v171, -v3
	ds_read_b128 v[2:5], v1 offset:752
	v_fmac_f32_e32 v160, v143, v171
	s_waitcnt vmcnt(21) lgkmcnt(1)
	v_mul_f32_e32 v143, v6, v170
	v_mul_f32_e32 v163, v7, v170
	v_add_f32_e32 v141, v141, v197
	v_add_f32_e32 v170, 0, v199
	s_waitcnt vmcnt(20)
	v_mul_f32_e32 v164, v8, v169
	v_mul_f32_e32 v169, v9, v169
	v_fmac_f32_e32 v143, v7, v168
	v_fma_f32 v163, v6, v168, -v163
	v_add_f32_e32 v6, v170, v201
	v_add_f32_e32 v7, v141, v198
	v_fmac_f32_e32 v164, v9, v167
	v_fma_f32 v167, v8, v167, -v169
	s_clause 0x3
	buffer_load_dword v168, off, s[0:3], 0 offset:352
	buffer_load_dword v169, off, s[0:3], 0 offset:344
	;; [unrolled: 1-line block ×4, first 2 shown]
	v_add_f32_e32 v6, v6, v184
	v_add_f32_e32 v141, v7, v200
	s_clause 0x2
	buffer_load_dword v184, off, s[0:3], 0 offset:348
	buffer_load_dword v196, off, s[0:3], 0 offset:356
	;; [unrolled: 1-line block ×3, first 2 shown]
	v_add_f32_e32 v185, v6, v185
	ds_read_b128 v[6:9], v1 offset:768
	v_add_f32_e32 v141, v141, v186
	s_waitcnt vmcnt(26) lgkmcnt(1)
	v_mul_f32_e32 v186, v2, v165
	v_mul_f32_e32 v165, v3, v165
	v_add_f32_e32 v11, v185, v11
	s_waitcnt vmcnt(25)
	v_mul_f32_e32 v185, v4, v166
	v_mul_f32_e32 v166, v5, v166
	v_fmac_f32_e32 v186, v3, v161
	v_add_f32_e32 v3, v141, v187
	v_fma_f32 v141, v2, v161, -v165
	v_add_f32_e32 v2, v11, v10
	s_waitcnt vmcnt(20)
	v_fmac_f32_e32 v185, v5, v179
	v_fma_f32 v161, v4, v179, -v166
	v_add_f32_e32 v10, v3, v202
	s_clause 0x4
	buffer_load_dword v165, off, s[0:3], 0 offset:384
	buffer_load_dword v166, off, s[0:3], 0 offset:376
	;; [unrolled: 1-line block ×5, first 2 shown]
	v_add_f32_e32 v12, v2, v12
	ds_read_b128 v[2:5], v1 offset:784
	v_add_f32_e32 v10, v10, v188
	s_clause 0x1
	buffer_load_dword v188, off, s[0:3], 0 offset:380
	buffer_load_dword v199, off, s[0:3], 0 offset:388
	s_waitcnt vmcnt(26) lgkmcnt(1)
	v_mul_f32_e32 v198, v6, v178
	v_mul_f32_e32 v178, v7, v178
	v_add_f32_e32 v12, v12, v147
	v_add_f32_e32 v10, v10, v189
	buffer_load_dword v189, off, s[0:3], 0 offset:396
	v_fmac_f32_e32 v198, v7, v176
	v_fma_f32 v147, v6, v176, -v178
	s_waitcnt vmcnt(26)
	v_mul_f32_e32 v176, v8, v175
	v_add_f32_e32 v7, v10, v190
	v_mul_f32_e32 v10, v9, v175
	v_add_f32_e32 v6, v12, v146
	s_clause 0x2
	buffer_load_dword v12, off, s[0:3], 0 offset:404
	buffer_load_dword v178, off, s[0:3], 0 offset:412
	;; [unrolled: 1-line block ×3, first 2 shown]
	v_add_f32_e32 v7, v7, v191
	v_fmac_f32_e32 v176, v9, v174
	v_fma_f32 v10, v8, v174, -v10
	s_clause 0x1
	buffer_load_dword v174, off, s[0:3], 0 offset:428
	buffer_load_dword v190, off, s[0:3], 0 offset:436
	v_add_f32_e32 v6, v6, v144
	v_add_f32_e32 v7, v7, v192
	s_clause 0x2
	buffer_load_dword v191, off, s[0:3], 0 offset:444
	buffer_load_dword v192, off, s[0:3], 0 offset:452
	buffer_load_dword v200, off, s[0:3], 0 offset:460
	s_waitcnt lgkmcnt(0)
	v_mul_f32_e32 v144, v2, v173
	v_mul_f32_e32 v8, v3, v173
	v_add_f32_e32 v6, v6, v145
	v_add_f32_e32 v7, v7, v180
	s_clause 0x2
	buffer_load_dword v180, off, s[0:3], 0 offset:468
	buffer_load_dword v201, off, s[0:3], 0 offset:476
	buffer_load_dword v202, off, s[0:3], 0 offset:484
	v_fmac_f32_e32 v144, v3, v172
	v_fma_f32 v145, v2, v172, -v8
	v_add_f32_e32 v6, v6, v155
	v_add_f32_e32 v7, v7, v181
	s_clause 0x3
	buffer_load_dword v181, off, s[0:3], 0 offset:416
	buffer_load_dword v203, off, s[0:3], 0 offset:408
	;; [unrolled: 1-line block ×4, first 2 shown]
	v_add_f32_e32 v6, v6, v150
	v_add_f32_e32 v7, v7, v182
	;; [unrolled: 1-line block ×4, first 2 shown]
	s_clause 0x8
	buffer_load_dword v182, off, s[0:3], 0 offset:448
	buffer_load_dword v195, off, s[0:3], 0 offset:440
	;; [unrolled: 1-line block ×9, first 2 shown]
	v_add_f32_e32 v6, v6, v136
	v_add_f32_e32 v7, v7, v137
	;; [unrolled: 1-line block ×11, first 2 shown]
	ds_read_b128 v[6:9], v1 offset:800
	v_add_f32_e32 v140, v136, v164
	v_add_f32_e32 v137, v3, v163
	;; [unrolled: 1-line block ×4, first 2 shown]
	ds_read_b128 v[136:139], v1 offset:832
	v_add_f32_e32 v146, v140, v185
	v_add_f32_e32 v141, v142, v141
	s_waitcnt vmcnt(48)
	v_mul_f32_e32 v148, v4, v153
	v_mul_f32_e32 v2, v5, v153
	s_waitcnt vmcnt(44)
	v_fmac_f32_e32 v148, v5, v194
	v_fma_f32 v149, v4, v194, -v2
	ds_read_b128 v[2:5], v1 offset:816
	s_waitcnt vmcnt(43) lgkmcnt(2)
	v_mul_f32_e32 v143, v7, v152
	v_mul_f32_e32 v153, v6, v152
	v_fma_f32 v152, v6, v193, -v143
	v_add_f32_e32 v6, v141, v161
	v_fmac_f32_e32 v153, v7, v193
	v_add_f32_e32 v7, v146, v198
	ds_read_b128 v[140:143], v1 offset:848
	v_add_f32_e32 v6, v6, v147
	s_waitcnt vmcnt(42)
	v_mul_f32_e32 v155, v8, v158
	v_add_f32_e32 v7, v7, v176
	s_waitcnt vmcnt(41) lgkmcnt(1)
	v_mul_f32_e32 v156, v2, v159
	v_mul_f32_e32 v147, v3, v159
	v_add_f32_e32 v6, v6, v10
	s_waitcnt vmcnt(39)
	v_mul_f32_e32 v151, v137, v162
	v_mul_f32_e32 v146, v9, v158
	v_fmac_f32_e32 v156, v3, v154
	v_mul_f32_e32 v158, v4, v157
	v_add_f32_e32 v3, v6, v145
	v_mul_f32_e32 v150, v5, v157
	v_mul_f32_e32 v157, v136, v162
	v_fma_f32 v159, v2, v154, -v147
	v_add_f32_e32 v2, v7, v144
	v_fma_f32 v10, v8, v183, -v146
	v_fmac_f32_e32 v155, v9, v183
	ds_read_b128 v[6:9], v1 offset:864
	ds_read_b128 v[144:147], v1 offset:880
	s_waitcnt vmcnt(36)
	v_fma_f32 v161, v136, v170, -v151
	v_add_f32_e32 v136, v3, v149
	v_fmac_f32_e32 v157, v137, v170
	v_add_f32_e32 v137, v2, v148
	s_waitcnt vmcnt(35)
	v_fma_f32 v160, v4, v171, -v150
	v_fmac_f32_e32 v158, v5, v171
	v_add_f32_e32 v136, v136, v152
	s_waitcnt vmcnt(34)
	v_mul_f32_e32 v162, v138, v184
	v_add_f32_e32 v137, v137, v153
	v_mul_f32_e32 v153, v139, v184
	s_waitcnt vmcnt(33) lgkmcnt(2)
	v_mul_f32_e32 v163, v140, v196
	v_add_f32_e32 v10, v136, v10
	v_mul_f32_e32 v152, v141, v196
	v_add_f32_e32 v137, v137, v155
	v_fmac_f32_e32 v162, v139, v169
	v_fma_f32 v169, v138, v169, -v153
	v_add_f32_e32 v159, v10, v159
	s_waitcnt vmcnt(32)
	v_mul_f32_e32 v167, v143, v197
	v_add_f32_e32 v156, v137, v156
	v_fmac_f32_e32 v163, v141, v168
	v_fma_f32 v168, v140, v168, -v152
	v_add_f32_e32 v159, v159, v160
	v_mul_f32_e32 v164, v142, v197
	v_add_f32_e32 v156, v156, v158
	s_waitcnt vmcnt(28)
	v_fma_f32 v167, v142, v11, -v167
	s_waitcnt vmcnt(27) lgkmcnt(1)
	v_mul_f32_e32 v170, v7, v187
	v_add_f32_e32 v159, v159, v161
	ds_read_b128 v[2:5], v1 offset:896
	ds_read_b128 v[148:151], v1 offset:912
	v_add_f32_e32 v156, v156, v157
	v_fmac_f32_e32 v164, v143, v11
	v_mul_f32_e32 v158, v6, v187
	v_add_f32_e32 v159, v159, v169
	s_waitcnt vmcnt(26)
	v_mul_f32_e32 v171, v9, v188
	v_add_f32_e32 v156, v156, v162
	v_fma_f32 v6, v6, v179, -v170
	v_mul_f32_e32 v160, v8, v188
	v_add_f32_e32 v159, v159, v168
	v_fmac_f32_e32 v158, v7, v179
	v_add_f32_e32 v156, v156, v163
	s_waitcnt vmcnt(25) lgkmcnt(2)
	v_mul_f32_e32 v170, v145, v199
	v_fma_f32 v8, v8, v166, -v171
	v_add_f32_e32 v159, v159, v167
	v_mul_f32_e32 v157, v144, v199
	v_add_f32_e32 v156, v156, v164
	v_fmac_f32_e32 v160, v9, v166
	s_waitcnt vmcnt(24)
	v_mul_f32_e32 v164, v147, v189
	v_add_f32_e32 v6, v159, v6
	v_fma_f32 v144, v144, v165, -v170
	v_add_f32_e32 v156, v156, v158
	v_mul_f32_e32 v161, v146, v189
	v_fmac_f32_e32 v157, v145, v165
	v_add_f32_e32 v6, v6, v8
	s_waitcnt vmcnt(23) lgkmcnt(1)
	v_mul_f32_e32 v7, v2, v12
	v_add_f32_e32 v8, v156, v160
	v_mul_f32_e32 v12, v3, v12
	ds_read_b128 v[136:139], v1 offset:928
	ds_read_b128 v[152:155], v1 offset:944
	v_add_f32_e32 v6, v6, v144
	s_waitcnt vmcnt(9)
	v_fma_f32 v145, v146, v205, -v164
	v_fmac_f32_e32 v161, v147, v205
	v_add_f32_e32 v8, v8, v157
	v_mul_f32_e32 v144, v5, v178
	v_fmac_f32_e32 v7, v3, v204
	v_fma_f32 v2, v2, v204, -v12
	v_add_f32_e32 v3, v6, v145
	v_mul_f32_e32 v162, v4, v178
	v_add_f32_e32 v6, v8, v161
	s_waitcnt lgkmcnt(2)
	v_mul_f32_e32 v8, v149, v175
	v_fma_f32 v4, v4, v203, -v144
	v_add_f32_e32 v2, v3, v2
	v_mul_f32_e32 v169, v148, v175
	v_fmac_f32_e32 v162, v5, v203
	v_add_f32_e32 v3, v6, v7
	v_mul_f32_e32 v5, v151, v174
	v_fma_f32 v6, v148, v181, -v8
	v_add_f32_e32 v2, v2, v4
	v_mul_f32_e32 v9, v150, v174
	v_fmac_f32_e32 v169, v149, v181
	v_add_f32_e32 v3, v3, v162
	s_waitcnt lgkmcnt(1)
	v_mul_f32_e32 v4, v137, v190
	s_waitcnt vmcnt(5)
	v_fma_f32 v5, v150, v207, -v5
	v_add_f32_e32 v2, v2, v6
	ds_read_b128 v[140:143], v1 offset:960
	ds_read_b64 v[10:11], v1 offset:976
	v_mul_f32_e32 v166, v136, v190
	v_fmac_f32_e32 v9, v151, v207
	v_add_f32_e32 v3, v3, v169
	v_mul_f32_e32 v6, v139, v191
	v_fma_f32 v4, v136, v206, -v4
	v_add_f32_e32 v2, v2, v5
	v_mul_f32_e32 v163, v138, v191
	v_fmac_f32_e32 v166, v137, v206
	v_add_f32_e32 v3, v3, v9
	s_waitcnt lgkmcnt(2)
	v_mul_f32_e32 v5, v153, v192
	v_fma_f32 v6, v138, v195, -v6
	v_add_f32_e32 v2, v2, v4
	v_mul_f32_e32 v168, v152, v192
	v_fmac_f32_e32 v163, v139, v195
	v_add_f32_e32 v3, v3, v166
	v_mul_f32_e32 v4, v155, v200
	v_fma_f32 v5, v152, v182, -v5
	v_add_f32_e32 v2, v2, v6
	v_mul_f32_e32 v171, v154, v200
	v_fmac_f32_e32 v168, v153, v182
	v_add_f32_e32 v3, v3, v163
	s_waitcnt lgkmcnt(1)
	v_mul_f32_e32 v6, v141, v180
	s_waitcnt vmcnt(1)
	v_fma_f32 v4, v154, v211, -v4
	v_add_f32_e32 v2, v2, v5
	v_mul_f32_e32 v167, v140, v180
	v_fmac_f32_e32 v171, v155, v211
	v_add_f32_e32 v3, v3, v168
	v_mul_f32_e32 v5, v143, v201
	v_fma_f32 v6, v140, v210, -v6
	v_add_f32_e32 v2, v2, v4
	v_mul_f32_e32 v172, v142, v201
	v_fmac_f32_e32 v167, v141, v210
	v_add_f32_e32 v3, v3, v171
	s_waitcnt lgkmcnt(0)
	v_mul_f32_e32 v4, v11, v202
	v_fma_f32 v5, v142, v209, -v5
	v_add_f32_e32 v2, v2, v6
	v_mul_f32_e32 v158, v10, v202
	v_fmac_f32_e32 v172, v143, v209
	v_add_f32_e32 v3, v3, v167
	v_fma_f32 v4, v10, v208, -v4
	v_add_f32_e32 v2, v2, v5
	v_fmac_f32_e32 v158, v11, v208
	v_add_f32_e32 v3, v3, v172
	v_add_f32_e32 v2, v2, v4
	;; [unrolled: 1-line block ×3, first 2 shown]
	s_waitcnt vmcnt(0)
	v_sub_f32_e32 v2, v212, v2
	v_sub_f32_e32 v3, v177, v3
	buffer_store_dword v2, off, s[0:3], 0 offset:72
	buffer_store_dword v3, off, s[0:3], 0 offset:76
	v_cmpx_lt_u32_e32 8, v0
	s_cbranch_execz .LBB60_363
; %bb.362:
	s_clause 0x1
	buffer_load_dword v2, off, s[0:3], 0 offset:64
	buffer_load_dword v3, off, s[0:3], 0 offset:68
	buffer_store_dword v1, off, s[0:3], 0 offset:64
	buffer_store_dword v1, off, s[0:3], 0 offset:68
	s_waitcnt vmcnt(0)
	ds_write_b64 v135, v[2:3]
.LBB60_363:
	s_or_b32 exec_lo, exec_lo, s4
	s_waitcnt lgkmcnt(0)
	s_waitcnt_vscnt null, 0x0
	s_barrier
	buffer_gl0_inv
	s_clause 0x3b
	buffer_load_dword v4, off, s[0:3], 0 offset:76
	buffer_load_dword v3, off, s[0:3], 0 offset:88
	;; [unrolled: 1-line block ×60, first 2 shown]
	ds_read2_b64 v[181:184], v1 offset0:71 offset1:72
	ds_read2_b64 v[185:188], v1 offset0:73 offset1:74
	;; [unrolled: 1-line block ×3, first 2 shown]
	buffer_load_dword v198, off, s[0:3], 0 offset:68
	s_mov_b32 s4, exec_lo
	s_waitcnt vmcnt(60) lgkmcnt(2)
	v_mul_f32_e32 v197, v181, v4
	v_mul_f32_e32 v4, v182, v4
	s_waitcnt vmcnt(56)
	v_mul_f32_e32 v199, v183, v10
	v_mul_f32_e32 v10, v184, v10
	v_fmac_f32_e32 v197, v182, v11
	v_fma_f32 v4, v181, v11, -v4
	s_waitcnt vmcnt(55) lgkmcnt(1)
	v_mul_f32_e32 v200, v185, v9
	v_fmac_f32_e32 v199, v184, v7
	v_fma_f32 v7, v183, v7, -v10
	ds_read2_b64 v[181:184], v1 offset0:77 offset1:78
	v_mul_f32_e32 v9, v186, v9
	s_waitcnt vmcnt(54)
	v_mul_f32_e32 v201, v187, v5
	v_mul_f32_e32 v5, v188, v5
	v_fmac_f32_e32 v200, v186, v3
	s_waitcnt vmcnt(48) lgkmcnt(1)
	v_mul_f32_e32 v202, v191, v167
	v_fma_f32 v3, v185, v3, -v9
	v_fmac_f32_e32 v201, v188, v171
	v_fma_f32 v5, v187, v171, -v5
	v_mul_f32_e32 v9, v190, v170
	ds_read2_b64 v[185:188], v1 offset0:79 offset1:80
	v_mul_f32_e32 v171, v189, v170
	v_fmac_f32_e32 v202, v192, v158
	v_add_f32_e32 v4, 0, v4
	v_fma_f32 v170, v189, v166, -v9
	v_mul_f32_e32 v9, v192, v167
	v_fmac_f32_e32 v171, v190, v166
	v_add_f32_e32 v4, v4, v7
	v_fma_f32 v203, v191, v158, -v9
	s_waitcnt vmcnt(47) lgkmcnt(1)
	v_mul_f32_e32 v204, v181, v162
	v_mul_f32_e32 v9, v182, v162
	ds_read2_b64 v[189:192], v1 offset0:81 offset1:82
	s_waitcnt vmcnt(46)
	v_mul_f32_e32 v205, v183, v155
	v_add_f32_e32 v3, v4, v3
	v_fmac_f32_e32 v204, v182, v146
	v_fma_f32 v146, v181, v146, -v9
	v_mul_f32_e32 v9, v184, v155
	s_waitcnt vmcnt(42)
	v_fmac_f32_e32 v205, v184, v169
	s_waitcnt vmcnt(41) lgkmcnt(1)
	v_mul_f32_e32 v207, v185, v168
	v_fma_f32 v206, v183, v169, -v9
	v_mul_f32_e32 v9, v186, v168
	ds_read2_b64 v[166:169], v1 offset0:83 offset1:84
	ds_read2_b64 v[181:184], v1 offset0:85 offset1:86
	v_fmac_f32_e32 v207, v186, v161
	s_waitcnt vmcnt(40)
	v_mul_f32_e32 v186, v187, v163
	v_fma_f32 v185, v185, v161, -v9
	v_mul_f32_e32 v9, v188, v163
	v_fmac_f32_e32 v186, v188, v153
	s_waitcnt vmcnt(39) lgkmcnt(2)
	v_mul_f32_e32 v188, v189, v159
	v_fma_f32 v187, v187, v153, -v9
	v_mul_f32_e32 v9, v190, v159
	s_waitcnt vmcnt(38)
	v_mul_f32_e32 v159, v191, v151
	v_fmac_f32_e32 v188, v190, v141
	v_fma_f32 v141, v189, v141, -v9
	v_mul_f32_e32 v9, v192, v151
	s_waitcnt vmcnt(34)
	v_fmac_f32_e32 v159, v192, v165
	s_waitcnt vmcnt(33) lgkmcnt(1)
	v_mul_f32_e32 v189, v166, v164
	s_waitcnt vmcnt(30) lgkmcnt(0)
	v_mul_f32_e32 v10, v184, v148
	v_fma_f32 v165, v191, v165, -v9
	v_mul_f32_e32 v9, v167, v164
	ds_read2_b64 v[161:164], v1 offset0:87 offset1:88
	v_fmac_f32_e32 v189, v167, v154
	v_mul_f32_e32 v167, v168, v156
	v_fma_f32 v166, v166, v154, -v9
	v_mul_f32_e32 v9, v169, v156
	v_fmac_f32_e32 v167, v169, v144
	v_mul_f32_e32 v169, v183, v148
	s_waitcnt vmcnt(26)
	v_fma_f32 v148, v183, v160, -v10
	v_fma_f32 v144, v168, v144, -v9
	v_mul_f32_e32 v168, v181, v152
	v_mul_f32_e32 v9, v182, v152
	ds_read2_b64 v[151:154], v1 offset0:89 offset1:90
	v_fmac_f32_e32 v169, v184, v160
	v_fmac_f32_e32 v168, v182, v137
	v_fma_f32 v137, v181, v137, -v9
	s_waitcnt vmcnt(25) lgkmcnt(1)
	v_mul_f32_e32 v160, v161, v157
	v_mul_f32_e32 v9, v162, v157
	ds_read2_b64 v[155:158], v1 offset0:91 offset1:92
	v_fmac_f32_e32 v160, v162, v147
	v_fma_f32 v147, v161, v147, -v9
	s_waitcnt vmcnt(24)
	v_mul_f32_e32 v161, v163, v149
	v_mul_f32_e32 v9, v164, v149
	buffer_load_dword v149, off, s[0:3], 0 offset:308
	v_fmac_f32_e32 v161, v164, v139
	v_fma_f32 v139, v163, v139, -v9
	s_waitcnt vmcnt(24) lgkmcnt(1)
	v_mul_f32_e32 v162, v151, v142
	v_mul_f32_e32 v9, v152, v142
	s_waitcnt vmcnt(23)
	v_mul_f32_e32 v142, v153, v140
	v_mul_f32_e32 v10, v154, v140
	buffer_load_dword v140, off, s[0:3], 0 offset:316
	v_fmac_f32_e32 v162, v152, v12
	v_fma_f32 v151, v151, v12, -v9
	s_waitcnt vmcnt(20)
	v_fmac_f32_e32 v142, v154, v150
	v_fma_f32 v150, v153, v150, -v10
	ds_read2_b64 v[9:12], v1 offset0:93 offset1:94
	s_waitcnt vmcnt(18) lgkmcnt(1)
	v_mul_f32_e32 v153, v157, v143
	v_mul_f32_e32 v143, v158, v143
	;; [unrolled: 1-line block ×4, first 2 shown]
	buffer_load_dword v154, off, s[0:3], 0 offset:324
	v_fmac_f32_e32 v153, v158, v136
	v_fma_f32 v136, v157, v136, -v143
	v_add_f32_e32 v157, 0, v197
	v_fmac_f32_e32 v152, v156, v138
	v_fma_f32 v138, v155, v138, -v145
	s_clause 0x6
	buffer_load_dword v155, off, s[0:3], 0 offset:344
	buffer_load_dword v145, off, s[0:3], 0 offset:336
	;; [unrolled: 1-line block ×7, first 2 shown]
	v_add_f32_e32 v7, v157, v199
	buffer_load_dword v157, off, s[0:3], 0 offset:356
	v_add_f32_e32 v7, v7, v200
	s_waitcnt vmcnt(26) lgkmcnt(0)
	v_mul_f32_e32 v181, v9, v8
	v_mul_f32_e32 v4, v10, v8
	s_waitcnt vmcnt(25)
	v_mul_f32_e32 v182, v11, v6
	v_mul_f32_e32 v6, v12, v6
	v_add_f32_e32 v8, v3, v5
	v_add_f32_e32 v7, v7, v201
	v_fmac_f32_e32 v181, v10, v2
	v_fma_f32 v10, v9, v2, -v4
	s_waitcnt vmcnt(21)
	v_fma_f32 v11, v11, v193, -v6
	ds_read2_b64 v[2:5], v1 offset0:95 offset1:96
	v_add_f32_e32 v6, v8, v170
	v_add_f32_e32 v7, v7, v171
	v_fmac_f32_e32 v182, v12, v193
	s_clause 0x6
	buffer_load_dword v12, off, s[0:3], 0 offset:376
	buffer_load_dword v170, off, s[0:3], 0 offset:368
	;; [unrolled: 1-line block ×7, first 2 shown]
	v_add_f32_e32 v6, v6, v203
	v_add_f32_e32 v7, v7, v202
	;; [unrolled: 1-line block ×6, first 2 shown]
	ds_read2_b64 v[6:9], v1 offset0:97 offset1:98
	s_waitcnt vmcnt(27) lgkmcnt(1)
	v_mul_f32_e32 v193, v2, v180
	v_mul_f32_e32 v180, v3, v180
	v_add_f32_e32 v146, v146, v207
	v_add_f32_e32 v185, v192, v185
	s_waitcnt vmcnt(26)
	v_mul_f32_e32 v192, v4, v179
	v_fmac_f32_e32 v193, v3, v177
	v_fma_f32 v177, v2, v177, -v180
	v_add_f32_e32 v3, v146, v186
	v_add_f32_e32 v2, v185, v187
	v_mul_f32_e32 v179, v5, v179
	s_clause 0x3
	buffer_load_dword v180, off, s[0:3], 0 offset:388
	buffer_load_dword v185, off, s[0:3], 0 offset:396
	;; [unrolled: 1-line block ×4, first 2 shown]
	v_fmac_f32_e32 v192, v5, v176
	v_add_f32_e32 v3, v3, v188
	v_add_f32_e32 v2, v2, v141
	v_fma_f32 v146, v4, v176, -v179
	s_clause 0x3
	buffer_load_dword v176, off, s[0:3], 0 offset:420
	buffer_load_dword v179, off, s[0:3], 0 offset:428
	;; [unrolled: 1-line block ×4, first 2 shown]
	v_add_f32_e32 v3, v3, v159
	v_add_f32_e32 v2, v2, v165
	s_waitcnt vmcnt(33) lgkmcnt(0)
	v_mul_f32_e32 v201, v6, v174
	v_mul_f32_e32 v4, v7, v174
	s_clause 0x3
	buffer_load_dword v159, off, s[0:3], 0 offset:452
	buffer_load_dword v165, off, s[0:3], 0 offset:460
	;; [unrolled: 1-line block ×4, first 2 shown]
	v_add_f32_e32 v3, v3, v189
	v_add_f32_e32 v2, v2, v166
	buffer_load_dword v166, off, s[0:3], 0 offset:484
	v_fmac_f32_e32 v201, v7, v173
	v_fma_f32 v173, v6, v173, -v4
	v_add_f32_e32 v6, v3, v167
	s_clause 0x3
	buffer_load_dword v167, off, s[0:3], 0 offset:408
	buffer_load_dword v174, off, s[0:3], 0 offset:400
	;; [unrolled: 1-line block ×4, first 2 shown]
	v_add_f32_e32 v2, v2, v144
	s_waitcnt vmcnt(41)
	v_mul_f32_e32 v144, v8, v172
	v_add_f32_e32 v6, v6, v168
	v_add_f32_e32 v7, v2, v137
	v_mul_f32_e32 v2, v9, v172
	s_waitcnt vmcnt(37)
	v_fmac_f32_e32 v144, v9, v195
	v_add_f32_e32 v6, v6, v169
	v_add_f32_e32 v7, v7, v148
	v_fma_f32 v172, v8, v195, -v2
	ds_read2_b64 v[2:5], v1 offset0:99 offset1:100
	s_clause 0x3
	buffer_load_dword v168, off, s[0:3], 0 offset:440
	buffer_load_dword v169, off, s[0:3], 0 offset:432
	;; [unrolled: 1-line block ×4, first 2 shown]
	v_add_f32_e32 v6, v6, v160
	v_add_f32_e32 v7, v7, v147
	;; [unrolled: 1-line block ×4, first 2 shown]
	ds_read2_b64 v[6:9], v1 offset0:101 offset1:102
	v_add_f32_e32 v137, v137, v151
	v_add_f32_e32 v139, v139, v162
	s_waitcnt vmcnt(40) lgkmcnt(1)
	v_mul_f32_e32 v148, v2, v196
	v_mul_f32_e32 v141, v3, v196
	v_fmac_f32_e32 v148, v3, v194
	v_fma_f32 v151, v2, v194, -v141
	s_clause 0x5
	buffer_load_dword v160, off, s[0:3], 0 offset:472
	buffer_load_dword v161, off, s[0:3], 0 offset:464
	;; [unrolled: 1-line block ×6, first 2 shown]
	v_add_f32_e32 v2, v137, v150
	v_add_f32_e32 v3, v139, v142
	;; [unrolled: 1-line block ×18, first 2 shown]
	s_waitcnt vmcnt(44)
	v_mul_f32_e32 v152, v4, v149
	v_mul_f32_e32 v136, v5, v149
	v_fmac_f32_e32 v152, v5, v178
	v_fma_f32 v153, v4, v178, -v136
	ds_read2_b64 v[2:5], v1 offset0:103 offset1:104
	ds_read2_b64 v[136:139], v1 offset0:105 offset1:106
	s_waitcnt vmcnt(43) lgkmcnt(2)
	v_mul_f32_e32 v11, v6, v140
	v_mul_f32_e32 v140, v7, v140
	v_add_f32_e32 v10, v10, v153
	v_fmac_f32_e32 v11, v7, v175
	s_waitcnt vmcnt(42)
	v_mul_f32_e32 v178, v8, v154
	v_mul_f32_e32 v142, v9, v154
	v_fma_f32 v154, v6, v175, -v140
	s_waitcnt vmcnt(38)
	v_fmac_f32_e32 v178, v9, v143
	v_fma_f32 v175, v8, v143, -v142
	ds_read2_b64 v[6:9], v1 offset0:107 offset1:108
	ds_read2_b64 v[140:143], v1 offset0:109 offset1:110
	s_waitcnt vmcnt(36) lgkmcnt(3)
	v_mul_f32_e32 v149, v5, v163
	v_mul_f32_e32 v177, v2, v158
	;; [unrolled: 1-line block ×4, first 2 shown]
	s_waitcnt vmcnt(35) lgkmcnt(2)
	v_mul_f32_e32 v163, v136, v164
	v_mul_f32_e32 v150, v137, v164
	v_fma_f32 v173, v4, v145, -v149
	v_add_f32_e32 v149, v147, v144
	v_fmac_f32_e32 v177, v3, v156
	v_fmac_f32_e32 v163, v137, v155
	v_fma_f32 v172, v136, v155, -v150
	v_fma_f32 v156, v2, v156, -v146
	v_add_f32_e32 v155, v149, v148
	v_fmac_f32_e32 v158, v5, v145
	s_waitcnt vmcnt(34)
	v_mul_f32_e32 v164, v138, v157
	v_mul_f32_e32 v157, v139, v157
	ds_read2_b64 v[2:5], v1 offset0:111 offset1:112
	ds_read2_b64 v[144:147], v1 offset0:113 offset1:114
	v_add_f32_e32 v152, v155, v152
	s_waitcnt vmcnt(29) lgkmcnt(3)
	v_mul_f32_e32 v181, v6, v184
	v_mul_f32_e32 v153, v7, v184
	v_fma_f32 v157, v138, v183, -v157
	v_fmac_f32_e32 v164, v139, v183
	s_waitcnt vmcnt(28)
	v_mul_f32_e32 v182, v8, v190
	v_fmac_f32_e32 v181, v7, v171
	v_add_f32_e32 v7, v10, v154
	v_add_f32_e32 v10, v152, v11
	v_fma_f32 v11, v6, v171, -v153
	v_mul_f32_e32 v155, v9, v190
	ds_read2_b64 v[136:139], v1 offset0:115 offset1:116
	ds_read2_b64 v[148:151], v1 offset0:117 offset1:118
	v_add_f32_e32 v171, v7, v175
	v_add_f32_e32 v10, v10, v178
	v_fmac_f32_e32 v182, v9, v170
	v_fma_f32 v170, v8, v170, -v155
	ds_read2_b64 v[6:9], v1 offset0:119 offset1:120
	ds_read2_b64 v[152:155], v1 offset0:121 offset1:122
	v_add_f32_e32 v156, v171, v156
	v_add_f32_e32 v10, v10, v177
	s_waitcnt vmcnt(27) lgkmcnt(6)
	v_mul_f32_e32 v1, v140, v191
	v_mul_f32_e32 v171, v141, v191
	v_add_f32_e32 v156, v156, v173
	v_add_f32_e32 v10, v10, v158
	v_fmac_f32_e32 v1, v141, v12
	s_waitcnt vmcnt(26)
	v_mul_f32_e32 v177, v143, v180
	v_fma_f32 v12, v140, v12, -v171
	v_add_f32_e32 v156, v156, v172
	v_add_f32_e32 v10, v10, v163
	v_mul_f32_e32 v175, v142, v180
	s_waitcnt vmcnt(25) lgkmcnt(5)
	v_mul_f32_e32 v173, v2, v185
	v_mul_f32_e32 v141, v3, v185
	v_add_f32_e32 v156, v156, v157
	v_add_f32_e32 v10, v10, v164
	s_waitcnt vmcnt(24)
	v_mul_f32_e32 v158, v4, v186
	s_waitcnt vmcnt(23) lgkmcnt(4)
	v_mul_f32_e32 v178, v144, v187
	s_waitcnt vmcnt(22)
	v_mul_f32_e32 v172, v146, v176
	v_add_f32_e32 v11, v156, v11
	v_add_f32_e32 v10, v10, v181
	s_waitcnt vmcnt(21) lgkmcnt(3)
	v_mul_f32_e32 v163, v136, v179
	s_waitcnt vmcnt(20)
	v_mul_f32_e32 v180, v138, v188
	s_waitcnt vmcnt(19) lgkmcnt(2)
	v_mul_f32_e32 v157, v148, v197
	v_add_f32_e32 v11, v11, v170
	v_add_f32_e32 v10, v10, v182
	s_waitcnt vmcnt(12)
	v_fmac_f32_e32 v158, v5, v174
	s_waitcnt vmcnt(11)
	v_fmac_f32_e32 v173, v3, v189
	s_waitcnt vmcnt(10)
	v_fma_f32 v142, v142, v202, -v177
	v_add_f32_e32 v11, v11, v12
	v_fmac_f32_e32 v175, v143, v202
	v_add_f32_e32 v1, v10, v1
	v_mul_f32_e32 v10, v5, v186
	v_fma_f32 v2, v2, v189, -v141
	v_add_f32_e32 v3, v11, v142
	v_mul_f32_e32 v11, v145, v187
	v_add_f32_e32 v1, v1, v175
	v_fma_f32 v4, v4, v174, -v10
	v_fmac_f32_e32 v178, v145, v167
	v_add_f32_e32 v2, v3, v2
	v_mul_f32_e32 v3, v147, v176
	v_add_f32_e32 v1, v1, v173
	v_fma_f32 v5, v144, v167, -v11
	s_waitcnt vmcnt(6)
	v_fmac_f32_e32 v172, v147, v203
	v_add_f32_e32 v2, v2, v4
	v_mul_f32_e32 v4, v137, v179
	v_add_f32_e32 v1, v1, v158
	v_fma_f32 v3, v146, v203, -v3
	v_fmac_f32_e32 v163, v137, v195
	v_add_f32_e32 v2, v2, v5
	v_mul_f32_e32 v5, v139, v188
	v_add_f32_e32 v1, v1, v178
	v_fma_f32 v4, v136, v195, -v4
	;; [unrolled: 5-line block ×3, first 2 shown]
	v_mul_f32_e32 v164, v150, v159
	v_add_f32_e32 v2, v2, v4
	v_mul_f32_e32 v4, v151, v159
	v_add_f32_e32 v1, v1, v163
	v_fma_f32 v3, v148, v168, -v3
	v_fmac_f32_e32 v157, v149, v168
	v_add_f32_e32 v2, v2, v5
	s_waitcnt lgkmcnt(1)
	v_mul_f32_e32 v5, v7, v165
	v_add_f32_e32 v1, v1, v180
	v_mul_f32_e32 v183, v6, v165
	s_waitcnt vmcnt(2)
	v_fma_f32 v4, v150, v194, -v4
	v_add_f32_e32 v2, v2, v3
	v_fmac_f32_e32 v164, v151, v194
	v_add_f32_e32 v1, v1, v157
	v_mul_f32_e32 v3, v9, v199
	v_fma_f32 v5, v6, v162, -v5
	v_add_f32_e32 v2, v2, v4
	v_mul_f32_e32 v156, v8, v199
	v_fmac_f32_e32 v183, v7, v162
	v_add_f32_e32 v1, v1, v164
	s_waitcnt lgkmcnt(0)
	v_mul_f32_e32 v4, v153, v200
	v_fma_f32 v3, v8, v161, -v3
	v_add_f32_e32 v2, v2, v5
	v_mul_f32_e32 v181, v152, v200
	v_fmac_f32_e32 v156, v9, v161
	v_add_f32_e32 v1, v1, v183
	v_mul_f32_e32 v5, v155, v166
	v_fma_f32 v4, v152, v160, -v4
	v_add_f32_e32 v2, v2, v3
	v_mul_f32_e32 v140, v154, v166
	v_fmac_f32_e32 v181, v153, v160
	v_add_f32_e32 v1, v1, v156
	s_waitcnt vmcnt(1)
	v_fma_f32 v3, v154, v196, -v5
	v_add_f32_e32 v2, v2, v4
	v_fmac_f32_e32 v140, v155, v196
	v_add_f32_e32 v1, v1, v181
	v_add_f32_e32 v2, v2, v3
	;; [unrolled: 1-line block ×3, first 2 shown]
	s_waitcnt vmcnt(0)
	v_sub_f32_e32 v2, v204, v2
	v_sub_f32_e32 v1, v198, v1
	buffer_store_dword v2, off, s[0:3], 0 offset:64
	buffer_store_dword v1, off, s[0:3], 0 offset:68
	v_cmpx_lt_u32_e32 7, v0
	s_cbranch_execz .LBB60_365
; %bb.364:
	s_clause 0x1
	buffer_load_dword v1, off, s[0:3], 0 offset:56
	buffer_load_dword v2, off, s[0:3], 0 offset:60
	v_mov_b32_e32 v3, 0
	buffer_store_dword v3, off, s[0:3], 0 offset:56
	buffer_store_dword v3, off, s[0:3], 0 offset:60
	s_waitcnt vmcnt(0)
	ds_write_b64 v135, v[1:2]
.LBB60_365:
	s_or_b32 exec_lo, exec_lo, s4
	s_waitcnt lgkmcnt(0)
	s_waitcnt_vscnt null, 0x0
	s_barrier
	buffer_gl0_inv
	s_clause 0x3b
	buffer_load_dword v9, off, s[0:3], 0 offset:68
	buffer_load_dword v2, off, s[0:3], 0 offset:80
	;; [unrolled: 1-line block ×60, first 2 shown]
	v_mov_b32_e32 v1, 0
	ds_read_b128 v[181:184], v1 offset:560
	ds_read_b128 v[185:188], v1 offset:576
	;; [unrolled: 1-line block ×3, first 2 shown]
	buffer_load_dword v198, off, s[0:3], 0 offset:60
	s_mov_b32 s4, exec_lo
	s_waitcnt vmcnt(60) lgkmcnt(2)
	v_mul_f32_e32 v197, v181, v9
	v_mul_f32_e32 v9, v182, v9
	s_waitcnt vmcnt(56)
	v_mul_f32_e32 v199, v183, v6
	v_mul_f32_e32 v6, v184, v6
	v_fmac_f32_e32 v197, v182, v7
	v_fma_f32 v9, v181, v7, -v9
	s_waitcnt vmcnt(55) lgkmcnt(1)
	v_mul_f32_e32 v201, v185, v5
	v_fmac_f32_e32 v199, v184, v4
	v_fma_f32 v200, v183, v4, -v6
	v_mul_f32_e32 v181, v186, v5
	ds_read_b128 v[4:7], v1 offset:608
	v_fmac_f32_e32 v201, v186, v2
	s_waitcnt vmcnt(54)
	v_mul_f32_e32 v203, v187, v3
	s_waitcnt vmcnt(49) lgkmcnt(1)
	v_mul_f32_e32 v204, v189, v170
	v_fma_f32 v202, v185, v2, -v181
	v_mul_f32_e32 v2, v188, v3
	ds_read_b128 v[181:184], v1 offset:624
	v_fmac_f32_e32 v203, v188, v171
	v_fmac_f32_e32 v204, v190, v166
	v_add_f32_e32 v9, 0, v9
	v_fma_f32 v171, v187, v171, -v2
	v_mul_f32_e32 v2, v190, v170
	ds_read_b128 v[185:188], v1 offset:640
	v_add_f32_e32 v9, v9, v200
	v_fma_f32 v170, v189, v166, -v2
	s_waitcnt vmcnt(48)
	v_mul_f32_e32 v189, v191, v167
	v_mul_f32_e32 v2, v192, v167
	v_add_f32_e32 v9, v9, v202
	s_waitcnt vmcnt(47) lgkmcnt(2)
	v_mul_f32_e32 v190, v4, v162
	v_fmac_f32_e32 v189, v192, v158
	v_fma_f32 v158, v191, v158, -v2
	v_mul_f32_e32 v2, v5, v162
	v_fmac_f32_e32 v190, v5, v146
	s_waitcnt vmcnt(46)
	v_mul_f32_e32 v191, v6, v155
	v_fma_f32 v146, v4, v146, -v2
	v_mul_f32_e32 v2, v7, v155
	s_waitcnt vmcnt(42)
	v_fmac_f32_e32 v191, v7, v169
	s_waitcnt vmcnt(41) lgkmcnt(1)
	v_mul_f32_e32 v155, v181, v168
	v_mul_f32_e32 v7, v182, v168
	v_fma_f32 v6, v6, v169, -v2
	ds_read_b128 v[2:5], v1 offset:656
	ds_read_b128 v[166:169], v1 offset:672
	v_fmac_f32_e32 v155, v182, v161
	v_fma_f32 v181, v181, v161, -v7
	s_waitcnt vmcnt(40)
	v_mul_f32_e32 v182, v183, v163
	v_mul_f32_e32 v7, v184, v163
	v_fmac_f32_e32 v182, v184, v153
	v_fma_f32 v183, v183, v153, -v7
	s_waitcnt vmcnt(39) lgkmcnt(2)
	v_mul_f32_e32 v184, v185, v159
	v_mul_f32_e32 v7, v186, v159
	s_waitcnt vmcnt(38)
	v_mul_f32_e32 v159, v187, v151
	v_fmac_f32_e32 v184, v186, v141
	v_fma_f32 v141, v185, v141, -v7
	v_mul_f32_e32 v7, v188, v151
	s_waitcnt vmcnt(34)
	v_fmac_f32_e32 v159, v188, v165
	s_waitcnt vmcnt(33) lgkmcnt(1)
	v_mul_f32_e32 v185, v2, v164
	s_waitcnt vmcnt(30) lgkmcnt(0)
	v_mul_f32_e32 v188, v168, v148
	v_fma_f32 v165, v187, v165, -v7
	v_mul_f32_e32 v7, v3, v164
	ds_read_b128 v[161:164], v1 offset:688
	v_mul_f32_e32 v187, v4, v156
	v_fmac_f32_e32 v185, v3, v154
	s_waitcnt vmcnt(26)
	v_fmac_f32_e32 v188, v169, v160
	v_fma_f32 v186, v2, v154, -v7
	v_mul_f32_e32 v2, v5, v156
	v_fmac_f32_e32 v187, v5, v144
	v_mul_f32_e32 v156, v166, v152
	v_mul_f32_e32 v7, v169, v148
	v_fma_f32 v144, v4, v144, -v2
	v_mul_f32_e32 v2, v167, v152
	v_fmac_f32_e32 v156, v167, v137
	v_fma_f32 v148, v168, v160, -v7
	ds_read_b128 v[151:154], v1 offset:720
	v_fma_f32 v137, v166, v137, -v2
	ds_read_b128 v[2:5], v1 offset:704
	s_waitcnt vmcnt(25) lgkmcnt(2)
	v_mul_f32_e32 v160, v161, v157
	v_mul_f32_e32 v7, v162, v157
	s_waitcnt vmcnt(24)
	v_mul_f32_e32 v157, v163, v149
	v_fmac_f32_e32 v160, v162, v147
	v_fma_f32 v147, v161, v147, -v7
	v_mul_f32_e32 v7, v164, v149
	v_fmac_f32_e32 v157, v164, v139
	s_clause 0x1
	buffer_load_dword v149, off, s[0:3], 0 offset:300
	buffer_load_dword v162, off, s[0:3], 0 offset:308
	v_fma_f32 v139, v163, v139, -v7
	buffer_load_dword v163, off, s[0:3], 0 offset:316
	s_waitcnt vmcnt(26) lgkmcnt(0)
	v_mul_f32_e32 v161, v2, v142
	v_mul_f32_e32 v7, v3, v142
	s_waitcnt vmcnt(25)
	v_mul_f32_e32 v142, v4, v140
	v_mul_f32_e32 v140, v5, v140
	v_fmac_f32_e32 v161, v3, v12
	v_fma_f32 v12, v2, v12, -v7
	s_waitcnt vmcnt(21)
	v_fmac_f32_e32 v142, v5, v150
	v_fma_f32 v140, v4, v150, -v140
	ds_read_b128 v[2:5], v1 offset:736
	s_waitcnt vmcnt(20)
	v_mul_f32_e32 v150, v151, v145
	v_mul_f32_e32 v7, v152, v145
	s_waitcnt vmcnt(19)
	v_mul_f32_e32 v145, v153, v143
	v_mul_f32_e32 v143, v154, v143
	v_fmac_f32_e32 v150, v152, v138
	v_fma_f32 v138, v151, v138, -v7
	v_add_f32_e32 v7, 0, v197
	v_fmac_f32_e32 v145, v154, v136
	v_fma_f32 v136, v153, v136, -v143
	s_clause 0x6
	buffer_load_dword v151, off, s[0:3], 0 offset:336
	buffer_load_dword v152, off, s[0:3], 0 offset:328
	buffer_load_dword v153, off, s[0:3], 0 offset:320
	buffer_load_dword v143, off, s[0:3], 0 offset:312
	buffer_load_dword v154, off, s[0:3], 0 offset:324
	buffer_load_dword v164, off, s[0:3], 0 offset:332
	buffer_load_dword v166, off, s[0:3], 0 offset:340
	v_add_f32_e32 v7, v7, v199
	buffer_load_dword v167, off, s[0:3], 0 offset:348
	v_add_f32_e32 v7, v7, v201
	s_waitcnt vmcnt(26) lgkmcnt(0)
	v_mul_f32_e32 v168, v2, v11
	v_mul_f32_e32 v11, v3, v11
	s_waitcnt vmcnt(25)
	v_mul_f32_e32 v169, v4, v10
	v_add_f32_e32 v7, v7, v203
	v_mul_f32_e32 v10, v5, v10
	v_fmac_f32_e32 v168, v3, v8
	v_fma_f32 v11, v2, v8, -v11
	v_add_f32_e32 v8, v9, v171
	v_add_f32_e32 v7, v7, v204
	s_waitcnt vmcnt(21)
	v_fmac_f32_e32 v169, v5, v193
	v_fma_f32 v10, v4, v193, -v10
	ds_read_b128 v[2:5], v1 offset:752
	v_add_f32_e32 v8, v8, v170
	v_add_f32_e32 v7, v7, v189
	s_clause 0x3
	buffer_load_dword v170, off, s[0:3], 0 offset:368
	buffer_load_dword v171, off, s[0:3], 0 offset:360
	buffer_load_dword v192, off, s[0:3], 0 offset:352
	buffer_load_dword v193, off, s[0:3], 0 offset:344
	v_add_f32_e32 v8, v8, v158
	v_add_f32_e32 v8, v8, v146
	;; [unrolled: 1-line block ×3, first 2 shown]
	s_clause 0x2
	buffer_load_dword v158, off, s[0:3], 0 offset:356
	buffer_load_dword v189, off, s[0:3], 0 offset:364
	;; [unrolled: 1-line block ×3, first 2 shown]
	v_add_f32_e32 v197, v8, v6
	v_add_f32_e32 v146, v146, v191
	ds_read_b128 v[6:9], v1 offset:768
	s_waitcnt vmcnt(27) lgkmcnt(1)
	v_mul_f32_e32 v191, v2, v180
	v_mul_f32_e32 v180, v3, v180
	v_add_f32_e32 v181, v197, v181
	s_waitcnt vmcnt(26)
	v_mul_f32_e32 v197, v4, v179
	v_mul_f32_e32 v179, v5, v179
	v_fmac_f32_e32 v191, v3, v178
	v_add_f32_e32 v3, v146, v155
	v_add_f32_e32 v146, v181, v183
	v_fma_f32 v155, v2, v178, -v180
	v_fmac_f32_e32 v197, v5, v176
	v_fma_f32 v176, v4, v176, -v179
	v_add_f32_e32 v2, v3, v182
	v_add_f32_e32 v3, v146, v141
	s_clause 0x7
	buffer_load_dword v178, off, s[0:3], 0 offset:380
	buffer_load_dword v179, off, s[0:3], 0 offset:388
	;; [unrolled: 1-line block ×8, first 2 shown]
	v_add_f32_e32 v2, v2, v184
	v_add_f32_e32 v3, v3, v165
	s_waitcnt vmcnt(33) lgkmcnt(0)
	v_mul_f32_e32 v146, v6, v175
	v_mul_f32_e32 v4, v7, v175
	s_clause 0x1
	buffer_load_dword v165, off, s[0:3], 0 offset:412
	buffer_load_dword v184, off, s[0:3], 0 offset:420
	v_add_f32_e32 v2, v2, v159
	v_add_f32_e32 v3, v3, v186
	v_fmac_f32_e32 v146, v7, v173
	v_fma_f32 v173, v6, v173, -v4
	s_clause 0x1
	buffer_load_dword v159, off, s[0:3], 0 offset:428
	buffer_load_dword v175, off, s[0:3], 0 offset:436
	v_add_f32_e32 v2, v2, v185
	v_add_f32_e32 v3, v3, v144
	s_clause 0x3
	buffer_load_dword v185, off, s[0:3], 0 offset:444
	buffer_load_dword v186, off, s[0:3], 0 offset:452
	;; [unrolled: 1-line block ×4, first 2 shown]
	s_waitcnt vmcnt(40)
	v_mul_f32_e32 v144, v8, v172
	v_add_f32_e32 v2, v2, v187
	v_add_f32_e32 v6, v3, v137
	v_mul_f32_e32 v3, v9, v172
	buffer_load_dword v187, off, s[0:3], 0 offset:476
	s_waitcnt vmcnt(37)
	v_fmac_f32_e32 v144, v9, v195
	v_add_f32_e32 v7, v2, v156
	v_add_f32_e32 v6, v6, v148
	v_fma_f32 v172, v8, v195, -v3
	ds_read_b128 v[2:5], v1 offset:784
	buffer_load_dword v156, off, s[0:3], 0 offset:484
	v_add_f32_e32 v7, v7, v188
	v_add_f32_e32 v6, v6, v147
	;; [unrolled: 1-line block ×3, first 2 shown]
	s_clause 0x3
	buffer_load_dword v160, off, s[0:3], 0 offset:432
	buffer_load_dword v188, off, s[0:3], 0 offset:424
	;; [unrolled: 1-line block ×4, first 2 shown]
	v_add_f32_e32 v6, v6, v139
	v_add_f32_e32 v137, v7, v157
	;; [unrolled: 1-line block ×3, first 2 shown]
	ds_read_b128 v[6:9], v1 offset:800
	v_add_f32_e32 v137, v137, v161
	v_add_f32_e32 v12, v12, v140
	s_waitcnt vmcnt(41) lgkmcnt(1)
	v_mul_f32_e32 v147, v2, v196
	v_mul_f32_e32 v139, v3, v196
	v_fmac_f32_e32 v147, v3, v194
	v_fma_f32 v148, v2, v194, -v139
	v_add_f32_e32 v3, v12, v138
	s_clause 0x6
	buffer_load_dword v12, off, s[0:3], 0 offset:464
	buffer_load_dword v157, off, s[0:3], 0 offset:456
	;; [unrolled: 1-line block ×7, first 2 shown]
	v_add_f32_e32 v2, v137, v142
	v_add_f32_e32 v3, v3, v136
	;; [unrolled: 1-line block ×18, first 2 shown]
	s_waitcnt vmcnt(46)
	v_mul_f32_e32 v11, v4, v149
	v_mul_f32_e32 v136, v5, v149
	s_waitcnt vmcnt(45) lgkmcnt(0)
	v_mul_f32_e32 v155, v6, v162
	v_mul_f32_e32 v141, v7, v162
	s_waitcnt vmcnt(44)
	v_mul_f32_e32 v162, v8, v163
	v_mul_f32_e32 v142, v9, v163
	v_fmac_f32_e32 v11, v5, v177
	v_fma_f32 v149, v4, v177, -v136
	ds_read_b128 v[2:5], v1 offset:816
	ds_read_b128 v[136:139], v1 offset:832
	v_fmac_f32_e32 v155, v7, v174
	v_fma_f32 v163, v6, v174, -v141
	v_add_f32_e32 v10, v10, v149
	v_add_f32_e32 v11, v148, v11
	;; [unrolled: 1-line block ×4, first 2 shown]
	s_waitcnt vmcnt(40)
	v_fmac_f32_e32 v162, v9, v143
	v_fma_f32 v168, v8, v143, -v142
	ds_read_b128 v[6:9], v1 offset:848
	ds_read_b128 v[140:143], v1 offset:864
	s_waitcnt vmcnt(39) lgkmcnt(3)
	v_mul_f32_e32 v169, v2, v154
	v_mul_f32_e32 v150, v3, v154
	s_waitcnt vmcnt(38)
	v_mul_f32_e32 v173, v4, v164
	v_mul_f32_e32 v146, v5, v164
	s_waitcnt vmcnt(37) lgkmcnt(2)
	v_mul_f32_e32 v164, v136, v166
	v_mul_f32_e32 v154, v137, v166
	v_fmac_f32_e32 v169, v3, v153
	v_fma_f32 v153, v2, v153, -v150
	v_fmac_f32_e32 v173, v5, v152
	v_fma_f32 v166, v4, v152, -v146
	s_waitcnt vmcnt(36)
	v_mul_f32_e32 v172, v138, v167
	v_mul_f32_e32 v150, v139, v167
	v_fma_f32 v167, v136, v151, -v154
	v_fmac_f32_e32 v164, v137, v151
	ds_read_b128 v[2:5], v1 offset:880
	ds_read_b128 v[144:147], v1 offset:896
	s_waitcnt vmcnt(32)
	v_fma_f32 v174, v138, v193, -v150
	v_fmac_f32_e32 v172, v139, v193
	ds_read_b128 v[136:139], v1 offset:912
	ds_read_b128 v[148:151], v1 offset:928
	s_waitcnt vmcnt(31) lgkmcnt(5)
	v_mul_f32_e32 v163, v6, v158
	v_mul_f32_e32 v152, v7, v158
	s_waitcnt vmcnt(30)
	v_mul_f32_e32 v154, v9, v189
	v_mul_f32_e32 v176, v8, v189
	v_fmac_f32_e32 v163, v7, v192
	v_add_f32_e32 v7, v10, v168
	v_add_f32_e32 v10, v11, v162
	v_fma_f32 v158, v6, v192, -v152
	v_fma_f32 v162, v8, v171, -v154
	v_fmac_f32_e32 v176, v9, v171
	v_add_f32_e32 v168, v7, v153
	v_add_f32_e32 v169, v10, v169
	ds_read_b128 v[6:9], v1 offset:944
	ds_read_b128 v[152:155], v1 offset:960
	ds_read_b64 v[10:11], v1 offset:976
	s_waitcnt vmcnt(28) lgkmcnt(7)
	v_mul_f32_e32 v177, v143, v178
	v_add_f32_e32 v166, v168, v166
	v_add_f32_e32 v169, v169, v173
	v_mul_f32_e32 v173, v141, v190
	v_mul_f32_e32 v168, v140, v190
	;; [unrolled: 1-line block ×3, first 2 shown]
	v_add_f32_e32 v166, v166, v167
	v_add_f32_e32 v164, v169, v164
	v_fma_f32 v140, v140, v170, -v173
	v_fmac_f32_e32 v168, v141, v170
	s_waitcnt vmcnt(27) lgkmcnt(6)
	v_mul_f32_e32 v167, v2, v179
	v_add_f32_e32 v166, v166, v174
	v_add_f32_e32 v164, v164, v172
	v_mul_f32_e32 v173, v3, v179
	s_waitcnt vmcnt(21)
	v_fma_f32 v142, v142, v200, -v177
	v_fmac_f32_e32 v171, v143, v200
	v_add_f32_e32 v158, v166, v158
	v_add_f32_e32 v163, v164, v163
	v_fmac_f32_e32 v167, v3, v199
	v_fma_f32 v2, v2, v199, -v173
	v_mul_f32_e32 v169, v4, v180
	v_add_f32_e32 v158, v158, v162
	v_add_f32_e32 v162, v163, v176
	v_mul_f32_e32 v163, v5, v180
	s_waitcnt lgkmcnt(5)
	v_mul_f32_e32 v141, v144, v181
	v_fmac_f32_e32 v169, v5, v183
	v_add_f32_e32 v140, v158, v140
	v_add_f32_e32 v158, v162, v168
	v_fma_f32 v4, v4, v183, -v163
	s_waitcnt vmcnt(20)
	v_mul_f32_e32 v5, v147, v165
	v_mul_f32_e32 v170, v146, v165
	v_add_f32_e32 v3, v140, v142
	v_add_f32_e32 v140, v158, v171
	v_mul_f32_e32 v142, v145, v181
	v_fmac_f32_e32 v141, v145, v182
	s_waitcnt vmcnt(19) lgkmcnt(4)
	v_mul_f32_e32 v172, v136, v184
	v_add_f32_e32 v2, v3, v2
	v_add_f32_e32 v3, v140, v167
	v_fma_f32 v140, v144, v182, -v142
	s_waitcnt vmcnt(18)
	v_mul_f32_e32 v143, v138, v159
	s_waitcnt vmcnt(8)
	v_fmac_f32_e32 v172, v137, v195
	v_add_f32_e32 v2, v2, v4
	v_add_f32_e32 v3, v3, v169
	v_mul_f32_e32 v4, v137, v184
	s_waitcnt vmcnt(7)
	v_fma_f32 v5, v146, v203, -v5
	v_fmac_f32_e32 v170, v147, v203
	v_add_f32_e32 v2, v2, v140
	v_add_f32_e32 v3, v3, v141
	v_mul_f32_e32 v140, v139, v159
	v_fma_f32 v4, v136, v195, -v4
	s_waitcnt lgkmcnt(3)
	v_mul_f32_e32 v174, v148, v175
	v_add_f32_e32 v2, v2, v5
	v_add_f32_e32 v3, v3, v170
	v_mul_f32_e32 v5, v149, v175
	v_fma_f32 v136, v138, v188, -v140
	v_fmac_f32_e32 v143, v139, v188
	v_add_f32_e32 v2, v2, v4
	v_add_f32_e32 v3, v3, v172
	v_mul_f32_e32 v4, v151, v185
	v_fma_f32 v5, v148, v160, -v5
	v_mul_f32_e32 v164, v150, v185
	v_add_f32_e32 v2, v2, v136
	v_fmac_f32_e32 v174, v149, v160
	v_add_f32_e32 v3, v3, v143
	s_waitcnt lgkmcnt(2)
	v_mul_f32_e32 v136, v7, v186
	s_waitcnt vmcnt(3)
	v_fma_f32 v4, v150, v194, -v4
	v_add_f32_e32 v2, v2, v5
	v_mul_f32_e32 v166, v6, v186
	v_fmac_f32_e32 v164, v151, v194
	v_add_f32_e32 v3, v3, v174
	v_mul_f32_e32 v5, v9, v201
	v_fma_f32 v6, v6, v161, -v136
	v_add_f32_e32 v2, v2, v4
	v_mul_f32_e32 v177, v8, v201
	v_fmac_f32_e32 v166, v7, v161
	v_add_f32_e32 v3, v3, v164
	s_waitcnt lgkmcnt(1)
	v_mul_f32_e32 v4, v153, v202
	v_fma_f32 v5, v8, v157, -v5
	v_add_f32_e32 v2, v2, v6
	v_mul_f32_e32 v176, v152, v202
	v_fmac_f32_e32 v177, v9, v157
	v_add_f32_e32 v3, v3, v166
	v_mul_f32_e32 v6, v155, v187
	v_fma_f32 v4, v152, v12, -v4
	v_add_f32_e32 v2, v2, v5
	v_mul_f32_e32 v178, v154, v187
	v_fmac_f32_e32 v176, v153, v12
	v_add_f32_e32 v3, v3, v177
	s_waitcnt lgkmcnt(0)
	v_mul_f32_e32 v5, v11, v156
	s_waitcnt vmcnt(1)
	v_fma_f32 v6, v154, v204, -v6
	v_add_f32_e32 v2, v2, v4
	v_mul_f32_e32 v162, v10, v156
	v_fmac_f32_e32 v178, v155, v204
	v_add_f32_e32 v3, v3, v176
	v_fma_f32 v4, v10, v196, -v5
	v_add_f32_e32 v2, v2, v6
	v_fmac_f32_e32 v162, v11, v196
	v_add_f32_e32 v3, v3, v178
	v_add_f32_e32 v2, v2, v4
	;; [unrolled: 1-line block ×3, first 2 shown]
	s_waitcnt vmcnt(0)
	v_sub_f32_e32 v2, v205, v2
	v_sub_f32_e32 v3, v198, v3
	buffer_store_dword v2, off, s[0:3], 0 offset:56
	buffer_store_dword v3, off, s[0:3], 0 offset:60
	v_cmpx_lt_u32_e32 6, v0
	s_cbranch_execz .LBB60_367
; %bb.366:
	s_clause 0x1
	buffer_load_dword v2, off, s[0:3], 0 offset:48
	buffer_load_dword v3, off, s[0:3], 0 offset:52
	buffer_store_dword v1, off, s[0:3], 0 offset:48
	buffer_store_dword v1, off, s[0:3], 0 offset:52
	s_waitcnt vmcnt(0)
	ds_write_b64 v135, v[2:3]
.LBB60_367:
	s_or_b32 exec_lo, exec_lo, s4
	s_waitcnt lgkmcnt(0)
	s_waitcnt_vscnt null, 0x0
	s_barrier
	buffer_gl0_inv
	s_clause 0x3c
	buffer_load_dword v9, off, s[0:3], 0 offset:60
	buffer_load_dword v10, off, s[0:3], 0 offset:68
	buffer_load_dword v2, off, s[0:3], 0 offset:72
	buffer_load_dword v5, off, s[0:3], 0 offset:64
	buffer_load_dword v6, off, s[0:3], 0 offset:56
	buffer_load_dword v4, off, s[0:3], 0 offset:76
	buffer_load_dword v3, off, s[0:3], 0 offset:84
	buffer_load_dword v143, off, s[0:3], 0 offset:104
	buffer_load_dword v157, off, s[0:3], 0 offset:96
	buffer_load_dword v164, off, s[0:3], 0 offset:88
	buffer_load_dword v171, off, s[0:3], 0 offset:80
	buffer_load_dword v170, off, s[0:3], 0 offset:92
	buffer_load_dword v168, off, s[0:3], 0 offset:100
	buffer_load_dword v162, off, s[0:3], 0 offset:108
	buffer_load_dword v160, off, s[0:3], 0 offset:116
	buffer_load_dword v139, off, s[0:3], 0 offset:136
	buffer_load_dword v152, off, s[0:3], 0 offset:128
	buffer_load_dword v158, off, s[0:3], 0 offset:120
	buffer_load_dword v169, off, s[0:3], 0 offset:112
	buffer_load_dword v167, off, s[0:3], 0 offset:124
	buffer_load_dword v166, off, s[0:3], 0 offset:132
	buffer_load_dword v156, off, s[0:3], 0 offset:140
	buffer_load_dword v154, off, s[0:3], 0 offset:148
	buffer_load_dword v11, off, s[0:3], 0 offset:168
	buffer_load_dword v145, off, s[0:3], 0 offset:160
	buffer_load_dword v150, off, s[0:3], 0 offset:152
	buffer_load_dword v165, off, s[0:3], 0 offset:144
	buffer_load_dword v163, off, s[0:3], 0 offset:156
	buffer_load_dword v161, off, s[0:3], 0 offset:164
	buffer_load_dword v149, off, s[0:3], 0 offset:172
	buffer_load_dword v147, off, s[0:3], 0 offset:180
	buffer_load_dword v8, off, s[0:3], 0 offset:200
	buffer_load_dword v140, off, s[0:3], 0 offset:192
	buffer_load_dword v144, off, s[0:3], 0 offset:184
	buffer_load_dword v159, off, s[0:3], 0 offset:176
	buffer_load_dword v155, off, s[0:3], 0 offset:188
	buffer_load_dword v153, off, s[0:3], 0 offset:196
	buffer_load_dword v142, off, s[0:3], 0 offset:204
	buffer_load_dword v141, off, s[0:3], 0 offset:212
	buffer_load_dword v7, off, s[0:3], 0 offset:232
	buffer_load_dword v12, off, s[0:3], 0 offset:224
	buffer_load_dword v138, off, s[0:3], 0 offset:216
	buffer_load_dword v151, off, s[0:3], 0 offset:208
	buffer_load_dword v148, off, s[0:3], 0 offset:220
	buffer_load_dword v146, off, s[0:3], 0 offset:228
	buffer_load_dword v137, off, s[0:3], 0 offset:236
	buffer_load_dword v136, off, s[0:3], 0 offset:244
	buffer_load_dword v173, off, s[0:3], 0 offset:264
	buffer_load_dword v174, off, s[0:3], 0 offset:256
	buffer_load_dword v177, off, s[0:3], 0 offset:248
	buffer_load_dword v180, off, s[0:3], 0 offset:240
	buffer_load_dword v179, off, s[0:3], 0 offset:252
	buffer_load_dword v178, off, s[0:3], 0 offset:260
	buffer_load_dword v176, off, s[0:3], 0 offset:268
	buffer_load_dword v175, off, s[0:3], 0 offset:276
	buffer_load_dword v172, off, s[0:3], 0 offset:296
	buffer_load_dword v189, off, s[0:3], 0 offset:288
	buffer_load_dword v190, off, s[0:3], 0 offset:280
	buffer_load_dword v191, off, s[0:3], 0 offset:272
	buffer_load_dword v192, off, s[0:3], 0 offset:284
	buffer_load_dword v193, off, s[0:3], 0 offset:292
	ds_read2_b64 v[181:184], v1 offset0:69 offset1:70
	ds_read2_b64 v[185:188], v1 offset0:71 offset1:72
	buffer_load_dword v196, off, s[0:3], 0 offset:52
	s_mov_b32 s4, exec_lo
	s_waitcnt vmcnt(61) lgkmcnt(1)
	v_mul_f32_e32 v194, v181, v9
	v_mul_f32_e32 v9, v182, v9
	s_waitcnt vmcnt(60)
	v_mul_f32_e32 v195, v183, v10
	v_mul_f32_e32 v10, v184, v10
	s_waitcnt vmcnt(57)
	v_fmac_f32_e32 v194, v182, v6
	v_fma_f32 v197, v181, v6, -v9
	v_fmac_f32_e32 v195, v184, v5
	v_fma_f32 v198, v183, v5, -v10
	ds_read2_b64 v[181:184], v1 offset0:73 offset1:74
	s_waitcnt vmcnt(56) lgkmcnt(1)
	v_mul_f32_e32 v199, v185, v4
	v_mul_f32_e32 v4, v186, v4
	s_waitcnt vmcnt(55)
	v_mul_f32_e32 v200, v187, v3
	v_mul_f32_e32 v3, v188, v3
	v_fmac_f32_e32 v199, v186, v2
	v_fma_f32 v185, v185, v2, -v4
	s_waitcnt vmcnt(51)
	v_fmac_f32_e32 v200, v188, v171
	v_fma_f32 v171, v187, v171, -v3
	ds_read2_b64 v[2:5], v1 offset0:75 offset1:76
	s_waitcnt vmcnt(50) lgkmcnt(1)
	v_mul_f32_e32 v186, v181, v170
	v_mul_f32_e32 v6, v182, v170
	s_waitcnt vmcnt(49)
	v_mul_f32_e32 v170, v183, v168
	v_mul_f32_e32 v9, v184, v168
	v_fmac_f32_e32 v186, v182, v164
	v_fma_f32 v164, v181, v164, -v6
	v_fmac_f32_e32 v170, v184, v157
	v_fma_f32 v157, v183, v157, -v9
	ds_read2_b64 v[181:184], v1 offset0:77 offset1:78
	s_waitcnt vmcnt(48) lgkmcnt(1)
	v_mul_f32_e32 v187, v2, v162
	v_mul_f32_e32 v6, v3, v162
	s_waitcnt vmcnt(47)
	v_mul_f32_e32 v188, v4, v160
	v_mul_f32_e32 v9, v5, v160
	v_fmac_f32_e32 v187, v3, v143
	v_fma_f32 v143, v2, v143, -v6
	s_waitcnt vmcnt(43)
	v_fmac_f32_e32 v188, v5, v169
	v_fma_f32 v201, v4, v169, -v9
	ds_read2_b64 v[2:5], v1 offset0:79 offset1:80
	s_waitcnt vmcnt(42) lgkmcnt(1)
	v_mul_f32_e32 v202, v181, v167
	v_mul_f32_e32 v6, v182, v167
	s_waitcnt vmcnt(41)
	v_mul_f32_e32 v203, v183, v166
	v_mul_f32_e32 v9, v184, v166
	ds_read2_b64 v[166:169], v1 offset0:81 offset1:82
	v_fmac_f32_e32 v202, v182, v158
	v_fma_f32 v158, v181, v158, -v6
	v_fmac_f32_e32 v203, v184, v152
	v_fma_f32 v181, v183, v152, -v9
	s_waitcnt vmcnt(40) lgkmcnt(1)
	v_mul_f32_e32 v182, v2, v156
	v_mul_f32_e32 v6, v3, v156
	s_waitcnt vmcnt(39)
	v_mul_f32_e32 v156, v4, v154
	v_mul_f32_e32 v9, v5, v154
	v_fmac_f32_e32 v182, v3, v139
	v_fma_f32 v139, v2, v139, -v6
	s_waitcnt vmcnt(35)
	v_fmac_f32_e32 v156, v5, v165
	v_fma_f32 v165, v4, v165, -v9
	ds_read2_b64 v[2:5], v1 offset0:83 offset1:84
	s_waitcnt vmcnt(34) lgkmcnt(1)
	v_mul_f32_e32 v183, v166, v163
	v_mul_f32_e32 v6, v167, v163
	s_waitcnt vmcnt(33)
	v_mul_f32_e32 v184, v168, v161
	v_mul_f32_e32 v9, v169, v161
	ds_read2_b64 v[160:163], v1 offset0:85 offset1:86
	v_fmac_f32_e32 v183, v167, v150
	v_fma_f32 v150, v166, v150, -v6
	v_fmac_f32_e32 v184, v169, v145
	v_fma_f32 v145, v168, v145, -v9
	;; [unrolled: 23-line block ×3, first 2 shown]
	s_waitcnt vmcnt(24) lgkmcnt(1)
	v_mul_f32_e32 v160, v2, v142
	v_mul_f32_e32 v6, v3, v142
	s_waitcnt vmcnt(23)
	v_mul_f32_e32 v142, v4, v141
	v_mul_f32_e32 v9, v5, v141
	v_fmac_f32_e32 v160, v3, v8
	v_fma_f32 v141, v2, v8, -v6
	s_waitcnt vmcnt(19)
	v_fmac_f32_e32 v142, v5, v151
	v_fma_f32 v151, v4, v151, -v9
	ds_read2_b64 v[2:5], v1 offset0:91 offset1:92
	s_waitcnt vmcnt(18) lgkmcnt(1)
	v_mul_f32_e32 v161, v152, v148
	v_mul_f32_e32 v6, v153, v148
	s_waitcnt vmcnt(17)
	v_mul_f32_e32 v148, v154, v146
	v_mul_f32_e32 v8, v155, v146
	v_fmac_f32_e32 v161, v153, v138
	v_fma_f32 v138, v152, v138, -v6
	v_fmac_f32_e32 v148, v155, v12
	v_fma_f32 v12, v154, v12, -v8
	ds_read2_b64 v[8:11], v1 offset0:93 offset1:94
	s_waitcnt vmcnt(16) lgkmcnt(1)
	v_mul_f32_e32 v146, v2, v137
	v_mul_f32_e32 v6, v3, v137
	s_waitcnt vmcnt(15)
	v_mul_f32_e32 v137, v4, v136
	v_mul_f32_e32 v136, v5, v136
	v_fmac_f32_e32 v146, v3, v7
	v_fma_f32 v152, v2, v7, -v6
	s_waitcnt vmcnt(11)
	v_fmac_f32_e32 v137, v5, v180
	v_fma_f32 v136, v4, v180, -v136
	ds_read2_b64 v[2:5], v1 offset0:95 offset1:96
	s_waitcnt vmcnt(10) lgkmcnt(1)
	v_mul_f32_e32 v153, v8, v179
	v_mul_f32_e32 v6, v9, v179
	s_waitcnt vmcnt(9)
	v_mul_f32_e32 v7, v11, v178
	v_mul_f32_e32 v154, v10, v178
	buffer_load_dword v178, off, s[0:3], 0 offset:308
	v_fmac_f32_e32 v153, v9, v177
	v_fma_f32 v155, v8, v177, -v6
	v_fma_f32 v10, v10, v174, -v7
	ds_read2_b64 v[6:9], v1 offset0:97 offset1:98
	v_fmac_f32_e32 v154, v11, v174
	buffer_load_dword v11, off, s[0:3], 0 offset:300
	s_waitcnt vmcnt(10) lgkmcnt(1)
	v_mul_f32_e32 v162, v2, v176
	v_mul_f32_e32 v163, v3, v176
	s_waitcnt vmcnt(9)
	v_mul_f32_e32 v169, v4, v175
	v_mul_f32_e32 v174, v5, v175
	v_fmac_f32_e32 v162, v3, v173
	v_fma_f32 v163, v2, v173, -v163
	s_waitcnt vmcnt(5)
	v_fmac_f32_e32 v169, v5, v191
	v_fma_f32 v173, v4, v191, -v174
	ds_read2_b64 v[2:5], v1 offset0:99 offset1:100
	s_waitcnt vmcnt(4) lgkmcnt(1)
	v_mul_f32_e32 v174, v6, v192
	v_mul_f32_e32 v175, v7, v192
	s_waitcnt vmcnt(3)
	v_mul_f32_e32 v176, v8, v193
	v_mul_f32_e32 v177, v9, v193
	v_fmac_f32_e32 v174, v7, v190
	v_fma_f32 v175, v6, v190, -v175
	v_fmac_f32_e32 v176, v9, v189
	v_fma_f32 v177, v8, v189, -v177
	s_clause 0x4
	buffer_load_dword v179, off, s[0:3], 0 offset:328
	buffer_load_dword v180, off, s[0:3], 0 offset:320
	;; [unrolled: 1-line block ×5, first 2 shown]
	v_add_f32_e32 v7, 0, v194
	v_add_f32_e32 v6, 0, v197
	s_clause 0x1
	buffer_load_dword v192, off, s[0:3], 0 offset:324
	buffer_load_dword v193, off, s[0:3], 0 offset:332
	v_add_f32_e32 v7, v7, v195
	v_add_f32_e32 v6, v6, v198
	;; [unrolled: 1-line block ×4, first 2 shown]
	s_clause 0x1
	buffer_load_dword v185, off, s[0:3], 0 offset:340
	buffer_load_dword v194, off, s[0:3], 0 offset:348
	v_add_f32_e32 v7, v7, v200
	v_add_f32_e32 v6, v6, v171
	;; [unrolled: 1-line block ×4, first 2 shown]
	s_clause 0x3
	buffer_load_dword v164, off, s[0:3], 0 offset:360
	buffer_load_dword v171, off, s[0:3], 0 offset:352
	;; [unrolled: 1-line block ×4, first 2 shown]
	v_add_f32_e32 v7, v7, v170
	v_add_f32_e32 v6, v6, v157
	s_clause 0x2
	buffer_load_dword v157, off, s[0:3], 0 offset:356
	buffer_load_dword v170, off, s[0:3], 0 offset:364
	;; [unrolled: 1-line block ×3, first 2 shown]
	v_add_f32_e32 v7, v7, v187
	v_add_f32_e32 v6, v6, v143
	;; [unrolled: 1-line block ×6, first 2 shown]
	s_clause 0x4
	buffer_load_dword v158, off, s[0:3], 0 offset:392
	buffer_load_dword v187, off, s[0:3], 0 offset:384
	;; [unrolled: 1-line block ×5, first 2 shown]
	v_add_f32_e32 v7, v7, v203
	v_add_f32_e32 v6, v6, v181
	buffer_load_dword v181, off, s[0:3], 0 offset:380
	v_add_f32_e32 v7, v7, v182
	v_add_f32_e32 v6, v6, v139
	buffer_load_dword v182, off, s[0:3], 0 offset:396
	v_add_f32_e32 v7, v7, v156
	v_add_f32_e32 v6, v6, v165
	s_clause 0x4
	buffer_load_dword v165, off, s[0:3], 0 offset:404
	buffer_load_dword v200, off, s[0:3], 0 offset:412
	;; [unrolled: 1-line block ×5, first 2 shown]
	v_add_f32_e32 v7, v7, v183
	v_add_f32_e32 v6, v6, v150
	s_clause 0x3
	buffer_load_dword v183, off, s[0:3], 0 offset:444
	buffer_load_dword v203, off, s[0:3], 0 offset:452
	;; [unrolled: 1-line block ×4, first 2 shown]
	v_add_f32_e32 v7, v7, v184
	v_add_f32_e32 v6, v6, v145
	buffer_load_dword v184, off, s[0:3], 0 offset:468
	v_add_f32_e32 v7, v7, v166
	v_add_f32_e32 v6, v6, v147
	buffer_load_dword v166, off, s[0:3], 0 offset:484
	v_add_f32_e32 v7, v7, v149
	v_add_f32_e32 v6, v6, v159
	;; [unrolled: 1-line block ×3, first 2 shown]
	s_clause 0x3
	buffer_load_dword v159, off, s[0:3], 0 offset:424
	buffer_load_dword v167, off, s[0:3], 0 offset:416
	buffer_load_dword v206, off, s[0:3], 0 offset:408
	buffer_load_dword v207, off, s[0:3], 0 offset:400
	v_add_f32_e32 v6, v6, v144
	v_add_f32_e32 v7, v7, v168
	;; [unrolled: 1-line block ×4, first 2 shown]
	s_clause 0x6
	buffer_load_dword v160, off, s[0:3], 0 offset:456
	buffer_load_dword v168, off, s[0:3], 0 offset:448
	;; [unrolled: 1-line block ×7, first 2 shown]
	v_add_f32_e32 v6, v6, v141
	v_add_f32_e32 v7, v7, v142
	;; [unrolled: 1-line block ×4, first 2 shown]
	buffer_load_dword v161, off, s[0:3], 0 offset:48
	v_add_f32_e32 v6, v6, v138
	v_add_f32_e32 v7, v7, v148
	;; [unrolled: 1-line block ×3, first 2 shown]
	s_waitcnt vmcnt(46) lgkmcnt(0)
	v_mul_f32_e32 v12, v2, v11
	v_mul_f32_e32 v8, v3, v11
	v_fmac_f32_e32 v12, v3, v172
	v_fma_f32 v11, v2, v172, -v8
	v_add_f32_e32 v2, v6, v152
	v_add_f32_e32 v3, v7, v146
	ds_read2_b64 v[6:9], v1 offset0:101 offset1:102
	v_mul_f32_e32 v152, v4, v178
	v_add_f32_e32 v136, v2, v136
	v_mul_f32_e32 v2, v5, v178
	v_add_f32_e32 v137, v3, v137
	v_add_f32_e32 v140, v136, v155
	;; [unrolled: 1-line block ×3, first 2 shown]
	ds_read2_b64 v[136:139], v1 offset0:105 offset1:106
	v_add_f32_e32 v10, v140, v10
	v_add_f32_e32 v141, v141, v154
	s_waitcnt vmcnt(42)
	v_fmac_f32_e32 v152, v5, v190
	v_fma_f32 v172, v4, v190, -v2
	ds_read2_b64 v[2:5], v1 offset0:103 offset1:104
	s_waitcnt vmcnt(41) lgkmcnt(2)
	v_mul_f32_e32 v140, v7, v191
	v_mul_f32_e32 v153, v6, v191
	v_add_f32_e32 v10, v10, v163
	s_waitcnt vmcnt(40)
	v_mul_f32_e32 v144, v9, v192
	v_fma_f32 v154, v6, v189, -v140
	v_add_f32_e32 v6, v141, v162
	v_fmac_f32_e32 v153, v7, v189
	v_add_f32_e32 v7, v10, v173
	v_mul_f32_e32 v10, v8, v192
	ds_read2_b64 v[140:143], v1 offset0:107 offset1:108
	v_add_f32_e32 v6, v6, v169
	v_fma_f32 v155, v8, v180, -v144
	v_add_f32_e32 v7, v7, v175
	v_fmac_f32_e32 v10, v9, v180
	s_waitcnt vmcnt(37) lgkmcnt(2)
	v_mul_f32_e32 v149, v137, v194
	v_add_f32_e32 v6, v6, v174
	v_mul_f32_e32 v169, v136, v194
	s_waitcnt lgkmcnt(1)
	v_mul_f32_e32 v145, v3, v193
	v_mul_f32_e32 v162, v2, v193
	;; [unrolled: 1-line block ×4, first 2 shown]
	s_waitcnt vmcnt(34)
	v_fma_f32 v175, v136, v195, -v149
	v_fma_f32 v173, v2, v179, -v145
	v_add_f32_e32 v2, v7, v177
	v_fmac_f32_e32 v162, v3, v179
	v_add_f32_e32 v3, v6, v176
	s_waitcnt vmcnt(33)
	v_fma_f32 v174, v4, v197, -v148
	ds_read2_b64 v[6:9], v1 offset0:109 offset1:110
	ds_read2_b64 v[144:147], v1 offset0:111 offset1:112
	v_add_f32_e32 v11, v2, v11
	v_fmac_f32_e32 v163, v5, v197
	v_add_f32_e32 v12, v3, v12
	s_waitcnt vmcnt(32)
	v_mul_f32_e32 v136, v139, v157
	v_fmac_f32_e32 v169, v137, v195
	v_add_f32_e32 v11, v11, v172
	v_mul_f32_e32 v172, v138, v157
	v_add_f32_e32 v12, v12, v152
	s_waitcnt vmcnt(31) lgkmcnt(2)
	v_mul_f32_e32 v157, v140, v170
	v_mul_f32_e32 v137, v141, v170
	v_add_f32_e32 v11, v11, v154
	v_fmac_f32_e32 v172, v139, v171
	v_add_f32_e32 v12, v12, v153
	v_fma_f32 v171, v138, v171, -v136
	s_waitcnt vmcnt(30)
	v_mul_f32_e32 v170, v143, v186
	v_add_f32_e32 v11, v11, v155
	v_fmac_f32_e32 v157, v141, v164
	v_add_f32_e32 v10, v12, v10
	v_fma_f32 v164, v140, v164, -v137
	v_mul_f32_e32 v176, v142, v186
	v_add_f32_e32 v11, v11, v173
	s_waitcnt vmcnt(26)
	v_fma_f32 v170, v142, v198, -v170
	v_add_f32_e32 v10, v10, v162
	s_waitcnt vmcnt(24) lgkmcnt(1)
	v_mul_f32_e32 v12, v7, v181
	ds_read2_b64 v[2:5], v1 offset0:113 offset1:114
	ds_read2_b64 v[148:151], v1 offset0:115 offset1:116
	v_add_f32_e32 v11, v11, v174
	ds_read2_b64 v[136:139], v1 offset0:117 offset1:118
	ds_read2_b64 v[152:155], v1 offset0:119 offset1:120
	v_add_f32_e32 v10, v10, v163
	v_fmac_f32_e32 v176, v143, v198
	ds_read2_b64 v[140:143], v1 offset0:121 offset1:122
	v_add_f32_e32 v11, v11, v175
	v_mul_f32_e32 v1, v6, v181
	v_add_f32_e32 v10, v10, v169
	v_mul_f32_e32 v173, v9, v199
	v_fma_f32 v6, v6, v188, -v12
	v_add_f32_e32 v11, v11, v171
	v_mul_f32_e32 v162, v8, v199
	v_add_f32_e32 v10, v10, v172
	v_fmac_f32_e32 v1, v7, v188
	s_waitcnt vmcnt(23) lgkmcnt(5)
	v_mul_f32_e32 v12, v145, v182
	v_add_f32_e32 v11, v11, v164
	v_fma_f32 v8, v8, v187, -v173
	v_add_f32_e32 v10, v10, v157
	v_mul_f32_e32 v174, v144, v182
	v_fmac_f32_e32 v162, v9, v187
	v_add_f32_e32 v11, v11, v170
	s_waitcnt vmcnt(22)
	v_mul_f32_e32 v9, v147, v165
	v_add_f32_e32 v10, v10, v176
	v_mul_f32_e32 v163, v146, v165
	v_fmac_f32_e32 v174, v145, v158
	v_add_f32_e32 v6, v11, v6
	s_waitcnt vmcnt(21) lgkmcnt(4)
	v_mul_f32_e32 v177, v2, v200
	v_add_f32_e32 v1, v10, v1
	v_fma_f32 v10, v144, v158, -v12
	s_waitcnt vmcnt(8)
	v_fma_f32 v9, v146, v207, -v9
	v_add_f32_e32 v6, v6, v8
	v_mul_f32_e32 v8, v3, v200
	v_add_f32_e32 v1, v1, v162
	v_fmac_f32_e32 v163, v147, v207
	v_fmac_f32_e32 v177, v3, v206
	v_add_f32_e32 v6, v6, v10
	v_mul_f32_e32 v10, v5, v156
	v_add_f32_e32 v1, v1, v174
	v_fma_f32 v2, v2, v206, -v8
	v_mul_f32_e32 v175, v4, v156
	v_add_f32_e32 v3, v6, v9
	s_waitcnt lgkmcnt(3)
	v_mul_f32_e32 v6, v149, v201
	v_add_f32_e32 v1, v1, v163
	v_fma_f32 v4, v4, v167, -v10
	v_mul_f32_e32 v169, v148, v201
	v_add_f32_e32 v2, v3, v2
	v_fmac_f32_e32 v175, v5, v167
	v_add_f32_e32 v1, v1, v177
	v_mul_f32_e32 v3, v151, v202
	v_fma_f32 v5, v148, v159, -v6
	v_add_f32_e32 v2, v2, v4
	v_mul_f32_e32 v178, v150, v202
	v_fmac_f32_e32 v169, v149, v159
	v_add_f32_e32 v1, v1, v175
	s_waitcnt lgkmcnt(2)
	v_mul_f32_e32 v4, v137, v183
	s_waitcnt vmcnt(4)
	v_fma_f32 v3, v150, v209, -v3
	v_add_f32_e32 v2, v2, v5
	v_mul_f32_e32 v171, v136, v183
	v_fmac_f32_e32 v178, v151, v209
	v_add_f32_e32 v1, v1, v169
	v_mul_f32_e32 v5, v139, v203
	v_fma_f32 v4, v136, v208, -v4
	v_add_f32_e32 v2, v2, v3
	v_mul_f32_e32 v172, v138, v203
	v_fmac_f32_e32 v171, v137, v208
	v_add_f32_e32 v1, v1, v178
	s_waitcnt lgkmcnt(1)
	v_mul_f32_e32 v3, v153, v204
	v_fma_f32 v5, v138, v168, -v5
	v_add_f32_e32 v2, v2, v4
	v_mul_f32_e32 v179, v152, v204
	v_fmac_f32_e32 v172, v139, v168
	v_add_f32_e32 v1, v1, v171
	v_mul_f32_e32 v4, v155, v184
	v_fma_f32 v3, v152, v160, -v3
	v_add_f32_e32 v2, v2, v5
	v_mul_f32_e32 v164, v154, v184
	v_fmac_f32_e32 v179, v153, v160
	v_add_f32_e32 v1, v1, v172
	s_waitcnt lgkmcnt(0)
	v_mul_f32_e32 v5, v141, v205
	s_waitcnt vmcnt(1)
	v_fma_f32 v4, v154, v212, -v4
	v_add_f32_e32 v2, v2, v3
	v_mul_f32_e32 v157, v140, v205
	v_fmac_f32_e32 v164, v155, v212
	v_add_f32_e32 v1, v1, v179
	v_mul_f32_e32 v3, v143, v166
	v_fma_f32 v5, v140, v211, -v5
	v_add_f32_e32 v2, v2, v4
	v_mul_f32_e32 v7, v142, v166
	v_fmac_f32_e32 v157, v141, v211
	v_add_f32_e32 v1, v1, v164
	v_fma_f32 v3, v142, v210, -v3
	v_add_f32_e32 v2, v2, v5
	v_fmac_f32_e32 v7, v143, v210
	v_add_f32_e32 v1, v1, v157
	v_add_f32_e32 v2, v2, v3
	;; [unrolled: 1-line block ×3, first 2 shown]
	s_waitcnt vmcnt(0)
	v_sub_f32_e32 v2, v161, v2
	v_sub_f32_e32 v1, v196, v1
	buffer_store_dword v2, off, s[0:3], 0 offset:48
	buffer_store_dword v1, off, s[0:3], 0 offset:52
	v_cmpx_lt_u32_e32 5, v0
	s_cbranch_execz .LBB60_369
; %bb.368:
	s_clause 0x1
	buffer_load_dword v1, off, s[0:3], 0 offset:40
	buffer_load_dword v2, off, s[0:3], 0 offset:44
	v_mov_b32_e32 v3, 0
	buffer_store_dword v3, off, s[0:3], 0 offset:40
	buffer_store_dword v3, off, s[0:3], 0 offset:44
	s_waitcnt vmcnt(0)
	ds_write_b64 v135, v[1:2]
.LBB60_369:
	s_or_b32 exec_lo, exec_lo, s4
	s_waitcnt lgkmcnt(0)
	s_waitcnt_vscnt null, 0x0
	s_barrier
	buffer_gl0_inv
	s_clause 0x3c
	buffer_load_dword v2, off, s[0:3], 0 offset:52
	buffer_load_dword v3, off, s[0:3], 0 offset:60
	buffer_load_dword v4, off, s[0:3], 0 offset:68
	buffer_load_dword v5, off, s[0:3], 0 offset:76
	buffer_load_dword v6, off, s[0:3], 0 offset:64
	buffer_load_dword v7, off, s[0:3], 0 offset:56
	buffer_load_dword v8, off, s[0:3], 0 offset:48
	buffer_load_dword v136, off, s[0:3], 0 offset:96
	buffer_load_dword v141, off, s[0:3], 0 offset:88
	buffer_load_dword v145, off, s[0:3], 0 offset:80
	buffer_load_dword v166, off, s[0:3], 0 offset:72
	buffer_load_dword v163, off, s[0:3], 0 offset:84
	buffer_load_dword v161, off, s[0:3], 0 offset:92
	buffer_load_dword v158, off, s[0:3], 0 offset:100
	buffer_load_dword v156, off, s[0:3], 0 offset:108
	buffer_load_dword v142, off, s[0:3], 0 offset:128
	buffer_load_dword v148, off, s[0:3], 0 offset:120
	buffer_load_dword v151, off, s[0:3], 0 offset:112
	buffer_load_dword v171, off, s[0:3], 0 offset:104
	buffer_load_dword v170, off, s[0:3], 0 offset:116
	buffer_load_dword v169, off, s[0:3], 0 offset:124
	buffer_load_dword v167, off, s[0:3], 0 offset:132
	buffer_load_dword v165, off, s[0:3], 0 offset:140
	buffer_load_dword v137, off, s[0:3], 0 offset:160
	buffer_load_dword v143, off, s[0:3], 0 offset:152
	buffer_load_dword v146, off, s[0:3], 0 offset:144
	buffer_load_dword v168, off, s[0:3], 0 offset:136
	buffer_load_dword v164, off, s[0:3], 0 offset:148
	buffer_load_dword v162, off, s[0:3], 0 offset:156
	buffer_load_dword v159, off, s[0:3], 0 offset:164
	buffer_load_dword v157, off, s[0:3], 0 offset:172
	buffer_load_dword v10, off, s[0:3], 0 offset:192
	buffer_load_dword v138, off, s[0:3], 0 offset:184
	buffer_load_dword v140, off, s[0:3], 0 offset:176
	buffer_load_dword v160, off, s[0:3], 0 offset:168
	buffer_load_dword v155, off, s[0:3], 0 offset:180
	buffer_load_dword v154, off, s[0:3], 0 offset:188
	buffer_load_dword v152, off, s[0:3], 0 offset:196
	buffer_load_dword v150, off, s[0:3], 0 offset:204
	buffer_load_dword v9, off, s[0:3], 0 offset:224
	buffer_load_dword v11, off, s[0:3], 0 offset:216
	buffer_load_dword v139, off, s[0:3], 0 offset:208
	buffer_load_dword v153, off, s[0:3], 0 offset:200
	buffer_load_dword v149, off, s[0:3], 0 offset:212
	buffer_load_dword v147, off, s[0:3], 0 offset:220
	buffer_load_dword v144, off, s[0:3], 0 offset:228
	buffer_load_dword v12, off, s[0:3], 0 offset:236
	buffer_load_dword v172, off, s[0:3], 0 offset:256
	buffer_load_dword v176, off, s[0:3], 0 offset:248
	buffer_load_dword v177, off, s[0:3], 0 offset:240
	buffer_load_dword v180, off, s[0:3], 0 offset:232
	buffer_load_dword v179, off, s[0:3], 0 offset:244
	buffer_load_dword v178, off, s[0:3], 0 offset:252
	buffer_load_dword v174, off, s[0:3], 0 offset:260
	buffer_load_dword v173, off, s[0:3], 0 offset:268
	buffer_load_dword v175, off, s[0:3], 0 offset:288
	buffer_load_dword v181, off, s[0:3], 0 offset:280
	buffer_load_dword v192, off, s[0:3], 0 offset:272
	buffer_load_dword v193, off, s[0:3], 0 offset:264
	buffer_load_dword v194, off, s[0:3], 0 offset:276
	buffer_load_dword v183, off, s[0:3], 0 offset:284
	v_mov_b32_e32 v1, 0
	ds_read_b128 v[184:187], v1 offset:544
	ds_read_b128 v[188:191], v1 offset:560
	buffer_load_dword v182, off, s[0:3], 0 offset:44
	s_mov_b32 s4, exec_lo
	s_waitcnt vmcnt(61) lgkmcnt(1)
	v_mul_f32_e32 v195, v184, v2
	v_mul_f32_e32 v2, v185, v2
	s_waitcnt vmcnt(60)
	v_mul_f32_e32 v196, v186, v3
	v_mul_f32_e32 v3, v187, v3
	s_waitcnt vmcnt(59) lgkmcnt(0)
	v_mul_f32_e32 v197, v188, v4
	v_mul_f32_e32 v198, v189, v4
	s_waitcnt vmcnt(58)
	v_mul_f32_e32 v199, v190, v5
	v_mul_f32_e32 v200, v191, v5
	s_waitcnt vmcnt(55)
	v_fmac_f32_e32 v195, v185, v8
	v_fma_f32 v8, v184, v8, -v2
	v_fmac_f32_e32 v196, v187, v7
	v_fma_f32 v7, v186, v7, -v3
	ds_read_b128 v[2:5], v1 offset:576
	ds_read_b128 v[184:187], v1 offset:592
	v_fmac_f32_e32 v197, v189, v6
	v_fma_f32 v6, v188, v6, -v198
	s_waitcnt vmcnt(51)
	v_fma_f32 v188, v190, v166, -v200
	v_fmac_f32_e32 v199, v191, v166
	v_add_f32_e32 v8, 0, v8
	v_add_f32_e32 v7, v8, v7
	v_add_f32_e32 v6, v7, v6
	s_waitcnt vmcnt(50) lgkmcnt(1)
	v_mul_f32_e32 v189, v2, v163
	v_mul_f32_e32 v163, v3, v163
	s_waitcnt vmcnt(49)
	v_mul_f32_e32 v190, v4, v161
	v_mul_f32_e32 v161, v5, v161
	s_waitcnt vmcnt(48) lgkmcnt(0)
	v_mul_f32_e32 v191, v184, v158
	v_fmac_f32_e32 v189, v3, v145
	v_fma_f32 v145, v2, v145, -v163
	v_fmac_f32_e32 v190, v5, v141
	v_fma_f32 v161, v4, v141, -v161
	ds_read_b128 v[2:5], v1 offset:608
	v_mul_f32_e32 v158, v185, v158
	s_waitcnt vmcnt(47)
	v_mul_f32_e32 v198, v186, v156
	v_mul_f32_e32 v156, v187, v156
	v_fmac_f32_e32 v191, v185, v136
	v_fma_f32 v136, v184, v136, -v158
	s_waitcnt vmcnt(43)
	v_fmac_f32_e32 v198, v187, v171
	v_fma_f32 v163, v186, v171, -v156
	ds_read_b128 v[184:187], v1 offset:624
	s_waitcnt vmcnt(42) lgkmcnt(1)
	v_mul_f32_e32 v171, v2, v170
	v_mul_f32_e32 v141, v3, v170
	s_waitcnt vmcnt(41)
	v_mul_f32_e32 v170, v4, v169
	v_mul_f32_e32 v156, v5, v169
	v_fmac_f32_e32 v171, v3, v151
	v_fma_f32 v151, v2, v151, -v141
	v_fmac_f32_e32 v170, v5, v148
	v_fma_f32 v148, v4, v148, -v156
	ds_read_b128 v[2:5], v1 offset:640
	s_waitcnt vmcnt(40) lgkmcnt(1)
	v_mul_f32_e32 v169, v184, v167
	s_waitcnt vmcnt(39)
	v_mul_f32_e32 v200, v186, v165
	v_mul_f32_e32 v165, v187, v165
	;; [unrolled: 1-line block ×3, first 2 shown]
	v_fmac_f32_e32 v169, v185, v142
	s_waitcnt vmcnt(35)
	v_fmac_f32_e32 v200, v187, v168
	v_fma_f32 v185, v186, v168, -v165
	ds_read_b128 v[165:168], v1 offset:656
	v_fma_f32 v184, v184, v142, -v158
	s_waitcnt vmcnt(34) lgkmcnt(1)
	v_mul_f32_e32 v186, v2, v164
	v_mul_f32_e32 v141, v3, v164
	s_waitcnt vmcnt(33)
	v_mul_f32_e32 v164, v4, v162
	v_mul_f32_e32 v142, v5, v162
	v_fmac_f32_e32 v186, v3, v146
	v_fma_f32 v146, v2, v146, -v141
	v_fmac_f32_e32 v164, v5, v143
	v_fma_f32 v201, v4, v143, -v142
	ds_read_b128 v[2:5], v1 offset:672
	s_waitcnt vmcnt(32) lgkmcnt(1)
	v_mul_f32_e32 v162, v165, v159
	v_mul_f32_e32 v156, v166, v159
	s_waitcnt vmcnt(31)
	v_mul_f32_e32 v187, v167, v157
	v_mul_f32_e32 v157, v168, v157
	v_fmac_f32_e32 v162, v166, v137
	v_fma_f32 v137, v165, v137, -v156
	s_waitcnt vmcnt(27)
	v_fmac_f32_e32 v187, v168, v160
	v_fma_f32 v160, v167, v160, -v157
	ds_read_b128 v[156:159], v1 offset:688
	s_waitcnt vmcnt(26) lgkmcnt(1)
	v_mul_f32_e32 v165, v2, v155
	v_mul_f32_e32 v141, v3, v155
	s_waitcnt vmcnt(25)
	v_mul_f32_e32 v155, v4, v154
	v_mul_f32_e32 v142, v5, v154
	v_fmac_f32_e32 v165, v3, v140
	v_fma_f32 v166, v2, v140, -v141
	v_fmac_f32_e32 v155, v5, v138
	v_fma_f32 v138, v4, v138, -v142
	ds_read_b128 v[2:5], v1 offset:704
	s_waitcnt vmcnt(24) lgkmcnt(1)
	v_mul_f32_e32 v154, v156, v152
	v_mul_f32_e32 v143, v157, v152
	s_waitcnt vmcnt(23)
	v_mul_f32_e32 v152, v158, v150
	v_mul_f32_e32 v150, v159, v150
	v_fmac_f32_e32 v154, v157, v10
	v_fma_f32 v10, v156, v10, -v143
	ds_read_b128 v[140:143], v1 offset:720
	s_waitcnt vmcnt(19)
	v_fmac_f32_e32 v152, v159, v153
	v_fma_f32 v150, v158, v153, -v150
	buffer_load_dword v153, off, s[0:3], 0 offset:292
	s_waitcnt vmcnt(18) lgkmcnt(1)
	v_mul_f32_e32 v157, v4, v147
	v_mul_f32_e32 v147, v5, v147
	;; [unrolled: 1-line block ×4, first 2 shown]
	v_fmac_f32_e32 v157, v5, v11
	v_fma_f32 v11, v4, v11, -v147
	s_clause 0x4
	buffer_load_dword v147, off, s[0:3], 0 offset:300
	buffer_load_dword v159, off, s[0:3], 0 offset:320
	;; [unrolled: 1-line block ×5, first 2 shown]
	s_waitcnt vmcnt(22) lgkmcnt(0)
	v_mul_f32_e32 v158, v140, v144
	v_mul_f32_e32 v144, v141, v144
	v_fmac_f32_e32 v156, v3, v139
	v_fma_f32 v139, v2, v139, -v149
	s_waitcnt vmcnt(21)
	v_mul_f32_e32 v2, v143, v12
	v_mul_f32_e32 v149, v142, v12
	v_fmac_f32_e32 v158, v141, v9
	v_fma_f32 v12, v140, v9, -v144
	v_add_f32_e32 v9, 0, v195
	s_waitcnt vmcnt(17)
	v_fma_f32 v140, v142, v180, -v2
	ds_read_b128 v[2:5], v1 offset:736
	buffer_load_dword v141, off, s[0:3], 0 offset:308
	v_add_f32_e32 v142, v6, v188
	v_add_f32_e32 v8, v9, v196
	v_fmac_f32_e32 v149, v143, v180
	s_clause 0x2
	buffer_load_dword v144, off, s[0:3], 0 offset:316
	buffer_load_dword v180, off, s[0:3], 0 offset:324
	;; [unrolled: 1-line block ×3, first 2 shown]
	v_add_f32_e32 v142, v142, v145
	v_add_f32_e32 v7, v8, v197
	;; [unrolled: 1-line block ×4, first 2 shown]
	ds_read_b128 v[6:9], v1 offset:752
	buffer_load_dword v161, off, s[0:3], 0 offset:340
	v_add_f32_e32 v143, v143, v189
	s_waitcnt vmcnt(21) lgkmcnt(1)
	v_mul_f32_e32 v145, v2, v179
	v_mul_f32_e32 v179, v3, v179
	s_waitcnt vmcnt(20)
	v_mul_f32_e32 v189, v4, v178
	v_mul_f32_e32 v178, v5, v178
	v_fmac_f32_e32 v145, v3, v177
	v_fma_f32 v177, v2, v177, -v179
	v_add_f32_e32 v2, v143, v190
	v_fmac_f32_e32 v189, v5, v176
	v_fma_f32 v176, v4, v176, -v178
	s_clause 0x3
	buffer_load_dword v178, off, s[0:3], 0 offset:352
	buffer_load_dword v179, off, s[0:3], 0 offset:344
	;; [unrolled: 1-line block ×4, first 2 shown]
	v_add_f32_e32 v3, v142, v136
	v_add_f32_e32 v2, v2, v191
	s_waitcnt vmcnt(23) lgkmcnt(0)
	v_mul_f32_e32 v143, v6, v174
	v_add_f32_e32 v136, v3, v163
	s_clause 0x2
	buffer_load_dword v163, off, s[0:3], 0 offset:348
	buffer_load_dword v191, off, s[0:3], 0 offset:356
	;; [unrolled: 1-line block ×3, first 2 shown]
	v_add_f32_e32 v142, v2, v198
	ds_read_b128 v[2:5], v1 offset:768
	v_fmac_f32_e32 v143, v7, v172
	v_add_f32_e32 v136, v136, v151
	v_mul_f32_e32 v151, v7, v174
	v_add_f32_e32 v142, v142, v171
	s_waitcnt vmcnt(25)
	v_mul_f32_e32 v171, v8, v173
	v_mul_f32_e32 v173, v9, v173
	v_add_f32_e32 v7, v136, v148
	v_fma_f32 v148, v6, v172, -v151
	v_add_f32_e32 v6, v142, v170
	s_waitcnt vmcnt(21)
	v_fmac_f32_e32 v171, v9, v193
	v_fma_f32 v151, v8, v193, -v173
	v_add_f32_e32 v136, v7, v184
	s_clause 0x4
	buffer_load_dword v170, off, s[0:3], 0 offset:384
	buffer_load_dword v172, off, s[0:3], 0 offset:376
	;; [unrolled: 1-line block ×5, first 2 shown]
	v_add_f32_e32 v142, v6, v169
	ds_read_b128 v[6:9], v1 offset:784
	v_add_f32_e32 v136, v136, v185
	v_add_f32_e32 v142, v142, v200
	s_waitcnt vmcnt(25) lgkmcnt(1)
	v_mul_f32_e32 v185, v3, v194
	v_mul_f32_e32 v169, v2, v194
	v_add_f32_e32 v136, v136, v146
	s_clause 0x2
	buffer_load_dword v193, off, s[0:3], 0 offset:380
	buffer_load_dword v194, off, s[0:3], 0 offset:388
	buffer_load_dword v197, off, s[0:3], 0 offset:396
	v_fma_f32 v146, v2, v192, -v185
	v_add_f32_e32 v2, v142, v186
	v_fmac_f32_e32 v169, v3, v192
	v_add_f32_e32 v3, v136, v201
	s_waitcnt vmcnt(27)
	v_mul_f32_e32 v185, v4, v183
	s_clause 0x1
	buffer_load_dword v186, off, s[0:3], 0 offset:404
	buffer_load_dword v192, off, s[0:3], 0 offset:412
	v_add_f32_e32 v2, v2, v164
	v_mul_f32_e32 v136, v5, v183
	v_add_f32_e32 v3, v3, v137
	s_clause 0x2
	buffer_load_dword v164, off, s[0:3], 0 offset:420
	buffer_load_dword v183, off, s[0:3], 0 offset:428
	;; [unrolled: 1-line block ×3, first 2 shown]
	v_add_f32_e32 v2, v2, v162
	v_fmac_f32_e32 v185, v5, v181
	v_add_f32_e32 v3, v3, v160
	s_clause 0x2
	buffer_load_dword v160, off, s[0:3], 0 offset:444
	buffer_load_dword v162, off, s[0:3], 0 offset:452
	;; [unrolled: 1-line block ×3, first 2 shown]
	v_fma_f32 v181, v4, v181, -v136
	v_add_f32_e32 v2, v2, v187
	v_add_f32_e32 v3, v3, v166
	s_clause 0x2
	buffer_load_dword v166, off, s[0:3], 0 offset:468
	buffer_load_dword v187, off, s[0:3], 0 offset:476
	buffer_load_dword v200, off, s[0:3], 0 offset:484
	v_add_f32_e32 v2, v2, v165
	s_clause 0x7
	buffer_load_dword v165, off, s[0:3], 0 offset:416
	buffer_load_dword v201, off, s[0:3], 0 offset:408
	buffer_load_dword v203, off, s[0:3], 0 offset:400
	buffer_load_dword v204, off, s[0:3], 0 offset:392
	buffer_load_dword v205, off, s[0:3], 0 offset:448
	buffer_load_dword v206, off, s[0:3], 0 offset:440
	buffer_load_dword v207, off, s[0:3], 0 offset:432
	buffer_load_dword v208, off, s[0:3], 0 offset:424
	v_add_f32_e32 v3, v3, v138
	v_add_f32_e32 v2, v2, v155
	;; [unrolled: 1-line block ×8, first 2 shown]
	s_clause 0x3
	buffer_load_dword v156, off, s[0:3], 0 offset:480
	buffer_load_dword v209, off, s[0:3], 0 offset:472
	;; [unrolled: 1-line block ×4, first 2 shown]
	v_add_f32_e32 v3, v3, v11
	v_add_f32_e32 v2, v2, v157
	buffer_load_dword v157, off, s[0:3], 0 offset:40
	v_add_f32_e32 v3, v3, v12
	v_add_f32_e32 v2, v2, v158
	s_waitcnt vmcnt(49) lgkmcnt(0)
	v_mul_f32_e32 v10, v6, v153
	v_mul_f32_e32 v4, v7, v153
	v_fmac_f32_e32 v10, v7, v175
	v_fma_f32 v11, v6, v175, -v4
	v_add_f32_e32 v6, v3, v140
	v_add_f32_e32 v7, v2, v149
	ds_read_b128 v[2:5], v1 offset:800
	v_add_f32_e32 v12, v6, v177
	s_waitcnt vmcnt(48)
	v_mul_f32_e32 v149, v8, v147
	v_mul_f32_e32 v6, v9, v147
	v_add_f32_e32 v136, v7, v145
	v_add_f32_e32 v12, v12, v176
	s_waitcnt vmcnt(44)
	v_fmac_f32_e32 v149, v9, v202
	v_fma_f32 v150, v8, v202, -v6
	ds_read_b128 v[6:9], v1 offset:816
	v_add_f32_e32 v140, v136, v189
	v_add_f32_e32 v12, v12, v148
	ds_read_b128 v[136:139], v1 offset:832
	v_add_f32_e32 v140, v140, v143
	v_add_f32_e32 v12, v12, v151
	s_waitcnt vmcnt(43) lgkmcnt(2)
	v_mul_f32_e32 v152, v2, v141
	v_mul_f32_e32 v141, v3, v141
	v_fmac_f32_e32 v152, v3, v168
	v_fma_f32 v153, v2, v168, -v141
	v_add_f32_e32 v2, v140, v171
	v_add_f32_e32 v3, v12, v146
	ds_read_b128 v[140:143], v1 offset:848
	s_waitcnt vmcnt(42)
	v_mul_f32_e32 v12, v4, v144
	s_waitcnt vmcnt(41) lgkmcnt(2)
	v_mul_f32_e32 v145, v7, v180
	v_add_f32_e32 v2, v2, v169
	v_add_f32_e32 v3, v3, v181
	v_mul_f32_e32 v158, v6, v180
	v_mul_f32_e32 v144, v5, v144
	v_fma_f32 v155, v6, v159, -v145
	v_add_f32_e32 v2, v2, v185
	v_add_f32_e32 v6, v3, v11
	v_fmac_f32_e32 v158, v7, v159
	s_waitcnt vmcnt(39) lgkmcnt(1)
	v_mul_f32_e32 v169, v136, v161
	v_fma_f32 v154, v4, v167, -v144
	v_add_f32_e32 v7, v2, v10
	v_mul_f32_e32 v10, v137, v161
	v_add_f32_e32 v11, v6, v150
	v_fmac_f32_e32 v12, v5, v167
	v_mul_f32_e32 v148, v9, v188
	v_mul_f32_e32 v168, v8, v188
	s_waitcnt vmcnt(36)
	v_fma_f32 v161, v136, v190, -v10
	v_add_f32_e32 v10, v7, v149
	v_add_f32_e32 v11, v11, v153
	s_waitcnt vmcnt(35)
	v_fma_f32 v159, v8, v195, -v148
	ds_read_b128 v[2:5], v1 offset:864
	ds_read_b128 v[144:147], v1 offset:880
	v_fmac_f32_e32 v168, v9, v195
	v_add_f32_e32 v10, v10, v152
	v_add_f32_e32 v11, v11, v154
	s_waitcnt vmcnt(34)
	v_mul_f32_e32 v136, v139, v163
	v_fmac_f32_e32 v169, v137, v190
	v_mul_f32_e32 v167, v138, v163
	v_add_f32_e32 v10, v10, v12
	v_add_f32_e32 v12, v11, v155
	s_waitcnt vmcnt(33) lgkmcnt(2)
	v_mul_f32_e32 v137, v141, v191
	v_fma_f32 v176, v138, v179, -v136
	v_mul_f32_e32 v163, v140, v191
	v_add_f32_e32 v158, v10, v158
	v_add_f32_e32 v12, v12, v159
	v_fmac_f32_e32 v167, v139, v179
	s_waitcnt vmcnt(32)
	v_mul_f32_e32 v171, v142, v196
	v_mul_f32_e32 v175, v143, v196
	v_add_f32_e32 v158, v158, v168
	v_add_f32_e32 v12, v12, v161
	v_fma_f32 v177, v140, v178, -v137
	v_fmac_f32_e32 v163, v141, v178
	s_waitcnt vmcnt(28)
	v_fmac_f32_e32 v171, v143, v174
	v_add_f32_e32 v158, v158, v169
	v_add_f32_e32 v12, v12, v176
	v_fma_f32 v174, v142, v174, -v175
	s_waitcnt vmcnt(27) lgkmcnt(1)
	v_mul_f32_e32 v175, v3, v184
	ds_read_b128 v[6:9], v1 offset:896
	ds_read_b128 v[148:151], v1 offset:912
	v_add_f32_e32 v158, v158, v167
	v_add_f32_e32 v12, v12, v177
	v_mul_f32_e32 v159, v2, v184
	s_waitcnt vmcnt(26)
	v_mul_f32_e32 v178, v5, v193
	v_fma_f32 v2, v2, v173, -v175
	v_add_f32_e32 v158, v158, v163
	v_add_f32_e32 v12, v12, v174
	v_mul_f32_e32 v168, v4, v193
	v_fmac_f32_e32 v159, v3, v173
	s_waitcnt vmcnt(25) lgkmcnt(2)
	v_mul_f32_e32 v175, v145, v194
	v_add_f32_e32 v158, v158, v171
	v_fma_f32 v4, v4, v172, -v178
	v_add_f32_e32 v2, v12, v2
	v_mul_f32_e32 v161, v144, v194
	v_fmac_f32_e32 v168, v5, v172
	v_add_f32_e32 v12, v158, v159
	s_waitcnt vmcnt(24)
	v_mul_f32_e32 v171, v147, v197
	v_fma_f32 v144, v144, v170, -v175
	v_add_f32_e32 v2, v2, v4
	v_mul_f32_e32 v169, v146, v197
	v_fmac_f32_e32 v161, v145, v170
	v_add_f32_e32 v4, v12, v168
	s_waitcnt vmcnt(23) lgkmcnt(1)
	v_mul_f32_e32 v12, v7, v186
	v_add_f32_e32 v2, v2, v144
	ds_read_b128 v[136:139], v1 offset:928
	ds_read_b128 v[152:155], v1 offset:944
	s_waitcnt vmcnt(9)
	v_fma_f32 v145, v146, v204, -v171
	v_mul_f32_e32 v3, v6, v186
	v_fmac_f32_e32 v169, v147, v204
	v_add_f32_e32 v4, v4, v161
	v_mul_f32_e32 v144, v9, v192
	v_fma_f32 v6, v6, v203, -v12
	v_add_f32_e32 v2, v2, v145
	v_mul_f32_e32 v173, v8, v192
	v_fmac_f32_e32 v3, v7, v203
	v_add_f32_e32 v4, v4, v169
	s_waitcnt lgkmcnt(2)
	v_mul_f32_e32 v7, v149, v164
	v_fma_f32 v8, v8, v201, -v144
	v_add_f32_e32 v2, v2, v6
	v_mul_f32_e32 v167, v148, v164
	v_fmac_f32_e32 v173, v9, v201
	v_add_f32_e32 v3, v4, v3
	v_mul_f32_e32 v4, v151, v183
	v_fma_f32 v6, v148, v165, -v7
	v_add_f32_e32 v2, v2, v8
	v_mul_f32_e32 v5, v150, v183
	v_fmac_f32_e32 v167, v149, v165
	v_add_f32_e32 v3, v3, v173
	s_waitcnt lgkmcnt(1)
	v_mul_f32_e32 v7, v137, v198
	s_waitcnt vmcnt(5)
	v_fma_f32 v4, v150, v208, -v4
	v_add_f32_e32 v2, v2, v6
	ds_read_b128 v[140:143], v1 offset:960
	ds_read_b64 v[10:11], v1 offset:976
	v_mul_f32_e32 v172, v136, v198
	v_fmac_f32_e32 v5, v151, v208
	v_add_f32_e32 v3, v3, v167
	v_mul_f32_e32 v6, v139, v160
	v_fma_f32 v7, v136, v207, -v7
	v_add_f32_e32 v2, v2, v4
	v_mul_f32_e32 v163, v138, v160
	v_fmac_f32_e32 v172, v137, v207
	v_add_f32_e32 v3, v3, v5
	s_waitcnt lgkmcnt(2)
	v_mul_f32_e32 v4, v153, v162
	v_fma_f32 v5, v138, v206, -v6
	v_add_f32_e32 v2, v2, v7
	v_mul_f32_e32 v176, v152, v162
	v_fmac_f32_e32 v163, v139, v206
	v_add_f32_e32 v3, v3, v172
	v_mul_f32_e32 v6, v155, v199
	v_fma_f32 v4, v152, v205, -v4
	v_add_f32_e32 v2, v2, v5
	v_mul_f32_e32 v177, v154, v199
	v_fmac_f32_e32 v176, v153, v205
	v_add_f32_e32 v3, v3, v163
	s_waitcnt lgkmcnt(1)
	v_mul_f32_e32 v5, v141, v166
	s_waitcnt vmcnt(1)
	v_fma_f32 v6, v154, v211, -v6
	v_add_f32_e32 v2, v2, v4
	v_mul_f32_e32 v174, v140, v166
	v_fmac_f32_e32 v177, v155, v211
	v_add_f32_e32 v3, v3, v176
	v_mul_f32_e32 v4, v143, v187
	v_fma_f32 v5, v140, v210, -v5
	v_add_f32_e32 v2, v2, v6
	v_mul_f32_e32 v178, v142, v187
	v_fmac_f32_e32 v174, v141, v210
	v_add_f32_e32 v3, v3, v177
	s_waitcnt lgkmcnt(0)
	v_mul_f32_e32 v6, v11, v200
	v_fma_f32 v4, v142, v209, -v4
	v_add_f32_e32 v2, v2, v5
	v_mul_f32_e32 v158, v10, v200
	v_fmac_f32_e32 v178, v143, v209
	v_add_f32_e32 v3, v3, v174
	v_fma_f32 v5, v10, v156, -v6
	v_add_f32_e32 v2, v2, v4
	v_fmac_f32_e32 v158, v11, v156
	v_add_f32_e32 v3, v3, v178
	v_add_f32_e32 v2, v2, v5
	;; [unrolled: 1-line block ×3, first 2 shown]
	s_waitcnt vmcnt(0)
	v_sub_f32_e32 v2, v157, v2
	v_sub_f32_e32 v3, v182, v3
	buffer_store_dword v2, off, s[0:3], 0 offset:40
	buffer_store_dword v3, off, s[0:3], 0 offset:44
	v_cmpx_lt_u32_e32 4, v0
	s_cbranch_execz .LBB60_371
; %bb.370:
	s_clause 0x1
	buffer_load_dword v2, off, s[0:3], 0 offset:32
	buffer_load_dword v3, off, s[0:3], 0 offset:36
	buffer_store_dword v1, off, s[0:3], 0 offset:32
	buffer_store_dword v1, off, s[0:3], 0 offset:36
	s_waitcnt vmcnt(0)
	ds_write_b64 v135, v[2:3]
.LBB60_371:
	s_or_b32 exec_lo, exec_lo, s4
	s_waitcnt lgkmcnt(0)
	s_waitcnt_vscnt null, 0x0
	s_barrier
	buffer_gl0_inv
	s_clause 0x34
	buffer_load_dword v171, off, s[0:3], 0 offset:44
	buffer_load_dword v172, off, s[0:3], 0 offset:52
	;; [unrolled: 1-line block ×53, first 2 shown]
	ds_read2_b64 v[179:182], v1 offset0:67 offset1:68
	ds_read2_b64 v[183:186], v1 offset0:69 offset1:70
	;; [unrolled: 1-line block ×4, first 2 shown]
	s_mov_b32 s4, exec_lo
	s_waitcnt vmcnt(52) lgkmcnt(3)
	v_mul_f32_e32 v174, v179, v171
	v_mul_f32_e32 v195, v180, v171
	s_waitcnt vmcnt(51)
	v_mul_f32_e32 v171, v181, v172
	v_mul_f32_e32 v196, v182, v172
	buffer_load_dword v172, off, s[0:3], 0 offset:36
	s_waitcnt vmcnt(49)
	v_fmac_f32_e32 v174, v180, v6
	v_fma_f32 v195, v179, v6, -v195
	v_fmac_f32_e32 v171, v182, v5
	v_fma_f32 v196, v181, v5, -v196
	ds_read2_b64 v[179:182], v1 offset0:75 offset1:76
	s_waitcnt vmcnt(48) lgkmcnt(3)
	v_mul_f32_e32 v197, v183, v4
	v_mul_f32_e32 v4, v184, v4
	s_waitcnt vmcnt(47)
	v_mul_f32_e32 v198, v185, v3
	v_mul_f32_e32 v3, v186, v3
	s_waitcnt vmcnt(46) lgkmcnt(2)
	v_mul_f32_e32 v199, v187, v8
	v_fmac_f32_e32 v197, v184, v2
	v_fma_f32 v201, v183, v2, -v4
	s_waitcnt vmcnt(41)
	v_fmac_f32_e32 v198, v186, v137
	v_fma_f32 v137, v185, v137, -v3
	ds_read2_b64 v[2:5], v1 offset0:77 offset1:78
	ds_read2_b64 v[183:186], v1 offset0:79 offset1:80
	v_mul_f32_e32 v6, v188, v8
	v_mul_f32_e32 v200, v189, v7
	v_mul_f32_e32 v7, v190, v7
	v_fmac_f32_e32 v199, v188, v136
	v_fma_f32 v136, v187, v136, -v6
	v_fmac_f32_e32 v200, v190, v11
	v_fma_f32 v11, v189, v11, -v7
	s_waitcnt vmcnt(40) lgkmcnt(3)
	v_mul_f32_e32 v187, v191, v12
	v_mul_f32_e32 v6, v192, v12
	s_waitcnt vmcnt(39)
	v_mul_f32_e32 v12, v193, v10
	v_mul_f32_e32 v7, v194, v10
	s_waitcnt vmcnt(34) lgkmcnt(2)
	v_mul_f32_e32 v189, v179, v168
	v_fmac_f32_e32 v187, v192, v9
	v_fma_f32 v188, v191, v9, -v6
	v_fmac_f32_e32 v12, v194, v169
	v_fma_f32 v169, v193, v169, -v7
	ds_read2_b64 v[6:9], v1 offset0:81 offset1:82
	v_mul_f32_e32 v168, v180, v168
	s_waitcnt vmcnt(33)
	v_mul_f32_e32 v190, v181, v167
	v_mul_f32_e32 v167, v182, v167
	s_waitcnt vmcnt(32) lgkmcnt(2)
	v_mul_f32_e32 v191, v2, v166
	v_mul_f32_e32 v166, v3, v166
	v_fmac_f32_e32 v189, v180, v161
	v_fma_f32 v168, v179, v161, -v168
	s_waitcnt vmcnt(31)
	v_mul_f32_e32 v179, v4, v165
	v_mul_f32_e32 v161, v5, v165
	v_fmac_f32_e32 v190, v182, v157
	v_fma_f32 v157, v181, v157, -v167
	s_waitcnt vmcnt(30) lgkmcnt(1)
	v_mul_f32_e32 v165, v183, v162
	v_mul_f32_e32 v167, v184, v162
	s_waitcnt vmcnt(29)
	v_mul_f32_e32 v180, v185, v163
	v_mul_f32_e32 v181, v186, v163
	buffer_load_dword v10, off, s[0:3], 0 offset:252
	v_fmac_f32_e32 v191, v3, v147
	v_fma_f32 v147, v2, v147, -v166
	s_waitcnt vmcnt(26)
	v_fmac_f32_e32 v179, v5, v164
	v_fma_f32 v166, v4, v164, -v161
	ds_read2_b64 v[2:5], v1 offset0:83 offset1:84
	ds_read2_b64 v[161:164], v1 offset0:85 offset1:86
	v_fmac_f32_e32 v165, v184, v160
	v_fma_f32 v160, v183, v160, -v167
	v_fmac_f32_e32 v180, v186, v158
	v_fma_f32 v158, v185, v158, -v181
	s_clause 0x4
	buffer_load_dword v167, off, s[0:3], 0 offset:260
	buffer_load_dword v181, off, s[0:3], 0 offset:280
	;; [unrolled: 1-line block ×5, first 2 shown]
	s_waitcnt vmcnt(30) lgkmcnt(2)
	v_mul_f32_e32 v185, v6, v153
	v_mul_f32_e32 v153, v7, v153
	s_waitcnt vmcnt(29)
	v_mul_f32_e32 v186, v8, v151
	v_mul_f32_e32 v151, v9, v151
	v_fmac_f32_e32 v185, v7, v143
	v_fma_f32 v143, v6, v143, -v153
	s_waitcnt vmcnt(25)
	v_fmac_f32_e32 v186, v9, v159
	v_fma_f32 v151, v8, v159, -v151
	ds_read2_b64 v[6:9], v1 offset0:87 offset1:88
	s_waitcnt vmcnt(24) lgkmcnt(2)
	v_mul_f32_e32 v153, v2, v156
	v_mul_f32_e32 v156, v3, v156
	s_waitcnt vmcnt(23)
	v_mul_f32_e32 v159, v4, v155
	v_mul_f32_e32 v155, v5, v155
	v_fmac_f32_e32 v153, v3, v148
	v_fma_f32 v148, v2, v148, -v156
	s_waitcnt vmcnt(22) lgkmcnt(1)
	v_mul_f32_e32 v156, v161, v152
	v_mul_f32_e32 v2, v162, v152
	v_fmac_f32_e32 v159, v5, v144
	v_fma_f32 v144, v4, v144, -v155
	s_waitcnt vmcnt(21)
	v_mul_f32_e32 v152, v163, v146
	v_mul_f32_e32 v3, v164, v146
	s_clause 0x1
	buffer_load_dword v146, off, s[0:3], 0 offset:268
	buffer_load_dword v155, off, s[0:3], 0 offset:276
	v_fmac_f32_e32 v156, v162, v139
	v_fma_f32 v139, v161, v139, -v2
	s_waitcnt vmcnt(19)
	v_fmac_f32_e32 v152, v164, v154
	v_fma_f32 v154, v163, v154, -v3
	ds_read2_b64 v[2:5], v1 offset0:89 offset1:90
	s_waitcnt vmcnt(18) lgkmcnt(1)
	v_mul_f32_e32 v161, v6, v150
	v_mul_f32_e32 v150, v7, v150
	s_waitcnt vmcnt(17)
	v_mul_f32_e32 v162, v8, v149
	v_mul_f32_e32 v149, v9, v149
	v_fmac_f32_e32 v161, v7, v145
	v_fma_f32 v145, v6, v145, -v150
	v_fmac_f32_e32 v162, v9, v140
	v_fma_f32 v140, v8, v140, -v149
	ds_read2_b64 v[6:9], v1 offset0:91 offset1:92
	buffer_load_dword v149, off, s[0:3], 0 offset:284
	s_waitcnt vmcnt(16) lgkmcnt(1)
	v_mul_f32_e32 v163, v4, v141
	v_mul_f32_e32 v141, v5, v141
	;; [unrolled: 1-line block ×4, first 2 shown]
	s_waitcnt vmcnt(12)
	v_fmac_f32_e32 v163, v5, v178
	v_fma_f32 v141, v4, v178, -v141
	buffer_load_dword v178, off, s[0:3], 0 offset:292
	v_fmac_f32_e32 v150, v3, v138
	v_fma_f32 v138, v2, v138, -v142
	s_waitcnt vmcnt(12) lgkmcnt(0)
	v_mul_f32_e32 v142, v6, v177
	v_mul_f32_e32 v164, v7, v177
	s_waitcnt vmcnt(11)
	v_mul_f32_e32 v177, v8, v176
	v_mul_f32_e32 v176, v9, v176
	ds_read2_b64 v[2:5], v1 offset0:93 offset1:94
	v_fmac_f32_e32 v142, v7, v175
	v_fma_f32 v164, v6, v175, -v164
	v_fmac_f32_e32 v177, v9, v173
	v_fma_f32 v173, v8, v173, -v176
	s_clause 0x4
	buffer_load_dword v175, off, s[0:3], 0 offset:312
	buffer_load_dword v176, off, s[0:3], 0 offset:304
	;; [unrolled: 1-line block ×5, first 2 shown]
	v_add_f32_e32 v6, 0, v195
	v_add_f32_e32 v7, 0, v174
	buffer_load_dword v195, off, s[0:3], 0 offset:308
	v_add_f32_e32 v6, v6, v196
	v_add_f32_e32 v7, v7, v171
	s_clause 0x1
	buffer_load_dword v171, off, s[0:3], 0 offset:316
	buffer_load_dword v174, off, s[0:3], 0 offset:324
	v_add_f32_e32 v6, v6, v201
	v_add_f32_e32 v7, v7, v197
	;; [unrolled: 1-line block ×4, first 2 shown]
	s_clause 0x3
	buffer_load_dword v196, off, s[0:3], 0 offset:344
	buffer_load_dword v197, off, s[0:3], 0 offset:336
	;; [unrolled: 1-line block ×4, first 2 shown]
	v_add_f32_e32 v6, v6, v136
	v_add_f32_e32 v7, v7, v199
	;; [unrolled: 1-line block ×4, first 2 shown]
	s_clause 0x3
	buffer_load_dword v11, off, s[0:3], 0 offset:332
	buffer_load_dword v199, off, s[0:3], 0 offset:340
	;; [unrolled: 1-line block ×4, first 2 shown]
	v_add_f32_e32 v6, v6, v188
	v_add_f32_e32 v7, v7, v187
	;; [unrolled: 1-line block ×14, first 2 shown]
	s_waitcnt vmcnt(25) lgkmcnt(0)
	v_mul_f32_e32 v136, v2, v10
	v_mul_f32_e32 v8, v3, v10
	v_fmac_f32_e32 v136, v3, v170
	s_waitcnt vmcnt(24)
	v_mul_f32_e32 v10, v4, v167
	v_mul_f32_e32 v9, v5, v167
	v_fma_f32 v137, v2, v170, -v8
	s_waitcnt vmcnt(20)
	v_fmac_f32_e32 v10, v5, v184
	v_fma_f32 v12, v4, v184, -v9
	ds_read2_b64 v[2:5], v1 offset0:95 offset1:96
	s_clause 0x6
	buffer_load_dword v167, off, s[0:3], 0 offset:376
	buffer_load_dword v168, off, s[0:3], 0 offset:368
	;; [unrolled: 1-line block ×7, first 2 shown]
	ds_read2_b64 v[6:9], v1 offset0:97 offset1:98
	s_waitcnt vmcnt(26) lgkmcnt(1)
	v_mul_f32_e32 v179, v2, v146
	v_mul_f32_e32 v146, v3, v146
	s_waitcnt vmcnt(25)
	v_mul_f32_e32 v166, v4, v155
	v_mul_f32_e32 v155, v5, v155
	v_fmac_f32_e32 v179, v3, v183
	v_add_f32_e32 v3, v147, v180
	v_fma_f32 v146, v2, v183, -v146
	v_add_f32_e32 v2, v160, v158
	v_fma_f32 v147, v4, v182, -v155
	s_clause 0x3
	buffer_load_dword v158, off, s[0:3], 0 offset:388
	buffer_load_dword v160, off, s[0:3], 0 offset:396
	buffer_load_dword v165, off, s[0:3], 0 offset:404
	buffer_load_dword v180, off, s[0:3], 0 offset:412
	v_add_f32_e32 v3, v3, v185
	v_fmac_f32_e32 v166, v5, v182
	v_add_f32_e32 v2, v2, v143
	s_clause 0x3
	buffer_load_dword v182, off, s[0:3], 0 offset:420
	buffer_load_dword v183, off, s[0:3], 0 offset:428
	;; [unrolled: 1-line block ×4, first 2 shown]
	v_add_f32_e32 v3, v3, v186
	s_waitcnt vmcnt(32) lgkmcnt(0)
	v_mul_f32_e32 v4, v7, v149
	v_add_f32_e32 v2, v2, v151
	v_mul_f32_e32 v151, v6, v149
	s_clause 0x3
	buffer_load_dword v186, off, s[0:3], 0 offset:452
	buffer_load_dword v189, off, s[0:3], 0 offset:460
	;; [unrolled: 1-line block ×4, first 2 shown]
	v_add_f32_e32 v3, v3, v153
	buffer_load_dword v203, off, s[0:3], 0 offset:484
	v_add_f32_e32 v2, v2, v148
	v_fmac_f32_e32 v151, v7, v181
	v_fma_f32 v148, v6, v181, -v4
	v_add_f32_e32 v6, v3, v159
	s_clause 0x3
	buffer_load_dword v159, off, s[0:3], 0 offset:408
	buffer_load_dword v181, off, s[0:3], 0 offset:400
	;; [unrolled: 1-line block ×4, first 2 shown]
	v_add_f32_e32 v2, v2, v144
	v_add_f32_e32 v6, v6, v156
	;; [unrolled: 1-line block ×3, first 2 shown]
	s_waitcnt vmcnt(40)
	v_mul_f32_e32 v2, v9, v178
	v_mul_f32_e32 v144, v8, v178
	v_add_f32_e32 v6, v6, v152
	v_add_f32_e32 v7, v7, v154
	;; [unrolled: 1-line block ×4, first 2 shown]
	s_waitcnt vmcnt(36)
	v_fma_f32 v149, v8, v193, -v2
	ds_read2_b64 v[2:5], v1 offset0:99 offset1:100
	v_fmac_f32_e32 v144, v9, v193
	s_clause 0x3
	buffer_load_dword v156, off, s[0:3], 0 offset:440
	buffer_load_dword v178, off, s[0:3], 0 offset:432
	;; [unrolled: 1-line block ×4, first 2 shown]
	v_add_f32_e32 v139, v7, v140
	v_add_f32_e32 v140, v6, v162
	ds_read2_b64 v[6:9], v1 offset0:101 offset1:102
	v_add_f32_e32 v138, v139, v138
	v_add_f32_e32 v140, v140, v150
	s_waitcnt vmcnt(39) lgkmcnt(1)
	v_mul_f32_e32 v152, v2, v194
	v_mul_f32_e32 v139, v3, v194
	s_waitcnt vmcnt(38)
	v_mul_f32_e32 v153, v4, v195
	v_fmac_f32_e32 v152, v3, v192
	v_fma_f32 v150, v2, v192, -v139
	v_add_f32_e32 v3, v140, v163
	s_clause 0x3
	buffer_load_dword v161, off, s[0:3], 0 offset:472
	buffer_load_dword v162, off, s[0:3], 0 offset:464
	;; [unrolled: 1-line block ×4, first 2 shown]
	v_add_f32_e32 v2, v138, v141
	buffer_load_dword v194, off, s[0:3], 0 offset:32
	v_mul_f32_e32 v138, v5, v195
	v_add_f32_e32 v3, v3, v142
	v_fmac_f32_e32 v153, v5, v176
	v_add_f32_e32 v2, v2, v164
	buffer_load_dword v164, off, s[0:3], 0 offset:480
	v_fma_f32 v154, v4, v176, -v138
	v_add_f32_e32 v139, v3, v177
	s_waitcnt vmcnt(43) lgkmcnt(0)
	v_mul_f32_e32 v155, v6, v171
	v_add_f32_e32 v2, v2, v173
	v_add_f32_e32 v141, v139, v136
	v_fmac_f32_e32 v155, v7, v175
	v_add_f32_e32 v140, v2, v137
	ds_read2_b64 v[2:5], v1 offset0:103 offset1:104
	ds_read2_b64 v[136:139], v1 offset0:105 offset1:106
	v_add_f32_e32 v10, v141, v10
	s_waitcnt vmcnt(42)
	v_mul_f32_e32 v141, v9, v174
	v_add_f32_e32 v12, v140, v12
	v_mul_f32_e32 v140, v7, v171
	v_mul_f32_e32 v171, v8, v174
	v_add_f32_e32 v10, v10, v179
	s_waitcnt vmcnt(38)
	v_fma_f32 v174, v8, v201, -v141
	v_add_f32_e32 v12, v12, v146
	v_fma_f32 v173, v6, v175, -v140
	v_fmac_f32_e32 v171, v9, v201
	ds_read2_b64 v[6:9], v1 offset0:107 offset1:108
	ds_read2_b64 v[140:143], v1 offset0:109 offset1:110
	v_add_f32_e32 v10, v10, v166
	v_add_f32_e32 v12, v12, v147
	;; [unrolled: 1-line block ×4, first 2 shown]
	s_waitcnt vmcnt(36) lgkmcnt(3)
	v_mul_f32_e32 v166, v4, v199
	s_waitcnt vmcnt(35) lgkmcnt(2)
	v_mul_f32_e32 v176, v136, v202
	v_mul_f32_e32 v148, v137, v202
	v_add_f32_e32 v10, v10, v144
	v_add_f32_e32 v12, v12, v149
	v_mul_f32_e32 v145, v5, v199
	v_fmac_f32_e32 v176, v137, v196
	v_fma_f32 v195, v136, v196, -v148
	v_add_f32_e32 v10, v10, v152
	v_add_f32_e32 v12, v12, v150
	v_mul_f32_e32 v175, v2, v11
	v_mul_f32_e32 v11, v3, v11
	v_fmac_f32_e32 v166, v5, v197
	v_add_f32_e32 v10, v10, v153
	v_add_f32_e32 v12, v12, v154
	v_fma_f32 v179, v4, v197, -v145
	v_fma_f32 v11, v2, v198, -v11
	v_fmac_f32_e32 v175, v3, v198
	v_add_f32_e32 v10, v10, v155
	s_waitcnt vmcnt(34)
	v_mul_f32_e32 v177, v138, v200
	v_mul_f32_e32 v149, v139, v200
	ds_read2_b64 v[2:5], v1 offset0:111 offset1:112
	ds_read2_b64 v[144:147], v1 offset0:113 offset1:114
	v_add_f32_e32 v10, v10, v171
	v_add_f32_e32 v10, v10, v175
	;; [unrolled: 1-line block ×4, first 2 shown]
	s_waitcnt vmcnt(29) lgkmcnt(3)
	v_mul_f32_e32 v196, v6, v157
	s_waitcnt vmcnt(28)
	v_mul_f32_e32 v197, v8, v184
	v_mul_f32_e32 v152, v7, v157
	;; [unrolled: 1-line block ×3, first 2 shown]
	v_fmac_f32_e32 v177, v139, v170
	v_fmac_f32_e32 v196, v7, v169
	v_add_f32_e32 v7, v12, v173
	v_fmac_f32_e32 v197, v9, v168
	v_fma_f32 v157, v8, v168, -v153
	v_fma_f32 v170, v138, v170, -v149
	;; [unrolled: 1-line block ×3, first 2 shown]
	v_add_f32_e32 v168, v7, v174
	v_add_f32_e32 v10, v10, v177
	ds_read2_b64 v[136:139], v1 offset0:115 offset1:116
	ds_read2_b64 v[148:151], v1 offset0:117 offset1:118
	;; [unrolled: 1-line block ×4, first 2 shown]
	s_waitcnt vmcnt(27) lgkmcnt(6)
	v_mul_f32_e32 v1, v140, v187
	v_add_f32_e32 v11, v168, v11
	v_mul_f32_e32 v168, v141, v187
	v_add_f32_e32 v10, v10, v196
	v_fmac_f32_e32 v1, v141, v167
	v_add_f32_e32 v11, v11, v179
	v_fma_f32 v140, v140, v167, -v168
	v_add_f32_e32 v10, v10, v197
	v_add_f32_e32 v11, v11, v195
	;; [unrolled: 1-line block ×3, first 2 shown]
	s_waitcnt vmcnt(26)
	v_mul_f32_e32 v169, v142, v158
	v_add_f32_e32 v11, v11, v170
	v_mul_f32_e32 v158, v143, v158
	s_waitcnt vmcnt(25) lgkmcnt(5)
	v_mul_f32_e32 v171, v2, v160
	s_waitcnt vmcnt(24)
	v_mul_f32_e32 v10, v5, v165
	v_mul_f32_e32 v166, v4, v165
	v_add_f32_e32 v11, v11, v12
	s_waitcnt vmcnt(23) lgkmcnt(4)
	v_mul_f32_e32 v173, v144, v180
	s_waitcnt vmcnt(22)
	v_mul_f32_e32 v174, v146, v182
	s_waitcnt vmcnt(21) lgkmcnt(3)
	v_mul_f32_e32 v175, v136, v183
	s_waitcnt vmcnt(20)
	v_mul_f32_e32 v176, v138, v185
	v_add_f32_e32 v11, v11, v157
	v_mul_f32_e32 v157, v3, v160
	s_waitcnt vmcnt(19) lgkmcnt(2)
	v_mul_f32_e32 v170, v148, v188
	s_waitcnt vmcnt(18)
	v_mul_f32_e32 v177, v150, v186
	s_waitcnt vmcnt(17) lgkmcnt(1)
	v_mul_f32_e32 v179, v6, v189
	v_add_f32_e32 v11, v11, v140
	s_waitcnt vmcnt(13)
	v_fmac_f32_e32 v173, v145, v159
	s_waitcnt vmcnt(12)
	v_fma_f32 v4, v4, v181, -v10
	s_waitcnt vmcnt(11)
	v_fmac_f32_e32 v171, v3, v204
	s_waitcnt vmcnt(10)
	v_fma_f32 v142, v142, v205, -v158
	v_fmac_f32_e32 v169, v143, v205
	v_fma_f32 v2, v2, v204, -v157
	v_fmac_f32_e32 v166, v5, v181
	v_mul_f32_e32 v12, v8, v190
	v_add_f32_e32 v3, v11, v142
	v_add_f32_e32 v1, v1, v169
	v_mul_f32_e32 v11, v145, v180
	s_waitcnt lgkmcnt(0)
	v_mul_f32_e32 v184, v152, v191
	v_mul_f32_e32 v141, v154, v203
	v_add_f32_e32 v2, v3, v2
	v_add_f32_e32 v1, v1, v171
	v_mul_f32_e32 v3, v147, v182
	v_fma_f32 v5, v144, v159, -v11
	v_add_f32_e32 v2, v2, v4
	v_add_f32_e32 v1, v1, v166
	v_mul_f32_e32 v4, v137, v183
	s_waitcnt vmcnt(8)
	v_fmac_f32_e32 v176, v139, v178
	s_waitcnt vmcnt(7)
	v_fmac_f32_e32 v175, v137, v193
	s_waitcnt vmcnt(6)
	v_fma_f32 v3, v146, v206, -v3
	v_add_f32_e32 v2, v2, v5
	v_fmac_f32_e32 v174, v147, v206
	v_add_f32_e32 v1, v1, v173
	v_mul_f32_e32 v5, v139, v185
	v_fma_f32 v4, v136, v193, -v4
	v_add_f32_e32 v2, v2, v3
	v_mul_f32_e32 v3, v149, v188
	v_add_f32_e32 v1, v1, v174
	v_fma_f32 v5, v138, v178, -v5
	v_fmac_f32_e32 v170, v149, v156
	v_add_f32_e32 v2, v2, v4
	v_mul_f32_e32 v4, v151, v186
	v_add_f32_e32 v1, v1, v175
	v_fma_f32 v3, v148, v156, -v3
	v_add_f32_e32 v2, v2, v5
	v_mul_f32_e32 v5, v7, v189
	v_add_f32_e32 v1, v1, v176
	v_add_f32_e32 v2, v2, v3
	v_mul_f32_e32 v3, v9, v190
	v_add_f32_e32 v1, v1, v170
	s_waitcnt vmcnt(4)
	v_fmac_f32_e32 v12, v9, v162
	s_waitcnt vmcnt(3)
	v_fma_f32 v5, v6, v163, -v5
	s_waitcnt vmcnt(2)
	v_fma_f32 v4, v150, v192, -v4
	v_fmac_f32_e32 v177, v151, v192
	v_fmac_f32_e32 v179, v7, v163
	v_fma_f32 v3, v8, v162, -v3
	v_fmac_f32_e32 v184, v153, v161
	v_add_f32_e32 v2, v2, v4
	v_add_f32_e32 v1, v1, v177
	v_mul_f32_e32 v4, v153, v191
	s_waitcnt vmcnt(0)
	v_fmac_f32_e32 v141, v155, v164
	v_add_f32_e32 v2, v2, v5
	v_add_f32_e32 v1, v1, v179
	v_mul_f32_e32 v5, v155, v203
	v_fma_f32 v4, v152, v161, -v4
	v_add_f32_e32 v2, v2, v3
	v_add_f32_e32 v1, v1, v12
	v_fma_f32 v3, v154, v164, -v5
	v_add_f32_e32 v2, v2, v4
	v_add_f32_e32 v1, v1, v184
	;; [unrolled: 1-line block ×4, first 2 shown]
	v_sub_f32_e32 v2, v194, v2
	v_sub_f32_e32 v1, v172, v1
	buffer_store_dword v2, off, s[0:3], 0 offset:32
	buffer_store_dword v1, off, s[0:3], 0 offset:36
	v_cmpx_lt_u32_e32 3, v0
	s_cbranch_execz .LBB60_373
; %bb.372:
	s_clause 0x1
	buffer_load_dword v1, off, s[0:3], 0 offset:24
	buffer_load_dword v2, off, s[0:3], 0 offset:28
	v_mov_b32_e32 v3, 0
	buffer_store_dword v3, off, s[0:3], 0 offset:24
	buffer_store_dword v3, off, s[0:3], 0 offset:28
	s_waitcnt vmcnt(0)
	ds_write_b64 v135, v[1:2]
.LBB60_373:
	s_or_b32 exec_lo, exec_lo, s4
	s_waitcnt lgkmcnt(0)
	s_waitcnt_vscnt null, 0x0
	s_barrier
	buffer_gl0_inv
	s_clause 0x34
	buffer_load_dword v2, off, s[0:3], 0 offset:36
	buffer_load_dword v3, off, s[0:3], 0 offset:44
	buffer_load_dword v4, off, s[0:3], 0 offset:48
	buffer_load_dword v7, off, s[0:3], 0 offset:40
	buffer_load_dword v8, off, s[0:3], 0 offset:32
	buffer_load_dword v6, off, s[0:3], 0 offset:52
	buffer_load_dword v5, off, s[0:3], 0 offset:60
	buffer_load_dword v10, off, s[0:3], 0 offset:68
	buffer_load_dword v9, off, s[0:3], 0 offset:76
	buffer_load_dword v11, off, s[0:3], 0 offset:80
	buffer_load_dword v136, off, s[0:3], 0 offset:72
	buffer_load_dword v138, off, s[0:3], 0 offset:64
	buffer_load_dword v139, off, s[0:3], 0 offset:56
	buffer_load_dword v137, off, s[0:3], 0 offset:84
	buffer_load_dword v12, off, s[0:3], 0 offset:92
	buffer_load_dword v149, off, s[0:3], 0 offset:112
	buffer_load_dword v159, off, s[0:3], 0 offset:104
	buffer_load_dword v163, off, s[0:3], 0 offset:96
	buffer_load_dword v171, off, s[0:3], 0 offset:88
	buffer_load_dword v170, off, s[0:3], 0 offset:100
	buffer_load_dword v169, off, s[0:3], 0 offset:108
	buffer_load_dword v168, off, s[0:3], 0 offset:116
	buffer_load_dword v167, off, s[0:3], 0 offset:124
	buffer_load_dword v164, off, s[0:3], 0 offset:132
	buffer_load_dword v165, off, s[0:3], 0 offset:140
	buffer_load_dword v145, off, s[0:3], 0 offset:144
	buffer_load_dword v160, off, s[0:3], 0 offset:136
	buffer_load_dword v162, off, s[0:3], 0 offset:128
	buffer_load_dword v166, off, s[0:3], 0 offset:120
	buffer_load_dword v155, off, s[0:3], 0 offset:148
	buffer_load_dword v153, off, s[0:3], 0 offset:156
	buffer_load_dword v141, off, s[0:3], 0 offset:176
	buffer_load_dword v146, off, s[0:3], 0 offset:168
	buffer_load_dword v150, off, s[0:3], 0 offset:160
	buffer_load_dword v161, off, s[0:3], 0 offset:152
	buffer_load_dword v158, off, s[0:3], 0 offset:164
	buffer_load_dword v157, off, s[0:3], 0 offset:172
	buffer_load_dword v154, off, s[0:3], 0 offset:180
	buffer_load_dword v148, off, s[0:3], 0 offset:188
	buffer_load_dword v140, off, s[0:3], 0 offset:208
	buffer_load_dword v142, off, s[0:3], 0 offset:200
	buffer_load_dword v147, off, s[0:3], 0 offset:192
	buffer_load_dword v156, off, s[0:3], 0 offset:184
	buffer_load_dword v152, off, s[0:3], 0 offset:196
	buffer_load_dword v151, off, s[0:3], 0 offset:204
	buffer_load_dword v144, off, s[0:3], 0 offset:212
	buffer_load_dword v143, off, s[0:3], 0 offset:220
	buffer_load_dword v172, off, s[0:3], 0 offset:240
	buffer_load_dword v173, off, s[0:3], 0 offset:232
	buffer_load_dword v174, off, s[0:3], 0 offset:224
	buffer_load_dword v177, off, s[0:3], 0 offset:216
	buffer_load_dword v176, off, s[0:3], 0 offset:228
	buffer_load_dword v175, off, s[0:3], 0 offset:236
	v_mov_b32_e32 v1, 0
	ds_read_b128 v[179:182], v1 offset:528
	ds_read_b128 v[183:186], v1 offset:544
	;; [unrolled: 1-line block ×4, first 2 shown]
	buffer_load_dword v178, off, s[0:3], 0 offset:28
	s_mov_b32 s4, exec_lo
	s_waitcnt vmcnt(53) lgkmcnt(3)
	v_mul_f32_e32 v195, v179, v2
	v_mul_f32_e32 v2, v180, v2
	s_waitcnt vmcnt(52)
	v_mul_f32_e32 v196, v181, v3
	v_mul_f32_e32 v3, v182, v3
	s_waitcnt vmcnt(49)
	v_fmac_f32_e32 v195, v180, v8
	v_fma_f32 v197, v179, v8, -v2
	v_fmac_f32_e32 v196, v182, v7
	v_fma_f32 v198, v181, v7, -v3
	ds_read_b128 v[179:182], v1 offset:592
	s_waitcnt vmcnt(48) lgkmcnt(3)
	v_mul_f32_e32 v199, v183, v6
	v_mul_f32_e32 v2, v184, v6
	s_waitcnt vmcnt(47)
	v_mul_f32_e32 v3, v186, v5
	v_mul_f32_e32 v200, v185, v5
	s_waitcnt vmcnt(46) lgkmcnt(2)
	v_mul_f32_e32 v6, v188, v10
	s_waitcnt vmcnt(45)
	v_mul_f32_e32 v7, v190, v9
	v_fmac_f32_e32 v199, v184, v4
	v_fma_f32 v183, v183, v4, -v2
	s_waitcnt vmcnt(41)
	v_fma_f32 v184, v185, v139, -v3
	ds_read_b128 v[2:5], v1 offset:608
	v_mul_f32_e32 v201, v187, v10
	v_mul_f32_e32 v10, v189, v9
	v_fmac_f32_e32 v200, v186, v139
	v_fma_f32 v185, v187, v138, -v6
	v_fma_f32 v186, v189, v136, -v7
	ds_read_b128 v[6:9], v1 offset:624
	v_fmac_f32_e32 v10, v190, v136
	s_waitcnt vmcnt(40) lgkmcnt(3)
	v_mul_f32_e32 v187, v191, v137
	v_mul_f32_e32 v136, v192, v137
	v_fmac_f32_e32 v201, v188, v138
	s_waitcnt vmcnt(39)
	v_mul_f32_e32 v188, v193, v12
	v_mul_f32_e32 v12, v194, v12
	v_fmac_f32_e32 v187, v192, v11
	v_fma_f32 v11, v191, v11, -v136
	ds_read_b128 v[136:139], v1 offset:640
	s_waitcnt vmcnt(35)
	v_fmac_f32_e32 v188, v194, v171
	v_fma_f32 v12, v193, v171, -v12
	s_waitcnt vmcnt(34) lgkmcnt(3)
	v_mul_f32_e32 v171, v179, v170
	v_mul_f32_e32 v170, v180, v170
	s_waitcnt vmcnt(33)
	v_mul_f32_e32 v190, v181, v169
	v_mul_f32_e32 v169, v182, v169
	s_waitcnt vmcnt(32) lgkmcnt(2)
	v_mul_f32_e32 v191, v2, v168
	v_mul_f32_e32 v168, v3, v168
	v_fmac_f32_e32 v171, v180, v163
	v_fma_f32 v170, v179, v163, -v170
	s_waitcnt vmcnt(31)
	v_mul_f32_e32 v179, v4, v167
	v_mul_f32_e32 v163, v5, v167
	v_fmac_f32_e32 v190, v182, v159
	v_fma_f32 v159, v181, v159, -v169
	s_waitcnt vmcnt(30) lgkmcnt(1)
	v_mul_f32_e32 v167, v6, v164
	v_mul_f32_e32 v169, v7, v164
	s_waitcnt vmcnt(29)
	v_mul_f32_e32 v180, v8, v165
	v_mul_f32_e32 v181, v9, v165
	buffer_load_dword v189, off, s[0:3], 0 offset:244
	v_fmac_f32_e32 v191, v3, v149
	v_fma_f32 v149, v2, v149, -v168
	s_waitcnt vmcnt(26)
	v_fmac_f32_e32 v179, v5, v166
	v_fma_f32 v168, v4, v166, -v163
	ds_read_b128 v[2:5], v1 offset:656
	ds_read_b128 v[163:166], v1 offset:672
	v_fmac_f32_e32 v167, v7, v162
	v_fma_f32 v162, v6, v162, -v169
	v_fmac_f32_e32 v180, v9, v160
	v_fma_f32 v160, v8, v160, -v181
	s_clause 0x4
	buffer_load_dword v169, off, s[0:3], 0 offset:252
	buffer_load_dword v181, off, s[0:3], 0 offset:272
	;; [unrolled: 1-line block ×5, first 2 shown]
	s_waitcnt vmcnt(30) lgkmcnt(2)
	v_mul_f32_e32 v194, v136, v155
	v_mul_f32_e32 v6, v137, v155
	s_waitcnt vmcnt(29)
	v_mul_f32_e32 v7, v139, v153
	v_mul_f32_e32 v155, v138, v153
	v_fmac_f32_e32 v194, v137, v145
	v_fma_f32 v136, v136, v145, -v6
	s_waitcnt vmcnt(25)
	v_fma_f32 v137, v138, v161, -v7
	ds_read_b128 v[6:9], v1 offset:688
	v_fmac_f32_e32 v155, v139, v161
	s_waitcnt vmcnt(24) lgkmcnt(2)
	v_mul_f32_e32 v138, v2, v158
	v_mul_f32_e32 v139, v3, v158
	s_waitcnt vmcnt(23)
	v_mul_f32_e32 v145, v4, v157
	v_mul_f32_e32 v153, v5, v157
	v_fmac_f32_e32 v138, v3, v150
	v_fma_f32 v139, v2, v150, -v139
	s_waitcnt vmcnt(22) lgkmcnt(1)
	v_mul_f32_e32 v150, v163, v154
	v_mul_f32_e32 v2, v164, v154
	v_fmac_f32_e32 v145, v5, v146
	v_fma_f32 v146, v4, v146, -v153
	s_waitcnt vmcnt(21)
	v_mul_f32_e32 v153, v165, v148
	v_mul_f32_e32 v3, v166, v148
	s_clause 0x1
	buffer_load_dword v148, off, s[0:3], 0 offset:260
	buffer_load_dword v154, off, s[0:3], 0 offset:268
	v_fmac_f32_e32 v150, v164, v141
	v_fma_f32 v141, v163, v141, -v2
	s_waitcnt vmcnt(19)
	v_fmac_f32_e32 v153, v166, v156
	v_fma_f32 v156, v165, v156, -v3
	ds_read_b128 v[2:5], v1 offset:704
	s_waitcnt vmcnt(18) lgkmcnt(1)
	v_mul_f32_e32 v157, v6, v152
	v_mul_f32_e32 v152, v7, v152
	s_waitcnt vmcnt(17)
	v_mul_f32_e32 v158, v8, v151
	v_mul_f32_e32 v151, v9, v151
	buffer_load_dword v166, off, s[0:3], 0 offset:284
	v_fmac_f32_e32 v157, v7, v147
	v_fma_f32 v147, v6, v147, -v152
	v_fmac_f32_e32 v158, v9, v142
	v_fma_f32 v142, v8, v142, -v151
	ds_read_b128 v[6:9], v1 offset:720
	buffer_load_dword v151, off, s[0:3], 0 offset:276
	s_waitcnt vmcnt(18) lgkmcnt(1)
	v_mul_f32_e32 v152, v2, v144
	v_mul_f32_e32 v144, v3, v144
	s_waitcnt vmcnt(17)
	v_mul_f32_e32 v161, v4, v143
	v_mul_f32_e32 v143, v5, v143
	v_fmac_f32_e32 v152, v3, v140
	v_fma_f32 v140, v2, v140, -v144
	s_waitcnt vmcnt(13)
	v_fmac_f32_e32 v161, v5, v177
	v_fma_f32 v143, v4, v177, -v143
	ds_read_b128 v[2:5], v1 offset:736
	s_waitcnt vmcnt(12) lgkmcnt(1)
	v_mul_f32_e32 v144, v6, v176
	v_mul_f32_e32 v163, v7, v176
	s_waitcnt vmcnt(11)
	v_mul_f32_e32 v164, v8, v175
	v_mul_f32_e32 v165, v9, v175
	v_fmac_f32_e32 v144, v7, v174
	v_fma_f32 v163, v6, v174, -v163
	v_fmac_f32_e32 v164, v9, v173
	v_fma_f32 v165, v8, v173, -v165
	s_clause 0x4
	buffer_load_dword v173, off, s[0:3], 0 offset:304
	buffer_load_dword v174, off, s[0:3], 0 offset:296
	;; [unrolled: 1-line block ×5, first 2 shown]
	v_add_f32_e32 v6, 0, v195
	v_add_f32_e32 v7, 0, v197
	buffer_load_dword v195, off, s[0:3], 0 offset:300
	v_add_f32_e32 v6, v6, v196
	v_add_f32_e32 v7, v7, v198
	;; [unrolled: 1-line block ×4, first 2 shown]
	s_clause 0x1
	buffer_load_dword v183, off, s[0:3], 0 offset:308
	buffer_load_dword v196, off, s[0:3], 0 offset:316
	v_add_f32_e32 v6, v6, v200
	v_add_f32_e32 v7, v7, v184
	s_clause 0x3
	buffer_load_dword v184, off, s[0:3], 0 offset:336
	buffer_load_dword v197, off, s[0:3], 0 offset:328
	;; [unrolled: 1-line block ×4, first 2 shown]
	v_add_f32_e32 v6, v6, v201
	v_add_f32_e32 v7, v7, v185
	;; [unrolled: 1-line block ×4, first 2 shown]
	s_clause 0x3
	buffer_load_dword v10, off, s[0:3], 0 offset:324
	buffer_load_dword v185, off, s[0:3], 0 offset:332
	;; [unrolled: 1-line block ×4, first 2 shown]
	v_add_f32_e32 v6, v6, v187
	v_add_f32_e32 v7, v7, v11
	;; [unrolled: 1-line block ×13, first 2 shown]
	s_waitcnt vmcnt(25) lgkmcnt(0)
	v_mul_f32_e32 v187, v2, v189
	v_mul_f32_e32 v8, v3, v189
	v_fmac_f32_e32 v187, v3, v172
	s_waitcnt vmcnt(24)
	v_mul_f32_e32 v11, v4, v169
	v_mul_f32_e32 v9, v5, v169
	v_fma_f32 v169, v2, v172, -v8
	s_waitcnt vmcnt(20)
	v_fmac_f32_e32 v11, v5, v193
	v_fma_f32 v12, v4, v193, -v9
	ds_read_b128 v[2:5], v1 offset:752
	s_clause 0x6
	buffer_load_dword v170, off, s[0:3], 0 offset:368
	buffer_load_dword v171, off, s[0:3], 0 offset:360
	;; [unrolled: 1-line block ×7, first 2 shown]
	ds_read_b128 v[6:9], v1 offset:768
	s_waitcnt vmcnt(26) lgkmcnt(1)
	v_mul_f32_e32 v179, v2, v148
	v_mul_f32_e32 v148, v3, v148
	s_waitcnt vmcnt(25)
	v_mul_f32_e32 v168, v4, v154
	v_mul_f32_e32 v154, v5, v154
	v_fmac_f32_e32 v179, v3, v192
	v_add_f32_e32 v3, v149, v167
	v_add_f32_e32 v149, v162, v160
	v_fma_f32 v148, v2, v192, -v148
	v_fmac_f32_e32 v168, v5, v182
	v_fma_f32 v154, v4, v182, -v154
	v_add_f32_e32 v2, v3, v180
	v_add_f32_e32 v3, v149, v136
	s_clause 0x7
	buffer_load_dword v160, off, s[0:3], 0 offset:380
	buffer_load_dword v162, off, s[0:3], 0 offset:388
	buffer_load_dword v167, off, s[0:3], 0 offset:396
	buffer_load_dword v180, off, s[0:3], 0 offset:404
	buffer_load_dword v182, off, s[0:3], 0 offset:400
	buffer_load_dword v191, off, s[0:3], 0 offset:392
	buffer_load_dword v192, off, s[0:3], 0 offset:384
	buffer_load_dword v193, off, s[0:3], 0 offset:376
	v_add_f32_e32 v2, v2, v194
	v_add_f32_e32 v3, v3, v137
	s_waitcnt vmcnt(31) lgkmcnt(0)
	v_mul_f32_e32 v149, v6, v151
	v_mul_f32_e32 v4, v7, v151
	s_clause 0x1
	buffer_load_dword v194, off, s[0:3], 0 offset:412
	buffer_load_dword v201, off, s[0:3], 0 offset:420
	v_add_f32_e32 v2, v2, v155
	v_add_f32_e32 v3, v3, v139
	v_fmac_f32_e32 v149, v7, v181
	v_fma_f32 v151, v6, v181, -v4
	s_clause 0x1
	buffer_load_dword v202, off, s[0:3], 0 offset:428
	buffer_load_dword v203, off, s[0:3], 0 offset:436
	v_add_f32_e32 v2, v2, v138
	v_add_f32_e32 v3, v3, v146
	s_clause 0x4
	buffer_load_dword v181, off, s[0:3], 0 offset:444
	buffer_load_dword v204, off, s[0:3], 0 offset:452
	;; [unrolled: 1-line block ×5, first 2 shown]
	v_add_f32_e32 v2, v2, v145
	v_add_f32_e32 v6, v3, v141
	v_mul_f32_e32 v3, v9, v166
	v_mul_f32_e32 v145, v8, v166
	buffer_load_dword v166, off, s[0:3], 0 offset:484
	v_add_f32_e32 v7, v2, v150
	v_add_f32_e32 v6, v6, v156
	;; [unrolled: 1-line block ×4, first 2 shown]
	s_waitcnt vmcnt(37)
	v_fma_f32 v146, v8, v176, -v3
	ds_read_b128 v[2:5], v1 offset:784
	v_fmac_f32_e32 v145, v9, v176
	v_add_f32_e32 v7, v7, v157
	s_clause 0x3
	buffer_load_dword v156, off, s[0:3], 0 offset:432
	buffer_load_dword v157, off, s[0:3], 0 offset:424
	;; [unrolled: 1-line block ×4, first 2 shown]
	v_add_f32_e32 v6, v6, v142
	v_add_f32_e32 v136, v7, v158
	;; [unrolled: 1-line block ×3, first 2 shown]
	ds_read_b128 v[6:9], v1 offset:800
	v_add_f32_e32 v136, v136, v152
	v_add_f32_e32 v137, v137, v143
	s_waitcnt vmcnt(40) lgkmcnt(1)
	v_mul_f32_e32 v147, v2, v177
	v_mul_f32_e32 v138, v3, v177
	s_waitcnt vmcnt(39)
	v_mul_f32_e32 v152, v4, v195
	v_fmac_f32_e32 v147, v3, v175
	v_fma_f32 v150, v2, v175, -v138
	v_add_f32_e32 v2, v136, v161
	v_add_f32_e32 v3, v137, v163
	s_clause 0x3
	buffer_load_dword v158, off, s[0:3], 0 offset:464
	buffer_load_dword v161, off, s[0:3], 0 offset:456
	buffer_load_dword v163, off, s[0:3], 0 offset:448
	buffer_load_dword v175, off, s[0:3], 0 offset:440
	v_mul_f32_e32 v136, v5, v195
	s_waitcnt vmcnt(42) lgkmcnt(0)
	v_mul_f32_e32 v155, v6, v183
	v_add_f32_e32 v2, v2, v144
	v_add_f32_e32 v3, v3, v165
	s_clause 0x1
	buffer_load_dword v165, off, s[0:3], 0 offset:480
	buffer_load_dword v177, off, s[0:3], 0 offset:472
	v_mul_f32_e32 v140, v7, v183
	s_waitcnt vmcnt(43)
	v_mul_f32_e32 v141, v9, v196
	v_add_f32_e32 v2, v2, v164
	buffer_load_dword v164, off, s[0:3], 0 offset:24
	v_add_f32_e32 v3, v3, v169
	v_mul_f32_e32 v169, v8, v196
	v_fmac_f32_e32 v152, v5, v174
	v_add_f32_e32 v137, v2, v187
	v_fma_f32 v153, v4, v174, -v136
	v_add_f32_e32 v12, v3, v12
	ds_read_b128 v[2:5], v1 offset:816
	v_fmac_f32_e32 v155, v7, v173
	v_add_f32_e32 v11, v137, v11
	ds_read_b128 v[136:139], v1 offset:832
	v_add_f32_e32 v12, v12, v148
	v_fma_f32 v173, v6, v173, -v140
	s_waitcnt vmcnt(40)
	v_fmac_f32_e32 v169, v9, v199
	v_add_f32_e32 v11, v11, v179
	v_add_f32_e32 v12, v12, v154
	v_fma_f32 v154, v8, v199, -v141
	ds_read_b128 v[6:9], v1 offset:848
	ds_read_b128 v[140:143], v1 offset:864
	v_add_f32_e32 v11, v11, v168
	v_add_f32_e32 v12, v12, v151
	;; [unrolled: 1-line block ×4, first 2 shown]
	s_waitcnt vmcnt(39) lgkmcnt(3)
	v_mul_f32_e32 v168, v2, v10
	v_mul_f32_e32 v10, v3, v10
	v_add_f32_e32 v11, v11, v145
	s_waitcnt vmcnt(38)
	v_mul_f32_e32 v144, v5, v185
	v_add_f32_e32 v12, v12, v150
	v_mul_f32_e32 v174, v4, v185
	v_fma_f32 v10, v2, v198, -v10
	v_add_f32_e32 v11, v11, v147
	v_fmac_f32_e32 v168, v3, v198
	v_add_f32_e32 v12, v12, v153
	s_waitcnt vmcnt(37) lgkmcnt(2)
	v_mul_f32_e32 v179, v136, v200
	v_mul_f32_e32 v148, v137, v200
	v_add_f32_e32 v11, v11, v152
	v_fma_f32 v185, v4, v197, -v144
	v_add_f32_e32 v12, v12, v173
	v_fmac_f32_e32 v174, v5, v197
	s_waitcnt vmcnt(36)
	v_mul_f32_e32 v149, v139, v186
	v_add_f32_e32 v11, v11, v155
	v_fmac_f32_e32 v179, v137, v184
	v_fma_f32 v184, v136, v184, -v148
	v_mul_f32_e32 v183, v138, v186
	ds_read_b128 v[2:5], v1 offset:880
	ds_read_b128 v[144:147], v1 offset:896
	v_add_f32_e32 v11, v11, v169
	v_add_f32_e32 v168, v11, v168
	;; [unrolled: 1-line block ×4, first 2 shown]
	s_waitcnt vmcnt(31) lgkmcnt(3)
	v_mul_f32_e32 v173, v6, v159
	v_mul_f32_e32 v152, v7, v159
	v_fma_f32 v186, v138, v188, -v149
	v_fmac_f32_e32 v183, v139, v188
	s_waitcnt vmcnt(30)
	v_mul_f32_e32 v153, v9, v189
	v_fmac_f32_e32 v173, v7, v172
	v_add_f32_e32 v7, v12, v154
	v_fma_f32 v12, v6, v172, -v152
	v_mul_f32_e32 v187, v8, v189
	v_add_f32_e32 v168, v168, v183
	v_fma_f32 v159, v8, v171, -v153
	v_add_f32_e32 v169, v7, v10
	s_waitcnt vmcnt(29) lgkmcnt(2)
	v_mul_f32_e32 v174, v141, v190
	v_fmac_f32_e32 v187, v9, v171
	v_mul_f32_e32 v171, v140, v190
	v_add_f32_e32 v168, v168, v173
	v_add_f32_e32 v169, v169, v185
	v_fma_f32 v140, v140, v170, -v174
	ds_read_b128 v[136:139], v1 offset:912
	ds_read_b128 v[148:151], v1 offset:928
	v_fmac_f32_e32 v171, v141, v170
	ds_read_b128 v[6:9], v1 offset:944
	ds_read_b128 v[152:155], v1 offset:960
	ds_read_b64 v[10:11], v1 offset:976
	v_add_f32_e32 v169, v169, v184
	v_add_f32_e32 v169, v169, v186
	s_waitcnt vmcnt(28)
	v_mul_f32_e32 v172, v142, v160
	v_mul_f32_e32 v160, v143, v160
	v_add_f32_e32 v12, v169, v12
	s_waitcnt vmcnt(27) lgkmcnt(6)
	v_mul_f32_e32 v184, v2, v162
	v_mul_f32_e32 v162, v3, v162
	s_waitcnt vmcnt(26)
	v_mul_f32_e32 v179, v4, v167
	v_mul_f32_e32 v167, v5, v167
	v_add_f32_e32 v12, v12, v159
	v_add_f32_e32 v159, v168, v187
	s_waitcnt vmcnt(21)
	v_fma_f32 v142, v142, v193, -v160
	v_fmac_f32_e32 v172, v143, v193
	v_fmac_f32_e32 v184, v3, v192
	v_add_f32_e32 v12, v12, v140
	v_add_f32_e32 v140, v159, v171
	v_fma_f32 v2, v2, v192, -v162
	v_fma_f32 v4, v4, v191, -v167
	s_waitcnt lgkmcnt(5)
	v_mul_f32_e32 v141, v144, v180
	v_add_f32_e32 v3, v12, v142
	v_add_f32_e32 v12, v140, v172
	v_mul_f32_e32 v140, v145, v180
	v_fmac_f32_e32 v179, v5, v191
	s_waitcnt vmcnt(20)
	v_mul_f32_e32 v5, v147, v194
	v_add_f32_e32 v2, v3, v2
	v_add_f32_e32 v3, v12, v184
	v_fma_f32 v12, v144, v182, -v140
	v_mul_f32_e32 v170, v146, v194
	v_fmac_f32_e32 v141, v145, v182
	v_add_f32_e32 v2, v2, v4
	v_add_f32_e32 v3, v3, v179
	s_waitcnt vmcnt(19) lgkmcnt(4)
	v_mul_f32_e32 v4, v137, v201
	v_mul_f32_e32 v174, v136, v201
	s_waitcnt vmcnt(18)
	v_mul_f32_e32 v143, v138, v202
	v_add_f32_e32 v2, v2, v12
	v_add_f32_e32 v3, v3, v141
	v_mul_f32_e32 v12, v139, v202
	s_waitcnt vmcnt(17) lgkmcnt(3)
	v_mul_f32_e32 v160, v148, v203
	s_waitcnt vmcnt(16)
	v_mul_f32_e32 v169, v150, v181
	s_waitcnt vmcnt(15) lgkmcnt(2)
	v_mul_f32_e32 v173, v6, v204
	s_waitcnt vmcnt(14)
	;; [unrolled: 4-line block ×3, first 2 shown]
	v_fma_f32 v12, v138, v157, -v12
	s_waitcnt vmcnt(8)
	v_fma_f32 v4, v136, v176, -v4
	s_waitcnt vmcnt(7)
	v_fma_f32 v5, v146, v208, -v5
	v_fmac_f32_e32 v170, v147, v208
	v_fmac_f32_e32 v174, v137, v176
	;; [unrolled: 1-line block ×4, first 2 shown]
	v_add_f32_e32 v2, v2, v5
	v_add_f32_e32 v3, v3, v170
	v_mul_f32_e32 v5, v149, v203
	v_mul_f32_e32 v185, v154, v207
	s_waitcnt lgkmcnt(0)
	v_mul_f32_e32 v159, v10, v166
	v_add_f32_e32 v2, v2, v4
	v_add_f32_e32 v3, v3, v174
	v_mul_f32_e32 v4, v151, v181
	v_fma_f32 v5, v148, v156, -v5
	v_add_f32_e32 v2, v2, v12
	v_add_f32_e32 v3, v3, v143
	v_mul_f32_e32 v12, v7, v204
	v_add_f32_e32 v2, v2, v5
	v_add_f32_e32 v3, v3, v160
	v_mul_f32_e32 v5, v9, v205
	s_waitcnt vmcnt(6)
	v_fmac_f32_e32 v168, v153, v158
	s_waitcnt vmcnt(5)
	v_fmac_f32_e32 v183, v9, v161
	s_waitcnt vmcnt(4)
	v_fma_f32 v6, v6, v163, -v12
	s_waitcnt vmcnt(3)
	v_fma_f32 v4, v150, v175, -v4
	v_fmac_f32_e32 v169, v151, v175
	v_fmac_f32_e32 v173, v7, v163
	v_fma_f32 v5, v8, v161, -v5
	s_waitcnt vmcnt(2)
	v_fmac_f32_e32 v159, v11, v165
	v_add_f32_e32 v2, v2, v4
	v_add_f32_e32 v3, v3, v169
	v_mul_f32_e32 v4, v153, v206
	s_waitcnt vmcnt(1)
	v_fmac_f32_e32 v185, v155, v177
	v_add_f32_e32 v2, v2, v6
	v_add_f32_e32 v3, v3, v173
	v_mul_f32_e32 v6, v155, v207
	v_fma_f32 v4, v152, v158, -v4
	v_add_f32_e32 v2, v2, v5
	v_add_f32_e32 v3, v3, v183
	v_mul_f32_e32 v5, v11, v166
	v_fma_f32 v6, v154, v177, -v6
	v_add_f32_e32 v2, v2, v4
	v_add_f32_e32 v3, v3, v168
	v_fma_f32 v4, v10, v165, -v5
	v_add_f32_e32 v2, v2, v6
	v_add_f32_e32 v3, v3, v185
	;; [unrolled: 1-line block ×4, first 2 shown]
	s_waitcnt vmcnt(0)
	v_sub_f32_e32 v2, v164, v2
	v_sub_f32_e32 v3, v178, v3
	buffer_store_dword v2, off, s[0:3], 0 offset:24
	buffer_store_dword v3, off, s[0:3], 0 offset:28
	v_cmpx_lt_u32_e32 2, v0
	s_cbranch_execz .LBB60_375
; %bb.374:
	s_clause 0x1
	buffer_load_dword v2, off, s[0:3], 0 offset:16
	buffer_load_dword v3, off, s[0:3], 0 offset:20
	buffer_store_dword v1, off, s[0:3], 0 offset:16
	buffer_store_dword v1, off, s[0:3], 0 offset:20
	s_waitcnt vmcnt(0)
	ds_write_b64 v135, v[2:3]
.LBB60_375:
	s_or_b32 exec_lo, exec_lo, s4
	s_waitcnt lgkmcnt(0)
	s_waitcnt_vscnt null, 0x0
	s_barrier
	buffer_gl0_inv
	s_clause 0x3c
	buffer_load_dword v170, off, s[0:3], 0 offset:28
	buffer_load_dword v171, off, s[0:3], 0 offset:36
	;; [unrolled: 1-line block ×61, first 2 shown]
	ds_read2_b64 v[184:187], v1 offset0:65 offset1:66
	ds_read2_b64 v[188:191], v1 offset0:67 offset1:68
	s_mov_b32 s4, exec_lo
	s_waitcnt vmcnt(60) lgkmcnt(1)
	v_mul_f32_e32 v180, v184, v170
	v_mul_f32_e32 v195, v185, v170
	s_waitcnt vmcnt(59)
	v_mul_f32_e32 v170, v186, v171
	v_mul_f32_e32 v196, v187, v171
	buffer_load_dword v171, off, s[0:3], 0 offset:20
	s_waitcnt vmcnt(57)
	v_fmac_f32_e32 v180, v185, v6
	v_fma_f32 v195, v184, v6, -v195
	v_fmac_f32_e32 v170, v187, v5
	v_fma_f32 v196, v186, v5, -v196
	ds_read2_b64 v[184:187], v1 offset0:69 offset1:70
	s_waitcnt vmcnt(56) lgkmcnt(1)
	v_mul_f32_e32 v197, v188, v4
	v_mul_f32_e32 v4, v189, v4
	s_waitcnt vmcnt(55)
	v_mul_f32_e32 v198, v190, v3
	v_mul_f32_e32 v3, v191, v3
	v_fmac_f32_e32 v197, v189, v2
	v_fma_f32 v188, v188, v2, -v4
	s_waitcnt vmcnt(51)
	v_fmac_f32_e32 v198, v191, v137
	v_fma_f32 v137, v190, v137, -v3
	ds_read2_b64 v[2:5], v1 offset0:71 offset1:72
	s_waitcnt vmcnt(50) lgkmcnt(1)
	v_mul_f32_e32 v189, v184, v136
	v_mul_f32_e32 v6, v185, v136
	s_waitcnt vmcnt(49)
	v_mul_f32_e32 v136, v186, v12
	v_mul_f32_e32 v12, v187, v12
	v_fmac_f32_e32 v189, v185, v11
	v_fma_f32 v11, v184, v11, -v6
	v_fmac_f32_e32 v136, v187, v8
	v_fma_f32 v12, v186, v8, -v12
	ds_read2_b64 v[184:187], v1 offset0:73 offset1:74
	s_waitcnt vmcnt(48) lgkmcnt(1)
	v_mul_f32_e32 v190, v2, v10
	v_mul_f32_e32 v6, v3, v10
	s_waitcnt vmcnt(47)
	v_mul_f32_e32 v10, v4, v9
	v_mul_f32_e32 v8, v5, v9
	v_fmac_f32_e32 v190, v3, v7
	v_fma_f32 v191, v2, v7, -v6
	s_waitcnt vmcnt(43)
	v_fmac_f32_e32 v10, v5, v169
	v_fma_f32 v169, v4, v169, -v8
	ds_read2_b64 v[2:5], v1 offset0:75 offset1:76
	s_waitcnt vmcnt(42) lgkmcnt(1)
	v_mul_f32_e32 v199, v184, v168
	v_mul_f32_e32 v6, v185, v168
	s_waitcnt vmcnt(41)
	v_mul_f32_e32 v168, v186, v167
	v_mul_f32_e32 v7, v187, v167
	v_fmac_f32_e32 v199, v185, v162
	v_fma_f32 v162, v184, v162, -v6
	v_fmac_f32_e32 v168, v187, v157
	v_fma_f32 v157, v186, v157, -v7
	ds_read2_b64 v[6:9], v1 offset0:77 offset1:78
	s_waitcnt vmcnt(40) lgkmcnt(1)
	v_mul_f32_e32 v167, v2, v161
	v_mul_f32_e32 v161, v3, v161
	s_waitcnt vmcnt(39)
	v_mul_f32_e32 v184, v4, v159
	v_mul_f32_e32 v159, v5, v159
	buffer_load_dword v185, off, s[0:3], 0 offset:268
	v_fmac_f32_e32 v167, v3, v145
	v_fma_f32 v145, v2, v145, -v161
	s_waitcnt vmcnt(36)
	v_fmac_f32_e32 v184, v5, v166
	v_fma_f32 v159, v4, v166, -v159
	ds_read2_b64 v[2:5], v1 offset0:79 offset1:80
	s_waitcnt vmcnt(35) lgkmcnt(1)
	v_mul_f32_e32 v161, v6, v165
	v_mul_f32_e32 v165, v7, v165
	s_waitcnt vmcnt(34)
	v_mul_f32_e32 v166, v8, v164
	v_mul_f32_e32 v164, v9, v164
	v_fmac_f32_e32 v161, v7, v155
	v_fma_f32 v155, v6, v155, -v165
	v_fmac_f32_e32 v166, v9, v150
	v_fma_f32 v150, v8, v150, -v164
	ds_read2_b64 v[6:9], v1 offset0:81 offset1:82
	s_waitcnt vmcnt(33) lgkmcnt(1)
	v_mul_f32_e32 v164, v2, v154
	v_mul_f32_e32 v154, v3, v154
	s_waitcnt vmcnt(32)
	v_mul_f32_e32 v165, v4, v152
	v_mul_f32_e32 v152, v5, v152
	v_fmac_f32_e32 v164, v3, v140
	v_fma_f32 v140, v2, v140, -v154
	s_waitcnt vmcnt(28)
	v_fmac_f32_e32 v165, v5, v163
	v_fma_f32 v152, v4, v163, -v152
	ds_read2_b64 v[2:5], v1 offset0:83 offset1:84
	s_waitcnt vmcnt(27) lgkmcnt(1)
	v_mul_f32_e32 v154, v6, v160
	v_mul_f32_e32 v160, v7, v160
	s_waitcnt vmcnt(26)
	v_mul_f32_e32 v163, v8, v158
	v_mul_f32_e32 v158, v9, v158
	v_fmac_f32_e32 v154, v7, v149
	v_fma_f32 v149, v6, v149, -v160
	v_fmac_f32_e32 v163, v9, v146
	v_fma_f32 v146, v8, v146, -v158
	ds_read2_b64 v[6:9], v1 offset0:85 offset1:86
	s_waitcnt vmcnt(25) lgkmcnt(1)
	v_mul_f32_e32 v158, v2, v148
	v_mul_f32_e32 v148, v3, v148
	s_waitcnt vmcnt(24)
	v_mul_f32_e32 v160, v4, v147
	v_mul_f32_e32 v147, v5, v147
	;; [unrolled: 23-line block ×4, first 2 shown]
	v_fmac_f32_e32 v177, v3, v172
	v_fma_f32 v172, v2, v172, -v175
	s_waitcnt vmcnt(4)
	v_fmac_f32_e32 v178, v5, v192
	v_fma_f32 v174, v4, v192, -v174
	ds_read2_b64 v[2:5], v1 offset0:95 offset1:96
	s_waitcnt vmcnt(3) lgkmcnt(1)
	v_mul_f32_e32 v175, v6, v193
	v_mul_f32_e32 v186, v7, v193
	buffer_load_dword v193, off, s[0:3], 0 offset:276
	s_waitcnt vmcnt(3)
	v_mul_f32_e32 v187, v8, v194
	v_mul_f32_e32 v192, v9, v194
	v_fmac_f32_e32 v175, v7, v183
	v_fma_f32 v183, v6, v183, -v186
	v_fmac_f32_e32 v187, v9, v182
	v_fma_f32 v182, v8, v182, -v192
	s_clause 0x4
	buffer_load_dword v186, off, s[0:3], 0 offset:296
	buffer_load_dword v192, off, s[0:3], 0 offset:288
	;; [unrolled: 1-line block ×5, first 2 shown]
	s_waitcnt vmcnt(6) lgkmcnt(0)
	v_mul_f32_e32 v201, v2, v185
	v_mul_f32_e32 v7, v3, v185
	v_fmac_f32_e32 v201, v3, v181
	v_fma_f32 v181, v2, v181, -v7
	s_waitcnt vmcnt(5)
	v_mul_f32_e32 v185, v4, v193
	v_mul_f32_e32 v2, v5, v193
	s_waitcnt vmcnt(1)
	v_fmac_f32_e32 v185, v5, v6
	v_fma_f32 v193, v4, v6, -v2
	ds_read2_b64 v[2:5], v1 offset0:97 offset1:98
	ds_read2_b64 v[6:9], v1 offset0:99 offset1:100
	s_waitcnt vmcnt(0) lgkmcnt(1)
	v_mul_f32_e32 v202, v2, v200
	v_mul_f32_e32 v200, v3, v200
	v_fmac_f32_e32 v202, v3, v194
	v_fma_f32 v194, v2, v194, -v200
	s_clause 0x1
	buffer_load_dword v2, off, s[0:3], 0 offset:292
	buffer_load_dword v3, off, s[0:3], 0 offset:300
	s_waitcnt vmcnt(1)
	v_mul_f32_e32 v200, v4, v2
	v_mul_f32_e32 v2, v5, v2
	v_fmac_f32_e32 v200, v5, v192
	v_fma_f32 v192, v4, v192, -v2
	v_add_f32_e32 v2, 0, v195
	v_add_f32_e32 v4, 0, v180
	;; [unrolled: 1-line block ×4, first 2 shown]
	buffer_load_dword v170, off, s[0:3], 0 offset:308
	v_add_f32_e32 v2, v2, v188
	v_add_f32_e32 v4, v4, v197
	;; [unrolled: 1-line block ×3, first 2 shown]
	s_clause 0x3
	buffer_load_dword v180, off, s[0:3], 0 offset:328
	buffer_load_dword v188, off, s[0:3], 0 offset:320
	;; [unrolled: 1-line block ×4, first 2 shown]
	v_add_f32_e32 v4, v4, v198
	v_add_f32_e32 v2, v2, v11
	buffer_load_dword v11, off, s[0:3], 0 offset:316
	v_add_f32_e32 v4, v4, v189
	v_add_f32_e32 v2, v2, v12
	s_clause 0x1
	buffer_load_dword v12, off, s[0:3], 0 offset:324
	buffer_load_dword v189, off, s[0:3], 0 offset:332
	v_add_f32_e32 v4, v4, v136
	v_add_f32_e32 v2, v2, v191
	s_clause 0x1
	buffer_load_dword v191, off, s[0:3], 0 offset:340
	buffer_load_dword v196, off, s[0:3], 0 offset:348
	v_add_f32_e32 v4, v4, v190
	v_add_f32_e32 v2, v2, v169
	;; [unrolled: 1-line block ×4, first 2 shown]
	s_clause 0x3
	buffer_load_dword v10, off, s[0:3], 0 offset:360
	buffer_load_dword v162, off, s[0:3], 0 offset:352
	;; [unrolled: 1-line block ×4, first 2 shown]
	v_add_f32_e32 v4, v4, v199
	v_add_f32_e32 v2, v2, v157
	buffer_load_dword v157, off, s[0:3], 0 offset:356
	v_add_f32_e32 v4, v4, v168
	s_clause 0x1
	buffer_load_dword v168, off, s[0:3], 0 offset:364
	buffer_load_dword v197, off, s[0:3], 0 offset:372
	v_add_f32_e32 v2, v2, v145
	v_add_f32_e32 v4, v4, v167
	;; [unrolled: 1-line block ×4, first 2 shown]
	s_clause 0x3
	buffer_load_dword v159, off, s[0:3], 0 offset:392
	buffer_load_dword v167, off, s[0:3], 0 offset:384
	;; [unrolled: 1-line block ×4, first 2 shown]
	v_add_f32_e32 v2, v2, v155
	v_add_f32_e32 v4, v4, v161
	buffer_load_dword v161, off, s[0:3], 0 offset:380
	v_add_f32_e32 v2, v2, v150
	v_add_f32_e32 v4, v4, v166
	buffer_load_dword v166, off, s[0:3], 0 offset:388
	v_add_f32_e32 v2, v2, v140
	v_add_f32_e32 v4, v4, v164
	s_clause 0x2
	buffer_load_dword v164, off, s[0:3], 0 offset:396
	buffer_load_dword v199, off, s[0:3], 0 offset:404
	;; [unrolled: 1-line block ×3, first 2 shown]
	v_add_f32_e32 v2, v2, v152
	v_add_f32_e32 v4, v4, v165
	s_clause 0x2
	buffer_load_dword v165, off, s[0:3], 0 offset:420
	buffer_load_dword v204, off, s[0:3], 0 offset:428
	;; [unrolled: 1-line block ×3, first 2 shown]
	v_add_f32_e32 v2, v2, v149
	buffer_load_dword v206, off, s[0:3], 0 offset:444
	v_add_f32_e32 v4, v4, v154
	s_clause 0x2
	buffer_load_dword v207, off, s[0:3], 0 offset:452
	buffer_load_dword v208, off, s[0:3], 0 offset:460
	;; [unrolled: 1-line block ×3, first 2 shown]
	v_add_f32_e32 v2, v2, v146
	v_add_f32_e32 v4, v4, v163
	buffer_load_dword v163, off, s[0:3], 0 offset:468
	v_add_f32_e32 v2, v2, v139
	v_add_f32_e32 v4, v4, v158
	buffer_load_dword v158, off, s[0:3], 0 offset:484
	v_add_f32_e32 v2, v2, v147
	v_add_f32_e32 v4, v4, v160
	s_clause 0x3
	buffer_load_dword v160, off, s[0:3], 0 offset:424
	buffer_load_dword v210, off, s[0:3], 0 offset:416
	;; [unrolled: 1-line block ×4, first 2 shown]
	v_add_f32_e32 v2, v2, v144
	v_add_f32_e32 v4, v4, v148
	s_waitcnt vmcnt(39) lgkmcnt(0)
	v_mul_f32_e32 v148, v6, v3
	v_mul_f32_e32 v3, v7, v3
	v_add_f32_e32 v2, v2, v141
	v_add_f32_e32 v4, v4, v156
	s_clause 0x3
	buffer_load_dword v156, off, s[0:3], 0 offset:456
	buffer_load_dword v213, off, s[0:3], 0 offset:448
	;; [unrolled: 1-line block ×4, first 2 shown]
	v_fmac_f32_e32 v148, v7, v186
	v_add_f32_e32 v2, v2, v138
	v_fma_f32 v149, v6, v186, -v3
	v_add_f32_e32 v4, v4, v151
	v_add_f32_e32 v2, v2, v142
	v_add_f32_e32 v4, v4, v153
	v_add_f32_e32 v2, v2, v176
	s_clause 0x3
	buffer_load_dword v176, off, s[0:3], 0 offset:480
	buffer_load_dword v216, off, s[0:3], 0 offset:472
	;; [unrolled: 1-line block ×4, first 2 shown]
	v_add_f32_e32 v4, v4, v143
	v_add_f32_e32 v2, v2, v173
	;; [unrolled: 1-line block ×5, first 2 shown]
	ds_read2_b64 v[2:5], v1 offset0:101 offset1:102
	v_add_f32_e32 v136, v6, v174
	v_add_f32_e32 v140, v136, v183
	;; [unrolled: 1-line block ×4, first 2 shown]
	s_waitcnt vmcnt(46)
	v_mul_f32_e32 v152, v8, v170
	v_mul_f32_e32 v6, v9, v170
	s_waitcnt vmcnt(42)
	v_fmac_f32_e32 v152, v9, v137
	v_fma_f32 v153, v8, v137, -v6
	v_add_f32_e32 v137, v7, v178
	ds_read2_b64 v[6:9], v1 offset0:103 offset1:104
	s_waitcnt vmcnt(41) lgkmcnt(1)
	v_mul_f32_e32 v154, v2, v11
	v_mul_f32_e32 v11, v3, v11
	v_add_f32_e32 v141, v137, v175
	ds_read2_b64 v[136:139], v1 offset0:105 offset1:106
	s_waitcnt vmcnt(40)
	v_mul_f32_e32 v170, v4, v12
	v_fmac_f32_e32 v154, v3, v195
	v_fma_f32 v11, v2, v195, -v11
	v_add_f32_e32 v141, v141, v187
	v_add_f32_e32 v3, v144, v193
	v_mul_f32_e32 v12, v5, v12
	v_fmac_f32_e32 v170, v5, v188
	v_add_f32_e32 v2, v141, v201
	ds_read2_b64 v[140:143], v1 offset0:107 offset1:108
	v_add_f32_e32 v3, v3, v194
	v_fma_f32 v12, v4, v188, -v12
	v_add_f32_e32 v2, v2, v185
	s_waitcnt vmcnt(39) lgkmcnt(2)
	v_mul_f32_e32 v144, v7, v189
	v_mul_f32_e32 v172, v6, v189
	s_waitcnt vmcnt(38)
	v_mul_f32_e32 v150, v9, v191
	v_mul_f32_e32 v173, v8, v191
	v_add_f32_e32 v2, v2, v202
	s_waitcnt vmcnt(37) lgkmcnt(1)
	v_mul_f32_e32 v174, v136, v196
	v_fma_f32 v175, v6, v180, -v144
	v_add_f32_e32 v6, v3, v192
	v_fmac_f32_e32 v172, v7, v180
	v_add_f32_e32 v7, v2, v200
	v_mul_f32_e32 v151, v137, v196
	s_waitcnt vmcnt(34)
	v_fmac_f32_e32 v174, v137, v169
	v_add_f32_e32 v137, v6, v149
	s_waitcnt vmcnt(32)
	v_mul_f32_e32 v178, v138, v157
	v_fma_f32 v177, v8, v190, -v150
	v_fma_f32 v169, v136, v169, -v151
	v_add_f32_e32 v136, v7, v148
	v_add_f32_e32 v137, v137, v153
	v_mul_f32_e32 v153, v139, v157
	s_waitcnt vmcnt(31) lgkmcnt(0)
	v_mul_f32_e32 v157, v140, v168
	ds_read2_b64 v[2:5], v1 offset0:109 offset1:110
	ds_read2_b64 v[144:147], v1 offset0:111 offset1:112
	v_add_f32_e32 v136, v136, v152
	v_add_f32_e32 v11, v137, v11
	v_mul_f32_e32 v137, v141, v168
	s_waitcnt vmcnt(30)
	v_mul_f32_e32 v168, v143, v197
	v_fmac_f32_e32 v157, v141, v10
	v_fmac_f32_e32 v173, v9, v190
	v_add_f32_e32 v11, v11, v12
	v_fma_f32 v10, v140, v10, -v137
	v_add_f32_e32 v140, v136, v154
	s_waitcnt vmcnt(26)
	v_fma_f32 v12, v142, v198, -v168
	v_fmac_f32_e32 v178, v139, v162
	v_add_f32_e32 v11, v11, v175
	v_fma_f32 v162, v138, v162, -v153
	v_add_f32_e32 v168, v140, v170
	v_mul_f32_e32 v179, v142, v197
	ds_read2_b64 v[6:9], v1 offset0:113 offset1:114
	ds_read2_b64 v[148:151], v1 offset0:115 offset1:116
	v_add_f32_e32 v11, v11, v177
	ds_read2_b64 v[136:139], v1 offset0:117 offset1:118
	ds_read2_b64 v[152:155], v1 offset0:119 offset1:120
	v_add_f32_e32 v168, v168, v172
	v_fmac_f32_e32 v179, v143, v198
	ds_read2_b64 v[140:143], v1 offset0:121 offset1:122
	v_add_f32_e32 v11, v11, v169
	s_waitcnt vmcnt(25) lgkmcnt(6)
	v_mul_f32_e32 v1, v2, v161
	v_add_f32_e32 v168, v168, v173
	v_mul_f32_e32 v161, v3, v161
	s_waitcnt vmcnt(24)
	v_mul_f32_e32 v170, v4, v166
	v_add_f32_e32 v11, v11, v162
	v_mul_f32_e32 v166, v5, v166
	v_add_f32_e32 v168, v168, v174
	v_fma_f32 v2, v2, v184, -v161
	v_fmac_f32_e32 v1, v3, v184
	v_add_f32_e32 v10, v11, v10
	v_fma_f32 v4, v4, v167, -v166
	v_add_f32_e32 v168, v168, v178
	s_waitcnt vmcnt(23) lgkmcnt(5)
	v_mul_f32_e32 v172, v144, v164
	v_fmac_f32_e32 v170, v5, v167
	v_add_f32_e32 v10, v10, v12
	s_waitcnt vmcnt(22)
	v_mul_f32_e32 v5, v147, v199
	v_add_f32_e32 v157, v168, v157
	v_mul_f32_e32 v173, v146, v199
	v_fmac_f32_e32 v172, v145, v159
	v_add_f32_e32 v2, v10, v2
	s_waitcnt vmcnt(8)
	v_fma_f32 v5, v146, v212, -v5
	v_add_f32_e32 v12, v157, v179
	v_mul_f32_e32 v157, v145, v164
	s_waitcnt lgkmcnt(4)
	v_mul_f32_e32 v175, v6, v203
	v_add_f32_e32 v2, v2, v4
	v_mul_f32_e32 v4, v7, v203
	v_add_f32_e32 v1, v12, v1
	v_fma_f32 v10, v144, v159, -v157
	v_fmac_f32_e32 v173, v147, v212
	v_mul_f32_e32 v169, v8, v165
	v_fma_f32 v4, v6, v211, -v4
	v_add_f32_e32 v1, v1, v170
	v_add_f32_e32 v2, v2, v10
	v_mul_f32_e32 v10, v9, v165
	v_fmac_f32_e32 v175, v7, v211
	s_waitcnt lgkmcnt(3)
	v_mul_f32_e32 v174, v148, v204
	v_add_f32_e32 v1, v1, v172
	v_add_f32_e32 v2, v2, v5
	v_mul_f32_e32 v5, v149, v204
	v_fma_f32 v6, v8, v210, -v10
	v_fmac_f32_e32 v169, v9, v210
	v_add_f32_e32 v1, v1, v173
	v_add_f32_e32 v2, v2, v4
	v_mul_f32_e32 v4, v151, v205
	v_fma_f32 v5, v148, v160, -v5
	v_mul_f32_e32 v177, v150, v205
	v_add_f32_e32 v1, v1, v175
	v_add_f32_e32 v2, v2, v6
	v_fmac_f32_e32 v174, v149, v160
	s_waitcnt lgkmcnt(2)
	v_mul_f32_e32 v6, v137, v206
	s_waitcnt vmcnt(4)
	v_fma_f32 v4, v150, v215, -v4
	v_add_f32_e32 v1, v1, v169
	v_add_f32_e32 v2, v2, v5
	v_mul_f32_e32 v162, v136, v206
	v_fmac_f32_e32 v177, v151, v215
	v_mul_f32_e32 v5, v139, v207
	v_add_f32_e32 v1, v1, v174
	v_fma_f32 v6, v136, v214, -v6
	v_add_f32_e32 v2, v2, v4
	v_mul_f32_e32 v178, v138, v207
	v_fmac_f32_e32 v162, v137, v214
	v_add_f32_e32 v1, v1, v177
	s_waitcnt lgkmcnt(1)
	v_mul_f32_e32 v4, v153, v208
	v_fma_f32 v5, v138, v213, -v5
	v_add_f32_e32 v2, v2, v6
	v_mul_f32_e32 v180, v152, v208
	v_fmac_f32_e32 v178, v139, v213
	v_add_f32_e32 v1, v1, v162
	v_mul_f32_e32 v6, v155, v163
	v_fma_f32 v4, v152, v156, -v4
	v_add_f32_e32 v2, v2, v5
	v_mul_f32_e32 v11, v154, v163
	v_fmac_f32_e32 v180, v153, v156
	v_add_f32_e32 v1, v1, v178
	s_waitcnt lgkmcnt(0)
	v_mul_f32_e32 v5, v141, v209
	s_waitcnt vmcnt(1)
	v_fma_f32 v6, v154, v217, -v6
	v_add_f32_e32 v2, v2, v4
	v_mul_f32_e32 v168, v140, v209
	v_fmac_f32_e32 v11, v155, v217
	v_add_f32_e32 v1, v1, v180
	v_mul_f32_e32 v4, v143, v158
	v_fma_f32 v5, v140, v216, -v5
	v_add_f32_e32 v2, v2, v6
	v_mul_f32_e32 v3, v142, v158
	v_fmac_f32_e32 v168, v141, v216
	v_add_f32_e32 v1, v1, v11
	v_fma_f32 v4, v142, v176, -v4
	v_add_f32_e32 v2, v2, v5
	v_fmac_f32_e32 v3, v143, v176
	v_add_f32_e32 v1, v1, v168
	v_add_f32_e32 v2, v2, v4
	;; [unrolled: 1-line block ×3, first 2 shown]
	s_waitcnt vmcnt(0)
	v_sub_f32_e32 v2, v218, v2
	v_sub_f32_e32 v1, v171, v1
	buffer_store_dword v2, off, s[0:3], 0 offset:16
	buffer_store_dword v1, off, s[0:3], 0 offset:20
	v_cmpx_lt_u32_e32 1, v0
	s_cbranch_execz .LBB60_377
; %bb.376:
	s_clause 0x1
	buffer_load_dword v1, off, s[0:3], 0 offset:8
	buffer_load_dword v2, off, s[0:3], 0 offset:12
	v_mov_b32_e32 v3, 0
	buffer_store_dword v3, off, s[0:3], 0 offset:8
	buffer_store_dword v3, off, s[0:3], 0 offset:12
	s_waitcnt vmcnt(0)
	ds_write_b64 v135, v[1:2]
.LBB60_377:
	s_or_b32 exec_lo, exec_lo, s4
	s_waitcnt lgkmcnt(0)
	s_waitcnt_vscnt null, 0x0
	s_barrier
	buffer_gl0_inv
	s_clause 0x34
	buffer_load_dword v11, off, s[0:3], 0 offset:20
	buffer_load_dword v10, off, s[0:3], 0 offset:28
	;; [unrolled: 1-line block ×53, first 2 shown]
	v_mov_b32_e32 v9, 0
	ds_read_b128 v[189:192], v9 offset:512
	ds_read_b128 v[5:8], v9 offset:528
	;; [unrolled: 1-line block ×3, first 2 shown]
	s_clause 0x2
	buffer_load_dword v182, off, s[0:3], 0 offset:228
	buffer_load_dword v181, off, s[0:3], 0 offset:236
	;; [unrolled: 1-line block ×3, first 2 shown]
	ds_read_b128 v[193:196], v9 offset:560
	s_mov_b32 s4, exec_lo
	s_waitcnt vmcnt(55) lgkmcnt(3)
	v_mul_f32_e32 v197, v189, v11
	v_mul_f32_e32 v11, v190, v11
	s_waitcnt vmcnt(54)
	v_mul_f32_e32 v198, v191, v10
	v_mul_f32_e32 v10, v192, v10
	s_waitcnt vmcnt(51)
	v_fmac_f32_e32 v197, v190, v139
	v_fma_f32 v11, v189, v139, -v11
	v_fmac_f32_e32 v198, v192, v136
	v_fma_f32 v10, v191, v136, -v10
	ds_read_b128 v[189:192], v9 offset:576
	s_waitcnt vmcnt(50) lgkmcnt(3)
	v_mul_f32_e32 v199, v5, v138
	v_mul_f32_e32 v138, v6, v138
	s_waitcnt vmcnt(49)
	v_mul_f32_e32 v200, v7, v137
	v_mul_f32_e32 v136, v8, v137
	s_waitcnt vmcnt(48) lgkmcnt(2)
	v_mul_f32_e32 v201, v1, v140
	v_fmac_f32_e32 v199, v6, v12
	v_fma_f32 v12, v5, v12, -v138
	v_mul_f32_e32 v137, v2, v140
	s_waitcnt vmcnt(44)
	v_fmac_f32_e32 v200, v8, v148
	v_fma_f32 v148, v7, v148, -v136
	ds_read_b128 v[5:8], v9 offset:592
	s_waitcnt vmcnt(43)
	v_mul_f32_e32 v202, v3, v147
	v_mul_f32_e32 v136, v4, v147
	v_fmac_f32_e32 v201, v2, v145
	v_fma_f32 v145, v1, v145, -v137
	s_waitcnt vmcnt(42) lgkmcnt(2)
	v_mul_f32_e32 v147, v193, v146
	v_mul_f32_e32 v137, v194, v146
	v_fmac_f32_e32 v202, v4, v143
	v_fma_f32 v146, v3, v143, -v136
	ds_read_b128 v[1:4], v9 offset:608
	s_waitcnt vmcnt(41)
	v_mul_f32_e32 v203, v195, v144
	v_mul_f32_e32 v136, v196, v144
	v_fmac_f32_e32 v147, v194, v141
	v_fma_f32 v144, v193, v141, -v137
	s_waitcnt vmcnt(40) lgkmcnt(2)
	v_mul_f32_e32 v193, v189, v142
	v_mul_f32_e32 v140, v190, v142
	s_waitcnt vmcnt(36)
	v_fmac_f32_e32 v203, v196, v177
	v_fma_f32 v177, v195, v177, -v136
	ds_read_b128 v[136:139], v9 offset:624
	s_waitcnt vmcnt(35)
	v_mul_f32_e32 v194, v191, v176
	v_mul_f32_e32 v141, v192, v176
	v_fmac_f32_e32 v193, v190, v170
	v_fma_f32 v170, v189, v170, -v140
	s_waitcnt vmcnt(34) lgkmcnt(2)
	v_mul_f32_e32 v176, v5, v171
	v_fmac_f32_e32 v194, v192, v162
	v_fma_f32 v162, v191, v162, -v141
	ds_read_b128 v[140:143], v9 offset:640
	v_mul_f32_e32 v171, v6, v171
	s_waitcnt vmcnt(33)
	v_mul_f32_e32 v189, v7, v165
	v_mul_f32_e32 v165, v8, v165
	v_fmac_f32_e32 v176, v6, v154
	v_fma_f32 v154, v5, v154, -v171
	s_waitcnt vmcnt(32) lgkmcnt(2)
	v_mul_f32_e32 v171, v1, v173
	v_mul_f32_e32 v173, v2, v173
	s_waitcnt vmcnt(28)
	v_fmac_f32_e32 v189, v8, v179
	v_fma_f32 v165, v7, v179, -v165
	s_waitcnt vmcnt(27)
	v_mul_f32_e32 v179, v3, v178
	v_mul_f32_e32 v178, v4, v178
	ds_read_b128 v[5:8], v9 offset:656
	v_fmac_f32_e32 v171, v2, v172
	v_fma_f32 v172, v1, v172, -v173
	s_waitcnt vmcnt(26) lgkmcnt(2)
	v_mul_f32_e32 v173, v136, v174
	v_mul_f32_e32 v174, v137, v174
	v_fmac_f32_e32 v179, v4, v166
	v_fma_f32 v166, v3, v166, -v178
	s_waitcnt vmcnt(25)
	v_mul_f32_e32 v178, v138, v169
	v_mul_f32_e32 v169, v139, v169
	ds_read_b128 v[1:4], v9 offset:672
	v_fmac_f32_e32 v173, v137, v158
	v_fma_f32 v158, v136, v158, -v174
	s_waitcnt vmcnt(24) lgkmcnt(2)
	v_mul_f32_e32 v174, v140, v167
	v_mul_f32_e32 v136, v141, v167
	s_waitcnt vmcnt(20)
	v_fmac_f32_e32 v178, v139, v175
	v_fma_f32 v167, v138, v175, -v169
	s_clause 0x3
	buffer_load_dword v169, off, s[0:3], 0 offset:256
	buffer_load_dword v175, off, s[0:3], 0 offset:248
	;; [unrolled: 1-line block ×4, first 2 shown]
	v_fmac_f32_e32 v174, v141, v161
	v_fma_f32 v140, v140, v161, -v136
	s_waitcnt vmcnt(23)
	v_mul_f32_e32 v192, v142, v168
	s_waitcnt vmcnt(22) lgkmcnt(1)
	v_mul_f32_e32 v141, v5, v163
	v_mul_f32_e32 v161, v6, v163
	;; [unrolled: 1-line block ×3, first 2 shown]
	buffer_load_dword v168, off, s[0:3], 0 offset:268
	v_fmac_f32_e32 v192, v143, v155
	v_fmac_f32_e32 v141, v6, v150
	v_fma_f32 v150, v5, v150, -v161
	v_fma_f32 v142, v142, v155, -v137
	ds_read_b128 v[136:139], v9 offset:688
	s_waitcnt vmcnt(16) lgkmcnt(1)
	v_mul_f32_e32 v161, v3, v160
	v_mul_f32_e32 v160, v4, v160
	;; [unrolled: 1-line block ×6, first 2 shown]
	buffer_load_dword v157, off, s[0:3], 0 offset:244
	v_fmac_f32_e32 v161, v4, v151
	v_fma_f32 v151, v3, v151, -v160
	buffer_load_dword v160, off, s[0:3], 0 offset:252
	v_fmac_f32_e32 v143, v8, v164
	v_fma_f32 v155, v7, v164, -v155
	v_fmac_f32_e32 v159, v2, v156
	v_fma_f32 v156, v1, v156, -v5
	ds_read_b128 v[5:8], v9 offset:704
	s_waitcnt vmcnt(17) lgkmcnt(1)
	v_mul_f32_e32 v163, v136, v153
	v_mul_f32_e32 v1, v137, v153
	s_waitcnt vmcnt(16)
	v_mul_f32_e32 v153, v138, v152
	v_mul_f32_e32 v2, v139, v152
	buffer_load_dword v152, off, s[0:3], 0 offset:260
	v_fmac_f32_e32 v163, v137, v149
	v_fma_f32 v136, v136, v149, -v1
	s_waitcnt vmcnt(13)
	v_fmac_f32_e32 v153, v139, v187
	v_fma_f32 v137, v138, v187, -v2
	ds_read_b128 v[1:4], v9 offset:720
	s_waitcnt vmcnt(12) lgkmcnt(1)
	v_mul_f32_e32 v138, v5, v186
	v_mul_f32_e32 v139, v6, v186
	s_waitcnt vmcnt(11)
	v_mul_f32_e32 v149, v7, v185
	v_mul_f32_e32 v164, v8, v185
	v_fmac_f32_e32 v138, v6, v184
	v_fma_f32 v139, v5, v184, -v139
	v_fmac_f32_e32 v149, v8, v183
	v_fma_f32 v164, v7, v183, -v164
	s_clause 0x5
	buffer_load_dword v183, off, s[0:3], 0 offset:288
	buffer_load_dword v184, off, s[0:3], 0 offset:280
	;; [unrolled: 1-line block ×6, first 2 shown]
	v_add_f32_e32 v5, 0, v11
	v_add_f32_e32 v6, 0, v197
	buffer_load_dword v11, off, s[0:3], 0 offset:300
	s_waitcnt vmcnt(17) lgkmcnt(0)
	v_mul_f32_e32 v7, v2, v182
	v_add_f32_e32 v5, v5, v10
	buffer_load_dword v10, off, s[0:3], 0 offset:292
	v_add_f32_e32 v6, v6, v198
	s_waitcnt vmcnt(17)
	v_mul_f32_e32 v8, v4, v181
	v_add_f32_e32 v5, v5, v12
	v_mul_f32_e32 v12, v1, v182
	v_add_f32_e32 v6, v6, v199
	;; [unrolled: 2-line block ×3, first 2 shown]
	v_fmac_f32_e32 v12, v2, v180
	v_fma_f32 v148, v1, v180, -v7
	v_add_f32_e32 v6, v6, v200
	v_add_f32_e32 v5, v5, v145
	s_clause 0x3
	buffer_load_dword v145, off, s[0:3], 0 offset:320
	buffer_load_dword v180, off, s[0:3], 0 offset:312
	buffer_load_dword v181, off, s[0:3], 0 offset:304
	buffer_load_dword v196, off, s[0:3], 0 offset:296
	v_add_f32_e32 v6, v6, v201
	v_add_f32_e32 v5, v5, v146
	buffer_load_dword v146, off, s[0:3], 0 offset:308
	v_add_f32_e32 v6, v6, v202
	v_add_f32_e32 v5, v5, v144
	;; [unrolled: 1-line block ×8, first 2 shown]
	s_waitcnt vmcnt(17)
	v_fmac_f32_e32 v182, v4, v191
	v_fma_f32 v191, v3, v191, -v8
	ds_read_b128 v[1:4], v9 offset:736
	s_clause 0x2
	buffer_load_dword v147, off, s[0:3], 0 offset:316
	buffer_load_dword v177, off, s[0:3], 0 offset:324
	;; [unrolled: 1-line block ×3, first 2 shown]
	ds_read_b128 v[5:8], v9 offset:752
	buffer_load_dword v162, off, s[0:3], 0 offset:340
	s_waitcnt vmcnt(19) lgkmcnt(1)
	v_mul_f32_e32 v170, v1, v157
	v_mul_f32_e32 v157, v2, v157
	s_waitcnt vmcnt(18)
	v_mul_f32_e32 v198, v3, v160
	v_mul_f32_e32 v160, v4, v160
	v_fmac_f32_e32 v170, v2, v190
	v_fma_f32 v157, v1, v190, -v157
	v_add_f32_e32 v1, v193, v194
	v_fmac_f32_e32 v198, v4, v175
	v_fma_f32 v160, v3, v175, -v160
	v_add_f32_e32 v2, v144, v154
	s_clause 0x3
	buffer_load_dword v154, off, s[0:3], 0 offset:352
	buffer_load_dword v175, off, s[0:3], 0 offset:344
	;; [unrolled: 1-line block ×4, first 2 shown]
	v_add_f32_e32 v1, v1, v176
	v_add_f32_e32 v144, v2, v165
	s_clause 0x2
	buffer_load_dword v165, off, s[0:3], 0 offset:348
	buffer_load_dword v176, off, s[0:3], 0 offset:356
	;; [unrolled: 1-line block ×3, first 2 shown]
	v_add_f32_e32 v189, v1, v189
	ds_read_b128 v[1:4], v9 offset:768
	v_add_f32_e32 v144, v144, v172
	s_waitcnt vmcnt(24) lgkmcnt(1)
	v_mul_f32_e32 v172, v5, v152
	v_mul_f32_e32 v152, v6, v152
	v_add_f32_e32 v171, v189, v171
	v_mul_f32_e32 v189, v7, v168
	v_mul_f32_e32 v168, v8, v168
	v_fmac_f32_e32 v172, v6, v169
	v_add_f32_e32 v6, v144, v166
	v_fma_f32 v144, v5, v169, -v152
	v_add_f32_e32 v5, v171, v179
	v_add_f32_e32 v158, v6, v158
	s_waitcnt vmcnt(20)
	v_fmac_f32_e32 v189, v8, v186
	v_add_f32_e32 v173, v5, v173
	v_fma_f32 v152, v7, v186, -v168
	s_clause 0x4
	buffer_load_dword v166, off, s[0:3], 0 offset:384
	buffer_load_dword v168, off, s[0:3], 0 offset:376
	;; [unrolled: 1-line block ×5, first 2 shown]
	v_add_f32_e32 v158, v158, v167
	s_waitcnt vmcnt(24) lgkmcnt(0)
	v_mul_f32_e32 v167, v2, v187
	v_add_f32_e32 v173, v173, v178
	v_mul_f32_e32 v186, v1, v187
	ds_read_b128 v[5:8], v9 offset:784
	v_add_f32_e32 v140, v158, v140
	v_fma_f32 v167, v1, v185, -v167
	v_add_f32_e32 v1, v173, v174
	v_fmac_f32_e32 v186, v2, v185
	s_clause 0x1
	buffer_load_dword v178, off, s[0:3], 0 offset:380
	buffer_load_dword v187, off, s[0:3], 0 offset:388
	v_add_f32_e32 v2, v140, v142
	buffer_load_dword v158, off, s[0:3], 0 offset:396
	v_add_f32_e32 v1, v1, v192
	s_waitcnt vmcnt(26)
	v_mul_f32_e32 v185, v3, v195
	v_mul_f32_e32 v140, v4, v195
	v_add_f32_e32 v2, v2, v150
	s_clause 0x1
	buffer_load_dword v173, off, s[0:3], 0 offset:404
	buffer_load_dword v174, off, s[0:3], 0 offset:412
	v_add_f32_e32 v1, v1, v141
	buffer_load_dword v192, off, s[0:3], 0 offset:420
	v_fmac_f32_e32 v185, v4, v184
	v_add_f32_e32 v2, v2, v155
	v_fma_f32 v150, v3, v184, -v140
	v_add_f32_e32 v1, v1, v143
	s_clause 0x4
	buffer_load_dword v184, off, s[0:3], 0 offset:428
	buffer_load_dword v195, off, s[0:3], 0 offset:436
	;; [unrolled: 1-line block ×5, first 2 shown]
	v_add_f32_e32 v2, v2, v156
	s_clause 0x2
	buffer_load_dword v156, off, s[0:3], 0 offset:468
	buffer_load_dword v202, off, s[0:3], 0 offset:476
	;; [unrolled: 1-line block ×3, first 2 shown]
	v_add_f32_e32 v1, v1, v159
	s_clause 0x3
	buffer_load_dword v159, off, s[0:3], 0 offset:416
	buffer_load_dword v204, off, s[0:3], 0 offset:408
	;; [unrolled: 1-line block ×4, first 2 shown]
	s_waitcnt vmcnt(39) lgkmcnt(0)
	v_mul_f32_e32 v3, v6, v10
	v_add_f32_e32 v2, v2, v151
	v_add_f32_e32 v1, v1, v161
	;; [unrolled: 1-line block ×4, first 2 shown]
	s_clause 0x3
	buffer_load_dword v161, off, s[0:3], 0 offset:448
	buffer_load_dword v163, off, s[0:3], 0 offset:440
	;; [unrolled: 1-line block ×4, first 2 shown]
	v_add_f32_e32 v2, v2, v137
	v_add_f32_e32 v1, v1, v153
	;; [unrolled: 1-line block ×5, first 2 shown]
	s_clause 0x4
	buffer_load_dword v164, off, s[0:3], 0 offset:480
	buffer_load_dword v209, off, s[0:3], 0 offset:472
	;; [unrolled: 1-line block ×5, first 2 shown]
	v_add_f32_e32 v1, v1, v149
	v_mul_f32_e32 v149, v7, v11
	v_add_f32_e32 v2, v2, v148
	v_mul_f32_e32 v148, v5, v10
	v_fma_f32 v10, v5, v183, -v3
	v_add_f32_e32 v1, v1, v12
	s_waitcnt vmcnt(44)
	v_fmac_f32_e32 v149, v8, v196
	v_add_f32_e32 v5, v2, v191
	v_fmac_f32_e32 v148, v6, v183
	v_add_f32_e32 v6, v1, v182
	ds_read_b128 v[1:4], v9 offset:800
	v_add_f32_e32 v12, v5, v157
	v_mul_f32_e32 v5, v8, v11
	v_add_f32_e32 v136, v6, v170
	v_add_f32_e32 v12, v12, v160
	v_fma_f32 v11, v7, v196, -v5
	ds_read_b128 v[5:8], v9 offset:816
	v_add_f32_e32 v140, v136, v198
	ds_read_b128 v[136:139], v9 offset:832
	v_add_f32_e32 v12, v12, v144
	v_add_f32_e32 v140, v140, v172
	;; [unrolled: 1-line block ×3, first 2 shown]
	s_waitcnt vmcnt(43) lgkmcnt(2)
	v_mul_f32_e32 v141, v2, v146
	v_mul_f32_e32 v153, v1, v146
	v_fma_f32 v152, v1, v181, -v141
	v_add_f32_e32 v1, v140, v189
	v_fmac_f32_e32 v153, v2, v181
	v_add_f32_e32 v2, v12, v167
	ds_read_b128 v[140:143], v9 offset:848
	v_add_f32_e32 v1, v1, v186
	v_add_f32_e32 v2, v2, v150
	;; [unrolled: 1-line block ×3, first 2 shown]
	s_waitcnt vmcnt(42)
	v_mul_f32_e32 v144, v4, v147
	s_waitcnt vmcnt(41) lgkmcnt(2)
	v_mul_f32_e32 v146, v6, v177
	v_mul_f32_e32 v157, v5, v177
	;; [unrolled: 1-line block ×3, first 2 shown]
	s_waitcnt vmcnt(40)
	v_mul_f32_e32 v150, v8, v197
	v_fma_f32 v155, v3, v180, -v144
	v_fma_f32 v170, v5, v145, -v146
	v_add_f32_e32 v5, v2, v10
	v_fmac_f32_e32 v157, v6, v145
	v_add_f32_e32 v6, v1, v148
	s_waitcnt vmcnt(39) lgkmcnt(1)
	v_mul_f32_e32 v10, v137, v162
	v_fmac_f32_e32 v12, v4, v180
	v_add_f32_e32 v11, v5, v11
	v_mul_f32_e32 v160, v7, v197
	v_mul_f32_e32 v167, v136, v162
	ds_read_b128 v[1:4], v9 offset:864
	ds_read_b128 v[144:147], v9 offset:880
	v_add_f32_e32 v11, v11, v152
	v_add_f32_e32 v11, v11, v155
	s_waitcnt vmcnt(36)
	v_fma_f32 v172, v136, v190, -v10
	v_add_f32_e32 v10, v6, v149
	s_waitcnt vmcnt(35)
	v_fma_f32 v162, v7, v193, -v150
	v_fmac_f32_e32 v160, v8, v193
	s_waitcnt vmcnt(34)
	v_mul_f32_e32 v177, v138, v165
	v_mul_f32_e32 v136, v139, v165
	v_add_f32_e32 v10, v10, v153
	v_fmac_f32_e32 v167, v137, v190
	s_waitcnt vmcnt(33) lgkmcnt(2)
	v_mul_f32_e32 v137, v141, v176
	v_fmac_f32_e32 v177, v139, v175
	v_fma_f32 v175, v138, v175, -v136
	v_add_f32_e32 v10, v10, v12
	v_add_f32_e32 v12, v11, v170
	v_mul_f32_e32 v165, v140, v176
	s_waitcnt vmcnt(32)
	v_mul_f32_e32 v180, v142, v194
	v_mul_f32_e32 v176, v143, v194
	v_add_f32_e32 v157, v10, v157
	v_add_f32_e32 v12, v12, v162
	v_fma_f32 v181, v140, v154, -v137
	v_fmac_f32_e32 v165, v141, v154
	ds_read_b128 v[5:8], v9 offset:896
	ds_read_b128 v[148:151], v9 offset:912
	v_add_f32_e32 v157, v157, v160
	v_add_f32_e32 v12, v12, v172
	ds_read_b128 v[136:139], v9 offset:928
	ds_read_b128 v[152:155], v9 offset:944
	s_waitcnt vmcnt(28)
	v_fmac_f32_e32 v180, v143, v171
	v_add_f32_e32 v157, v157, v167
	v_add_f32_e32 v12, v12, v175
	v_fma_f32 v170, v142, v171, -v176
	s_waitcnt vmcnt(27) lgkmcnt(5)
	v_mul_f32_e32 v171, v2, v179
	v_mul_f32_e32 v162, v1, v179
	v_add_f32_e32 v157, v157, v177
	v_add_f32_e32 v12, v12, v181
	ds_read_b128 v[140:143], v9 offset:960
	ds_read_b64 v[10:11], v9 offset:976
	v_fma_f32 v1, v1, v169, -v171
	s_waitcnt vmcnt(26)
	v_mul_f32_e32 v176, v4, v178
	v_add_f32_e32 v157, v157, v165
	v_add_f32_e32 v12, v12, v170
	v_mul_f32_e32 v160, v3, v178
	v_fmac_f32_e32 v162, v2, v169
	s_waitcnt vmcnt(25) lgkmcnt(6)
	v_mul_f32_e32 v175, v145, v187
	v_add_f32_e32 v157, v157, v180
	v_fma_f32 v3, v3, v168, -v176
	v_add_f32_e32 v1, v12, v1
	v_mul_f32_e32 v172, v144, v187
	v_fmac_f32_e32 v160, v4, v168
	v_add_f32_e32 v12, v157, v162
	s_waitcnt vmcnt(24)
	v_mul_f32_e32 v167, v146, v158
	v_mul_f32_e32 v158, v147, v158
	v_fma_f32 v144, v144, v166, -v175
	v_add_f32_e32 v1, v1, v3
	v_fmac_f32_e32 v172, v145, v166
	v_add_f32_e32 v3, v12, v160
	s_waitcnt vmcnt(23) lgkmcnt(5)
	v_mul_f32_e32 v12, v6, v173
	v_mul_f32_e32 v2, v5, v173
	s_waitcnt vmcnt(9)
	v_fma_f32 v145, v146, v206, -v158
	v_add_f32_e32 v1, v1, v144
	v_fmac_f32_e32 v167, v147, v206
	v_add_f32_e32 v3, v3, v172
	v_mul_f32_e32 v144, v8, v174
	v_fma_f32 v5, v5, v205, -v12
	v_add_f32_e32 v1, v1, v145
	v_mul_f32_e32 v169, v7, v174
	v_fmac_f32_e32 v2, v6, v205
	v_add_f32_e32 v3, v3, v167
	s_waitcnt lgkmcnt(4)
	v_mul_f32_e32 v6, v149, v192
	v_fma_f32 v7, v7, v204, -v144
	v_add_f32_e32 v1, v1, v5
	v_mul_f32_e32 v171, v148, v192
	v_fmac_f32_e32 v169, v8, v204
	v_add_f32_e32 v2, v3, v2
	v_mul_f32_e32 v3, v151, v184
	v_fma_f32 v5, v148, v159, -v6
	v_add_f32_e32 v1, v1, v7
	v_mul_f32_e32 v4, v150, v184
	v_fmac_f32_e32 v171, v149, v159
	v_add_f32_e32 v2, v2, v169
	s_waitcnt lgkmcnt(3)
	v_mul_f32_e32 v6, v137, v195
	s_waitcnt vmcnt(5)
	v_fma_f32 v3, v150, v208, -v3
	v_add_f32_e32 v1, v1, v5
	v_mul_f32_e32 v168, v136, v195
	v_fmac_f32_e32 v4, v151, v208
	v_add_f32_e32 v2, v2, v171
	v_mul_f32_e32 v5, v139, v199
	v_fma_f32 v6, v136, v207, -v6
	v_add_f32_e32 v1, v1, v3
	v_mul_f32_e32 v165, v138, v199
	v_fmac_f32_e32 v168, v137, v207
	v_add_f32_e32 v2, v2, v4
	s_waitcnt lgkmcnt(2)
	v_mul_f32_e32 v3, v153, v200
	v_fma_f32 v4, v138, v163, -v5
	v_add_f32_e32 v1, v1, v6
	v_mul_f32_e32 v176, v152, v200
	v_fmac_f32_e32 v165, v139, v163
	v_add_f32_e32 v2, v2, v168
	v_mul_f32_e32 v5, v155, v201
	v_fma_f32 v3, v152, v161, -v3
	v_add_f32_e32 v1, v1, v4
	v_mul_f32_e32 v177, v154, v201
	v_fmac_f32_e32 v176, v153, v161
	v_add_f32_e32 v2, v2, v165
	s_waitcnt lgkmcnt(1)
	v_mul_f32_e32 v4, v141, v156
	s_waitcnt vmcnt(1)
	v_fma_f32 v5, v154, v211, -v5
	v_add_f32_e32 v1, v1, v3
	v_mul_f32_e32 v170, v140, v156
	v_fmac_f32_e32 v177, v155, v211
	v_add_f32_e32 v2, v2, v176
	v_mul_f32_e32 v3, v143, v202
	v_fma_f32 v4, v140, v210, -v4
	v_add_f32_e32 v1, v1, v5
	v_mul_f32_e32 v178, v142, v202
	v_fmac_f32_e32 v170, v141, v210
	v_add_f32_e32 v2, v2, v177
	s_waitcnt lgkmcnt(0)
	v_mul_f32_e32 v5, v11, v203
	v_fma_f32 v3, v142, v209, -v3
	v_add_f32_e32 v1, v1, v4
	v_mul_f32_e32 v157, v10, v203
	v_fmac_f32_e32 v178, v143, v209
	v_add_f32_e32 v2, v2, v170
	v_fma_f32 v4, v10, v164, -v5
	v_add_f32_e32 v1, v1, v3
	v_fmac_f32_e32 v157, v11, v164
	v_add_f32_e32 v2, v2, v178
	v_add_f32_e32 v1, v1, v4
	v_add_f32_e32 v2, v2, v157
	s_waitcnt vmcnt(0)
	v_sub_f32_e32 v1, v212, v1
	v_sub_f32_e32 v2, v188, v2
	buffer_store_dword v1, off, s[0:3], 0 offset:8
	buffer_store_dword v2, off, s[0:3], 0 offset:12
	v_cmpx_ne_u32_e32 0, v0
	s_cbranch_execz .LBB60_379
; %bb.378:
	s_clause 0x1
	buffer_load_dword v0, off, s[0:3], 0
	buffer_load_dword v1, off, s[0:3], 0 offset:4
	buffer_store_dword v9, off, s[0:3], 0
	buffer_store_dword v9, off, s[0:3], 0 offset:4
	s_waitcnt vmcnt(0)
	ds_write_b64 v135, v[0:1]
.LBB60_379:
	s_or_b32 exec_lo, exec_lo, s4
	s_waitcnt lgkmcnt(0)
	s_waitcnt_vscnt null, 0x0
	s_barrier
	buffer_gl0_inv
	s_clause 0x3c
	buffer_load_dword v169, off, s[0:3], 0 offset:12
	buffer_load_dword v0, off, s[0:3], 0 offset:24
	;; [unrolled: 1-line block ×61, first 2 shown]
	ds_read2_b64 v[185:188], v9 offset0:63 offset1:64
	ds_read2_b64 v[189:192], v9 offset0:65 offset1:66
	;; [unrolled: 1-line block ×3, first 2 shown]
	s_and_b32 vcc_lo, exec_lo, s22
	s_waitcnt vmcnt(60) lgkmcnt(2)
	v_mul_f32_e32 v179, v185, v169
	v_mul_f32_e32 v197, v186, v169
	buffer_load_dword v169, off, s[0:3], 0 offset:4
	s_waitcnt vmcnt(57)
	v_mul_f32_e32 v198, v187, v4
	v_mul_f32_e32 v4, v188, v4
	v_fmac_f32_e32 v179, v186, v5
	v_fma_f32 v197, v185, v5, -v197
	s_waitcnt vmcnt(56) lgkmcnt(1)
	v_mul_f32_e32 v200, v189, v3
	v_fmac_f32_e32 v198, v188, v2
	v_fma_f32 v199, v187, v2, -v4
	v_mul_f32_e32 v185, v190, v3
	ds_read2_b64 v[2:5], v9 offset0:69 offset1:70
	v_fmac_f32_e32 v200, v190, v0
	s_waitcnt vmcnt(50) lgkmcnt(1)
	v_mul_f32_e32 v204, v193, v135
	v_mul_f32_e32 v202, v191, v1
	v_fma_f32 v201, v189, v0, -v185
	v_mul_f32_e32 v0, v192, v1
	ds_read2_b64 v[185:188], v9 offset0:71 offset1:72
	v_fmac_f32_e32 v204, v194, v11
	v_fmac_f32_e32 v202, v192, v136
	v_fma_f32 v203, v191, v136, -v0
	v_mul_f32_e32 v0, v194, v135
	ds_read2_b64 v[189:192], v9 offset0:73 offset1:74
	v_fma_f32 v11, v193, v11, -v0
	s_waitcnt vmcnt(49)
	v_mul_f32_e32 v193, v195, v12
	v_mul_f32_e32 v0, v196, v12
	s_waitcnt vmcnt(48) lgkmcnt(2)
	v_mul_f32_e32 v12, v2, v10
	s_waitcnt vmcnt(47)
	v_mul_f32_e32 v194, v4, v7
	v_fmac_f32_e32 v193, v196, v8
	v_fma_f32 v8, v195, v8, -v0
	v_mul_f32_e32 v0, v3, v10
	v_fmac_f32_e32 v12, v3, v6
	s_waitcnt vmcnt(43)
	v_fmac_f32_e32 v194, v5, v144
	s_waitcnt vmcnt(42) lgkmcnt(1)
	v_mul_f32_e32 v195, v185, v143
	v_fma_f32 v10, v2, v6, -v0
	v_mul_f32_e32 v0, v5, v7
	v_fmac_f32_e32 v195, v186, v141
	s_waitcnt vmcnt(40) lgkmcnt(0)
	v_mul_f32_e32 v135, v190, v140
	v_fma_f32 v144, v4, v144, -v0
	v_mul_f32_e32 v4, v186, v143
	ds_read2_b64 v[0:3], v9 offset0:75 offset1:76
	v_mul_f32_e32 v143, v187, v142
	v_fma_f32 v141, v185, v141, -v4
	v_mul_f32_e32 v4, v188, v142
	v_fmac_f32_e32 v143, v188, v139
	v_mul_f32_e32 v142, v189, v140
	v_fma_f32 v140, v189, v137, -v135
	s_waitcnt vmcnt(39)
	v_mul_f32_e32 v185, v191, v138
	v_fma_f32 v139, v187, v139, -v4
	ds_read2_b64 v[4:7], v9 offset0:77 offset1:78
	v_mul_f32_e32 v135, v192, v138
	v_fmac_f32_e32 v142, v190, v137
	s_waitcnt vmcnt(35)
	v_fmac_f32_e32 v185, v192, v168
	v_fma_f32 v168, v191, v168, -v135
	ds_read2_b64 v[135:138], v9 offset0:79 offset1:80
	s_waitcnt vmcnt(34) lgkmcnt(2)
	v_mul_f32_e32 v186, v0, v167
	v_mul_f32_e32 v167, v1, v167
	v_fmac_f32_e32 v186, v1, v163
	v_fma_f32 v163, v0, v163, -v167
	s_waitcnt vmcnt(33)
	v_mul_f32_e32 v167, v2, v164
	v_mul_f32_e32 v0, v3, v164
	s_waitcnt vmcnt(32) lgkmcnt(1)
	v_mul_f32_e32 v164, v4, v161
	v_mul_f32_e32 v161, v5, v161
	v_fmac_f32_e32 v167, v3, v157
	v_fma_f32 v157, v2, v157, -v0
	ds_read2_b64 v[0:3], v9 offset0:81 offset1:82
	v_fmac_f32_e32 v164, v5, v149
	v_fma_f32 v149, v4, v149, -v161
	s_waitcnt vmcnt(31)
	v_mul_f32_e32 v161, v6, v155
	v_mul_f32_e32 v4, v7, v155
	s_waitcnt vmcnt(27)
	v_fmac_f32_e32 v161, v7, v166
	v_fma_f32 v155, v6, v166, -v4
	s_waitcnt vmcnt(26) lgkmcnt(1)
	v_mul_f32_e32 v166, v135, v165
	v_mul_f32_e32 v165, v136, v165
	ds_read2_b64 v[4:7], v9 offset0:83 offset1:84
	v_fmac_f32_e32 v166, v136, v158
	v_fma_f32 v158, v135, v158, -v165
	s_waitcnt vmcnt(25)
	v_mul_f32_e32 v165, v137, v159
	v_mul_f32_e32 v135, v138, v159
	s_waitcnt vmcnt(24) lgkmcnt(1)
	v_mul_f32_e32 v159, v0, v156
	v_mul_f32_e32 v156, v1, v156
	v_fmac_f32_e32 v165, v138, v152
	v_fma_f32 v152, v137, v152, -v135
	ds_read2_b64 v[135:138], v9 offset0:85 offset1:86
	v_fmac_f32_e32 v159, v1, v146
	v_fma_f32 v146, v0, v146, -v156
	s_waitcnt vmcnt(23)
	v_mul_f32_e32 v156, v2, v150
	v_mul_f32_e32 v0, v3, v150
	s_waitcnt vmcnt(19)
	v_fmac_f32_e32 v156, v3, v162
	v_fma_f32 v150, v2, v162, -v0
	s_waitcnt vmcnt(18) lgkmcnt(1)
	v_mul_f32_e32 v162, v4, v160
	v_mul_f32_e32 v160, v5, v160
	ds_read2_b64 v[0:3], v9 offset0:87 offset1:88
	v_fmac_f32_e32 v162, v5, v153
	v_fma_f32 v153, v4, v153, -v160
	s_waitcnt vmcnt(17)
	v_mul_f32_e32 v160, v6, v154
	v_mul_f32_e32 v4, v7, v154
	s_waitcnt vmcnt(16) lgkmcnt(1)
	v_mul_f32_e32 v154, v135, v151
	v_mul_f32_e32 v151, v136, v151
	v_fmac_f32_e32 v160, v7, v148
	v_fma_f32 v148, v6, v148, -v4
	ds_read2_b64 v[4:7], v9 offset0:89 offset1:90
	v_fmac_f32_e32 v154, v136, v145
	v_fma_f32 v145, v135, v145, -v151
	s_waitcnt vmcnt(15)
	v_mul_f32_e32 v151, v137, v147
	v_mul_f32_e32 v135, v138, v147
	s_waitcnt vmcnt(11)
	v_fmac_f32_e32 v151, v138, v177
	v_fma_f32 v147, v137, v177, -v135
	ds_read2_b64 v[135:138], v9 offset0:91 offset1:92
	s_waitcnt vmcnt(10) lgkmcnt(2)
	v_mul_f32_e32 v177, v0, v176
	v_mul_f32_e32 v176, v1, v176
	v_fmac_f32_e32 v177, v1, v174
	v_fma_f32 v174, v0, v174, -v176
	s_waitcnt vmcnt(9)
	v_mul_f32_e32 v176, v2, v175
	v_mul_f32_e32 v0, v3, v175
	s_waitcnt vmcnt(8) lgkmcnt(1)
	v_mul_f32_e32 v175, v4, v173
	s_waitcnt vmcnt(7)
	v_mul_f32_e32 v1, v7, v172
	v_fmac_f32_e32 v176, v3, v171
	v_fma_f32 v171, v2, v171, -v0
	v_mul_f32_e32 v0, v5, v173
	v_mul_f32_e32 v173, v6, v172
	buffer_load_dword v172, off, s[0:3], 0 offset:252
	v_fmac_f32_e32 v175, v5, v170
	v_fma_f32 v170, v4, v170, -v0
	s_waitcnt vmcnt(4)
	v_fmac_f32_e32 v173, v7, v184
	v_fma_f32 v184, v6, v184, -v1
	buffer_load_dword v6, off, s[0:3], 0 offset:260
	ds_read2_b64 v[0:3], v9 offset0:93 offset1:94
	s_waitcnt vmcnt(4) lgkmcnt(1)
	v_mul_f32_e32 v187, v135, v183
	v_mul_f32_e32 v4, v136, v183
	s_waitcnt vmcnt(3)
	v_mul_f32_e32 v183, v137, v182
	v_mul_f32_e32 v5, v138, v182
	v_add_f32_e32 v7, 0, v197
	v_fmac_f32_e32 v187, v136, v181
	v_fma_f32 v135, v135, v181, -v4
	v_fmac_f32_e32 v183, v138, v180
	v_fma_f32 v136, v137, v180, -v5
	s_clause 0x6
	buffer_load_dword v137, off, s[0:3], 0 offset:280
	buffer_load_dword v138, off, s[0:3], 0 offset:272
	buffer_load_dword v180, off, s[0:3], 0 offset:264
	buffer_load_dword v4, off, s[0:3], 0 offset:256
	buffer_load_dword v181, off, s[0:3], 0 offset:268
	buffer_load_dword v182, off, s[0:3], 0 offset:276
	buffer_load_dword v188, off, s[0:3], 0 offset:284
	v_add_f32_e32 v5, 0, v179
	s_clause 0x6
	buffer_load_dword v179, off, s[0:3], 0 offset:292
	buffer_load_dword v189, off, s[0:3], 0 offset:312
	;; [unrolled: 1-line block ×7, first 2 shown]
	v_add_f32_e32 v5, v5, v198
	v_add_f32_e32 v7, v7, v199
	;; [unrolled: 1-line block ×12, first 2 shown]
	s_clause 0x1
	buffer_load_dword v8, off, s[0:3], 0 offset:316
	buffer_load_dword v10, off, s[0:3], 0 offset:324
	v_add_f32_e32 v5, v5, v194
	v_add_f32_e32 v7, v7, v144
	s_clause 0x3
	buffer_load_dword v11, off, s[0:3], 0 offset:344
	buffer_load_dword v12, off, s[0:3], 0 offset:336
	;; [unrolled: 1-line block ×4, first 2 shown]
	v_add_f32_e32 v5, v5, v195
	v_add_f32_e32 v7, v7, v141
	s_clause 0x3
	buffer_load_dword v194, off, s[0:3], 0 offset:332
	buffer_load_dword v195, off, s[0:3], 0 offset:340
	;; [unrolled: 1-line block ×4, first 2 shown]
	v_add_f32_e32 v5, v5, v143
	v_add_f32_e32 v7, v7, v139
	;; [unrolled: 1-line block ×5, first 2 shown]
	s_waitcnt vmcnt(25) lgkmcnt(0)
	v_mul_f32_e32 v139, v0, v172
	v_mul_f32_e32 v141, v1, v172
	v_fmac_f32_e32 v139, v1, v178
	s_waitcnt vmcnt(24)
	v_mul_f32_e32 v140, v2, v6
	v_mul_f32_e32 v6, v3, v6
	v_fma_f32 v141, v0, v178, -v141
	s_waitcnt vmcnt(20)
	v_fmac_f32_e32 v140, v3, v4
	v_fma_f32 v142, v2, v4, -v6
	v_add_f32_e32 v4, v5, v185
	v_add_f32_e32 v5, v7, v163
	ds_read2_b64 v[0:3], v9 offset0:95 offset1:96
	s_clause 0x3
	buffer_load_dword v163, off, s[0:3], 0 offset:376
	buffer_load_dword v168, off, s[0:3], 0 offset:368
	;; [unrolled: 1-line block ×4, first 2 shown]
	v_add_f32_e32 v4, v4, v186
	v_add_f32_e32 v5, v5, v157
	;; [unrolled: 1-line block ×3, first 2 shown]
	s_clause 0x2
	buffer_load_dword v157, off, s[0:3], 0 offset:364
	buffer_load_dword v167, off, s[0:3], 0 offset:372
	;; [unrolled: 1-line block ×3, first 2 shown]
	v_add_f32_e32 v143, v5, v149
	v_add_f32_e32 v149, v4, v164
	ds_read2_b64 v[4:7], v9 offset0:97 offset1:98
	v_add_f32_e32 v143, v143, v155
	v_add_f32_e32 v149, v149, v161
	s_waitcnt vmcnt(26) lgkmcnt(1)
	v_mul_f32_e32 v164, v1, v181
	v_mul_f32_e32 v155, v0, v181
	v_add_f32_e32 v143, v143, v158
	s_waitcnt vmcnt(25)
	v_mul_f32_e32 v158, v3, v182
	v_mul_f32_e32 v161, v2, v182
	v_fma_f32 v164, v0, v180, -v164
	v_add_f32_e32 v0, v149, v166
	v_fmac_f32_e32 v155, v1, v180
	v_add_f32_e32 v1, v143, v152
	s_clause 0x3
	buffer_load_dword v152, off, s[0:3], 0 offset:388
	buffer_load_dword v166, off, s[0:3], 0 offset:396
	;; [unrolled: 1-line block ×4, first 2 shown]
	v_fma_f32 v143, v2, v138, -v158
	v_add_f32_e32 v0, v0, v165
	s_clause 0x3
	buffer_load_dword v158, off, s[0:3], 0 offset:420
	buffer_load_dword v165, off, s[0:3], 0 offset:428
	;; [unrolled: 1-line block ×4, first 2 shown]
	v_add_f32_e32 v1, v1, v146
	s_waitcnt vmcnt(32) lgkmcnt(0)
	v_mul_f32_e32 v146, v4, v188
	v_mul_f32_e32 v2, v5, v188
	v_add_f32_e32 v0, v0, v159
	s_clause 0x3
	buffer_load_dword v159, off, s[0:3], 0 offset:452
	buffer_load_dword v200, off, s[0:3], 0 offset:460
	;; [unrolled: 1-line block ×4, first 2 shown]
	v_add_f32_e32 v1, v1, v150
	v_fmac_f32_e32 v146, v5, v137
	v_fmac_f32_e32 v161, v3, v138
	v_add_f32_e32 v0, v0, v156
	v_fma_f32 v149, v4, v137, -v2
	v_add_f32_e32 v1, v1, v153
	buffer_load_dword v153, off, s[0:3], 0 offset:484
	v_add_f32_e32 v0, v0, v162
	s_clause 0x3
	buffer_load_dword v156, off, s[0:3], 0 offset:408
	buffer_load_dword v162, off, s[0:3], 0 offset:400
	;; [unrolled: 1-line block ×4, first 2 shown]
	v_add_f32_e32 v4, v1, v148
	s_waitcnt vmcnt(40)
	v_mul_f32_e32 v148, v6, v179
	v_add_f32_e32 v5, v0, v160
	v_mul_f32_e32 v0, v7, v179
	v_add_f32_e32 v4, v4, v145
	s_waitcnt vmcnt(36)
	v_fmac_f32_e32 v148, v7, v192
	v_add_f32_e32 v5, v5, v154
	v_fma_f32 v150, v6, v192, -v0
	ds_read2_b64 v[0:3], v9 offset0:99 offset1:100
	v_add_f32_e32 v4, v4, v147
	v_add_f32_e32 v5, v5, v151
	s_clause 0x3
	buffer_load_dword v151, off, s[0:3], 0 offset:440
	buffer_load_dword v154, off, s[0:3], 0 offset:432
	;; [unrolled: 1-line block ×4, first 2 shown]
	v_add_f32_e32 v4, v4, v174
	v_add_f32_e32 v137, v5, v177
	;; [unrolled: 1-line block ×3, first 2 shown]
	ds_read2_b64 v[4:7], v9 offset0:101 offset1:102
	v_add_f32_e32 v137, v137, v176
	v_add_f32_e32 v138, v138, v170
	s_waitcnt vmcnt(39) lgkmcnt(1)
	v_mul_f32_e32 v145, v1, v196
	v_mul_f32_e32 v171, v0, v196
	v_fma_f32 v147, v0, v191, -v145
	v_add_f32_e32 v0, v137, v175
	s_clause 0x4
	buffer_load_dword v170, off, s[0:3], 0 offset:472
	buffer_load_dword v174, off, s[0:3], 0 offset:464
	;; [unrolled: 1-line block ×4, first 2 shown]
	buffer_load_dword v177, off, s[0:3], 0
	v_fmac_f32_e32 v171, v1, v191
	v_add_f32_e32 v1, v138, v184
	v_add_f32_e32 v0, v0, v173
	buffer_load_dword v173, off, s[0:3], 0 offset:480
	s_waitcnt vmcnt(44)
	v_mul_f32_e32 v184, v2, v197
	v_add_f32_e32 v1, v1, v135
	v_add_f32_e32 v0, v0, v187
	v_mul_f32_e32 v135, v3, v197
	v_fmac_f32_e32 v184, v3, v190
	v_add_f32_e32 v136, v1, v136
	v_add_f32_e32 v145, v0, v183
	v_fma_f32 v187, v2, v190, -v135
	ds_read2_b64 v[0:3], v9 offset0:103 offset1:104
	s_waitcnt vmcnt(43) lgkmcnt(1)
	v_mul_f32_e32 v183, v4, v8
	v_add_f32_e32 v141, v136, v141
	ds_read2_b64 v[135:138], v9 offset0:105 offset1:106
	v_add_f32_e32 v139, v145, v139
	v_mul_f32_e32 v8, v5, v8
	s_waitcnt vmcnt(42)
	v_mul_f32_e32 v190, v6, v10
	v_add_f32_e32 v141, v141, v142
	v_mul_f32_e32 v10, v7, v10
	v_add_f32_e32 v145, v139, v140
	v_fmac_f32_e32 v183, v5, v189
	v_fma_f32 v8, v4, v189, -v8
	v_add_f32_e32 v164, v141, v164
	s_waitcnt vmcnt(38)
	v_fmac_f32_e32 v190, v7, v193
	v_add_f32_e32 v145, v145, v155
	v_fma_f32 v10, v6, v193, -v10
	ds_read2_b64 v[4:7], v9 offset0:107 offset1:108
	ds_read2_b64 v[139:142], v9 offset0:109 offset1:110
	v_add_f32_e32 v143, v164, v143
	v_add_f32_e32 v145, v145, v161
	s_waitcnt vmcnt(36) lgkmcnt(3)
	v_mul_f32_e32 v164, v2, v195
	v_mul_f32_e32 v191, v3, v195
	v_add_f32_e32 v143, v143, v149
	s_waitcnt vmcnt(35) lgkmcnt(2)
	v_mul_f32_e32 v161, v135, v198
	v_mul_f32_e32 v149, v136, v198
	v_fmac_f32_e32 v164, v3, v12
	v_fma_f32 v12, v2, v12, -v191
	v_add_f32_e32 v191, v145, v146
	v_add_f32_e32 v150, v143, v150
	v_mul_f32_e32 v155, v0, v194
	v_mul_f32_e32 v189, v1, v194
	v_fmac_f32_e32 v161, v136, v11
	v_fma_f32 v194, v135, v11, -v149
	v_add_f32_e32 v11, v191, v148
	v_add_f32_e32 v191, v150, v147
	v_fma_f32 v189, v0, v144, -v189
	v_fmac_f32_e32 v155, v1, v144
	s_waitcnt vmcnt(34)
	v_mul_f32_e32 v192, v137, v199
	v_add_f32_e32 v11, v11, v171
	v_add_f32_e32 v187, v191, v187
	v_mul_f32_e32 v193, v138, v199
	ds_read2_b64 v[0:3], v9 offset0:111 offset1:112
	ds_read2_b64 v[143:146], v9 offset0:113 offset1:114
	v_add_f32_e32 v11, v11, v184
	s_waitcnt vmcnt(30)
	v_fmac_f32_e32 v192, v138, v178
	v_fma_f32 v178, v137, v178, -v193
	ds_read2_b64 v[135:138], v9 offset0:115 offset1:116
	ds_read2_b64 v[147:150], v9 offset0:117 offset1:118
	s_waitcnt vmcnt(29) lgkmcnt(5)
	v_mul_f32_e32 v171, v4, v157
	v_mul_f32_e32 v157, v5, v157
	s_waitcnt vmcnt(28)
	v_mul_f32_e32 v191, v6, v167
	v_mul_f32_e32 v167, v7, v167
	s_waitcnt vmcnt(27) lgkmcnt(4)
	v_mul_f32_e32 v184, v140, v185
	v_fmac_f32_e32 v171, v5, v172
	v_add_f32_e32 v5, v187, v8
	v_fma_f32 v157, v4, v172, -v157
	v_add_f32_e32 v172, v11, v183
	v_fmac_f32_e32 v191, v7, v168
	v_fma_f32 v167, v6, v168, -v167
	v_add_f32_e32 v168, v5, v10
	v_mul_f32_e32 v183, v139, v185
	v_add_f32_e32 v172, v172, v190
	v_fma_f32 v139, v139, v163, -v184
	ds_read2_b64 v[4:7], v9 offset0:119 offset1:120
	ds_read2_b64 v[8:11], v9 offset0:121 offset1:122
	v_add_f32_e32 v168, v168, v189
	v_fmac_f32_e32 v183, v140, v163
	v_add_f32_e32 v155, v172, v155
	s_waitcnt vmcnt(26)
	v_mul_f32_e32 v185, v141, v152
	v_mul_f32_e32 v152, v142, v152
	v_add_f32_e32 v12, v168, v12
	s_waitcnt vmcnt(25) lgkmcnt(5)
	v_mul_f32_e32 v172, v0, v166
	v_add_f32_e32 v155, v155, v164
	s_waitcnt vmcnt(24)
	v_mul_f32_e32 v168, v2, v180
	s_waitcnt vmcnt(23) lgkmcnt(4)
	v_mul_f32_e32 v164, v143, v181
	v_add_f32_e32 v12, v12, v194
	s_waitcnt vmcnt(22)
	v_mul_f32_e32 v187, v145, v158
	v_add_f32_e32 v155, v155, v161
	s_waitcnt vmcnt(21) lgkmcnt(3)
	v_mul_f32_e32 v189, v135, v165
	s_waitcnt vmcnt(20)
	v_mul_f32_e32 v161, v137, v182
	v_add_f32_e32 v12, v12, v178
	s_waitcnt vmcnt(19) lgkmcnt(2)
	v_mul_f32_e32 v190, v147, v186
	v_add_f32_e32 v155, v155, v192
	s_waitcnt vmcnt(18)
	v_mul_f32_e32 v178, v149, v159
	s_waitcnt vmcnt(17) lgkmcnt(1)
	v_mul_f32_e32 v192, v4, v200
	v_add_f32_e32 v12, v12, v157
	s_waitcnt vmcnt(13)
	v_fmac_f32_e32 v164, v144, v156
	v_add_f32_e32 v155, v155, v171
	s_waitcnt vmcnt(11)
	v_fmac_f32_e32 v172, v1, v188
	s_waitcnt vmcnt(10)
	v_fma_f32 v141, v141, v203, -v152
	v_add_f32_e32 v12, v12, v167
	v_fmac_f32_e32 v185, v142, v203
	v_add_f32_e32 v140, v155, v191
	v_mul_f32_e32 v155, v1, v166
	v_fmac_f32_e32 v168, v3, v162
	v_add_f32_e32 v12, v12, v139
	v_mul_f32_e32 v193, v6, v201
	v_add_f32_e32 v139, v140, v183
	v_mul_f32_e32 v140, v3, v180
	v_fma_f32 v0, v0, v188, -v155
	v_add_f32_e32 v1, v12, v141
	v_mul_f32_e32 v3, v146, v158
	v_add_f32_e32 v12, v139, v185
	v_mul_f32_e32 v139, v144, v181
	v_fma_f32 v2, v2, v162, -v140
	v_add_f32_e32 v0, v1, v0
	s_waitcnt vmcnt(6)
	v_fma_f32 v3, v145, v179, -v3
	v_add_f32_e32 v1, v12, v172
	v_fma_f32 v12, v143, v156, -v139
	v_fmac_f32_e32 v187, v146, v179
	v_add_f32_e32 v0, v0, v2
	v_mul_f32_e32 v2, v136, v165
	v_add_f32_e32 v1, v1, v168
	v_fmac_f32_e32 v189, v136, v160
	v_fmac_f32_e32 v161, v138, v154
	v_add_f32_e32 v0, v0, v12
	v_mul_f32_e32 v12, v138, v182
	v_add_f32_e32 v1, v1, v164
	v_fma_f32 v2, v135, v160, -v2
	v_fmac_f32_e32 v190, v148, v151
	v_add_f32_e32 v0, v0, v3
	v_mul_f32_e32 v3, v148, v186
	v_add_f32_e32 v1, v1, v187
	v_fma_f32 v12, v137, v154, -v12
	s_waitcnt lgkmcnt(0)
	v_mul_f32_e32 v157, v8, v202
	v_add_f32_e32 v0, v0, v2
	v_mul_f32_e32 v2, v150, v159
	v_add_f32_e32 v1, v1, v189
	v_fma_f32 v3, v147, v151, -v3
	s_waitcnt vmcnt(2)
	v_fmac_f32_e32 v178, v150, v176
	v_add_f32_e32 v0, v0, v12
	v_mul_f32_e32 v12, v5, v200
	v_add_f32_e32 v1, v1, v161
	v_fma_f32 v2, v149, v176, -v2
	v_fmac_f32_e32 v192, v5, v175
	v_add_f32_e32 v0, v0, v3
	v_mul_f32_e32 v3, v7, v201
	v_add_f32_e32 v1, v1, v190
	v_fma_f32 v4, v4, v175, -v12
	;; [unrolled: 5-line block ×3, first 2 shown]
	v_mul_f32_e32 v171, v10, v153
	v_add_f32_e32 v0, v0, v4
	v_mul_f32_e32 v4, v11, v153
	v_add_f32_e32 v1, v1, v192
	v_fma_f32 v2, v8, v170, -v2
	v_fmac_f32_e32 v157, v9, v170
	v_add_f32_e32 v0, v0, v3
	s_waitcnt vmcnt(0)
	v_fma_f32 v3, v10, v173, -v4
	v_add_f32_e32 v1, v1, v193
	v_fmac_f32_e32 v171, v11, v173
	v_add_f32_e32 v0, v0, v2
	v_add_f32_e32 v1, v1, v157
	v_add_f32_e32 v0, v0, v3
	v_add_f32_e32 v1, v1, v171
	v_sub_f32_e32 v0, v177, v0
	v_sub_f32_e32 v1, v169, v1
	buffer_store_dword v0, off, s[0:3], 0
	buffer_store_dword v1, off, s[0:3], 0 offset:4
	s_cbranch_vccz .LBB60_500
; %bb.380:
	v_mov_b32_e32 v0, 0
	global_load_dword v1, v0, s[20:21] offset:236
	s_waitcnt vmcnt(0)
	v_add_nc_u32_e32 v1, -1, v1
	v_cmp_ne_u32_e32 vcc_lo, 59, v1
	s_cbranch_vccz .LBB60_382
; %bb.381:
	v_lshlrev_b32_e32 v1, 3, v1
	s_clause 0x3
	buffer_load_dword v2, v1, s[0:3], 0 offen
	buffer_load_dword v3, v1, s[0:3], 0 offen offset:4
	buffer_load_dword v4, off, s[0:3], 0 offset:472
	buffer_load_dword v5, off, s[0:3], 0 offset:476
	s_waitcnt vmcnt(3)
	buffer_store_dword v2, off, s[0:3], 0 offset:472
	s_waitcnt vmcnt(2)
	buffer_store_dword v3, off, s[0:3], 0 offset:476
	s_waitcnt vmcnt(1)
	buffer_store_dword v4, v1, s[0:3], 0 offen
	s_waitcnt vmcnt(0)
	buffer_store_dword v5, v1, s[0:3], 0 offen offset:4
.LBB60_382:
	global_load_dword v0, v0, s[20:21] offset:232
	s_waitcnt vmcnt(0)
	v_add_nc_u32_e32 v0, -1, v0
	v_cmp_eq_u32_e32 vcc_lo, 58, v0
	s_cbranch_vccnz .LBB60_384
; %bb.383:
	v_lshlrev_b32_e32 v0, 3, v0
	s_clause 0x3
	buffer_load_dword v1, v0, s[0:3], 0 offen
	buffer_load_dword v2, v0, s[0:3], 0 offen offset:4
	buffer_load_dword v3, off, s[0:3], 0 offset:468
	buffer_load_dword v4, off, s[0:3], 0 offset:464
	s_waitcnt vmcnt(3)
	buffer_store_dword v1, off, s[0:3], 0 offset:464
	s_waitcnt vmcnt(2)
	buffer_store_dword v2, off, s[0:3], 0 offset:468
	s_waitcnt vmcnt(1)
	buffer_store_dword v3, v0, s[0:3], 0 offen offset:4
	s_waitcnt vmcnt(0)
	buffer_store_dword v4, v0, s[0:3], 0 offen
.LBB60_384:
	v_mov_b32_e32 v0, 0
	global_load_dword v1, v0, s[20:21] offset:228
	s_waitcnt vmcnt(0)
	v_add_nc_u32_e32 v1, -1, v1
	v_cmp_eq_u32_e32 vcc_lo, 57, v1
	s_cbranch_vccnz .LBB60_386
; %bb.385:
	v_lshlrev_b32_e32 v1, 3, v1
	s_clause 0x3
	buffer_load_dword v2, v1, s[0:3], 0 offen
	buffer_load_dword v3, v1, s[0:3], 0 offen offset:4
	buffer_load_dword v4, off, s[0:3], 0 offset:456
	buffer_load_dword v5, off, s[0:3], 0 offset:460
	s_waitcnt vmcnt(3)
	buffer_store_dword v2, off, s[0:3], 0 offset:456
	s_waitcnt vmcnt(2)
	buffer_store_dword v3, off, s[0:3], 0 offset:460
	s_waitcnt vmcnt(1)
	buffer_store_dword v4, v1, s[0:3], 0 offen
	s_waitcnt vmcnt(0)
	buffer_store_dword v5, v1, s[0:3], 0 offen offset:4
.LBB60_386:
	global_load_dword v0, v0, s[20:21] offset:224
	s_waitcnt vmcnt(0)
	v_add_nc_u32_e32 v0, -1, v0
	v_cmp_eq_u32_e32 vcc_lo, 56, v0
	s_cbranch_vccnz .LBB60_388
; %bb.387:
	v_lshlrev_b32_e32 v0, 3, v0
	s_clause 0x3
	buffer_load_dword v1, v0, s[0:3], 0 offen
	buffer_load_dword v2, v0, s[0:3], 0 offen offset:4
	buffer_load_dword v3, off, s[0:3], 0 offset:452
	buffer_load_dword v4, off, s[0:3], 0 offset:448
	s_waitcnt vmcnt(3)
	buffer_store_dword v1, off, s[0:3], 0 offset:448
	s_waitcnt vmcnt(2)
	buffer_store_dword v2, off, s[0:3], 0 offset:452
	s_waitcnt vmcnt(1)
	buffer_store_dword v3, v0, s[0:3], 0 offen offset:4
	s_waitcnt vmcnt(0)
	buffer_store_dword v4, v0, s[0:3], 0 offen
.LBB60_388:
	v_mov_b32_e32 v0, 0
	global_load_dword v1, v0, s[20:21] offset:220
	s_waitcnt vmcnt(0)
	v_add_nc_u32_e32 v1, -1, v1
	v_cmp_eq_u32_e32 vcc_lo, 55, v1
	s_cbranch_vccnz .LBB60_390
; %bb.389:
	v_lshlrev_b32_e32 v1, 3, v1
	s_clause 0x3
	buffer_load_dword v2, v1, s[0:3], 0 offen
	buffer_load_dword v3, v1, s[0:3], 0 offen offset:4
	buffer_load_dword v4, off, s[0:3], 0 offset:440
	buffer_load_dword v5, off, s[0:3], 0 offset:444
	s_waitcnt vmcnt(3)
	buffer_store_dword v2, off, s[0:3], 0 offset:440
	s_waitcnt vmcnt(2)
	buffer_store_dword v3, off, s[0:3], 0 offset:444
	s_waitcnt vmcnt(1)
	buffer_store_dword v4, v1, s[0:3], 0 offen
	s_waitcnt vmcnt(0)
	buffer_store_dword v5, v1, s[0:3], 0 offen offset:4
.LBB60_390:
	;; [unrolled: 43-line block ×29, first 2 shown]
	global_load_dword v0, v0, s[20:21]
	s_waitcnt vmcnt(0)
	v_add_nc_u32_e32 v0, -1, v0
	v_cmp_eq_u32_e32 vcc_lo, 0, v0
	s_cbranch_vccnz .LBB60_500
; %bb.499:
	v_lshlrev_b32_e32 v0, 3, v0
	s_clause 0x3
	buffer_load_dword v1, v0, s[0:3], 0 offen
	buffer_load_dword v2, v0, s[0:3], 0 offen offset:4
	buffer_load_dword v3, off, s[0:3], 0 offset:4
	buffer_load_dword v4, off, s[0:3], 0
	s_waitcnt vmcnt(3)
	buffer_store_dword v1, off, s[0:3], 0
	s_waitcnt vmcnt(2)
	buffer_store_dword v2, off, s[0:3], 0 offset:4
	s_waitcnt vmcnt(1)
	buffer_store_dword v3, v0, s[0:3], 0 offen offset:4
	s_waitcnt vmcnt(0)
	buffer_store_dword v4, v0, s[0:3], 0 offen
.LBB60_500:
	s_clause 0x3e
	buffer_load_dword v0, off, s[0:3], 0
	buffer_load_dword v1, off, s[0:3], 0 offset:4
	buffer_load_dword v2, off, s[0:3], 0 offset:8
	;; [unrolled: 1-line block ×62, first 2 shown]
	s_clause 0x3a
	buffer_load_dword v186, off, s[0:3], 0 offset:252
	buffer_load_dword v187, off, s[0:3], 0 offset:256
	;; [unrolled: 1-line block ×59, first 2 shown]
	s_waitcnt vmcnt(62)
	global_store_dwordx2 v[107:108], v[0:1], off
	global_store_dwordx2 v[111:112], v[2:3], off
	global_store_dwordx2 v[13:14], v[4:5], off
	global_store_dwordx2 v[15:16], v[6:7], off
	global_store_dwordx2 v[17:18], v[8:9], off
	global_store_dwordx2 v[19:20], v[10:11], off
	global_store_dwordx2 v[21:22], v[135:136], off
	global_store_dwordx2 v[23:24], v[137:138], off
	global_store_dwordx2 v[25:26], v[139:140], off
	global_store_dwordx2 v[27:28], v[141:142], off
	global_store_dwordx2 v[29:30], v[143:144], off
	global_store_dwordx2 v[31:32], v[145:146], off
	global_store_dwordx2 v[33:34], v[147:148], off
	global_store_dwordx2 v[35:36], v[149:150], off
	global_store_dwordx2 v[37:38], v[151:152], off
	global_store_dwordx2 v[39:40], v[153:154], off
	global_store_dwordx2 v[41:42], v[155:156], off
	global_store_dwordx2 v[43:44], v[157:158], off
	global_store_dwordx2 v[45:46], v[159:160], off
	global_store_dwordx2 v[47:48], v[161:162], off
	global_store_dwordx2 v[49:50], v[163:164], off
	global_store_dwordx2 v[51:52], v[165:166], off
	global_store_dwordx2 v[53:54], v[167:168], off
	global_store_dwordx2 v[55:56], v[169:170], off
	global_store_dwordx2 v[57:58], v[171:172], off
	global_store_dwordx2 v[59:60], v[173:174], off
	global_store_dwordx2 v[61:62], v[175:176], off
	global_store_dwordx2 v[63:64], v[177:178], off
	global_store_dwordx2 v[65:66], v[179:180], off
	global_store_dwordx2 v[67:68], v[181:182], off
	s_waitcnt vmcnt(60)
	global_store_dwordx2 v[69:70], v[183:184], off
	s_waitcnt vmcnt(58)
	global_store_dwordx2 v[71:72], v[185:186], off
	;; [unrolled: 2-line block ×31, first 2 shown]
	s_endpgm
	.section	.rodata,"a",@progbits
	.p2align	6, 0x0
	.amdhsa_kernel _ZN9rocsolver6v33100L18getri_kernel_smallILi61E19rocblas_complex_numIfEPS3_EEvT1_iilPiilS6_bb
		.amdhsa_group_segment_fixed_size 984
		.amdhsa_private_segment_fixed_size 496
		.amdhsa_kernarg_size 60
		.amdhsa_user_sgpr_count 6
		.amdhsa_user_sgpr_private_segment_buffer 1
		.amdhsa_user_sgpr_dispatch_ptr 0
		.amdhsa_user_sgpr_queue_ptr 0
		.amdhsa_user_sgpr_kernarg_segment_ptr 1
		.amdhsa_user_sgpr_dispatch_id 0
		.amdhsa_user_sgpr_flat_scratch_init 0
		.amdhsa_user_sgpr_private_segment_size 0
		.amdhsa_wavefront_size32 1
		.amdhsa_uses_dynamic_stack 0
		.amdhsa_system_sgpr_private_segment_wavefront_offset 1
		.amdhsa_system_sgpr_workgroup_id_x 1
		.amdhsa_system_sgpr_workgroup_id_y 0
		.amdhsa_system_sgpr_workgroup_id_z 0
		.amdhsa_system_sgpr_workgroup_info 0
		.amdhsa_system_vgpr_workitem_id 0
		.amdhsa_next_free_vgpr 252
		.amdhsa_next_free_sgpr 23
		.amdhsa_reserve_vcc 1
		.amdhsa_reserve_flat_scratch 0
		.amdhsa_float_round_mode_32 0
		.amdhsa_float_round_mode_16_64 0
		.amdhsa_float_denorm_mode_32 3
		.amdhsa_float_denorm_mode_16_64 3
		.amdhsa_dx10_clamp 1
		.amdhsa_ieee_mode 1
		.amdhsa_fp16_overflow 0
		.amdhsa_workgroup_processor_mode 1
		.amdhsa_memory_ordered 1
		.amdhsa_forward_progress 1
		.amdhsa_shared_vgpr_count 0
		.amdhsa_exception_fp_ieee_invalid_op 0
		.amdhsa_exception_fp_denorm_src 0
		.amdhsa_exception_fp_ieee_div_zero 0
		.amdhsa_exception_fp_ieee_overflow 0
		.amdhsa_exception_fp_ieee_underflow 0
		.amdhsa_exception_fp_ieee_inexact 0
		.amdhsa_exception_int_div_zero 0
	.end_amdhsa_kernel
	.section	.text._ZN9rocsolver6v33100L18getri_kernel_smallILi61E19rocblas_complex_numIfEPS3_EEvT1_iilPiilS6_bb,"axG",@progbits,_ZN9rocsolver6v33100L18getri_kernel_smallILi61E19rocblas_complex_numIfEPS3_EEvT1_iilPiilS6_bb,comdat
.Lfunc_end60:
	.size	_ZN9rocsolver6v33100L18getri_kernel_smallILi61E19rocblas_complex_numIfEPS3_EEvT1_iilPiilS6_bb, .Lfunc_end60-_ZN9rocsolver6v33100L18getri_kernel_smallILi61E19rocblas_complex_numIfEPS3_EEvT1_iilPiilS6_bb
                                        ; -- End function
	.set _ZN9rocsolver6v33100L18getri_kernel_smallILi61E19rocblas_complex_numIfEPS3_EEvT1_iilPiilS6_bb.num_vgpr, 252
	.set _ZN9rocsolver6v33100L18getri_kernel_smallILi61E19rocblas_complex_numIfEPS3_EEvT1_iilPiilS6_bb.num_agpr, 0
	.set _ZN9rocsolver6v33100L18getri_kernel_smallILi61E19rocblas_complex_numIfEPS3_EEvT1_iilPiilS6_bb.numbered_sgpr, 23
	.set _ZN9rocsolver6v33100L18getri_kernel_smallILi61E19rocblas_complex_numIfEPS3_EEvT1_iilPiilS6_bb.num_named_barrier, 0
	.set _ZN9rocsolver6v33100L18getri_kernel_smallILi61E19rocblas_complex_numIfEPS3_EEvT1_iilPiilS6_bb.private_seg_size, 496
	.set _ZN9rocsolver6v33100L18getri_kernel_smallILi61E19rocblas_complex_numIfEPS3_EEvT1_iilPiilS6_bb.uses_vcc, 1
	.set _ZN9rocsolver6v33100L18getri_kernel_smallILi61E19rocblas_complex_numIfEPS3_EEvT1_iilPiilS6_bb.uses_flat_scratch, 0
	.set _ZN9rocsolver6v33100L18getri_kernel_smallILi61E19rocblas_complex_numIfEPS3_EEvT1_iilPiilS6_bb.has_dyn_sized_stack, 0
	.set _ZN9rocsolver6v33100L18getri_kernel_smallILi61E19rocblas_complex_numIfEPS3_EEvT1_iilPiilS6_bb.has_recursion, 0
	.set _ZN9rocsolver6v33100L18getri_kernel_smallILi61E19rocblas_complex_numIfEPS3_EEvT1_iilPiilS6_bb.has_indirect_call, 0
	.section	.AMDGPU.csdata,"",@progbits
; Kernel info:
; codeLenInByte = 135248
; TotalNumSgprs: 25
; NumVgprs: 252
; ScratchSize: 496
; MemoryBound: 0
; FloatMode: 240
; IeeeMode: 1
; LDSByteSize: 984 bytes/workgroup (compile time only)
; SGPRBlocks: 0
; VGPRBlocks: 31
; NumSGPRsForWavesPerEU: 25
; NumVGPRsForWavesPerEU: 252
; Occupancy: 4
; WaveLimiterHint : 1
; COMPUTE_PGM_RSRC2:SCRATCH_EN: 1
; COMPUTE_PGM_RSRC2:USER_SGPR: 6
; COMPUTE_PGM_RSRC2:TRAP_HANDLER: 0
; COMPUTE_PGM_RSRC2:TGID_X_EN: 1
; COMPUTE_PGM_RSRC2:TGID_Y_EN: 0
; COMPUTE_PGM_RSRC2:TGID_Z_EN: 0
; COMPUTE_PGM_RSRC2:TIDIG_COMP_CNT: 0
	.section	.text._ZN9rocsolver6v33100L18getri_kernel_smallILi62E19rocblas_complex_numIfEPS3_EEvT1_iilPiilS6_bb,"axG",@progbits,_ZN9rocsolver6v33100L18getri_kernel_smallILi62E19rocblas_complex_numIfEPS3_EEvT1_iilPiilS6_bb,comdat
	.globl	_ZN9rocsolver6v33100L18getri_kernel_smallILi62E19rocblas_complex_numIfEPS3_EEvT1_iilPiilS6_bb ; -- Begin function _ZN9rocsolver6v33100L18getri_kernel_smallILi62E19rocblas_complex_numIfEPS3_EEvT1_iilPiilS6_bb
	.p2align	8
	.type	_ZN9rocsolver6v33100L18getri_kernel_smallILi62E19rocblas_complex_numIfEPS3_EEvT1_iilPiilS6_bb,@function
_ZN9rocsolver6v33100L18getri_kernel_smallILi62E19rocblas_complex_numIfEPS3_EEvT1_iilPiilS6_bb: ; @_ZN9rocsolver6v33100L18getri_kernel_smallILi62E19rocblas_complex_numIfEPS3_EEvT1_iilPiilS6_bb
; %bb.0:
	s_add_u32 s0, s0, s7
	s_addc_u32 s1, s1, 0
	s_mov_b32 s7, exec_lo
	v_cmpx_gt_u32_e32 62, v0
	s_cbranch_execz .LBB61_262
; %bb.1:
	s_clause 0x2
	s_load_dword s7, s[4:5], 0x38
	s_load_dwordx4 s[16:19], s[4:5], 0x10
	s_load_dwordx4 s[8:11], s[4:5], 0x28
                                        ; implicit-def: $sgpr20_sgpr21
	s_waitcnt lgkmcnt(0)
	s_bitcmp1_b32 s7, 8
	s_cselect_b32 s22, -1, 0
	s_bfe_u32 s12, s7, 0x10008
	s_ashr_i32 s7, s6, 31
	s_cmp_eq_u32 s12, 0
	s_cbranch_scc1 .LBB61_3
; %bb.2:
	s_load_dword s12, s[4:5], 0x20
	s_mul_i32 s13, s8, s7
	s_mul_hi_u32 s14, s8, s6
	s_mul_i32 s9, s9, s6
	s_add_i32 s13, s14, s13
	s_mul_i32 s8, s8, s6
	s_add_i32 s9, s13, s9
	s_lshl_b64 s[8:9], s[8:9], 2
	s_waitcnt lgkmcnt(0)
	s_ashr_i32 s13, s12, 31
	s_add_u32 s14, s18, s8
	s_addc_u32 s15, s19, s9
	s_lshl_b64 s[8:9], s[12:13], 2
	s_add_u32 s20, s14, s8
	s_addc_u32 s21, s15, s9
.LBB61_3:
	s_clause 0x1
	s_load_dwordx4 s[12:15], s[4:5], 0x0
	s_load_dword s8, s[4:5], 0x38
	s_mul_i32 s4, s16, s7
	s_mul_hi_u32 s5, s16, s6
	s_mul_i32 s9, s17, s6
	s_add_i32 s5, s5, s4
	s_mul_i32 s4, s16, s6
	s_add_i32 s5, s5, s9
	s_lshl_b64 s[4:5], s[4:5], 3
	s_waitcnt lgkmcnt(0)
	v_add3_u32 v1, s15, s15, v0
	s_ashr_i32 s17, s14, 31
	s_mov_b32 s16, s14
	s_add_u32 s9, s12, s4
	s_addc_u32 s12, s13, s5
	v_add_nc_u32_e32 v3, s15, v1
	v_ashrrev_i32_e32 v2, 31, v1
	s_lshl_b64 s[4:5], s[16:17], 3
	s_add_u32 s4, s9, s4
	v_add_nc_u32_e32 v5, s15, v3
	v_ashrrev_i32_e32 v4, 31, v3
	v_lshlrev_b64 v[1:2], 3, v[1:2]
	s_addc_u32 s5, s12, s5
	s_ashr_i32 s13, s15, 31
	v_ashrrev_i32_e32 v6, 31, v5
	v_add_nc_u32_e32 v7, s15, v5
	v_lshlrev_b64 v[3:4], 3, v[3:4]
	v_add_co_u32 v13, vcc_lo, s4, v1
	v_add_co_ci_u32_e64 v14, null, s5, v2, vcc_lo
	v_lshlrev_b64 v[1:2], 3, v[5:6]
	v_ashrrev_i32_e32 v8, 31, v7
	v_add_nc_u32_e32 v5, s15, v7
	v_add_co_u32 v15, vcc_lo, s4, v3
	v_add_co_ci_u32_e64 v16, null, s5, v4, vcc_lo
	v_lshlrev_b64 v[3:4], 3, v[7:8]
	v_ashrrev_i32_e32 v6, 31, v5
	v_add_nc_u32_e32 v7, s15, v5
	;; [unrolled: 5-line block ×41, first 2 shown]
	v_add_co_u32 v95, vcc_lo, s4, v3
	v_add_co_ci_u32_e64 v96, null, s5, v4, vcc_lo
	v_lshlrev_b64 v[3:4], 3, v[7:8]
	v_add_nc_u32_e32 v7, s15, v5
	v_ashrrev_i32_e32 v6, 31, v5
	v_add_co_u32 v97, vcc_lo, s4, v1
	v_add_co_ci_u32_e64 v98, null, s5, v2, vcc_lo
	v_ashrrev_i32_e32 v8, 31, v7
	v_lshlrev_b64 v[1:2], 3, v[5:6]
	v_add_co_u32 v99, vcc_lo, s4, v3
	v_add_nc_u32_e32 v6, s15, v7
	v_add_co_ci_u32_e64 v100, null, s5, v4, vcc_lo
	v_lshlrev_b64 v[4:5], 3, v[7:8]
	v_add_co_u32 v101, vcc_lo, s4, v1
	v_ashrrev_i32_e32 v7, 31, v6
	v_lshlrev_b32_e32 v3, 3, v0
	v_add_co_ci_u32_e64 v102, null, s5, v2, vcc_lo
	v_add_co_u32 v103, vcc_lo, s4, v4
	v_add_co_ci_u32_e64 v104, null, s5, v5, vcc_lo
	v_lshlrev_b64 v[4:5], 3, v[6:7]
	v_add_nc_u32_e32 v6, s15, v6
	v_add_co_u32 v107, s9, s4, v3
	s_mov_b32 s12, s15
	v_add_co_ci_u32_e64 v108, null, s5, 0, s9
	s_lshl_b64 s[12:13], s[12:13], 3
	v_ashrrev_i32_e32 v7, 31, v6
	v_add_co_u32 v111, vcc_lo, v107, s12
	v_add_co_ci_u32_e64 v112, null, s13, v108, vcc_lo
	v_add_co_u32 v105, vcc_lo, s4, v4
	v_add_co_ci_u32_e64 v106, null, s5, v5, vcc_lo
	v_lshlrev_b64 v[4:5], 3, v[6:7]
	v_add_nc_u32_e32 v6, s15, v6
	s_clause 0xc
	global_load_dwordx2 v[1:2], v3, s[4:5]
	global_load_dwordx2 v[8:9], v[111:112], off
	global_load_dwordx2 v[10:11], v[13:14], off
	;; [unrolled: 1-line block ×12, first 2 shown]
	v_ashrrev_i32_e32 v7, 31, v6
	v_add_co_u32 v109, vcc_lo, s4, v4
	v_add_co_ci_u32_e64 v110, null, s5, v5, vcc_lo
	v_lshlrev_b64 v[4:5], 3, v[6:7]
	v_add_nc_u32_e32 v6, s15, v6
	s_clause 0xb
	global_load_dwordx2 v[157:158], v[35:36], off
	global_load_dwordx2 v[159:160], v[37:38], off
	;; [unrolled: 1-line block ×12, first 2 shown]
	s_bitcmp0_b32 s8, 0
	v_ashrrev_i32_e32 v7, 31, v6
	v_add_co_u32 v113, vcc_lo, s4, v4
	v_add_co_ci_u32_e64 v114, null, s5, v5, vcc_lo
	v_lshlrev_b64 v[4:5], 3, v[6:7]
	v_add_nc_u32_e32 v6, s15, v6
	v_ashrrev_i32_e32 v7, 31, v6
	v_add_co_u32 v115, vcc_lo, s4, v4
	v_add_co_ci_u32_e64 v116, null, s5, v5, vcc_lo
	v_lshlrev_b64 v[4:5], 3, v[6:7]
	v_add_nc_u32_e32 v6, s15, v6
	;; [unrolled: 5-line block ×4, first 2 shown]
	v_add_nc_u32_e32 v123, s15, v6
	v_ashrrev_i32_e32 v7, 31, v6
	v_add_co_u32 v121, vcc_lo, s4, v4
	v_add_co_ci_u32_e64 v122, null, s5, v5, vcc_lo
	v_add_nc_u32_e32 v127, s15, v123
	v_lshlrev_b64 v[4:5], 3, v[6:7]
	v_ashrrev_i32_e32 v124, 31, v123
	s_clause 0x7
	global_load_dwordx2 v[6:7], v[59:60], off
	global_load_dwordx2 v[181:182], v[61:62], off
	;; [unrolled: 1-line block ×8, first 2 shown]
	v_add_nc_u32_e32 v129, s15, v127
	v_ashrrev_i32_e32 v128, 31, v127
	v_lshlrev_b64 v[125:126], 3, v[123:124]
	v_add_co_u32 v123, vcc_lo, s4, v4
	v_add_nc_u32_e32 v131, s15, v129
	v_ashrrev_i32_e32 v130, 31, v129
	v_add_co_ci_u32_e64 v124, null, s5, v5, vcc_lo
	v_lshlrev_b64 v[4:5], 3, v[127:128]
	v_add_nc_u32_e32 v133, s15, v131
	v_ashrrev_i32_e32 v132, 31, v131
	v_lshlrev_b64 v[129:130], 3, v[129:130]
	v_add_co_u32 v125, vcc_lo, s4, v125
	v_add_nc_u32_e32 v135, s15, v133
	v_ashrrev_i32_e32 v134, 31, v133
	v_lshlrev_b64 v[131:132], 3, v[131:132]
	v_add_co_ci_u32_e64 v126, null, s5, v126, vcc_lo
	v_ashrrev_i32_e32 v136, 31, v135
	v_add_co_u32 v127, vcc_lo, s4, v4
	v_lshlrev_b64 v[133:134], 3, v[133:134]
	v_add_co_ci_u32_e64 v128, null, s5, v5, vcc_lo
	v_add_co_u32 v129, vcc_lo, s4, v129
	v_lshlrev_b64 v[135:136], 3, v[135:136]
	v_add_co_ci_u32_e64 v130, null, s5, v130, vcc_lo
	v_add_co_u32 v131, vcc_lo, s4, v131
	v_add_co_ci_u32_e64 v132, null, s5, v132, vcc_lo
	v_add_co_u32 v133, vcc_lo, s4, v133
	v_add_co_ci_u32_e64 v134, null, s5, v134, vcc_lo
	v_add_co_u32 v135, vcc_lo, s4, v135
	v_add_co_ci_u32_e64 v136, null, s5, v136, vcc_lo
	s_clause 0x1c
	global_load_dwordx2 v[4:5], v[75:76], off
	global_load_dwordx2 v[195:196], v[77:78], off
	;; [unrolled: 1-line block ×29, first 2 shown]
	s_mov_b32 s5, -1
	s_waitcnt vmcnt(61)
	buffer_store_dword v2, off, s[0:3], 0 offset:4
	buffer_store_dword v1, off, s[0:3], 0
	s_waitcnt vmcnt(60)
	buffer_store_dword v9, off, s[0:3], 0 offset:12
	buffer_store_dword v8, off, s[0:3], 0 offset:8
	s_waitcnt vmcnt(59)
	buffer_store_dword v11, off, s[0:3], 0 offset:20
	buffer_store_dword v10, off, s[0:3], 0 offset:16
	;; [unrolled: 3-line block ×61, first 2 shown]
	s_cbranch_scc1 .LBB61_260
; %bb.4:
	v_cmp_eq_u32_e64 s4, 0, v0
	s_and_saveexec_b32 s5, s4
; %bb.5:
	v_mov_b32_e32 v1, 0
	ds_write_b32 v1, v1 offset:992
; %bb.6:
	s_or_b32 exec_lo, exec_lo, s5
	v_lshl_add_u32 v5, v0, 3, 0
	s_waitcnt lgkmcnt(0)
	s_waitcnt_vscnt null, 0x0
	s_barrier
	buffer_gl0_inv
	s_clause 0x1
	buffer_load_dword v1, v5, s[0:3], 0 offen
	buffer_load_dword v2, v5, s[0:3], 0 offen offset:4
	s_waitcnt vmcnt(1)
	v_cmp_eq_f32_e32 vcc_lo, 0, v1
	s_waitcnt vmcnt(0)
	v_cmp_eq_f32_e64 s5, 0, v2
	s_and_b32 s5, vcc_lo, s5
	s_and_saveexec_b32 s8, s5
	s_cbranch_execz .LBB61_10
; %bb.7:
	v_mov_b32_e32 v1, 0
	s_mov_b32 s9, 0
	ds_read_b32 v2, v1 offset:992
	s_waitcnt lgkmcnt(0)
	v_readfirstlane_b32 s5, v2
	v_add_nc_u32_e32 v2, 1, v0
	s_cmp_eq_u32 s5, 0
	v_cmp_gt_i32_e32 vcc_lo, s5, v2
	s_cselect_b32 s12, -1, 0
	s_or_b32 s12, s12, vcc_lo
	s_and_b32 exec_lo, exec_lo, s12
	s_cbranch_execz .LBB61_10
; %bb.8:
	v_mov_b32_e32 v4, s5
.LBB61_9:                               ; =>This Inner Loop Header: Depth=1
	ds_cmpst_rtn_b32 v4, v1, v4, v2 offset:992
	s_waitcnt lgkmcnt(0)
	v_cmp_ne_u32_e32 vcc_lo, 0, v4
	v_cmp_le_i32_e64 s5, v4, v2
	s_and_b32 s5, vcc_lo, s5
	s_and_b32 s5, exec_lo, s5
	s_or_b32 s9, s5, s9
	s_andn2_b32 exec_lo, exec_lo, s9
	s_cbranch_execnz .LBB61_9
.LBB61_10:
	s_or_b32 exec_lo, exec_lo, s8
	v_mov_b32_e32 v1, 0
	s_barrier
	buffer_gl0_inv
	ds_read_b32 v2, v1 offset:992
	s_and_saveexec_b32 s5, s4
	s_cbranch_execz .LBB61_12
; %bb.11:
	s_lshl_b64 s[8:9], s[6:7], 2
	s_add_u32 s8, s10, s8
	s_addc_u32 s9, s11, s9
	s_waitcnt lgkmcnt(0)
	global_store_dword v1, v2, s[8:9]
.LBB61_12:
	s_or_b32 exec_lo, exec_lo, s5
	s_waitcnt lgkmcnt(0)
	v_cmp_ne_u32_e32 vcc_lo, 0, v2
	s_mov_b32 s5, 0
	s_cbranch_vccnz .LBB61_260
; %bb.13:
	s_clause 0x1
	buffer_load_dword v2, v5, s[0:3], 0 offen
	buffer_load_dword v4, v5, s[0:3], 0 offen offset:4
                                        ; implicit-def: $vgpr7
                                        ; implicit-def: $vgpr6
                                        ; implicit-def: $vgpr1
	s_waitcnt vmcnt(0)
	v_cmp_ngt_f32_e64 s5, |v2|, |v4|
	s_and_saveexec_b32 s8, s5
	s_xor_b32 s5, exec_lo, s8
	s_cbranch_execz .LBB61_15
; %bb.14:
	v_div_scale_f32 v1, null, v4, v4, v2
	v_div_scale_f32 v8, vcc_lo, v2, v4, v2
	v_rcp_f32_e32 v6, v1
	v_fma_f32 v7, -v1, v6, 1.0
	v_fmac_f32_e32 v6, v7, v6
	v_mul_f32_e32 v7, v8, v6
	v_fma_f32 v9, -v1, v7, v8
	v_fmac_f32_e32 v7, v9, v6
	v_fma_f32 v1, -v1, v7, v8
	v_div_fmas_f32 v1, v1, v6, v7
	v_div_fixup_f32 v1, v1, v4, v2
	v_fmac_f32_e32 v4, v2, v1
	v_div_scale_f32 v2, null, v4, v4, 1.0
	v_rcp_f32_e32 v6, v2
	v_fma_f32 v7, -v2, v6, 1.0
	v_fmac_f32_e32 v6, v7, v6
	v_div_scale_f32 v7, vcc_lo, 1.0, v4, 1.0
	v_mul_f32_e32 v8, v7, v6
	v_fma_f32 v9, -v2, v8, v7
	v_fmac_f32_e32 v8, v9, v6
	v_fma_f32 v2, -v2, v8, v7
	v_div_fmas_f32 v2, v2, v6, v8
	v_div_fixup_f32 v2, v2, v4, 1.0
                                        ; implicit-def: $vgpr4
	v_mul_f32_e32 v7, v1, v2
	v_xor_b32_e32 v6, 0x80000000, v2
                                        ; implicit-def: $vgpr2
	v_xor_b32_e32 v1, 0x80000000, v7
.LBB61_15:
	s_andn2_saveexec_b32 s5, s5
	s_cbranch_execz .LBB61_17
; %bb.16:
	v_div_scale_f32 v1, null, v2, v2, v4
	v_div_scale_f32 v8, vcc_lo, v4, v2, v4
	v_rcp_f32_e32 v6, v1
	v_fma_f32 v7, -v1, v6, 1.0
	v_fmac_f32_e32 v6, v7, v6
	v_mul_f32_e32 v7, v8, v6
	v_fma_f32 v9, -v1, v7, v8
	v_fmac_f32_e32 v7, v9, v6
	v_fma_f32 v1, -v1, v7, v8
	v_div_fmas_f32 v1, v1, v6, v7
	v_div_fixup_f32 v6, v1, v2, v4
	v_fmac_f32_e32 v2, v4, v6
	v_div_scale_f32 v1, null, v2, v2, 1.0
	v_div_scale_f32 v8, vcc_lo, 1.0, v2, 1.0
	v_rcp_f32_e32 v4, v1
	v_fma_f32 v7, -v1, v4, 1.0
	v_fmac_f32_e32 v4, v7, v4
	v_mul_f32_e32 v7, v8, v4
	v_fma_f32 v9, -v1, v7, v8
	v_fmac_f32_e32 v7, v9, v4
	v_fma_f32 v1, -v1, v7, v8
	v_div_fmas_f32 v1, v1, v4, v7
	v_div_fixup_f32 v7, v1, v2, 1.0
	v_xor_b32_e32 v1, 0x80000000, v7
	v_mul_f32_e64 v6, v6, -v7
.LBB61_17:
	s_or_b32 exec_lo, exec_lo, s5
	buffer_store_dword v7, v5, s[0:3], 0 offen
	buffer_store_dword v6, v5, s[0:3], 0 offen offset:4
	s_clause 0x1
	buffer_load_dword v8, off, s[0:3], 0 offset:12
	buffer_load_dword v7, off, s[0:3], 0 offset:8
	v_xor_b32_e32 v2, 0x80000000, v6
	v_add_nc_u32_e32 v4, 0x1f0, v3
	s_waitcnt vmcnt(0)
	ds_write2_b64 v3, v[1:2], v[7:8] offset1:62
	s_waitcnt lgkmcnt(0)
	s_waitcnt_vscnt null, 0x0
	s_barrier
	buffer_gl0_inv
	s_and_saveexec_b32 s5, s4
	s_cbranch_execz .LBB61_19
; %bb.18:
	s_clause 0x1
	buffer_load_dword v8, v5, s[0:3], 0 offen offset:4
	buffer_load_dword v9, v5, s[0:3], 0 offen
	ds_read_b64 v[1:2], v4
	v_mov_b32_e32 v6, 0
	ds_read_b64 v[6:7], v6 offset:8
	s_waitcnt vmcnt(1) lgkmcnt(1)
	v_mul_f32_e32 v10, v1, v8
	v_mul_f32_e32 v8, v2, v8
	s_waitcnt vmcnt(0)
	v_fmac_f32_e32 v10, v2, v9
	v_fma_f32 v1, v1, v9, -v8
	v_add_f32_e32 v2, 0, v10
	v_add_f32_e32 v1, 0, v1
	s_waitcnt lgkmcnt(0)
	v_mul_f32_e32 v8, v2, v7
	v_mul_f32_e32 v7, v1, v7
	v_fma_f32 v1, v1, v6, -v8
	v_fmac_f32_e32 v7, v2, v6
	buffer_store_dword v1, off, s[0:3], 0 offset:8
	buffer_store_dword v7, off, s[0:3], 0 offset:12
.LBB61_19:
	s_or_b32 exec_lo, exec_lo, s5
	s_waitcnt_vscnt null, 0x0
	s_barrier
	buffer_gl0_inv
	s_clause 0x1
	buffer_load_dword v1, off, s[0:3], 0 offset:16
	buffer_load_dword v2, off, s[0:3], 0 offset:20
	s_mov_b32 s5, exec_lo
	s_waitcnt vmcnt(0)
	ds_write_b64 v4, v[1:2]
	s_waitcnt lgkmcnt(0)
	s_barrier
	buffer_gl0_inv
	v_cmpx_gt_u32_e32 2, v0
	s_cbranch_execz .LBB61_23
; %bb.20:
	s_clause 0x1
	buffer_load_dword v6, v5, s[0:3], 0 offen offset:4
	buffer_load_dword v5, v5, s[0:3], 0 offen
	ds_read_b64 v[1:2], v4
	s_waitcnt vmcnt(1) lgkmcnt(0)
	v_mul_f32_e32 v7, v2, v6
	v_mul_f32_e32 v6, v1, v6
	s_waitcnt vmcnt(0)
	v_fma_f32 v1, v1, v5, -v7
	v_fmac_f32_e32 v6, v2, v5
	v_add_f32_e32 v2, 0, v1
	v_add_f32_e32 v1, 0, v6
	s_and_saveexec_b32 s8, s4
	s_cbranch_execz .LBB61_22
; %bb.21:
	s_clause 0x1
	buffer_load_dword v7, off, s[0:3], 0 offset:12
	buffer_load_dword v8, off, s[0:3], 0 offset:8
	v_mov_b32_e32 v5, 0
	ds_read_b64 v[5:6], v5 offset:504
	s_waitcnt vmcnt(1) lgkmcnt(0)
	v_mul_f32_e32 v9, v5, v7
	v_mul_f32_e32 v7, v6, v7
	s_waitcnt vmcnt(0)
	v_fmac_f32_e32 v9, v6, v8
	v_fma_f32 v5, v5, v8, -v7
	v_add_f32_e32 v1, v1, v9
	v_add_f32_e32 v2, v2, v5
.LBB61_22:
	s_or_b32 exec_lo, exec_lo, s8
	v_mov_b32_e32 v5, 0
	ds_read_b64 v[5:6], v5 offset:16
	s_waitcnt lgkmcnt(0)
	v_mul_f32_e32 v7, v1, v6
	v_mul_f32_e32 v6, v2, v6
	v_fma_f32 v2, v2, v5, -v7
	v_fmac_f32_e32 v6, v1, v5
	buffer_store_dword v2, off, s[0:3], 0 offset:16
	buffer_store_dword v6, off, s[0:3], 0 offset:20
.LBB61_23:
	s_or_b32 exec_lo, exec_lo, s5
	s_waitcnt_vscnt null, 0x0
	s_barrier
	buffer_gl0_inv
	s_clause 0x1
	buffer_load_dword v5, off, s[0:3], 0 offset:24
	buffer_load_dword v6, off, s[0:3], 0 offset:28
	v_add_nc_u32_e32 v1, -1, v0
	s_mov_b32 s4, exec_lo
	s_waitcnt vmcnt(0)
	ds_write_b64 v4, v[5:6]
	s_waitcnt lgkmcnt(0)
	s_barrier
	buffer_gl0_inv
	v_cmpx_gt_u32_e32 3, v0
	s_cbranch_execz .LBB61_27
; %bb.24:
	v_add_nc_u32_e32 v5, -1, v0
	v_add_nc_u32_e32 v6, 0x1f0, v3
	v_mov_b32_e32 v7, v3
	v_mov_b32_e32 v2, 0
	;; [unrolled: 1-line block ×3, first 2 shown]
	s_mov_b32 s5, 0
	.p2align	6
.LBB61_25:                              ; =>This Inner Loop Header: Depth=1
	s_clause 0x1
	buffer_load_dword v11, v7, s[0:3], 0 offen offset:4
	buffer_load_dword v12, v7, s[0:3], 0 offen
	ds_read_b64 v[9:10], v6
	v_add_nc_u32_e32 v5, 1, v5
	v_add_nc_u32_e32 v6, 8, v6
	;; [unrolled: 1-line block ×3, first 2 shown]
	v_cmp_lt_u32_e32 vcc_lo, 1, v5
	s_or_b32 s5, vcc_lo, s5
	s_waitcnt vmcnt(1) lgkmcnt(0)
	v_mul_f32_e32 v137, v10, v11
	v_mul_f32_e32 v11, v9, v11
	s_waitcnt vmcnt(0)
	v_fma_f32 v9, v9, v12, -v137
	v_fmac_f32_e32 v11, v10, v12
	v_add_f32_e32 v8, v8, v9
	v_add_f32_e32 v2, v2, v11
	s_andn2_b32 exec_lo, exec_lo, s5
	s_cbranch_execnz .LBB61_25
; %bb.26:
	s_or_b32 exec_lo, exec_lo, s5
	v_mov_b32_e32 v5, 0
	ds_read_b64 v[5:6], v5 offset:24
	s_waitcnt lgkmcnt(0)
	v_mul_f32_e32 v7, v2, v6
	v_mul_f32_e32 v6, v8, v6
	v_fma_f32 v7, v8, v5, -v7
	v_fmac_f32_e32 v6, v2, v5
	buffer_store_dword v7, off, s[0:3], 0 offset:24
	buffer_store_dword v6, off, s[0:3], 0 offset:28
.LBB61_27:
	s_or_b32 exec_lo, exec_lo, s4
	s_waitcnt_vscnt null, 0x0
	s_barrier
	buffer_gl0_inv
	s_clause 0x1
	buffer_load_dword v5, off, s[0:3], 0 offset:32
	buffer_load_dword v6, off, s[0:3], 0 offset:36
	s_mov_b32 s4, exec_lo
	s_waitcnt vmcnt(0)
	ds_write_b64 v4, v[5:6]
	s_waitcnt lgkmcnt(0)
	s_barrier
	buffer_gl0_inv
	v_cmpx_gt_u32_e32 4, v0
	s_cbranch_execz .LBB61_31
; %bb.28:
	v_add_nc_u32_e32 v5, -1, v0
	v_add_nc_u32_e32 v6, 0x1f0, v3
	v_mov_b32_e32 v7, v3
	v_mov_b32_e32 v2, 0
	;; [unrolled: 1-line block ×3, first 2 shown]
	s_mov_b32 s5, 0
	.p2align	6
.LBB61_29:                              ; =>This Inner Loop Header: Depth=1
	s_clause 0x1
	buffer_load_dword v11, v7, s[0:3], 0 offen offset:4
	buffer_load_dword v12, v7, s[0:3], 0 offen
	ds_read_b64 v[9:10], v6
	v_add_nc_u32_e32 v5, 1, v5
	v_add_nc_u32_e32 v6, 8, v6
	;; [unrolled: 1-line block ×3, first 2 shown]
	v_cmp_lt_u32_e32 vcc_lo, 2, v5
	s_or_b32 s5, vcc_lo, s5
	s_waitcnt vmcnt(1) lgkmcnt(0)
	v_mul_f32_e32 v137, v10, v11
	v_mul_f32_e32 v11, v9, v11
	s_waitcnt vmcnt(0)
	v_fma_f32 v9, v9, v12, -v137
	v_fmac_f32_e32 v11, v10, v12
	v_add_f32_e32 v8, v8, v9
	v_add_f32_e32 v2, v2, v11
	s_andn2_b32 exec_lo, exec_lo, s5
	s_cbranch_execnz .LBB61_29
; %bb.30:
	s_or_b32 exec_lo, exec_lo, s5
	v_mov_b32_e32 v5, 0
	ds_read_b64 v[5:6], v5 offset:32
	s_waitcnt lgkmcnt(0)
	v_mul_f32_e32 v7, v2, v6
	v_mul_f32_e32 v6, v8, v6
	v_fma_f32 v7, v8, v5, -v7
	v_fmac_f32_e32 v6, v2, v5
	buffer_store_dword v7, off, s[0:3], 0 offset:32
	buffer_store_dword v6, off, s[0:3], 0 offset:36
.LBB61_31:
	s_or_b32 exec_lo, exec_lo, s4
	s_waitcnt_vscnt null, 0x0
	s_barrier
	buffer_gl0_inv
	s_clause 0x1
	buffer_load_dword v5, off, s[0:3], 0 offset:40
	buffer_load_dword v6, off, s[0:3], 0 offset:44
	s_mov_b32 s4, exec_lo
	s_waitcnt vmcnt(0)
	ds_write_b64 v4, v[5:6]
	s_waitcnt lgkmcnt(0)
	s_barrier
	buffer_gl0_inv
	v_cmpx_gt_u32_e32 5, v0
	s_cbranch_execz .LBB61_35
; %bb.32:
	v_add_nc_u32_e32 v5, -1, v0
	v_add_nc_u32_e32 v6, 0x1f0, v3
	v_mov_b32_e32 v7, v3
	v_mov_b32_e32 v2, 0
	;; [unrolled: 1-line block ×3, first 2 shown]
	s_mov_b32 s5, 0
	.p2align	6
.LBB61_33:                              ; =>This Inner Loop Header: Depth=1
	s_clause 0x1
	buffer_load_dword v11, v7, s[0:3], 0 offen offset:4
	buffer_load_dword v12, v7, s[0:3], 0 offen
	ds_read_b64 v[9:10], v6
	v_add_nc_u32_e32 v5, 1, v5
	v_add_nc_u32_e32 v6, 8, v6
	;; [unrolled: 1-line block ×3, first 2 shown]
	v_cmp_lt_u32_e32 vcc_lo, 3, v5
	s_or_b32 s5, vcc_lo, s5
	s_waitcnt vmcnt(1) lgkmcnt(0)
	v_mul_f32_e32 v137, v10, v11
	v_mul_f32_e32 v11, v9, v11
	s_waitcnt vmcnt(0)
	v_fma_f32 v9, v9, v12, -v137
	v_fmac_f32_e32 v11, v10, v12
	v_add_f32_e32 v8, v8, v9
	v_add_f32_e32 v2, v2, v11
	s_andn2_b32 exec_lo, exec_lo, s5
	s_cbranch_execnz .LBB61_33
; %bb.34:
	s_or_b32 exec_lo, exec_lo, s5
	v_mov_b32_e32 v5, 0
	ds_read_b64 v[5:6], v5 offset:40
	s_waitcnt lgkmcnt(0)
	v_mul_f32_e32 v7, v2, v6
	v_mul_f32_e32 v6, v8, v6
	v_fma_f32 v7, v8, v5, -v7
	v_fmac_f32_e32 v6, v2, v5
	buffer_store_dword v7, off, s[0:3], 0 offset:40
	buffer_store_dword v6, off, s[0:3], 0 offset:44
.LBB61_35:
	s_or_b32 exec_lo, exec_lo, s4
	s_waitcnt_vscnt null, 0x0
	s_barrier
	buffer_gl0_inv
	s_clause 0x1
	buffer_load_dword v5, off, s[0:3], 0 offset:48
	buffer_load_dword v6, off, s[0:3], 0 offset:52
	s_mov_b32 s4, exec_lo
	s_waitcnt vmcnt(0)
	ds_write_b64 v4, v[5:6]
	s_waitcnt lgkmcnt(0)
	s_barrier
	buffer_gl0_inv
	v_cmpx_gt_u32_e32 6, v0
	s_cbranch_execz .LBB61_39
; %bb.36:
	v_add_nc_u32_e32 v5, -1, v0
	v_add_nc_u32_e32 v6, 0x1f0, v3
	v_mov_b32_e32 v7, v3
	v_mov_b32_e32 v2, 0
	;; [unrolled: 1-line block ×3, first 2 shown]
	s_mov_b32 s5, 0
	.p2align	6
.LBB61_37:                              ; =>This Inner Loop Header: Depth=1
	s_clause 0x1
	buffer_load_dword v11, v7, s[0:3], 0 offen offset:4
	buffer_load_dword v12, v7, s[0:3], 0 offen
	ds_read_b64 v[9:10], v6
	v_add_nc_u32_e32 v5, 1, v5
	v_add_nc_u32_e32 v6, 8, v6
	;; [unrolled: 1-line block ×3, first 2 shown]
	v_cmp_lt_u32_e32 vcc_lo, 4, v5
	s_or_b32 s5, vcc_lo, s5
	s_waitcnt vmcnt(1) lgkmcnt(0)
	v_mul_f32_e32 v137, v10, v11
	v_mul_f32_e32 v11, v9, v11
	s_waitcnt vmcnt(0)
	v_fma_f32 v9, v9, v12, -v137
	v_fmac_f32_e32 v11, v10, v12
	v_add_f32_e32 v8, v8, v9
	v_add_f32_e32 v2, v2, v11
	s_andn2_b32 exec_lo, exec_lo, s5
	s_cbranch_execnz .LBB61_37
; %bb.38:
	s_or_b32 exec_lo, exec_lo, s5
	v_mov_b32_e32 v5, 0
	ds_read_b64 v[5:6], v5 offset:48
	s_waitcnt lgkmcnt(0)
	v_mul_f32_e32 v7, v2, v6
	v_mul_f32_e32 v6, v8, v6
	v_fma_f32 v7, v8, v5, -v7
	v_fmac_f32_e32 v6, v2, v5
	buffer_store_dword v7, off, s[0:3], 0 offset:48
	buffer_store_dword v6, off, s[0:3], 0 offset:52
.LBB61_39:
	s_or_b32 exec_lo, exec_lo, s4
	s_waitcnt_vscnt null, 0x0
	s_barrier
	buffer_gl0_inv
	s_clause 0x1
	buffer_load_dword v5, off, s[0:3], 0 offset:56
	buffer_load_dword v6, off, s[0:3], 0 offset:60
	s_mov_b32 s4, exec_lo
	s_waitcnt vmcnt(0)
	ds_write_b64 v4, v[5:6]
	s_waitcnt lgkmcnt(0)
	s_barrier
	buffer_gl0_inv
	v_cmpx_gt_u32_e32 7, v0
	s_cbranch_execz .LBB61_43
; %bb.40:
	v_add_nc_u32_e32 v5, -1, v0
	v_add_nc_u32_e32 v6, 0x1f0, v3
	v_mov_b32_e32 v7, v3
	v_mov_b32_e32 v2, 0
	;; [unrolled: 1-line block ×3, first 2 shown]
	s_mov_b32 s5, 0
	.p2align	6
.LBB61_41:                              ; =>This Inner Loop Header: Depth=1
	s_clause 0x1
	buffer_load_dword v11, v7, s[0:3], 0 offen offset:4
	buffer_load_dword v12, v7, s[0:3], 0 offen
	ds_read_b64 v[9:10], v6
	v_add_nc_u32_e32 v5, 1, v5
	v_add_nc_u32_e32 v6, 8, v6
	;; [unrolled: 1-line block ×3, first 2 shown]
	v_cmp_lt_u32_e32 vcc_lo, 5, v5
	s_or_b32 s5, vcc_lo, s5
	s_waitcnt vmcnt(1) lgkmcnt(0)
	v_mul_f32_e32 v137, v10, v11
	v_mul_f32_e32 v11, v9, v11
	s_waitcnt vmcnt(0)
	v_fma_f32 v9, v9, v12, -v137
	v_fmac_f32_e32 v11, v10, v12
	v_add_f32_e32 v8, v8, v9
	v_add_f32_e32 v2, v2, v11
	s_andn2_b32 exec_lo, exec_lo, s5
	s_cbranch_execnz .LBB61_41
; %bb.42:
	s_or_b32 exec_lo, exec_lo, s5
	v_mov_b32_e32 v5, 0
	ds_read_b64 v[5:6], v5 offset:56
	s_waitcnt lgkmcnt(0)
	v_mul_f32_e32 v7, v2, v6
	v_mul_f32_e32 v6, v8, v6
	v_fma_f32 v7, v8, v5, -v7
	v_fmac_f32_e32 v6, v2, v5
	buffer_store_dword v7, off, s[0:3], 0 offset:56
	buffer_store_dword v6, off, s[0:3], 0 offset:60
.LBB61_43:
	s_or_b32 exec_lo, exec_lo, s4
	s_waitcnt_vscnt null, 0x0
	s_barrier
	buffer_gl0_inv
	s_clause 0x1
	buffer_load_dword v5, off, s[0:3], 0 offset:64
	buffer_load_dword v6, off, s[0:3], 0 offset:68
	s_mov_b32 s4, exec_lo
	s_waitcnt vmcnt(0)
	ds_write_b64 v4, v[5:6]
	s_waitcnt lgkmcnt(0)
	s_barrier
	buffer_gl0_inv
	v_cmpx_gt_u32_e32 8, v0
	s_cbranch_execz .LBB61_47
; %bb.44:
	v_add_nc_u32_e32 v5, -1, v0
	v_add_nc_u32_e32 v6, 0x1f0, v3
	v_mov_b32_e32 v7, v3
	v_mov_b32_e32 v2, 0
	;; [unrolled: 1-line block ×3, first 2 shown]
	s_mov_b32 s5, 0
	.p2align	6
.LBB61_45:                              ; =>This Inner Loop Header: Depth=1
	s_clause 0x1
	buffer_load_dword v11, v7, s[0:3], 0 offen offset:4
	buffer_load_dword v12, v7, s[0:3], 0 offen
	ds_read_b64 v[9:10], v6
	v_add_nc_u32_e32 v5, 1, v5
	v_add_nc_u32_e32 v6, 8, v6
	;; [unrolled: 1-line block ×3, first 2 shown]
	v_cmp_lt_u32_e32 vcc_lo, 6, v5
	s_or_b32 s5, vcc_lo, s5
	s_waitcnt vmcnt(1) lgkmcnt(0)
	v_mul_f32_e32 v137, v10, v11
	v_mul_f32_e32 v11, v9, v11
	s_waitcnt vmcnt(0)
	v_fma_f32 v9, v9, v12, -v137
	v_fmac_f32_e32 v11, v10, v12
	v_add_f32_e32 v8, v8, v9
	v_add_f32_e32 v2, v2, v11
	s_andn2_b32 exec_lo, exec_lo, s5
	s_cbranch_execnz .LBB61_45
; %bb.46:
	s_or_b32 exec_lo, exec_lo, s5
	v_mov_b32_e32 v5, 0
	ds_read_b64 v[5:6], v5 offset:64
	s_waitcnt lgkmcnt(0)
	v_mul_f32_e32 v7, v2, v6
	v_mul_f32_e32 v6, v8, v6
	v_fma_f32 v7, v8, v5, -v7
	v_fmac_f32_e32 v6, v2, v5
	buffer_store_dword v7, off, s[0:3], 0 offset:64
	buffer_store_dword v6, off, s[0:3], 0 offset:68
.LBB61_47:
	s_or_b32 exec_lo, exec_lo, s4
	s_waitcnt_vscnt null, 0x0
	s_barrier
	buffer_gl0_inv
	s_clause 0x1
	buffer_load_dword v5, off, s[0:3], 0 offset:72
	buffer_load_dword v6, off, s[0:3], 0 offset:76
	s_mov_b32 s4, exec_lo
	s_waitcnt vmcnt(0)
	ds_write_b64 v4, v[5:6]
	s_waitcnt lgkmcnt(0)
	s_barrier
	buffer_gl0_inv
	v_cmpx_gt_u32_e32 9, v0
	s_cbranch_execz .LBB61_51
; %bb.48:
	v_add_nc_u32_e32 v5, -1, v0
	v_add_nc_u32_e32 v6, 0x1f0, v3
	v_mov_b32_e32 v7, v3
	v_mov_b32_e32 v2, 0
	;; [unrolled: 1-line block ×3, first 2 shown]
	s_mov_b32 s5, 0
	.p2align	6
.LBB61_49:                              ; =>This Inner Loop Header: Depth=1
	s_clause 0x1
	buffer_load_dword v11, v7, s[0:3], 0 offen offset:4
	buffer_load_dword v12, v7, s[0:3], 0 offen
	ds_read_b64 v[9:10], v6
	v_add_nc_u32_e32 v5, 1, v5
	v_add_nc_u32_e32 v6, 8, v6
	;; [unrolled: 1-line block ×3, first 2 shown]
	v_cmp_lt_u32_e32 vcc_lo, 7, v5
	s_or_b32 s5, vcc_lo, s5
	s_waitcnt vmcnt(1) lgkmcnt(0)
	v_mul_f32_e32 v137, v10, v11
	v_mul_f32_e32 v11, v9, v11
	s_waitcnt vmcnt(0)
	v_fma_f32 v9, v9, v12, -v137
	v_fmac_f32_e32 v11, v10, v12
	v_add_f32_e32 v8, v8, v9
	v_add_f32_e32 v2, v2, v11
	s_andn2_b32 exec_lo, exec_lo, s5
	s_cbranch_execnz .LBB61_49
; %bb.50:
	s_or_b32 exec_lo, exec_lo, s5
	v_mov_b32_e32 v5, 0
	ds_read_b64 v[5:6], v5 offset:72
	s_waitcnt lgkmcnt(0)
	v_mul_f32_e32 v7, v2, v6
	v_mul_f32_e32 v6, v8, v6
	v_fma_f32 v7, v8, v5, -v7
	v_fmac_f32_e32 v6, v2, v5
	buffer_store_dword v7, off, s[0:3], 0 offset:72
	buffer_store_dword v6, off, s[0:3], 0 offset:76
.LBB61_51:
	s_or_b32 exec_lo, exec_lo, s4
	s_waitcnt_vscnt null, 0x0
	s_barrier
	buffer_gl0_inv
	s_clause 0x1
	buffer_load_dword v5, off, s[0:3], 0 offset:80
	buffer_load_dword v6, off, s[0:3], 0 offset:84
	s_mov_b32 s4, exec_lo
	s_waitcnt vmcnt(0)
	ds_write_b64 v4, v[5:6]
	s_waitcnt lgkmcnt(0)
	s_barrier
	buffer_gl0_inv
	v_cmpx_gt_u32_e32 10, v0
	s_cbranch_execz .LBB61_55
; %bb.52:
	v_add_nc_u32_e32 v5, -1, v0
	v_add_nc_u32_e32 v6, 0x1f0, v3
	v_mov_b32_e32 v7, v3
	v_mov_b32_e32 v2, 0
	;; [unrolled: 1-line block ×3, first 2 shown]
	s_mov_b32 s5, 0
	.p2align	6
.LBB61_53:                              ; =>This Inner Loop Header: Depth=1
	s_clause 0x1
	buffer_load_dword v11, v7, s[0:3], 0 offen offset:4
	buffer_load_dword v12, v7, s[0:3], 0 offen
	ds_read_b64 v[9:10], v6
	v_add_nc_u32_e32 v5, 1, v5
	v_add_nc_u32_e32 v6, 8, v6
	;; [unrolled: 1-line block ×3, first 2 shown]
	v_cmp_lt_u32_e32 vcc_lo, 8, v5
	s_or_b32 s5, vcc_lo, s5
	s_waitcnt vmcnt(1) lgkmcnt(0)
	v_mul_f32_e32 v137, v10, v11
	v_mul_f32_e32 v11, v9, v11
	s_waitcnt vmcnt(0)
	v_fma_f32 v9, v9, v12, -v137
	v_fmac_f32_e32 v11, v10, v12
	v_add_f32_e32 v8, v8, v9
	v_add_f32_e32 v2, v2, v11
	s_andn2_b32 exec_lo, exec_lo, s5
	s_cbranch_execnz .LBB61_53
; %bb.54:
	s_or_b32 exec_lo, exec_lo, s5
	v_mov_b32_e32 v5, 0
	ds_read_b64 v[5:6], v5 offset:80
	s_waitcnt lgkmcnt(0)
	v_mul_f32_e32 v7, v2, v6
	v_mul_f32_e32 v6, v8, v6
	v_fma_f32 v7, v8, v5, -v7
	v_fmac_f32_e32 v6, v2, v5
	buffer_store_dword v7, off, s[0:3], 0 offset:80
	buffer_store_dword v6, off, s[0:3], 0 offset:84
.LBB61_55:
	s_or_b32 exec_lo, exec_lo, s4
	s_waitcnt_vscnt null, 0x0
	s_barrier
	buffer_gl0_inv
	s_clause 0x1
	buffer_load_dword v5, off, s[0:3], 0 offset:88
	buffer_load_dword v6, off, s[0:3], 0 offset:92
	s_mov_b32 s4, exec_lo
	s_waitcnt vmcnt(0)
	ds_write_b64 v4, v[5:6]
	s_waitcnt lgkmcnt(0)
	s_barrier
	buffer_gl0_inv
	v_cmpx_gt_u32_e32 11, v0
	s_cbranch_execz .LBB61_59
; %bb.56:
	v_add_nc_u32_e32 v5, -1, v0
	v_add_nc_u32_e32 v6, 0x1f0, v3
	v_mov_b32_e32 v7, v3
	v_mov_b32_e32 v2, 0
	;; [unrolled: 1-line block ×3, first 2 shown]
	s_mov_b32 s5, 0
	.p2align	6
.LBB61_57:                              ; =>This Inner Loop Header: Depth=1
	s_clause 0x1
	buffer_load_dword v11, v7, s[0:3], 0 offen offset:4
	buffer_load_dword v12, v7, s[0:3], 0 offen
	ds_read_b64 v[9:10], v6
	v_add_nc_u32_e32 v5, 1, v5
	v_add_nc_u32_e32 v6, 8, v6
	;; [unrolled: 1-line block ×3, first 2 shown]
	v_cmp_lt_u32_e32 vcc_lo, 9, v5
	s_or_b32 s5, vcc_lo, s5
	s_waitcnt vmcnt(1) lgkmcnt(0)
	v_mul_f32_e32 v137, v10, v11
	v_mul_f32_e32 v11, v9, v11
	s_waitcnt vmcnt(0)
	v_fma_f32 v9, v9, v12, -v137
	v_fmac_f32_e32 v11, v10, v12
	v_add_f32_e32 v8, v8, v9
	v_add_f32_e32 v2, v2, v11
	s_andn2_b32 exec_lo, exec_lo, s5
	s_cbranch_execnz .LBB61_57
; %bb.58:
	s_or_b32 exec_lo, exec_lo, s5
	v_mov_b32_e32 v5, 0
	ds_read_b64 v[5:6], v5 offset:88
	s_waitcnt lgkmcnt(0)
	v_mul_f32_e32 v7, v2, v6
	v_mul_f32_e32 v6, v8, v6
	v_fma_f32 v7, v8, v5, -v7
	v_fmac_f32_e32 v6, v2, v5
	buffer_store_dword v7, off, s[0:3], 0 offset:88
	buffer_store_dword v6, off, s[0:3], 0 offset:92
.LBB61_59:
	s_or_b32 exec_lo, exec_lo, s4
	s_waitcnt_vscnt null, 0x0
	s_barrier
	buffer_gl0_inv
	s_clause 0x1
	buffer_load_dword v5, off, s[0:3], 0 offset:96
	buffer_load_dword v6, off, s[0:3], 0 offset:100
	s_mov_b32 s4, exec_lo
	s_waitcnt vmcnt(0)
	ds_write_b64 v4, v[5:6]
	s_waitcnt lgkmcnt(0)
	s_barrier
	buffer_gl0_inv
	v_cmpx_gt_u32_e32 12, v0
	s_cbranch_execz .LBB61_63
; %bb.60:
	v_add_nc_u32_e32 v5, -1, v0
	v_add_nc_u32_e32 v6, 0x1f0, v3
	v_mov_b32_e32 v7, v3
	v_mov_b32_e32 v2, 0
	;; [unrolled: 1-line block ×3, first 2 shown]
	s_mov_b32 s5, 0
	.p2align	6
.LBB61_61:                              ; =>This Inner Loop Header: Depth=1
	s_clause 0x1
	buffer_load_dword v11, v7, s[0:3], 0 offen offset:4
	buffer_load_dword v12, v7, s[0:3], 0 offen
	ds_read_b64 v[9:10], v6
	v_add_nc_u32_e32 v5, 1, v5
	v_add_nc_u32_e32 v6, 8, v6
	;; [unrolled: 1-line block ×3, first 2 shown]
	v_cmp_lt_u32_e32 vcc_lo, 10, v5
	s_or_b32 s5, vcc_lo, s5
	s_waitcnt vmcnt(1) lgkmcnt(0)
	v_mul_f32_e32 v137, v10, v11
	v_mul_f32_e32 v11, v9, v11
	s_waitcnt vmcnt(0)
	v_fma_f32 v9, v9, v12, -v137
	v_fmac_f32_e32 v11, v10, v12
	v_add_f32_e32 v8, v8, v9
	v_add_f32_e32 v2, v2, v11
	s_andn2_b32 exec_lo, exec_lo, s5
	s_cbranch_execnz .LBB61_61
; %bb.62:
	s_or_b32 exec_lo, exec_lo, s5
	v_mov_b32_e32 v5, 0
	ds_read_b64 v[5:6], v5 offset:96
	s_waitcnt lgkmcnt(0)
	v_mul_f32_e32 v7, v2, v6
	v_mul_f32_e32 v6, v8, v6
	v_fma_f32 v7, v8, v5, -v7
	v_fmac_f32_e32 v6, v2, v5
	buffer_store_dword v7, off, s[0:3], 0 offset:96
	buffer_store_dword v6, off, s[0:3], 0 offset:100
.LBB61_63:
	s_or_b32 exec_lo, exec_lo, s4
	s_waitcnt_vscnt null, 0x0
	s_barrier
	buffer_gl0_inv
	s_clause 0x1
	buffer_load_dword v5, off, s[0:3], 0 offset:104
	buffer_load_dword v6, off, s[0:3], 0 offset:108
	s_mov_b32 s4, exec_lo
	s_waitcnt vmcnt(0)
	ds_write_b64 v4, v[5:6]
	s_waitcnt lgkmcnt(0)
	s_barrier
	buffer_gl0_inv
	v_cmpx_gt_u32_e32 13, v0
	s_cbranch_execz .LBB61_67
; %bb.64:
	v_add_nc_u32_e32 v5, -1, v0
	v_add_nc_u32_e32 v6, 0x1f0, v3
	v_mov_b32_e32 v7, v3
	v_mov_b32_e32 v2, 0
	;; [unrolled: 1-line block ×3, first 2 shown]
	s_mov_b32 s5, 0
	.p2align	6
.LBB61_65:                              ; =>This Inner Loop Header: Depth=1
	s_clause 0x1
	buffer_load_dword v11, v7, s[0:3], 0 offen offset:4
	buffer_load_dword v12, v7, s[0:3], 0 offen
	ds_read_b64 v[9:10], v6
	v_add_nc_u32_e32 v5, 1, v5
	v_add_nc_u32_e32 v6, 8, v6
	;; [unrolled: 1-line block ×3, first 2 shown]
	v_cmp_lt_u32_e32 vcc_lo, 11, v5
	s_or_b32 s5, vcc_lo, s5
	s_waitcnt vmcnt(1) lgkmcnt(0)
	v_mul_f32_e32 v137, v10, v11
	v_mul_f32_e32 v11, v9, v11
	s_waitcnt vmcnt(0)
	v_fma_f32 v9, v9, v12, -v137
	v_fmac_f32_e32 v11, v10, v12
	v_add_f32_e32 v8, v8, v9
	v_add_f32_e32 v2, v2, v11
	s_andn2_b32 exec_lo, exec_lo, s5
	s_cbranch_execnz .LBB61_65
; %bb.66:
	s_or_b32 exec_lo, exec_lo, s5
	v_mov_b32_e32 v5, 0
	ds_read_b64 v[5:6], v5 offset:104
	s_waitcnt lgkmcnt(0)
	v_mul_f32_e32 v7, v2, v6
	v_mul_f32_e32 v6, v8, v6
	v_fma_f32 v7, v8, v5, -v7
	v_fmac_f32_e32 v6, v2, v5
	buffer_store_dword v7, off, s[0:3], 0 offset:104
	buffer_store_dword v6, off, s[0:3], 0 offset:108
.LBB61_67:
	s_or_b32 exec_lo, exec_lo, s4
	s_waitcnt_vscnt null, 0x0
	s_barrier
	buffer_gl0_inv
	s_clause 0x1
	buffer_load_dword v5, off, s[0:3], 0 offset:112
	buffer_load_dword v6, off, s[0:3], 0 offset:116
	s_mov_b32 s4, exec_lo
	s_waitcnt vmcnt(0)
	ds_write_b64 v4, v[5:6]
	s_waitcnt lgkmcnt(0)
	s_barrier
	buffer_gl0_inv
	v_cmpx_gt_u32_e32 14, v0
	s_cbranch_execz .LBB61_71
; %bb.68:
	v_add_nc_u32_e32 v5, -1, v0
	v_add_nc_u32_e32 v6, 0x1f0, v3
	v_mov_b32_e32 v7, v3
	v_mov_b32_e32 v2, 0
	v_mov_b32_e32 v8, 0
	s_mov_b32 s5, 0
	.p2align	6
.LBB61_69:                              ; =>This Inner Loop Header: Depth=1
	s_clause 0x1
	buffer_load_dword v11, v7, s[0:3], 0 offen offset:4
	buffer_load_dword v12, v7, s[0:3], 0 offen
	ds_read_b64 v[9:10], v6
	v_add_nc_u32_e32 v5, 1, v5
	v_add_nc_u32_e32 v6, 8, v6
	;; [unrolled: 1-line block ×3, first 2 shown]
	v_cmp_lt_u32_e32 vcc_lo, 12, v5
	s_or_b32 s5, vcc_lo, s5
	s_waitcnt vmcnt(1) lgkmcnt(0)
	v_mul_f32_e32 v137, v10, v11
	v_mul_f32_e32 v11, v9, v11
	s_waitcnt vmcnt(0)
	v_fma_f32 v9, v9, v12, -v137
	v_fmac_f32_e32 v11, v10, v12
	v_add_f32_e32 v8, v8, v9
	v_add_f32_e32 v2, v2, v11
	s_andn2_b32 exec_lo, exec_lo, s5
	s_cbranch_execnz .LBB61_69
; %bb.70:
	s_or_b32 exec_lo, exec_lo, s5
	v_mov_b32_e32 v5, 0
	ds_read_b64 v[5:6], v5 offset:112
	s_waitcnt lgkmcnt(0)
	v_mul_f32_e32 v7, v2, v6
	v_mul_f32_e32 v6, v8, v6
	v_fma_f32 v7, v8, v5, -v7
	v_fmac_f32_e32 v6, v2, v5
	buffer_store_dword v7, off, s[0:3], 0 offset:112
	buffer_store_dword v6, off, s[0:3], 0 offset:116
.LBB61_71:
	s_or_b32 exec_lo, exec_lo, s4
	s_waitcnt_vscnt null, 0x0
	s_barrier
	buffer_gl0_inv
	s_clause 0x1
	buffer_load_dword v5, off, s[0:3], 0 offset:120
	buffer_load_dword v6, off, s[0:3], 0 offset:124
	s_mov_b32 s4, exec_lo
	s_waitcnt vmcnt(0)
	ds_write_b64 v4, v[5:6]
	s_waitcnt lgkmcnt(0)
	s_barrier
	buffer_gl0_inv
	v_cmpx_gt_u32_e32 15, v0
	s_cbranch_execz .LBB61_75
; %bb.72:
	v_add_nc_u32_e32 v5, -1, v0
	v_add_nc_u32_e32 v6, 0x1f0, v3
	v_mov_b32_e32 v7, v3
	v_mov_b32_e32 v2, 0
	v_mov_b32_e32 v8, 0
	s_mov_b32 s5, 0
	.p2align	6
.LBB61_73:                              ; =>This Inner Loop Header: Depth=1
	s_clause 0x1
	buffer_load_dword v11, v7, s[0:3], 0 offen offset:4
	buffer_load_dword v12, v7, s[0:3], 0 offen
	ds_read_b64 v[9:10], v6
	v_add_nc_u32_e32 v5, 1, v5
	v_add_nc_u32_e32 v6, 8, v6
	;; [unrolled: 1-line block ×3, first 2 shown]
	v_cmp_lt_u32_e32 vcc_lo, 13, v5
	s_or_b32 s5, vcc_lo, s5
	s_waitcnt vmcnt(1) lgkmcnt(0)
	v_mul_f32_e32 v137, v10, v11
	v_mul_f32_e32 v11, v9, v11
	s_waitcnt vmcnt(0)
	v_fma_f32 v9, v9, v12, -v137
	v_fmac_f32_e32 v11, v10, v12
	v_add_f32_e32 v8, v8, v9
	v_add_f32_e32 v2, v2, v11
	s_andn2_b32 exec_lo, exec_lo, s5
	s_cbranch_execnz .LBB61_73
; %bb.74:
	s_or_b32 exec_lo, exec_lo, s5
	v_mov_b32_e32 v5, 0
	ds_read_b64 v[5:6], v5 offset:120
	s_waitcnt lgkmcnt(0)
	v_mul_f32_e32 v7, v2, v6
	v_mul_f32_e32 v6, v8, v6
	v_fma_f32 v7, v8, v5, -v7
	v_fmac_f32_e32 v6, v2, v5
	buffer_store_dword v7, off, s[0:3], 0 offset:120
	buffer_store_dword v6, off, s[0:3], 0 offset:124
.LBB61_75:
	s_or_b32 exec_lo, exec_lo, s4
	s_waitcnt_vscnt null, 0x0
	s_barrier
	buffer_gl0_inv
	s_clause 0x1
	buffer_load_dword v5, off, s[0:3], 0 offset:128
	buffer_load_dword v6, off, s[0:3], 0 offset:132
	s_mov_b32 s4, exec_lo
	s_waitcnt vmcnt(0)
	ds_write_b64 v4, v[5:6]
	s_waitcnt lgkmcnt(0)
	s_barrier
	buffer_gl0_inv
	v_cmpx_gt_u32_e32 16, v0
	s_cbranch_execz .LBB61_79
; %bb.76:
	v_add_nc_u32_e32 v5, -1, v0
	v_add_nc_u32_e32 v6, 0x1f0, v3
	v_mov_b32_e32 v7, v3
	v_mov_b32_e32 v2, 0
	;; [unrolled: 1-line block ×3, first 2 shown]
	s_mov_b32 s5, 0
	.p2align	6
.LBB61_77:                              ; =>This Inner Loop Header: Depth=1
	s_clause 0x1
	buffer_load_dword v11, v7, s[0:3], 0 offen offset:4
	buffer_load_dword v12, v7, s[0:3], 0 offen
	ds_read_b64 v[9:10], v6
	v_add_nc_u32_e32 v5, 1, v5
	v_add_nc_u32_e32 v6, 8, v6
	;; [unrolled: 1-line block ×3, first 2 shown]
	v_cmp_lt_u32_e32 vcc_lo, 14, v5
	s_or_b32 s5, vcc_lo, s5
	s_waitcnt vmcnt(1) lgkmcnt(0)
	v_mul_f32_e32 v137, v10, v11
	v_mul_f32_e32 v11, v9, v11
	s_waitcnt vmcnt(0)
	v_fma_f32 v9, v9, v12, -v137
	v_fmac_f32_e32 v11, v10, v12
	v_add_f32_e32 v8, v8, v9
	v_add_f32_e32 v2, v2, v11
	s_andn2_b32 exec_lo, exec_lo, s5
	s_cbranch_execnz .LBB61_77
; %bb.78:
	s_or_b32 exec_lo, exec_lo, s5
	v_mov_b32_e32 v5, 0
	ds_read_b64 v[5:6], v5 offset:128
	s_waitcnt lgkmcnt(0)
	v_mul_f32_e32 v7, v2, v6
	v_mul_f32_e32 v6, v8, v6
	v_fma_f32 v7, v8, v5, -v7
	v_fmac_f32_e32 v6, v2, v5
	buffer_store_dword v7, off, s[0:3], 0 offset:128
	buffer_store_dword v6, off, s[0:3], 0 offset:132
.LBB61_79:
	s_or_b32 exec_lo, exec_lo, s4
	s_waitcnt_vscnt null, 0x0
	s_barrier
	buffer_gl0_inv
	s_clause 0x1
	buffer_load_dword v5, off, s[0:3], 0 offset:136
	buffer_load_dword v6, off, s[0:3], 0 offset:140
	s_mov_b32 s4, exec_lo
	s_waitcnt vmcnt(0)
	ds_write_b64 v4, v[5:6]
	s_waitcnt lgkmcnt(0)
	s_barrier
	buffer_gl0_inv
	v_cmpx_gt_u32_e32 17, v0
	s_cbranch_execz .LBB61_83
; %bb.80:
	v_add_nc_u32_e32 v5, -1, v0
	v_add_nc_u32_e32 v6, 0x1f0, v3
	v_mov_b32_e32 v7, v3
	v_mov_b32_e32 v2, 0
	;; [unrolled: 1-line block ×3, first 2 shown]
	s_mov_b32 s5, 0
	.p2align	6
.LBB61_81:                              ; =>This Inner Loop Header: Depth=1
	s_clause 0x1
	buffer_load_dword v11, v7, s[0:3], 0 offen offset:4
	buffer_load_dword v12, v7, s[0:3], 0 offen
	ds_read_b64 v[9:10], v6
	v_add_nc_u32_e32 v5, 1, v5
	v_add_nc_u32_e32 v6, 8, v6
	;; [unrolled: 1-line block ×3, first 2 shown]
	v_cmp_lt_u32_e32 vcc_lo, 15, v5
	s_or_b32 s5, vcc_lo, s5
	s_waitcnt vmcnt(1) lgkmcnt(0)
	v_mul_f32_e32 v137, v10, v11
	v_mul_f32_e32 v11, v9, v11
	s_waitcnt vmcnt(0)
	v_fma_f32 v9, v9, v12, -v137
	v_fmac_f32_e32 v11, v10, v12
	v_add_f32_e32 v8, v8, v9
	v_add_f32_e32 v2, v2, v11
	s_andn2_b32 exec_lo, exec_lo, s5
	s_cbranch_execnz .LBB61_81
; %bb.82:
	s_or_b32 exec_lo, exec_lo, s5
	v_mov_b32_e32 v5, 0
	ds_read_b64 v[5:6], v5 offset:136
	s_waitcnt lgkmcnt(0)
	v_mul_f32_e32 v7, v2, v6
	v_mul_f32_e32 v6, v8, v6
	v_fma_f32 v7, v8, v5, -v7
	v_fmac_f32_e32 v6, v2, v5
	buffer_store_dword v7, off, s[0:3], 0 offset:136
	buffer_store_dword v6, off, s[0:3], 0 offset:140
.LBB61_83:
	s_or_b32 exec_lo, exec_lo, s4
	s_waitcnt_vscnt null, 0x0
	s_barrier
	buffer_gl0_inv
	s_clause 0x1
	buffer_load_dword v5, off, s[0:3], 0 offset:144
	buffer_load_dword v6, off, s[0:3], 0 offset:148
	s_mov_b32 s4, exec_lo
	s_waitcnt vmcnt(0)
	ds_write_b64 v4, v[5:6]
	s_waitcnt lgkmcnt(0)
	s_barrier
	buffer_gl0_inv
	v_cmpx_gt_u32_e32 18, v0
	s_cbranch_execz .LBB61_87
; %bb.84:
	v_add_nc_u32_e32 v5, -1, v0
	v_add_nc_u32_e32 v6, 0x1f0, v3
	v_mov_b32_e32 v7, v3
	v_mov_b32_e32 v2, 0
	;; [unrolled: 1-line block ×3, first 2 shown]
	s_mov_b32 s5, 0
	.p2align	6
.LBB61_85:                              ; =>This Inner Loop Header: Depth=1
	s_clause 0x1
	buffer_load_dword v11, v7, s[0:3], 0 offen offset:4
	buffer_load_dword v12, v7, s[0:3], 0 offen
	ds_read_b64 v[9:10], v6
	v_add_nc_u32_e32 v5, 1, v5
	v_add_nc_u32_e32 v6, 8, v6
	;; [unrolled: 1-line block ×3, first 2 shown]
	v_cmp_lt_u32_e32 vcc_lo, 16, v5
	s_or_b32 s5, vcc_lo, s5
	s_waitcnt vmcnt(1) lgkmcnt(0)
	v_mul_f32_e32 v137, v10, v11
	v_mul_f32_e32 v11, v9, v11
	s_waitcnt vmcnt(0)
	v_fma_f32 v9, v9, v12, -v137
	v_fmac_f32_e32 v11, v10, v12
	v_add_f32_e32 v8, v8, v9
	v_add_f32_e32 v2, v2, v11
	s_andn2_b32 exec_lo, exec_lo, s5
	s_cbranch_execnz .LBB61_85
; %bb.86:
	s_or_b32 exec_lo, exec_lo, s5
	v_mov_b32_e32 v5, 0
	ds_read_b64 v[5:6], v5 offset:144
	s_waitcnt lgkmcnt(0)
	v_mul_f32_e32 v7, v2, v6
	v_mul_f32_e32 v6, v8, v6
	v_fma_f32 v7, v8, v5, -v7
	v_fmac_f32_e32 v6, v2, v5
	buffer_store_dword v7, off, s[0:3], 0 offset:144
	buffer_store_dword v6, off, s[0:3], 0 offset:148
.LBB61_87:
	s_or_b32 exec_lo, exec_lo, s4
	s_waitcnt_vscnt null, 0x0
	s_barrier
	buffer_gl0_inv
	s_clause 0x1
	buffer_load_dword v5, off, s[0:3], 0 offset:152
	buffer_load_dword v6, off, s[0:3], 0 offset:156
	s_mov_b32 s4, exec_lo
	s_waitcnt vmcnt(0)
	ds_write_b64 v4, v[5:6]
	s_waitcnt lgkmcnt(0)
	s_barrier
	buffer_gl0_inv
	v_cmpx_gt_u32_e32 19, v0
	s_cbranch_execz .LBB61_91
; %bb.88:
	v_add_nc_u32_e32 v5, -1, v0
	v_add_nc_u32_e32 v6, 0x1f0, v3
	v_mov_b32_e32 v7, v3
	v_mov_b32_e32 v2, 0
	v_mov_b32_e32 v8, 0
	s_mov_b32 s5, 0
	.p2align	6
.LBB61_89:                              ; =>This Inner Loop Header: Depth=1
	s_clause 0x1
	buffer_load_dword v11, v7, s[0:3], 0 offen offset:4
	buffer_load_dword v12, v7, s[0:3], 0 offen
	ds_read_b64 v[9:10], v6
	v_add_nc_u32_e32 v5, 1, v5
	v_add_nc_u32_e32 v6, 8, v6
	;; [unrolled: 1-line block ×3, first 2 shown]
	v_cmp_lt_u32_e32 vcc_lo, 17, v5
	s_or_b32 s5, vcc_lo, s5
	s_waitcnt vmcnt(1) lgkmcnt(0)
	v_mul_f32_e32 v137, v10, v11
	v_mul_f32_e32 v11, v9, v11
	s_waitcnt vmcnt(0)
	v_fma_f32 v9, v9, v12, -v137
	v_fmac_f32_e32 v11, v10, v12
	v_add_f32_e32 v8, v8, v9
	v_add_f32_e32 v2, v2, v11
	s_andn2_b32 exec_lo, exec_lo, s5
	s_cbranch_execnz .LBB61_89
; %bb.90:
	s_or_b32 exec_lo, exec_lo, s5
	v_mov_b32_e32 v5, 0
	ds_read_b64 v[5:6], v5 offset:152
	s_waitcnt lgkmcnt(0)
	v_mul_f32_e32 v7, v2, v6
	v_mul_f32_e32 v6, v8, v6
	v_fma_f32 v7, v8, v5, -v7
	v_fmac_f32_e32 v6, v2, v5
	buffer_store_dword v7, off, s[0:3], 0 offset:152
	buffer_store_dword v6, off, s[0:3], 0 offset:156
.LBB61_91:
	s_or_b32 exec_lo, exec_lo, s4
	s_waitcnt_vscnt null, 0x0
	s_barrier
	buffer_gl0_inv
	s_clause 0x1
	buffer_load_dword v5, off, s[0:3], 0 offset:160
	buffer_load_dword v6, off, s[0:3], 0 offset:164
	s_mov_b32 s4, exec_lo
	s_waitcnt vmcnt(0)
	ds_write_b64 v4, v[5:6]
	s_waitcnt lgkmcnt(0)
	s_barrier
	buffer_gl0_inv
	v_cmpx_gt_u32_e32 20, v0
	s_cbranch_execz .LBB61_95
; %bb.92:
	v_add_nc_u32_e32 v5, -1, v0
	v_add_nc_u32_e32 v6, 0x1f0, v3
	v_mov_b32_e32 v7, v3
	v_mov_b32_e32 v2, 0
	;; [unrolled: 1-line block ×3, first 2 shown]
	s_mov_b32 s5, 0
	.p2align	6
.LBB61_93:                              ; =>This Inner Loop Header: Depth=1
	s_clause 0x1
	buffer_load_dword v11, v7, s[0:3], 0 offen offset:4
	buffer_load_dword v12, v7, s[0:3], 0 offen
	ds_read_b64 v[9:10], v6
	v_add_nc_u32_e32 v5, 1, v5
	v_add_nc_u32_e32 v6, 8, v6
	;; [unrolled: 1-line block ×3, first 2 shown]
	v_cmp_lt_u32_e32 vcc_lo, 18, v5
	s_or_b32 s5, vcc_lo, s5
	s_waitcnt vmcnt(1) lgkmcnt(0)
	v_mul_f32_e32 v137, v10, v11
	v_mul_f32_e32 v11, v9, v11
	s_waitcnt vmcnt(0)
	v_fma_f32 v9, v9, v12, -v137
	v_fmac_f32_e32 v11, v10, v12
	v_add_f32_e32 v8, v8, v9
	v_add_f32_e32 v2, v2, v11
	s_andn2_b32 exec_lo, exec_lo, s5
	s_cbranch_execnz .LBB61_93
; %bb.94:
	s_or_b32 exec_lo, exec_lo, s5
	v_mov_b32_e32 v5, 0
	ds_read_b64 v[5:6], v5 offset:160
	s_waitcnt lgkmcnt(0)
	v_mul_f32_e32 v7, v2, v6
	v_mul_f32_e32 v6, v8, v6
	v_fma_f32 v7, v8, v5, -v7
	v_fmac_f32_e32 v6, v2, v5
	buffer_store_dword v7, off, s[0:3], 0 offset:160
	buffer_store_dword v6, off, s[0:3], 0 offset:164
.LBB61_95:
	s_or_b32 exec_lo, exec_lo, s4
	s_waitcnt_vscnt null, 0x0
	s_barrier
	buffer_gl0_inv
	s_clause 0x1
	buffer_load_dword v5, off, s[0:3], 0 offset:168
	buffer_load_dword v6, off, s[0:3], 0 offset:172
	s_mov_b32 s4, exec_lo
	s_waitcnt vmcnt(0)
	ds_write_b64 v4, v[5:6]
	s_waitcnt lgkmcnt(0)
	s_barrier
	buffer_gl0_inv
	v_cmpx_gt_u32_e32 21, v0
	s_cbranch_execz .LBB61_99
; %bb.96:
	v_add_nc_u32_e32 v5, -1, v0
	v_add_nc_u32_e32 v6, 0x1f0, v3
	v_mov_b32_e32 v7, v3
	v_mov_b32_e32 v2, 0
	;; [unrolled: 1-line block ×3, first 2 shown]
	s_mov_b32 s5, 0
	.p2align	6
.LBB61_97:                              ; =>This Inner Loop Header: Depth=1
	s_clause 0x1
	buffer_load_dword v11, v7, s[0:3], 0 offen offset:4
	buffer_load_dword v12, v7, s[0:3], 0 offen
	ds_read_b64 v[9:10], v6
	v_add_nc_u32_e32 v5, 1, v5
	v_add_nc_u32_e32 v6, 8, v6
	;; [unrolled: 1-line block ×3, first 2 shown]
	v_cmp_lt_u32_e32 vcc_lo, 19, v5
	s_or_b32 s5, vcc_lo, s5
	s_waitcnt vmcnt(1) lgkmcnt(0)
	v_mul_f32_e32 v137, v10, v11
	v_mul_f32_e32 v11, v9, v11
	s_waitcnt vmcnt(0)
	v_fma_f32 v9, v9, v12, -v137
	v_fmac_f32_e32 v11, v10, v12
	v_add_f32_e32 v8, v8, v9
	v_add_f32_e32 v2, v2, v11
	s_andn2_b32 exec_lo, exec_lo, s5
	s_cbranch_execnz .LBB61_97
; %bb.98:
	s_or_b32 exec_lo, exec_lo, s5
	v_mov_b32_e32 v5, 0
	ds_read_b64 v[5:6], v5 offset:168
	s_waitcnt lgkmcnt(0)
	v_mul_f32_e32 v7, v2, v6
	v_mul_f32_e32 v6, v8, v6
	v_fma_f32 v7, v8, v5, -v7
	v_fmac_f32_e32 v6, v2, v5
	buffer_store_dword v7, off, s[0:3], 0 offset:168
	buffer_store_dword v6, off, s[0:3], 0 offset:172
.LBB61_99:
	s_or_b32 exec_lo, exec_lo, s4
	s_waitcnt_vscnt null, 0x0
	s_barrier
	buffer_gl0_inv
	s_clause 0x1
	buffer_load_dword v5, off, s[0:3], 0 offset:176
	buffer_load_dword v6, off, s[0:3], 0 offset:180
	s_mov_b32 s4, exec_lo
	s_waitcnt vmcnt(0)
	ds_write_b64 v4, v[5:6]
	s_waitcnt lgkmcnt(0)
	s_barrier
	buffer_gl0_inv
	v_cmpx_gt_u32_e32 22, v0
	s_cbranch_execz .LBB61_103
; %bb.100:
	v_add_nc_u32_e32 v5, -1, v0
	v_add_nc_u32_e32 v6, 0x1f0, v3
	v_mov_b32_e32 v7, v3
	v_mov_b32_e32 v2, 0
	;; [unrolled: 1-line block ×3, first 2 shown]
	s_mov_b32 s5, 0
	.p2align	6
.LBB61_101:                             ; =>This Inner Loop Header: Depth=1
	s_clause 0x1
	buffer_load_dword v11, v7, s[0:3], 0 offen offset:4
	buffer_load_dword v12, v7, s[0:3], 0 offen
	ds_read_b64 v[9:10], v6
	v_add_nc_u32_e32 v5, 1, v5
	v_add_nc_u32_e32 v6, 8, v6
	;; [unrolled: 1-line block ×3, first 2 shown]
	v_cmp_lt_u32_e32 vcc_lo, 20, v5
	s_or_b32 s5, vcc_lo, s5
	s_waitcnt vmcnt(1) lgkmcnt(0)
	v_mul_f32_e32 v137, v10, v11
	v_mul_f32_e32 v11, v9, v11
	s_waitcnt vmcnt(0)
	v_fma_f32 v9, v9, v12, -v137
	v_fmac_f32_e32 v11, v10, v12
	v_add_f32_e32 v8, v8, v9
	v_add_f32_e32 v2, v2, v11
	s_andn2_b32 exec_lo, exec_lo, s5
	s_cbranch_execnz .LBB61_101
; %bb.102:
	s_or_b32 exec_lo, exec_lo, s5
	v_mov_b32_e32 v5, 0
	ds_read_b64 v[5:6], v5 offset:176
	s_waitcnt lgkmcnt(0)
	v_mul_f32_e32 v7, v2, v6
	v_mul_f32_e32 v6, v8, v6
	v_fma_f32 v7, v8, v5, -v7
	v_fmac_f32_e32 v6, v2, v5
	buffer_store_dword v7, off, s[0:3], 0 offset:176
	buffer_store_dword v6, off, s[0:3], 0 offset:180
.LBB61_103:
	s_or_b32 exec_lo, exec_lo, s4
	s_waitcnt_vscnt null, 0x0
	s_barrier
	buffer_gl0_inv
	s_clause 0x1
	buffer_load_dword v5, off, s[0:3], 0 offset:184
	buffer_load_dword v6, off, s[0:3], 0 offset:188
	s_mov_b32 s4, exec_lo
	s_waitcnt vmcnt(0)
	ds_write_b64 v4, v[5:6]
	s_waitcnt lgkmcnt(0)
	s_barrier
	buffer_gl0_inv
	v_cmpx_gt_u32_e32 23, v0
	s_cbranch_execz .LBB61_107
; %bb.104:
	v_add_nc_u32_e32 v5, -1, v0
	v_add_nc_u32_e32 v6, 0x1f0, v3
	v_mov_b32_e32 v7, v3
	v_mov_b32_e32 v2, 0
	;; [unrolled: 1-line block ×3, first 2 shown]
	s_mov_b32 s5, 0
	.p2align	6
.LBB61_105:                             ; =>This Inner Loop Header: Depth=1
	s_clause 0x1
	buffer_load_dword v11, v7, s[0:3], 0 offen offset:4
	buffer_load_dword v12, v7, s[0:3], 0 offen
	ds_read_b64 v[9:10], v6
	v_add_nc_u32_e32 v5, 1, v5
	v_add_nc_u32_e32 v6, 8, v6
	;; [unrolled: 1-line block ×3, first 2 shown]
	v_cmp_lt_u32_e32 vcc_lo, 21, v5
	s_or_b32 s5, vcc_lo, s5
	s_waitcnt vmcnt(1) lgkmcnt(0)
	v_mul_f32_e32 v137, v10, v11
	v_mul_f32_e32 v11, v9, v11
	s_waitcnt vmcnt(0)
	v_fma_f32 v9, v9, v12, -v137
	v_fmac_f32_e32 v11, v10, v12
	v_add_f32_e32 v8, v8, v9
	v_add_f32_e32 v2, v2, v11
	s_andn2_b32 exec_lo, exec_lo, s5
	s_cbranch_execnz .LBB61_105
; %bb.106:
	s_or_b32 exec_lo, exec_lo, s5
	v_mov_b32_e32 v5, 0
	ds_read_b64 v[5:6], v5 offset:184
	s_waitcnt lgkmcnt(0)
	v_mul_f32_e32 v7, v2, v6
	v_mul_f32_e32 v6, v8, v6
	v_fma_f32 v7, v8, v5, -v7
	v_fmac_f32_e32 v6, v2, v5
	buffer_store_dword v7, off, s[0:3], 0 offset:184
	buffer_store_dword v6, off, s[0:3], 0 offset:188
.LBB61_107:
	s_or_b32 exec_lo, exec_lo, s4
	s_waitcnt_vscnt null, 0x0
	s_barrier
	buffer_gl0_inv
	s_clause 0x1
	buffer_load_dword v5, off, s[0:3], 0 offset:192
	buffer_load_dword v6, off, s[0:3], 0 offset:196
	s_mov_b32 s4, exec_lo
	s_waitcnt vmcnt(0)
	ds_write_b64 v4, v[5:6]
	s_waitcnt lgkmcnt(0)
	s_barrier
	buffer_gl0_inv
	v_cmpx_gt_u32_e32 24, v0
	s_cbranch_execz .LBB61_111
; %bb.108:
	v_add_nc_u32_e32 v5, -1, v0
	v_add_nc_u32_e32 v6, 0x1f0, v3
	v_mov_b32_e32 v7, v3
	v_mov_b32_e32 v2, 0
	;; [unrolled: 1-line block ×3, first 2 shown]
	s_mov_b32 s5, 0
	.p2align	6
.LBB61_109:                             ; =>This Inner Loop Header: Depth=1
	s_clause 0x1
	buffer_load_dword v11, v7, s[0:3], 0 offen offset:4
	buffer_load_dword v12, v7, s[0:3], 0 offen
	ds_read_b64 v[9:10], v6
	v_add_nc_u32_e32 v5, 1, v5
	v_add_nc_u32_e32 v6, 8, v6
	v_add_nc_u32_e32 v7, 8, v7
	v_cmp_lt_u32_e32 vcc_lo, 22, v5
	s_or_b32 s5, vcc_lo, s5
	s_waitcnt vmcnt(1) lgkmcnt(0)
	v_mul_f32_e32 v137, v10, v11
	v_mul_f32_e32 v11, v9, v11
	s_waitcnt vmcnt(0)
	v_fma_f32 v9, v9, v12, -v137
	v_fmac_f32_e32 v11, v10, v12
	v_add_f32_e32 v8, v8, v9
	v_add_f32_e32 v2, v2, v11
	s_andn2_b32 exec_lo, exec_lo, s5
	s_cbranch_execnz .LBB61_109
; %bb.110:
	s_or_b32 exec_lo, exec_lo, s5
	v_mov_b32_e32 v5, 0
	ds_read_b64 v[5:6], v5 offset:192
	s_waitcnt lgkmcnt(0)
	v_mul_f32_e32 v7, v2, v6
	v_mul_f32_e32 v6, v8, v6
	v_fma_f32 v7, v8, v5, -v7
	v_fmac_f32_e32 v6, v2, v5
	buffer_store_dword v7, off, s[0:3], 0 offset:192
	buffer_store_dword v6, off, s[0:3], 0 offset:196
.LBB61_111:
	s_or_b32 exec_lo, exec_lo, s4
	s_waitcnt_vscnt null, 0x0
	s_barrier
	buffer_gl0_inv
	s_clause 0x1
	buffer_load_dword v5, off, s[0:3], 0 offset:200
	buffer_load_dword v6, off, s[0:3], 0 offset:204
	s_mov_b32 s4, exec_lo
	s_waitcnt vmcnt(0)
	ds_write_b64 v4, v[5:6]
	s_waitcnt lgkmcnt(0)
	s_barrier
	buffer_gl0_inv
	v_cmpx_gt_u32_e32 25, v0
	s_cbranch_execz .LBB61_115
; %bb.112:
	v_add_nc_u32_e32 v5, -1, v0
	v_add_nc_u32_e32 v6, 0x1f0, v3
	v_mov_b32_e32 v7, v3
	v_mov_b32_e32 v2, 0
	;; [unrolled: 1-line block ×3, first 2 shown]
	s_mov_b32 s5, 0
	.p2align	6
.LBB61_113:                             ; =>This Inner Loop Header: Depth=1
	s_clause 0x1
	buffer_load_dword v11, v7, s[0:3], 0 offen offset:4
	buffer_load_dword v12, v7, s[0:3], 0 offen
	ds_read_b64 v[9:10], v6
	v_add_nc_u32_e32 v5, 1, v5
	v_add_nc_u32_e32 v6, 8, v6
	;; [unrolled: 1-line block ×3, first 2 shown]
	v_cmp_lt_u32_e32 vcc_lo, 23, v5
	s_or_b32 s5, vcc_lo, s5
	s_waitcnt vmcnt(1) lgkmcnt(0)
	v_mul_f32_e32 v137, v10, v11
	v_mul_f32_e32 v11, v9, v11
	s_waitcnt vmcnt(0)
	v_fma_f32 v9, v9, v12, -v137
	v_fmac_f32_e32 v11, v10, v12
	v_add_f32_e32 v8, v8, v9
	v_add_f32_e32 v2, v2, v11
	s_andn2_b32 exec_lo, exec_lo, s5
	s_cbranch_execnz .LBB61_113
; %bb.114:
	s_or_b32 exec_lo, exec_lo, s5
	v_mov_b32_e32 v5, 0
	ds_read_b64 v[5:6], v5 offset:200
	s_waitcnt lgkmcnt(0)
	v_mul_f32_e32 v7, v2, v6
	v_mul_f32_e32 v6, v8, v6
	v_fma_f32 v7, v8, v5, -v7
	v_fmac_f32_e32 v6, v2, v5
	buffer_store_dword v7, off, s[0:3], 0 offset:200
	buffer_store_dword v6, off, s[0:3], 0 offset:204
.LBB61_115:
	s_or_b32 exec_lo, exec_lo, s4
	s_waitcnt_vscnt null, 0x0
	s_barrier
	buffer_gl0_inv
	s_clause 0x1
	buffer_load_dword v5, off, s[0:3], 0 offset:208
	buffer_load_dword v6, off, s[0:3], 0 offset:212
	s_mov_b32 s4, exec_lo
	s_waitcnt vmcnt(0)
	ds_write_b64 v4, v[5:6]
	s_waitcnt lgkmcnt(0)
	s_barrier
	buffer_gl0_inv
	v_cmpx_gt_u32_e32 26, v0
	s_cbranch_execz .LBB61_119
; %bb.116:
	v_add_nc_u32_e32 v5, -1, v0
	v_add_nc_u32_e32 v6, 0x1f0, v3
	v_mov_b32_e32 v7, v3
	v_mov_b32_e32 v2, 0
	;; [unrolled: 1-line block ×3, first 2 shown]
	s_mov_b32 s5, 0
	.p2align	6
.LBB61_117:                             ; =>This Inner Loop Header: Depth=1
	s_clause 0x1
	buffer_load_dword v11, v7, s[0:3], 0 offen offset:4
	buffer_load_dword v12, v7, s[0:3], 0 offen
	ds_read_b64 v[9:10], v6
	v_add_nc_u32_e32 v5, 1, v5
	v_add_nc_u32_e32 v6, 8, v6
	;; [unrolled: 1-line block ×3, first 2 shown]
	v_cmp_lt_u32_e32 vcc_lo, 24, v5
	s_or_b32 s5, vcc_lo, s5
	s_waitcnt vmcnt(1) lgkmcnt(0)
	v_mul_f32_e32 v137, v10, v11
	v_mul_f32_e32 v11, v9, v11
	s_waitcnt vmcnt(0)
	v_fma_f32 v9, v9, v12, -v137
	v_fmac_f32_e32 v11, v10, v12
	v_add_f32_e32 v8, v8, v9
	v_add_f32_e32 v2, v2, v11
	s_andn2_b32 exec_lo, exec_lo, s5
	s_cbranch_execnz .LBB61_117
; %bb.118:
	s_or_b32 exec_lo, exec_lo, s5
	v_mov_b32_e32 v5, 0
	ds_read_b64 v[5:6], v5 offset:208
	s_waitcnt lgkmcnt(0)
	v_mul_f32_e32 v7, v2, v6
	v_mul_f32_e32 v6, v8, v6
	v_fma_f32 v7, v8, v5, -v7
	v_fmac_f32_e32 v6, v2, v5
	buffer_store_dword v7, off, s[0:3], 0 offset:208
	buffer_store_dword v6, off, s[0:3], 0 offset:212
.LBB61_119:
	s_or_b32 exec_lo, exec_lo, s4
	s_waitcnt_vscnt null, 0x0
	s_barrier
	buffer_gl0_inv
	s_clause 0x1
	buffer_load_dword v5, off, s[0:3], 0 offset:216
	buffer_load_dword v6, off, s[0:3], 0 offset:220
	s_mov_b32 s4, exec_lo
	s_waitcnt vmcnt(0)
	ds_write_b64 v4, v[5:6]
	s_waitcnt lgkmcnt(0)
	s_barrier
	buffer_gl0_inv
	v_cmpx_gt_u32_e32 27, v0
	s_cbranch_execz .LBB61_123
; %bb.120:
	v_add_nc_u32_e32 v5, -1, v0
	v_add_nc_u32_e32 v6, 0x1f0, v3
	v_mov_b32_e32 v7, v3
	v_mov_b32_e32 v2, 0
	;; [unrolled: 1-line block ×3, first 2 shown]
	s_mov_b32 s5, 0
	.p2align	6
.LBB61_121:                             ; =>This Inner Loop Header: Depth=1
	s_clause 0x1
	buffer_load_dword v11, v7, s[0:3], 0 offen offset:4
	buffer_load_dword v12, v7, s[0:3], 0 offen
	ds_read_b64 v[9:10], v6
	v_add_nc_u32_e32 v5, 1, v5
	v_add_nc_u32_e32 v6, 8, v6
	;; [unrolled: 1-line block ×3, first 2 shown]
	v_cmp_lt_u32_e32 vcc_lo, 25, v5
	s_or_b32 s5, vcc_lo, s5
	s_waitcnt vmcnt(1) lgkmcnt(0)
	v_mul_f32_e32 v137, v10, v11
	v_mul_f32_e32 v11, v9, v11
	s_waitcnt vmcnt(0)
	v_fma_f32 v9, v9, v12, -v137
	v_fmac_f32_e32 v11, v10, v12
	v_add_f32_e32 v8, v8, v9
	v_add_f32_e32 v2, v2, v11
	s_andn2_b32 exec_lo, exec_lo, s5
	s_cbranch_execnz .LBB61_121
; %bb.122:
	s_or_b32 exec_lo, exec_lo, s5
	v_mov_b32_e32 v5, 0
	ds_read_b64 v[5:6], v5 offset:216
	s_waitcnt lgkmcnt(0)
	v_mul_f32_e32 v7, v2, v6
	v_mul_f32_e32 v6, v8, v6
	v_fma_f32 v7, v8, v5, -v7
	v_fmac_f32_e32 v6, v2, v5
	buffer_store_dword v7, off, s[0:3], 0 offset:216
	buffer_store_dword v6, off, s[0:3], 0 offset:220
.LBB61_123:
	s_or_b32 exec_lo, exec_lo, s4
	s_waitcnt_vscnt null, 0x0
	s_barrier
	buffer_gl0_inv
	s_clause 0x1
	buffer_load_dword v5, off, s[0:3], 0 offset:224
	buffer_load_dword v6, off, s[0:3], 0 offset:228
	s_mov_b32 s4, exec_lo
	s_waitcnt vmcnt(0)
	ds_write_b64 v4, v[5:6]
	s_waitcnt lgkmcnt(0)
	s_barrier
	buffer_gl0_inv
	v_cmpx_gt_u32_e32 28, v0
	s_cbranch_execz .LBB61_127
; %bb.124:
	v_add_nc_u32_e32 v5, -1, v0
	v_add_nc_u32_e32 v6, 0x1f0, v3
	v_mov_b32_e32 v7, v3
	v_mov_b32_e32 v2, 0
	v_mov_b32_e32 v8, 0
	s_mov_b32 s5, 0
	.p2align	6
.LBB61_125:                             ; =>This Inner Loop Header: Depth=1
	s_clause 0x1
	buffer_load_dword v11, v7, s[0:3], 0 offen offset:4
	buffer_load_dword v12, v7, s[0:3], 0 offen
	ds_read_b64 v[9:10], v6
	v_add_nc_u32_e32 v5, 1, v5
	v_add_nc_u32_e32 v6, 8, v6
	;; [unrolled: 1-line block ×3, first 2 shown]
	v_cmp_lt_u32_e32 vcc_lo, 26, v5
	s_or_b32 s5, vcc_lo, s5
	s_waitcnt vmcnt(1) lgkmcnt(0)
	v_mul_f32_e32 v137, v10, v11
	v_mul_f32_e32 v11, v9, v11
	s_waitcnt vmcnt(0)
	v_fma_f32 v9, v9, v12, -v137
	v_fmac_f32_e32 v11, v10, v12
	v_add_f32_e32 v8, v8, v9
	v_add_f32_e32 v2, v2, v11
	s_andn2_b32 exec_lo, exec_lo, s5
	s_cbranch_execnz .LBB61_125
; %bb.126:
	s_or_b32 exec_lo, exec_lo, s5
	v_mov_b32_e32 v5, 0
	ds_read_b64 v[5:6], v5 offset:224
	s_waitcnt lgkmcnt(0)
	v_mul_f32_e32 v7, v2, v6
	v_mul_f32_e32 v6, v8, v6
	v_fma_f32 v7, v8, v5, -v7
	v_fmac_f32_e32 v6, v2, v5
	buffer_store_dword v7, off, s[0:3], 0 offset:224
	buffer_store_dword v6, off, s[0:3], 0 offset:228
.LBB61_127:
	s_or_b32 exec_lo, exec_lo, s4
	s_waitcnt_vscnt null, 0x0
	s_barrier
	buffer_gl0_inv
	s_clause 0x1
	buffer_load_dword v5, off, s[0:3], 0 offset:232
	buffer_load_dword v6, off, s[0:3], 0 offset:236
	s_mov_b32 s4, exec_lo
	s_waitcnt vmcnt(0)
	ds_write_b64 v4, v[5:6]
	s_waitcnt lgkmcnt(0)
	s_barrier
	buffer_gl0_inv
	v_cmpx_gt_u32_e32 29, v0
	s_cbranch_execz .LBB61_131
; %bb.128:
	v_add_nc_u32_e32 v5, -1, v0
	v_add_nc_u32_e32 v6, 0x1f0, v3
	v_mov_b32_e32 v7, v3
	v_mov_b32_e32 v2, 0
	;; [unrolled: 1-line block ×3, first 2 shown]
	s_mov_b32 s5, 0
	.p2align	6
.LBB61_129:                             ; =>This Inner Loop Header: Depth=1
	s_clause 0x1
	buffer_load_dword v11, v7, s[0:3], 0 offen offset:4
	buffer_load_dword v12, v7, s[0:3], 0 offen
	ds_read_b64 v[9:10], v6
	v_add_nc_u32_e32 v5, 1, v5
	v_add_nc_u32_e32 v6, 8, v6
	;; [unrolled: 1-line block ×3, first 2 shown]
	v_cmp_lt_u32_e32 vcc_lo, 27, v5
	s_or_b32 s5, vcc_lo, s5
	s_waitcnt vmcnt(1) lgkmcnt(0)
	v_mul_f32_e32 v137, v10, v11
	v_mul_f32_e32 v11, v9, v11
	s_waitcnt vmcnt(0)
	v_fma_f32 v9, v9, v12, -v137
	v_fmac_f32_e32 v11, v10, v12
	v_add_f32_e32 v8, v8, v9
	v_add_f32_e32 v2, v2, v11
	s_andn2_b32 exec_lo, exec_lo, s5
	s_cbranch_execnz .LBB61_129
; %bb.130:
	s_or_b32 exec_lo, exec_lo, s5
	v_mov_b32_e32 v5, 0
	ds_read_b64 v[5:6], v5 offset:232
	s_waitcnt lgkmcnt(0)
	v_mul_f32_e32 v7, v2, v6
	v_mul_f32_e32 v6, v8, v6
	v_fma_f32 v7, v8, v5, -v7
	v_fmac_f32_e32 v6, v2, v5
	buffer_store_dword v7, off, s[0:3], 0 offset:232
	buffer_store_dword v6, off, s[0:3], 0 offset:236
.LBB61_131:
	s_or_b32 exec_lo, exec_lo, s4
	s_waitcnt_vscnt null, 0x0
	s_barrier
	buffer_gl0_inv
	s_clause 0x1
	buffer_load_dword v5, off, s[0:3], 0 offset:240
	buffer_load_dword v6, off, s[0:3], 0 offset:244
	s_mov_b32 s4, exec_lo
	s_waitcnt vmcnt(0)
	ds_write_b64 v4, v[5:6]
	s_waitcnt lgkmcnt(0)
	s_barrier
	buffer_gl0_inv
	v_cmpx_gt_u32_e32 30, v0
	s_cbranch_execz .LBB61_135
; %bb.132:
	v_add_nc_u32_e32 v5, -1, v0
	v_add_nc_u32_e32 v6, 0x1f0, v3
	v_mov_b32_e32 v7, v3
	v_mov_b32_e32 v2, 0
	;; [unrolled: 1-line block ×3, first 2 shown]
	s_mov_b32 s5, 0
	.p2align	6
.LBB61_133:                             ; =>This Inner Loop Header: Depth=1
	s_clause 0x1
	buffer_load_dword v11, v7, s[0:3], 0 offen offset:4
	buffer_load_dword v12, v7, s[0:3], 0 offen
	ds_read_b64 v[9:10], v6
	v_add_nc_u32_e32 v5, 1, v5
	v_add_nc_u32_e32 v6, 8, v6
	;; [unrolled: 1-line block ×3, first 2 shown]
	v_cmp_lt_u32_e32 vcc_lo, 28, v5
	s_or_b32 s5, vcc_lo, s5
	s_waitcnt vmcnt(1) lgkmcnt(0)
	v_mul_f32_e32 v137, v10, v11
	v_mul_f32_e32 v11, v9, v11
	s_waitcnt vmcnt(0)
	v_fma_f32 v9, v9, v12, -v137
	v_fmac_f32_e32 v11, v10, v12
	v_add_f32_e32 v8, v8, v9
	v_add_f32_e32 v2, v2, v11
	s_andn2_b32 exec_lo, exec_lo, s5
	s_cbranch_execnz .LBB61_133
; %bb.134:
	s_or_b32 exec_lo, exec_lo, s5
	v_mov_b32_e32 v5, 0
	ds_read_b64 v[5:6], v5 offset:240
	s_waitcnt lgkmcnt(0)
	v_mul_f32_e32 v7, v2, v6
	v_mul_f32_e32 v6, v8, v6
	v_fma_f32 v7, v8, v5, -v7
	v_fmac_f32_e32 v6, v2, v5
	buffer_store_dword v7, off, s[0:3], 0 offset:240
	buffer_store_dword v6, off, s[0:3], 0 offset:244
.LBB61_135:
	s_or_b32 exec_lo, exec_lo, s4
	s_waitcnt_vscnt null, 0x0
	s_barrier
	buffer_gl0_inv
	s_clause 0x1
	buffer_load_dword v5, off, s[0:3], 0 offset:248
	buffer_load_dword v6, off, s[0:3], 0 offset:252
	s_mov_b32 s4, exec_lo
	s_waitcnt vmcnt(0)
	ds_write_b64 v4, v[5:6]
	s_waitcnt lgkmcnt(0)
	s_barrier
	buffer_gl0_inv
	v_cmpx_gt_u32_e32 31, v0
	s_cbranch_execz .LBB61_139
; %bb.136:
	v_add_nc_u32_e32 v5, -1, v0
	v_add_nc_u32_e32 v6, 0x1f0, v3
	v_mov_b32_e32 v7, v3
	v_mov_b32_e32 v2, 0
	;; [unrolled: 1-line block ×3, first 2 shown]
	s_mov_b32 s5, 0
	.p2align	6
.LBB61_137:                             ; =>This Inner Loop Header: Depth=1
	s_clause 0x1
	buffer_load_dword v11, v7, s[0:3], 0 offen offset:4
	buffer_load_dword v12, v7, s[0:3], 0 offen
	ds_read_b64 v[9:10], v6
	v_add_nc_u32_e32 v5, 1, v5
	v_add_nc_u32_e32 v6, 8, v6
	;; [unrolled: 1-line block ×3, first 2 shown]
	v_cmp_lt_u32_e32 vcc_lo, 29, v5
	s_or_b32 s5, vcc_lo, s5
	s_waitcnt vmcnt(1) lgkmcnt(0)
	v_mul_f32_e32 v137, v10, v11
	v_mul_f32_e32 v11, v9, v11
	s_waitcnt vmcnt(0)
	v_fma_f32 v9, v9, v12, -v137
	v_fmac_f32_e32 v11, v10, v12
	v_add_f32_e32 v8, v8, v9
	v_add_f32_e32 v2, v2, v11
	s_andn2_b32 exec_lo, exec_lo, s5
	s_cbranch_execnz .LBB61_137
; %bb.138:
	s_or_b32 exec_lo, exec_lo, s5
	v_mov_b32_e32 v5, 0
	ds_read_b64 v[5:6], v5 offset:248
	s_waitcnt lgkmcnt(0)
	v_mul_f32_e32 v7, v2, v6
	v_mul_f32_e32 v6, v8, v6
	v_fma_f32 v7, v8, v5, -v7
	v_fmac_f32_e32 v6, v2, v5
	buffer_store_dword v7, off, s[0:3], 0 offset:248
	buffer_store_dword v6, off, s[0:3], 0 offset:252
.LBB61_139:
	s_or_b32 exec_lo, exec_lo, s4
	s_waitcnt_vscnt null, 0x0
	s_barrier
	buffer_gl0_inv
	s_clause 0x1
	buffer_load_dword v5, off, s[0:3], 0 offset:256
	buffer_load_dword v6, off, s[0:3], 0 offset:260
	s_mov_b32 s4, exec_lo
	s_waitcnt vmcnt(0)
	ds_write_b64 v4, v[5:6]
	s_waitcnt lgkmcnt(0)
	s_barrier
	buffer_gl0_inv
	v_cmpx_gt_u32_e32 32, v0
	s_cbranch_execz .LBB61_143
; %bb.140:
	v_add_nc_u32_e32 v5, -1, v0
	v_add_nc_u32_e32 v6, 0x1f0, v3
	v_mov_b32_e32 v7, v3
	v_mov_b32_e32 v2, 0
	;; [unrolled: 1-line block ×3, first 2 shown]
	s_mov_b32 s5, 0
	.p2align	6
.LBB61_141:                             ; =>This Inner Loop Header: Depth=1
	s_clause 0x1
	buffer_load_dword v11, v7, s[0:3], 0 offen offset:4
	buffer_load_dword v12, v7, s[0:3], 0 offen
	ds_read_b64 v[9:10], v6
	v_add_nc_u32_e32 v5, 1, v5
	v_add_nc_u32_e32 v6, 8, v6
	;; [unrolled: 1-line block ×3, first 2 shown]
	v_cmp_lt_u32_e32 vcc_lo, 30, v5
	s_or_b32 s5, vcc_lo, s5
	s_waitcnt vmcnt(1) lgkmcnt(0)
	v_mul_f32_e32 v137, v10, v11
	v_mul_f32_e32 v11, v9, v11
	s_waitcnt vmcnt(0)
	v_fma_f32 v9, v9, v12, -v137
	v_fmac_f32_e32 v11, v10, v12
	v_add_f32_e32 v8, v8, v9
	v_add_f32_e32 v2, v2, v11
	s_andn2_b32 exec_lo, exec_lo, s5
	s_cbranch_execnz .LBB61_141
; %bb.142:
	s_or_b32 exec_lo, exec_lo, s5
	v_mov_b32_e32 v5, 0
	ds_read_b64 v[5:6], v5 offset:256
	s_waitcnt lgkmcnt(0)
	v_mul_f32_e32 v7, v2, v6
	v_mul_f32_e32 v6, v8, v6
	v_fma_f32 v7, v8, v5, -v7
	v_fmac_f32_e32 v6, v2, v5
	buffer_store_dword v7, off, s[0:3], 0 offset:256
	buffer_store_dword v6, off, s[0:3], 0 offset:260
.LBB61_143:
	s_or_b32 exec_lo, exec_lo, s4
	s_waitcnt_vscnt null, 0x0
	s_barrier
	buffer_gl0_inv
	s_clause 0x1
	buffer_load_dword v5, off, s[0:3], 0 offset:264
	buffer_load_dword v6, off, s[0:3], 0 offset:268
	s_mov_b32 s4, exec_lo
	s_waitcnt vmcnt(0)
	ds_write_b64 v4, v[5:6]
	s_waitcnt lgkmcnt(0)
	s_barrier
	buffer_gl0_inv
	v_cmpx_gt_u32_e32 33, v0
	s_cbranch_execz .LBB61_147
; %bb.144:
	v_add_nc_u32_e32 v5, -1, v0
	v_add_nc_u32_e32 v6, 0x1f0, v3
	v_mov_b32_e32 v7, v3
	v_mov_b32_e32 v2, 0
	;; [unrolled: 1-line block ×3, first 2 shown]
	s_mov_b32 s5, 0
	.p2align	6
.LBB61_145:                             ; =>This Inner Loop Header: Depth=1
	s_clause 0x1
	buffer_load_dword v11, v7, s[0:3], 0 offen offset:4
	buffer_load_dword v12, v7, s[0:3], 0 offen
	ds_read_b64 v[9:10], v6
	v_add_nc_u32_e32 v5, 1, v5
	v_add_nc_u32_e32 v6, 8, v6
	;; [unrolled: 1-line block ×3, first 2 shown]
	v_cmp_lt_u32_e32 vcc_lo, 31, v5
	s_or_b32 s5, vcc_lo, s5
	s_waitcnt vmcnt(1) lgkmcnt(0)
	v_mul_f32_e32 v137, v10, v11
	v_mul_f32_e32 v11, v9, v11
	s_waitcnt vmcnt(0)
	v_fma_f32 v9, v9, v12, -v137
	v_fmac_f32_e32 v11, v10, v12
	v_add_f32_e32 v8, v8, v9
	v_add_f32_e32 v2, v2, v11
	s_andn2_b32 exec_lo, exec_lo, s5
	s_cbranch_execnz .LBB61_145
; %bb.146:
	s_or_b32 exec_lo, exec_lo, s5
	v_mov_b32_e32 v5, 0
	ds_read_b64 v[5:6], v5 offset:264
	s_waitcnt lgkmcnt(0)
	v_mul_f32_e32 v7, v2, v6
	v_mul_f32_e32 v6, v8, v6
	v_fma_f32 v7, v8, v5, -v7
	v_fmac_f32_e32 v6, v2, v5
	buffer_store_dword v7, off, s[0:3], 0 offset:264
	buffer_store_dword v6, off, s[0:3], 0 offset:268
.LBB61_147:
	s_or_b32 exec_lo, exec_lo, s4
	s_waitcnt_vscnt null, 0x0
	s_barrier
	buffer_gl0_inv
	s_clause 0x1
	buffer_load_dword v5, off, s[0:3], 0 offset:272
	buffer_load_dword v6, off, s[0:3], 0 offset:276
	s_mov_b32 s4, exec_lo
	s_waitcnt vmcnt(0)
	ds_write_b64 v4, v[5:6]
	s_waitcnt lgkmcnt(0)
	s_barrier
	buffer_gl0_inv
	v_cmpx_gt_u32_e32 34, v0
	s_cbranch_execz .LBB61_151
; %bb.148:
	v_add_nc_u32_e32 v5, -1, v0
	v_add_nc_u32_e32 v6, 0x1f0, v3
	v_mov_b32_e32 v7, v3
	v_mov_b32_e32 v2, 0
	;; [unrolled: 1-line block ×3, first 2 shown]
	s_mov_b32 s5, 0
	.p2align	6
.LBB61_149:                             ; =>This Inner Loop Header: Depth=1
	s_clause 0x1
	buffer_load_dword v11, v7, s[0:3], 0 offen offset:4
	buffer_load_dword v12, v7, s[0:3], 0 offen
	ds_read_b64 v[9:10], v6
	v_add_nc_u32_e32 v5, 1, v5
	v_add_nc_u32_e32 v6, 8, v6
	;; [unrolled: 1-line block ×3, first 2 shown]
	v_cmp_lt_u32_e32 vcc_lo, 32, v5
	s_or_b32 s5, vcc_lo, s5
	s_waitcnt vmcnt(1) lgkmcnt(0)
	v_mul_f32_e32 v137, v10, v11
	v_mul_f32_e32 v11, v9, v11
	s_waitcnt vmcnt(0)
	v_fma_f32 v9, v9, v12, -v137
	v_fmac_f32_e32 v11, v10, v12
	v_add_f32_e32 v8, v8, v9
	v_add_f32_e32 v2, v2, v11
	s_andn2_b32 exec_lo, exec_lo, s5
	s_cbranch_execnz .LBB61_149
; %bb.150:
	s_or_b32 exec_lo, exec_lo, s5
	v_mov_b32_e32 v5, 0
	ds_read_b64 v[5:6], v5 offset:272
	s_waitcnt lgkmcnt(0)
	v_mul_f32_e32 v7, v2, v6
	v_mul_f32_e32 v6, v8, v6
	v_fma_f32 v7, v8, v5, -v7
	v_fmac_f32_e32 v6, v2, v5
	buffer_store_dword v7, off, s[0:3], 0 offset:272
	buffer_store_dword v6, off, s[0:3], 0 offset:276
.LBB61_151:
	s_or_b32 exec_lo, exec_lo, s4
	s_waitcnt_vscnt null, 0x0
	s_barrier
	buffer_gl0_inv
	s_clause 0x1
	buffer_load_dword v5, off, s[0:3], 0 offset:280
	buffer_load_dword v6, off, s[0:3], 0 offset:284
	s_mov_b32 s4, exec_lo
	s_waitcnt vmcnt(0)
	ds_write_b64 v4, v[5:6]
	s_waitcnt lgkmcnt(0)
	s_barrier
	buffer_gl0_inv
	v_cmpx_gt_u32_e32 35, v0
	s_cbranch_execz .LBB61_155
; %bb.152:
	v_add_nc_u32_e32 v5, -1, v0
	v_add_nc_u32_e32 v6, 0x1f0, v3
	v_mov_b32_e32 v7, v3
	v_mov_b32_e32 v2, 0
	;; [unrolled: 1-line block ×3, first 2 shown]
	s_mov_b32 s5, 0
	.p2align	6
.LBB61_153:                             ; =>This Inner Loop Header: Depth=1
	s_clause 0x1
	buffer_load_dword v11, v7, s[0:3], 0 offen offset:4
	buffer_load_dword v12, v7, s[0:3], 0 offen
	ds_read_b64 v[9:10], v6
	v_add_nc_u32_e32 v5, 1, v5
	v_add_nc_u32_e32 v6, 8, v6
	;; [unrolled: 1-line block ×3, first 2 shown]
	v_cmp_lt_u32_e32 vcc_lo, 33, v5
	s_or_b32 s5, vcc_lo, s5
	s_waitcnt vmcnt(1) lgkmcnt(0)
	v_mul_f32_e32 v137, v10, v11
	v_mul_f32_e32 v11, v9, v11
	s_waitcnt vmcnt(0)
	v_fma_f32 v9, v9, v12, -v137
	v_fmac_f32_e32 v11, v10, v12
	v_add_f32_e32 v8, v8, v9
	v_add_f32_e32 v2, v2, v11
	s_andn2_b32 exec_lo, exec_lo, s5
	s_cbranch_execnz .LBB61_153
; %bb.154:
	s_or_b32 exec_lo, exec_lo, s5
	v_mov_b32_e32 v5, 0
	ds_read_b64 v[5:6], v5 offset:280
	s_waitcnt lgkmcnt(0)
	v_mul_f32_e32 v7, v2, v6
	v_mul_f32_e32 v6, v8, v6
	v_fma_f32 v7, v8, v5, -v7
	v_fmac_f32_e32 v6, v2, v5
	buffer_store_dword v7, off, s[0:3], 0 offset:280
	buffer_store_dword v6, off, s[0:3], 0 offset:284
.LBB61_155:
	s_or_b32 exec_lo, exec_lo, s4
	s_waitcnt_vscnt null, 0x0
	s_barrier
	buffer_gl0_inv
	s_clause 0x1
	buffer_load_dword v5, off, s[0:3], 0 offset:288
	buffer_load_dword v6, off, s[0:3], 0 offset:292
	s_mov_b32 s4, exec_lo
	s_waitcnt vmcnt(0)
	ds_write_b64 v4, v[5:6]
	s_waitcnt lgkmcnt(0)
	s_barrier
	buffer_gl0_inv
	v_cmpx_gt_u32_e32 36, v0
	s_cbranch_execz .LBB61_159
; %bb.156:
	v_add_nc_u32_e32 v5, -1, v0
	v_add_nc_u32_e32 v6, 0x1f0, v3
	v_mov_b32_e32 v7, v3
	v_mov_b32_e32 v2, 0
	;; [unrolled: 1-line block ×3, first 2 shown]
	s_mov_b32 s5, 0
	.p2align	6
.LBB61_157:                             ; =>This Inner Loop Header: Depth=1
	s_clause 0x1
	buffer_load_dword v11, v7, s[0:3], 0 offen offset:4
	buffer_load_dword v12, v7, s[0:3], 0 offen
	ds_read_b64 v[9:10], v6
	v_add_nc_u32_e32 v5, 1, v5
	v_add_nc_u32_e32 v6, 8, v6
	;; [unrolled: 1-line block ×3, first 2 shown]
	v_cmp_lt_u32_e32 vcc_lo, 34, v5
	s_or_b32 s5, vcc_lo, s5
	s_waitcnt vmcnt(1) lgkmcnt(0)
	v_mul_f32_e32 v137, v10, v11
	v_mul_f32_e32 v11, v9, v11
	s_waitcnt vmcnt(0)
	v_fma_f32 v9, v9, v12, -v137
	v_fmac_f32_e32 v11, v10, v12
	v_add_f32_e32 v8, v8, v9
	v_add_f32_e32 v2, v2, v11
	s_andn2_b32 exec_lo, exec_lo, s5
	s_cbranch_execnz .LBB61_157
; %bb.158:
	s_or_b32 exec_lo, exec_lo, s5
	v_mov_b32_e32 v5, 0
	ds_read_b64 v[5:6], v5 offset:288
	s_waitcnt lgkmcnt(0)
	v_mul_f32_e32 v7, v2, v6
	v_mul_f32_e32 v6, v8, v6
	v_fma_f32 v7, v8, v5, -v7
	v_fmac_f32_e32 v6, v2, v5
	buffer_store_dword v7, off, s[0:3], 0 offset:288
	buffer_store_dword v6, off, s[0:3], 0 offset:292
.LBB61_159:
	s_or_b32 exec_lo, exec_lo, s4
	s_waitcnt_vscnt null, 0x0
	s_barrier
	buffer_gl0_inv
	s_clause 0x1
	buffer_load_dword v5, off, s[0:3], 0 offset:296
	buffer_load_dword v6, off, s[0:3], 0 offset:300
	s_mov_b32 s4, exec_lo
	s_waitcnt vmcnt(0)
	ds_write_b64 v4, v[5:6]
	s_waitcnt lgkmcnt(0)
	s_barrier
	buffer_gl0_inv
	v_cmpx_gt_u32_e32 37, v0
	s_cbranch_execz .LBB61_163
; %bb.160:
	v_add_nc_u32_e32 v5, -1, v0
	v_add_nc_u32_e32 v6, 0x1f0, v3
	v_mov_b32_e32 v7, v3
	v_mov_b32_e32 v2, 0
	;; [unrolled: 1-line block ×3, first 2 shown]
	s_mov_b32 s5, 0
	.p2align	6
.LBB61_161:                             ; =>This Inner Loop Header: Depth=1
	s_clause 0x1
	buffer_load_dword v11, v7, s[0:3], 0 offen offset:4
	buffer_load_dword v12, v7, s[0:3], 0 offen
	ds_read_b64 v[9:10], v6
	v_add_nc_u32_e32 v5, 1, v5
	v_add_nc_u32_e32 v6, 8, v6
	;; [unrolled: 1-line block ×3, first 2 shown]
	v_cmp_lt_u32_e32 vcc_lo, 35, v5
	s_or_b32 s5, vcc_lo, s5
	s_waitcnt vmcnt(1) lgkmcnt(0)
	v_mul_f32_e32 v137, v10, v11
	v_mul_f32_e32 v11, v9, v11
	s_waitcnt vmcnt(0)
	v_fma_f32 v9, v9, v12, -v137
	v_fmac_f32_e32 v11, v10, v12
	v_add_f32_e32 v8, v8, v9
	v_add_f32_e32 v2, v2, v11
	s_andn2_b32 exec_lo, exec_lo, s5
	s_cbranch_execnz .LBB61_161
; %bb.162:
	s_or_b32 exec_lo, exec_lo, s5
	v_mov_b32_e32 v5, 0
	ds_read_b64 v[5:6], v5 offset:296
	s_waitcnt lgkmcnt(0)
	v_mul_f32_e32 v7, v2, v6
	v_mul_f32_e32 v6, v8, v6
	v_fma_f32 v7, v8, v5, -v7
	v_fmac_f32_e32 v6, v2, v5
	buffer_store_dword v7, off, s[0:3], 0 offset:296
	buffer_store_dword v6, off, s[0:3], 0 offset:300
.LBB61_163:
	s_or_b32 exec_lo, exec_lo, s4
	s_waitcnt_vscnt null, 0x0
	s_barrier
	buffer_gl0_inv
	s_clause 0x1
	buffer_load_dword v5, off, s[0:3], 0 offset:304
	buffer_load_dword v6, off, s[0:3], 0 offset:308
	s_mov_b32 s4, exec_lo
	s_waitcnt vmcnt(0)
	ds_write_b64 v4, v[5:6]
	s_waitcnt lgkmcnt(0)
	s_barrier
	buffer_gl0_inv
	v_cmpx_gt_u32_e32 38, v0
	s_cbranch_execz .LBB61_167
; %bb.164:
	v_add_nc_u32_e32 v5, -1, v0
	v_add_nc_u32_e32 v6, 0x1f0, v3
	v_mov_b32_e32 v7, v3
	v_mov_b32_e32 v2, 0
	;; [unrolled: 1-line block ×3, first 2 shown]
	s_mov_b32 s5, 0
	.p2align	6
.LBB61_165:                             ; =>This Inner Loop Header: Depth=1
	s_clause 0x1
	buffer_load_dword v11, v7, s[0:3], 0 offen offset:4
	buffer_load_dword v12, v7, s[0:3], 0 offen
	ds_read_b64 v[9:10], v6
	v_add_nc_u32_e32 v5, 1, v5
	v_add_nc_u32_e32 v6, 8, v6
	;; [unrolled: 1-line block ×3, first 2 shown]
	v_cmp_lt_u32_e32 vcc_lo, 36, v5
	s_or_b32 s5, vcc_lo, s5
	s_waitcnt vmcnt(1) lgkmcnt(0)
	v_mul_f32_e32 v137, v10, v11
	v_mul_f32_e32 v11, v9, v11
	s_waitcnt vmcnt(0)
	v_fma_f32 v9, v9, v12, -v137
	v_fmac_f32_e32 v11, v10, v12
	v_add_f32_e32 v8, v8, v9
	v_add_f32_e32 v2, v2, v11
	s_andn2_b32 exec_lo, exec_lo, s5
	s_cbranch_execnz .LBB61_165
; %bb.166:
	s_or_b32 exec_lo, exec_lo, s5
	v_mov_b32_e32 v5, 0
	ds_read_b64 v[5:6], v5 offset:304
	s_waitcnt lgkmcnt(0)
	v_mul_f32_e32 v7, v2, v6
	v_mul_f32_e32 v6, v8, v6
	v_fma_f32 v7, v8, v5, -v7
	v_fmac_f32_e32 v6, v2, v5
	buffer_store_dword v7, off, s[0:3], 0 offset:304
	buffer_store_dword v6, off, s[0:3], 0 offset:308
.LBB61_167:
	s_or_b32 exec_lo, exec_lo, s4
	s_waitcnt_vscnt null, 0x0
	s_barrier
	buffer_gl0_inv
	s_clause 0x1
	buffer_load_dword v5, off, s[0:3], 0 offset:312
	buffer_load_dword v6, off, s[0:3], 0 offset:316
	s_mov_b32 s4, exec_lo
	s_waitcnt vmcnt(0)
	ds_write_b64 v4, v[5:6]
	s_waitcnt lgkmcnt(0)
	s_barrier
	buffer_gl0_inv
	v_cmpx_gt_u32_e32 39, v0
	s_cbranch_execz .LBB61_171
; %bb.168:
	v_add_nc_u32_e32 v5, -1, v0
	v_add_nc_u32_e32 v6, 0x1f0, v3
	v_mov_b32_e32 v7, v3
	v_mov_b32_e32 v2, 0
	;; [unrolled: 1-line block ×3, first 2 shown]
	s_mov_b32 s5, 0
	.p2align	6
.LBB61_169:                             ; =>This Inner Loop Header: Depth=1
	s_clause 0x1
	buffer_load_dword v11, v7, s[0:3], 0 offen offset:4
	buffer_load_dword v12, v7, s[0:3], 0 offen
	ds_read_b64 v[9:10], v6
	v_add_nc_u32_e32 v5, 1, v5
	v_add_nc_u32_e32 v6, 8, v6
	;; [unrolled: 1-line block ×3, first 2 shown]
	v_cmp_lt_u32_e32 vcc_lo, 37, v5
	s_or_b32 s5, vcc_lo, s5
	s_waitcnt vmcnt(1) lgkmcnt(0)
	v_mul_f32_e32 v137, v10, v11
	v_mul_f32_e32 v11, v9, v11
	s_waitcnt vmcnt(0)
	v_fma_f32 v9, v9, v12, -v137
	v_fmac_f32_e32 v11, v10, v12
	v_add_f32_e32 v8, v8, v9
	v_add_f32_e32 v2, v2, v11
	s_andn2_b32 exec_lo, exec_lo, s5
	s_cbranch_execnz .LBB61_169
; %bb.170:
	s_or_b32 exec_lo, exec_lo, s5
	v_mov_b32_e32 v5, 0
	ds_read_b64 v[5:6], v5 offset:312
	s_waitcnt lgkmcnt(0)
	v_mul_f32_e32 v7, v2, v6
	v_mul_f32_e32 v6, v8, v6
	v_fma_f32 v7, v8, v5, -v7
	v_fmac_f32_e32 v6, v2, v5
	buffer_store_dword v7, off, s[0:3], 0 offset:312
	buffer_store_dword v6, off, s[0:3], 0 offset:316
.LBB61_171:
	s_or_b32 exec_lo, exec_lo, s4
	s_waitcnt_vscnt null, 0x0
	s_barrier
	buffer_gl0_inv
	s_clause 0x1
	buffer_load_dword v5, off, s[0:3], 0 offset:320
	buffer_load_dword v6, off, s[0:3], 0 offset:324
	s_mov_b32 s4, exec_lo
	s_waitcnt vmcnt(0)
	ds_write_b64 v4, v[5:6]
	s_waitcnt lgkmcnt(0)
	s_barrier
	buffer_gl0_inv
	v_cmpx_gt_u32_e32 40, v0
	s_cbranch_execz .LBB61_175
; %bb.172:
	v_add_nc_u32_e32 v5, -1, v0
	v_add_nc_u32_e32 v6, 0x1f0, v3
	v_mov_b32_e32 v7, v3
	v_mov_b32_e32 v2, 0
	;; [unrolled: 1-line block ×3, first 2 shown]
	s_mov_b32 s5, 0
	.p2align	6
.LBB61_173:                             ; =>This Inner Loop Header: Depth=1
	s_clause 0x1
	buffer_load_dword v11, v7, s[0:3], 0 offen offset:4
	buffer_load_dword v12, v7, s[0:3], 0 offen
	ds_read_b64 v[9:10], v6
	v_add_nc_u32_e32 v5, 1, v5
	v_add_nc_u32_e32 v6, 8, v6
	;; [unrolled: 1-line block ×3, first 2 shown]
	v_cmp_lt_u32_e32 vcc_lo, 38, v5
	s_or_b32 s5, vcc_lo, s5
	s_waitcnt vmcnt(1) lgkmcnt(0)
	v_mul_f32_e32 v137, v10, v11
	v_mul_f32_e32 v11, v9, v11
	s_waitcnt vmcnt(0)
	v_fma_f32 v9, v9, v12, -v137
	v_fmac_f32_e32 v11, v10, v12
	v_add_f32_e32 v8, v8, v9
	v_add_f32_e32 v2, v2, v11
	s_andn2_b32 exec_lo, exec_lo, s5
	s_cbranch_execnz .LBB61_173
; %bb.174:
	s_or_b32 exec_lo, exec_lo, s5
	v_mov_b32_e32 v5, 0
	ds_read_b64 v[5:6], v5 offset:320
	s_waitcnt lgkmcnt(0)
	v_mul_f32_e32 v7, v2, v6
	v_mul_f32_e32 v6, v8, v6
	v_fma_f32 v7, v8, v5, -v7
	v_fmac_f32_e32 v6, v2, v5
	buffer_store_dword v7, off, s[0:3], 0 offset:320
	buffer_store_dword v6, off, s[0:3], 0 offset:324
.LBB61_175:
	s_or_b32 exec_lo, exec_lo, s4
	s_waitcnt_vscnt null, 0x0
	s_barrier
	buffer_gl0_inv
	s_clause 0x1
	buffer_load_dword v5, off, s[0:3], 0 offset:328
	buffer_load_dword v6, off, s[0:3], 0 offset:332
	s_mov_b32 s4, exec_lo
	s_waitcnt vmcnt(0)
	ds_write_b64 v4, v[5:6]
	s_waitcnt lgkmcnt(0)
	s_barrier
	buffer_gl0_inv
	v_cmpx_gt_u32_e32 41, v0
	s_cbranch_execz .LBB61_179
; %bb.176:
	v_add_nc_u32_e32 v5, -1, v0
	v_add_nc_u32_e32 v6, 0x1f0, v3
	v_mov_b32_e32 v7, v3
	v_mov_b32_e32 v2, 0
	;; [unrolled: 1-line block ×3, first 2 shown]
	s_mov_b32 s5, 0
	.p2align	6
.LBB61_177:                             ; =>This Inner Loop Header: Depth=1
	s_clause 0x1
	buffer_load_dword v11, v7, s[0:3], 0 offen offset:4
	buffer_load_dword v12, v7, s[0:3], 0 offen
	ds_read_b64 v[9:10], v6
	v_add_nc_u32_e32 v5, 1, v5
	v_add_nc_u32_e32 v6, 8, v6
	;; [unrolled: 1-line block ×3, first 2 shown]
	v_cmp_lt_u32_e32 vcc_lo, 39, v5
	s_or_b32 s5, vcc_lo, s5
	s_waitcnt vmcnt(1) lgkmcnt(0)
	v_mul_f32_e32 v137, v10, v11
	v_mul_f32_e32 v11, v9, v11
	s_waitcnt vmcnt(0)
	v_fma_f32 v9, v9, v12, -v137
	v_fmac_f32_e32 v11, v10, v12
	v_add_f32_e32 v8, v8, v9
	v_add_f32_e32 v2, v2, v11
	s_andn2_b32 exec_lo, exec_lo, s5
	s_cbranch_execnz .LBB61_177
; %bb.178:
	s_or_b32 exec_lo, exec_lo, s5
	v_mov_b32_e32 v5, 0
	ds_read_b64 v[5:6], v5 offset:328
	s_waitcnt lgkmcnt(0)
	v_mul_f32_e32 v7, v2, v6
	v_mul_f32_e32 v6, v8, v6
	v_fma_f32 v7, v8, v5, -v7
	v_fmac_f32_e32 v6, v2, v5
	buffer_store_dword v7, off, s[0:3], 0 offset:328
	buffer_store_dword v6, off, s[0:3], 0 offset:332
.LBB61_179:
	s_or_b32 exec_lo, exec_lo, s4
	s_waitcnt_vscnt null, 0x0
	s_barrier
	buffer_gl0_inv
	s_clause 0x1
	buffer_load_dword v5, off, s[0:3], 0 offset:336
	buffer_load_dword v6, off, s[0:3], 0 offset:340
	s_mov_b32 s4, exec_lo
	s_waitcnt vmcnt(0)
	ds_write_b64 v4, v[5:6]
	s_waitcnt lgkmcnt(0)
	s_barrier
	buffer_gl0_inv
	v_cmpx_gt_u32_e32 42, v0
	s_cbranch_execz .LBB61_183
; %bb.180:
	v_add_nc_u32_e32 v5, -1, v0
	v_add_nc_u32_e32 v6, 0x1f0, v3
	v_mov_b32_e32 v7, v3
	v_mov_b32_e32 v2, 0
	;; [unrolled: 1-line block ×3, first 2 shown]
	s_mov_b32 s5, 0
	.p2align	6
.LBB61_181:                             ; =>This Inner Loop Header: Depth=1
	s_clause 0x1
	buffer_load_dword v11, v7, s[0:3], 0 offen offset:4
	buffer_load_dword v12, v7, s[0:3], 0 offen
	ds_read_b64 v[9:10], v6
	v_add_nc_u32_e32 v5, 1, v5
	v_add_nc_u32_e32 v6, 8, v6
	;; [unrolled: 1-line block ×3, first 2 shown]
	v_cmp_lt_u32_e32 vcc_lo, 40, v5
	s_or_b32 s5, vcc_lo, s5
	s_waitcnt vmcnt(1) lgkmcnt(0)
	v_mul_f32_e32 v137, v10, v11
	v_mul_f32_e32 v11, v9, v11
	s_waitcnt vmcnt(0)
	v_fma_f32 v9, v9, v12, -v137
	v_fmac_f32_e32 v11, v10, v12
	v_add_f32_e32 v8, v8, v9
	v_add_f32_e32 v2, v2, v11
	s_andn2_b32 exec_lo, exec_lo, s5
	s_cbranch_execnz .LBB61_181
; %bb.182:
	s_or_b32 exec_lo, exec_lo, s5
	v_mov_b32_e32 v5, 0
	ds_read_b64 v[5:6], v5 offset:336
	s_waitcnt lgkmcnt(0)
	v_mul_f32_e32 v7, v2, v6
	v_mul_f32_e32 v6, v8, v6
	v_fma_f32 v7, v8, v5, -v7
	v_fmac_f32_e32 v6, v2, v5
	buffer_store_dword v7, off, s[0:3], 0 offset:336
	buffer_store_dword v6, off, s[0:3], 0 offset:340
.LBB61_183:
	s_or_b32 exec_lo, exec_lo, s4
	s_waitcnt_vscnt null, 0x0
	s_barrier
	buffer_gl0_inv
	s_clause 0x1
	buffer_load_dword v5, off, s[0:3], 0 offset:344
	buffer_load_dword v6, off, s[0:3], 0 offset:348
	s_mov_b32 s4, exec_lo
	s_waitcnt vmcnt(0)
	ds_write_b64 v4, v[5:6]
	s_waitcnt lgkmcnt(0)
	s_barrier
	buffer_gl0_inv
	v_cmpx_gt_u32_e32 43, v0
	s_cbranch_execz .LBB61_187
; %bb.184:
	v_add_nc_u32_e32 v5, -1, v0
	v_add_nc_u32_e32 v6, 0x1f0, v3
	v_mov_b32_e32 v7, v3
	v_mov_b32_e32 v2, 0
	;; [unrolled: 1-line block ×3, first 2 shown]
	s_mov_b32 s5, 0
	.p2align	6
.LBB61_185:                             ; =>This Inner Loop Header: Depth=1
	s_clause 0x1
	buffer_load_dword v11, v7, s[0:3], 0 offen offset:4
	buffer_load_dword v12, v7, s[0:3], 0 offen
	ds_read_b64 v[9:10], v6
	v_add_nc_u32_e32 v5, 1, v5
	v_add_nc_u32_e32 v6, 8, v6
	;; [unrolled: 1-line block ×3, first 2 shown]
	v_cmp_lt_u32_e32 vcc_lo, 41, v5
	s_or_b32 s5, vcc_lo, s5
	s_waitcnt vmcnt(1) lgkmcnt(0)
	v_mul_f32_e32 v137, v10, v11
	v_mul_f32_e32 v11, v9, v11
	s_waitcnt vmcnt(0)
	v_fma_f32 v9, v9, v12, -v137
	v_fmac_f32_e32 v11, v10, v12
	v_add_f32_e32 v8, v8, v9
	v_add_f32_e32 v2, v2, v11
	s_andn2_b32 exec_lo, exec_lo, s5
	s_cbranch_execnz .LBB61_185
; %bb.186:
	s_or_b32 exec_lo, exec_lo, s5
	v_mov_b32_e32 v5, 0
	ds_read_b64 v[5:6], v5 offset:344
	s_waitcnt lgkmcnt(0)
	v_mul_f32_e32 v7, v2, v6
	v_mul_f32_e32 v6, v8, v6
	v_fma_f32 v7, v8, v5, -v7
	v_fmac_f32_e32 v6, v2, v5
	buffer_store_dword v7, off, s[0:3], 0 offset:344
	buffer_store_dword v6, off, s[0:3], 0 offset:348
.LBB61_187:
	s_or_b32 exec_lo, exec_lo, s4
	s_waitcnt_vscnt null, 0x0
	s_barrier
	buffer_gl0_inv
	s_clause 0x1
	buffer_load_dword v5, off, s[0:3], 0 offset:352
	buffer_load_dword v6, off, s[0:3], 0 offset:356
	s_mov_b32 s4, exec_lo
	s_waitcnt vmcnt(0)
	ds_write_b64 v4, v[5:6]
	s_waitcnt lgkmcnt(0)
	s_barrier
	buffer_gl0_inv
	v_cmpx_gt_u32_e32 44, v0
	s_cbranch_execz .LBB61_191
; %bb.188:
	v_add_nc_u32_e32 v5, -1, v0
	v_add_nc_u32_e32 v6, 0x1f0, v3
	v_mov_b32_e32 v7, v3
	v_mov_b32_e32 v2, 0
	;; [unrolled: 1-line block ×3, first 2 shown]
	s_mov_b32 s5, 0
	.p2align	6
.LBB61_189:                             ; =>This Inner Loop Header: Depth=1
	s_clause 0x1
	buffer_load_dword v11, v7, s[0:3], 0 offen offset:4
	buffer_load_dword v12, v7, s[0:3], 0 offen
	ds_read_b64 v[9:10], v6
	v_add_nc_u32_e32 v5, 1, v5
	v_add_nc_u32_e32 v6, 8, v6
	;; [unrolled: 1-line block ×3, first 2 shown]
	v_cmp_lt_u32_e32 vcc_lo, 42, v5
	s_or_b32 s5, vcc_lo, s5
	s_waitcnt vmcnt(1) lgkmcnt(0)
	v_mul_f32_e32 v137, v10, v11
	v_mul_f32_e32 v11, v9, v11
	s_waitcnt vmcnt(0)
	v_fma_f32 v9, v9, v12, -v137
	v_fmac_f32_e32 v11, v10, v12
	v_add_f32_e32 v8, v8, v9
	v_add_f32_e32 v2, v2, v11
	s_andn2_b32 exec_lo, exec_lo, s5
	s_cbranch_execnz .LBB61_189
; %bb.190:
	s_or_b32 exec_lo, exec_lo, s5
	v_mov_b32_e32 v5, 0
	ds_read_b64 v[5:6], v5 offset:352
	s_waitcnt lgkmcnt(0)
	v_mul_f32_e32 v7, v2, v6
	v_mul_f32_e32 v6, v8, v6
	v_fma_f32 v7, v8, v5, -v7
	v_fmac_f32_e32 v6, v2, v5
	buffer_store_dword v7, off, s[0:3], 0 offset:352
	buffer_store_dword v6, off, s[0:3], 0 offset:356
.LBB61_191:
	s_or_b32 exec_lo, exec_lo, s4
	s_waitcnt_vscnt null, 0x0
	s_barrier
	buffer_gl0_inv
	s_clause 0x1
	buffer_load_dword v5, off, s[0:3], 0 offset:360
	buffer_load_dword v6, off, s[0:3], 0 offset:364
	s_mov_b32 s4, exec_lo
	s_waitcnt vmcnt(0)
	ds_write_b64 v4, v[5:6]
	s_waitcnt lgkmcnt(0)
	s_barrier
	buffer_gl0_inv
	v_cmpx_gt_u32_e32 45, v0
	s_cbranch_execz .LBB61_195
; %bb.192:
	v_add_nc_u32_e32 v5, -1, v0
	v_add_nc_u32_e32 v6, 0x1f0, v3
	v_mov_b32_e32 v7, v3
	v_mov_b32_e32 v2, 0
	;; [unrolled: 1-line block ×3, first 2 shown]
	s_mov_b32 s5, 0
	.p2align	6
.LBB61_193:                             ; =>This Inner Loop Header: Depth=1
	s_clause 0x1
	buffer_load_dword v11, v7, s[0:3], 0 offen offset:4
	buffer_load_dword v12, v7, s[0:3], 0 offen
	ds_read_b64 v[9:10], v6
	v_add_nc_u32_e32 v5, 1, v5
	v_add_nc_u32_e32 v6, 8, v6
	;; [unrolled: 1-line block ×3, first 2 shown]
	v_cmp_lt_u32_e32 vcc_lo, 43, v5
	s_or_b32 s5, vcc_lo, s5
	s_waitcnt vmcnt(1) lgkmcnt(0)
	v_mul_f32_e32 v137, v10, v11
	v_mul_f32_e32 v11, v9, v11
	s_waitcnt vmcnt(0)
	v_fma_f32 v9, v9, v12, -v137
	v_fmac_f32_e32 v11, v10, v12
	v_add_f32_e32 v8, v8, v9
	v_add_f32_e32 v2, v2, v11
	s_andn2_b32 exec_lo, exec_lo, s5
	s_cbranch_execnz .LBB61_193
; %bb.194:
	s_or_b32 exec_lo, exec_lo, s5
	v_mov_b32_e32 v5, 0
	ds_read_b64 v[5:6], v5 offset:360
	s_waitcnt lgkmcnt(0)
	v_mul_f32_e32 v7, v2, v6
	v_mul_f32_e32 v6, v8, v6
	v_fma_f32 v7, v8, v5, -v7
	v_fmac_f32_e32 v6, v2, v5
	buffer_store_dword v7, off, s[0:3], 0 offset:360
	buffer_store_dword v6, off, s[0:3], 0 offset:364
.LBB61_195:
	s_or_b32 exec_lo, exec_lo, s4
	s_waitcnt_vscnt null, 0x0
	s_barrier
	buffer_gl0_inv
	s_clause 0x1
	buffer_load_dword v5, off, s[0:3], 0 offset:368
	buffer_load_dword v6, off, s[0:3], 0 offset:372
	s_mov_b32 s4, exec_lo
	s_waitcnt vmcnt(0)
	ds_write_b64 v4, v[5:6]
	s_waitcnt lgkmcnt(0)
	s_barrier
	buffer_gl0_inv
	v_cmpx_gt_u32_e32 46, v0
	s_cbranch_execz .LBB61_199
; %bb.196:
	v_add_nc_u32_e32 v5, -1, v0
	v_add_nc_u32_e32 v6, 0x1f0, v3
	v_mov_b32_e32 v7, v3
	v_mov_b32_e32 v2, 0
	;; [unrolled: 1-line block ×3, first 2 shown]
	s_mov_b32 s5, 0
	.p2align	6
.LBB61_197:                             ; =>This Inner Loop Header: Depth=1
	s_clause 0x1
	buffer_load_dword v11, v7, s[0:3], 0 offen offset:4
	buffer_load_dword v12, v7, s[0:3], 0 offen
	ds_read_b64 v[9:10], v6
	v_add_nc_u32_e32 v5, 1, v5
	v_add_nc_u32_e32 v6, 8, v6
	;; [unrolled: 1-line block ×3, first 2 shown]
	v_cmp_lt_u32_e32 vcc_lo, 44, v5
	s_or_b32 s5, vcc_lo, s5
	s_waitcnt vmcnt(1) lgkmcnt(0)
	v_mul_f32_e32 v137, v10, v11
	v_mul_f32_e32 v11, v9, v11
	s_waitcnt vmcnt(0)
	v_fma_f32 v9, v9, v12, -v137
	v_fmac_f32_e32 v11, v10, v12
	v_add_f32_e32 v8, v8, v9
	v_add_f32_e32 v2, v2, v11
	s_andn2_b32 exec_lo, exec_lo, s5
	s_cbranch_execnz .LBB61_197
; %bb.198:
	s_or_b32 exec_lo, exec_lo, s5
	v_mov_b32_e32 v5, 0
	ds_read_b64 v[5:6], v5 offset:368
	s_waitcnt lgkmcnt(0)
	v_mul_f32_e32 v7, v2, v6
	v_mul_f32_e32 v6, v8, v6
	v_fma_f32 v7, v8, v5, -v7
	v_fmac_f32_e32 v6, v2, v5
	buffer_store_dword v7, off, s[0:3], 0 offset:368
	buffer_store_dword v6, off, s[0:3], 0 offset:372
.LBB61_199:
	s_or_b32 exec_lo, exec_lo, s4
	s_waitcnt_vscnt null, 0x0
	s_barrier
	buffer_gl0_inv
	s_clause 0x1
	buffer_load_dword v5, off, s[0:3], 0 offset:376
	buffer_load_dword v6, off, s[0:3], 0 offset:380
	s_mov_b32 s4, exec_lo
	s_waitcnt vmcnt(0)
	ds_write_b64 v4, v[5:6]
	s_waitcnt lgkmcnt(0)
	s_barrier
	buffer_gl0_inv
	v_cmpx_gt_u32_e32 47, v0
	s_cbranch_execz .LBB61_203
; %bb.200:
	v_add_nc_u32_e32 v5, -1, v0
	v_add_nc_u32_e32 v6, 0x1f0, v3
	v_mov_b32_e32 v7, v3
	v_mov_b32_e32 v2, 0
	;; [unrolled: 1-line block ×3, first 2 shown]
	s_mov_b32 s5, 0
	.p2align	6
.LBB61_201:                             ; =>This Inner Loop Header: Depth=1
	s_clause 0x1
	buffer_load_dword v11, v7, s[0:3], 0 offen offset:4
	buffer_load_dword v12, v7, s[0:3], 0 offen
	ds_read_b64 v[9:10], v6
	v_add_nc_u32_e32 v5, 1, v5
	v_add_nc_u32_e32 v6, 8, v6
	v_add_nc_u32_e32 v7, 8, v7
	v_cmp_lt_u32_e32 vcc_lo, 45, v5
	s_or_b32 s5, vcc_lo, s5
	s_waitcnt vmcnt(1) lgkmcnt(0)
	v_mul_f32_e32 v137, v10, v11
	v_mul_f32_e32 v11, v9, v11
	s_waitcnt vmcnt(0)
	v_fma_f32 v9, v9, v12, -v137
	v_fmac_f32_e32 v11, v10, v12
	v_add_f32_e32 v8, v8, v9
	v_add_f32_e32 v2, v2, v11
	s_andn2_b32 exec_lo, exec_lo, s5
	s_cbranch_execnz .LBB61_201
; %bb.202:
	s_or_b32 exec_lo, exec_lo, s5
	v_mov_b32_e32 v5, 0
	ds_read_b64 v[5:6], v5 offset:376
	s_waitcnt lgkmcnt(0)
	v_mul_f32_e32 v7, v2, v6
	v_mul_f32_e32 v6, v8, v6
	v_fma_f32 v7, v8, v5, -v7
	v_fmac_f32_e32 v6, v2, v5
	buffer_store_dword v7, off, s[0:3], 0 offset:376
	buffer_store_dword v6, off, s[0:3], 0 offset:380
.LBB61_203:
	s_or_b32 exec_lo, exec_lo, s4
	s_waitcnt_vscnt null, 0x0
	s_barrier
	buffer_gl0_inv
	s_clause 0x1
	buffer_load_dword v5, off, s[0:3], 0 offset:384
	buffer_load_dword v6, off, s[0:3], 0 offset:388
	s_mov_b32 s4, exec_lo
	s_waitcnt vmcnt(0)
	ds_write_b64 v4, v[5:6]
	s_waitcnt lgkmcnt(0)
	s_barrier
	buffer_gl0_inv
	v_cmpx_gt_u32_e32 48, v0
	s_cbranch_execz .LBB61_207
; %bb.204:
	v_add_nc_u32_e32 v5, -1, v0
	v_add_nc_u32_e32 v6, 0x1f0, v3
	v_mov_b32_e32 v7, v3
	v_mov_b32_e32 v2, 0
	;; [unrolled: 1-line block ×3, first 2 shown]
	s_mov_b32 s5, 0
	.p2align	6
.LBB61_205:                             ; =>This Inner Loop Header: Depth=1
	s_clause 0x1
	buffer_load_dword v11, v7, s[0:3], 0 offen offset:4
	buffer_load_dword v12, v7, s[0:3], 0 offen
	ds_read_b64 v[9:10], v6
	v_add_nc_u32_e32 v5, 1, v5
	v_add_nc_u32_e32 v6, 8, v6
	;; [unrolled: 1-line block ×3, first 2 shown]
	v_cmp_lt_u32_e32 vcc_lo, 46, v5
	s_or_b32 s5, vcc_lo, s5
	s_waitcnt vmcnt(1) lgkmcnt(0)
	v_mul_f32_e32 v137, v10, v11
	v_mul_f32_e32 v11, v9, v11
	s_waitcnt vmcnt(0)
	v_fma_f32 v9, v9, v12, -v137
	v_fmac_f32_e32 v11, v10, v12
	v_add_f32_e32 v8, v8, v9
	v_add_f32_e32 v2, v2, v11
	s_andn2_b32 exec_lo, exec_lo, s5
	s_cbranch_execnz .LBB61_205
; %bb.206:
	s_or_b32 exec_lo, exec_lo, s5
	v_mov_b32_e32 v5, 0
	ds_read_b64 v[5:6], v5 offset:384
	s_waitcnt lgkmcnt(0)
	v_mul_f32_e32 v7, v2, v6
	v_mul_f32_e32 v6, v8, v6
	v_fma_f32 v7, v8, v5, -v7
	v_fmac_f32_e32 v6, v2, v5
	buffer_store_dword v7, off, s[0:3], 0 offset:384
	buffer_store_dword v6, off, s[0:3], 0 offset:388
.LBB61_207:
	s_or_b32 exec_lo, exec_lo, s4
	s_waitcnt_vscnt null, 0x0
	s_barrier
	buffer_gl0_inv
	s_clause 0x1
	buffer_load_dword v5, off, s[0:3], 0 offset:392
	buffer_load_dword v6, off, s[0:3], 0 offset:396
	s_mov_b32 s4, exec_lo
	s_waitcnt vmcnt(0)
	ds_write_b64 v4, v[5:6]
	s_waitcnt lgkmcnt(0)
	s_barrier
	buffer_gl0_inv
	v_cmpx_gt_u32_e32 49, v0
	s_cbranch_execz .LBB61_211
; %bb.208:
	v_add_nc_u32_e32 v5, -1, v0
	v_add_nc_u32_e32 v6, 0x1f0, v3
	v_mov_b32_e32 v7, v3
	v_mov_b32_e32 v2, 0
	;; [unrolled: 1-line block ×3, first 2 shown]
	s_mov_b32 s5, 0
	.p2align	6
.LBB61_209:                             ; =>This Inner Loop Header: Depth=1
	s_clause 0x1
	buffer_load_dword v11, v7, s[0:3], 0 offen offset:4
	buffer_load_dword v12, v7, s[0:3], 0 offen
	ds_read_b64 v[9:10], v6
	v_add_nc_u32_e32 v5, 1, v5
	v_add_nc_u32_e32 v6, 8, v6
	;; [unrolled: 1-line block ×3, first 2 shown]
	v_cmp_lt_u32_e32 vcc_lo, 47, v5
	s_or_b32 s5, vcc_lo, s5
	s_waitcnt vmcnt(1) lgkmcnt(0)
	v_mul_f32_e32 v137, v10, v11
	v_mul_f32_e32 v11, v9, v11
	s_waitcnt vmcnt(0)
	v_fma_f32 v9, v9, v12, -v137
	v_fmac_f32_e32 v11, v10, v12
	v_add_f32_e32 v8, v8, v9
	v_add_f32_e32 v2, v2, v11
	s_andn2_b32 exec_lo, exec_lo, s5
	s_cbranch_execnz .LBB61_209
; %bb.210:
	s_or_b32 exec_lo, exec_lo, s5
	v_mov_b32_e32 v5, 0
	ds_read_b64 v[5:6], v5 offset:392
	s_waitcnt lgkmcnt(0)
	v_mul_f32_e32 v7, v2, v6
	v_mul_f32_e32 v6, v8, v6
	v_fma_f32 v7, v8, v5, -v7
	v_fmac_f32_e32 v6, v2, v5
	buffer_store_dword v7, off, s[0:3], 0 offset:392
	buffer_store_dword v6, off, s[0:3], 0 offset:396
.LBB61_211:
	s_or_b32 exec_lo, exec_lo, s4
	s_waitcnt_vscnt null, 0x0
	s_barrier
	buffer_gl0_inv
	s_clause 0x1
	buffer_load_dword v5, off, s[0:3], 0 offset:400
	buffer_load_dword v6, off, s[0:3], 0 offset:404
	s_mov_b32 s4, exec_lo
	s_waitcnt vmcnt(0)
	ds_write_b64 v4, v[5:6]
	s_waitcnt lgkmcnt(0)
	s_barrier
	buffer_gl0_inv
	v_cmpx_gt_u32_e32 50, v0
	s_cbranch_execz .LBB61_215
; %bb.212:
	v_add_nc_u32_e32 v5, -1, v0
	v_add_nc_u32_e32 v6, 0x1f0, v3
	v_mov_b32_e32 v7, v3
	v_mov_b32_e32 v2, 0
	;; [unrolled: 1-line block ×3, first 2 shown]
	s_mov_b32 s5, 0
	.p2align	6
.LBB61_213:                             ; =>This Inner Loop Header: Depth=1
	s_clause 0x1
	buffer_load_dword v11, v7, s[0:3], 0 offen offset:4
	buffer_load_dword v12, v7, s[0:3], 0 offen
	ds_read_b64 v[9:10], v6
	v_add_nc_u32_e32 v5, 1, v5
	v_add_nc_u32_e32 v6, 8, v6
	;; [unrolled: 1-line block ×3, first 2 shown]
	v_cmp_lt_u32_e32 vcc_lo, 48, v5
	s_or_b32 s5, vcc_lo, s5
	s_waitcnt vmcnt(1) lgkmcnt(0)
	v_mul_f32_e32 v137, v10, v11
	v_mul_f32_e32 v11, v9, v11
	s_waitcnt vmcnt(0)
	v_fma_f32 v9, v9, v12, -v137
	v_fmac_f32_e32 v11, v10, v12
	v_add_f32_e32 v8, v8, v9
	v_add_f32_e32 v2, v2, v11
	s_andn2_b32 exec_lo, exec_lo, s5
	s_cbranch_execnz .LBB61_213
; %bb.214:
	s_or_b32 exec_lo, exec_lo, s5
	v_mov_b32_e32 v5, 0
	ds_read_b64 v[5:6], v5 offset:400
	s_waitcnt lgkmcnt(0)
	v_mul_f32_e32 v7, v2, v6
	v_mul_f32_e32 v6, v8, v6
	v_fma_f32 v7, v8, v5, -v7
	v_fmac_f32_e32 v6, v2, v5
	buffer_store_dword v7, off, s[0:3], 0 offset:400
	buffer_store_dword v6, off, s[0:3], 0 offset:404
.LBB61_215:
	s_or_b32 exec_lo, exec_lo, s4
	s_waitcnt_vscnt null, 0x0
	s_barrier
	buffer_gl0_inv
	s_clause 0x1
	buffer_load_dword v5, off, s[0:3], 0 offset:408
	buffer_load_dword v6, off, s[0:3], 0 offset:412
	s_mov_b32 s4, exec_lo
	s_waitcnt vmcnt(0)
	ds_write_b64 v4, v[5:6]
	s_waitcnt lgkmcnt(0)
	s_barrier
	buffer_gl0_inv
	v_cmpx_gt_u32_e32 51, v0
	s_cbranch_execz .LBB61_219
; %bb.216:
	v_add_nc_u32_e32 v5, -1, v0
	v_add_nc_u32_e32 v6, 0x1f0, v3
	v_mov_b32_e32 v7, v3
	v_mov_b32_e32 v2, 0
	;; [unrolled: 1-line block ×3, first 2 shown]
	s_mov_b32 s5, 0
	.p2align	6
.LBB61_217:                             ; =>This Inner Loop Header: Depth=1
	s_clause 0x1
	buffer_load_dword v11, v7, s[0:3], 0 offen offset:4
	buffer_load_dword v12, v7, s[0:3], 0 offen
	ds_read_b64 v[9:10], v6
	v_add_nc_u32_e32 v5, 1, v5
	v_add_nc_u32_e32 v6, 8, v6
	;; [unrolled: 1-line block ×3, first 2 shown]
	v_cmp_lt_u32_e32 vcc_lo, 49, v5
	s_or_b32 s5, vcc_lo, s5
	s_waitcnt vmcnt(1) lgkmcnt(0)
	v_mul_f32_e32 v137, v10, v11
	v_mul_f32_e32 v11, v9, v11
	s_waitcnt vmcnt(0)
	v_fma_f32 v9, v9, v12, -v137
	v_fmac_f32_e32 v11, v10, v12
	v_add_f32_e32 v8, v8, v9
	v_add_f32_e32 v2, v2, v11
	s_andn2_b32 exec_lo, exec_lo, s5
	s_cbranch_execnz .LBB61_217
; %bb.218:
	s_or_b32 exec_lo, exec_lo, s5
	v_mov_b32_e32 v5, 0
	ds_read_b64 v[5:6], v5 offset:408
	s_waitcnt lgkmcnt(0)
	v_mul_f32_e32 v7, v2, v6
	v_mul_f32_e32 v6, v8, v6
	v_fma_f32 v7, v8, v5, -v7
	v_fmac_f32_e32 v6, v2, v5
	buffer_store_dword v7, off, s[0:3], 0 offset:408
	buffer_store_dword v6, off, s[0:3], 0 offset:412
.LBB61_219:
	s_or_b32 exec_lo, exec_lo, s4
	s_waitcnt_vscnt null, 0x0
	s_barrier
	buffer_gl0_inv
	s_clause 0x1
	buffer_load_dword v5, off, s[0:3], 0 offset:416
	buffer_load_dword v6, off, s[0:3], 0 offset:420
	s_mov_b32 s4, exec_lo
	s_waitcnt vmcnt(0)
	ds_write_b64 v4, v[5:6]
	s_waitcnt lgkmcnt(0)
	s_barrier
	buffer_gl0_inv
	v_cmpx_gt_u32_e32 52, v0
	s_cbranch_execz .LBB61_223
; %bb.220:
	v_add_nc_u32_e32 v5, -1, v0
	v_add_nc_u32_e32 v6, 0x1f0, v3
	v_mov_b32_e32 v7, v3
	v_mov_b32_e32 v2, 0
	v_mov_b32_e32 v8, 0
	s_mov_b32 s5, 0
	.p2align	6
.LBB61_221:                             ; =>This Inner Loop Header: Depth=1
	s_clause 0x1
	buffer_load_dword v11, v7, s[0:3], 0 offen offset:4
	buffer_load_dword v12, v7, s[0:3], 0 offen
	ds_read_b64 v[9:10], v6
	v_add_nc_u32_e32 v5, 1, v5
	v_add_nc_u32_e32 v6, 8, v6
	;; [unrolled: 1-line block ×3, first 2 shown]
	v_cmp_lt_u32_e32 vcc_lo, 50, v5
	s_or_b32 s5, vcc_lo, s5
	s_waitcnt vmcnt(1) lgkmcnt(0)
	v_mul_f32_e32 v137, v10, v11
	v_mul_f32_e32 v11, v9, v11
	s_waitcnt vmcnt(0)
	v_fma_f32 v9, v9, v12, -v137
	v_fmac_f32_e32 v11, v10, v12
	v_add_f32_e32 v8, v8, v9
	v_add_f32_e32 v2, v2, v11
	s_andn2_b32 exec_lo, exec_lo, s5
	s_cbranch_execnz .LBB61_221
; %bb.222:
	s_or_b32 exec_lo, exec_lo, s5
	v_mov_b32_e32 v5, 0
	ds_read_b64 v[5:6], v5 offset:416
	s_waitcnt lgkmcnt(0)
	v_mul_f32_e32 v7, v2, v6
	v_mul_f32_e32 v6, v8, v6
	v_fma_f32 v7, v8, v5, -v7
	v_fmac_f32_e32 v6, v2, v5
	buffer_store_dword v7, off, s[0:3], 0 offset:416
	buffer_store_dword v6, off, s[0:3], 0 offset:420
.LBB61_223:
	s_or_b32 exec_lo, exec_lo, s4
	s_waitcnt_vscnt null, 0x0
	s_barrier
	buffer_gl0_inv
	s_clause 0x1
	buffer_load_dword v5, off, s[0:3], 0 offset:424
	buffer_load_dword v6, off, s[0:3], 0 offset:428
	s_mov_b32 s4, exec_lo
	s_waitcnt vmcnt(0)
	ds_write_b64 v4, v[5:6]
	s_waitcnt lgkmcnt(0)
	s_barrier
	buffer_gl0_inv
	v_cmpx_gt_u32_e32 53, v0
	s_cbranch_execz .LBB61_227
; %bb.224:
	v_add_nc_u32_e32 v5, -1, v0
	v_add_nc_u32_e32 v6, 0x1f0, v3
	v_mov_b32_e32 v7, v3
	v_mov_b32_e32 v2, 0
	;; [unrolled: 1-line block ×3, first 2 shown]
	s_mov_b32 s5, 0
	.p2align	6
.LBB61_225:                             ; =>This Inner Loop Header: Depth=1
	s_clause 0x1
	buffer_load_dword v11, v7, s[0:3], 0 offen offset:4
	buffer_load_dword v12, v7, s[0:3], 0 offen
	ds_read_b64 v[9:10], v6
	v_add_nc_u32_e32 v5, 1, v5
	v_add_nc_u32_e32 v6, 8, v6
	;; [unrolled: 1-line block ×3, first 2 shown]
	v_cmp_lt_u32_e32 vcc_lo, 51, v5
	s_or_b32 s5, vcc_lo, s5
	s_waitcnt vmcnt(1) lgkmcnt(0)
	v_mul_f32_e32 v137, v10, v11
	v_mul_f32_e32 v11, v9, v11
	s_waitcnt vmcnt(0)
	v_fma_f32 v9, v9, v12, -v137
	v_fmac_f32_e32 v11, v10, v12
	v_add_f32_e32 v8, v8, v9
	v_add_f32_e32 v2, v2, v11
	s_andn2_b32 exec_lo, exec_lo, s5
	s_cbranch_execnz .LBB61_225
; %bb.226:
	s_or_b32 exec_lo, exec_lo, s5
	v_mov_b32_e32 v5, 0
	ds_read_b64 v[5:6], v5 offset:424
	s_waitcnt lgkmcnt(0)
	v_mul_f32_e32 v7, v2, v6
	v_mul_f32_e32 v6, v8, v6
	v_fma_f32 v7, v8, v5, -v7
	v_fmac_f32_e32 v6, v2, v5
	buffer_store_dword v7, off, s[0:3], 0 offset:424
	buffer_store_dword v6, off, s[0:3], 0 offset:428
.LBB61_227:
	s_or_b32 exec_lo, exec_lo, s4
	s_waitcnt_vscnt null, 0x0
	s_barrier
	buffer_gl0_inv
	s_clause 0x1
	buffer_load_dword v5, off, s[0:3], 0 offset:432
	buffer_load_dword v6, off, s[0:3], 0 offset:436
	s_mov_b32 s4, exec_lo
	s_waitcnt vmcnt(0)
	ds_write_b64 v4, v[5:6]
	s_waitcnt lgkmcnt(0)
	s_barrier
	buffer_gl0_inv
	v_cmpx_gt_u32_e32 54, v0
	s_cbranch_execz .LBB61_231
; %bb.228:
	v_add_nc_u32_e32 v5, -1, v0
	v_add_nc_u32_e32 v6, 0x1f0, v3
	v_mov_b32_e32 v7, v3
	v_mov_b32_e32 v2, 0
	;; [unrolled: 1-line block ×3, first 2 shown]
	s_mov_b32 s5, 0
	.p2align	6
.LBB61_229:                             ; =>This Inner Loop Header: Depth=1
	s_clause 0x1
	buffer_load_dword v11, v7, s[0:3], 0 offen offset:4
	buffer_load_dword v12, v7, s[0:3], 0 offen
	ds_read_b64 v[9:10], v6
	v_add_nc_u32_e32 v5, 1, v5
	v_add_nc_u32_e32 v6, 8, v6
	;; [unrolled: 1-line block ×3, first 2 shown]
	v_cmp_lt_u32_e32 vcc_lo, 52, v5
	s_or_b32 s5, vcc_lo, s5
	s_waitcnt vmcnt(1) lgkmcnt(0)
	v_mul_f32_e32 v137, v10, v11
	v_mul_f32_e32 v11, v9, v11
	s_waitcnt vmcnt(0)
	v_fma_f32 v9, v9, v12, -v137
	v_fmac_f32_e32 v11, v10, v12
	v_add_f32_e32 v8, v8, v9
	v_add_f32_e32 v2, v2, v11
	s_andn2_b32 exec_lo, exec_lo, s5
	s_cbranch_execnz .LBB61_229
; %bb.230:
	s_or_b32 exec_lo, exec_lo, s5
	v_mov_b32_e32 v5, 0
	ds_read_b64 v[5:6], v5 offset:432
	s_waitcnt lgkmcnt(0)
	v_mul_f32_e32 v7, v2, v6
	v_mul_f32_e32 v6, v8, v6
	v_fma_f32 v7, v8, v5, -v7
	v_fmac_f32_e32 v6, v2, v5
	buffer_store_dword v7, off, s[0:3], 0 offset:432
	buffer_store_dword v6, off, s[0:3], 0 offset:436
.LBB61_231:
	s_or_b32 exec_lo, exec_lo, s4
	s_waitcnt_vscnt null, 0x0
	s_barrier
	buffer_gl0_inv
	s_clause 0x1
	buffer_load_dword v5, off, s[0:3], 0 offset:440
	buffer_load_dword v6, off, s[0:3], 0 offset:444
	s_mov_b32 s4, exec_lo
	s_waitcnt vmcnt(0)
	ds_write_b64 v4, v[5:6]
	s_waitcnt lgkmcnt(0)
	s_barrier
	buffer_gl0_inv
	v_cmpx_gt_u32_e32 55, v0
	s_cbranch_execz .LBB61_235
; %bb.232:
	v_add_nc_u32_e32 v5, -1, v0
	v_add_nc_u32_e32 v6, 0x1f0, v3
	v_mov_b32_e32 v7, v3
	v_mov_b32_e32 v2, 0
	;; [unrolled: 1-line block ×3, first 2 shown]
	s_mov_b32 s5, 0
	.p2align	6
.LBB61_233:                             ; =>This Inner Loop Header: Depth=1
	s_clause 0x1
	buffer_load_dword v11, v7, s[0:3], 0 offen offset:4
	buffer_load_dword v12, v7, s[0:3], 0 offen
	ds_read_b64 v[9:10], v6
	v_add_nc_u32_e32 v5, 1, v5
	v_add_nc_u32_e32 v6, 8, v6
	;; [unrolled: 1-line block ×3, first 2 shown]
	v_cmp_lt_u32_e32 vcc_lo, 53, v5
	s_or_b32 s5, vcc_lo, s5
	s_waitcnt vmcnt(1) lgkmcnt(0)
	v_mul_f32_e32 v137, v10, v11
	v_mul_f32_e32 v11, v9, v11
	s_waitcnt vmcnt(0)
	v_fma_f32 v9, v9, v12, -v137
	v_fmac_f32_e32 v11, v10, v12
	v_add_f32_e32 v8, v8, v9
	v_add_f32_e32 v2, v2, v11
	s_andn2_b32 exec_lo, exec_lo, s5
	s_cbranch_execnz .LBB61_233
; %bb.234:
	s_or_b32 exec_lo, exec_lo, s5
	v_mov_b32_e32 v5, 0
	ds_read_b64 v[5:6], v5 offset:440
	s_waitcnt lgkmcnt(0)
	v_mul_f32_e32 v7, v2, v6
	v_mul_f32_e32 v6, v8, v6
	v_fma_f32 v7, v8, v5, -v7
	v_fmac_f32_e32 v6, v2, v5
	buffer_store_dword v7, off, s[0:3], 0 offset:440
	buffer_store_dword v6, off, s[0:3], 0 offset:444
.LBB61_235:
	s_or_b32 exec_lo, exec_lo, s4
	s_waitcnt_vscnt null, 0x0
	s_barrier
	buffer_gl0_inv
	s_clause 0x1
	buffer_load_dword v5, off, s[0:3], 0 offset:448
	buffer_load_dword v6, off, s[0:3], 0 offset:452
	s_mov_b32 s4, exec_lo
	s_waitcnt vmcnt(0)
	ds_write_b64 v4, v[5:6]
	s_waitcnt lgkmcnt(0)
	s_barrier
	buffer_gl0_inv
	v_cmpx_gt_u32_e32 56, v0
	s_cbranch_execz .LBB61_239
; %bb.236:
	v_add_nc_u32_e32 v5, -1, v0
	v_add_nc_u32_e32 v6, 0x1f0, v3
	v_mov_b32_e32 v7, v3
	v_mov_b32_e32 v2, 0
	;; [unrolled: 1-line block ×3, first 2 shown]
	s_mov_b32 s5, 0
	.p2align	6
.LBB61_237:                             ; =>This Inner Loop Header: Depth=1
	s_clause 0x1
	buffer_load_dword v11, v7, s[0:3], 0 offen offset:4
	buffer_load_dword v12, v7, s[0:3], 0 offen
	ds_read_b64 v[9:10], v6
	v_add_nc_u32_e32 v5, 1, v5
	v_add_nc_u32_e32 v6, 8, v6
	;; [unrolled: 1-line block ×3, first 2 shown]
	v_cmp_lt_u32_e32 vcc_lo, 54, v5
	s_or_b32 s5, vcc_lo, s5
	s_waitcnt vmcnt(1) lgkmcnt(0)
	v_mul_f32_e32 v137, v10, v11
	v_mul_f32_e32 v11, v9, v11
	s_waitcnt vmcnt(0)
	v_fma_f32 v9, v9, v12, -v137
	v_fmac_f32_e32 v11, v10, v12
	v_add_f32_e32 v8, v8, v9
	v_add_f32_e32 v2, v2, v11
	s_andn2_b32 exec_lo, exec_lo, s5
	s_cbranch_execnz .LBB61_237
; %bb.238:
	s_or_b32 exec_lo, exec_lo, s5
	v_mov_b32_e32 v5, 0
	ds_read_b64 v[5:6], v5 offset:448
	s_waitcnt lgkmcnt(0)
	v_mul_f32_e32 v7, v2, v6
	v_mul_f32_e32 v6, v8, v6
	v_fma_f32 v7, v8, v5, -v7
	v_fmac_f32_e32 v6, v2, v5
	buffer_store_dword v7, off, s[0:3], 0 offset:448
	buffer_store_dword v6, off, s[0:3], 0 offset:452
.LBB61_239:
	s_or_b32 exec_lo, exec_lo, s4
	s_waitcnt_vscnt null, 0x0
	s_barrier
	buffer_gl0_inv
	s_clause 0x1
	buffer_load_dword v5, off, s[0:3], 0 offset:456
	buffer_load_dword v6, off, s[0:3], 0 offset:460
	s_mov_b32 s4, exec_lo
	s_waitcnt vmcnt(0)
	ds_write_b64 v4, v[5:6]
	s_waitcnt lgkmcnt(0)
	s_barrier
	buffer_gl0_inv
	v_cmpx_gt_u32_e32 57, v0
	s_cbranch_execz .LBB61_243
; %bb.240:
	v_add_nc_u32_e32 v5, -1, v0
	v_add_nc_u32_e32 v6, 0x1f0, v3
	v_mov_b32_e32 v7, v3
	v_mov_b32_e32 v2, 0
	;; [unrolled: 1-line block ×3, first 2 shown]
	s_mov_b32 s5, 0
	.p2align	6
.LBB61_241:                             ; =>This Inner Loop Header: Depth=1
	s_clause 0x1
	buffer_load_dword v11, v7, s[0:3], 0 offen offset:4
	buffer_load_dword v12, v7, s[0:3], 0 offen
	ds_read_b64 v[9:10], v6
	v_add_nc_u32_e32 v5, 1, v5
	v_add_nc_u32_e32 v6, 8, v6
	;; [unrolled: 1-line block ×3, first 2 shown]
	v_cmp_lt_u32_e32 vcc_lo, 55, v5
	s_or_b32 s5, vcc_lo, s5
	s_waitcnt vmcnt(1) lgkmcnt(0)
	v_mul_f32_e32 v137, v10, v11
	v_mul_f32_e32 v11, v9, v11
	s_waitcnt vmcnt(0)
	v_fma_f32 v9, v9, v12, -v137
	v_fmac_f32_e32 v11, v10, v12
	v_add_f32_e32 v8, v8, v9
	v_add_f32_e32 v2, v2, v11
	s_andn2_b32 exec_lo, exec_lo, s5
	s_cbranch_execnz .LBB61_241
; %bb.242:
	s_or_b32 exec_lo, exec_lo, s5
	v_mov_b32_e32 v5, 0
	ds_read_b64 v[5:6], v5 offset:456
	s_waitcnt lgkmcnt(0)
	v_mul_f32_e32 v7, v2, v6
	v_mul_f32_e32 v6, v8, v6
	v_fma_f32 v7, v8, v5, -v7
	v_fmac_f32_e32 v6, v2, v5
	buffer_store_dword v7, off, s[0:3], 0 offset:456
	buffer_store_dword v6, off, s[0:3], 0 offset:460
.LBB61_243:
	s_or_b32 exec_lo, exec_lo, s4
	s_waitcnt_vscnt null, 0x0
	s_barrier
	buffer_gl0_inv
	s_clause 0x1
	buffer_load_dword v5, off, s[0:3], 0 offset:464
	buffer_load_dword v6, off, s[0:3], 0 offset:468
	s_mov_b32 s4, exec_lo
	s_waitcnt vmcnt(0)
	ds_write_b64 v4, v[5:6]
	s_waitcnt lgkmcnt(0)
	s_barrier
	buffer_gl0_inv
	v_cmpx_gt_u32_e32 58, v0
	s_cbranch_execz .LBB61_247
; %bb.244:
	v_add_nc_u32_e32 v5, -1, v0
	v_add_nc_u32_e32 v6, 0x1f0, v3
	v_mov_b32_e32 v7, v3
	v_mov_b32_e32 v2, 0
	;; [unrolled: 1-line block ×3, first 2 shown]
	s_mov_b32 s5, 0
	.p2align	6
.LBB61_245:                             ; =>This Inner Loop Header: Depth=1
	s_clause 0x1
	buffer_load_dword v11, v7, s[0:3], 0 offen offset:4
	buffer_load_dword v12, v7, s[0:3], 0 offen
	ds_read_b64 v[9:10], v6
	v_add_nc_u32_e32 v5, 1, v5
	v_add_nc_u32_e32 v6, 8, v6
	;; [unrolled: 1-line block ×3, first 2 shown]
	v_cmp_lt_u32_e32 vcc_lo, 56, v5
	s_or_b32 s5, vcc_lo, s5
	s_waitcnt vmcnt(1) lgkmcnt(0)
	v_mul_f32_e32 v137, v10, v11
	v_mul_f32_e32 v11, v9, v11
	s_waitcnt vmcnt(0)
	v_fma_f32 v9, v9, v12, -v137
	v_fmac_f32_e32 v11, v10, v12
	v_add_f32_e32 v8, v8, v9
	v_add_f32_e32 v2, v2, v11
	s_andn2_b32 exec_lo, exec_lo, s5
	s_cbranch_execnz .LBB61_245
; %bb.246:
	s_or_b32 exec_lo, exec_lo, s5
	v_mov_b32_e32 v5, 0
	ds_read_b64 v[5:6], v5 offset:464
	s_waitcnt lgkmcnt(0)
	v_mul_f32_e32 v7, v2, v6
	v_mul_f32_e32 v6, v8, v6
	v_fma_f32 v7, v8, v5, -v7
	v_fmac_f32_e32 v6, v2, v5
	buffer_store_dword v7, off, s[0:3], 0 offset:464
	buffer_store_dword v6, off, s[0:3], 0 offset:468
.LBB61_247:
	s_or_b32 exec_lo, exec_lo, s4
	s_waitcnt_vscnt null, 0x0
	s_barrier
	buffer_gl0_inv
	s_clause 0x1
	buffer_load_dword v5, off, s[0:3], 0 offset:472
	buffer_load_dword v6, off, s[0:3], 0 offset:476
	s_mov_b32 s4, exec_lo
	s_waitcnt vmcnt(0)
	ds_write_b64 v4, v[5:6]
	s_waitcnt lgkmcnt(0)
	s_barrier
	buffer_gl0_inv
	v_cmpx_gt_u32_e32 59, v0
	s_cbranch_execz .LBB61_251
; %bb.248:
	v_add_nc_u32_e32 v5, -1, v0
	v_add_nc_u32_e32 v6, 0x1f0, v3
	v_mov_b32_e32 v7, v3
	v_mov_b32_e32 v2, 0
	;; [unrolled: 1-line block ×3, first 2 shown]
	s_mov_b32 s5, 0
	.p2align	6
.LBB61_249:                             ; =>This Inner Loop Header: Depth=1
	s_clause 0x1
	buffer_load_dword v11, v7, s[0:3], 0 offen offset:4
	buffer_load_dword v12, v7, s[0:3], 0 offen
	ds_read_b64 v[9:10], v6
	v_add_nc_u32_e32 v5, 1, v5
	v_add_nc_u32_e32 v6, 8, v6
	;; [unrolled: 1-line block ×3, first 2 shown]
	v_cmp_lt_u32_e32 vcc_lo, 57, v5
	s_or_b32 s5, vcc_lo, s5
	s_waitcnt vmcnt(1) lgkmcnt(0)
	v_mul_f32_e32 v137, v10, v11
	v_mul_f32_e32 v11, v9, v11
	s_waitcnt vmcnt(0)
	v_fma_f32 v9, v9, v12, -v137
	v_fmac_f32_e32 v11, v10, v12
	v_add_f32_e32 v8, v8, v9
	v_add_f32_e32 v2, v2, v11
	s_andn2_b32 exec_lo, exec_lo, s5
	s_cbranch_execnz .LBB61_249
; %bb.250:
	s_or_b32 exec_lo, exec_lo, s5
	v_mov_b32_e32 v5, 0
	ds_read_b64 v[5:6], v5 offset:472
	s_waitcnt lgkmcnt(0)
	v_mul_f32_e32 v7, v2, v6
	v_mul_f32_e32 v6, v8, v6
	v_fma_f32 v7, v8, v5, -v7
	v_fmac_f32_e32 v6, v2, v5
	buffer_store_dword v7, off, s[0:3], 0 offset:472
	buffer_store_dword v6, off, s[0:3], 0 offset:476
.LBB61_251:
	s_or_b32 exec_lo, exec_lo, s4
	s_waitcnt_vscnt null, 0x0
	s_barrier
	buffer_gl0_inv
	s_clause 0x1
	buffer_load_dword v5, off, s[0:3], 0 offset:480
	buffer_load_dword v6, off, s[0:3], 0 offset:484
	s_mov_b32 s4, exec_lo
	s_waitcnt vmcnt(0)
	ds_write_b64 v4, v[5:6]
	s_waitcnt lgkmcnt(0)
	s_barrier
	buffer_gl0_inv
	v_cmpx_gt_u32_e32 60, v0
	s_cbranch_execz .LBB61_255
; %bb.252:
	v_add_nc_u32_e32 v5, -1, v0
	v_add_nc_u32_e32 v6, 0x1f0, v3
	v_mov_b32_e32 v7, v3
	v_mov_b32_e32 v2, 0
	;; [unrolled: 1-line block ×3, first 2 shown]
	s_mov_b32 s5, 0
	.p2align	6
.LBB61_253:                             ; =>This Inner Loop Header: Depth=1
	s_clause 0x1
	buffer_load_dword v11, v7, s[0:3], 0 offen offset:4
	buffer_load_dword v12, v7, s[0:3], 0 offen
	ds_read_b64 v[9:10], v6
	v_add_nc_u32_e32 v5, 1, v5
	v_add_nc_u32_e32 v6, 8, v6
	;; [unrolled: 1-line block ×3, first 2 shown]
	v_cmp_lt_u32_e32 vcc_lo, 58, v5
	s_or_b32 s5, vcc_lo, s5
	s_waitcnt vmcnt(1) lgkmcnt(0)
	v_mul_f32_e32 v137, v10, v11
	v_mul_f32_e32 v11, v9, v11
	s_waitcnt vmcnt(0)
	v_fma_f32 v9, v9, v12, -v137
	v_fmac_f32_e32 v11, v10, v12
	v_add_f32_e32 v8, v8, v9
	v_add_f32_e32 v2, v2, v11
	s_andn2_b32 exec_lo, exec_lo, s5
	s_cbranch_execnz .LBB61_253
; %bb.254:
	s_or_b32 exec_lo, exec_lo, s5
	v_mov_b32_e32 v5, 0
	ds_read_b64 v[5:6], v5 offset:480
	s_waitcnt lgkmcnt(0)
	v_mul_f32_e32 v7, v2, v6
	v_mul_f32_e32 v6, v8, v6
	v_fma_f32 v7, v8, v5, -v7
	v_fmac_f32_e32 v6, v2, v5
	buffer_store_dword v7, off, s[0:3], 0 offset:480
	buffer_store_dword v6, off, s[0:3], 0 offset:484
.LBB61_255:
	s_or_b32 exec_lo, exec_lo, s4
	s_waitcnt_vscnt null, 0x0
	s_barrier
	buffer_gl0_inv
	s_clause 0x1
	buffer_load_dword v5, off, s[0:3], 0 offset:488
	buffer_load_dword v6, off, s[0:3], 0 offset:492
	s_mov_b32 s4, exec_lo
	s_waitcnt vmcnt(0)
	ds_write_b64 v4, v[5:6]
	s_waitcnt lgkmcnt(0)
	s_barrier
	buffer_gl0_inv
	v_cmpx_ne_u32_e32 61, v0
	s_cbranch_execz .LBB61_259
; %bb.256:
	v_mov_b32_e32 v2, 0
	v_mov_b32_e32 v5, 0
	s_mov_b32 s5, 0
	.p2align	6
.LBB61_257:                             ; =>This Inner Loop Header: Depth=1
	s_clause 0x1
	buffer_load_dword v8, v3, s[0:3], 0 offen offset:4
	buffer_load_dword v9, v3, s[0:3], 0 offen
	ds_read_b64 v[6:7], v4
	v_add_nc_u32_e32 v1, 1, v1
	v_add_nc_u32_e32 v4, 8, v4
	;; [unrolled: 1-line block ×3, first 2 shown]
	v_cmp_lt_u32_e32 vcc_lo, 59, v1
	s_or_b32 s5, vcc_lo, s5
	s_waitcnt vmcnt(1) lgkmcnt(0)
	v_mul_f32_e32 v10, v7, v8
	v_mul_f32_e32 v8, v6, v8
	s_waitcnt vmcnt(0)
	v_fma_f32 v6, v6, v9, -v10
	v_fmac_f32_e32 v8, v7, v9
	v_add_f32_e32 v5, v5, v6
	v_add_f32_e32 v2, v2, v8
	s_andn2_b32 exec_lo, exec_lo, s5
	s_cbranch_execnz .LBB61_257
; %bb.258:
	s_or_b32 exec_lo, exec_lo, s5
	v_mov_b32_e32 v1, 0
	ds_read_b64 v[3:4], v1 offset:488
	s_waitcnt lgkmcnt(0)
	v_mul_f32_e32 v1, v2, v4
	v_mul_f32_e32 v4, v5, v4
	v_fma_f32 v1, v5, v3, -v1
	v_fmac_f32_e32 v4, v2, v3
	buffer_store_dword v1, off, s[0:3], 0 offset:488
	buffer_store_dword v4, off, s[0:3], 0 offset:492
.LBB61_259:
	s_or_b32 exec_lo, exec_lo, s4
	s_mov_b32 s5, -1
	s_waitcnt_vscnt null, 0x0
	s_barrier
	buffer_gl0_inv
.LBB61_260:
	s_and_b32 vcc_lo, exec_lo, s5
	s_cbranch_vccz .LBB61_262
; %bb.261:
	s_lshl_b64 s[4:5], s[6:7], 2
	v_mov_b32_e32 v1, 0
	s_add_u32 s4, s10, s4
	s_addc_u32 s5, s11, s5
	global_load_dword v1, v1, s[4:5]
	s_waitcnt vmcnt(0)
	v_cmp_ne_u32_e32 vcc_lo, 0, v1
	s_cbranch_vccz .LBB61_263
.LBB61_262:
	s_endpgm
.LBB61_263:
	v_lshl_add_u32 v137, v0, 3, 0x1f0
	s_mov_b32 s4, exec_lo
	v_cmpx_eq_u32_e32 61, v0
	s_cbranch_execz .LBB61_265
; %bb.264:
	s_clause 0x1
	buffer_load_dword v1, off, s[0:3], 0 offset:480
	buffer_load_dword v2, off, s[0:3], 0 offset:484
	v_mov_b32_e32 v3, 0
	buffer_store_dword v3, off, s[0:3], 0 offset:480
	buffer_store_dword v3, off, s[0:3], 0 offset:484
	s_waitcnt vmcnt(0)
	ds_write_b64 v137, v[1:2]
.LBB61_265:
	s_or_b32 exec_lo, exec_lo, s4
	s_waitcnt lgkmcnt(0)
	s_waitcnt_vscnt null, 0x0
	s_barrier
	buffer_gl0_inv
	s_clause 0x3
	buffer_load_dword v4, off, s[0:3], 0 offset:492
	buffer_load_dword v5, off, s[0:3], 0 offset:488
	;; [unrolled: 1-line block ×4, first 2 shown]
	v_mov_b32_e32 v1, 0
	s_mov_b32 s4, exec_lo
	ds_read_b64 v[2:3], v1 offset:984
	s_waitcnt vmcnt(3) lgkmcnt(0)
	v_mul_f32_e32 v8, v3, v4
	v_mul_f32_e32 v4, v2, v4
	s_waitcnt vmcnt(2)
	v_fma_f32 v2, v2, v5, -v8
	v_fmac_f32_e32 v4, v3, v5
	v_add_f32_e32 v2, 0, v2
	v_add_f32_e32 v3, 0, v4
	s_waitcnt vmcnt(1)
	v_sub_f32_e32 v2, v6, v2
	s_waitcnt vmcnt(0)
	v_sub_f32_e32 v3, v7, v3
	buffer_store_dword v2, off, s[0:3], 0 offset:480
	buffer_store_dword v3, off, s[0:3], 0 offset:484
	v_cmpx_lt_u32_e32 59, v0
	s_cbranch_execz .LBB61_267
; %bb.266:
	s_clause 0x1
	buffer_load_dword v2, off, s[0:3], 0 offset:472
	buffer_load_dword v3, off, s[0:3], 0 offset:476
	buffer_store_dword v1, off, s[0:3], 0 offset:472
	buffer_store_dword v1, off, s[0:3], 0 offset:476
	s_waitcnt vmcnt(0)
	ds_write_b64 v137, v[2:3]
.LBB61_267:
	s_or_b32 exec_lo, exec_lo, s4
	s_waitcnt lgkmcnt(0)
	s_waitcnt_vscnt null, 0x0
	s_barrier
	buffer_gl0_inv
	s_clause 0x5
	buffer_load_dword v5, off, s[0:3], 0 offset:484
	buffer_load_dword v6, off, s[0:3], 0 offset:492
	;; [unrolled: 1-line block ×6, first 2 shown]
	ds_read_b128 v[1:4], v1 offset:976
	s_mov_b32 s4, exec_lo
	s_waitcnt vmcnt(5) lgkmcnt(0)
	v_mul_f32_e32 v11, v2, v5
	v_mul_f32_e32 v5, v1, v5
	s_waitcnt vmcnt(4)
	v_mul_f32_e32 v12, v3, v6
	v_mul_f32_e32 v6, v4, v6
	s_waitcnt vmcnt(3)
	v_fma_f32 v1, v1, v7, -v11
	v_fmac_f32_e32 v5, v2, v7
	s_waitcnt vmcnt(2)
	v_fmac_f32_e32 v12, v4, v8
	v_fma_f32 v2, v3, v8, -v6
	v_add_f32_e32 v1, 0, v1
	v_add_f32_e32 v3, 0, v5
	;; [unrolled: 1-line block ×4, first 2 shown]
	s_waitcnt vmcnt(1)
	v_sub_f32_e32 v1, v9, v1
	s_waitcnt vmcnt(0)
	v_sub_f32_e32 v2, v10, v2
	buffer_store_dword v1, off, s[0:3], 0 offset:472
	buffer_store_dword v2, off, s[0:3], 0 offset:476
	v_cmpx_lt_u32_e32 58, v0
	s_cbranch_execz .LBB61_269
; %bb.268:
	s_clause 0x1
	buffer_load_dword v1, off, s[0:3], 0 offset:464
	buffer_load_dword v2, off, s[0:3], 0 offset:468
	v_mov_b32_e32 v3, 0
	buffer_store_dword v3, off, s[0:3], 0 offset:464
	buffer_store_dword v3, off, s[0:3], 0 offset:468
	s_waitcnt vmcnt(0)
	ds_write_b64 v137, v[1:2]
.LBB61_269:
	s_or_b32 exec_lo, exec_lo, s4
	s_waitcnt lgkmcnt(0)
	s_waitcnt_vscnt null, 0x0
	s_barrier
	buffer_gl0_inv
	s_clause 0x7
	buffer_load_dword v8, off, s[0:3], 0 offset:476
	buffer_load_dword v9, off, s[0:3], 0 offset:484
	buffer_load_dword v10, off, s[0:3], 0 offset:492
	buffer_load_dword v11, off, s[0:3], 0 offset:472
	buffer_load_dword v12, off, s[0:3], 0 offset:480
	buffer_load_dword v138, off, s[0:3], 0 offset:488
	buffer_load_dword v139, off, s[0:3], 0 offset:464
	buffer_load_dword v140, off, s[0:3], 0 offset:468
	v_mov_b32_e32 v1, 0
	ds_read2_b64 v[2:5], v1 offset0:121 offset1:122
	ds_read_b64 v[6:7], v1 offset:984
	s_mov_b32 s4, exec_lo
	s_waitcnt vmcnt(7) lgkmcnt(1)
	v_mul_f32_e32 v141, v3, v8
	v_mul_f32_e32 v8, v2, v8
	s_waitcnt vmcnt(6)
	v_mul_f32_e32 v142, v4, v9
	v_mul_f32_e32 v9, v5, v9
	s_waitcnt vmcnt(5) lgkmcnt(0)
	v_mul_f32_e32 v143, v6, v10
	s_waitcnt vmcnt(4)
	v_fma_f32 v2, v2, v11, -v141
	v_fmac_f32_e32 v8, v3, v11
	v_mul_f32_e32 v3, v7, v10
	s_waitcnt vmcnt(3)
	v_fma_f32 v4, v4, v12, -v9
	v_fmac_f32_e32 v142, v5, v12
	v_add_f32_e32 v2, 0, v2
	v_add_f32_e32 v5, 0, v8
	s_waitcnt vmcnt(2)
	v_fma_f32 v3, v6, v138, -v3
	v_fmac_f32_e32 v143, v7, v138
	v_add_f32_e32 v2, v2, v4
	v_add_f32_e32 v4, v5, v142
	;; [unrolled: 1-line block ×4, first 2 shown]
	s_waitcnt vmcnt(1)
	v_sub_f32_e32 v2, v139, v2
	s_waitcnt vmcnt(0)
	v_sub_f32_e32 v3, v140, v3
	buffer_store_dword v2, off, s[0:3], 0 offset:464
	buffer_store_dword v3, off, s[0:3], 0 offset:468
	v_cmpx_lt_u32_e32 57, v0
	s_cbranch_execz .LBB61_271
; %bb.270:
	s_clause 0x1
	buffer_load_dword v2, off, s[0:3], 0 offset:456
	buffer_load_dword v3, off, s[0:3], 0 offset:460
	buffer_store_dword v1, off, s[0:3], 0 offset:456
	buffer_store_dword v1, off, s[0:3], 0 offset:460
	s_waitcnt vmcnt(0)
	ds_write_b64 v137, v[2:3]
.LBB61_271:
	s_or_b32 exec_lo, exec_lo, s4
	s_waitcnt lgkmcnt(0)
	s_waitcnt_vscnt null, 0x0
	s_barrier
	buffer_gl0_inv
	s_clause 0x9
	buffer_load_dword v10, off, s[0:3], 0 offset:468
	buffer_load_dword v11, off, s[0:3], 0 offset:476
	;; [unrolled: 1-line block ×10, first 2 shown]
	ds_read_b128 v[2:5], v1 offset:960
	ds_read_b128 v[6:9], v1 offset:976
	s_mov_b32 s4, exec_lo
	s_waitcnt vmcnt(9) lgkmcnt(1)
	v_mul_f32_e32 v1, v2, v10
	v_mul_f32_e32 v10, v3, v10
	s_waitcnt vmcnt(8)
	v_mul_f32_e32 v145, v4, v11
	v_mul_f32_e32 v11, v5, v11
	s_waitcnt vmcnt(7) lgkmcnt(0)
	v_mul_f32_e32 v146, v6, v12
	s_waitcnt vmcnt(5)
	v_fmac_f32_e32 v1, v3, v139
	v_fma_f32 v2, v2, v139, -v10
	v_mul_f32_e32 v3, v7, v12
	s_waitcnt vmcnt(4)
	v_fma_f32 v4, v4, v140, -v11
	v_fmac_f32_e32 v145, v5, v140
	v_add_f32_e32 v1, 0, v1
	v_add_f32_e32 v2, 0, v2
	v_mul_f32_e32 v5, v9, v138
	s_waitcnt vmcnt(3)
	v_fma_f32 v3, v6, v141, -v3
	v_mul_f32_e32 v147, v8, v138
	v_fmac_f32_e32 v146, v7, v141
	v_add_f32_e32 v2, v2, v4
	v_add_f32_e32 v1, v1, v145
	s_waitcnt vmcnt(2)
	v_fma_f32 v4, v8, v142, -v5
	v_fmac_f32_e32 v147, v9, v142
	v_add_f32_e32 v2, v2, v3
	v_add_f32_e32 v1, v1, v146
	;; [unrolled: 1-line block ×4, first 2 shown]
	s_waitcnt vmcnt(1)
	v_sub_f32_e32 v2, v143, v2
	s_waitcnt vmcnt(0)
	v_sub_f32_e32 v1, v144, v1
	buffer_store_dword v2, off, s[0:3], 0 offset:456
	buffer_store_dword v1, off, s[0:3], 0 offset:460
	v_cmpx_lt_u32_e32 56, v0
	s_cbranch_execz .LBB61_273
; %bb.272:
	s_clause 0x1
	buffer_load_dword v1, off, s[0:3], 0 offset:448
	buffer_load_dword v2, off, s[0:3], 0 offset:452
	v_mov_b32_e32 v3, 0
	buffer_store_dword v3, off, s[0:3], 0 offset:448
	buffer_store_dword v3, off, s[0:3], 0 offset:452
	s_waitcnt vmcnt(0)
	ds_write_b64 v137, v[1:2]
.LBB61_273:
	s_or_b32 exec_lo, exec_lo, s4
	s_waitcnt lgkmcnt(0)
	s_waitcnt_vscnt null, 0x0
	s_barrier
	buffer_gl0_inv
	s_clause 0xb
	buffer_load_dword v12, off, s[0:3], 0 offset:460
	buffer_load_dword v138, off, s[0:3], 0 offset:468
	;; [unrolled: 1-line block ×12, first 2 shown]
	v_mov_b32_e32 v1, 0
	ds_read2_b64 v[2:5], v1 offset0:119 offset1:120
	ds_read2_b64 v[6:9], v1 offset0:121 offset1:122
	ds_read_b64 v[10:11], v1 offset:984
	s_mov_b32 s4, exec_lo
	s_waitcnt vmcnt(11) lgkmcnt(2)
	v_mul_f32_e32 v149, v2, v12
	v_mul_f32_e32 v12, v3, v12
	s_waitcnt vmcnt(10)
	v_mul_f32_e32 v150, v4, v138
	v_mul_f32_e32 v138, v5, v138
	s_waitcnt vmcnt(9) lgkmcnt(1)
	v_mul_f32_e32 v151, v6, v139
	s_waitcnt vmcnt(6)
	v_fmac_f32_e32 v149, v3, v142
	v_fma_f32 v2, v2, v142, -v12
	v_mul_f32_e32 v3, v7, v139
	s_waitcnt vmcnt(5)
	v_fma_f32 v4, v4, v143, -v138
	v_fmac_f32_e32 v150, v5, v143
	v_add_f32_e32 v5, 0, v149
	v_add_f32_e32 v2, 0, v2
	v_mul_f32_e32 v12, v9, v140
	s_waitcnt vmcnt(4)
	v_fma_f32 v3, v6, v144, -v3
	v_mul_f32_e32 v152, v8, v140
	v_fmac_f32_e32 v151, v7, v144
	v_add_f32_e32 v2, v2, v4
	v_add_f32_e32 v4, v5, v150
	s_waitcnt lgkmcnt(0)
	v_mul_f32_e32 v5, v11, v141
	s_waitcnt vmcnt(3)
	v_fma_f32 v6, v8, v145, -v12
	v_mul_f32_e32 v153, v10, v141
	v_add_f32_e32 v2, v2, v3
	v_fmac_f32_e32 v152, v9, v145
	v_add_f32_e32 v3, v4, v151
	s_waitcnt vmcnt(2)
	v_fma_f32 v4, v10, v146, -v5
	v_fmac_f32_e32 v153, v11, v146
	v_add_f32_e32 v2, v2, v6
	v_add_f32_e32 v3, v3, v152
	;; [unrolled: 1-line block ×4, first 2 shown]
	s_waitcnt vmcnt(1)
	v_sub_f32_e32 v2, v147, v2
	s_waitcnt vmcnt(0)
	v_sub_f32_e32 v3, v148, v3
	buffer_store_dword v2, off, s[0:3], 0 offset:448
	buffer_store_dword v3, off, s[0:3], 0 offset:452
	v_cmpx_lt_u32_e32 55, v0
	s_cbranch_execz .LBB61_275
; %bb.274:
	s_clause 0x1
	buffer_load_dword v2, off, s[0:3], 0 offset:440
	buffer_load_dword v3, off, s[0:3], 0 offset:444
	buffer_store_dword v1, off, s[0:3], 0 offset:440
	buffer_store_dword v1, off, s[0:3], 0 offset:444
	s_waitcnt vmcnt(0)
	ds_write_b64 v137, v[2:3]
.LBB61_275:
	s_or_b32 exec_lo, exec_lo, s4
	s_waitcnt lgkmcnt(0)
	s_waitcnt_vscnt null, 0x0
	s_barrier
	buffer_gl0_inv
	s_clause 0xd
	buffer_load_dword v10, off, s[0:3], 0 offset:452
	buffer_load_dword v11, off, s[0:3], 0 offset:460
	;; [unrolled: 1-line block ×14, first 2 shown]
	ds_read_b128 v[2:5], v1 offset:944
	ds_read_b128 v[6:9], v1 offset:960
	;; [unrolled: 1-line block ×3, first 2 shown]
	s_mov_b32 s4, exec_lo
	s_waitcnt vmcnt(13) lgkmcnt(2)
	v_mul_f32_e32 v1, v2, v10
	v_mul_f32_e32 v10, v3, v10
	s_waitcnt vmcnt(12)
	v_mul_f32_e32 v153, v4, v11
	v_mul_f32_e32 v11, v5, v11
	s_waitcnt vmcnt(11) lgkmcnt(1)
	v_mul_f32_e32 v154, v6, v12
	s_waitcnt vmcnt(10)
	v_mul_f32_e32 v155, v8, v142
	s_waitcnt vmcnt(7)
	v_fma_f32 v2, v2, v145, -v10
	v_fmac_f32_e32 v1, v3, v145
	v_mul_f32_e32 v3, v7, v12
	s_waitcnt vmcnt(6)
	v_fma_f32 v4, v4, v146, -v11
	v_fmac_f32_e32 v153, v5, v146
	v_add_f32_e32 v2, 0, v2
	v_add_f32_e32 v1, 0, v1
	v_mul_f32_e32 v5, v9, v142
	s_waitcnt vmcnt(5)
	v_fma_f32 v3, v6, v147, -v3
	v_fmac_f32_e32 v154, v7, v147
	v_add_f32_e32 v2, v2, v4
	v_add_f32_e32 v1, v1, v153
	s_waitcnt lgkmcnt(0)
	v_mul_f32_e32 v4, v139, v143
	s_waitcnt vmcnt(4)
	v_fma_f32 v5, v8, v148, -v5
	v_mul_f32_e32 v156, v138, v143
	v_add_f32_e32 v2, v2, v3
	v_fmac_f32_e32 v155, v9, v148
	v_add_f32_e32 v1, v1, v154
	v_mul_f32_e32 v3, v141, v144
	s_waitcnt vmcnt(3)
	v_fma_f32 v4, v138, v149, -v4
	v_add_f32_e32 v2, v2, v5
	v_mul_f32_e32 v157, v140, v144
	v_fmac_f32_e32 v156, v139, v149
	v_add_f32_e32 v1, v1, v155
	s_waitcnt vmcnt(2)
	v_fma_f32 v3, v140, v150, -v3
	v_add_f32_e32 v2, v2, v4
	v_fmac_f32_e32 v157, v141, v150
	v_add_f32_e32 v1, v1, v156
	v_add_f32_e32 v2, v2, v3
	;; [unrolled: 1-line block ×3, first 2 shown]
	s_waitcnt vmcnt(1)
	v_sub_f32_e32 v2, v151, v2
	s_waitcnt vmcnt(0)
	v_sub_f32_e32 v1, v152, v1
	buffer_store_dword v2, off, s[0:3], 0 offset:440
	buffer_store_dword v1, off, s[0:3], 0 offset:444
	v_cmpx_lt_u32_e32 54, v0
	s_cbranch_execz .LBB61_277
; %bb.276:
	s_clause 0x1
	buffer_load_dword v1, off, s[0:3], 0 offset:432
	buffer_load_dword v2, off, s[0:3], 0 offset:436
	v_mov_b32_e32 v3, 0
	buffer_store_dword v3, off, s[0:3], 0 offset:432
	buffer_store_dword v3, off, s[0:3], 0 offset:436
	s_waitcnt vmcnt(0)
	ds_write_b64 v137, v[1:2]
.LBB61_277:
	s_or_b32 exec_lo, exec_lo, s4
	s_waitcnt lgkmcnt(0)
	s_waitcnt_vscnt null, 0x0
	s_barrier
	buffer_gl0_inv
	s_clause 0xf
	buffer_load_dword v12, off, s[0:3], 0 offset:444
	buffer_load_dword v142, off, s[0:3], 0 offset:452
	;; [unrolled: 1-line block ×16, first 2 shown]
	v_mov_b32_e32 v1, 0
	ds_read2_b64 v[2:5], v1 offset0:117 offset1:118
	ds_read2_b64 v[6:9], v1 offset0:119 offset1:120
	;; [unrolled: 1-line block ×3, first 2 shown]
	ds_read_b64 v[10:11], v1 offset:984
	s_mov_b32 s4, exec_lo
	s_waitcnt vmcnt(15) lgkmcnt(3)
	v_mul_f32_e32 v157, v2, v12
	v_mul_f32_e32 v12, v3, v12
	s_waitcnt vmcnt(14)
	v_mul_f32_e32 v158, v4, v142
	v_mul_f32_e32 v142, v5, v142
	s_waitcnt vmcnt(13) lgkmcnt(2)
	v_mul_f32_e32 v159, v6, v143
	s_waitcnt vmcnt(12)
	v_mul_f32_e32 v160, v8, v144
	s_waitcnt vmcnt(11) lgkmcnt(1)
	v_mul_f32_e32 v161, v138, v145
	s_waitcnt vmcnt(8)
	v_fma_f32 v2, v2, v148, -v12
	v_fmac_f32_e32 v157, v3, v148
	v_mul_f32_e32 v3, v7, v143
	s_waitcnt vmcnt(7)
	v_fma_f32 v4, v4, v149, -v142
	v_fmac_f32_e32 v158, v5, v149
	v_add_f32_e32 v2, 0, v2
	v_add_f32_e32 v5, 0, v157
	v_mul_f32_e32 v12, v9, v144
	s_waitcnt vmcnt(6)
	v_fma_f32 v3, v6, v150, -v3
	v_fmac_f32_e32 v159, v7, v150
	v_add_f32_e32 v2, v2, v4
	v_add_f32_e32 v4, v5, v158
	;; [unrolled: 6-line block ×3, first 2 shown]
	v_mul_f32_e32 v4, v141, v146
	s_waitcnt vmcnt(4)
	v_fma_f32 v5, v138, v152, -v5
	v_mul_f32_e32 v162, v140, v146
	v_add_f32_e32 v2, v2, v6
	v_fmac_f32_e32 v161, v139, v152
	v_add_f32_e32 v3, v3, v160
	s_waitcnt lgkmcnt(0)
	v_mul_f32_e32 v6, v11, v147
	s_waitcnt vmcnt(3)
	v_fma_f32 v4, v140, v153, -v4
	v_add_f32_e32 v2, v2, v5
	v_mul_f32_e32 v163, v10, v147
	v_fmac_f32_e32 v162, v141, v153
	v_add_f32_e32 v3, v3, v161
	s_waitcnt vmcnt(2)
	v_fma_f32 v5, v10, v154, -v6
	v_add_f32_e32 v2, v2, v4
	v_fmac_f32_e32 v163, v11, v154
	v_add_f32_e32 v3, v3, v162
	v_add_f32_e32 v2, v2, v5
	;; [unrolled: 1-line block ×3, first 2 shown]
	s_waitcnt vmcnt(1)
	v_sub_f32_e32 v2, v155, v2
	s_waitcnt vmcnt(0)
	v_sub_f32_e32 v3, v156, v3
	buffer_store_dword v2, off, s[0:3], 0 offset:432
	buffer_store_dword v3, off, s[0:3], 0 offset:436
	v_cmpx_lt_u32_e32 53, v0
	s_cbranch_execz .LBB61_279
; %bb.278:
	s_clause 0x1
	buffer_load_dword v2, off, s[0:3], 0 offset:424
	buffer_load_dword v3, off, s[0:3], 0 offset:428
	buffer_store_dword v1, off, s[0:3], 0 offset:424
	buffer_store_dword v1, off, s[0:3], 0 offset:428
	s_waitcnt vmcnt(0)
	ds_write_b64 v137, v[2:3]
.LBB61_279:
	s_or_b32 exec_lo, exec_lo, s4
	s_waitcnt lgkmcnt(0)
	s_waitcnt_vscnt null, 0x0
	s_barrier
	buffer_gl0_inv
	s_clause 0x11
	buffer_load_dword v10, off, s[0:3], 0 offset:436
	buffer_load_dword v11, off, s[0:3], 0 offset:444
	;; [unrolled: 1-line block ×18, first 2 shown]
	ds_read_b128 v[2:5], v1 offset:928
	ds_read_b128 v[6:9], v1 offset:944
	;; [unrolled: 1-line block ×4, first 2 shown]
	s_mov_b32 s4, exec_lo
	s_waitcnt vmcnt(17) lgkmcnt(3)
	v_mul_f32_e32 v1, v2, v10
	v_mul_f32_e32 v10, v3, v10
	s_waitcnt vmcnt(16)
	v_mul_f32_e32 v161, v4, v11
	v_mul_f32_e32 v11, v5, v11
	s_waitcnt vmcnt(15) lgkmcnt(2)
	v_mul_f32_e32 v162, v6, v12
	s_waitcnt vmcnt(14)
	v_mul_f32_e32 v163, v8, v146
	s_waitcnt vmcnt(13) lgkmcnt(1)
	v_mul_f32_e32 v164, v138, v147
	s_waitcnt vmcnt(12)
	v_mul_f32_e32 v165, v140, v148
	s_waitcnt vmcnt(9)
	v_fma_f32 v2, v2, v151, -v10
	v_fmac_f32_e32 v1, v3, v151
	v_mul_f32_e32 v3, v7, v12
	s_waitcnt vmcnt(8)
	v_fma_f32 v4, v4, v152, -v11
	v_fmac_f32_e32 v161, v5, v152
	v_add_f32_e32 v2, 0, v2
	v_add_f32_e32 v1, 0, v1
	v_mul_f32_e32 v5, v9, v146
	s_waitcnt vmcnt(7)
	v_fma_f32 v3, v6, v153, -v3
	v_fmac_f32_e32 v162, v7, v153
	v_add_f32_e32 v2, v2, v4
	v_add_f32_e32 v1, v1, v161
	;; [unrolled: 6-line block ×4, first 2 shown]
	s_waitcnt lgkmcnt(0)
	v_mul_f32_e32 v5, v143, v149
	s_waitcnt vmcnt(4)
	v_fma_f32 v3, v140, v156, -v3
	v_mul_f32_e32 v166, v142, v149
	v_add_f32_e32 v2, v2, v4
	v_fmac_f32_e32 v165, v141, v156
	v_add_f32_e32 v1, v1, v164
	v_mul_f32_e32 v4, v145, v150
	s_waitcnt vmcnt(3)
	v_fma_f32 v5, v142, v157, -v5
	v_add_f32_e32 v2, v2, v3
	v_mul_f32_e32 v167, v144, v150
	v_fmac_f32_e32 v166, v143, v157
	v_add_f32_e32 v1, v1, v165
	s_waitcnt vmcnt(2)
	v_fma_f32 v3, v144, v158, -v4
	v_add_f32_e32 v2, v2, v5
	v_fmac_f32_e32 v167, v145, v158
	v_add_f32_e32 v1, v1, v166
	v_add_f32_e32 v2, v2, v3
	;; [unrolled: 1-line block ×3, first 2 shown]
	s_waitcnt vmcnt(1)
	v_sub_f32_e32 v2, v159, v2
	s_waitcnt vmcnt(0)
	v_sub_f32_e32 v1, v160, v1
	buffer_store_dword v2, off, s[0:3], 0 offset:424
	buffer_store_dword v1, off, s[0:3], 0 offset:428
	v_cmpx_lt_u32_e32 52, v0
	s_cbranch_execz .LBB61_281
; %bb.280:
	s_clause 0x1
	buffer_load_dword v1, off, s[0:3], 0 offset:416
	buffer_load_dword v2, off, s[0:3], 0 offset:420
	v_mov_b32_e32 v3, 0
	buffer_store_dword v3, off, s[0:3], 0 offset:416
	buffer_store_dword v3, off, s[0:3], 0 offset:420
	s_waitcnt vmcnt(0)
	ds_write_b64 v137, v[1:2]
.LBB61_281:
	s_or_b32 exec_lo, exec_lo, s4
	s_waitcnt lgkmcnt(0)
	s_waitcnt_vscnt null, 0x0
	s_barrier
	buffer_gl0_inv
	s_clause 0x13
	buffer_load_dword v12, off, s[0:3], 0 offset:428
	buffer_load_dword v146, off, s[0:3], 0 offset:436
	;; [unrolled: 1-line block ×20, first 2 shown]
	v_mov_b32_e32 v1, 0
	ds_read2_b64 v[2:5], v1 offset0:115 offset1:116
	ds_read2_b64 v[6:9], v1 offset0:117 offset1:118
	;; [unrolled: 1-line block ×4, first 2 shown]
	ds_read_b64 v[10:11], v1 offset:984
	s_mov_b32 s4, exec_lo
	s_waitcnt vmcnt(19) lgkmcnt(4)
	v_mul_f32_e32 v165, v2, v12
	v_mul_f32_e32 v12, v3, v12
	s_waitcnt vmcnt(18)
	v_mul_f32_e32 v166, v4, v146
	v_mul_f32_e32 v146, v5, v146
	s_waitcnt vmcnt(17) lgkmcnt(3)
	v_mul_f32_e32 v167, v6, v147
	s_waitcnt vmcnt(16)
	v_mul_f32_e32 v168, v8, v148
	s_waitcnt vmcnt(15) lgkmcnt(2)
	v_mul_f32_e32 v169, v138, v149
	s_waitcnt vmcnt(14)
	v_mul_f32_e32 v170, v140, v150
	s_waitcnt vmcnt(13) lgkmcnt(1)
	v_mul_f32_e32 v171, v142, v151
	s_waitcnt vmcnt(10)
	v_fma_f32 v2, v2, v154, -v12
	v_fmac_f32_e32 v165, v3, v154
	v_mul_f32_e32 v3, v7, v147
	s_waitcnt vmcnt(9)
	v_fma_f32 v4, v4, v155, -v146
	v_fmac_f32_e32 v166, v5, v155
	v_add_f32_e32 v2, 0, v2
	v_add_f32_e32 v5, 0, v165
	v_mul_f32_e32 v12, v9, v148
	s_waitcnt vmcnt(8)
	v_fma_f32 v3, v6, v156, -v3
	v_fmac_f32_e32 v167, v7, v156
	v_add_f32_e32 v2, v2, v4
	v_add_f32_e32 v4, v5, v166
	;; [unrolled: 6-line block ×5, first 2 shown]
	v_mul_f32_e32 v5, v145, v152
	s_waitcnt vmcnt(4)
	v_fma_f32 v6, v142, v160, -v6
	v_mul_f32_e32 v172, v144, v152
	v_add_f32_e32 v2, v2, v4
	v_fmac_f32_e32 v171, v143, v160
	v_add_f32_e32 v3, v3, v170
	s_waitcnt lgkmcnt(0)
	v_mul_f32_e32 v4, v11, v153
	s_waitcnt vmcnt(3)
	v_fma_f32 v5, v144, v161, -v5
	v_add_f32_e32 v2, v2, v6
	v_mul_f32_e32 v173, v10, v153
	v_fmac_f32_e32 v172, v145, v161
	v_add_f32_e32 v3, v3, v171
	s_waitcnt vmcnt(2)
	v_fma_f32 v4, v10, v162, -v4
	v_add_f32_e32 v2, v2, v5
	v_fmac_f32_e32 v173, v11, v162
	v_add_f32_e32 v3, v3, v172
	v_add_f32_e32 v2, v2, v4
	v_add_f32_e32 v3, v3, v173
	s_waitcnt vmcnt(1)
	v_sub_f32_e32 v2, v163, v2
	s_waitcnt vmcnt(0)
	v_sub_f32_e32 v3, v164, v3
	buffer_store_dword v2, off, s[0:3], 0 offset:416
	buffer_store_dword v3, off, s[0:3], 0 offset:420
	v_cmpx_lt_u32_e32 51, v0
	s_cbranch_execz .LBB61_283
; %bb.282:
	s_clause 0x1
	buffer_load_dword v2, off, s[0:3], 0 offset:408
	buffer_load_dword v3, off, s[0:3], 0 offset:412
	buffer_store_dword v1, off, s[0:3], 0 offset:408
	buffer_store_dword v1, off, s[0:3], 0 offset:412
	s_waitcnt vmcnt(0)
	ds_write_b64 v137, v[2:3]
.LBB61_283:
	s_or_b32 exec_lo, exec_lo, s4
	s_waitcnt lgkmcnt(0)
	s_waitcnt_vscnt null, 0x0
	s_barrier
	buffer_gl0_inv
	s_clause 0x15
	buffer_load_dword v10, off, s[0:3], 0 offset:420
	buffer_load_dword v11, off, s[0:3], 0 offset:428
	;; [unrolled: 1-line block ×22, first 2 shown]
	ds_read_b128 v[2:5], v1 offset:912
	ds_read_b128 v[6:9], v1 offset:928
	;; [unrolled: 1-line block ×5, first 2 shown]
	s_mov_b32 s4, exec_lo
	s_waitcnt vmcnt(21) lgkmcnt(4)
	v_mul_f32_e32 v1, v2, v10
	v_mul_f32_e32 v10, v3, v10
	s_waitcnt vmcnt(20)
	v_mul_f32_e32 v169, v4, v11
	v_mul_f32_e32 v11, v5, v11
	s_waitcnt vmcnt(19) lgkmcnt(3)
	v_mul_f32_e32 v170, v6, v12
	s_waitcnt vmcnt(18)
	v_mul_f32_e32 v171, v8, v150
	s_waitcnt vmcnt(17) lgkmcnt(2)
	v_mul_f32_e32 v172, v138, v151
	s_waitcnt vmcnt(16)
	;; [unrolled: 4-line block ×3, first 2 shown]
	v_mul_f32_e32 v175, v144, v154
	s_waitcnt vmcnt(11)
	v_fma_f32 v2, v2, v157, -v10
	v_fmac_f32_e32 v1, v3, v157
	v_mul_f32_e32 v3, v7, v12
	s_waitcnt vmcnt(10)
	v_fma_f32 v4, v4, v158, -v11
	v_fmac_f32_e32 v169, v5, v158
	v_add_f32_e32 v2, 0, v2
	v_add_f32_e32 v1, 0, v1
	v_mul_f32_e32 v5, v9, v150
	s_waitcnt vmcnt(9)
	v_fma_f32 v3, v6, v159, -v3
	v_fmac_f32_e32 v170, v7, v159
	v_add_f32_e32 v2, v2, v4
	v_add_f32_e32 v1, v1, v169
	;; [unrolled: 6-line block ×6, first 2 shown]
	s_waitcnt lgkmcnt(0)
	v_mul_f32_e32 v3, v147, v155
	s_waitcnt vmcnt(4)
	v_fma_f32 v4, v144, v164, -v4
	v_mul_f32_e32 v176, v146, v155
	v_add_f32_e32 v2, v2, v5
	v_fmac_f32_e32 v175, v145, v164
	v_add_f32_e32 v1, v1, v174
	v_mul_f32_e32 v5, v149, v156
	s_waitcnt vmcnt(3)
	v_fma_f32 v3, v146, v165, -v3
	v_add_f32_e32 v2, v2, v4
	v_mul_f32_e32 v177, v148, v156
	v_fmac_f32_e32 v176, v147, v165
	v_add_f32_e32 v1, v1, v175
	s_waitcnt vmcnt(2)
	v_fma_f32 v4, v148, v166, -v5
	v_add_f32_e32 v2, v2, v3
	v_fmac_f32_e32 v177, v149, v166
	v_add_f32_e32 v1, v1, v176
	v_add_f32_e32 v2, v2, v4
	;; [unrolled: 1-line block ×3, first 2 shown]
	s_waitcnt vmcnt(1)
	v_sub_f32_e32 v2, v167, v2
	s_waitcnt vmcnt(0)
	v_sub_f32_e32 v1, v168, v1
	buffer_store_dword v2, off, s[0:3], 0 offset:408
	buffer_store_dword v1, off, s[0:3], 0 offset:412
	v_cmpx_lt_u32_e32 50, v0
	s_cbranch_execz .LBB61_285
; %bb.284:
	s_clause 0x1
	buffer_load_dword v1, off, s[0:3], 0 offset:400
	buffer_load_dword v2, off, s[0:3], 0 offset:404
	v_mov_b32_e32 v3, 0
	buffer_store_dword v3, off, s[0:3], 0 offset:400
	buffer_store_dword v3, off, s[0:3], 0 offset:404
	s_waitcnt vmcnt(0)
	ds_write_b64 v137, v[1:2]
.LBB61_285:
	s_or_b32 exec_lo, exec_lo, s4
	s_waitcnt lgkmcnt(0)
	s_waitcnt_vscnt null, 0x0
	s_barrier
	buffer_gl0_inv
	s_clause 0x17
	buffer_load_dword v12, off, s[0:3], 0 offset:412
	buffer_load_dword v150, off, s[0:3], 0 offset:420
	;; [unrolled: 1-line block ×24, first 2 shown]
	v_mov_b32_e32 v1, 0
	ds_read2_b64 v[2:5], v1 offset0:113 offset1:114
	ds_read2_b64 v[6:9], v1 offset0:115 offset1:116
	ds_read2_b64 v[138:141], v1 offset0:117 offset1:118
	ds_read2_b64 v[142:145], v1 offset0:119 offset1:120
	ds_read2_b64 v[146:149], v1 offset0:121 offset1:122
	ds_read_b64 v[10:11], v1 offset:984
	s_mov_b32 s4, exec_lo
	s_waitcnt vmcnt(23) lgkmcnt(5)
	v_mul_f32_e32 v173, v2, v12
	v_mul_f32_e32 v12, v3, v12
	s_waitcnt vmcnt(22)
	v_mul_f32_e32 v174, v4, v150
	v_mul_f32_e32 v150, v5, v150
	s_waitcnt vmcnt(21) lgkmcnt(4)
	v_mul_f32_e32 v175, v6, v151
	s_waitcnt vmcnt(20)
	v_mul_f32_e32 v176, v8, v152
	s_waitcnt vmcnt(19) lgkmcnt(3)
	v_mul_f32_e32 v177, v138, v153
	s_waitcnt vmcnt(18)
	;; [unrolled: 4-line block ×4, first 2 shown]
	v_fma_f32 v2, v2, v160, -v12
	v_fmac_f32_e32 v173, v3, v160
	v_mul_f32_e32 v3, v7, v151
	s_waitcnt vmcnt(11)
	v_fma_f32 v4, v4, v161, -v150
	v_fmac_f32_e32 v174, v5, v161
	v_add_f32_e32 v2, 0, v2
	v_add_f32_e32 v5, 0, v173
	v_mul_f32_e32 v12, v9, v152
	s_waitcnt vmcnt(10)
	v_fma_f32 v3, v6, v162, -v3
	v_fmac_f32_e32 v175, v7, v162
	v_add_f32_e32 v2, v2, v4
	v_add_f32_e32 v4, v5, v174
	v_mul_f32_e32 v5, v139, v153
	s_waitcnt vmcnt(9)
	v_fma_f32 v6, v8, v163, -v12
	v_fmac_f32_e32 v176, v9, v163
	v_add_f32_e32 v2, v2, v3
	v_add_f32_e32 v3, v4, v175
	v_mul_f32_e32 v4, v141, v154
	s_waitcnt vmcnt(8)
	v_fma_f32 v5, v138, v164, -v5
	v_fmac_f32_e32 v177, v139, v164
	v_add_f32_e32 v2, v2, v6
	v_add_f32_e32 v3, v3, v176
	v_mul_f32_e32 v6, v143, v155
	s_waitcnt vmcnt(7)
	v_fma_f32 v4, v140, v165, -v4
	v_fmac_f32_e32 v178, v141, v165
	v_add_f32_e32 v2, v2, v5
	v_add_f32_e32 v3, v3, v177
	v_mul_f32_e32 v5, v145, v156
	s_waitcnt vmcnt(6)
	v_fma_f32 v6, v142, v166, -v6
	v_fmac_f32_e32 v179, v143, v166
	v_add_f32_e32 v2, v2, v4
	v_add_f32_e32 v3, v3, v178
	v_mul_f32_e32 v4, v147, v157
	s_waitcnt vmcnt(5)
	v_fma_f32 v5, v144, v167, -v5
	v_fmac_f32_e32 v180, v145, v167
	v_add_f32_e32 v2, v2, v6
	v_add_f32_e32 v3, v3, v179
	v_mul_f32_e32 v6, v149, v158
	s_waitcnt vmcnt(4)
	v_fma_f32 v4, v146, v168, -v4
	v_mul_f32_e32 v182, v148, v158
	v_add_f32_e32 v2, v2, v5
	v_fmac_f32_e32 v181, v147, v168
	v_add_f32_e32 v3, v3, v180
	s_waitcnt lgkmcnt(0)
	v_mul_f32_e32 v5, v11, v159
	s_waitcnt vmcnt(3)
	v_fma_f32 v6, v148, v169, -v6
	v_add_f32_e32 v2, v2, v4
	v_mul_f32_e32 v183, v10, v159
	v_fmac_f32_e32 v182, v149, v169
	v_add_f32_e32 v3, v3, v181
	s_waitcnt vmcnt(2)
	v_fma_f32 v4, v10, v170, -v5
	v_add_f32_e32 v2, v2, v6
	v_fmac_f32_e32 v183, v11, v170
	v_add_f32_e32 v3, v3, v182
	v_add_f32_e32 v2, v2, v4
	v_add_f32_e32 v3, v3, v183
	s_waitcnt vmcnt(1)
	v_sub_f32_e32 v2, v171, v2
	s_waitcnt vmcnt(0)
	v_sub_f32_e32 v3, v172, v3
	buffer_store_dword v2, off, s[0:3], 0 offset:400
	buffer_store_dword v3, off, s[0:3], 0 offset:404
	v_cmpx_lt_u32_e32 49, v0
	s_cbranch_execz .LBB61_287
; %bb.286:
	s_clause 0x1
	buffer_load_dword v2, off, s[0:3], 0 offset:392
	buffer_load_dword v3, off, s[0:3], 0 offset:396
	buffer_store_dword v1, off, s[0:3], 0 offset:392
	buffer_store_dword v1, off, s[0:3], 0 offset:396
	s_waitcnt vmcnt(0)
	ds_write_b64 v137, v[2:3]
.LBB61_287:
	s_or_b32 exec_lo, exec_lo, s4
	s_waitcnt lgkmcnt(0)
	s_waitcnt_vscnt null, 0x0
	s_barrier
	buffer_gl0_inv
	s_clause 0x19
	buffer_load_dword v10, off, s[0:3], 0 offset:404
	buffer_load_dword v11, off, s[0:3], 0 offset:412
	buffer_load_dword v12, off, s[0:3], 0 offset:420
	buffer_load_dword v154, off, s[0:3], 0 offset:428
	buffer_load_dword v155, off, s[0:3], 0 offset:436
	buffer_load_dword v156, off, s[0:3], 0 offset:444
	buffer_load_dword v157, off, s[0:3], 0 offset:452
	buffer_load_dword v158, off, s[0:3], 0 offset:460
	buffer_load_dword v159, off, s[0:3], 0 offset:468
	buffer_load_dword v160, off, s[0:3], 0 offset:476
	buffer_load_dword v161, off, s[0:3], 0 offset:484
	buffer_load_dword v162, off, s[0:3], 0 offset:492
	buffer_load_dword v163, off, s[0:3], 0 offset:400
	buffer_load_dword v164, off, s[0:3], 0 offset:408
	buffer_load_dword v165, off, s[0:3], 0 offset:416
	buffer_load_dword v166, off, s[0:3], 0 offset:424
	buffer_load_dword v167, off, s[0:3], 0 offset:432
	buffer_load_dword v168, off, s[0:3], 0 offset:440
	buffer_load_dword v169, off, s[0:3], 0 offset:448
	buffer_load_dword v170, off, s[0:3], 0 offset:456
	buffer_load_dword v171, off, s[0:3], 0 offset:464
	buffer_load_dword v172, off, s[0:3], 0 offset:472
	buffer_load_dword v173, off, s[0:3], 0 offset:480
	buffer_load_dword v174, off, s[0:3], 0 offset:488
	buffer_load_dword v175, off, s[0:3], 0 offset:392
	buffer_load_dword v176, off, s[0:3], 0 offset:396
	ds_read_b128 v[2:5], v1 offset:896
	ds_read_b128 v[6:9], v1 offset:912
	;; [unrolled: 1-line block ×6, first 2 shown]
	s_mov_b32 s4, exec_lo
	s_waitcnt vmcnt(25) lgkmcnt(5)
	v_mul_f32_e32 v1, v2, v10
	v_mul_f32_e32 v10, v3, v10
	s_waitcnt vmcnt(24)
	v_mul_f32_e32 v177, v4, v11
	v_mul_f32_e32 v11, v5, v11
	s_waitcnt vmcnt(23) lgkmcnt(4)
	v_mul_f32_e32 v178, v6, v12
	s_waitcnt vmcnt(22)
	v_mul_f32_e32 v179, v8, v154
	s_waitcnt vmcnt(21) lgkmcnt(3)
	v_mul_f32_e32 v180, v138, v155
	s_waitcnt vmcnt(20)
	;; [unrolled: 4-line block ×4, first 2 shown]
	v_mul_f32_e32 v185, v148, v160
	s_waitcnt vmcnt(13)
	v_fma_f32 v2, v2, v163, -v10
	v_fmac_f32_e32 v1, v3, v163
	v_mul_f32_e32 v3, v7, v12
	s_waitcnt vmcnt(12)
	v_fma_f32 v4, v4, v164, -v11
	v_fmac_f32_e32 v177, v5, v164
	v_add_f32_e32 v2, 0, v2
	v_add_f32_e32 v1, 0, v1
	v_mul_f32_e32 v5, v9, v154
	s_waitcnt vmcnt(11)
	v_fma_f32 v3, v6, v165, -v3
	v_fmac_f32_e32 v178, v7, v165
	v_add_f32_e32 v2, v2, v4
	v_add_f32_e32 v1, v1, v177
	;; [unrolled: 6-line block ×8, first 2 shown]
	s_waitcnt lgkmcnt(0)
	v_mul_f32_e32 v4, v151, v161
	s_waitcnt vmcnt(4)
	v_fma_f32 v5, v148, v172, -v5
	v_mul_f32_e32 v186, v150, v161
	v_add_f32_e32 v2, v2, v3
	v_fmac_f32_e32 v185, v149, v172
	v_add_f32_e32 v1, v1, v184
	v_mul_f32_e32 v3, v153, v162
	s_waitcnt vmcnt(3)
	v_fma_f32 v4, v150, v173, -v4
	v_add_f32_e32 v2, v2, v5
	v_mul_f32_e32 v187, v152, v162
	v_fmac_f32_e32 v186, v151, v173
	v_add_f32_e32 v1, v1, v185
	s_waitcnt vmcnt(2)
	v_fma_f32 v3, v152, v174, -v3
	v_add_f32_e32 v2, v2, v4
	v_fmac_f32_e32 v187, v153, v174
	v_add_f32_e32 v1, v1, v186
	v_add_f32_e32 v2, v2, v3
	;; [unrolled: 1-line block ×3, first 2 shown]
	s_waitcnt vmcnt(1)
	v_sub_f32_e32 v2, v175, v2
	s_waitcnt vmcnt(0)
	v_sub_f32_e32 v1, v176, v1
	buffer_store_dword v2, off, s[0:3], 0 offset:392
	buffer_store_dword v1, off, s[0:3], 0 offset:396
	v_cmpx_lt_u32_e32 48, v0
	s_cbranch_execz .LBB61_289
; %bb.288:
	s_clause 0x1
	buffer_load_dword v1, off, s[0:3], 0 offset:384
	buffer_load_dword v2, off, s[0:3], 0 offset:388
	v_mov_b32_e32 v3, 0
	buffer_store_dword v3, off, s[0:3], 0 offset:384
	buffer_store_dword v3, off, s[0:3], 0 offset:388
	s_waitcnt vmcnt(0)
	ds_write_b64 v137, v[1:2]
.LBB61_289:
	s_or_b32 exec_lo, exec_lo, s4
	s_waitcnt lgkmcnt(0)
	s_waitcnt_vscnt null, 0x0
	s_barrier
	buffer_gl0_inv
	s_clause 0x1b
	buffer_load_dword v12, off, s[0:3], 0 offset:396
	buffer_load_dword v154, off, s[0:3], 0 offset:404
	buffer_load_dword v155, off, s[0:3], 0 offset:412
	buffer_load_dword v156, off, s[0:3], 0 offset:420
	buffer_load_dword v157, off, s[0:3], 0 offset:428
	buffer_load_dword v158, off, s[0:3], 0 offset:436
	buffer_load_dword v159, off, s[0:3], 0 offset:444
	buffer_load_dword v160, off, s[0:3], 0 offset:452
	buffer_load_dword v161, off, s[0:3], 0 offset:460
	buffer_load_dword v162, off, s[0:3], 0 offset:468
	buffer_load_dword v163, off, s[0:3], 0 offset:476
	buffer_load_dword v164, off, s[0:3], 0 offset:484
	buffer_load_dword v165, off, s[0:3], 0 offset:492
	buffer_load_dword v166, off, s[0:3], 0 offset:392
	buffer_load_dword v167, off, s[0:3], 0 offset:400
	buffer_load_dword v168, off, s[0:3], 0 offset:408
	buffer_load_dword v169, off, s[0:3], 0 offset:416
	buffer_load_dword v170, off, s[0:3], 0 offset:424
	buffer_load_dword v171, off, s[0:3], 0 offset:432
	buffer_load_dword v172, off, s[0:3], 0 offset:440
	buffer_load_dword v173, off, s[0:3], 0 offset:448
	buffer_load_dword v174, off, s[0:3], 0 offset:456
	buffer_load_dword v175, off, s[0:3], 0 offset:464
	buffer_load_dword v176, off, s[0:3], 0 offset:472
	buffer_load_dword v177, off, s[0:3], 0 offset:480
	buffer_load_dword v178, off, s[0:3], 0 offset:488
	buffer_load_dword v179, off, s[0:3], 0 offset:384
	buffer_load_dword v180, off, s[0:3], 0 offset:388
	v_mov_b32_e32 v1, 0
	ds_read2_b64 v[2:5], v1 offset0:111 offset1:112
	ds_read2_b64 v[6:9], v1 offset0:113 offset1:114
	;; [unrolled: 1-line block ×6, first 2 shown]
	ds_read_b64 v[10:11], v1 offset:984
	s_mov_b32 s4, exec_lo
	s_waitcnt vmcnt(27) lgkmcnt(6)
	v_mul_f32_e32 v181, v2, v12
	v_mul_f32_e32 v12, v3, v12
	s_waitcnt vmcnt(26)
	v_mul_f32_e32 v182, v4, v154
	v_mul_f32_e32 v154, v5, v154
	s_waitcnt vmcnt(25) lgkmcnt(5)
	v_mul_f32_e32 v183, v6, v155
	s_waitcnt vmcnt(24)
	v_mul_f32_e32 v184, v8, v156
	s_waitcnt vmcnt(23) lgkmcnt(4)
	v_mul_f32_e32 v185, v138, v157
	s_waitcnt vmcnt(22)
	;; [unrolled: 4-line block ×5, first 2 shown]
	v_fma_f32 v2, v2, v166, -v12
	v_fmac_f32_e32 v181, v3, v166
	v_mul_f32_e32 v3, v7, v155
	s_waitcnt vmcnt(13)
	v_fma_f32 v4, v4, v167, -v154
	v_fmac_f32_e32 v182, v5, v167
	v_add_f32_e32 v2, 0, v2
	v_add_f32_e32 v5, 0, v181
	v_mul_f32_e32 v12, v9, v156
	s_waitcnt vmcnt(12)
	v_fma_f32 v3, v6, v168, -v3
	v_fmac_f32_e32 v183, v7, v168
	v_add_f32_e32 v2, v2, v4
	v_add_f32_e32 v4, v5, v182
	;; [unrolled: 6-line block ×9, first 2 shown]
	v_mul_f32_e32 v4, v153, v164
	s_waitcnt vmcnt(4)
	v_fma_f32 v5, v150, v176, -v5
	v_mul_f32_e32 v192, v152, v164
	v_add_f32_e32 v2, v2, v6
	v_fmac_f32_e32 v191, v151, v176
	v_add_f32_e32 v3, v3, v190
	s_waitcnt lgkmcnt(0)
	v_mul_f32_e32 v6, v11, v165
	s_waitcnt vmcnt(3)
	v_fma_f32 v4, v152, v177, -v4
	v_add_f32_e32 v2, v2, v5
	v_mul_f32_e32 v193, v10, v165
	v_fmac_f32_e32 v192, v153, v177
	v_add_f32_e32 v3, v3, v191
	s_waitcnt vmcnt(2)
	v_fma_f32 v5, v10, v178, -v6
	v_add_f32_e32 v2, v2, v4
	v_fmac_f32_e32 v193, v11, v178
	v_add_f32_e32 v3, v3, v192
	v_add_f32_e32 v2, v2, v5
	;; [unrolled: 1-line block ×3, first 2 shown]
	s_waitcnt vmcnt(1)
	v_sub_f32_e32 v2, v179, v2
	s_waitcnt vmcnt(0)
	v_sub_f32_e32 v3, v180, v3
	buffer_store_dword v2, off, s[0:3], 0 offset:384
	buffer_store_dword v3, off, s[0:3], 0 offset:388
	v_cmpx_lt_u32_e32 47, v0
	s_cbranch_execz .LBB61_291
; %bb.290:
	s_clause 0x1
	buffer_load_dword v2, off, s[0:3], 0 offset:376
	buffer_load_dword v3, off, s[0:3], 0 offset:380
	buffer_store_dword v1, off, s[0:3], 0 offset:376
	buffer_store_dword v1, off, s[0:3], 0 offset:380
	s_waitcnt vmcnt(0)
	ds_write_b64 v137, v[2:3]
.LBB61_291:
	s_or_b32 exec_lo, exec_lo, s4
	s_waitcnt lgkmcnt(0)
	s_waitcnt_vscnt null, 0x0
	s_barrier
	buffer_gl0_inv
	s_clause 0x1d
	buffer_load_dword v10, off, s[0:3], 0 offset:388
	buffer_load_dword v11, off, s[0:3], 0 offset:396
	;; [unrolled: 1-line block ×30, first 2 shown]
	ds_read_b128 v[2:5], v1 offset:880
	ds_read_b128 v[6:9], v1 offset:896
	;; [unrolled: 1-line block ×7, first 2 shown]
	s_mov_b32 s4, exec_lo
	s_waitcnt vmcnt(29) lgkmcnt(6)
	v_mul_f32_e32 v1, v2, v10
	v_mul_f32_e32 v10, v3, v10
	s_waitcnt vmcnt(28)
	v_mul_f32_e32 v185, v4, v11
	v_mul_f32_e32 v11, v5, v11
	s_waitcnt vmcnt(27) lgkmcnt(5)
	v_mul_f32_e32 v186, v6, v12
	s_waitcnt vmcnt(26)
	v_mul_f32_e32 v187, v8, v158
	s_waitcnt vmcnt(25) lgkmcnt(4)
	v_mul_f32_e32 v188, v138, v159
	s_waitcnt vmcnt(24)
	;; [unrolled: 4-line block ×5, first 2 shown]
	v_mul_f32_e32 v195, v152, v166
	s_waitcnt vmcnt(15)
	v_fma_f32 v2, v2, v169, -v10
	v_fmac_f32_e32 v1, v3, v169
	v_mul_f32_e32 v3, v7, v12
	s_waitcnt vmcnt(14)
	v_fma_f32 v4, v4, v170, -v11
	v_fmac_f32_e32 v185, v5, v170
	v_add_f32_e32 v2, 0, v2
	v_add_f32_e32 v1, 0, v1
	v_mul_f32_e32 v5, v9, v158
	s_waitcnt vmcnt(13)
	v_fma_f32 v3, v6, v171, -v3
	v_fmac_f32_e32 v186, v7, v171
	v_add_f32_e32 v2, v2, v4
	v_add_f32_e32 v1, v1, v185
	;; [unrolled: 6-line block ×10, first 2 shown]
	s_waitcnt lgkmcnt(0)
	v_mul_f32_e32 v5, v155, v167
	s_waitcnt vmcnt(4)
	v_fma_f32 v3, v152, v180, -v3
	v_mul_f32_e32 v196, v154, v167
	v_add_f32_e32 v2, v2, v4
	v_fmac_f32_e32 v195, v153, v180
	v_add_f32_e32 v1, v1, v194
	v_mul_f32_e32 v4, v157, v168
	s_waitcnt vmcnt(3)
	v_fma_f32 v5, v154, v181, -v5
	v_add_f32_e32 v2, v2, v3
	v_mul_f32_e32 v197, v156, v168
	v_fmac_f32_e32 v196, v155, v181
	v_add_f32_e32 v1, v1, v195
	s_waitcnt vmcnt(2)
	v_fma_f32 v3, v156, v182, -v4
	v_add_f32_e32 v2, v2, v5
	v_fmac_f32_e32 v197, v157, v182
	v_add_f32_e32 v1, v1, v196
	v_add_f32_e32 v2, v2, v3
	;; [unrolled: 1-line block ×3, first 2 shown]
	s_waitcnt vmcnt(1)
	v_sub_f32_e32 v2, v183, v2
	s_waitcnt vmcnt(0)
	v_sub_f32_e32 v1, v184, v1
	buffer_store_dword v2, off, s[0:3], 0 offset:376
	buffer_store_dword v1, off, s[0:3], 0 offset:380
	v_cmpx_lt_u32_e32 46, v0
	s_cbranch_execz .LBB61_293
; %bb.292:
	s_clause 0x1
	buffer_load_dword v1, off, s[0:3], 0 offset:368
	buffer_load_dword v2, off, s[0:3], 0 offset:372
	v_mov_b32_e32 v3, 0
	buffer_store_dword v3, off, s[0:3], 0 offset:368
	buffer_store_dword v3, off, s[0:3], 0 offset:372
	s_waitcnt vmcnt(0)
	ds_write_b64 v137, v[1:2]
.LBB61_293:
	s_or_b32 exec_lo, exec_lo, s4
	s_waitcnt lgkmcnt(0)
	s_waitcnt_vscnt null, 0x0
	s_barrier
	buffer_gl0_inv
	s_clause 0x1f
	buffer_load_dword v12, off, s[0:3], 0 offset:380
	buffer_load_dword v158, off, s[0:3], 0 offset:388
	;; [unrolled: 1-line block ×32, first 2 shown]
	v_mov_b32_e32 v1, 0
	ds_read2_b64 v[2:5], v1 offset0:109 offset1:110
	ds_read2_b64 v[6:9], v1 offset0:111 offset1:112
	ds_read2_b64 v[138:141], v1 offset0:113 offset1:114
	ds_read2_b64 v[142:145], v1 offset0:115 offset1:116
	ds_read2_b64 v[146:149], v1 offset0:117 offset1:118
	ds_read2_b64 v[150:153], v1 offset0:119 offset1:120
	ds_read2_b64 v[154:157], v1 offset0:121 offset1:122
	ds_read_b64 v[10:11], v1 offset:984
	s_mov_b32 s4, exec_lo
	s_waitcnt vmcnt(31) lgkmcnt(7)
	v_mul_f32_e32 v189, v2, v12
	v_mul_f32_e32 v12, v3, v12
	s_waitcnt vmcnt(30)
	v_mul_f32_e32 v190, v4, v158
	v_mul_f32_e32 v158, v5, v158
	s_waitcnt vmcnt(29) lgkmcnt(6)
	v_mul_f32_e32 v191, v6, v159
	s_waitcnt vmcnt(28)
	v_mul_f32_e32 v192, v8, v160
	s_waitcnt vmcnt(27) lgkmcnt(5)
	v_mul_f32_e32 v193, v138, v161
	s_waitcnt vmcnt(26)
	;; [unrolled: 4-line block ×6, first 2 shown]
	v_fma_f32 v2, v2, v172, -v12
	v_fmac_f32_e32 v189, v3, v172
	v_mul_f32_e32 v3, v7, v159
	s_waitcnt vmcnt(15)
	v_fma_f32 v4, v4, v173, -v158
	v_fmac_f32_e32 v190, v5, v173
	v_add_f32_e32 v2, 0, v2
	v_add_f32_e32 v5, 0, v189
	v_mul_f32_e32 v12, v9, v160
	s_waitcnt vmcnt(14)
	v_fma_f32 v3, v6, v174, -v3
	v_fmac_f32_e32 v191, v7, v174
	v_add_f32_e32 v2, v2, v4
	v_add_f32_e32 v4, v5, v190
	;; [unrolled: 6-line block ×11, first 2 shown]
	v_mul_f32_e32 v5, v157, v170
	s_waitcnt vmcnt(4)
	v_fma_f32 v6, v154, v184, -v6
	v_mul_f32_e32 v202, v156, v170
	v_add_f32_e32 v2, v2, v4
	v_fmac_f32_e32 v201, v155, v184
	v_add_f32_e32 v3, v3, v200
	s_waitcnt lgkmcnt(0)
	v_mul_f32_e32 v4, v11, v171
	s_waitcnt vmcnt(3)
	v_fma_f32 v5, v156, v185, -v5
	v_add_f32_e32 v2, v2, v6
	v_mul_f32_e32 v203, v10, v171
	v_fmac_f32_e32 v202, v157, v185
	v_add_f32_e32 v3, v3, v201
	s_waitcnt vmcnt(2)
	v_fma_f32 v4, v10, v186, -v4
	v_add_f32_e32 v2, v2, v5
	v_fmac_f32_e32 v203, v11, v186
	v_add_f32_e32 v3, v3, v202
	v_add_f32_e32 v2, v2, v4
	;; [unrolled: 1-line block ×3, first 2 shown]
	s_waitcnt vmcnt(1)
	v_sub_f32_e32 v2, v187, v2
	s_waitcnt vmcnt(0)
	v_sub_f32_e32 v3, v188, v3
	buffer_store_dword v2, off, s[0:3], 0 offset:368
	buffer_store_dword v3, off, s[0:3], 0 offset:372
	v_cmpx_lt_u32_e32 45, v0
	s_cbranch_execz .LBB61_295
; %bb.294:
	s_clause 0x1
	buffer_load_dword v2, off, s[0:3], 0 offset:360
	buffer_load_dword v3, off, s[0:3], 0 offset:364
	buffer_store_dword v1, off, s[0:3], 0 offset:360
	buffer_store_dword v1, off, s[0:3], 0 offset:364
	s_waitcnt vmcnt(0)
	ds_write_b64 v137, v[2:3]
.LBB61_295:
	s_or_b32 exec_lo, exec_lo, s4
	s_waitcnt lgkmcnt(0)
	s_waitcnt_vscnt null, 0x0
	s_barrier
	buffer_gl0_inv
	s_clause 0x21
	buffer_load_dword v10, off, s[0:3], 0 offset:372
	buffer_load_dword v11, off, s[0:3], 0 offset:380
	;; [unrolled: 1-line block ×34, first 2 shown]
	ds_read_b128 v[2:5], v1 offset:864
	ds_read_b128 v[6:9], v1 offset:880
	;; [unrolled: 1-line block ×8, first 2 shown]
	s_mov_b32 s4, exec_lo
	s_waitcnt vmcnt(33) lgkmcnt(7)
	v_mul_f32_e32 v1, v2, v10
	v_mul_f32_e32 v10, v3, v10
	s_waitcnt vmcnt(32)
	v_mul_f32_e32 v193, v4, v11
	v_mul_f32_e32 v11, v5, v11
	s_waitcnt vmcnt(31) lgkmcnt(6)
	v_mul_f32_e32 v194, v6, v12
	s_waitcnt vmcnt(30)
	v_mul_f32_e32 v195, v8, v162
	s_waitcnt vmcnt(29) lgkmcnt(5)
	v_mul_f32_e32 v196, v138, v163
	s_waitcnt vmcnt(28)
	;; [unrolled: 4-line block ×6, first 2 shown]
	v_mul_f32_e32 v205, v156, v172
	s_waitcnt vmcnt(17)
	v_fma_f32 v2, v2, v175, -v10
	v_fmac_f32_e32 v1, v3, v175
	v_mul_f32_e32 v3, v7, v12
	s_waitcnt vmcnt(16)
	v_fma_f32 v4, v4, v176, -v11
	v_fmac_f32_e32 v193, v5, v176
	v_add_f32_e32 v2, 0, v2
	v_add_f32_e32 v1, 0, v1
	v_mul_f32_e32 v5, v9, v162
	s_waitcnt vmcnt(15)
	v_fma_f32 v3, v6, v177, -v3
	v_fmac_f32_e32 v194, v7, v177
	v_add_f32_e32 v2, v2, v4
	v_add_f32_e32 v1, v1, v193
	;; [unrolled: 6-line block ×12, first 2 shown]
	s_waitcnt lgkmcnt(0)
	v_mul_f32_e32 v3, v159, v173
	s_waitcnt vmcnt(4)
	v_fma_f32 v4, v156, v188, -v4
	v_mul_f32_e32 v206, v158, v173
	v_add_f32_e32 v2, v2, v5
	v_fmac_f32_e32 v205, v157, v188
	v_add_f32_e32 v1, v1, v204
	v_mul_f32_e32 v5, v161, v174
	s_waitcnt vmcnt(3)
	v_fma_f32 v3, v158, v189, -v3
	v_add_f32_e32 v2, v2, v4
	v_mul_f32_e32 v207, v160, v174
	v_fmac_f32_e32 v206, v159, v189
	v_add_f32_e32 v1, v1, v205
	s_waitcnt vmcnt(2)
	v_fma_f32 v4, v160, v190, -v5
	v_add_f32_e32 v2, v2, v3
	v_fmac_f32_e32 v207, v161, v190
	v_add_f32_e32 v1, v1, v206
	v_add_f32_e32 v2, v2, v4
	;; [unrolled: 1-line block ×3, first 2 shown]
	s_waitcnt vmcnt(1)
	v_sub_f32_e32 v2, v191, v2
	s_waitcnt vmcnt(0)
	v_sub_f32_e32 v1, v192, v1
	buffer_store_dword v2, off, s[0:3], 0 offset:360
	buffer_store_dword v1, off, s[0:3], 0 offset:364
	v_cmpx_lt_u32_e32 44, v0
	s_cbranch_execz .LBB61_297
; %bb.296:
	s_clause 0x1
	buffer_load_dword v1, off, s[0:3], 0 offset:352
	buffer_load_dword v2, off, s[0:3], 0 offset:356
	v_mov_b32_e32 v3, 0
	buffer_store_dword v3, off, s[0:3], 0 offset:352
	buffer_store_dword v3, off, s[0:3], 0 offset:356
	s_waitcnt vmcnt(0)
	ds_write_b64 v137, v[1:2]
.LBB61_297:
	s_or_b32 exec_lo, exec_lo, s4
	s_waitcnt lgkmcnt(0)
	s_waitcnt_vscnt null, 0x0
	s_barrier
	buffer_gl0_inv
	s_clause 0x23
	buffer_load_dword v12, off, s[0:3], 0 offset:364
	buffer_load_dword v162, off, s[0:3], 0 offset:372
	;; [unrolled: 1-line block ×36, first 2 shown]
	v_mov_b32_e32 v1, 0
	ds_read2_b64 v[2:5], v1 offset0:107 offset1:108
	ds_read2_b64 v[6:9], v1 offset0:109 offset1:110
	;; [unrolled: 1-line block ×8, first 2 shown]
	ds_read_b64 v[10:11], v1 offset:984
	s_mov_b32 s4, exec_lo
	s_waitcnt vmcnt(35) lgkmcnt(8)
	v_mul_f32_e32 v197, v2, v12
	v_mul_f32_e32 v12, v3, v12
	s_waitcnt vmcnt(34)
	v_mul_f32_e32 v198, v4, v162
	v_mul_f32_e32 v162, v5, v162
	s_waitcnt vmcnt(33) lgkmcnt(7)
	v_mul_f32_e32 v199, v6, v163
	s_waitcnt vmcnt(32)
	v_mul_f32_e32 v200, v8, v164
	s_waitcnt vmcnt(31) lgkmcnt(6)
	v_mul_f32_e32 v201, v138, v165
	s_waitcnt vmcnt(30)
	;; [unrolled: 4-line block ×7, first 2 shown]
	v_fma_f32 v2, v2, v178, -v12
	v_fmac_f32_e32 v197, v3, v178
	v_mul_f32_e32 v3, v7, v163
	s_waitcnt vmcnt(17)
	v_fma_f32 v4, v4, v179, -v162
	v_fmac_f32_e32 v198, v5, v179
	v_add_f32_e32 v2, 0, v2
	v_add_f32_e32 v5, 0, v197
	v_mul_f32_e32 v12, v9, v164
	s_waitcnt vmcnt(16)
	v_fma_f32 v3, v6, v180, -v3
	v_fmac_f32_e32 v199, v7, v180
	v_add_f32_e32 v2, v2, v4
	v_add_f32_e32 v4, v5, v198
	;; [unrolled: 6-line block ×13, first 2 shown]
	v_mul_f32_e32 v6, v161, v176
	s_waitcnt vmcnt(4)
	v_fma_f32 v4, v158, v192, -v4
	v_mul_f32_e32 v212, v160, v176
	v_add_f32_e32 v2, v2, v5
	v_fmac_f32_e32 v211, v159, v192
	v_add_f32_e32 v3, v3, v210
	s_waitcnt lgkmcnt(0)
	v_mul_f32_e32 v5, v11, v177
	s_waitcnt vmcnt(3)
	v_fma_f32 v6, v160, v193, -v6
	v_add_f32_e32 v2, v2, v4
	v_mul_f32_e32 v213, v10, v177
	v_fmac_f32_e32 v212, v161, v193
	v_add_f32_e32 v3, v3, v211
	s_waitcnt vmcnt(2)
	v_fma_f32 v4, v10, v194, -v5
	v_add_f32_e32 v2, v2, v6
	v_fmac_f32_e32 v213, v11, v194
	v_add_f32_e32 v3, v3, v212
	v_add_f32_e32 v2, v2, v4
	;; [unrolled: 1-line block ×3, first 2 shown]
	s_waitcnt vmcnt(1)
	v_sub_f32_e32 v2, v195, v2
	s_waitcnt vmcnt(0)
	v_sub_f32_e32 v3, v196, v3
	buffer_store_dword v2, off, s[0:3], 0 offset:352
	buffer_store_dword v3, off, s[0:3], 0 offset:356
	v_cmpx_lt_u32_e32 43, v0
	s_cbranch_execz .LBB61_299
; %bb.298:
	s_clause 0x1
	buffer_load_dword v2, off, s[0:3], 0 offset:344
	buffer_load_dword v3, off, s[0:3], 0 offset:348
	buffer_store_dword v1, off, s[0:3], 0 offset:344
	buffer_store_dword v1, off, s[0:3], 0 offset:348
	s_waitcnt vmcnt(0)
	ds_write_b64 v137, v[2:3]
.LBB61_299:
	s_or_b32 exec_lo, exec_lo, s4
	s_waitcnt lgkmcnt(0)
	s_waitcnt_vscnt null, 0x0
	s_barrier
	buffer_gl0_inv
	s_clause 0x25
	buffer_load_dword v10, off, s[0:3], 0 offset:356
	buffer_load_dword v11, off, s[0:3], 0 offset:364
	;; [unrolled: 1-line block ×38, first 2 shown]
	ds_read_b128 v[2:5], v1 offset:848
	ds_read_b128 v[6:9], v1 offset:864
	;; [unrolled: 1-line block ×9, first 2 shown]
	s_mov_b32 s4, exec_lo
	s_waitcnt vmcnt(37) lgkmcnt(8)
	v_mul_f32_e32 v1, v2, v10
	v_mul_f32_e32 v10, v3, v10
	s_waitcnt vmcnt(36)
	v_mul_f32_e32 v201, v4, v11
	v_mul_f32_e32 v11, v5, v11
	s_waitcnt vmcnt(35) lgkmcnt(7)
	v_mul_f32_e32 v202, v6, v12
	s_waitcnt vmcnt(34)
	v_mul_f32_e32 v203, v8, v166
	s_waitcnt vmcnt(33) lgkmcnt(6)
	v_mul_f32_e32 v204, v138, v167
	s_waitcnt vmcnt(32)
	;; [unrolled: 4-line block ×7, first 2 shown]
	v_mul_f32_e32 v215, v160, v178
	s_waitcnt vmcnt(19)
	v_fma_f32 v2, v2, v181, -v10
	v_fmac_f32_e32 v1, v3, v181
	v_mul_f32_e32 v3, v7, v12
	s_waitcnt vmcnt(18)
	v_fma_f32 v4, v4, v182, -v11
	v_fmac_f32_e32 v201, v5, v182
	v_add_f32_e32 v2, 0, v2
	v_add_f32_e32 v1, 0, v1
	v_mul_f32_e32 v5, v9, v166
	s_waitcnt vmcnt(17)
	v_fma_f32 v3, v6, v183, -v3
	v_fmac_f32_e32 v202, v7, v183
	v_add_f32_e32 v2, v2, v4
	v_add_f32_e32 v1, v1, v201
	v_mul_f32_e32 v4, v139, v167
	s_waitcnt vmcnt(16)
	v_fma_f32 v5, v8, v184, -v5
	v_fmac_f32_e32 v203, v9, v184
	v_add_f32_e32 v2, v2, v3
	v_add_f32_e32 v1, v1, v202
	v_mul_f32_e32 v3, v141, v168
	s_waitcnt vmcnt(15)
	v_fma_f32 v4, v138, v185, -v4
	v_fmac_f32_e32 v204, v139, v185
	v_add_f32_e32 v2, v2, v5
	v_add_f32_e32 v1, v1, v203
	v_mul_f32_e32 v5, v143, v169
	s_waitcnt vmcnt(14)
	v_fma_f32 v3, v140, v186, -v3
	v_fmac_f32_e32 v205, v141, v186
	v_add_f32_e32 v2, v2, v4
	v_add_f32_e32 v1, v1, v204
	v_mul_f32_e32 v4, v145, v170
	s_waitcnt vmcnt(13)
	v_fma_f32 v5, v142, v187, -v5
	v_fmac_f32_e32 v206, v143, v187
	v_add_f32_e32 v2, v2, v3
	v_add_f32_e32 v1, v1, v205
	v_mul_f32_e32 v3, v147, v171
	s_waitcnt vmcnt(12)
	v_fma_f32 v4, v144, v188, -v4
	v_fmac_f32_e32 v207, v145, v188
	v_add_f32_e32 v2, v2, v5
	v_add_f32_e32 v1, v1, v206
	v_mul_f32_e32 v5, v149, v172
	s_waitcnt vmcnt(11)
	v_fma_f32 v3, v146, v189, -v3
	v_fmac_f32_e32 v208, v147, v189
	v_add_f32_e32 v2, v2, v4
	v_add_f32_e32 v1, v1, v207
	v_mul_f32_e32 v4, v151, v173
	s_waitcnt vmcnt(10)
	v_fma_f32 v5, v148, v190, -v5
	v_fmac_f32_e32 v209, v149, v190
	v_add_f32_e32 v2, v2, v3
	v_add_f32_e32 v1, v1, v208
	v_mul_f32_e32 v3, v153, v174
	s_waitcnt vmcnt(9)
	v_fma_f32 v4, v150, v191, -v4
	v_fmac_f32_e32 v210, v151, v191
	v_add_f32_e32 v2, v2, v5
	v_add_f32_e32 v1, v1, v209
	v_mul_f32_e32 v5, v155, v175
	s_waitcnt vmcnt(8)
	v_fma_f32 v3, v152, v192, -v3
	v_fmac_f32_e32 v211, v153, v192
	v_add_f32_e32 v2, v2, v4
	v_add_f32_e32 v1, v1, v210
	v_mul_f32_e32 v4, v157, v176
	s_waitcnt vmcnt(7)
	v_fma_f32 v5, v154, v193, -v5
	v_fmac_f32_e32 v212, v155, v193
	v_add_f32_e32 v2, v2, v3
	v_add_f32_e32 v1, v1, v211
	v_mul_f32_e32 v3, v159, v177
	s_waitcnt vmcnt(6)
	v_fma_f32 v4, v156, v194, -v4
	v_fmac_f32_e32 v213, v157, v194
	v_add_f32_e32 v2, v2, v5
	v_add_f32_e32 v1, v1, v212
	v_mul_f32_e32 v5, v161, v178
	s_waitcnt vmcnt(5)
	v_fma_f32 v3, v158, v195, -v3
	v_fmac_f32_e32 v214, v159, v195
	v_add_f32_e32 v2, v2, v4
	v_add_f32_e32 v1, v1, v213
	s_waitcnt lgkmcnt(0)
	v_mul_f32_e32 v4, v163, v179
	s_waitcnt vmcnt(4)
	v_fma_f32 v5, v160, v196, -v5
	v_mul_f32_e32 v216, v162, v179
	v_add_f32_e32 v2, v2, v3
	v_fmac_f32_e32 v215, v161, v196
	v_add_f32_e32 v1, v1, v214
	v_mul_f32_e32 v3, v165, v180
	s_waitcnt vmcnt(3)
	v_fma_f32 v4, v162, v197, -v4
	v_add_f32_e32 v2, v2, v5
	v_mul_f32_e32 v217, v164, v180
	v_fmac_f32_e32 v216, v163, v197
	v_add_f32_e32 v1, v1, v215
	s_waitcnt vmcnt(2)
	v_fma_f32 v3, v164, v198, -v3
	v_add_f32_e32 v2, v2, v4
	v_fmac_f32_e32 v217, v165, v198
	v_add_f32_e32 v1, v1, v216
	v_add_f32_e32 v2, v2, v3
	;; [unrolled: 1-line block ×3, first 2 shown]
	s_waitcnt vmcnt(1)
	v_sub_f32_e32 v2, v199, v2
	s_waitcnt vmcnt(0)
	v_sub_f32_e32 v1, v200, v1
	buffer_store_dword v2, off, s[0:3], 0 offset:344
	buffer_store_dword v1, off, s[0:3], 0 offset:348
	v_cmpx_lt_u32_e32 42, v0
	s_cbranch_execz .LBB61_301
; %bb.300:
	s_clause 0x1
	buffer_load_dword v1, off, s[0:3], 0 offset:336
	buffer_load_dword v2, off, s[0:3], 0 offset:340
	v_mov_b32_e32 v3, 0
	buffer_store_dword v3, off, s[0:3], 0 offset:336
	buffer_store_dword v3, off, s[0:3], 0 offset:340
	s_waitcnt vmcnt(0)
	ds_write_b64 v137, v[1:2]
.LBB61_301:
	s_or_b32 exec_lo, exec_lo, s4
	s_waitcnt lgkmcnt(0)
	s_waitcnt_vscnt null, 0x0
	s_barrier
	buffer_gl0_inv
	s_clause 0x27
	buffer_load_dword v12, off, s[0:3], 0 offset:348
	buffer_load_dword v166, off, s[0:3], 0 offset:356
	;; [unrolled: 1-line block ×40, first 2 shown]
	v_mov_b32_e32 v1, 0
	ds_read2_b64 v[2:5], v1 offset0:105 offset1:106
	ds_read2_b64 v[6:9], v1 offset0:107 offset1:108
	ds_read2_b64 v[138:141], v1 offset0:109 offset1:110
	ds_read2_b64 v[142:145], v1 offset0:111 offset1:112
	ds_read2_b64 v[146:149], v1 offset0:113 offset1:114
	ds_read2_b64 v[150:153], v1 offset0:115 offset1:116
	ds_read2_b64 v[154:157], v1 offset0:117 offset1:118
	ds_read2_b64 v[158:161], v1 offset0:119 offset1:120
	ds_read2_b64 v[162:165], v1 offset0:121 offset1:122
	ds_read_b64 v[10:11], v1 offset:984
	s_mov_b32 s4, exec_lo
	s_waitcnt vmcnt(39) lgkmcnt(9)
	v_mul_f32_e32 v205, v2, v12
	v_mul_f32_e32 v12, v3, v12
	s_waitcnt vmcnt(38)
	v_mul_f32_e32 v206, v4, v166
	v_mul_f32_e32 v166, v5, v166
	s_waitcnt vmcnt(37) lgkmcnt(8)
	v_mul_f32_e32 v207, v6, v167
	s_waitcnt vmcnt(36)
	v_mul_f32_e32 v208, v8, v168
	s_waitcnt vmcnt(35) lgkmcnt(7)
	v_mul_f32_e32 v209, v138, v169
	s_waitcnt vmcnt(34)
	v_mul_f32_e32 v210, v140, v170
	s_waitcnt vmcnt(33) lgkmcnt(6)
	v_mul_f32_e32 v211, v142, v171
	s_waitcnt vmcnt(32)
	v_mul_f32_e32 v212, v144, v172
	s_waitcnt vmcnt(31) lgkmcnt(5)
	v_mul_f32_e32 v213, v146, v173
	s_waitcnt vmcnt(30)
	v_mul_f32_e32 v214, v148, v174
	s_waitcnt vmcnt(29) lgkmcnt(4)
	v_mul_f32_e32 v215, v150, v175
	s_waitcnt vmcnt(28)
	v_mul_f32_e32 v216, v152, v176
	s_waitcnt vmcnt(27) lgkmcnt(3)
	v_mul_f32_e32 v217, v154, v177
	s_waitcnt vmcnt(26)
	v_mul_f32_e32 v218, v156, v178
	s_waitcnt vmcnt(25) lgkmcnt(2)
	v_mul_f32_e32 v219, v158, v179
	s_waitcnt vmcnt(24)
	v_mul_f32_e32 v220, v160, v180
	s_waitcnt vmcnt(23) lgkmcnt(1)
	v_mul_f32_e32 v221, v162, v181
	s_waitcnt vmcnt(20)
	v_fma_f32 v2, v2, v184, -v12
	v_fmac_f32_e32 v205, v3, v184
	v_mul_f32_e32 v3, v7, v167
	s_waitcnt vmcnt(19)
	v_fma_f32 v4, v4, v185, -v166
	v_fmac_f32_e32 v206, v5, v185
	v_add_f32_e32 v2, 0, v2
	v_add_f32_e32 v5, 0, v205
	v_mul_f32_e32 v12, v9, v168
	s_waitcnt vmcnt(18)
	v_fma_f32 v3, v6, v186, -v3
	v_fmac_f32_e32 v207, v7, v186
	v_add_f32_e32 v2, v2, v4
	v_add_f32_e32 v4, v5, v206
	;; [unrolled: 6-line block ×15, first 2 shown]
	v_mul_f32_e32 v4, v165, v182
	s_waitcnt vmcnt(4)
	v_fma_f32 v5, v162, v200, -v5
	v_mul_f32_e32 v222, v164, v182
	v_add_f32_e32 v2, v2, v6
	v_fmac_f32_e32 v221, v163, v200
	v_add_f32_e32 v3, v3, v220
	s_waitcnt lgkmcnt(0)
	v_mul_f32_e32 v6, v11, v183
	s_waitcnt vmcnt(3)
	v_fma_f32 v4, v164, v201, -v4
	v_add_f32_e32 v2, v2, v5
	v_mul_f32_e32 v223, v10, v183
	v_fmac_f32_e32 v222, v165, v201
	v_add_f32_e32 v3, v3, v221
	s_waitcnt vmcnt(2)
	v_fma_f32 v5, v10, v202, -v6
	v_add_f32_e32 v2, v2, v4
	v_fmac_f32_e32 v223, v11, v202
	v_add_f32_e32 v3, v3, v222
	v_add_f32_e32 v2, v2, v5
	;; [unrolled: 1-line block ×3, first 2 shown]
	s_waitcnt vmcnt(1)
	v_sub_f32_e32 v2, v203, v2
	s_waitcnt vmcnt(0)
	v_sub_f32_e32 v3, v204, v3
	buffer_store_dword v2, off, s[0:3], 0 offset:336
	buffer_store_dword v3, off, s[0:3], 0 offset:340
	v_cmpx_lt_u32_e32 41, v0
	s_cbranch_execz .LBB61_303
; %bb.302:
	s_clause 0x1
	buffer_load_dword v2, off, s[0:3], 0 offset:328
	buffer_load_dword v3, off, s[0:3], 0 offset:332
	buffer_store_dword v1, off, s[0:3], 0 offset:328
	buffer_store_dword v1, off, s[0:3], 0 offset:332
	s_waitcnt vmcnt(0)
	ds_write_b64 v137, v[2:3]
.LBB61_303:
	s_or_b32 exec_lo, exec_lo, s4
	s_waitcnt lgkmcnt(0)
	s_waitcnt_vscnt null, 0x0
	s_barrier
	buffer_gl0_inv
	s_clause 0x29
	buffer_load_dword v10, off, s[0:3], 0 offset:340
	buffer_load_dword v11, off, s[0:3], 0 offset:348
	;; [unrolled: 1-line block ×42, first 2 shown]
	ds_read_b128 v[2:5], v1 offset:832
	ds_read_b128 v[6:9], v1 offset:848
	;; [unrolled: 1-line block ×10, first 2 shown]
	s_mov_b32 s4, exec_lo
	s_waitcnt vmcnt(41) lgkmcnt(9)
	v_mul_f32_e32 v1, v2, v10
	v_mul_f32_e32 v10, v3, v10
	s_waitcnt vmcnt(40)
	v_mul_f32_e32 v209, v4, v11
	v_mul_f32_e32 v11, v5, v11
	s_waitcnt vmcnt(39) lgkmcnt(8)
	v_mul_f32_e32 v210, v6, v12
	s_waitcnt vmcnt(38)
	v_mul_f32_e32 v211, v8, v170
	s_waitcnt vmcnt(37) lgkmcnt(7)
	v_mul_f32_e32 v212, v138, v171
	s_waitcnt vmcnt(36)
	;; [unrolled: 4-line block ×8, first 2 shown]
	v_mul_f32_e32 v225, v164, v184
	s_waitcnt vmcnt(21)
	v_fma_f32 v2, v2, v187, -v10
	v_fmac_f32_e32 v1, v3, v187
	v_mul_f32_e32 v3, v7, v12
	s_waitcnt vmcnt(20)
	v_fma_f32 v4, v4, v188, -v11
	v_fmac_f32_e32 v209, v5, v188
	v_add_f32_e32 v2, 0, v2
	v_add_f32_e32 v1, 0, v1
	v_mul_f32_e32 v5, v9, v170
	s_waitcnt vmcnt(19)
	v_fma_f32 v3, v6, v189, -v3
	v_fmac_f32_e32 v210, v7, v189
	v_add_f32_e32 v2, v2, v4
	v_add_f32_e32 v1, v1, v209
	;; [unrolled: 6-line block ×16, first 2 shown]
	s_waitcnt lgkmcnt(0)
	v_mul_f32_e32 v5, v167, v185
	s_waitcnt vmcnt(4)
	v_fma_f32 v3, v164, v204, -v3
	v_mul_f32_e32 v226, v166, v185
	v_add_f32_e32 v2, v2, v4
	v_fmac_f32_e32 v225, v165, v204
	v_add_f32_e32 v1, v1, v224
	v_mul_f32_e32 v4, v169, v186
	s_waitcnt vmcnt(3)
	v_fma_f32 v5, v166, v205, -v5
	v_add_f32_e32 v2, v2, v3
	v_mul_f32_e32 v227, v168, v186
	v_fmac_f32_e32 v226, v167, v205
	v_add_f32_e32 v1, v1, v225
	s_waitcnt vmcnt(2)
	v_fma_f32 v3, v168, v206, -v4
	v_add_f32_e32 v2, v2, v5
	v_fmac_f32_e32 v227, v169, v206
	v_add_f32_e32 v1, v1, v226
	v_add_f32_e32 v2, v2, v3
	;; [unrolled: 1-line block ×3, first 2 shown]
	s_waitcnt vmcnt(1)
	v_sub_f32_e32 v2, v207, v2
	s_waitcnt vmcnt(0)
	v_sub_f32_e32 v1, v208, v1
	buffer_store_dword v2, off, s[0:3], 0 offset:328
	buffer_store_dword v1, off, s[0:3], 0 offset:332
	v_cmpx_lt_u32_e32 40, v0
	s_cbranch_execz .LBB61_305
; %bb.304:
	s_clause 0x1
	buffer_load_dword v1, off, s[0:3], 0 offset:320
	buffer_load_dword v2, off, s[0:3], 0 offset:324
	v_mov_b32_e32 v3, 0
	buffer_store_dword v3, off, s[0:3], 0 offset:320
	buffer_store_dword v3, off, s[0:3], 0 offset:324
	s_waitcnt vmcnt(0)
	ds_write_b64 v137, v[1:2]
.LBB61_305:
	s_or_b32 exec_lo, exec_lo, s4
	s_waitcnt lgkmcnt(0)
	s_waitcnt_vscnt null, 0x0
	s_barrier
	buffer_gl0_inv
	s_clause 0x2b
	buffer_load_dword v12, off, s[0:3], 0 offset:332
	buffer_load_dword v170, off, s[0:3], 0 offset:340
	;; [unrolled: 1-line block ×44, first 2 shown]
	v_mov_b32_e32 v1, 0
	ds_read2_b64 v[2:5], v1 offset0:103 offset1:104
	ds_read2_b64 v[6:9], v1 offset0:105 offset1:106
	;; [unrolled: 1-line block ×10, first 2 shown]
	ds_read_b64 v[10:11], v1 offset:984
	s_mov_b32 s4, exec_lo
	s_waitcnt vmcnt(43) lgkmcnt(10)
	v_mul_f32_e32 v213, v2, v12
	v_mul_f32_e32 v12, v3, v12
	s_waitcnt vmcnt(42)
	v_mul_f32_e32 v214, v4, v170
	v_mul_f32_e32 v170, v5, v170
	s_waitcnt vmcnt(41) lgkmcnt(9)
	v_mul_f32_e32 v215, v6, v171
	s_waitcnt vmcnt(40)
	v_mul_f32_e32 v216, v8, v172
	s_waitcnt vmcnt(39) lgkmcnt(8)
	v_mul_f32_e32 v217, v138, v173
	s_waitcnt vmcnt(38)
	;; [unrolled: 4-line block ×9, first 2 shown]
	v_fma_f32 v2, v2, v190, -v12
	v_fmac_f32_e32 v213, v3, v190
	v_mul_f32_e32 v3, v7, v171
	s_waitcnt vmcnt(21)
	v_fma_f32 v4, v4, v191, -v170
	v_fmac_f32_e32 v214, v5, v191
	v_add_f32_e32 v2, 0, v2
	v_add_f32_e32 v5, 0, v213
	v_mul_f32_e32 v12, v9, v172
	s_waitcnt vmcnt(20)
	v_fma_f32 v3, v6, v192, -v3
	v_fmac_f32_e32 v215, v7, v192
	v_add_f32_e32 v2, v2, v4
	v_add_f32_e32 v4, v5, v214
	;; [unrolled: 6-line block ×17, first 2 shown]
	v_mul_f32_e32 v5, v169, v188
	s_waitcnt vmcnt(4)
	v_fma_f32 v6, v166, v208, -v6
	v_mul_f32_e32 v232, v168, v188
	v_add_f32_e32 v2, v2, v4
	v_fmac_f32_e32 v231, v167, v208
	v_add_f32_e32 v3, v3, v230
	s_waitcnt lgkmcnt(0)
	v_mul_f32_e32 v4, v11, v189
	s_waitcnt vmcnt(3)
	v_fma_f32 v5, v168, v209, -v5
	v_add_f32_e32 v2, v2, v6
	v_mul_f32_e32 v233, v10, v189
	v_fmac_f32_e32 v232, v169, v209
	v_add_f32_e32 v3, v3, v231
	s_waitcnt vmcnt(2)
	v_fma_f32 v4, v10, v210, -v4
	v_add_f32_e32 v2, v2, v5
	v_fmac_f32_e32 v233, v11, v210
	v_add_f32_e32 v3, v3, v232
	v_add_f32_e32 v2, v2, v4
	;; [unrolled: 1-line block ×3, first 2 shown]
	s_waitcnt vmcnt(1)
	v_sub_f32_e32 v2, v211, v2
	s_waitcnt vmcnt(0)
	v_sub_f32_e32 v3, v212, v3
	buffer_store_dword v2, off, s[0:3], 0 offset:320
	buffer_store_dword v3, off, s[0:3], 0 offset:324
	v_cmpx_lt_u32_e32 39, v0
	s_cbranch_execz .LBB61_307
; %bb.306:
	s_clause 0x1
	buffer_load_dword v2, off, s[0:3], 0 offset:312
	buffer_load_dword v3, off, s[0:3], 0 offset:316
	buffer_store_dword v1, off, s[0:3], 0 offset:312
	buffer_store_dword v1, off, s[0:3], 0 offset:316
	s_waitcnt vmcnt(0)
	ds_write_b64 v137, v[2:3]
.LBB61_307:
	s_or_b32 exec_lo, exec_lo, s4
	s_waitcnt lgkmcnt(0)
	s_waitcnt_vscnt null, 0x0
	s_barrier
	buffer_gl0_inv
	s_clause 0x2d
	buffer_load_dword v10, off, s[0:3], 0 offset:324
	buffer_load_dword v11, off, s[0:3], 0 offset:332
	;; [unrolled: 1-line block ×46, first 2 shown]
	ds_read_b128 v[2:5], v1 offset:816
	ds_read_b128 v[6:9], v1 offset:832
	ds_read_b128 v[138:141], v1 offset:848
	ds_read_b128 v[142:145], v1 offset:864
	ds_read_b128 v[146:149], v1 offset:880
	ds_read_b128 v[150:153], v1 offset:896
	ds_read_b128 v[154:157], v1 offset:912
	ds_read_b128 v[158:161], v1 offset:928
	ds_read_b128 v[162:165], v1 offset:944
	ds_read_b128 v[166:169], v1 offset:960
	ds_read_b128 v[170:173], v1 offset:976
	s_mov_b32 s4, exec_lo
	s_waitcnt vmcnt(45) lgkmcnt(10)
	v_mul_f32_e32 v1, v2, v10
	v_mul_f32_e32 v10, v3, v10
	s_waitcnt vmcnt(44)
	v_mul_f32_e32 v217, v4, v11
	v_mul_f32_e32 v11, v5, v11
	s_waitcnt vmcnt(43) lgkmcnt(9)
	v_mul_f32_e32 v218, v6, v12
	s_waitcnt vmcnt(42)
	v_mul_f32_e32 v219, v8, v174
	s_waitcnt vmcnt(41) lgkmcnt(8)
	v_mul_f32_e32 v220, v138, v175
	s_waitcnt vmcnt(40)
	;; [unrolled: 4-line block ×9, first 2 shown]
	v_mul_f32_e32 v235, v168, v190
	s_waitcnt vmcnt(23)
	v_fma_f32 v2, v2, v193, -v10
	v_fmac_f32_e32 v1, v3, v193
	v_mul_f32_e32 v3, v7, v12
	s_waitcnt vmcnt(22)
	v_fma_f32 v4, v4, v194, -v11
	v_fmac_f32_e32 v217, v5, v194
	v_add_f32_e32 v2, 0, v2
	v_add_f32_e32 v1, 0, v1
	v_mul_f32_e32 v5, v9, v174
	s_waitcnt vmcnt(21)
	v_fma_f32 v3, v6, v195, -v3
	v_fmac_f32_e32 v218, v7, v195
	v_add_f32_e32 v2, v2, v4
	v_add_f32_e32 v1, v1, v217
	;; [unrolled: 6-line block ×18, first 2 shown]
	s_waitcnt lgkmcnt(0)
	v_mul_f32_e32 v3, v171, v191
	s_waitcnt vmcnt(4)
	v_fma_f32 v4, v168, v212, -v4
	v_mul_f32_e32 v236, v170, v191
	v_add_f32_e32 v2, v2, v5
	v_fmac_f32_e32 v235, v169, v212
	v_add_f32_e32 v1, v1, v234
	v_mul_f32_e32 v5, v173, v192
	s_waitcnt vmcnt(3)
	v_fma_f32 v3, v170, v213, -v3
	v_add_f32_e32 v2, v2, v4
	v_mul_f32_e32 v237, v172, v192
	v_fmac_f32_e32 v236, v171, v213
	v_add_f32_e32 v1, v1, v235
	s_waitcnt vmcnt(2)
	v_fma_f32 v4, v172, v214, -v5
	v_add_f32_e32 v2, v2, v3
	v_fmac_f32_e32 v237, v173, v214
	v_add_f32_e32 v1, v1, v236
	v_add_f32_e32 v2, v2, v4
	;; [unrolled: 1-line block ×3, first 2 shown]
	s_waitcnt vmcnt(1)
	v_sub_f32_e32 v2, v215, v2
	s_waitcnt vmcnt(0)
	v_sub_f32_e32 v1, v216, v1
	buffer_store_dword v2, off, s[0:3], 0 offset:312
	buffer_store_dword v1, off, s[0:3], 0 offset:316
	v_cmpx_lt_u32_e32 38, v0
	s_cbranch_execz .LBB61_309
; %bb.308:
	s_clause 0x1
	buffer_load_dword v1, off, s[0:3], 0 offset:304
	buffer_load_dword v2, off, s[0:3], 0 offset:308
	v_mov_b32_e32 v3, 0
	buffer_store_dword v3, off, s[0:3], 0 offset:304
	buffer_store_dword v3, off, s[0:3], 0 offset:308
	s_waitcnt vmcnt(0)
	ds_write_b64 v137, v[1:2]
.LBB61_309:
	s_or_b32 exec_lo, exec_lo, s4
	s_waitcnt lgkmcnt(0)
	s_waitcnt_vscnt null, 0x0
	s_barrier
	buffer_gl0_inv
	s_clause 0x2f
	buffer_load_dword v12, off, s[0:3], 0 offset:316
	buffer_load_dword v174, off, s[0:3], 0 offset:324
	;; [unrolled: 1-line block ×48, first 2 shown]
	v_mov_b32_e32 v1, 0
	ds_read2_b64 v[2:5], v1 offset0:101 offset1:102
	ds_read2_b64 v[6:9], v1 offset0:103 offset1:104
	;; [unrolled: 1-line block ×11, first 2 shown]
	ds_read_b64 v[10:11], v1 offset:984
	s_mov_b32 s4, exec_lo
	s_waitcnt vmcnt(47) lgkmcnt(11)
	v_mul_f32_e32 v221, v2, v12
	v_mul_f32_e32 v12, v3, v12
	s_waitcnt vmcnt(46)
	v_mul_f32_e32 v222, v4, v174
	v_mul_f32_e32 v174, v5, v174
	s_waitcnt vmcnt(45) lgkmcnt(10)
	v_mul_f32_e32 v223, v6, v175
	s_waitcnt vmcnt(44)
	v_mul_f32_e32 v224, v8, v176
	s_waitcnt vmcnt(43) lgkmcnt(9)
	v_mul_f32_e32 v225, v138, v177
	s_waitcnt vmcnt(42)
	;; [unrolled: 4-line block ×10, first 2 shown]
	v_fma_f32 v2, v2, v196, -v12
	v_fmac_f32_e32 v221, v3, v196
	v_mul_f32_e32 v3, v7, v175
	s_waitcnt vmcnt(23)
	v_fma_f32 v4, v4, v197, -v174
	v_fmac_f32_e32 v222, v5, v197
	v_add_f32_e32 v2, 0, v2
	v_add_f32_e32 v5, 0, v221
	v_mul_f32_e32 v12, v9, v176
	s_waitcnt vmcnt(22)
	v_fma_f32 v3, v6, v198, -v3
	v_fmac_f32_e32 v223, v7, v198
	v_add_f32_e32 v2, v2, v4
	v_add_f32_e32 v4, v5, v222
	;; [unrolled: 6-line block ×19, first 2 shown]
	v_mul_f32_e32 v6, v173, v194
	s_waitcnt vmcnt(4)
	v_fma_f32 v4, v170, v216, -v4
	v_mul_f32_e32 v242, v172, v194
	v_add_f32_e32 v2, v2, v5
	v_fmac_f32_e32 v241, v171, v216
	v_add_f32_e32 v3, v3, v240
	s_waitcnt lgkmcnt(0)
	v_mul_f32_e32 v5, v11, v195
	s_waitcnt vmcnt(3)
	v_fma_f32 v6, v172, v217, -v6
	v_add_f32_e32 v2, v2, v4
	v_mul_f32_e32 v243, v10, v195
	v_fmac_f32_e32 v242, v173, v217
	v_add_f32_e32 v3, v3, v241
	s_waitcnt vmcnt(2)
	v_fma_f32 v4, v10, v218, -v5
	v_add_f32_e32 v2, v2, v6
	v_fmac_f32_e32 v243, v11, v218
	v_add_f32_e32 v3, v3, v242
	v_add_f32_e32 v2, v2, v4
	;; [unrolled: 1-line block ×3, first 2 shown]
	s_waitcnt vmcnt(1)
	v_sub_f32_e32 v2, v219, v2
	s_waitcnt vmcnt(0)
	v_sub_f32_e32 v3, v220, v3
	buffer_store_dword v2, off, s[0:3], 0 offset:304
	buffer_store_dword v3, off, s[0:3], 0 offset:308
	v_cmpx_lt_u32_e32 37, v0
	s_cbranch_execz .LBB61_311
; %bb.310:
	s_clause 0x1
	buffer_load_dword v2, off, s[0:3], 0 offset:296
	buffer_load_dword v3, off, s[0:3], 0 offset:300
	buffer_store_dword v1, off, s[0:3], 0 offset:296
	buffer_store_dword v1, off, s[0:3], 0 offset:300
	s_waitcnt vmcnt(0)
	ds_write_b64 v137, v[2:3]
.LBB61_311:
	s_or_b32 exec_lo, exec_lo, s4
	s_waitcnt lgkmcnt(0)
	s_waitcnt_vscnt null, 0x0
	s_barrier
	buffer_gl0_inv
	s_clause 0x31
	buffer_load_dword v10, off, s[0:3], 0 offset:308
	buffer_load_dword v11, off, s[0:3], 0 offset:316
	;; [unrolled: 1-line block ×50, first 2 shown]
	ds_read_b128 v[2:5], v1 offset:800
	ds_read_b128 v[6:9], v1 offset:816
	;; [unrolled: 1-line block ×12, first 2 shown]
	s_mov_b32 s4, exec_lo
	s_waitcnt vmcnt(49) lgkmcnt(11)
	v_mul_f32_e32 v1, v2, v10
	v_mul_f32_e32 v10, v3, v10
	s_waitcnt vmcnt(48)
	v_mul_f32_e32 v225, v4, v11
	v_mul_f32_e32 v11, v5, v11
	s_waitcnt vmcnt(47) lgkmcnt(10)
	v_mul_f32_e32 v226, v6, v12
	s_waitcnt vmcnt(46)
	v_mul_f32_e32 v227, v8, v178
	s_waitcnt vmcnt(45) lgkmcnt(9)
	v_mul_f32_e32 v228, v138, v179
	s_waitcnt vmcnt(44)
	;; [unrolled: 4-line block ×10, first 2 shown]
	v_mul_f32_e32 v245, v172, v196
	s_waitcnt vmcnt(25)
	v_fma_f32 v2, v2, v199, -v10
	v_fmac_f32_e32 v1, v3, v199
	v_mul_f32_e32 v3, v7, v12
	s_waitcnt vmcnt(24)
	v_fma_f32 v4, v4, v200, -v11
	v_fmac_f32_e32 v225, v5, v200
	v_add_f32_e32 v2, 0, v2
	v_add_f32_e32 v1, 0, v1
	v_mul_f32_e32 v5, v9, v178
	s_waitcnt vmcnt(23)
	v_fma_f32 v3, v6, v201, -v3
	v_fmac_f32_e32 v226, v7, v201
	v_add_f32_e32 v2, v2, v4
	v_add_f32_e32 v1, v1, v225
	;; [unrolled: 6-line block ×20, first 2 shown]
	s_waitcnt lgkmcnt(0)
	v_mul_f32_e32 v4, v175, v197
	s_waitcnt vmcnt(4)
	v_fma_f32 v5, v172, v220, -v5
	v_mul_f32_e32 v246, v174, v197
	v_add_f32_e32 v2, v2, v3
	v_fmac_f32_e32 v245, v173, v220
	v_add_f32_e32 v1, v1, v244
	v_mul_f32_e32 v3, v177, v198
	s_waitcnt vmcnt(3)
	v_fma_f32 v4, v174, v221, -v4
	v_add_f32_e32 v2, v2, v5
	v_mul_f32_e32 v247, v176, v198
	v_fmac_f32_e32 v246, v175, v221
	v_add_f32_e32 v1, v1, v245
	s_waitcnt vmcnt(2)
	v_fma_f32 v3, v176, v222, -v3
	v_add_f32_e32 v2, v2, v4
	v_fmac_f32_e32 v247, v177, v222
	v_add_f32_e32 v1, v1, v246
	v_add_f32_e32 v2, v2, v3
	;; [unrolled: 1-line block ×3, first 2 shown]
	s_waitcnt vmcnt(1)
	v_sub_f32_e32 v2, v223, v2
	s_waitcnt vmcnt(0)
	v_sub_f32_e32 v1, v224, v1
	buffer_store_dword v2, off, s[0:3], 0 offset:296
	buffer_store_dword v1, off, s[0:3], 0 offset:300
	v_cmpx_lt_u32_e32 36, v0
	s_cbranch_execz .LBB61_313
; %bb.312:
	s_clause 0x1
	buffer_load_dword v1, off, s[0:3], 0 offset:288
	buffer_load_dword v2, off, s[0:3], 0 offset:292
	v_mov_b32_e32 v3, 0
	buffer_store_dword v3, off, s[0:3], 0 offset:288
	buffer_store_dword v3, off, s[0:3], 0 offset:292
	s_waitcnt vmcnt(0)
	ds_write_b64 v137, v[1:2]
.LBB61_313:
	s_or_b32 exec_lo, exec_lo, s4
	s_waitcnt lgkmcnt(0)
	s_waitcnt_vscnt null, 0x0
	s_barrier
	buffer_gl0_inv
	s_clause 0x33
	buffer_load_dword v12, off, s[0:3], 0 offset:300
	buffer_load_dword v178, off, s[0:3], 0 offset:308
	;; [unrolled: 1-line block ×52, first 2 shown]
	v_mov_b32_e32 v1, 0
	ds_read2_b64 v[2:5], v1 offset0:99 offset1:100
	ds_read2_b64 v[6:9], v1 offset0:101 offset1:102
	;; [unrolled: 1-line block ×12, first 2 shown]
	ds_read_b64 v[10:11], v1 offset:984
	s_mov_b32 s4, exec_lo
	s_waitcnt vmcnt(51) lgkmcnt(12)
	v_mul_f32_e32 v229, v2, v12
	v_mul_f32_e32 v12, v3, v12
	s_waitcnt vmcnt(50)
	v_mul_f32_e32 v230, v4, v178
	v_mul_f32_e32 v178, v5, v178
	s_waitcnt vmcnt(49) lgkmcnt(11)
	v_mul_f32_e32 v231, v6, v179
	s_waitcnt vmcnt(48)
	v_mul_f32_e32 v232, v8, v180
	s_waitcnt vmcnt(47) lgkmcnt(10)
	v_mul_f32_e32 v233, v138, v181
	s_waitcnt vmcnt(46)
	;; [unrolled: 4-line block ×11, first 2 shown]
	v_fma_f32 v2, v2, v202, -v12
	v_fmac_f32_e32 v229, v3, v202
	v_mul_f32_e32 v3, v7, v179
	s_waitcnt vmcnt(25)
	v_fma_f32 v4, v4, v203, -v178
	v_fmac_f32_e32 v230, v5, v203
	v_add_f32_e32 v2, 0, v2
	v_add_f32_e32 v5, 0, v229
	v_mul_f32_e32 v12, v9, v180
	s_waitcnt vmcnt(24)
	v_fma_f32 v3, v6, v204, -v3
	v_fmac_f32_e32 v231, v7, v204
	v_add_f32_e32 v2, v2, v4
	v_add_f32_e32 v4, v5, v230
	;; [unrolled: 6-line block ×21, first 2 shown]
	v_mul_f32_e32 v4, v177, v200
	s_waitcnt vmcnt(4)
	v_fma_f32 v5, v174, v224, -v5
	v_mul_f32_e32 v252, v176, v200
	v_add_f32_e32 v2, v2, v6
	v_fmac_f32_e32 v251, v175, v224
	v_add_f32_e32 v3, v3, v250
	s_waitcnt lgkmcnt(0)
	v_mul_f32_e32 v6, v11, v201
	s_waitcnt vmcnt(3)
	v_fma_f32 v4, v176, v225, -v4
	v_add_f32_e32 v2, v2, v5
	v_mul_f32_e32 v253, v10, v201
	v_fmac_f32_e32 v252, v177, v225
	v_add_f32_e32 v3, v3, v251
	s_waitcnt vmcnt(2)
	v_fma_f32 v5, v10, v226, -v6
	v_add_f32_e32 v2, v2, v4
	v_fmac_f32_e32 v253, v11, v226
	v_add_f32_e32 v3, v3, v252
	v_add_f32_e32 v2, v2, v5
	;; [unrolled: 1-line block ×3, first 2 shown]
	s_waitcnt vmcnt(1)
	v_sub_f32_e32 v2, v227, v2
	s_waitcnt vmcnt(0)
	v_sub_f32_e32 v3, v228, v3
	buffer_store_dword v2, off, s[0:3], 0 offset:288
	buffer_store_dword v3, off, s[0:3], 0 offset:292
	v_cmpx_lt_u32_e32 35, v0
	s_cbranch_execz .LBB61_315
; %bb.314:
	s_clause 0x1
	buffer_load_dword v2, off, s[0:3], 0 offset:280
	buffer_load_dword v3, off, s[0:3], 0 offset:284
	buffer_store_dword v1, off, s[0:3], 0 offset:280
	buffer_store_dword v1, off, s[0:3], 0 offset:284
	s_waitcnt vmcnt(0)
	ds_write_b64 v137, v[2:3]
.LBB61_315:
	s_or_b32 exec_lo, exec_lo, s4
	s_waitcnt lgkmcnt(0)
	s_waitcnt_vscnt null, 0x0
	s_barrier
	buffer_gl0_inv
	s_clause 0x35
	buffer_load_dword v11, off, s[0:3], 0 offset:292
	buffer_load_dword v12, off, s[0:3], 0 offset:300
	;; [unrolled: 1-line block ×54, first 2 shown]
	ds_read_b128 v[3:6], v1 offset:784
	ds_read_b128 v[7:10], v1 offset:800
	;; [unrolled: 1-line block ×4, first 2 shown]
	s_mov_b32 s4, exec_lo
	s_waitcnt vmcnt(53) lgkmcnt(3)
	v_mul_f32_e32 v197, v3, v11
	v_mul_f32_e32 v11, v4, v11
	s_waitcnt vmcnt(52)
	v_mul_f32_e32 v198, v5, v12
	v_mul_f32_e32 v12, v6, v12
	s_waitcnt vmcnt(49)
	v_fmac_f32_e32 v197, v4, v148
	v_fma_f32 v11, v3, v148, -v11
	v_fmac_f32_e32 v198, v6, v147
	v_fma_f32 v12, v5, v147, -v12
	ds_read_b128 v[3:6], v1 offset:848
	s_waitcnt vmcnt(48) lgkmcnt(3)
	v_mul_f32_e32 v199, v7, v149
	v_mul_f32_e32 v147, v8, v149
	s_waitcnt vmcnt(47)
	v_mul_f32_e32 v148, v10, v150
	v_mul_f32_e32 v200, v9, v150
	s_waitcnt vmcnt(40) lgkmcnt(1)
	v_mul_f32_e32 v204, v142, v156
	v_fmac_f32_e32 v199, v8, v146
	v_fma_f32 v150, v7, v146, -v147
	v_mul_f32_e32 v146, v139, v154
	v_fma_f32 v201, v9, v153, -v148
	v_mul_f32_e32 v148, v143, v156
	v_add_f32_e32 v11, 0, v11
	v_fmac_f32_e32 v200, v10, v153
	ds_read_b128 v[7:10], v1 offset:864
	v_mul_f32_e32 v202, v138, v154
	v_fma_f32 v154, v138, v152, -v146
	v_add_f32_e32 v138, 0, v197
	v_fmac_f32_e32 v204, v143, v2
	v_fma_f32 v197, v142, v2, -v148
	v_add_f32_e32 v2, v11, v12
	s_waitcnt vmcnt(38) lgkmcnt(1)
	v_mul_f32_e32 v12, v4, v158
	v_add_f32_e32 v11, v138, v198
	v_mul_f32_e32 v206, v3, v158
	v_mul_f32_e32 v147, v141, v155
	v_add_f32_e32 v2, v2, v150
	s_waitcnt vmcnt(35)
	v_fma_f32 v12, v3, v161, -v12
	v_add_f32_e32 v3, v11, v199
	v_mul_f32_e32 v203, v140, v155
	v_mul_f32_e32 v205, v144, v157
	v_add_f32_e32 v2, v2, v201
	v_mul_f32_e32 v153, v145, v157
	v_fmac_f32_e32 v202, v139, v152
	s_waitcnt vmcnt(33)
	v_mul_f32_e32 v11, v5, v163
	v_add_f32_e32 v3, v3, v200
	v_fma_f32 v155, v140, v151, -v147
	v_add_f32_e32 v2, v2, v154
	v_fmac_f32_e32 v203, v141, v151
	v_fmac_f32_e32 v205, v145, v162
	v_fma_f32 v158, v144, v162, -v153
	v_fmac_f32_e32 v206, v4, v161
	v_mul_f32_e32 v4, v6, v163
	s_waitcnt vmcnt(31) lgkmcnt(0)
	v_mul_f32_e32 v162, v9, v165
	v_mul_f32_e32 v163, v10, v165
	v_fmac_f32_e32 v11, v6, v160
	v_add_f32_e32 v6, v3, v202
	v_mul_f32_e32 v161, v7, v164
	v_mul_f32_e32 v154, v8, v164
	v_add_f32_e32 v164, v2, v155
	s_waitcnt vmcnt(27)
	v_fmac_f32_e32 v162, v10, v169
	v_fma_f32 v10, v9, v169, -v163
	v_add_f32_e32 v163, v6, v203
	ds_read_b128 v[138:141], v1 offset:880
	ds_read_b128 v[146:149], v1 offset:896
	v_add_f32_e32 v164, v164, v197
	v_fma_f32 v160, v5, v160, -v4
	v_fmac_f32_e32 v161, v8, v159
	v_add_f32_e32 v163, v163, v204
	v_fma_f32 v159, v7, v159, -v154
	v_add_f32_e32 v158, v164, v158
	ds_read_b128 v[142:145], v1 offset:912
	ds_read_b128 v[150:153], v1 offset:928
	;; [unrolled: 1-line block ×4, first 2 shown]
	v_add_f32_e32 v163, v163, v205
	ds_read_b128 v[6:9], v1 offset:976
	v_add_f32_e32 v12, v158, v12
	v_add_f32_e32 v163, v163, v206
	;; [unrolled: 1-line block ×4, first 2 shown]
	s_waitcnt vmcnt(26) lgkmcnt(6)
	v_mul_f32_e32 v165, v139, v170
	v_add_f32_e32 v12, v12, v159
	v_mul_f32_e32 v1, v138, v170
	s_waitcnt vmcnt(25)
	v_mul_f32_e32 v170, v141, v171
	v_add_f32_e32 v11, v11, v161
	v_fma_f32 v138, v138, v168, -v165
	v_add_f32_e32 v10, v12, v10
	v_mul_f32_e32 v169, v140, v171
	v_fmac_f32_e32 v1, v139, v168
	v_add_f32_e32 v11, v11, v162
	s_waitcnt vmcnt(24) lgkmcnt(5)
	v_mul_f32_e32 v12, v147, v172
	v_fma_f32 v140, v140, v167, -v170
	v_add_f32_e32 v10, v10, v138
	v_mul_f32_e32 v164, v146, v172
	v_fmac_f32_e32 v169, v141, v167
	v_add_f32_e32 v1, v11, v1
	s_waitcnt vmcnt(23)
	v_mul_f32_e32 v11, v149, v173
	v_fma_f32 v12, v146, v166, -v12
	v_add_f32_e32 v10, v10, v140
	v_mul_f32_e32 v171, v148, v173
	v_fmac_f32_e32 v164, v147, v166
	v_add_f32_e32 v1, v1, v169
	s_waitcnt vmcnt(22) lgkmcnt(4)
	v_mul_f32_e32 v138, v143, v174
	s_waitcnt vmcnt(9)
	v_fma_f32 v11, v148, v187, -v11
	v_add_f32_e32 v10, v10, v12
	v_mul_f32_e32 v197, v142, v174
	v_fmac_f32_e32 v171, v149, v187
	v_add_f32_e32 v1, v1, v164
	v_mul_f32_e32 v12, v145, v175
	v_fma_f32 v138, v142, v186, -v138
	v_add_f32_e32 v10, v10, v11
	v_mul_f32_e32 v158, v144, v175
	v_fmac_f32_e32 v197, v143, v186
	v_add_f32_e32 v1, v1, v171
	s_waitcnt lgkmcnt(3)
	v_mul_f32_e32 v11, v151, v176
	v_fma_f32 v12, v144, v185, -v12
	v_add_f32_e32 v10, v10, v138
	v_mul_f32_e32 v198, v150, v176
	v_fmac_f32_e32 v158, v145, v185
	v_add_f32_e32 v1, v1, v197
	v_mul_f32_e32 v138, v153, v177
	v_fma_f32 v11, v150, v184, -v11
	v_add_f32_e32 v10, v10, v12
	v_mul_f32_e32 v199, v152, v177
	v_fmac_f32_e32 v198, v151, v184
	v_add_f32_e32 v1, v1, v158
	s_waitcnt lgkmcnt(2)
	v_mul_f32_e32 v160, v2, v178
	v_mul_f32_e32 v12, v3, v178
	s_waitcnt vmcnt(5)
	v_fma_f32 v138, v152, v191, -v138
	v_add_f32_e32 v10, v10, v11
	v_fmac_f32_e32 v199, v153, v191
	v_add_f32_e32 v1, v1, v198
	v_mul_f32_e32 v11, v5, v179
	v_fmac_f32_e32 v160, v3, v190
	v_fma_f32 v2, v2, v190, -v12
	v_add_f32_e32 v3, v10, v138
	v_mul_f32_e32 v163, v4, v179
	v_add_f32_e32 v1, v1, v199
	s_waitcnt lgkmcnt(1)
	v_mul_f32_e32 v10, v155, v180
	v_fma_f32 v4, v4, v189, -v11
	v_add_f32_e32 v2, v3, v2
	v_mul_f32_e32 v200, v154, v180
	v_fmac_f32_e32 v163, v5, v189
	v_add_f32_e32 v1, v1, v160
	v_mul_f32_e32 v3, v157, v181
	v_fma_f32 v5, v154, v188, -v10
	v_add_f32_e32 v2, v2, v4
	v_mul_f32_e32 v159, v156, v181
	v_fmac_f32_e32 v200, v155, v188
	v_add_f32_e32 v1, v1, v163
	s_waitcnt lgkmcnt(0)
	v_mul_f32_e32 v4, v7, v182
	s_waitcnt vmcnt(2)
	v_fma_f32 v3, v156, v194, -v3
	v_add_f32_e32 v2, v2, v5
	v_mul_f32_e32 v161, v6, v182
	v_fmac_f32_e32 v159, v157, v194
	v_add_f32_e32 v1, v1, v200
	v_mul_f32_e32 v5, v9, v183
	v_fma_f32 v4, v6, v193, -v4
	v_add_f32_e32 v2, v2, v3
	v_mul_f32_e32 v139, v8, v183
	v_fmac_f32_e32 v161, v7, v193
	v_add_f32_e32 v1, v1, v159
	v_fma_f32 v3, v8, v192, -v5
	v_add_f32_e32 v2, v2, v4
	v_fmac_f32_e32 v139, v9, v192
	v_add_f32_e32 v1, v1, v161
	v_add_f32_e32 v2, v2, v3
	;; [unrolled: 1-line block ×3, first 2 shown]
	s_waitcnt vmcnt(1)
	v_sub_f32_e32 v2, v195, v2
	s_waitcnt vmcnt(0)
	v_sub_f32_e32 v1, v196, v1
	buffer_store_dword v2, off, s[0:3], 0 offset:280
	buffer_store_dword v1, off, s[0:3], 0 offset:284
	v_cmpx_lt_u32_e32 34, v0
	s_cbranch_execz .LBB61_317
; %bb.316:
	s_clause 0x1
	buffer_load_dword v1, off, s[0:3], 0 offset:272
	buffer_load_dword v2, off, s[0:3], 0 offset:276
	v_mov_b32_e32 v3, 0
	buffer_store_dword v3, off, s[0:3], 0 offset:272
	buffer_store_dword v3, off, s[0:3], 0 offset:276
	s_waitcnt vmcnt(0)
	ds_write_b64 v137, v[1:2]
.LBB61_317:
	s_or_b32 exec_lo, exec_lo, s4
	s_waitcnt lgkmcnt(0)
	s_waitcnt_vscnt null, 0x0
	s_barrier
	buffer_gl0_inv
	s_clause 0x37
	buffer_load_dword v151, off, s[0:3], 0 offset:284
	buffer_load_dword v155, off, s[0:3], 0 offset:292
	buffer_load_dword v156, off, s[0:3], 0 offset:296
	buffer_load_dword v157, off, s[0:3], 0 offset:288
	buffer_load_dword v158, off, s[0:3], 0 offset:280
	buffer_load_dword v159, off, s[0:3], 0 offset:300
	buffer_load_dword v160, off, s[0:3], 0 offset:308
	buffer_load_dword v161, off, s[0:3], 0 offset:328
	buffer_load_dword v162, off, s[0:3], 0 offset:320
	buffer_load_dword v163, off, s[0:3], 0 offset:312
	buffer_load_dword v164, off, s[0:3], 0 offset:304
	buffer_load_dword v165, off, s[0:3], 0 offset:316
	buffer_load_dword v166, off, s[0:3], 0 offset:324
	buffer_load_dword v167, off, s[0:3], 0 offset:332
	buffer_load_dword v168, off, s[0:3], 0 offset:340
	buffer_load_dword v169, off, s[0:3], 0 offset:348
	buffer_load_dword v170, off, s[0:3], 0 offset:360
	buffer_load_dword v171, off, s[0:3], 0 offset:352
	buffer_load_dword v172, off, s[0:3], 0 offset:344
	buffer_load_dword v173, off, s[0:3], 0 offset:336
	buffer_load_dword v174, off, s[0:3], 0 offset:356
	buffer_load_dword v175, off, s[0:3], 0 offset:364
	buffer_load_dword v176, off, s[0:3], 0 offset:372
	buffer_load_dword v177, off, s[0:3], 0 offset:392
	buffer_load_dword v178, off, s[0:3], 0 offset:384
	buffer_load_dword v179, off, s[0:3], 0 offset:376
	buffer_load_dword v180, off, s[0:3], 0 offset:368
	buffer_load_dword v181, off, s[0:3], 0 offset:380
	buffer_load_dword v182, off, s[0:3], 0 offset:388
	buffer_load_dword v183, off, s[0:3], 0 offset:396
	buffer_load_dword v184, off, s[0:3], 0 offset:404
	buffer_load_dword v185, off, s[0:3], 0 offset:412
	buffer_load_dword v186, off, s[0:3], 0 offset:420
	buffer_load_dword v187, off, s[0:3], 0 offset:428
	buffer_load_dword v138, off, s[0:3], 0 offset:436
	buffer_load_dword v11, off, s[0:3], 0 offset:444
	buffer_load_dword v10, off, s[0:3], 0 offset:452
	buffer_load_dword v9, off, s[0:3], 0 offset:460
	buffer_load_dword v7, off, s[0:3], 0 offset:468
	buffer_load_dword v6, off, s[0:3], 0 offset:476
	buffer_load_dword v2, off, s[0:3], 0 offset:484
	buffer_load_dword v3, off, s[0:3], 0 offset:492
	buffer_load_dword v188, off, s[0:3], 0 offset:424
	buffer_load_dword v189, off, s[0:3], 0 offset:416
	buffer_load_dword v190, off, s[0:3], 0 offset:408
	buffer_load_dword v191, off, s[0:3], 0 offset:400
	buffer_load_dword v192, off, s[0:3], 0 offset:456
	buffer_load_dword v193, off, s[0:3], 0 offset:448
	buffer_load_dword v194, off, s[0:3], 0 offset:440
	buffer_load_dword v195, off, s[0:3], 0 offset:432
	buffer_load_dword v8, off, s[0:3], 0 offset:488
	buffer_load_dword v12, off, s[0:3], 0 offset:480
	buffer_load_dword v196, off, s[0:3], 0 offset:472
	buffer_load_dword v197, off, s[0:3], 0 offset:464
	buffer_load_dword v4, off, s[0:3], 0 offset:272
	buffer_load_dword v5, off, s[0:3], 0 offset:276
	v_mov_b32_e32 v1, 0
	ds_read2_b64 v[139:142], v1 offset0:97 offset1:98
	ds_read2_b64 v[143:146], v1 offset0:99 offset1:100
	;; [unrolled: 1-line block ×3, first 2 shown]
	s_mov_b32 s4, exec_lo
	s_waitcnt vmcnt(55) lgkmcnt(2)
	v_mul_f32_e32 v198, v139, v151
	v_mul_f32_e32 v199, v140, v151
	ds_read2_b64 v[151:154], v1 offset0:103 offset1:104
	s_waitcnt vmcnt(54)
	v_mul_f32_e32 v200, v141, v155
	v_mul_f32_e32 v155, v142, v155
	s_waitcnt vmcnt(51)
	v_fmac_f32_e32 v198, v140, v158
	v_fma_f32 v158, v139, v158, -v199
	s_waitcnt vmcnt(50) lgkmcnt(2)
	v_mul_f32_e32 v199, v143, v159
	v_fmac_f32_e32 v200, v142, v157
	v_fma_f32 v155, v141, v157, -v155
	s_waitcnt vmcnt(49)
	v_mul_f32_e32 v201, v145, v160
	v_mul_f32_e32 v157, v144, v159
	;; [unrolled: 1-line block ×3, first 2 shown]
	ds_read2_b64 v[139:142], v1 offset0:105 offset1:106
	v_fmac_f32_e32 v199, v144, v156
	s_waitcnt vmcnt(45)
	v_fmac_f32_e32 v201, v146, v164
	v_fma_f32 v156, v143, v156, -v157
	v_fma_f32 v159, v145, v164, -v159
	s_waitcnt vmcnt(44) lgkmcnt(2)
	v_mul_f32_e32 v164, v147, v165
	v_mul_f32_e32 v157, v148, v165
	ds_read2_b64 v[143:146], v1 offset0:107 offset1:108
	s_waitcnt vmcnt(43)
	v_mul_f32_e32 v165, v149, v166
	v_mul_f32_e32 v160, v150, v166
	v_add_f32_e32 v166, 0, v198
	v_fmac_f32_e32 v164, v148, v163
	v_fma_f32 v163, v147, v163, -v157
	v_add_f32_e32 v147, 0, v158
	s_waitcnt vmcnt(42) lgkmcnt(2)
	v_mul_f32_e32 v198, v151, v167
	v_add_f32_e32 v148, v166, v200
	v_mul_f32_e32 v157, v152, v167
	s_waitcnt vmcnt(41)
	v_mul_f32_e32 v200, v153, v168
	v_add_f32_e32 v147, v147, v155
	v_mul_f32_e32 v166, v154, v168
	s_waitcnt vmcnt(40) lgkmcnt(1)
	v_mul_f32_e32 v202, v139, v169
	v_fma_f32 v167, v149, v162, -v160
	v_fmac_f32_e32 v198, v152, v161
	v_fma_f32 v168, v151, v161, -v157
	v_add_f32_e32 v151, v148, v199
	v_add_f32_e32 v152, v147, v156
	v_mul_f32_e32 v160, v140, v169
	s_waitcnt vmcnt(37)
	v_fmac_f32_e32 v202, v140, v172
	s_waitcnt vmcnt(36)
	v_fmac_f32_e32 v200, v154, v173
	v_add_f32_e32 v140, v151, v201
	v_fma_f32 v169, v153, v173, -v166
	v_fma_f32 v172, v139, v172, -v160
	v_add_f32_e32 v139, v152, v159
	s_waitcnt vmcnt(35)
	v_mul_f32_e32 v173, v141, v174
	v_add_f32_e32 v140, v140, v164
	v_mul_f32_e32 v164, v142, v174
	s_waitcnt vmcnt(34) lgkmcnt(0)
	v_mul_f32_e32 v174, v143, v175
	v_add_f32_e32 v139, v139, v163
	v_mul_f32_e32 v163, v144, v175
	v_fmac_f32_e32 v165, v150, v162
	s_waitcnt vmcnt(33)
	v_mul_f32_e32 v199, v145, v176
	v_mul_f32_e32 v175, v146, v176
	v_fmac_f32_e32 v174, v144, v170
	v_fma_f32 v170, v143, v170, -v163
	v_add_f32_e32 v143, v139, v167
	v_add_f32_e32 v140, v140, v165
	s_waitcnt vmcnt(29)
	v_fmac_f32_e32 v199, v146, v180
	v_fma_f32 v175, v145, v180, -v175
	ds_read2_b64 v[147:150], v1 offset0:109 offset1:110
	ds_read2_b64 v[155:158], v1 offset0:111 offset1:112
	v_add_f32_e32 v180, v143, v168
	v_add_f32_e32 v176, v140, v198
	v_fmac_f32_e32 v173, v142, v171
	v_fma_f32 v171, v141, v171, -v164
	ds_read2_b64 v[151:154], v1 offset0:113 offset1:114
	ds_read2_b64 v[159:162], v1 offset0:115 offset1:116
	v_add_f32_e32 v169, v180, v169
	v_add_f32_e32 v176, v176, v200
	ds_read2_b64 v[139:142], v1 offset0:117 offset1:118
	ds_read2_b64 v[163:166], v1 offset0:119 offset1:120
	;; [unrolled: 1-line block ×3, first 2 shown]
	ds_read_b64 v[167:168], v1 offset:984
	v_add_f32_e32 v169, v169, v172
	v_add_f32_e32 v176, v176, v202
	v_add_f32_e32 v169, v169, v171
	v_add_f32_e32 v173, v176, v173
	s_waitcnt vmcnt(28) lgkmcnt(7)
	v_mul_f32_e32 v198, v147, v181
	v_mul_f32_e32 v181, v148, v181
	v_add_f32_e32 v169, v169, v170
	v_add_f32_e32 v170, v173, v174
	s_waitcnt vmcnt(27)
	v_mul_f32_e32 v180, v149, v182
	v_mul_f32_e32 v182, v150, v182
	v_fma_f32 v147, v147, v179, -v181
	v_add_f32_e32 v169, v169, v175
	v_fmac_f32_e32 v198, v148, v179
	v_add_f32_e32 v170, v170, v199
	s_waitcnt vmcnt(26) lgkmcnt(6)
	v_mul_f32_e32 v179, v156, v183
	v_fma_f32 v149, v149, v178, -v182
	v_add_f32_e32 v147, v169, v147
	v_mul_f32_e32 v200, v155, v183
	v_fmac_f32_e32 v180, v150, v178
	v_add_f32_e32 v169, v170, v198
	s_waitcnt vmcnt(25)
	v_mul_f32_e32 v175, v158, v184
	v_fma_f32 v155, v155, v177, -v179
	v_add_f32_e32 v147, v147, v149
	v_mul_f32_e32 v172, v157, v184
	v_fmac_f32_e32 v200, v156, v177
	v_add_f32_e32 v149, v169, v180
	s_waitcnt vmcnt(24) lgkmcnt(5)
	v_mul_f32_e32 v156, v152, v185
	s_waitcnt vmcnt(10)
	v_fma_f32 v157, v157, v191, -v175
	v_add_f32_e32 v147, v147, v155
	v_mul_f32_e32 v148, v151, v185
	v_fmac_f32_e32 v172, v158, v191
	v_add_f32_e32 v149, v149, v200
	v_mul_f32_e32 v155, v154, v186
	v_fma_f32 v151, v151, v190, -v156
	v_add_f32_e32 v147, v147, v157
	v_mul_f32_e32 v176, v153, v186
	v_fmac_f32_e32 v148, v152, v190
	v_add_f32_e32 v149, v149, v172
	s_waitcnt lgkmcnt(4)
	v_mul_f32_e32 v152, v160, v187
	v_fma_f32 v153, v153, v189, -v155
	v_add_f32_e32 v147, v147, v151
	v_mul_f32_e32 v171, v159, v187
	v_fmac_f32_e32 v176, v154, v189
	v_add_f32_e32 v148, v149, v148
	v_mul_f32_e32 v150, v161, v138
	v_mul_f32_e32 v138, v162, v138
	v_fma_f32 v149, v159, v188, -v152
	v_add_f32_e32 v147, v147, v153
	v_fmac_f32_e32 v171, v160, v188
	v_add_f32_e32 v148, v148, v176
	s_waitcnt lgkmcnt(3)
	v_mul_f32_e32 v178, v139, v11
	v_mul_f32_e32 v11, v140, v11
	s_waitcnt vmcnt(6)
	v_fma_f32 v138, v161, v195, -v138
	v_add_f32_e32 v147, v147, v149
	v_fmac_f32_e32 v150, v162, v195
	v_add_f32_e32 v148, v148, v171
	v_mul_f32_e32 v173, v141, v10
	v_mul_f32_e32 v10, v142, v10
	v_fma_f32 v11, v139, v194, -v11
	v_add_f32_e32 v138, v147, v138
	v_fmac_f32_e32 v178, v140, v194
	v_add_f32_e32 v139, v148, v150
	s_waitcnt lgkmcnt(2)
	v_mul_f32_e32 v174, v163, v9
	v_mul_f32_e32 v9, v164, v9
	v_fma_f32 v10, v141, v193, -v10
	v_add_f32_e32 v11, v138, v11
	v_fmac_f32_e32 v173, v142, v193
	v_add_f32_e32 v138, v139, v178
	v_mul_f32_e32 v181, v165, v7
	v_mul_f32_e32 v7, v166, v7
	v_fma_f32 v9, v163, v192, -v9
	v_add_f32_e32 v10, v11, v10
	v_fmac_f32_e32 v174, v164, v192
	v_add_f32_e32 v11, v138, v173
	s_waitcnt lgkmcnt(1)
	v_mul_f32_e32 v182, v143, v6
	v_mul_f32_e32 v6, v144, v6
	s_waitcnt vmcnt(2)
	v_fma_f32 v7, v165, v197, -v7
	v_add_f32_e32 v9, v10, v9
	v_fmac_f32_e32 v181, v166, v197
	v_add_f32_e32 v10, v11, v174
	v_mul_f32_e32 v183, v145, v2
	v_mul_f32_e32 v2, v146, v2
	v_fma_f32 v6, v143, v196, -v6
	v_add_f32_e32 v7, v9, v7
	v_fmac_f32_e32 v182, v144, v196
	v_add_f32_e32 v9, v10, v181
	s_waitcnt lgkmcnt(0)
	v_mul_f32_e32 v170, v167, v3
	v_mul_f32_e32 v3, v168, v3
	v_fma_f32 v2, v145, v12, -v2
	v_add_f32_e32 v6, v7, v6
	v_fmac_f32_e32 v183, v146, v12
	v_add_f32_e32 v7, v9, v182
	v_fma_f32 v3, v167, v8, -v3
	v_fmac_f32_e32 v170, v168, v8
	v_add_f32_e32 v2, v6, v2
	v_add_f32_e32 v6, v7, v183
	;; [unrolled: 1-line block ×4, first 2 shown]
	s_waitcnt vmcnt(1)
	v_sub_f32_e32 v2, v4, v2
	s_waitcnt vmcnt(0)
	v_sub_f32_e32 v3, v5, v3
	buffer_store_dword v2, off, s[0:3], 0 offset:272
	buffer_store_dword v3, off, s[0:3], 0 offset:276
	v_cmpx_lt_u32_e32 33, v0
	s_cbranch_execz .LBB61_319
; %bb.318:
	s_clause 0x1
	buffer_load_dword v2, off, s[0:3], 0 offset:264
	buffer_load_dword v3, off, s[0:3], 0 offset:268
	buffer_store_dword v1, off, s[0:3], 0 offset:264
	buffer_store_dword v1, off, s[0:3], 0 offset:268
	s_waitcnt vmcnt(0)
	ds_write_b64 v137, v[2:3]
.LBB61_319:
	s_or_b32 exec_lo, exec_lo, s4
	s_waitcnt lgkmcnt(0)
	s_waitcnt_vscnt null, 0x0
	s_barrier
	buffer_gl0_inv
	s_clause 0x39
	buffer_load_dword v157, off, s[0:3], 0 offset:276
	buffer_load_dword v158, off, s[0:3], 0 offset:284
	buffer_load_dword v159, off, s[0:3], 0 offset:288
	buffer_load_dword v160, off, s[0:3], 0 offset:280
	buffer_load_dword v161, off, s[0:3], 0 offset:272
	buffer_load_dword v162, off, s[0:3], 0 offset:292
	buffer_load_dword v163, off, s[0:3], 0 offset:300
	buffer_load_dword v164, off, s[0:3], 0 offset:308
	buffer_load_dword v165, off, s[0:3], 0 offset:316
	buffer_load_dword v166, off, s[0:3], 0 offset:320
	buffer_load_dword v167, off, s[0:3], 0 offset:312
	buffer_load_dword v168, off, s[0:3], 0 offset:304
	buffer_load_dword v169, off, s[0:3], 0 offset:296
	buffer_load_dword v170, off, s[0:3], 0 offset:324
	buffer_load_dword v171, off, s[0:3], 0 offset:332
	buffer_load_dword v172, off, s[0:3], 0 offset:352
	buffer_load_dword v173, off, s[0:3], 0 offset:344
	buffer_load_dword v174, off, s[0:3], 0 offset:336
	buffer_load_dword v175, off, s[0:3], 0 offset:328
	buffer_load_dword v176, off, s[0:3], 0 offset:340
	buffer_load_dword v177, off, s[0:3], 0 offset:348
	buffer_load_dword v178, off, s[0:3], 0 offset:356
	buffer_load_dword v179, off, s[0:3], 0 offset:364
	buffer_load_dword v12, off, s[0:3], 0 offset:384
	buffer_load_dword v180, off, s[0:3], 0 offset:376
	buffer_load_dword v181, off, s[0:3], 0 offset:368
	buffer_load_dword v182, off, s[0:3], 0 offset:360
	buffer_load_dword v183, off, s[0:3], 0 offset:372
	buffer_load_dword v184, off, s[0:3], 0 offset:380
	buffer_load_dword v185, off, s[0:3], 0 offset:388
	buffer_load_dword v186, off, s[0:3], 0 offset:396
	buffer_load_dword v143, off, s[0:3], 0 offset:404
	buffer_load_dword v142, off, s[0:3], 0 offset:412
	buffer_load_dword v141, off, s[0:3], 0 offset:420
	buffer_load_dword v140, off, s[0:3], 0 offset:428
	buffer_load_dword v138, off, s[0:3], 0 offset:436
	buffer_load_dword v11, off, s[0:3], 0 offset:444
	buffer_load_dword v10, off, s[0:3], 0 offset:452
	buffer_load_dword v8, off, s[0:3], 0 offset:460
	buffer_load_dword v7, off, s[0:3], 0 offset:468
	buffer_load_dword v6, off, s[0:3], 0 offset:476
	buffer_load_dword v5, off, s[0:3], 0 offset:484
	buffer_load_dword v2, off, s[0:3], 0 offset:492
	buffer_load_dword v187, off, s[0:3], 0 offset:416
	buffer_load_dword v188, off, s[0:3], 0 offset:408
	buffer_load_dword v189, off, s[0:3], 0 offset:400
	buffer_load_dword v190, off, s[0:3], 0 offset:392
	buffer_load_dword v191, off, s[0:3], 0 offset:448
	buffer_load_dword v192, off, s[0:3], 0 offset:440
	buffer_load_dword v193, off, s[0:3], 0 offset:432
	buffer_load_dword v194, off, s[0:3], 0 offset:424
	buffer_load_dword v139, off, s[0:3], 0 offset:480
	buffer_load_dword v144, off, s[0:3], 0 offset:472
	buffer_load_dword v195, off, s[0:3], 0 offset:464
	buffer_load_dword v196, off, s[0:3], 0 offset:456
	buffer_load_dword v9, off, s[0:3], 0 offset:488
	buffer_load_dword v3, off, s[0:3], 0 offset:264
	buffer_load_dword v4, off, s[0:3], 0 offset:268
	ds_read_b128 v[145:148], v1 offset:768
	ds_read_b128 v[149:152], v1 offset:784
	;; [unrolled: 1-line block ×3, first 2 shown]
	s_mov_b32 s4, exec_lo
	s_waitcnt vmcnt(57) lgkmcnt(2)
	v_mul_f32_e32 v197, v145, v157
	v_mul_f32_e32 v157, v146, v157
	s_waitcnt vmcnt(56)
	v_mul_f32_e32 v198, v147, v158
	v_mul_f32_e32 v158, v148, v158
	s_waitcnt vmcnt(53)
	v_fmac_f32_e32 v197, v146, v161
	v_fma_f32 v157, v145, v161, -v157
	v_fmac_f32_e32 v198, v148, v160
	v_fma_f32 v161, v147, v160, -v158
	ds_read_b128 v[145:148], v1 offset:816
	s_waitcnt vmcnt(52) lgkmcnt(2)
	v_mul_f32_e32 v199, v149, v162
	v_mul_f32_e32 v158, v150, v162
	s_waitcnt vmcnt(51)
	v_mul_f32_e32 v162, v151, v163
	v_mul_f32_e32 v160, v152, v163
	s_waitcnt vmcnt(50) lgkmcnt(1)
	v_mul_f32_e32 v200, v153, v164
	v_mul_f32_e32 v163, v154, v164
	s_waitcnt vmcnt(49)
	v_mul_f32_e32 v201, v155, v165
	v_mul_f32_e32 v164, v156, v165
	v_fmac_f32_e32 v199, v150, v159
	v_fma_f32 v165, v149, v159, -v158
	s_waitcnt vmcnt(45)
	v_fmac_f32_e32 v162, v152, v169
	v_fma_f32 v169, v151, v169, -v160
	ds_read_b128 v[149:152], v1 offset:832
	v_fmac_f32_e32 v200, v154, v168
	v_fma_f32 v168, v153, v168, -v163
	v_fmac_f32_e32 v201, v156, v167
	v_fma_f32 v202, v155, v167, -v164
	ds_read_b128 v[153:156], v1 offset:848
	v_add_f32_e32 v163, 0, v157
	s_waitcnt vmcnt(44) lgkmcnt(2)
	v_mul_f32_e32 v203, v145, v170
	v_mul_f32_e32 v158, v146, v170
	s_waitcnt vmcnt(43)
	v_mul_f32_e32 v170, v147, v171
	v_mul_f32_e32 v159, v148, v171
	v_add_f32_e32 v164, 0, v197
	v_add_f32_e32 v161, v163, v161
	v_fmac_f32_e32 v203, v146, v166
	v_fma_f32 v171, v145, v166, -v158
	s_waitcnt vmcnt(39)
	v_fmac_f32_e32 v170, v148, v175
	v_fma_f32 v175, v147, v175, -v159
	ds_read_b128 v[145:148], v1 offset:864
	ds_read_b128 v[157:160], v1 offset:880
	v_add_f32_e32 v164, v164, v198
	v_add_f32_e32 v161, v161, v165
	s_waitcnt vmcnt(38) lgkmcnt(3)
	v_mul_f32_e32 v197, v149, v176
	v_mul_f32_e32 v163, v150, v176
	s_waitcnt vmcnt(37)
	v_mul_f32_e32 v176, v151, v177
	v_mul_f32_e32 v166, v152, v177
	v_add_f32_e32 v164, v164, v199
	s_waitcnt vmcnt(36) lgkmcnt(2)
	v_mul_f32_e32 v177, v153, v178
	v_mul_f32_e32 v165, v154, v178
	v_fmac_f32_e32 v176, v152, v173
	v_fma_f32 v173, v151, v173, -v166
	v_add_f32_e32 v166, v161, v169
	v_add_f32_e32 v167, v164, v162
	s_waitcnt vmcnt(35)
	v_mul_f32_e32 v169, v156, v179
	v_mul_f32_e32 v198, v155, v179
	v_fmac_f32_e32 v177, v154, v172
	v_fma_f32 v178, v153, v172, -v165
	v_add_f32_e32 v172, v166, v168
	s_waitcnt vmcnt(31)
	v_fma_f32 v179, v155, v182, -v169
	v_add_f32_e32 v169, v167, v200
	v_fmac_f32_e32 v198, v156, v182
	s_waitcnt vmcnt(30) lgkmcnt(1)
	v_mul_f32_e32 v182, v145, v183
	v_add_f32_e32 v172, v172, v202
	v_mul_f32_e32 v183, v146, v183
	v_add_f32_e32 v169, v169, v201
	v_fmac_f32_e32 v197, v150, v174
	v_fmac_f32_e32 v182, v146, v181
	v_add_f32_e32 v146, v172, v171
	v_fma_f32 v174, v149, v174, -v163
	v_add_f32_e32 v169, v169, v203
	v_fma_f32 v181, v145, v181, -v183
	ds_read_b128 v[149:152], v1 offset:896
	ds_read_b128 v[161:164], v1 offset:912
	v_add_f32_e32 v175, v146, v175
	s_waitcnt vmcnt(29)
	v_mul_f32_e32 v199, v147, v184
	v_add_f32_e32 v183, v169, v170
	v_mul_f32_e32 v184, v148, v184
	ds_read_b128 v[153:156], v1 offset:928
	ds_read_b128 v[165:168], v1 offset:944
	v_add_f32_e32 v174, v175, v174
	v_fmac_f32_e32 v199, v148, v180
	v_add_f32_e32 v183, v183, v197
	v_fma_f32 v180, v147, v180, -v184
	ds_read_b128 v[145:148], v1 offset:960
	ds_read_b128 v[169:172], v1 offset:976
	v_add_f32_e32 v173, v174, v173
	s_waitcnt vmcnt(28) lgkmcnt(6)
	v_mul_f32_e32 v1, v157, v185
	v_add_f32_e32 v176, v183, v176
	v_mul_f32_e32 v175, v158, v185
	s_waitcnt vmcnt(27)
	v_mul_f32_e32 v185, v160, v186
	v_add_f32_e32 v173, v173, v178
	v_fmac_f32_e32 v1, v158, v12
	v_add_f32_e32 v176, v176, v177
	v_fma_f32 v12, v157, v12, -v175
	v_mul_f32_e32 v184, v159, v186
	v_add_f32_e32 v173, v173, v179
	s_waitcnt vmcnt(26) lgkmcnt(5)
	v_mul_f32_e32 v174, v149, v143
	v_add_f32_e32 v176, v176, v198
	v_mul_f32_e32 v143, v150, v143
	s_waitcnt vmcnt(11)
	v_fma_f32 v159, v159, v190, -v185
	v_add_f32_e32 v173, v173, v181
	v_fmac_f32_e32 v184, v160, v190
	v_add_f32_e32 v176, v176, v182
	v_mul_f32_e32 v183, v151, v142
	v_mul_f32_e32 v142, v152, v142
	v_add_f32_e32 v158, v173, v180
	v_fma_f32 v143, v149, v189, -v143
	v_add_f32_e32 v173, v176, v199
	v_fmac_f32_e32 v174, v150, v189
	s_waitcnt lgkmcnt(4)
	v_mul_f32_e32 v186, v161, v141
	v_add_f32_e32 v12, v158, v12
	v_mul_f32_e32 v141, v162, v141
	v_add_f32_e32 v1, v173, v1
	v_fma_f32 v142, v151, v188, -v142
	v_fmac_f32_e32 v183, v152, v188
	v_add_f32_e32 v12, v12, v159
	v_mul_f32_e32 v178, v163, v140
	v_add_f32_e32 v1, v1, v184
	v_mul_f32_e32 v140, v164, v140
	v_fma_f32 v141, v161, v187, -v141
	v_add_f32_e32 v12, v12, v143
	v_fmac_f32_e32 v186, v162, v187
	v_add_f32_e32 v1, v1, v174
	s_waitcnt lgkmcnt(3)
	v_mul_f32_e32 v177, v153, v138
	v_mul_f32_e32 v138, v154, v138
	v_add_f32_e32 v12, v12, v142
	s_waitcnt vmcnt(7)
	v_fma_f32 v140, v163, v194, -v140
	v_add_f32_e32 v1, v1, v183
	v_fmac_f32_e32 v178, v164, v194
	v_mul_f32_e32 v197, v155, v11
	v_add_f32_e32 v12, v12, v141
	v_mul_f32_e32 v11, v156, v11
	v_add_f32_e32 v1, v1, v186
	v_fma_f32 v138, v153, v193, -v138
	v_fmac_f32_e32 v177, v154, v193
	v_add_f32_e32 v12, v12, v140
	s_waitcnt lgkmcnt(2)
	v_mul_f32_e32 v179, v165, v10
	v_add_f32_e32 v1, v1, v178
	v_mul_f32_e32 v10, v166, v10
	v_fma_f32 v11, v155, v192, -v11
	v_add_f32_e32 v12, v12, v138
	v_fmac_f32_e32 v197, v156, v192
	v_add_f32_e32 v1, v1, v177
	v_mul_f32_e32 v198, v167, v8
	v_mul_f32_e32 v8, v168, v8
	v_fma_f32 v10, v165, v191, -v10
	v_add_f32_e32 v11, v12, v11
	v_fmac_f32_e32 v179, v166, v191
	v_add_f32_e32 v1, v1, v197
	s_waitcnt lgkmcnt(1)
	v_mul_f32_e32 v200, v145, v7
	v_mul_f32_e32 v7, v146, v7
	s_waitcnt vmcnt(3)
	v_fma_f32 v8, v167, v196, -v8
	v_add_f32_e32 v10, v11, v10
	v_fmac_f32_e32 v198, v168, v196
	v_add_f32_e32 v1, v1, v179
	v_mul_f32_e32 v181, v147, v6
	v_mul_f32_e32 v6, v148, v6
	v_fma_f32 v7, v145, v195, -v7
	v_add_f32_e32 v8, v10, v8
	v_fmac_f32_e32 v200, v146, v195
	v_add_f32_e32 v1, v1, v198
	s_waitcnt lgkmcnt(0)
	v_mul_f32_e32 v182, v169, v5
	v_mul_f32_e32 v5, v170, v5
	v_fma_f32 v6, v147, v144, -v6
	v_add_f32_e32 v7, v8, v7
	v_fmac_f32_e32 v181, v148, v144
	v_add_f32_e32 v1, v1, v200
	v_mul_f32_e32 v157, v171, v2
	v_mul_f32_e32 v2, v172, v2
	v_fma_f32 v5, v169, v139, -v5
	v_add_f32_e32 v6, v7, v6
	v_fmac_f32_e32 v182, v170, v139
	v_add_f32_e32 v1, v1, v181
	s_waitcnt vmcnt(2)
	v_fma_f32 v2, v171, v9, -v2
	v_fmac_f32_e32 v157, v172, v9
	v_add_f32_e32 v5, v6, v5
	v_add_f32_e32 v1, v1, v182
	;; [unrolled: 1-line block ×4, first 2 shown]
	s_waitcnt vmcnt(1)
	v_sub_f32_e32 v2, v3, v2
	s_waitcnt vmcnt(0)
	v_sub_f32_e32 v1, v4, v1
	buffer_store_dword v2, off, s[0:3], 0 offset:264
	buffer_store_dword v1, off, s[0:3], 0 offset:268
	v_cmpx_lt_u32_e32 32, v0
	s_cbranch_execz .LBB61_321
; %bb.320:
	s_clause 0x1
	buffer_load_dword v1, off, s[0:3], 0 offset:256
	buffer_load_dword v2, off, s[0:3], 0 offset:260
	v_mov_b32_e32 v3, 0
	buffer_store_dword v3, off, s[0:3], 0 offset:256
	buffer_store_dword v3, off, s[0:3], 0 offset:260
	s_waitcnt vmcnt(0)
	ds_write_b64 v137, v[1:2]
.LBB61_321:
	s_or_b32 exec_lo, exec_lo, s4
	s_waitcnt lgkmcnt(0)
	s_waitcnt_vscnt null, 0x0
	s_barrier
	buffer_gl0_inv
	s_clause 0x3b
	buffer_load_dword v169, off, s[0:3], 0 offset:268
	buffer_load_dword v170, off, s[0:3], 0 offset:276
	;; [unrolled: 1-line block ×60, first 2 shown]
	v_mov_b32_e32 v1, 0
	ds_read2_b64 v[157:160], v1 offset0:95 offset1:96
	ds_read2_b64 v[161:164], v1 offset0:97 offset1:98
	;; [unrolled: 1-line block ×3, first 2 shown]
	s_mov_b32 s4, exec_lo
	s_waitcnt vmcnt(59) lgkmcnt(2)
	v_mul_f32_e32 v199, v157, v169
	s_waitcnt vmcnt(58)
	v_mul_f32_e32 v200, v159, v170
	v_mul_f32_e32 v169, v158, v169
	;; [unrolled: 1-line block ×3, first 2 shown]
	s_waitcnt vmcnt(55)
	v_fmac_f32_e32 v199, v158, v172
	v_fmac_f32_e32 v200, v160, v171
	v_fma_f32 v169, v157, v172, -v169
	v_fma_f32 v170, v159, v171, -v170
	ds_read2_b64 v[157:160], v1 offset0:101 offset1:102
	s_waitcnt vmcnt(54) lgkmcnt(2)
	v_mul_f32_e32 v201, v161, v153
	v_mul_f32_e32 v153, v162, v153
	s_waitcnt vmcnt(53)
	v_mul_f32_e32 v202, v163, v152
	v_mul_f32_e32 v152, v164, v152
	s_waitcnt vmcnt(47) lgkmcnt(1)
	v_mul_f32_e32 v171, v168, v176
	v_fmac_f32_e32 v201, v162, v148
	v_fma_f32 v148, v161, v148, -v153
	v_fmac_f32_e32 v202, v164, v175
	v_fma_f32 v152, v163, v175, -v152
	ds_read2_b64 v[161:164], v1 offset0:103 offset1:104
	v_mul_f32_e32 v203, v167, v176
	v_mul_f32_e32 v153, v165, v150
	;; [unrolled: 1-line block ×3, first 2 shown]
	v_fma_f32 v204, v167, v173, -v171
	v_fmac_f32_e32 v203, v168, v173
	v_add_f32_e32 v173, 0, v199
	v_fmac_f32_e32 v153, v166, v174
	v_fma_f32 v150, v165, v174, -v150
	s_waitcnt vmcnt(46) lgkmcnt(1)
	v_mul_f32_e32 v205, v157, v177
	v_mul_f32_e32 v171, v158, v177
	ds_read2_b64 v[165:168], v1 offset0:105 offset1:106
	v_add_f32_e32 v173, v173, v200
	s_waitcnt vmcnt(45)
	v_mul_f32_e32 v206, v159, v178
	v_fmac_f32_e32 v205, v158, v155
	v_add_f32_e32 v158, 0, v169
	v_mul_f32_e32 v172, v160, v178
	v_add_f32_e32 v173, v173, v201
	s_waitcnt vmcnt(41)
	v_fmac_f32_e32 v206, v160, v181
	v_fma_f32 v155, v157, v155, -v171
	v_add_f32_e32 v174, v158, v170
	v_fma_f32 v181, v159, v181, -v172
	v_add_f32_e32 v173, v173, v202
	ds_read2_b64 v[157:160], v1 offset0:107 offset1:108
	ds_read2_b64 v[169:172], v1 offset0:109 offset1:110
	s_waitcnt vmcnt(40) lgkmcnt(3)
	v_mul_f32_e32 v199, v161, v182
	v_add_f32_e32 v148, v174, v148
	v_mul_f32_e32 v174, v162, v182
	v_add_f32_e32 v153, v173, v153
	s_waitcnt vmcnt(39)
	v_mul_f32_e32 v175, v164, v183
	v_mul_f32_e32 v200, v163, v183
	v_add_f32_e32 v148, v148, v152
	s_waitcnt vmcnt(37) lgkmcnt(2)
	v_mul_f32_e32 v152, v167, v149
	v_mul_f32_e32 v149, v168, v149
	v_fma_f32 v182, v161, v180, -v174
	v_fmac_f32_e32 v199, v162, v180
	v_add_f32_e32 v148, v148, v150
	v_add_f32_e32 v150, v153, v203
	s_waitcnt vmcnt(33)
	v_fma_f32 v153, v167, v187, -v149
	v_mul_f32_e32 v201, v165, v184
	v_mul_f32_e32 v177, v166, v184
	v_add_f32_e32 v148, v148, v204
	v_add_f32_e32 v149, v150, v205
	v_fma_f32 v202, v163, v179, -v175
	s_waitcnt vmcnt(32) lgkmcnt(1)
	v_mul_f32_e32 v150, v157, v188
	v_mul_f32_e32 v183, v158, v188
	v_add_f32_e32 v148, v148, v155
	v_add_f32_e32 v149, v149, v206
	v_fmac_f32_e32 v200, v164, v179
	v_fmac_f32_e32 v152, v168, v187
	;; [unrolled: 1-line block ×3, first 2 shown]
	v_add_f32_e32 v148, v148, v181
	v_add_f32_e32 v187, v149, v199
	v_fma_f32 v145, v165, v145, -v177
	ds_read2_b64 v[161:164], v1 offset0:111 offset1:112
	ds_read2_b64 v[173:176], v1 offset0:113 offset1:114
	s_waitcnt vmcnt(31)
	v_mul_f32_e32 v155, v159, v189
	v_add_f32_e32 v188, v148, v182
	v_add_f32_e32 v187, v187, v200
	v_mul_f32_e32 v184, v160, v189
	v_fmac_f32_e32 v150, v158, v186
	v_fma_f32 v186, v157, v186, -v183
	v_add_f32_e32 v188, v188, v202
	v_add_f32_e32 v187, v187, v201
	v_fmac_f32_e32 v155, v160, v185
	v_fma_f32 v185, v159, v185, -v184
	s_waitcnt vmcnt(30) lgkmcnt(2)
	v_mul_f32_e32 v189, v169, v143
	v_add_f32_e32 v145, v188, v145
	v_add_f32_e32 v152, v187, v152
	v_mul_f32_e32 v143, v170, v143
	s_waitcnt vmcnt(29)
	v_mul_f32_e32 v199, v171, v144
	v_mul_f32_e32 v144, v172, v144
	v_add_f32_e32 v145, v145, v153
	v_add_f32_e32 v150, v152, v150
	v_fmac_f32_e32 v189, v170, v139
	v_fma_f32 v139, v169, v139, -v143
	s_waitcnt vmcnt(28) lgkmcnt(1)
	v_mul_f32_e32 v200, v161, v140
	v_add_f32_e32 v145, v145, v186
	v_add_f32_e32 v150, v150, v155
	v_mul_f32_e32 v140, v162, v140
	s_waitcnt vmcnt(20)
	v_fma_f32 v144, v171, v193, -v144
	ds_read2_b64 v[165:168], v1 offset0:115 offset1:116
	ds_read2_b64 v[177:180], v1 offset0:117 offset1:118
	v_add_f32_e32 v145, v145, v185
	v_fmac_f32_e32 v199, v172, v193
	v_mul_f32_e32 v188, v163, v10
	v_mul_f32_e32 v10, v164, v10
	v_fma_f32 v140, v161, v192, -v140
	v_add_f32_e32 v139, v145, v139
	v_add_f32_e32 v145, v150, v189
	v_fmac_f32_e32 v200, v162, v192
	s_waitcnt lgkmcnt(2)
	v_mul_f32_e32 v143, v173, v8
	v_mul_f32_e32 v8, v174, v8
	v_add_f32_e32 v139, v139, v144
	v_add_f32_e32 v144, v145, v199
	v_fma_f32 v10, v163, v191, -v10
	v_fmac_f32_e32 v188, v164, v191
	v_mul_f32_e32 v169, v175, v6
	v_add_f32_e32 v139, v139, v140
	v_add_f32_e32 v140, v144, v200
	v_mul_f32_e32 v6, v176, v6
	v_fma_f32 v8, v173, v190, -v8
	v_fmac_f32_e32 v143, v174, v190
	v_add_f32_e32 v10, v139, v10
	v_add_f32_e32 v139, v140, v188
	s_waitcnt lgkmcnt(1)
	v_mul_f32_e32 v153, v165, v5
	v_mul_f32_e32 v5, v166, v5
	s_waitcnt vmcnt(8)
	v_fma_f32 v6, v175, v198, -v6
	v_add_f32_e32 v8, v10, v8
	v_fmac_f32_e32 v169, v176, v198
	v_add_f32_e32 v10, v139, v143
	ds_read2_b64 v[157:160], v1 offset0:119 offset1:120
	ds_read2_b64 v[181:184], v1 offset0:121 offset1:122
	ds_read_b64 v[148:149], v1 offset:984
	v_mul_f32_e32 v139, v168, v194
	v_fma_f32 v5, v165, v197, -v5
	v_add_f32_e32 v6, v8, v6
	v_mul_f32_e32 v170, v167, v194
	v_fmac_f32_e32 v153, v166, v197
	v_add_f32_e32 v8, v10, v169
	s_waitcnt lgkmcnt(3)
	v_mul_f32_e32 v10, v178, v195
	v_fma_f32 v139, v167, v196, -v139
	v_add_f32_e32 v5, v6, v5
	v_mul_f32_e32 v171, v177, v195
	v_fmac_f32_e32 v170, v168, v196
	v_add_f32_e32 v6, v8, v153
	v_mul_f32_e32 v8, v180, v151
	v_fma_f32 v10, v177, v156, -v10
	v_add_f32_e32 v5, v5, v139
	v_mul_f32_e32 v152, v179, v151
	v_fmac_f32_e32 v171, v178, v156
	v_add_f32_e32 v6, v6, v170
	s_waitcnt lgkmcnt(2)
	v_mul_f32_e32 v139, v158, v146
	s_waitcnt vmcnt(4)
	v_fma_f32 v8, v179, v154, -v8
	v_add_f32_e32 v5, v5, v10
	v_mul_f32_e32 v172, v157, v146
	v_fmac_f32_e32 v152, v180, v154
	v_add_f32_e32 v6, v6, v171
	v_mul_f32_e32 v10, v160, v142
	v_fma_f32 v139, v157, v147, -v139
	v_add_f32_e32 v5, v5, v8
	v_mul_f32_e32 v186, v159, v142
	v_fmac_f32_e32 v172, v158, v147
	v_add_f32_e32 v6, v6, v152
	s_waitcnt lgkmcnt(1)
	v_mul_f32_e32 v8, v182, v138
	v_fma_f32 v10, v159, v141, -v10
	v_add_f32_e32 v5, v5, v139
	v_mul_f32_e32 v155, v181, v138
	v_fmac_f32_e32 v186, v160, v141
	v_add_f32_e32 v6, v6, v172
	v_mul_f32_e32 v185, v183, v9
	v_mul_f32_e32 v9, v184, v9
	v_fma_f32 v8, v181, v12, -v8
	v_add_f32_e32 v5, v5, v10
	v_fmac_f32_e32 v155, v182, v12
	v_add_f32_e32 v6, v6, v186
	s_waitcnt lgkmcnt(0)
	v_mul_f32_e32 v150, v148, v4
	v_mul_f32_e32 v4, v149, v4
	s_waitcnt vmcnt(2)
	v_fma_f32 v9, v183, v11, -v9
	v_add_f32_e32 v5, v5, v8
	v_fmac_f32_e32 v185, v184, v11
	v_add_f32_e32 v6, v6, v155
	v_fma_f32 v4, v148, v7, -v4
	v_fmac_f32_e32 v150, v149, v7
	v_add_f32_e32 v5, v5, v9
	v_add_f32_e32 v6, v6, v185
	;; [unrolled: 1-line block ×4, first 2 shown]
	s_waitcnt vmcnt(1)
	v_sub_f32_e32 v2, v2, v4
	s_waitcnt vmcnt(0)
	v_sub_f32_e32 v3, v3, v5
	buffer_store_dword v2, off, s[0:3], 0 offset:256
	buffer_store_dword v3, off, s[0:3], 0 offset:260
	v_cmpx_lt_u32_e32 31, v0
	s_cbranch_execz .LBB61_323
; %bb.322:
	s_clause 0x1
	buffer_load_dword v2, off, s[0:3], 0 offset:248
	buffer_load_dword v3, off, s[0:3], 0 offset:252
	buffer_store_dword v1, off, s[0:3], 0 offset:248
	buffer_store_dword v1, off, s[0:3], 0 offset:252
	s_waitcnt vmcnt(0)
	ds_write_b64 v137, v[2:3]
.LBB61_323:
	s_or_b32 exec_lo, exec_lo, s4
	s_waitcnt lgkmcnt(0)
	s_waitcnt_vscnt null, 0x0
	s_barrier
	buffer_gl0_inv
	s_clause 0x3d
	buffer_load_dword v167, off, s[0:3], 0 offset:260
	buffer_load_dword v168, off, s[0:3], 0 offset:268
	;; [unrolled: 1-line block ×62, first 2 shown]
	ds_read_b128 v[159:162], v1 offset:752
	ds_read_b128 v[163:166], v1 offset:768
	s_mov_b32 s4, exec_lo
	s_waitcnt vmcnt(61) lgkmcnt(1)
	v_mul_f32_e32 v178, v159, v167
	s_waitcnt vmcnt(60)
	v_mul_f32_e32 v198, v161, v168
	v_mul_f32_e32 v167, v160, v167
	;; [unrolled: 1-line block ×3, first 2 shown]
	s_waitcnt vmcnt(57)
	v_fmac_f32_e32 v178, v160, v170
	v_fmac_f32_e32 v198, v162, v169
	v_fma_f32 v167, v159, v170, -v167
	v_fma_f32 v199, v161, v169, -v168
	ds_read_b128 v[159:162], v1 offset:784
	s_waitcnt vmcnt(56) lgkmcnt(1)
	v_mul_f32_e32 v200, v163, v171
	v_mul_f32_e32 v168, v164, v171
	s_waitcnt vmcnt(55)
	v_mul_f32_e32 v201, v165, v172
	v_mul_f32_e32 v169, v166, v172
	v_fmac_f32_e32 v200, v164, v156
	v_fma_f32 v156, v163, v156, -v168
	s_waitcnt vmcnt(51)
	v_fmac_f32_e32 v201, v166, v173
	v_fma_f32 v202, v165, v173, -v169
	ds_read_b128 v[163:166], v1 offset:800
	s_waitcnt vmcnt(49) lgkmcnt(1)
	v_mul_f32_e32 v204, v161, v151
	v_mul_f32_e32 v151, v162, v151
	v_mul_f32_e32 v203, v159, v152
	v_mul_f32_e32 v152, v160, v152
	v_fmac_f32_e32 v204, v162, v146
	v_fma_f32 v146, v161, v146, -v151
	v_fmac_f32_e32 v203, v160, v147
	v_fma_f32 v147, v159, v147, -v152
	ds_read_b128 v[159:162], v1 offset:816
	s_waitcnt vmcnt(48) lgkmcnt(1)
	v_mul_f32_e32 v205, v163, v11
	v_mul_f32_e32 v11, v164, v11
	s_waitcnt vmcnt(47)
	v_mul_f32_e32 v206, v165, v174
	v_mul_f32_e32 v151, v166, v174
	v_add_f32_e32 v152, 0, v178
	v_fmac_f32_e32 v205, v164, v7
	v_fma_f32 v7, v163, v7, -v11
	s_waitcnt vmcnt(43)
	v_fmac_f32_e32 v206, v166, v175
	v_fma_f32 v11, v165, v175, -v151
	ds_read_b128 v[163:166], v1 offset:832
	v_add_f32_e32 v151, 0, v167
	v_add_f32_e32 v152, v152, v198
	ds_read_b128 v[167:170], v1 offset:848
	ds_read_b128 v[171:174], v1 offset:864
	v_add_f32_e32 v151, v151, v199
	v_add_f32_e32 v152, v152, v200
	s_waitcnt vmcnt(42) lgkmcnt(3)
	v_mul_f32_e32 v199, v159, v158
	v_add_f32_e32 v151, v151, v156
	v_add_f32_e32 v152, v152, v201
	v_mul_f32_e32 v158, v160, v158
	s_waitcnt vmcnt(41)
	v_mul_f32_e32 v198, v161, v150
	v_mul_f32_e32 v150, v162, v150
	v_add_f32_e32 v151, v151, v202
	v_fmac_f32_e32 v199, v160, v153
	v_fma_f32 v156, v159, v153, -v158
	v_fmac_f32_e32 v198, v162, v9
	s_waitcnt vmcnt(40) lgkmcnt(2)
	v_mul_f32_e32 v200, v163, v148
	v_mul_f32_e32 v148, v164, v148
	v_add_f32_e32 v147, v151, v147
	v_add_f32_e32 v151, v152, v203
	s_waitcnt vmcnt(39)
	v_mul_f32_e32 v201, v165, v154
	v_fmac_f32_e32 v200, v164, v8
	v_fma_f32 v148, v163, v8, -v148
	v_add_f32_e32 v8, v147, v146
	v_add_f32_e32 v146, v151, v204
	v_mul_f32_e32 v154, v166, v154
	s_waitcnt vmcnt(38) lgkmcnt(1)
	v_mul_f32_e32 v202, v167, v142
	v_mul_f32_e32 v142, v168, v142
	v_add_f32_e32 v7, v8, v7
	v_add_f32_e32 v8, v146, v205
	v_fma_f32 v9, v161, v9, -v150
	s_waitcnt vmcnt(32) lgkmcnt(0)
	v_mul_f32_e32 v146, v171, v140
	v_mul_f32_e32 v140, v172, v140
	v_add_f32_e32 v7, v7, v11
	v_add_f32_e32 v8, v8, v206
	v_mul_f32_e32 v11, v169, v143
	v_fmac_f32_e32 v201, v166, v177
	v_fma_f32 v147, v165, v177, -v154
	v_add_f32_e32 v7, v7, v156
	v_fma_f32 v154, v167, v176, -v142
	s_waitcnt vmcnt(31)
	v_mul_f32_e32 v166, v174, v141
	v_add_f32_e32 v167, v8, v199
	v_mul_f32_e32 v142, v170, v143
	v_fmac_f32_e32 v11, v170, v12
	v_fma_f32 v170, v171, v10, -v140
	v_add_f32_e32 v171, v7, v9
	v_mul_f32_e32 v156, v173, v141
	v_fmac_f32_e32 v146, v172, v10
	s_waitcnt vmcnt(27)
	v_fma_f32 v172, v173, v182, -v166
	v_add_f32_e32 v173, v167, v198
	v_add_f32_e32 v148, v171, v148
	ds_read_b128 v[150:153], v1 offset:880
	ds_read_b128 v[158:161], v1 offset:896
	v_fmac_f32_e32 v202, v168, v176
	v_fma_f32 v12, v169, v12, -v142
	v_add_f32_e32 v173, v173, v200
	v_add_f32_e32 v147, v148, v147
	ds_read_b128 v[162:165], v1 offset:912
	ds_read_b128 v[175:178], v1 offset:928
	;; [unrolled: 1-line block ×4, first 2 shown]
	v_fmac_f32_e32 v156, v174, v182
	v_add_f32_e32 v173, v173, v201
	v_add_f32_e32 v147, v147, v154
	ds_read_b128 v[166:169], v1 offset:976
	v_add_f32_e32 v173, v173, v202
	v_add_f32_e32 v12, v147, v12
	;; [unrolled: 1-line block ×3, first 2 shown]
	s_waitcnt vmcnt(26) lgkmcnt(6)
	v_mul_f32_e32 v171, v151, v183
	v_add_f32_e32 v12, v12, v170
	v_mul_f32_e32 v1, v150, v183
	s_waitcnt vmcnt(25)
	v_mul_f32_e32 v182, v153, v184
	v_add_f32_e32 v11, v11, v146
	v_fma_f32 v150, v150, v181, -v171
	v_add_f32_e32 v12, v12, v172
	v_mul_f32_e32 v174, v152, v184
	v_fmac_f32_e32 v1, v151, v181
	v_add_f32_e32 v11, v11, v156
	s_waitcnt vmcnt(24) lgkmcnt(5)
	v_mul_f32_e32 v156, v159, v185
	v_fma_f32 v152, v152, v180, -v182
	v_add_f32_e32 v12, v12, v150
	v_mul_f32_e32 v148, v158, v185
	v_fmac_f32_e32 v174, v153, v180
	v_add_f32_e32 v1, v11, v1
	s_waitcnt vmcnt(23)
	v_mul_f32_e32 v11, v161, v186
	v_fma_f32 v150, v158, v179, -v156
	v_add_f32_e32 v12, v12, v152
	v_mul_f32_e32 v183, v160, v186
	v_fmac_f32_e32 v148, v159, v179
	v_add_f32_e32 v1, v1, v174
	s_waitcnt vmcnt(22) lgkmcnt(4)
	v_mul_f32_e32 v152, v163, v187
	s_waitcnt vmcnt(9)
	v_fma_f32 v11, v160, v192, -v11
	v_add_f32_e32 v12, v12, v150
	v_mul_f32_e32 v184, v162, v187
	v_fmac_f32_e32 v183, v161, v192
	v_add_f32_e32 v1, v1, v148
	v_mul_f32_e32 v148, v165, v188
	v_fma_f32 v150, v162, v191, -v152
	v_add_f32_e32 v11, v12, v11
	v_mul_f32_e32 v154, v164, v188
	v_fmac_f32_e32 v184, v163, v191
	v_add_f32_e32 v1, v1, v183
	s_waitcnt lgkmcnt(3)
	v_mul_f32_e32 v12, v176, v189
	v_fma_f32 v148, v164, v190, -v148
	v_add_f32_e32 v11, v11, v150
	v_mul_f32_e32 v198, v175, v189
	v_fmac_f32_e32 v154, v165, v190
	v_add_f32_e32 v1, v1, v184
	v_mul_f32_e32 v199, v177, v149
	v_mul_f32_e32 v149, v178, v149
	v_fma_f32 v12, v175, v157, -v12
	v_add_f32_e32 v11, v11, v148
	v_fmac_f32_e32 v198, v176, v157
	v_add_f32_e32 v1, v1, v154
	s_waitcnt lgkmcnt(2)
	v_mul_f32_e32 v147, v7, v144
	v_mul_f32_e32 v144, v8, v144
	s_waitcnt vmcnt(5)
	v_fma_f32 v148, v177, v155, -v149
	v_add_f32_e32 v11, v11, v12
	v_fmac_f32_e32 v199, v178, v155
	v_add_f32_e32 v1, v1, v198
	v_mul_f32_e32 v12, v10, v138
	v_fmac_f32_e32 v147, v8, v145
	v_fma_f32 v7, v7, v145, -v144
	v_add_f32_e32 v8, v11, v148
	v_mul_f32_e32 v173, v9, v138
	v_add_f32_e32 v1, v1, v199
	s_waitcnt lgkmcnt(1)
	v_mul_f32_e32 v200, v140, v6
	v_mul_f32_e32 v6, v141, v6
	v_fma_f32 v9, v9, v139, -v12
	v_add_f32_e32 v7, v8, v7
	v_fmac_f32_e32 v173, v10, v139
	v_add_f32_e32 v1, v1, v147
	v_mul_f32_e32 v170, v142, v4
	v_mul_f32_e32 v4, v143, v4
	v_fmac_f32_e32 v200, v141, v5
	v_fma_f32 v5, v140, v5, -v6
	v_add_f32_e32 v6, v7, v9
	v_add_f32_e32 v1, v1, v173
	s_waitcnt lgkmcnt(0)
	v_mul_f32_e32 v146, v166, v3
	v_mul_f32_e32 v3, v167, v3
	s_waitcnt vmcnt(2)
	v_fma_f32 v4, v142, v195, -v4
	v_add_f32_e32 v5, v6, v5
	v_fmac_f32_e32 v170, v143, v195
	v_add_f32_e32 v1, v1, v200
	v_mul_f32_e32 v151, v168, v2
	v_mul_f32_e32 v2, v169, v2
	v_fma_f32 v3, v166, v194, -v3
	v_add_f32_e32 v4, v5, v4
	v_fmac_f32_e32 v146, v167, v194
	v_add_f32_e32 v1, v1, v170
	v_fma_f32 v2, v168, v193, -v2
	v_fmac_f32_e32 v151, v169, v193
	v_add_f32_e32 v3, v4, v3
	v_add_f32_e32 v1, v1, v146
	;; [unrolled: 1-line block ×4, first 2 shown]
	s_waitcnt vmcnt(1)
	v_sub_f32_e32 v2, v196, v2
	s_waitcnt vmcnt(0)
	v_sub_f32_e32 v1, v197, v1
	buffer_store_dword v2, off, s[0:3], 0 offset:248
	buffer_store_dword v1, off, s[0:3], 0 offset:252
	v_cmpx_lt_u32_e32 30, v0
	s_cbranch_execz .LBB61_325
; %bb.324:
	s_clause 0x1
	buffer_load_dword v1, off, s[0:3], 0 offset:240
	buffer_load_dword v2, off, s[0:3], 0 offset:244
	v_mov_b32_e32 v3, 0
	buffer_store_dword v3, off, s[0:3], 0 offset:240
	buffer_store_dword v3, off, s[0:3], 0 offset:244
	s_waitcnt vmcnt(0)
	ds_write_b64 v137, v[1:2]
.LBB61_325:
	s_or_b32 exec_lo, exec_lo, s4
	s_waitcnt lgkmcnt(0)
	s_waitcnt_vscnt null, 0x0
	s_barrier
	buffer_gl0_inv
	s_clause 0x3e
	buffer_load_dword v7, off, s[0:3], 0 offset:252
	buffer_load_dword v8, off, s[0:3], 0 offset:260
	;; [unrolled: 1-line block ×64, first 2 shown]
	v_mov_b32_e32 v1, 0
	ds_read2_b64 v[177:180], v1 offset0:93 offset1:94
	ds_read2_b64 v[181:184], v1 offset0:95 offset1:96
	s_mov_b32 s4, exec_lo
	ds_read2_b64 v[189:192], v1 offset0:107 offset1:108
	s_waitcnt vmcnt(62) lgkmcnt(2)
	v_mul_f32_e32 v185, v177, v7
	v_mul_f32_e32 v186, v179, v8
	;; [unrolled: 1-line block ×4, first 2 shown]
	s_waitcnt vmcnt(59)
	v_fmac_f32_e32 v185, v178, v141
	v_fmac_f32_e32 v186, v180, v140
	v_fma_f32 v7, v177, v141, -v7
	v_fma_f32 v8, v179, v140, -v8
	ds_read2_b64 v[177:180], v1 offset0:97 offset1:98
	s_waitcnt vmcnt(58) lgkmcnt(2)
	v_mul_f32_e32 v140, v181, v11
	s_waitcnt vmcnt(57)
	v_mul_f32_e32 v141, v183, v12
	v_mul_f32_e32 v11, v182, v11
	;; [unrolled: 1-line block ×3, first 2 shown]
	v_add_f32_e32 v7, 0, v7
	v_fmac_f32_e32 v140, v182, v5
	s_waitcnt vmcnt(53)
	v_fmac_f32_e32 v141, v184, v167
	v_fma_f32 v5, v181, v5, -v11
	v_fma_f32 v11, v183, v167, -v12
	ds_read2_b64 v[181:184], v1 offset0:99 offset1:100
	v_add_f32_e32 v7, v7, v8
	v_add_f32_e32 v5, v7, v5
	s_waitcnt vmcnt(51) lgkmcnt(1)
	v_mul_f32_e32 v167, v179, v165
	v_mul_f32_e32 v165, v180, v165
	;; [unrolled: 1-line block ×4, first 2 shown]
	v_add_f32_e32 v5, v5, v11
	v_fmac_f32_e32 v167, v180, v158
	v_fma_f32 v158, v179, v158, -v165
	v_fmac_f32_e32 v12, v178, v162
	v_fma_f32 v162, v177, v162, -v166
	ds_read2_b64 v[177:180], v1 offset0:101 offset1:102
	s_waitcnt vmcnt(50) lgkmcnt(1)
	v_mul_f32_e32 v165, v181, v161
	v_mul_f32_e32 v161, v182, v161
	s_waitcnt vmcnt(49)
	v_mul_f32_e32 v207, v183, v159
	v_mul_f32_e32 v159, v184, v159
	v_add_f32_e32 v5, v5, v162
	v_fmac_f32_e32 v165, v182, v152
	v_fma_f32 v152, v181, v152, -v161
	v_add_f32_e32 v161, 0, v185
	s_waitcnt vmcnt(45)
	v_fmac_f32_e32 v207, v184, v175
	v_fma_f32 v159, v183, v175, -v159
	ds_read2_b64 v[181:184], v1 offset0:103 offset1:104
	v_add_f32_e32 v5, v5, v158
	v_add_f32_e32 v161, v161, v186
	ds_read2_b64 v[185:188], v1 offset0:105 offset1:106
	v_add_f32_e32 v5, v5, v152
	v_add_f32_e32 v8, v161, v140
	s_waitcnt vmcnt(44) lgkmcnt(2)
	v_mul_f32_e32 v161, v178, v173
	v_mul_f32_e32 v140, v177, v173
	v_add_f32_e32 v5, v5, v159
	v_add_f32_e32 v7, v8, v141
	s_waitcnt vmcnt(43)
	v_mul_f32_e32 v11, v179, v169
	v_fma_f32 v8, v177, v170, -v161
	v_fmac_f32_e32 v140, v178, v170
	v_add_f32_e32 v7, v7, v12
	v_mul_f32_e32 v12, v180, v169
	v_add_f32_e32 v5, v5, v8
	s_waitcnt vmcnt(42) lgkmcnt(1)
	v_mul_f32_e32 v141, v181, v168
	v_mul_f32_e32 v161, v182, v168
	v_add_f32_e32 v7, v7, v167
	v_fma_f32 v12, v179, v150, -v12
	v_fmac_f32_e32 v11, v180, v150
	s_waitcnt vmcnt(41)
	v_mul_f32_e32 v169, v184, v171
	v_fmac_f32_e32 v141, v182, v148
	v_add_f32_e32 v7, v7, v165
	v_fma_f32 v148, v181, v148, -v161
	v_add_f32_e32 v5, v5, v12
	v_mul_f32_e32 v162, v183, v171
	s_waitcnt vmcnt(40) lgkmcnt(0)
	v_mul_f32_e32 v150, v186, v160
	v_add_f32_e32 v7, v7, v207
	s_waitcnt vmcnt(36)
	v_fma_f32 v169, v183, v176, -v169
	v_add_f32_e32 v5, v5, v148
	v_mul_f32_e32 v170, v185, v160
	ds_read2_b64 v[165:168], v1 offset0:109 offset1:110
	ds_read2_b64 v[177:180], v1 offset0:111 offset1:112
	v_add_f32_e32 v7, v7, v140
	v_fmac_f32_e32 v162, v184, v176
	v_fma_f32 v171, v185, v174, -v150
	s_waitcnt vmcnt(35)
	v_mul_f32_e32 v150, v188, v163
	v_add_f32_e32 v5, v5, v169
	v_add_f32_e32 v7, v7, v11
	v_fmac_f32_e32 v170, v186, v174
	v_mul_f32_e32 v140, v187, v163
	s_waitcnt vmcnt(34)
	v_mul_f32_e32 v163, v189, v156
	s_waitcnt vmcnt(33)
	v_mul_f32_e32 v11, v191, v157
	v_add_f32_e32 v12, v7, v141
	v_mul_f32_e32 v8, v190, v156
	v_mul_f32_e32 v156, v192, v157
	v_fma_f32 v157, v187, v153, -v150
	v_add_f32_e32 v5, v5, v171
	v_add_f32_e32 v12, v12, v162
	v_fmac_f32_e32 v140, v188, v153
	v_fma_f32 v189, v189, v151, -v8
	v_fmac_f32_e32 v163, v190, v151
	v_add_f32_e32 v5, v5, v157
	v_add_f32_e32 v12, v12, v170
	s_waitcnt vmcnt(28)
	v_fma_f32 v141, v191, v164, -v156
	s_waitcnt vmcnt(27) lgkmcnt(1)
	v_mul_f32_e32 v148, v165, v154
	v_mul_f32_e32 v154, v166, v154
	v_add_f32_e32 v5, v5, v189
	v_add_f32_e32 v12, v12, v140
	ds_read2_b64 v[158:161], v1 offset0:113 offset1:114
	ds_read2_b64 v[173:176], v1 offset0:115 offset1:116
	v_fmac_f32_e32 v11, v192, v164
	s_waitcnt vmcnt(26)
	v_mul_f32_e32 v156, v167, v155
	v_mul_f32_e32 v155, v168, v155
	v_add_f32_e32 v12, v12, v163
	v_fmac_f32_e32 v148, v166, v149
	v_fma_f32 v149, v165, v149, -v154
	v_add_f32_e32 v5, v5, v141
	s_waitcnt lgkmcnt(2)
	v_mul_f32_e32 v162, v177, v147
	v_add_f32_e32 v11, v12, v11
	v_mul_f32_e32 v147, v178, v147
	v_fmac_f32_e32 v156, v168, v146
	v_fma_f32 v146, v167, v146, -v155
	v_add_f32_e32 v5, v5, v149
	v_add_f32_e32 v11, v11, v148
	s_waitcnt vmcnt(25)
	v_mul_f32_e32 v12, v180, v145
	v_fmac_f32_e32 v162, v178, v2
	v_fma_f32 v2, v177, v2, -v147
	v_add_f32_e32 v5, v5, v146
	v_mul_f32_e32 v164, v179, v145
	v_add_f32_e32 v11, v11, v156
	s_waitcnt vmcnt(24) lgkmcnt(1)
	v_mul_f32_e32 v154, v158, v144
	v_mul_f32_e32 v144, v159, v144
	s_waitcnt vmcnt(13)
	v_fma_f32 v12, v179, v193, -v12
	v_add_f32_e32 v2, v5, v2
	ds_read2_b64 v[150:153], v1 offset0:117 offset1:118
	ds_read2_b64 v[181:184], v1 offset0:119 offset1:120
	v_fmac_f32_e32 v164, v180, v193
	v_add_f32_e32 v5, v11, v162
	v_mul_f32_e32 v140, v160, v142
	v_mul_f32_e32 v11, v161, v142
	s_waitcnt vmcnt(10)
	v_fma_f32 v142, v158, v196, -v144
	v_add_f32_e32 v2, v2, v12
	v_fmac_f32_e32 v154, v159, v196
	v_add_f32_e32 v5, v5, v164
	s_waitcnt lgkmcnt(2)
	v_mul_f32_e32 v12, v174, v143
	v_fma_f32 v11, v160, v195, -v11
	v_add_f32_e32 v2, v2, v142
	v_mul_f32_e32 v157, v173, v143
	v_fmac_f32_e32 v140, v161, v195
	v_add_f32_e32 v5, v5, v154
	v_mul_f32_e32 v155, v175, v139
	v_mul_f32_e32 v139, v176, v139
	v_fma_f32 v12, v173, v194, -v12
	v_add_f32_e32 v2, v2, v11
	v_fmac_f32_e32 v157, v174, v194
	v_add_f32_e32 v5, v5, v140
	s_waitcnt lgkmcnt(1)
	v_mul_f32_e32 v165, v150, v138
	v_mul_f32_e32 v11, v151, v138
	s_waitcnt vmcnt(6)
	v_fma_f32 v138, v175, v200, -v139
	v_add_f32_e32 v2, v2, v12
	ds_read2_b64 v[185:188], v1 offset0:121 offset1:122
	ds_read_b64 v[7:8], v1 offset:984
	v_fmac_f32_e32 v155, v176, v200
	v_add_f32_e32 v5, v5, v157
	v_mul_f32_e32 v163, v152, v10
	v_mul_f32_e32 v10, v153, v10
	v_fma_f32 v11, v150, v199, -v11
	v_add_f32_e32 v2, v2, v138
	v_fmac_f32_e32 v165, v151, v199
	v_add_f32_e32 v5, v5, v155
	s_waitcnt lgkmcnt(2)
	v_mul_f32_e32 v166, v181, v9
	v_mul_f32_e32 v9, v182, v9
	v_fma_f32 v10, v152, v198, -v10
	v_add_f32_e32 v2, v2, v11
	v_fmac_f32_e32 v163, v153, v198
	v_add_f32_e32 v5, v5, v165
	v_mul_f32_e32 v167, v183, v6
	v_mul_f32_e32 v6, v184, v6
	v_fma_f32 v9, v181, v197, -v9
	v_add_f32_e32 v2, v2, v10
	v_fmac_f32_e32 v166, v182, v197
	v_add_f32_e32 v5, v5, v163
	s_waitcnt lgkmcnt(1)
	v_mul_f32_e32 v141, v185, v4
	v_mul_f32_e32 v4, v186, v4
	s_waitcnt vmcnt(2)
	v_fma_f32 v6, v183, v204, -v6
	v_add_f32_e32 v2, v2, v9
	v_fmac_f32_e32 v167, v184, v204
	v_add_f32_e32 v5, v5, v166
	v_mul_f32_e32 v145, v187, v3
	v_mul_f32_e32 v3, v188, v3
	v_fma_f32 v4, v185, v203, -v4
	v_add_f32_e32 v2, v2, v6
	v_fmac_f32_e32 v141, v186, v203
	v_add_f32_e32 v5, v5, v167
	s_waitcnt lgkmcnt(0)
	v_mul_f32_e32 v6, v8, v172
	v_fma_f32 v3, v187, v202, -v3
	v_add_f32_e32 v2, v2, v4
	v_mul_f32_e32 v148, v7, v172
	v_fmac_f32_e32 v145, v188, v202
	v_add_f32_e32 v4, v5, v141
	v_fma_f32 v5, v7, v201, -v6
	v_add_f32_e32 v2, v2, v3
	v_fmac_f32_e32 v148, v8, v201
	v_add_f32_e32 v3, v4, v145
	v_add_f32_e32 v2, v2, v5
	;; [unrolled: 1-line block ×3, first 2 shown]
	s_waitcnt vmcnt(1)
	v_sub_f32_e32 v2, v205, v2
	s_waitcnt vmcnt(0)
	v_sub_f32_e32 v3, v206, v3
	buffer_store_dword v2, off, s[0:3], 0 offset:240
	buffer_store_dword v3, off, s[0:3], 0 offset:244
	v_cmpx_lt_u32_e32 29, v0
	s_cbranch_execz .LBB61_327
; %bb.326:
	s_clause 0x1
	buffer_load_dword v2, off, s[0:3], 0 offset:232
	buffer_load_dword v3, off, s[0:3], 0 offset:236
	buffer_store_dword v1, off, s[0:3], 0 offset:232
	buffer_store_dword v1, off, s[0:3], 0 offset:236
	s_waitcnt vmcnt(0)
	ds_write_b64 v137, v[2:3]
.LBB61_327:
	s_or_b32 exec_lo, exec_lo, s4
	s_waitcnt lgkmcnt(0)
	s_waitcnt_vscnt null, 0x0
	s_barrier
	buffer_gl0_inv
	s_clause 0x31
	buffer_load_dword v10, off, s[0:3], 0 offset:244
	buffer_load_dword v11, off, s[0:3], 0 offset:252
	;; [unrolled: 1-line block ×50, first 2 shown]
	ds_read_b128 v[2:5], v1 offset:736
	s_clause 0x4
	buffer_load_dword v189, off, s[0:3], 0 offset:492
	buffer_load_dword v190, off, s[0:3], 0 offset:416
	;; [unrolled: 1-line block ×5, first 2 shown]
	ds_read_b128 v[6:9], v1 offset:752
	ds_read_b128 v[138:141], v1 offset:768
	s_clause 0x4
	buffer_load_dword v194, off, s[0:3], 0 offset:448
	buffer_load_dword v195, off, s[0:3], 0 offset:440
	;; [unrolled: 1-line block ×5, first 2 shown]
	s_mov_b32 s4, exec_lo
	s_waitcnt vmcnt(59) lgkmcnt(2)
	v_mul_f32_e32 v198, v3, v10
	v_mul_f32_e32 v10, v2, v10
	s_waitcnt vmcnt(58)
	v_mul_f32_e32 v200, v4, v11
	v_mul_f32_e32 v11, v5, v11
	s_waitcnt vmcnt(55)
	v_fma_f32 v198, v2, v143, -v198
	v_fmac_f32_e32 v10, v3, v143
	s_waitcnt vmcnt(54) lgkmcnt(1)
	v_mul_f32_e32 v143, v6, v144
	v_mul_f32_e32 v144, v7, v144
	v_fmac_f32_e32 v200, v5, v142
	v_fma_f32 v11, v4, v142, -v11
	ds_read_b128 v[2:5], v1 offset:784
	s_clause 0x3
	buffer_load_dword v201, off, s[0:3], 0 offset:480
	buffer_load_dword v202, off, s[0:3], 0 offset:472
	;; [unrolled: 1-line block ×4, first 2 shown]
	s_waitcnt vmcnt(57)
	v_mul_f32_e32 v142, v8, v145
	v_mul_f32_e32 v145, v9, v145
	v_fmac_f32_e32 v143, v7, v12
	v_fma_f32 v12, v6, v12, -v144
	s_waitcnt vmcnt(56) lgkmcnt(1)
	v_mul_f32_e32 v144, v138, v146
	v_mul_f32_e32 v6, v139, v146
	s_waitcnt vmcnt(51)
	v_mul_f32_e32 v146, v140, v151
	v_mul_f32_e32 v7, v141, v151
	v_fmac_f32_e32 v142, v9, v150
	v_fma_f32 v145, v8, v150, -v145
	v_fmac_f32_e32 v144, v139, v149
	v_fma_f32 v149, v138, v149, -v6
	;; [unrolled: 2-line block ×3, first 2 shown]
	ds_read_b128 v[6:9], v1 offset:800
	buffer_load_dword v205, off, s[0:3], 0 offset:488
	s_waitcnt vmcnt(51) lgkmcnt(1)
	v_mul_f32_e32 v150, v2, v152
	v_mul_f32_e32 v138, v3, v152
	s_waitcnt vmcnt(50)
	v_mul_f32_e32 v151, v4, v153
	v_mul_f32_e32 v139, v5, v153
	v_fmac_f32_e32 v150, v3, v147
	v_fma_f32 v147, v2, v147, -v138
	s_waitcnt vmcnt(46)
	v_fmac_f32_e32 v151, v5, v157
	v_fma_f32 v152, v4, v157, -v139
	ds_read_b128 v[2:5], v1 offset:816
	s_waitcnt vmcnt(45) lgkmcnt(1)
	v_mul_f32_e32 v153, v6, v158
	v_mul_f32_e32 v138, v7, v158
	buffer_load_dword v158, off, s[0:3], 0 offset:232
	v_fmac_f32_e32 v153, v7, v156
	v_fma_f32 v156, v6, v156, -v138
	v_add_f32_e32 v6, 0, v198
	v_add_f32_e32 v7, 0, v10
	s_waitcnt vmcnt(45)
	v_mul_f32_e32 v10, v9, v159
	v_add_f32_e32 v6, v6, v11
	v_add_f32_e32 v138, v7, v200
	v_mul_f32_e32 v11, v8, v159
	v_fma_f32 v10, v8, v155, -v10
	s_waitcnt vmcnt(43) lgkmcnt(0)
	v_mul_f32_e32 v157, v4, v161
	v_add_f32_e32 v12, v6, v12
	v_add_f32_e32 v143, v138, v143
	v_fmac_f32_e32 v11, v9, v155
	v_mul_f32_e32 v155, v2, v160
	ds_read_b128 v[6:9], v1 offset:832
	ds_read_b128 v[138:141], v1 offset:848
	v_add_f32_e32 v12, v12, v145
	v_add_f32_e32 v142, v143, v142
	v_mul_f32_e32 v145, v3, v160
	v_mul_f32_e32 v143, v5, v161
	v_fmac_f32_e32 v155, v3, v154
	v_add_f32_e32 v12, v12, v149
	v_add_f32_e32 v149, v142, v144
	v_fma_f32 v154, v2, v154, -v145
	s_waitcnt vmcnt(39)
	v_fmac_f32_e32 v157, v5, v165
	v_fma_f32 v159, v4, v165, -v143
	v_add_f32_e32 v12, v12, v148
	ds_read_b128 v[2:5], v1 offset:864
	ds_read_b128 v[142:145], v1 offset:880
	v_add_f32_e32 v146, v149, v146
	v_add_f32_e32 v12, v12, v147
	;; [unrolled: 1-line block ×3, first 2 shown]
	s_waitcnt vmcnt(38) lgkmcnt(3)
	v_mul_f32_e32 v160, v6, v166
	v_mul_f32_e32 v148, v7, v166
	v_add_f32_e32 v12, v12, v152
	s_waitcnt vmcnt(37)
	v_mul_f32_e32 v161, v8, v167
	v_add_f32_e32 v150, v146, v151
	v_mul_f32_e32 v149, v9, v167
	v_fmac_f32_e32 v160, v7, v164
	v_add_f32_e32 v12, v12, v156
	v_fma_f32 v164, v6, v164, -v148
	v_add_f32_e32 v156, v150, v153
	s_waitcnt vmcnt(36) lgkmcnt(2)
	v_mul_f32_e32 v165, v138, v168
	v_mul_f32_e32 v166, v139, v168
	v_add_f32_e32 v10, v12, v10
	s_waitcnt vmcnt(30) lgkmcnt(1)
	v_mul_f32_e32 v12, v2, v174
	v_add_f32_e32 v11, v156, v11
	v_mul_f32_e32 v156, v3, v174
	v_fmac_f32_e32 v161, v9, v163
	v_fma_f32 v163, v8, v163, -v149
	v_fmac_f32_e32 v12, v3, v172
	v_add_f32_e32 v3, v10, v154
	v_add_f32_e32 v10, v11, v155
	v_mul_f32_e32 v151, v141, v169
	v_fmac_f32_e32 v165, v139, v162
	v_fma_f32 v162, v138, v162, -v166
	v_add_f32_e32 v159, v3, v159
	v_add_f32_e32 v10, v10, v157
	v_mul_f32_e32 v167, v140, v169
	v_fma_f32 v166, v140, v173, -v151
	ds_read_b128 v[6:9], v1 offset:896
	ds_read_b128 v[146:149], v1 offset:912
	v_add_f32_e32 v159, v159, v164
	v_add_f32_e32 v10, v10, v160
	v_fmac_f32_e32 v167, v141, v173
	s_waitcnt vmcnt(29)
	v_mul_f32_e32 v169, v5, v175
	v_fma_f32 v11, v2, v172, -v156
	v_add_f32_e32 v159, v159, v163
	v_add_f32_e32 v10, v10, v161
	v_mul_f32_e32 v168, v4, v175
	v_fma_f32 v169, v4, v171, -v169
	s_waitcnt vmcnt(28) lgkmcnt(2)
	v_mul_f32_e32 v164, v143, v176
	v_add_f32_e32 v159, v159, v162
	v_add_f32_e32 v10, v10, v165
	ds_read_b128 v[138:141], v1 offset:928
	ds_read_b128 v[150:153], v1 offset:944
	v_fmac_f32_e32 v168, v5, v171
	ds_read_b128 v[2:5], v1 offset:960
	ds_read_b128 v[154:157], v1 offset:976
	v_add_f32_e32 v159, v159, v166
	v_add_f32_e32 v10, v10, v167
	v_mul_f32_e32 v1, v142, v176
	s_waitcnt vmcnt(27)
	v_mul_f32_e32 v171, v145, v177
	v_fma_f32 v142, v142, v170, -v164
	v_add_f32_e32 v11, v159, v11
	v_add_f32_e32 v10, v10, v12
	v_mul_f32_e32 v160, v144, v177
	v_fmac_f32_e32 v1, v143, v170
	s_waitcnt vmcnt(26) lgkmcnt(5)
	v_mul_f32_e32 v163, v6, v178
	v_add_f32_e32 v11, v11, v169
	v_add_f32_e32 v10, v10, v168
	v_mul_f32_e32 v164, v7, v178
	s_waitcnt vmcnt(11)
	v_fma_f32 v144, v144, v193, -v171
	v_fmac_f32_e32 v160, v145, v193
	v_add_f32_e32 v11, v11, v142
	v_add_f32_e32 v1, v10, v1
	v_mul_f32_e32 v10, v9, v179
	v_fmac_f32_e32 v163, v7, v192
	v_fma_f32 v6, v6, v192, -v164
	v_add_f32_e32 v7, v11, v144
	v_mul_f32_e32 v161, v8, v179
	v_add_f32_e32 v1, v1, v160
	s_waitcnt lgkmcnt(4)
	v_mul_f32_e32 v11, v147, v180
	v_fma_f32 v8, v8, v191, -v10
	v_add_f32_e32 v6, v7, v6
	v_mul_f32_e32 v172, v146, v180
	v_fmac_f32_e32 v161, v9, v191
	v_add_f32_e32 v1, v1, v163
	v_mul_f32_e32 v7, v149, v181
	v_fma_f32 v9, v146, v190, -v11
	v_add_f32_e32 v6, v6, v8
	v_mul_f32_e32 v162, v148, v181
	v_fmac_f32_e32 v172, v147, v190
	v_add_f32_e32 v1, v1, v161
	s_waitcnt lgkmcnt(3)
	v_mul_f32_e32 v8, v139, v182
	s_waitcnt vmcnt(7)
	v_fma_f32 v7, v148, v197, -v7
	v_add_f32_e32 v6, v6, v9
	v_mul_f32_e32 v165, v138, v182
	v_fmac_f32_e32 v162, v149, v197
	v_add_f32_e32 v1, v1, v172
	v_mul_f32_e32 v9, v141, v183
	v_fma_f32 v8, v138, v196, -v8
	v_add_f32_e32 v6, v6, v7
	v_mul_f32_e32 v173, v140, v183
	v_fmac_f32_e32 v165, v139, v196
	v_add_f32_e32 v1, v1, v162
	s_waitcnt lgkmcnt(2)
	v_mul_f32_e32 v7, v151, v184
	v_fma_f32 v9, v140, v195, -v9
	v_add_f32_e32 v6, v6, v8
	v_mul_f32_e32 v166, v150, v184
	v_fmac_f32_e32 v173, v141, v195
	v_add_f32_e32 v1, v1, v165
	v_mul_f32_e32 v8, v153, v185
	v_fma_f32 v7, v150, v194, -v7
	v_add_f32_e32 v6, v6, v9
	v_mul_f32_e32 v167, v152, v185
	v_fmac_f32_e32 v166, v151, v194
	v_add_f32_e32 v1, v1, v173
	s_waitcnt lgkmcnt(1)
	v_mul_f32_e32 v174, v2, v186
	v_mul_f32_e32 v9, v3, v186
	v_add_f32_e32 v6, v6, v7
	v_mul_f32_e32 v7, v5, v187
	v_add_f32_e32 v1, v1, v166
	v_mul_f32_e32 v159, v4, v187
	s_waitcnt lgkmcnt(0)
	v_mul_f32_e32 v12, v154, v188
	v_mul_f32_e32 v143, v156, v189
	s_waitcnt vmcnt(5)
	v_fmac_f32_e32 v12, v155, v201
	s_waitcnt vmcnt(4)
	v_fma_f32 v4, v4, v202, -v7
	s_waitcnt vmcnt(3)
	v_fmac_f32_e32 v174, v3, v203
	s_waitcnt vmcnt(2)
	v_fma_f32 v8, v152, v204, -v8
	v_fmac_f32_e32 v167, v153, v204
	v_fma_f32 v2, v2, v203, -v9
	v_fmac_f32_e32 v159, v5, v202
	v_add_f32_e32 v3, v6, v8
	v_add_f32_e32 v1, v1, v167
	v_mul_f32_e32 v6, v155, v188
	v_add_f32_e32 v2, v3, v2
	v_add_f32_e32 v1, v1, v174
	v_mul_f32_e32 v3, v157, v189
	v_fma_f32 v5, v154, v201, -v6
	v_add_f32_e32 v2, v2, v4
	v_add_f32_e32 v1, v1, v159
	s_waitcnt vmcnt(1)
	v_fma_f32 v3, v156, v205, -v3
	v_fmac_f32_e32 v143, v157, v205
	v_add_f32_e32 v2, v2, v5
	v_add_f32_e32 v1, v1, v12
	;; [unrolled: 1-line block ×4, first 2 shown]
	v_sub_f32_e32 v1, v199, v1
	s_waitcnt vmcnt(0)
	v_sub_f32_e32 v2, v158, v2
	buffer_store_dword v2, off, s[0:3], 0 offset:232
	buffer_store_dword v1, off, s[0:3], 0 offset:236
	v_cmpx_lt_u32_e32 28, v0
	s_cbranch_execz .LBB61_329
; %bb.328:
	s_clause 0x1
	buffer_load_dword v1, off, s[0:3], 0 offset:224
	buffer_load_dword v2, off, s[0:3], 0 offset:228
	v_mov_b32_e32 v3, 0
	buffer_store_dword v3, off, s[0:3], 0 offset:224
	buffer_store_dword v3, off, s[0:3], 0 offset:228
	s_waitcnt vmcnt(0)
	ds_write_b64 v137, v[1:2]
.LBB61_329:
	s_or_b32 exec_lo, exec_lo, s4
	s_waitcnt lgkmcnt(0)
	s_waitcnt_vscnt null, 0x0
	s_barrier
	buffer_gl0_inv
	s_clause 0x26
	buffer_load_dword v2, off, s[0:3], 0 offset:236
	buffer_load_dword v3, off, s[0:3], 0 offset:244
	;; [unrolled: 1-line block ×39, first 2 shown]
	v_mov_b32_e32 v1, 0
	s_clause 0x2
	buffer_load_dword v178, off, s[0:3], 0 offset:396
	buffer_load_dword v179, off, s[0:3], 0 offset:404
	;; [unrolled: 1-line block ×3, first 2 shown]
	s_mov_b32 s4, exec_lo
	ds_read2_b64 v[4:7], v1 offset0:91 offset1:92
	s_clause 0x1
	buffer_load_dword v181, off, s[0:3], 0 offset:420
	buffer_load_dword v182, off, s[0:3], 0 offset:428
	ds_read2_b64 v[8:11], v1 offset0:93 offset1:94
	s_clause 0xc
	buffer_load_dword v183, off, s[0:3], 0 offset:408
	buffer_load_dword v184, off, s[0:3], 0 offset:400
	;; [unrolled: 1-line block ×13, first 2 shown]
	ds_read2_b64 v[138:141], v1 offset0:95 offset1:96
	s_waitcnt vmcnt(56) lgkmcnt(2)
	v_mul_f32_e32 v196, v5, v2
	v_mul_f32_e32 v197, v4, v2
	s_waitcnt vmcnt(55)
	v_mul_f32_e32 v198, v6, v3
	v_mul_f32_e32 v2, v7, v3
	s_waitcnt vmcnt(54) lgkmcnt(1)
	v_mul_f32_e32 v199, v8, v12
	s_waitcnt vmcnt(51)
	v_fma_f32 v196, v4, v144, -v196
	v_fmac_f32_e32 v197, v5, v144
	v_fmac_f32_e32 v198, v7, v143
	v_fma_f32 v143, v6, v143, -v2
	ds_read2_b64 v[2:5], v1 offset0:97 offset1:98
	s_clause 0x3
	buffer_load_dword v200, off, s[0:3], 0 offset:440
	buffer_load_dword v201, off, s[0:3], 0 offset:432
	;; [unrolled: 1-line block ×4, first 2 shown]
	s_waitcnt vmcnt(54)
	v_mul_f32_e32 v144, v10, v145
	v_mul_f32_e32 v6, v11, v145
	;; [unrolled: 1-line block ×3, first 2 shown]
	v_fmac_f32_e32 v199, v9, v142
	s_waitcnt vmcnt(48) lgkmcnt(1)
	v_mul_f32_e32 v145, v141, v151
	v_fmac_f32_e32 v144, v11, v149
	v_fma_f32 v10, v10, v149, -v6
	v_mul_f32_e32 v11, v138, v150
	v_mul_f32_e32 v6, v139, v150
	v_fma_f32 v12, v8, v142, -v12
	v_mul_f32_e32 v142, v140, v151
	v_fma_f32 v145, v140, v147, -v145
	v_fmac_f32_e32 v11, v139, v148
	v_fma_f32 v148, v138, v148, -v6
	ds_read2_b64 v[6:9], v1 offset0:99 offset1:100
	s_clause 0x3
	buffer_load_dword v204, off, s[0:3], 0 offset:472
	buffer_load_dword v205, off, s[0:3], 0 offset:464
	;; [unrolled: 1-line block ×4, first 2 shown]
	v_fmac_f32_e32 v142, v141, v147
	v_add_f32_e32 v139, 0, v196
	s_waitcnt vmcnt(51) lgkmcnt(1)
	v_mul_f32_e32 v147, v2, v152
	v_mul_f32_e32 v138, v3, v152
	s_waitcnt vmcnt(50)
	v_mul_f32_e32 v149, v4, v153
	v_fmac_f32_e32 v147, v3, v146
	v_fma_f32 v146, v2, v146, -v138
	v_mul_f32_e32 v2, v5, v153
	s_waitcnt vmcnt(46)
	v_fmac_f32_e32 v149, v5, v157
	v_fma_f32 v150, v4, v157, -v2
	ds_read2_b64 v[2:5], v1 offset0:101 offset1:102
	s_waitcnt vmcnt(45) lgkmcnt(1)
	v_mul_f32_e32 v151, v6, v158
	v_mul_f32_e32 v138, v7, v158
	s_clause 0x1
	buffer_load_dword v158, off, s[0:3], 0 offset:488
	buffer_load_dword v196, off, s[0:3], 0 offset:480
	v_fmac_f32_e32 v151, v7, v156
	v_add_f32_e32 v7, 0, v197
	buffer_load_dword v197, off, s[0:3], 0 offset:224
	v_fma_f32 v152, v6, v156, -v138
	v_add_f32_e32 v6, v139, v143
	s_waitcnt vmcnt(47)
	v_mul_f32_e32 v138, v9, v159
	v_add_f32_e32 v7, v7, v198
	v_add_f32_e32 v6, v6, v12
	v_mul_f32_e32 v12, v8, v159
	v_add_f32_e32 v139, v7, v199
	v_fma_f32 v153, v8, v155, -v138
	s_waitcnt vmcnt(45) lgkmcnt(0)
	v_mul_f32_e32 v156, v4, v161
	v_add_f32_e32 v10, v6, v10
	v_fmac_f32_e32 v12, v9, v155
	v_add_f32_e32 v143, v139, v144
	v_mul_f32_e32 v155, v2, v160
	v_mul_f32_e32 v144, v3, v160
	v_add_f32_e32 v10, v10, v148
	ds_read2_b64 v[6:9], v1 offset0:103 offset1:104
	ds_read2_b64 v[138:141], v1 offset0:105 offset1:106
	v_add_f32_e32 v11, v143, v11
	v_mul_f32_e32 v143, v5, v161
	v_add_f32_e32 v10, v10, v145
	v_fmac_f32_e32 v155, v3, v154
	v_fma_f32 v154, v2, v154, -v144
	v_add_f32_e32 v11, v11, v142
	s_waitcnt vmcnt(41)
	v_fmac_f32_e32 v156, v5, v165
	v_add_f32_e32 v10, v10, v146
	v_fma_f32 v157, v4, v165, -v143
	ds_read2_b64 v[2:5], v1 offset0:107 offset1:108
	ds_read2_b64 v[142:145], v1 offset0:109 offset1:110
	v_add_f32_e32 v11, v11, v147
	v_add_f32_e32 v10, v10, v150
	;; [unrolled: 1-line block ×4, first 2 shown]
	s_waitcnt vmcnt(40) lgkmcnt(3)
	v_mul_f32_e32 v159, v6, v166
	v_mul_f32_e32 v146, v7, v166
	v_add_f32_e32 v11, v11, v151
	s_waitcnt vmcnt(39)
	v_mul_f32_e32 v160, v8, v167
	v_add_f32_e32 v10, v10, v153
	v_mul_f32_e32 v147, v9, v167
	v_fmac_f32_e32 v159, v7, v164
	v_add_f32_e32 v11, v11, v12
	v_fma_f32 v164, v6, v164, -v146
	v_add_f32_e32 v10, v10, v154
	s_waitcnt vmcnt(32) lgkmcnt(1)
	v_mul_f32_e32 v12, v2, v174
	v_mul_f32_e32 v154, v3, v174
	v_add_f32_e32 v11, v11, v155
	v_mul_f32_e32 v161, v138, v168
	v_mul_f32_e32 v150, v139, v168
	v_fmac_f32_e32 v12, v3, v172
	v_add_f32_e32 v3, v10, v157
	v_add_f32_e32 v10, v11, v156
	v_fmac_f32_e32 v160, v9, v163
	v_fma_f32 v163, v8, v163, -v147
	v_mul_f32_e32 v151, v141, v169
	v_add_f32_e32 v164, v3, v164
	v_add_f32_e32 v159, v10, v159
	v_fmac_f32_e32 v161, v139, v162
	v_fma_f32 v162, v138, v162, -v150
	v_mul_f32_e32 v165, v140, v169
	v_add_f32_e32 v163, v164, v163
	v_add_f32_e32 v159, v159, v160
	v_fma_f32 v166, v140, v173, -v151
	ds_read2_b64 v[6:9], v1 offset0:111 offset1:112
	ds_read2_b64 v[146:149], v1 offset0:113 offset1:114
	v_fmac_f32_e32 v165, v141, v173
	v_add_f32_e32 v162, v163, v162
	v_add_f32_e32 v159, v159, v161
	s_waitcnt vmcnt(31)
	v_mul_f32_e32 v167, v4, v175
	v_mul_f32_e32 v155, v5, v175
	v_fma_f32 v168, v2, v172, -v154
	v_add_f32_e32 v162, v162, v166
	v_add_f32_e32 v159, v159, v165
	v_fmac_f32_e32 v167, v5, v171
	v_fma_f32 v169, v4, v171, -v155
	s_waitcnt vmcnt(30) lgkmcnt(2)
	v_mul_f32_e32 v171, v143, v176
	v_add_f32_e32 v162, v162, v168
	v_mul_f32_e32 v164, v142, v176
	v_add_f32_e32 v12, v159, v12
	s_waitcnt vmcnt(29)
	v_mul_f32_e32 v172, v145, v177
	v_fma_f32 v142, v142, v170, -v171
	v_add_f32_e32 v162, v162, v169
	v_mul_f32_e32 v160, v144, v177
	v_fmac_f32_e32 v164, v143, v170
	v_add_f32_e32 v12, v12, v167
	s_waitcnt vmcnt(28) lgkmcnt(1)
	v_mul_f32_e32 v163, v6, v178
	v_mul_f32_e32 v170, v7, v178
	s_waitcnt vmcnt(20)
	v_fma_f32 v144, v144, v186, -v172
	v_add_f32_e32 v142, v162, v142
	ds_read2_b64 v[138:141], v1 offset0:115 offset1:116
	ds_read2_b64 v[150:153], v1 offset0:117 offset1:118
	v_fmac_f32_e32 v160, v145, v186
	v_add_f32_e32 v12, v12, v164
	v_mul_f32_e32 v167, v9, v179
	v_fmac_f32_e32 v163, v7, v185
	v_fma_f32 v6, v6, v185, -v170
	v_add_f32_e32 v7, v142, v144
	v_mul_f32_e32 v161, v8, v179
	v_add_f32_e32 v12, v12, v160
	s_waitcnt lgkmcnt(2)
	v_mul_f32_e32 v142, v147, v180
	v_fma_f32 v8, v8, v184, -v167
	v_add_f32_e32 v6, v7, v6
	v_mul_f32_e32 v143, v146, v180
	v_fmac_f32_e32 v161, v9, v184
	v_add_f32_e32 v7, v12, v163
	v_mul_f32_e32 v9, v149, v181
	v_fma_f32 v12, v146, v183, -v142
	v_add_f32_e32 v6, v6, v8
	v_mul_f32_e32 v166, v148, v181
	v_fmac_f32_e32 v143, v147, v183
	v_add_f32_e32 v7, v7, v161
	s_waitcnt lgkmcnt(1)
	v_mul_f32_e32 v8, v139, v182
	v_add_f32_e32 v6, v6, v12
	v_mul_f32_e32 v165, v138, v182
	ds_read2_b64 v[2:5], v1 offset0:119 offset1:120
	ds_read2_b64 v[154:157], v1 offset0:121 offset1:122
	ds_read_b64 v[10:11], v1 offset:984
	v_add_f32_e32 v7, v7, v143
	s_waitcnt vmcnt(19)
	v_mul_f32_e32 v12, v141, v187
	v_mul_f32_e32 v145, v140, v187
	s_waitcnt vmcnt(18) lgkmcnt(3)
	v_mul_f32_e32 v171, v150, v188
	s_waitcnt vmcnt(17)
	v_mul_f32_e32 v159, v152, v189
	s_waitcnt vmcnt(16) lgkmcnt(2)
	v_mul_f32_e32 v168, v2, v190
	s_waitcnt vmcnt(15)
	v_mul_f32_e32 v172, v4, v191
	s_waitcnt vmcnt(14) lgkmcnt(1)
	v_mul_f32_e32 v169, v154, v192
	s_waitcnt vmcnt(13)
	v_mul_f32_e32 v173, v156, v193
	s_waitcnt vmcnt(12) lgkmcnt(0)
	v_mul_f32_e32 v162, v10, v194
	s_waitcnt vmcnt(10)
	v_fmac_f32_e32 v171, v151, v200
	s_waitcnt vmcnt(9)
	v_fma_f32 v12, v140, v201, -v12
	s_waitcnt vmcnt(8)
	v_fma_f32 v8, v138, v202, -v8
	;; [unrolled: 2-line block ×3, first 2 shown]
	v_fmac_f32_e32 v166, v149, v203
	v_fmac_f32_e32 v165, v139, v202
	;; [unrolled: 1-line block ×3, first 2 shown]
	v_add_f32_e32 v6, v6, v9
	v_add_f32_e32 v7, v7, v166
	v_mul_f32_e32 v9, v151, v188
	v_add_f32_e32 v6, v6, v8
	v_add_f32_e32 v7, v7, v165
	v_mul_f32_e32 v8, v153, v189
	v_fma_f32 v9, v150, v200, -v9
	s_waitcnt vmcnt(5)
	v_fmac_f32_e32 v172, v5, v205
	v_add_f32_e32 v6, v6, v12
	v_add_f32_e32 v7, v7, v145
	v_mul_f32_e32 v12, v3, v190
	s_waitcnt vmcnt(3)
	v_fma_f32 v8, v152, v207, -v8
	v_fmac_f32_e32 v159, v153, v207
	v_add_f32_e32 v6, v6, v9
	v_add_f32_e32 v7, v7, v171
	v_mul_f32_e32 v9, v5, v191
	v_fmac_f32_e32 v168, v3, v206
	v_fma_f32 v2, v2, v206, -v12
	v_add_f32_e32 v3, v6, v8
	v_add_f32_e32 v6, v7, v159
	v_mul_f32_e32 v7, v155, v192
	v_fma_f32 v4, v4, v205, -v9
	v_mul_f32_e32 v5, v157, v193
	v_add_f32_e32 v2, v3, v2
	v_add_f32_e32 v3, v6, v168
	v_fma_f32 v6, v154, v204, -v7
	v_fmac_f32_e32 v169, v155, v204
	v_add_f32_e32 v2, v2, v4
	v_add_f32_e32 v3, v3, v172
	v_mul_f32_e32 v4, v11, v194
	s_waitcnt vmcnt(1)
	v_fma_f32 v5, v156, v196, -v5
	v_fmac_f32_e32 v173, v157, v196
	v_add_f32_e32 v2, v2, v6
	v_add_f32_e32 v3, v3, v169
	v_fma_f32 v4, v10, v158, -v4
	v_fmac_f32_e32 v162, v11, v158
	v_add_f32_e32 v2, v2, v5
	v_add_f32_e32 v3, v3, v173
	;; [unrolled: 1-line block ×4, first 2 shown]
	s_waitcnt vmcnt(0)
	v_sub_f32_e32 v2, v197, v2
	v_sub_f32_e32 v3, v195, v3
	buffer_store_dword v2, off, s[0:3], 0 offset:224
	buffer_store_dword v3, off, s[0:3], 0 offset:228
	v_cmpx_lt_u32_e32 27, v0
	s_cbranch_execz .LBB61_331
; %bb.330:
	s_clause 0x1
	buffer_load_dword v2, off, s[0:3], 0 offset:216
	buffer_load_dword v3, off, s[0:3], 0 offset:220
	buffer_store_dword v1, off, s[0:3], 0 offset:216
	buffer_store_dword v1, off, s[0:3], 0 offset:220
	s_waitcnt vmcnt(0)
	ds_write_b64 v137, v[2:3]
.LBB61_331:
	s_or_b32 exec_lo, exec_lo, s4
	s_waitcnt lgkmcnt(0)
	s_waitcnt_vscnt null, 0x0
	s_barrier
	buffer_gl0_inv
	s_clause 0x24
	buffer_load_dword v10, off, s[0:3], 0 offset:228
	buffer_load_dword v11, off, s[0:3], 0 offset:236
	;; [unrolled: 1-line block ×37, first 2 shown]
	ds_read_b128 v[2:5], v1 offset:720
	s_clause 0x1
	buffer_load_dword v184, off, s[0:3], 0 offset:372
	buffer_load_dword v185, off, s[0:3], 0 offset:380
	ds_read_b128 v[6:9], v1 offset:736
	s_clause 0xa
	buffer_load_dword v186, off, s[0:3], 0 offset:388
	buffer_load_dword v187, off, s[0:3], 0 offset:396
	;; [unrolled: 1-line block ×11, first 2 shown]
	ds_read_b128 v[138:141], v1 offset:752
	ds_read_b128 v[142:145], v1 offset:768
	;; [unrolled: 1-line block ×3, first 2 shown]
	s_clause 0x7
	buffer_load_dword v199, off, s[0:3], 0 offset:220
	buffer_load_dword v200, off, s[0:3], 0 offset:444
	;; [unrolled: 1-line block ×8, first 2 shown]
	s_mov_b32 s4, exec_lo
	s_waitcnt vmcnt(57) lgkmcnt(4)
	v_mul_f32_e32 v197, v3, v10
	v_mul_f32_e32 v10, v2, v10
	s_waitcnt vmcnt(56)
	v_mul_f32_e32 v198, v4, v11
	v_mul_f32_e32 v11, v5, v11
	s_waitcnt vmcnt(53)
	v_fma_f32 v197, v2, v151, -v197
	v_fmac_f32_e32 v10, v3, v151
	v_fmac_f32_e32 v198, v5, v150
	v_fma_f32 v11, v4, v150, -v11
	s_waitcnt vmcnt(52) lgkmcnt(3)
	v_mul_f32_e32 v150, v6, v152
	v_mul_f32_e32 v2, v7, v152
	s_waitcnt vmcnt(51)
	v_mul_f32_e32 v3, v9, v153
	v_mul_f32_e32 v151, v8, v153
	s_waitcnt vmcnt(46) lgkmcnt(2)
	v_mul_f32_e32 v152, v138, v158
	v_fmac_f32_e32 v150, v7, v12
	v_fma_f32 v6, v6, v12, -v2
	v_fma_f32 v12, v8, v157, -v3
	v_mul_f32_e32 v2, v139, v158
	s_waitcnt vmcnt(45)
	v_mul_f32_e32 v153, v140, v159
	v_mul_f32_e32 v3, v141, v159
	s_clause 0x3
	buffer_load_dword v158, off, s[0:3], 0 offset:432
	buffer_load_dword v159, off, s[0:3], 0 offset:424
	;; [unrolled: 1-line block ×4, first 2 shown]
	v_fmac_f32_e32 v151, v9, v157
	v_fmac_f32_e32 v152, v139, v156
	v_fma_f32 v138, v138, v156, -v2
	v_fmac_f32_e32 v153, v141, v155
	v_fma_f32 v155, v140, v155, -v3
	s_waitcnt vmcnt(48) lgkmcnt(1)
	v_mul_f32_e32 v156, v142, v160
	v_mul_f32_e32 v2, v143, v160
	s_waitcnt vmcnt(47)
	v_mul_f32_e32 v157, v144, v161
	v_mul_f32_e32 v3, v145, v161
	s_waitcnt vmcnt(42) lgkmcnt(0)
	v_mul_f32_e32 v160, v146, v166
	v_mul_f32_e32 v7, v147, v166
	s_waitcnt vmcnt(41)
	v_mul_f32_e32 v161, v148, v167
	v_mul_f32_e32 v8, v149, v167
	v_fmac_f32_e32 v156, v143, v154
	v_fma_f32 v142, v142, v154, -v2
	v_fmac_f32_e32 v157, v145, v165
	v_fma_f32 v154, v144, v165, -v3
	ds_read_b128 v[2:5], v1 offset:800
	v_fmac_f32_e32 v160, v147, v164
	v_fma_f32 v146, v146, v164, -v7
	v_fmac_f32_e32 v161, v149, v163
	v_fma_f32 v147, v148, v163, -v8
	s_clause 0x7
	buffer_load_dword v163, off, s[0:3], 0 offset:464
	buffer_load_dword v164, off, s[0:3], 0 offset:456
	;; [unrolled: 1-line block ×8, first 2 shown]
	v_add_f32_e32 v7, 0, v197
	v_add_f32_e32 v8, 0, v10
	;; [unrolled: 1-line block ×4, first 2 shown]
	s_waitcnt vmcnt(48) lgkmcnt(0)
	v_mul_f32_e32 v10, v2, v168
	v_mul_f32_e32 v9, v3, v168
	v_fmac_f32_e32 v10, v3, v162
	v_fma_f32 v11, v2, v162, -v9
	v_add_f32_e32 v2, v7, v6
	v_add_f32_e32 v3, v8, v150
	ds_read_b128 v[6:9], v1 offset:816
	s_waitcnt vmcnt(47)
	v_mul_f32_e32 v162, v4, v169
	v_add_f32_e32 v12, v2, v12
	v_mul_f32_e32 v2, v5, v169
	v_add_f32_e32 v139, v3, v151
	s_waitcnt vmcnt(43)
	v_fmac_f32_e32 v162, v5, v173
	v_add_f32_e32 v12, v12, v138
	v_fma_f32 v168, v4, v173, -v2
	ds_read_b128 v[2:5], v1 offset:832
	v_add_f32_e32 v143, v139, v152
	ds_read_b128 v[138:141], v1 offset:848
	v_add_f32_e32 v12, v12, v155
	v_add_f32_e32 v143, v143, v153
	;; [unrolled: 1-line block ×3, first 2 shown]
	s_waitcnt vmcnt(42) lgkmcnt(2)
	v_mul_f32_e32 v144, v7, v174
	v_mul_f32_e32 v155, v6, v174
	s_waitcnt vmcnt(41)
	v_mul_f32_e32 v148, v9, v175
	v_fma_f32 v169, v6, v172, -v144
	v_add_f32_e32 v6, v143, v156
	v_fmac_f32_e32 v155, v7, v172
	v_add_f32_e32 v7, v12, v154
	v_mul_f32_e32 v12, v8, v175
	s_waitcnt vmcnt(40) lgkmcnt(1)
	v_mul_f32_e32 v172, v2, v176
	v_add_f32_e32 v6, v6, v157
	v_mul_f32_e32 v149, v3, v176
	v_add_f32_e32 v7, v7, v146
	ds_read_b128 v[142:145], v1 offset:864
	v_fmac_f32_e32 v172, v3, v170
	v_add_f32_e32 v6, v6, v160
	v_fma_f32 v170, v2, v170, -v149
	v_add_f32_e32 v2, v7, v147
	v_fma_f32 v154, v8, v171, -v148
	v_fmac_f32_e32 v12, v9, v171
	v_add_f32_e32 v3, v6, v161
	s_waitcnt vmcnt(39)
	v_mul_f32_e32 v150, v5, v177
	v_add_f32_e32 v11, v2, v11
	v_mul_f32_e32 v173, v4, v177
	s_waitcnt vmcnt(38) lgkmcnt(1)
	v_mul_f32_e32 v151, v139, v178
	v_add_f32_e32 v10, v3, v10
	s_waitcnt vmcnt(34)
	v_fma_f32 v161, v4, v182, -v150
	v_add_f32_e32 v11, v11, v168
	v_mul_f32_e32 v160, v138, v178
	ds_read_b128 v[6:9], v1 offset:880
	ds_read_b128 v[146:149], v1 offset:896
	v_add_f32_e32 v10, v10, v162
	v_fmac_f32_e32 v173, v5, v182
	v_add_f32_e32 v11, v11, v169
	v_fma_f32 v171, v138, v181, -v151
	s_waitcnt vmcnt(33)
	v_mul_f32_e32 v138, v141, v183
	v_add_f32_e32 v10, v10, v155
	v_fmac_f32_e32 v160, v139, v181
	v_add_f32_e32 v11, v11, v154
	v_mul_f32_e32 v168, v140, v183
	s_waitcnt vmcnt(32) lgkmcnt(2)
	v_mul_f32_e32 v139, v143, v184
	v_add_f32_e32 v10, v10, v12
	v_fma_f32 v175, v140, v180, -v138
	v_add_f32_e32 v11, v11, v170
	v_mul_f32_e32 v162, v142, v184
	v_fmac_f32_e32 v168, v141, v180
	v_add_f32_e32 v10, v10, v172
	s_waitcnt vmcnt(31)
	v_mul_f32_e32 v174, v145, v185
	v_add_f32_e32 v11, v11, v161
	v_fma_f32 v176, v142, v179, -v139
	v_mul_f32_e32 v169, v144, v185
	v_add_f32_e32 v10, v10, v173
	v_fmac_f32_e32 v162, v143, v179
	v_add_f32_e32 v11, v11, v171
	s_waitcnt vmcnt(24)
	v_fma_f32 v174, v144, v192, -v174
	s_waitcnt lgkmcnt(1)
	v_mul_f32_e32 v12, v7, v186
	v_add_f32_e32 v10, v10, v160
	ds_read_b128 v[2:5], v1 offset:912
	ds_read_b128 v[150:153], v1 offset:928
	v_add_f32_e32 v11, v11, v175
	ds_read_b128 v[138:141], v1 offset:944
	ds_read_b128 v[154:157], v1 offset:960
	v_fmac_f32_e32 v169, v145, v192
	v_add_f32_e32 v10, v10, v168
	ds_read_b128 v[142:145], v1 offset:976
	v_add_f32_e32 v11, v11, v176
	v_mul_f32_e32 v1, v6, v186
	v_mul_f32_e32 v172, v9, v187
	v_add_f32_e32 v10, v10, v162
	v_fma_f32 v6, v6, v191, -v12
	v_add_f32_e32 v11, v11, v174
	v_mul_f32_e32 v170, v8, v187
	v_fmac_f32_e32 v1, v7, v191
	v_add_f32_e32 v10, v10, v169
	s_waitcnt lgkmcnt(5)
	v_mul_f32_e32 v12, v147, v188
	v_fma_f32 v8, v8, v190, -v172
	v_add_f32_e32 v6, v11, v6
	v_mul_f32_e32 v161, v146, v188
	v_fmac_f32_e32 v170, v9, v190
	v_add_f32_e32 v1, v10, v1
	s_waitcnt vmcnt(23)
	v_mul_f32_e32 v9, v149, v193
	v_fma_f32 v10, v146, v189, -v12
	v_add_f32_e32 v6, v6, v8
	v_mul_f32_e32 v173, v148, v193
	v_fmac_f32_e32 v161, v147, v189
	v_add_f32_e32 v1, v1, v170
	s_waitcnt vmcnt(22) lgkmcnt(4)
	v_mul_f32_e32 v177, v2, v194
	v_mul_f32_e32 v8, v3, v194
	v_add_f32_e32 v6, v6, v10
	s_waitcnt vmcnt(21)
	v_mul_f32_e32 v10, v5, v195
	v_add_f32_e32 v1, v1, v161
	v_mul_f32_e32 v171, v4, v195
	s_waitcnt vmcnt(20) lgkmcnt(3)
	v_mul_f32_e32 v160, v150, v196
	s_waitcnt vmcnt(18)
	v_mul_f32_e32 v178, v152, v200
	s_waitcnt vmcnt(17) lgkmcnt(2)
	v_mul_f32_e32 v175, v138, v201
	s_waitcnt vmcnt(16)
	;; [unrolled: 4-line block ×4, first 2 shown]
	v_mul_f32_e32 v7, v144, v206
	s_waitcnt vmcnt(11)
	v_fmac_f32_e32 v160, v151, v158
	s_waitcnt vmcnt(10)
	v_fma_f32 v4, v4, v159, -v10
	s_waitcnt vmcnt(9)
	v_fmac_f32_e32 v177, v3, v207
	s_waitcnt vmcnt(8)
	v_fma_f32 v9, v148, v208, -v9
	v_fmac_f32_e32 v173, v149, v208
	v_fma_f32 v2, v2, v207, -v8
	v_fmac_f32_e32 v171, v5, v159
	v_add_f32_e32 v3, v6, v9
	v_add_f32_e32 v1, v1, v173
	v_mul_f32_e32 v6, v151, v196
	v_add_f32_e32 v2, v3, v2
	v_add_f32_e32 v1, v1, v177
	v_mul_f32_e32 v3, v153, v200
	v_fma_f32 v5, v150, v158, -v6
	v_add_f32_e32 v2, v2, v4
	v_add_f32_e32 v1, v1, v171
	v_mul_f32_e32 v4, v139, v201
	s_waitcnt vmcnt(5)
	v_fmac_f32_e32 v175, v139, v165
	s_waitcnt vmcnt(4)
	v_fma_f32 v3, v152, v166, -v3
	v_add_f32_e32 v2, v2, v5
	v_fmac_f32_e32 v178, v153, v166
	v_add_f32_e32 v1, v1, v160
	v_mul_f32_e32 v5, v141, v202
	v_fma_f32 v4, v138, v165, -v4
	v_add_f32_e32 v2, v2, v3
	v_mul_f32_e32 v3, v155, v203
	v_add_f32_e32 v1, v1, v178
	v_fma_f32 v5, v140, v164, -v5
	v_fmac_f32_e32 v168, v141, v164
	v_add_f32_e32 v2, v2, v4
	v_mul_f32_e32 v4, v157, v204
	v_add_f32_e32 v1, v1, v175
	v_fma_f32 v3, v154, v163, -v3
	v_fmac_f32_e32 v179, v155, v163
	v_add_f32_e32 v2, v2, v5
	v_mul_f32_e32 v5, v143, v205
	v_add_f32_e32 v1, v1, v168
	s_waitcnt vmcnt(1)
	v_fma_f32 v4, v156, v210, -v4
	v_fmac_f32_e32 v176, v157, v210
	v_add_f32_e32 v2, v2, v3
	v_mul_f32_e32 v3, v145, v206
	v_add_f32_e32 v1, v1, v179
	v_fma_f32 v5, v142, v209, -v5
	v_fmac_f32_e32 v162, v143, v209
	v_add_f32_e32 v2, v2, v4
	v_fma_f32 v3, v144, v167, -v3
	v_add_f32_e32 v1, v1, v176
	v_fmac_f32_e32 v7, v145, v167
	v_add_f32_e32 v2, v2, v5
	v_add_f32_e32 v1, v1, v162
	v_add_f32_e32 v2, v2, v3
	v_add_f32_e32 v1, v1, v7
	s_waitcnt vmcnt(0)
	v_sub_f32_e32 v2, v211, v2
	v_sub_f32_e32 v1, v199, v1
	buffer_store_dword v2, off, s[0:3], 0 offset:216
	buffer_store_dword v1, off, s[0:3], 0 offset:220
	v_cmpx_lt_u32_e32 26, v0
	s_cbranch_execz .LBB61_333
; %bb.332:
	s_clause 0x1
	buffer_load_dword v1, off, s[0:3], 0 offset:208
	buffer_load_dword v2, off, s[0:3], 0 offset:212
	v_mov_b32_e32 v3, 0
	buffer_store_dword v3, off, s[0:3], 0 offset:208
	buffer_store_dword v3, off, s[0:3], 0 offset:212
	s_waitcnt vmcnt(0)
	ds_write_b64 v137, v[1:2]
.LBB61_333:
	s_or_b32 exec_lo, exec_lo, s4
	s_waitcnt lgkmcnt(0)
	s_waitcnt_vscnt null, 0x0
	s_barrier
	buffer_gl0_inv
	s_clause 0x23
	buffer_load_dword v2, off, s[0:3], 0 offset:220
	buffer_load_dword v3, off, s[0:3], 0 offset:228
	buffer_load_dword v12, off, s[0:3], 0 offset:232
	buffer_load_dword v146, off, s[0:3], 0 offset:224
	buffer_load_dword v147, off, s[0:3], 0 offset:216
	buffer_load_dword v148, off, s[0:3], 0 offset:236
	buffer_load_dword v149, off, s[0:3], 0 offset:244
	buffer_load_dword v150, off, s[0:3], 0 offset:252
	buffer_load_dword v151, off, s[0:3], 0 offset:260
	buffer_load_dword v152, off, s[0:3], 0 offset:264
	buffer_load_dword v153, off, s[0:3], 0 offset:256
	buffer_load_dword v154, off, s[0:3], 0 offset:248
	buffer_load_dword v155, off, s[0:3], 0 offset:240
	buffer_load_dword v156, off, s[0:3], 0 offset:268
	buffer_load_dword v157, off, s[0:3], 0 offset:276
	buffer_load_dword v158, off, s[0:3], 0 offset:296
	buffer_load_dword v159, off, s[0:3], 0 offset:288
	buffer_load_dword v160, off, s[0:3], 0 offset:280
	buffer_load_dword v161, off, s[0:3], 0 offset:272
	buffer_load_dword v162, off, s[0:3], 0 offset:284
	buffer_load_dword v163, off, s[0:3], 0 offset:292
	buffer_load_dword v164, off, s[0:3], 0 offset:300
	buffer_load_dword v165, off, s[0:3], 0 offset:308
	buffer_load_dword v166, off, s[0:3], 0 offset:328
	buffer_load_dword v167, off, s[0:3], 0 offset:320
	buffer_load_dword v168, off, s[0:3], 0 offset:312
	buffer_load_dword v169, off, s[0:3], 0 offset:304
	buffer_load_dword v170, off, s[0:3], 0 offset:316
	buffer_load_dword v171, off, s[0:3], 0 offset:324
	buffer_load_dword v172, off, s[0:3], 0 offset:332
	buffer_load_dword v173, off, s[0:3], 0 offset:340
	buffer_load_dword v174, off, s[0:3], 0 offset:348
	buffer_load_dword v175, off, s[0:3], 0 offset:360
	buffer_load_dword v176, off, s[0:3], 0 offset:352
	buffer_load_dword v177, off, s[0:3], 0 offset:344
	buffer_load_dword v178, off, s[0:3], 0 offset:336
	v_mov_b32_e32 v1, 0
	s_clause 0x1
	buffer_load_dword v179, off, s[0:3], 0 offset:356
	buffer_load_dword v180, off, s[0:3], 0 offset:364
	s_mov_b32 s4, exec_lo
	ds_read2_b64 v[4:7], v1 offset0:89 offset1:90
	s_clause 0x7
	buffer_load_dword v181, off, s[0:3], 0 offset:372
	buffer_load_dword v182, off, s[0:3], 0 offset:380
	;; [unrolled: 1-line block ×8, first 2 shown]
	ds_read2_b64 v[8:11], v1 offset0:91 offset1:92
	s_clause 0x3
	buffer_load_dword v189, off, s[0:3], 0 offset:404
	buffer_load_dword v190, off, s[0:3], 0 offset:412
	;; [unrolled: 1-line block ×4, first 2 shown]
	ds_read2_b64 v[138:141], v1 offset0:93 offset1:94
	s_clause 0x4
	buffer_load_dword v193, off, s[0:3], 0 offset:436
	buffer_load_dword v194, off, s[0:3], 0 offset:444
	;; [unrolled: 1-line block ×5, first 2 shown]
	ds_read2_b64 v[142:145], v1 offset0:95 offset1:96
	s_waitcnt vmcnt(54) lgkmcnt(3)
	v_mul_f32_e32 v198, v5, v2
	v_mul_f32_e32 v199, v4, v2
	s_waitcnt vmcnt(53)
	v_mul_f32_e32 v200, v6, v3
	v_mul_f32_e32 v2, v7, v3
	s_waitcnt vmcnt(50)
	v_fma_f32 v198, v4, v147, -v198
	v_fmac_f32_e32 v199, v5, v147
	v_fmac_f32_e32 v200, v7, v146
	v_fma_f32 v146, v6, v146, -v2
	ds_read2_b64 v[2:5], v1 offset0:97 offset1:98
	s_waitcnt vmcnt(49) lgkmcnt(3)
	v_mul_f32_e32 v147, v8, v148
	v_mul_f32_e32 v6, v9, v148
	s_clause 0x7
	buffer_load_dword v202, off, s[0:3], 0 offset:468
	buffer_load_dword v203, off, s[0:3], 0 offset:476
	;; [unrolled: 1-line block ×8, first 2 shown]
	s_waitcnt vmcnt(56)
	v_mul_f32_e32 v148, v10, v149
	v_mul_f32_e32 v7, v11, v149
	s_waitcnt vmcnt(55) lgkmcnt(2)
	v_mul_f32_e32 v149, v138, v150
	v_mul_f32_e32 v150, v139, v150
	v_fmac_f32_e32 v147, v9, v12
	v_fma_f32 v12, v8, v12, -v6
	s_waitcnt vmcnt(54)
	v_mul_f32_e32 v6, v141, v151
	v_mul_f32_e32 v201, v140, v151
	s_waitcnt vmcnt(50)
	v_fmac_f32_e32 v148, v11, v155
	v_fma_f32 v11, v138, v154, -v150
	s_waitcnt vmcnt(49) lgkmcnt(1)
	v_mul_f32_e32 v150, v142, v156
	v_fma_f32 v138, v140, v153, -v6
	v_mul_f32_e32 v6, v143, v156
	v_fma_f32 v10, v10, v155, -v7
	v_fmac_f32_e32 v149, v139, v154
	v_fmac_f32_e32 v201, v141, v153
	s_waitcnt vmcnt(48)
	v_mul_f32_e32 v151, v144, v157
	v_mul_f32_e32 v7, v145, v157
	v_fmac_f32_e32 v150, v143, v152
	v_fma_f32 v142, v142, v152, -v6
	s_waitcnt vmcnt(43) lgkmcnt(0)
	v_mul_f32_e32 v152, v2, v162
	v_mul_f32_e32 v139, v3, v162
	s_waitcnt vmcnt(42)
	v_mul_f32_e32 v153, v4, v163
	v_mul_f32_e32 v140, v5, v163
	v_fmac_f32_e32 v151, v145, v161
	v_fma_f32 v143, v144, v161, -v7
	ds_read2_b64 v[6:9], v1 offset0:99 offset1:100
	v_fmac_f32_e32 v152, v3, v160
	v_fma_f32 v154, v2, v160, -v139
	v_fmac_f32_e32 v153, v5, v159
	v_fma_f32 v155, v4, v159, -v140
	s_clause 0x3
	buffer_load_dword v159, off, s[0:3], 0 offset:456
	buffer_load_dword v160, off, s[0:3], 0 offset:448
	;; [unrolled: 1-line block ×4, first 2 shown]
	v_add_f32_e32 v2, 0, v198
	s_clause 0x3
	buffer_load_dword v163, off, s[0:3], 0 offset:488
	buffer_load_dword v198, off, s[0:3], 0 offset:480
	;; [unrolled: 1-line block ×4, first 2 shown]
	v_add_f32_e32 v3, 0, v199
	buffer_load_dword v199, off, s[0:3], 0 offset:208
	v_add_f32_e32 v2, v2, v146
	v_add_f32_e32 v3, v3, v200
	;; [unrolled: 1-line block ×4, first 2 shown]
	s_waitcnt vmcnt(50) lgkmcnt(0)
	v_mul_f32_e32 v12, v6, v164
	v_mul_f32_e32 v4, v7, v164
	v_fmac_f32_e32 v12, v7, v158
	v_fma_f32 v146, v6, v158, -v4
	v_add_f32_e32 v6, v2, v10
	v_add_f32_e32 v7, v3, v148
	ds_read2_b64 v[2:5], v1 offset0:101 offset1:102
	v_add_f32_e32 v10, v6, v11
	s_waitcnt vmcnt(49)
	v_mul_f32_e32 v11, v8, v165
	v_mul_f32_e32 v6, v9, v165
	v_add_f32_e32 v139, v7, v149
	v_add_f32_e32 v10, v10, v138
	s_waitcnt vmcnt(45)
	v_fmac_f32_e32 v11, v9, v169
	v_fma_f32 v156, v8, v169, -v6
	ds_read2_b64 v[6:9], v1 offset0:103 offset1:104
	v_add_f32_e32 v144, v139, v201
	ds_read2_b64 v[138:141], v1 offset0:105 offset1:106
	v_add_f32_e32 v10, v10, v142
	v_add_f32_e32 v144, v144, v150
	;; [unrolled: 1-line block ×3, first 2 shown]
	s_waitcnt vmcnt(44) lgkmcnt(2)
	v_mul_f32_e32 v142, v3, v170
	v_mul_f32_e32 v157, v2, v170
	s_waitcnt vmcnt(43)
	v_mul_f32_e32 v147, v5, v171
	v_fma_f32 v158, v2, v168, -v142
	v_add_f32_e32 v2, v144, v151
	v_fmac_f32_e32 v157, v3, v168
	v_add_f32_e32 v3, v10, v154
	ds_read2_b64 v[142:145], v1 offset0:107 offset1:108
	v_mul_f32_e32 v10, v4, v171
	v_add_f32_e32 v2, v2, v152
	s_waitcnt vmcnt(42) lgkmcnt(2)
	v_mul_f32_e32 v148, v7, v172
	v_add_f32_e32 v3, v3, v155
	v_mul_f32_e32 v164, v6, v172
	s_waitcnt vmcnt(40) lgkmcnt(1)
	v_mul_f32_e32 v168, v138, v174
	v_add_f32_e32 v2, v2, v153
	v_fma_f32 v155, v6, v166, -v148
	v_add_f32_e32 v6, v3, v146
	v_fmac_f32_e32 v164, v7, v166
	s_waitcnt vmcnt(37)
	v_fmac_f32_e32 v168, v139, v177
	v_add_f32_e32 v7, v2, v12
	v_mul_f32_e32 v12, v139, v174
	v_add_f32_e32 v139, v6, v156
	v_fma_f32 v154, v4, v167, -v147
	v_fmac_f32_e32 v10, v5, v167
	v_add_f32_e32 v11, v7, v11
	v_fma_f32 v12, v138, v177, -v12
	v_add_f32_e32 v138, v139, v158
	v_mul_f32_e32 v150, v9, v173
	v_mul_f32_e32 v165, v8, v173
	v_add_f32_e32 v11, v11, v157
	ds_read2_b64 v[2:5], v1 offset0:109 offset1:110
	ds_read2_b64 v[146:149], v1 offset0:111 offset1:112
	v_add_f32_e32 v138, v138, v154
	s_waitcnt vmcnt(36)
	v_fma_f32 v166, v8, v178, -v150
	v_fmac_f32_e32 v165, v9, v178
	v_add_f32_e32 v10, v11, v10
	s_waitcnt vmcnt(35)
	v_mul_f32_e32 v139, v141, v179
	v_add_f32_e32 v173, v138, v155
	v_mul_f32_e32 v158, v140, v179
	s_waitcnt vmcnt(34) lgkmcnt(2)
	v_mul_f32_e32 v154, v143, v180
	v_add_f32_e32 v164, v10, v164
	v_fma_f32 v171, v140, v176, -v139
	v_add_f32_e32 v166, v173, v166
	v_mul_f32_e32 v167, v142, v180
	v_fmac_f32_e32 v158, v141, v176
	v_add_f32_e32 v164, v164, v165
	s_waitcnt vmcnt(33)
	v_mul_f32_e32 v170, v145, v181
	v_add_f32_e32 v12, v166, v12
	v_fma_f32 v172, v142, v175, -v154
	v_mul_f32_e32 v169, v144, v181
	v_add_f32_e32 v164, v164, v168
	v_fmac_f32_e32 v167, v143, v175
	v_add_f32_e32 v12, v12, v171
	s_waitcnt vmcnt(26)
	v_fma_f32 v170, v144, v188, -v170
	s_waitcnt lgkmcnt(1)
	v_mul_f32_e32 v174, v3, v182
	v_add_f32_e32 v158, v164, v158
	ds_read2_b64 v[6:9], v1 offset0:113 offset1:114
	ds_read2_b64 v[150:153], v1 offset0:115 offset1:116
	v_add_f32_e32 v12, v12, v172
	v_fmac_f32_e32 v169, v145, v188
	v_mul_f32_e32 v173, v2, v182
	v_add_f32_e32 v158, v158, v167
	v_mul_f32_e32 v175, v5, v183
	v_fma_f32 v2, v2, v187, -v174
	v_add_f32_e32 v12, v12, v170
	v_mul_f32_e32 v165, v4, v183
	v_fmac_f32_e32 v173, v3, v187
	v_add_f32_e32 v158, v158, v169
	s_waitcnt lgkmcnt(2)
	v_mul_f32_e32 v174, v147, v184
	v_fma_f32 v4, v4, v186, -v175
	v_add_f32_e32 v2, v12, v2
	v_mul_f32_e32 v166, v146, v184
	v_fmac_f32_e32 v165, v5, v186
	v_add_f32_e32 v12, v158, v173
	s_waitcnt vmcnt(25)
	v_mul_f32_e32 v169, v149, v189
	v_fma_f32 v146, v146, v185, -v174
	v_add_f32_e32 v2, v2, v4
	v_mul_f32_e32 v168, v148, v189
	v_fmac_f32_e32 v166, v147, v185
	v_add_f32_e32 v4, v12, v165
	s_waitcnt vmcnt(24) lgkmcnt(1)
	v_mul_f32_e32 v12, v7, v190
	v_add_f32_e32 v2, v2, v146
	ds_read2_b64 v[138:141], v1 offset0:117 offset1:118
	ds_read2_b64 v[154:157], v1 offset0:119 offset1:120
	v_mul_f32_e32 v3, v6, v190
	v_add_f32_e32 v4, v4, v166
	s_waitcnt vmcnt(23)
	v_mul_f32_e32 v146, v9, v191
	v_mul_f32_e32 v171, v8, v191
	s_waitcnt vmcnt(22) lgkmcnt(2)
	v_mul_f32_e32 v164, v150, v192
	s_waitcnt vmcnt(21)
	v_mul_f32_e32 v5, v152, v193
	ds_read2_b64 v[142:145], v1 offset0:121 offset1:122
	ds_read_b64 v[10:11], v1 offset:984
	s_waitcnt vmcnt(20) lgkmcnt(3)
	v_mul_f32_e32 v175, v138, v194
	s_waitcnt vmcnt(19)
	v_mul_f32_e32 v167, v140, v195
	s_waitcnt vmcnt(18) lgkmcnt(2)
	v_mul_f32_e32 v172, v154, v196
	s_waitcnt vmcnt(16)
	v_mul_f32_e32 v176, v156, v202
	s_waitcnt vmcnt(12)
	v_fmac_f32_e32 v164, v151, v206
	s_waitcnt vmcnt(11)
	v_fma_f32 v8, v8, v207, -v146
	s_waitcnt vmcnt(10)
	v_fma_f32 v6, v6, v208, -v12
	s_waitcnt vmcnt(9)
	v_fma_f32 v147, v148, v209, -v169
	v_fmac_f32_e32 v168, v149, v209
	v_fmac_f32_e32 v3, v7, v208
	v_mul_f32_e32 v7, v151, v192
	v_fmac_f32_e32 v171, v9, v207
	v_add_f32_e32 v2, v2, v147
	v_add_f32_e32 v4, v4, v168
	s_waitcnt lgkmcnt(1)
	v_mul_f32_e32 v170, v142, v203
	v_mul_f32_e32 v177, v144, v204
	s_waitcnt lgkmcnt(0)
	v_mul_f32_e32 v158, v10, v205
	v_add_f32_e32 v2, v2, v6
	v_add_f32_e32 v3, v4, v3
	v_mul_f32_e32 v4, v153, v193
	v_fma_f32 v6, v150, v206, -v7
	v_mul_f32_e32 v7, v139, v194
	v_add_f32_e32 v2, v2, v8
	v_add_f32_e32 v3, v3, v171
	;; [unrolled: 1-line block ×4, first 2 shown]
	v_mul_f32_e32 v6, v141, v195
	s_waitcnt vmcnt(8)
	v_fmac_f32_e32 v172, v155, v159
	s_waitcnt vmcnt(7)
	v_fmac_f32_e32 v167, v141, v160
	s_waitcnt vmcnt(6)
	v_fma_f32 v7, v138, v161, -v7
	s_waitcnt vmcnt(5)
	v_fma_f32 v4, v152, v162, -v4
	v_fmac_f32_e32 v5, v153, v162
	v_fmac_f32_e32 v175, v139, v161
	s_waitcnt vmcnt(1)
	v_fmac_f32_e32 v176, v157, v211
	v_fmac_f32_e32 v170, v143, v210
	v_add_f32_e32 v2, v2, v4
	v_add_f32_e32 v3, v3, v5
	v_mul_f32_e32 v4, v155, v196
	v_fma_f32 v5, v140, v160, -v6
	v_mul_f32_e32 v6, v157, v202
	v_add_f32_e32 v2, v2, v7
	v_add_f32_e32 v3, v3, v175
	v_fma_f32 v4, v154, v159, -v4
	v_fmac_f32_e32 v177, v145, v198
	v_fma_f32 v6, v156, v211, -v6
	v_add_f32_e32 v2, v2, v5
	v_add_f32_e32 v3, v3, v167
	v_mul_f32_e32 v5, v143, v203
	v_fmac_f32_e32 v158, v11, v163
	v_add_f32_e32 v2, v2, v4
	v_add_f32_e32 v3, v3, v172
	v_mul_f32_e32 v4, v145, v204
	v_fma_f32 v5, v142, v210, -v5
	v_add_f32_e32 v2, v2, v6
	v_add_f32_e32 v3, v3, v176
	v_mul_f32_e32 v6, v11, v205
	v_fma_f32 v4, v144, v198, -v4
	v_add_f32_e32 v2, v2, v5
	v_add_f32_e32 v3, v3, v170
	v_fma_f32 v5, v10, v163, -v6
	v_add_f32_e32 v2, v2, v4
	v_add_f32_e32 v3, v3, v177
	v_add_f32_e32 v2, v2, v5
	v_add_f32_e32 v3, v3, v158
	s_waitcnt vmcnt(0)
	v_sub_f32_e32 v2, v199, v2
	v_sub_f32_e32 v3, v197, v3
	buffer_store_dword v2, off, s[0:3], 0 offset:208
	buffer_store_dword v3, off, s[0:3], 0 offset:212
	v_cmpx_lt_u32_e32 25, v0
	s_cbranch_execz .LBB61_335
; %bb.334:
	s_clause 0x1
	buffer_load_dword v2, off, s[0:3], 0 offset:200
	buffer_load_dword v3, off, s[0:3], 0 offset:204
	buffer_store_dword v1, off, s[0:3], 0 offset:200
	buffer_store_dword v1, off, s[0:3], 0 offset:204
	s_waitcnt vmcnt(0)
	ds_write_b64 v137, v[2:3]
.LBB61_335:
	s_or_b32 exec_lo, exec_lo, s4
	s_waitcnt lgkmcnt(0)
	s_waitcnt_vscnt null, 0x0
	s_barrier
	buffer_gl0_inv
	s_clause 0x23
	buffer_load_dword v146, off, s[0:3], 0 offset:212
	buffer_load_dword v147, off, s[0:3], 0 offset:220
	;; [unrolled: 1-line block ×36, first 2 shown]
	ds_read_b128 v[5:8], v1 offset:704
	s_clause 0x2
	buffer_load_dword v182, off, s[0:3], 0 offset:348
	buffer_load_dword v183, off, s[0:3], 0 offset:356
	;; [unrolled: 1-line block ×3, first 2 shown]
	ds_read_b128 v[9:12], v1 offset:720
	s_clause 0x3
	buffer_load_dword v185, off, s[0:3], 0 offset:396
	buffer_load_dword v4, off, s[0:3], 0 offset:404
	;; [unrolled: 1-line block ×4, first 2 shown]
	ds_read_b128 v[138:141], v1 offset:736
	s_clause 0x6
	buffer_load_dword v186, off, s[0:3], 0 offset:372
	buffer_load_dword v187, off, s[0:3], 0 offset:380
	buffer_load_dword v188, off, s[0:3], 0 offset:388
	buffer_load_dword v189, off, s[0:3], 0 offset:384
	buffer_load_dword v190, off, s[0:3], 0 offset:376
	buffer_load_dword v191, off, s[0:3], 0 offset:368
	buffer_load_dword v192, off, s[0:3], 0 offset:360
	ds_read_b128 v[142:145], v1 offset:752
	buffer_load_dword v196, off, s[0:3], 0 offset:204
	s_mov_b32 s4, exec_lo
	s_waitcnt vmcnt(50) lgkmcnt(3)
	v_mul_f32_e32 v193, v6, v146
	v_mul_f32_e32 v194, v5, v146
	s_waitcnt vmcnt(49)
	v_mul_f32_e32 v195, v7, v147
	v_mul_f32_e32 v146, v8, v147
	s_waitcnt vmcnt(46)
	v_fma_f32 v193, v5, v149, -v193
	v_fmac_f32_e32 v194, v6, v149
	v_fmac_f32_e32 v195, v8, v148
	v_fma_f32 v197, v7, v148, -v146
	ds_read_b128 v[5:8], v1 offset:768
	ds_read_b128 v[146:149], v1 offset:784
	s_waitcnt vmcnt(45) lgkmcnt(4)
	v_mul_f32_e32 v198, v9, v151
	v_mul_f32_e32 v151, v10, v151
	s_waitcnt vmcnt(43) lgkmcnt(3)
	v_mul_f32_e32 v200, v138, v153
	v_mul_f32_e32 v153, v139, v153
	;; [unrolled: 1-line block ×3, first 2 shown]
	v_fmac_f32_e32 v198, v10, v150
	v_fma_f32 v150, v9, v150, -v151
	s_waitcnt vmcnt(42)
	v_mul_f32_e32 v9, v141, v154
	v_mul_f32_e32 v152, v12, v152
	;; [unrolled: 1-line block ×3, first 2 shown]
	s_waitcnt vmcnt(39)
	v_fmac_f32_e32 v200, v139, v157
	v_fma_f32 v138, v138, v157, -v153
	v_fma_f32 v139, v140, v156, -v9
	s_waitcnt vmcnt(37) lgkmcnt(2)
	v_mul_f32_e32 v140, v142, v159
	v_mul_f32_e32 v9, v143, v159
	s_waitcnt vmcnt(36)
	v_mul_f32_e32 v153, v144, v160
	v_mul_f32_e32 v10, v145, v160
	v_fmac_f32_e32 v199, v12, v158
	v_fma_f32 v152, v11, v158, -v152
	s_clause 0x3
	buffer_load_dword v158, off, s[0:3], 0 offset:428
	buffer_load_dword v201, off, s[0:3], 0 offset:436
	;; [unrolled: 1-line block ×4, first 2 shown]
	v_fmac_f32_e32 v151, v141, v156
	s_clause 0x4
	buffer_load_dword v204, off, s[0:3], 0 offset:460
	buffer_load_dword v205, off, s[0:3], 0 offset:468
	;; [unrolled: 1-line block ×5, first 2 shown]
	v_fmac_f32_e32 v140, v143, v155
	v_fma_f32 v141, v142, v155, -v9
	s_waitcnt vmcnt(44) lgkmcnt(1)
	v_mul_f32_e32 v142, v5, v161
	v_mul_f32_e32 v9, v6, v161
	s_waitcnt vmcnt(40)
	v_fmac_f32_e32 v153, v145, v165
	v_fma_f32 v143, v144, v165, -v10
	s_waitcnt vmcnt(39)
	v_mul_f32_e32 v154, v7, v166
	v_mul_f32_e32 v10, v8, v166
	s_clause 0x3
	buffer_load_dword v160, off, s[0:3], 0 offset:416
	buffer_load_dword v161, off, s[0:3], 0 offset:408
	;; [unrolled: 1-line block ×4, first 2 shown]
	v_fmac_f32_e32 v142, v6, v164
	v_fma_f32 v144, v5, v164, -v9
	v_fmac_f32_e32 v154, v8, v163
	v_fma_f32 v155, v7, v163, -v10
	ds_read_b128 v[5:8], v1 offset:800
	s_waitcnt vmcnt(42) lgkmcnt(1)
	v_mul_f32_e32 v156, v146, v167
	v_mul_f32_e32 v9, v147, v167
	s_waitcnt vmcnt(41)
	v_mul_f32_e32 v157, v148, v168
	v_mul_f32_e32 v10, v149, v168
	v_fmac_f32_e32 v156, v147, v162
	v_fma_f32 v146, v146, v162, -v9
	s_clause 0x3
	buffer_load_dword v162, off, s[0:3], 0 offset:448
	buffer_load_dword v163, off, s[0:3], 0 offset:440
	;; [unrolled: 1-line block ×4, first 2 shown]
	v_add_f32_e32 v9, 0, v193
	s_waitcnt vmcnt(41)
	v_fmac_f32_e32 v157, v149, v172
	v_fma_f32 v147, v148, v172, -v10
	v_add_f32_e32 v10, 0, v194
	v_add_f32_e32 v145, v9, v197
	;; [unrolled: 1-line block ×3, first 2 shown]
	ds_read_b128 v[9:12], v1 offset:816
	v_add_f32_e32 v145, v145, v150
	s_waitcnt vmcnt(40) lgkmcnt(1)
	v_mul_f32_e32 v150, v5, v173
	v_mul_f32_e32 v149, v6, v173
	v_add_f32_e32 v148, v148, v198
	s_waitcnt vmcnt(39)
	v_mul_f32_e32 v197, v7, v174
	v_fmac_f32_e32 v150, v6, v171
	v_fma_f32 v168, v5, v171, -v149
	s_clause 0x5
	buffer_load_dword v171, off, s[0:3], 0 offset:480
	buffer_load_dword v172, off, s[0:3], 0 offset:472
	buffer_load_dword v173, off, s[0:3], 0 offset:464
	buffer_load_dword v193, off, s[0:3], 0 offset:456
	buffer_load_dword v194, off, s[0:3], 0 offset:488
	buffer_load_dword v195, off, s[0:3], 0 offset:200
	v_add_f32_e32 v5, v145, v152
	v_add_f32_e32 v6, v148, v199
	v_fmac_f32_e32 v197, v8, v170
	v_add_f32_e32 v5, v5, v138
	v_add_f32_e32 v6, v6, v200
	v_mul_f32_e32 v138, v8, v174
	s_waitcnt vmcnt(43) lgkmcnt(0)
	v_mul_f32_e32 v149, v12, v176
	v_mul_f32_e32 v174, v9, v175
	v_add_f32_e32 v5, v5, v139
	v_add_f32_e32 v139, v6, v151
	v_fma_f32 v170, v7, v170, -v138
	v_fmac_f32_e32 v174, v10, v169
	v_add_f32_e32 v145, v5, v141
	ds_read_b128 v[5:8], v1 offset:832
	v_add_f32_e32 v148, v139, v140
	ds_read_b128 v[138:141], v1 offset:848
	v_add_f32_e32 v143, v145, v143
	v_mul_f32_e32 v145, v10, v175
	v_add_f32_e32 v148, v148, v153
	v_mul_f32_e32 v175, v11, v176
	s_waitcnt vmcnt(39)
	v_fma_f32 v176, v11, v180, -v149
	v_add_f32_e32 v151, v143, v144
	v_fma_f32 v169, v9, v169, -v145
	v_add_f32_e32 v148, v148, v142
	v_fmac_f32_e32 v175, v12, v180
	ds_read_b128 v[9:12], v1 offset:864
	ds_read_b128 v[142:145], v1 offset:880
	v_add_f32_e32 v149, v151, v155
	v_add_f32_e32 v148, v148, v154
	;; [unrolled: 1-line block ×3, first 2 shown]
	s_waitcnt vmcnt(38) lgkmcnt(3)
	v_mul_f32_e32 v180, v5, v181
	v_mul_f32_e32 v151, v6, v181
	s_waitcnt vmcnt(37)
	v_mul_f32_e32 v181, v7, v182
	v_mul_f32_e32 v152, v8, v182
	v_add_f32_e32 v148, v148, v156
	v_fmac_f32_e32 v180, v6, v179
	v_fma_f32 v179, v5, v179, -v151
	v_add_f32_e32 v151, v146, v147
	v_fmac_f32_e32 v181, v8, v178
	v_fma_f32 v178, v7, v178, -v152
	v_add_f32_e32 v152, v148, v157
	s_waitcnt vmcnt(35) lgkmcnt(2)
	v_mul_f32_e32 v154, v141, v184
	v_add_f32_e32 v155, v151, v168
	s_waitcnt vmcnt(30) lgkmcnt(1)
	v_mul_f32_e32 v156, v10, v186
	v_mul_f32_e32 v182, v138, v183
	;; [unrolled: 1-line block ×3, first 2 shown]
	s_waitcnt vmcnt(24)
	v_fma_f32 v168, v140, v192, -v154
	v_add_f32_e32 v154, v152, v150
	v_add_f32_e32 v155, v155, v170
	v_mul_f32_e32 v170, v9, v186
	v_fmac_f32_e32 v182, v139, v177
	v_fma_f32 v177, v138, v177, -v153
	v_add_f32_e32 v154, v154, v197
	v_mul_f32_e32 v183, v140, v184
	v_fmac_f32_e32 v170, v10, v191
	v_add_f32_e32 v10, v155, v169
	ds_read_b128 v[5:8], v1 offset:896
	ds_read_b128 v[146:149], v1 offset:912
	v_add_f32_e32 v154, v154, v174
	v_fmac_f32_e32 v183, v141, v192
	v_mul_f32_e32 v157, v12, v187
	v_add_f32_e32 v176, v10, v176
	v_fma_f32 v169, v9, v191, -v156
	v_add_f32_e32 v175, v154, v175
	v_mul_f32_e32 v184, v11, v187
	v_fma_f32 v174, v11, v190, -v157
	v_add_f32_e32 v176, v176, v179
	s_waitcnt lgkmcnt(2)
	v_mul_f32_e32 v179, v143, v188
	v_add_f32_e32 v175, v175, v180
	ds_read_b128 v[138:141], v1 offset:928
	ds_read_b128 v[150:153], v1 offset:944
	v_fmac_f32_e32 v184, v12, v190
	v_add_f32_e32 v176, v176, v178
	ds_read_b128 v[9:12], v1 offset:960
	ds_read_b128 v[154:157], v1 offset:976
	v_add_f32_e32 v175, v175, v181
	v_mul_f32_e32 v1, v142, v188
	v_mul_f32_e32 v180, v144, v185
	v_add_f32_e32 v176, v176, v177
	v_mul_f32_e32 v185, v145, v185
	v_add_f32_e32 v175, v175, v182
	v_fma_f32 v142, v142, v189, -v179
	v_fmac_f32_e32 v1, v143, v189
	v_add_f32_e32 v168, v176, v168
	s_waitcnt lgkmcnt(5)
	v_mul_f32_e32 v178, v5, v4
	v_add_f32_e32 v175, v175, v183
	v_mul_f32_e32 v4, v6, v4
	v_mul_f32_e32 v181, v7, v3
	v_add_f32_e32 v168, v168, v169
	v_mul_f32_e32 v3, v8, v3
	v_add_f32_e32 v170, v175, v170
	s_waitcnt lgkmcnt(4)
	v_mul_f32_e32 v186, v146, v2
	v_mul_f32_e32 v2, v147, v2
	v_add_f32_e32 v168, v168, v174
	v_add_f32_e32 v170, v170, v184
	;; [unrolled: 1-line block ×4, first 2 shown]
	s_waitcnt vmcnt(22)
	v_mul_f32_e32 v177, v148, v158
	s_waitcnt vmcnt(21) lgkmcnt(3)
	v_mul_f32_e32 v182, v138, v201
	s_waitcnt vmcnt(20)
	v_mul_f32_e32 v187, v140, v202
	s_waitcnt vmcnt(19) lgkmcnt(2)
	v_mul_f32_e32 v176, v150, v203
	;; [unrolled: 4-line block ×4, first 2 shown]
	s_waitcnt vmcnt(14)
	v_mul_f32_e32 v143, v156, v159
	s_waitcnt vmcnt(13)
	v_fma_f32 v2, v146, v160, -v2
	s_waitcnt vmcnt(12)
	v_fma_f32 v3, v7, v161, -v3
	;; [unrolled: 2-line block ×4, first 2 shown]
	v_fmac_f32_e32 v180, v145, v166
	v_fmac_f32_e32 v178, v6, v165
	;; [unrolled: 1-line block ×4, first 2 shown]
	v_add_f32_e32 v5, v142, v144
	v_add_f32_e32 v1, v1, v180
	;; [unrolled: 1-line block ×4, first 2 shown]
	v_mul_f32_e32 v5, v149, v158
	s_waitcnt vmcnt(6)
	v_fmac_f32_e32 v177, v149, v167
	v_fmac_f32_e32 v182, v139, v164
	v_add_f32_e32 v3, v4, v3
	v_add_f32_e32 v1, v1, v181
	v_mul_f32_e32 v4, v139, v201
	v_fma_f32 v5, v148, v167, -v5
	v_fmac_f32_e32 v187, v141, v163
	v_add_f32_e32 v2, v3, v2
	v_add_f32_e32 v1, v1, v186
	v_mul_f32_e32 v3, v141, v202
	v_fma_f32 v4, v138, v164, -v4
	;; [unrolled: 5-line block ×3, first 2 shown]
	s_waitcnt vmcnt(5)
	v_fmac_f32_e32 v175, v155, v171
	v_add_f32_e32 v2, v2, v4
	v_add_f32_e32 v1, v1, v182
	v_mul_f32_e32 v4, v153, v204
	v_fma_f32 v5, v150, v162, -v5
	s_waitcnt vmcnt(2)
	v_fmac_f32_e32 v183, v153, v193
	v_add_f32_e32 v2, v2, v3
	v_add_f32_e32 v1, v1, v187
	v_mul_f32_e32 v3, v10, v205
	v_fma_f32 v4, v152, v193, -v4
	v_fmac_f32_e32 v188, v10, v173
	v_add_f32_e32 v2, v2, v5
	v_add_f32_e32 v1, v1, v176
	v_mul_f32_e32 v5, v12, v206
	v_fma_f32 v3, v9, v173, -v3
	;; [unrolled: 5-line block ×3, first 2 shown]
	s_waitcnt vmcnt(1)
	v_fmac_f32_e32 v143, v157, v194
	v_add_f32_e32 v2, v2, v3
	v_add_f32_e32 v1, v1, v188
	v_mul_f32_e32 v3, v157, v159
	v_fma_f32 v4, v154, v171, -v4
	v_add_f32_e32 v2, v2, v5
	v_add_f32_e32 v1, v1, v169
	v_fma_f32 v3, v156, v194, -v3
	v_add_f32_e32 v2, v2, v4
	v_add_f32_e32 v1, v1, v175
	;; [unrolled: 1-line block ×4, first 2 shown]
	s_waitcnt vmcnt(0)
	v_sub_f32_e32 v2, v195, v2
	v_sub_f32_e32 v1, v196, v1
	buffer_store_dword v2, off, s[0:3], 0 offset:200
	buffer_store_dword v1, off, s[0:3], 0 offset:204
	v_cmpx_lt_u32_e32 24, v0
	s_cbranch_execz .LBB61_337
; %bb.336:
	s_clause 0x1
	buffer_load_dword v1, off, s[0:3], 0 offset:192
	buffer_load_dword v2, off, s[0:3], 0 offset:196
	v_mov_b32_e32 v3, 0
	buffer_store_dword v3, off, s[0:3], 0 offset:192
	buffer_store_dword v3, off, s[0:3], 0 offset:196
	s_waitcnt vmcnt(0)
	ds_write_b64 v137, v[1:2]
.LBB61_337:
	s_or_b32 exec_lo, exec_lo, s4
	s_waitcnt lgkmcnt(0)
	s_waitcnt_vscnt null, 0x0
	s_barrier
	buffer_gl0_inv
	s_clause 0x25
	buffer_load_dword v2, off, s[0:3], 0 offset:204
	buffer_load_dword v3, off, s[0:3], 0 offset:212
	;; [unrolled: 1-line block ×38, first 2 shown]
	v_mov_b32_e32 v1, 0
	ds_read2_b64 v[4:7], v1 offset0:87 offset1:88
	ds_read2_b64 v[8:11], v1 offset0:89 offset1:90
	s_clause 0x10
	buffer_load_dword v181, off, s[0:3], 0 offset:356
	buffer_load_dword v182, off, s[0:3], 0 offset:364
	;; [unrolled: 1-line block ×17, first 2 shown]
	ds_read2_b64 v[138:141], v1 offset0:91 offset1:92
	ds_read2_b64 v[142:145], v1 offset0:93 offset1:94
	s_mov_b32 s4, exec_lo
	s_waitcnt vmcnt(54) lgkmcnt(3)
	v_mul_f32_e32 v198, v5, v2
	v_mul_f32_e32 v199, v4, v2
	s_waitcnt vmcnt(53)
	v_mul_f32_e32 v200, v6, v3
	v_mul_f32_e32 v2, v7, v3
	s_waitcnt vmcnt(52) lgkmcnt(2)
	v_mul_f32_e32 v201, v8, v12
	v_mul_f32_e32 v3, v9, v12
	s_waitcnt vmcnt(49)
	v_fma_f32 v12, v4, v148, -v198
	s_waitcnt vmcnt(48)
	v_mul_f32_e32 v4, v11, v149
	v_fmac_f32_e32 v199, v5, v148
	v_mul_f32_e32 v148, v10, v149
	v_fmac_f32_e32 v200, v7, v147
	v_fma_f32 v147, v6, v147, -v2
	v_fmac_f32_e32 v201, v9, v146
	v_fma_f32 v146, v8, v146, -v3
	s_waitcnt vmcnt(44)
	v_fma_f32 v10, v10, v153, -v4
	ds_read2_b64 v[2:5], v1 offset0:95 offset1:96
	ds_read2_b64 v[6:9], v1 offset0:97 offset1:98
	v_fmac_f32_e32 v148, v11, v153
	s_waitcnt vmcnt(43) lgkmcnt(3)
	v_mul_f32_e32 v11, v138, v154
	v_mul_f32_e32 v149, v139, v154
	s_waitcnt vmcnt(42)
	v_mul_f32_e32 v153, v140, v155
	v_mul_f32_e32 v154, v141, v155
	s_waitcnt vmcnt(41) lgkmcnt(2)
	v_mul_f32_e32 v155, v142, v156
	v_mul_f32_e32 v156, v143, v156
	v_fmac_f32_e32 v11, v139, v152
	v_fma_f32 v138, v138, v152, -v149
	s_waitcnt vmcnt(40)
	v_mul_f32_e32 v139, v144, v157
	v_mul_f32_e32 v149, v145, v157
	v_fmac_f32_e32 v153, v141, v151
	v_fma_f32 v140, v140, v151, -v154
	v_fmac_f32_e32 v155, v143, v150
	v_fma_f32 v141, v142, v150, -v156
	s_waitcnt vmcnt(36)
	v_fmac_f32_e32 v139, v145, v161
	v_fma_f32 v142, v144, v161, -v149
	s_clause 0x3
	buffer_load_dword v198, off, s[0:3], 0 offset:420
	buffer_load_dword v202, off, s[0:3], 0 offset:428
	;; [unrolled: 1-line block ×4, first 2 shown]
	s_waitcnt vmcnt(39) lgkmcnt(1)
	v_mul_f32_e32 v143, v2, v162
	v_mul_f32_e32 v144, v3, v162
	s_waitcnt vmcnt(38)
	v_mul_f32_e32 v145, v4, v163
	v_mul_f32_e32 v149, v5, v163
	s_waitcnt vmcnt(37) lgkmcnt(0)
	v_mul_f32_e32 v151, v7, v164
	s_clause 0x3
	buffer_load_dword v161, off, s[0:3], 0 offset:452
	buffer_load_dword v205, off, s[0:3], 0 offset:460
	;; [unrolled: 1-line block ×4, first 2 shown]
	v_fmac_f32_e32 v143, v3, v160
	v_fma_f32 v144, v2, v160, -v144
	v_mul_f32_e32 v150, v6, v164
	v_fmac_f32_e32 v145, v5, v159
	v_fma_f32 v149, v4, v159, -v149
	ds_read2_b64 v[2:5], v1 offset0:99 offset1:100
	v_fma_f32 v151, v6, v158, -v151
	s_waitcnt vmcnt(40)
	v_mul_f32_e32 v6, v9, v165
	s_clause 0x1
	buffer_load_dword v162, off, s[0:3], 0 offset:484
	buffer_load_dword v159, off, s[0:3], 0 offset:492
	v_fmac_f32_e32 v150, v7, v158
	v_mul_f32_e32 v152, v8, v165
	s_waitcnt vmcnt(38)
	v_fma_f32 v154, v8, v169, -v6
	v_add_f32_e32 v6, 0, v12
	s_clause 0x3
	buffer_load_dword v12, off, s[0:3], 0 offset:440
	buffer_load_dword v158, off, s[0:3], 0 offset:432
	;; [unrolled: 1-line block ×4, first 2 shown]
	v_add_f32_e32 v7, 0, v199
	v_fmac_f32_e32 v152, v9, v169
	v_add_f32_e32 v6, v6, v147
	v_add_f32_e32 v147, v7, v200
	;; [unrolled: 1-line block ×3, first 2 shown]
	ds_read2_b64 v[6:9], v1 offset0:101 offset1:102
	s_waitcnt vmcnt(41) lgkmcnt(1)
	v_mul_f32_e32 v156, v2, v170
	v_mul_f32_e32 v157, v3, v170
	v_add_f32_e32 v147, v147, v201
	v_add_f32_e32 v10, v146, v10
	v_fmac_f32_e32 v156, v3, v168
	v_fma_f32 v146, v2, v168, -v157
	s_clause 0x6
	buffer_load_dword v164, off, s[0:3], 0 offset:472
	buffer_load_dword v165, off, s[0:3], 0 offset:464
	;; [unrolled: 1-line block ×7, first 2 shown]
	v_add_f32_e32 v2, v147, v148
	v_add_f32_e32 v3, v10, v138
	s_waitcnt vmcnt(47)
	v_mul_f32_e32 v10, v4, v171
	v_add_f32_e32 v2, v2, v11
	v_add_f32_e32 v3, v3, v140
	v_mul_f32_e32 v11, v5, v171
	v_fmac_f32_e32 v10, v5, v167
	s_waitcnt vmcnt(45) lgkmcnt(0)
	v_mul_f32_e32 v157, v8, v173
	v_add_f32_e32 v2, v2, v153
	v_add_f32_e32 v3, v3, v141
	v_fma_f32 v11, v4, v167, -v11
	s_waitcnt vmcnt(41)
	v_fmac_f32_e32 v157, v9, v177
	v_add_f32_e32 v138, v2, v155
	v_add_f32_e32 v142, v3, v142
	ds_read2_b64 v[2:5], v1 offset0:103 offset1:104
	v_mul_f32_e32 v155, v6, v172
	v_add_f32_e32 v147, v138, v139
	v_add_f32_e32 v142, v142, v144
	v_mul_f32_e32 v144, v7, v172
	ds_read2_b64 v[138:141], v1 offset0:105 offset1:106
	v_fmac_f32_e32 v155, v7, v166
	v_add_f32_e32 v143, v147, v143
	v_mul_f32_e32 v147, v9, v173
	v_add_f32_e32 v148, v142, v149
	v_fma_f32 v166, v6, v166, -v144
	v_fma_f32 v167, v8, v177, -v147
	v_add_f32_e32 v147, v143, v145
	v_add_f32_e32 v148, v148, v151
	ds_read2_b64 v[6:9], v1 offset0:107 offset1:108
	ds_read2_b64 v[142:145], v1 offset0:109 offset1:110
	v_add_f32_e32 v147, v147, v150
	s_waitcnt vmcnt(39) lgkmcnt(3)
	v_mul_f32_e32 v172, v4, v179
	v_mul_f32_e32 v150, v5, v179
	v_add_f32_e32 v148, v148, v154
	v_mul_f32_e32 v149, v3, v178
	v_add_f32_e32 v147, v147, v152
	v_fmac_f32_e32 v172, v5, v175
	v_fma_f32 v175, v4, v175, -v150
	v_add_f32_e32 v150, v148, v146
	v_mul_f32_e32 v171, v2, v178
	v_add_f32_e32 v152, v147, v156
	v_fma_f32 v154, v2, v176, -v149
	s_waitcnt vmcnt(38) lgkmcnt(2)
	v_mul_f32_e32 v173, v138, v180
	v_add_f32_e32 v11, v150, v11
	v_fmac_f32_e32 v171, v3, v176
	v_add_f32_e32 v10, v152, v10
	v_mul_f32_e32 v151, v139, v180
	s_waitcnt vmcnt(37)
	v_mul_f32_e32 v153, v141, v181
	v_add_f32_e32 v11, v11, v166
	s_waitcnt vmcnt(36) lgkmcnt(1)
	v_mul_f32_e32 v166, v6, v182
	v_add_f32_e32 v10, v10, v155
	v_mul_f32_e32 v155, v7, v182
	v_fmac_f32_e32 v173, v139, v174
	v_fma_f32 v174, v138, v174, -v151
	s_waitcnt vmcnt(31)
	v_fmac_f32_e32 v166, v7, v187
	v_add_f32_e32 v7, v11, v167
	v_add_f32_e32 v10, v10, v157
	v_mul_f32_e32 v177, v140, v181
	s_waitcnt vmcnt(30)
	v_fma_f32 v176, v140, v188, -v153
	ds_read2_b64 v[2:5], v1 offset0:111 offset1:112
	ds_read2_b64 v[146:149], v1 offset0:113 offset1:114
	v_add_f32_e32 v180, v7, v154
	v_add_f32_e32 v171, v10, v171
	v_fmac_f32_e32 v177, v141, v188
	v_mul_f32_e32 v156, v9, v183
	v_fma_f32 v167, v6, v187, -v155
	v_add_f32_e32 v175, v180, v175
	v_add_f32_e32 v171, v171, v172
	v_mul_f32_e32 v178, v8, v183
	v_fma_f32 v179, v8, v186, -v156
	s_waitcnt lgkmcnt(2)
	v_mul_f32_e32 v181, v143, v184
	v_add_f32_e32 v174, v175, v174
	v_add_f32_e32 v171, v171, v173
	v_fmac_f32_e32 v178, v9, v186
	v_mul_f32_e32 v180, v142, v184
	s_waitcnt vmcnt(29)
	v_mul_f32_e32 v182, v145, v189
	v_add_f32_e32 v174, v174, v176
	v_add_f32_e32 v171, v171, v177
	v_fma_f32 v142, v142, v185, -v181
	v_mul_f32_e32 v172, v144, v189
	v_fmac_f32_e32 v180, v143, v185
	v_add_f32_e32 v167, v174, v167
	v_add_f32_e32 v166, v171, v166
	s_waitcnt vmcnt(28) lgkmcnt(1)
	v_mul_f32_e32 v175, v2, v190
	v_mul_f32_e32 v181, v3, v190
	s_waitcnt vmcnt(22)
	v_fma_f32 v144, v144, v196, -v182
	v_add_f32_e32 v167, v167, v179
	v_add_f32_e32 v166, v166, v178
	ds_read2_b64 v[138:141], v1 offset0:115 offset1:116
	ds_read2_b64 v[150:153], v1 offset0:117 offset1:118
	v_fmac_f32_e32 v172, v145, v196
	v_mul_f32_e32 v178, v5, v191
	v_add_f32_e32 v142, v167, v142
	v_add_f32_e32 v166, v166, v180
	v_fmac_f32_e32 v175, v3, v195
	v_fma_f32 v2, v2, v195, -v181
	v_mul_f32_e32 v173, v4, v191
	v_add_f32_e32 v3, v142, v144
	v_add_f32_e32 v142, v166, v172
	s_waitcnt lgkmcnt(2)
	v_mul_f32_e32 v144, v147, v192
	v_fma_f32 v4, v4, v194, -v178
	v_mul_f32_e32 v143, v146, v192
	v_add_f32_e32 v2, v3, v2
	v_fmac_f32_e32 v173, v5, v194
	v_add_f32_e32 v3, v142, v175
	v_fma_f32 v142, v146, v193, -v144
	v_fmac_f32_e32 v143, v147, v193
	v_add_f32_e32 v2, v2, v4
	ds_read2_b64 v[6:9], v1 offset0:119 offset1:120
	ds_read2_b64 v[154:157], v1 offset0:121 offset1:122
	ds_read_b64 v[10:11], v1 offset:984
	v_add_f32_e32 v3, v3, v173
	v_add_f32_e32 v2, v2, v142
	v_add_f32_e32 v3, v3, v143
	s_waitcnt vmcnt(20)
	v_mul_f32_e32 v5, v149, v198
	v_mul_f32_e32 v176, v148, v198
	s_waitcnt vmcnt(19) lgkmcnt(4)
	v_mul_f32_e32 v4, v139, v202
	v_mul_f32_e32 v177, v138, v202
	s_waitcnt vmcnt(18)
	v_mul_f32_e32 v142, v141, v203
	v_mul_f32_e32 v145, v140, v203
	s_waitcnt vmcnt(17) lgkmcnt(3)
	v_mul_f32_e32 v182, v150, v204
	s_waitcnt vmcnt(16)
	v_mul_f32_e32 v171, v152, v161
	s_waitcnt vmcnt(15) lgkmcnt(2)
	v_mul_f32_e32 v174, v6, v205
	s_waitcnt vmcnt(14)
	;; [unrolled: 4-line block ×4, first 2 shown]
	v_fmac_f32_e32 v182, v151, v12
	s_waitcnt vmcnt(9)
	v_fmac_f32_e32 v145, v141, v158
	s_waitcnt vmcnt(8)
	v_fma_f32 v4, v138, v160, -v4
	s_waitcnt vmcnt(7)
	v_fma_f32 v5, v148, v163, -v5
	v_fmac_f32_e32 v176, v149, v163
	v_fmac_f32_e32 v177, v139, v160
	v_fma_f32 v138, v140, v158, -v142
	v_add_f32_e32 v2, v2, v5
	v_add_f32_e32 v3, v3, v176
	v_mul_f32_e32 v5, v151, v204
	v_add_f32_e32 v2, v2, v4
	v_add_f32_e32 v3, v3, v177
	v_mul_f32_e32 v4, v153, v161
	v_fma_f32 v5, v150, v12, -v5
	v_mul_f32_e32 v12, v7, v205
	v_add_f32_e32 v2, v2, v138
	v_add_f32_e32 v3, v3, v145
	s_waitcnt vmcnt(4)
	v_fmac_f32_e32 v174, v7, v168
	s_waitcnt vmcnt(3)
	v_fma_f32 v4, v152, v169, -v4
	v_fmac_f32_e32 v171, v153, v169
	v_add_f32_e32 v2, v2, v5
	v_add_f32_e32 v3, v3, v182
	v_mul_f32_e32 v5, v9, v206
	v_fma_f32 v6, v6, v168, -v12
	v_fmac_f32_e32 v183, v9, v165
	v_add_f32_e32 v2, v2, v4
	v_add_f32_e32 v3, v3, v171
	v_mul_f32_e32 v4, v155, v207
	;; [unrolled: 5-line block ×3, first 2 shown]
	v_fma_f32 v4, v154, v164, -v4
	s_waitcnt vmcnt(1)
	v_fmac_f32_e32 v184, v157, v199
	v_add_f32_e32 v2, v2, v5
	v_add_f32_e32 v3, v3, v183
	v_mul_f32_e32 v5, v11, v159
	v_fma_f32 v6, v156, v199, -v6
	v_fmac_f32_e32 v167, v11, v170
	v_add_f32_e32 v2, v2, v4
	v_add_f32_e32 v3, v3, v179
	v_fma_f32 v4, v10, v170, -v5
	v_add_f32_e32 v2, v2, v6
	v_add_f32_e32 v3, v3, v184
	;; [unrolled: 1-line block ×4, first 2 shown]
	s_waitcnt vmcnt(0)
	v_sub_f32_e32 v2, v200, v2
	v_sub_f32_e32 v3, v197, v3
	buffer_store_dword v2, off, s[0:3], 0 offset:192
	buffer_store_dword v3, off, s[0:3], 0 offset:196
	v_cmpx_lt_u32_e32 23, v0
	s_cbranch_execz .LBB61_339
; %bb.338:
	s_clause 0x1
	buffer_load_dword v2, off, s[0:3], 0 offset:184
	buffer_load_dword v3, off, s[0:3], 0 offset:188
	buffer_store_dword v1, off, s[0:3], 0 offset:184
	buffer_store_dword v1, off, s[0:3], 0 offset:188
	s_waitcnt vmcnt(0)
	ds_write_b64 v137, v[2:3]
.LBB61_339:
	s_or_b32 exec_lo, exec_lo, s4
	s_waitcnt lgkmcnt(0)
	s_waitcnt_vscnt null, 0x0
	s_barrier
	buffer_gl0_inv
	s_clause 0x1e
	buffer_load_dword v2, off, s[0:3], 0 offset:196
	buffer_load_dword v3, off, s[0:3], 0 offset:204
	;; [unrolled: 1-line block ×31, first 2 shown]
	ds_read_b128 v[4:7], v1 offset:688
	s_clause 0x3
	buffer_load_dword v182, off, s[0:3], 0 offset:336
	buffer_load_dword v183, off, s[0:3], 0 offset:328
	buffer_load_dword v184, off, s[0:3], 0 offset:320
	buffer_load_dword v185, off, s[0:3], 0 offset:312
	ds_read_b128 v[8:11], v1 offset:704
	s_clause 0xa
	buffer_load_dword v186, off, s[0:3], 0 offset:324
	buffer_load_dword v187, off, s[0:3], 0 offset:332
	;; [unrolled: 1-line block ×11, first 2 shown]
	ds_read_b128 v[138:141], v1 offset:720
	ds_read_b128 v[142:145], v1 offset:736
	;; [unrolled: 1-line block ×4, first 2 shown]
	buffer_load_dword v197, off, s[0:3], 0 offset:188
	s_mov_b32 s4, exec_lo
	s_waitcnt vmcnt(46) lgkmcnt(5)
	v_mul_f32_e32 v198, v5, v2
	v_mul_f32_e32 v199, v4, v2
	s_waitcnt vmcnt(45)
	v_mul_f32_e32 v200, v6, v3
	v_mul_f32_e32 v2, v7, v3
	s_waitcnt vmcnt(44) lgkmcnt(4)
	v_mul_f32_e32 v201, v8, v12
	v_mul_f32_e32 v3, v9, v12
	s_waitcnt vmcnt(41)
	v_fma_f32 v12, v4, v156, -v198
	v_fmac_f32_e32 v199, v5, v156
	s_waitcnt vmcnt(40)
	v_mul_f32_e32 v156, v10, v157
	v_mul_f32_e32 v4, v11, v157
	v_fmac_f32_e32 v200, v7, v155
	s_waitcnt vmcnt(35) lgkmcnt(3)
	v_mul_f32_e32 v157, v139, v162
	v_fma_f32 v155, v6, v155, -v2
	v_fmac_f32_e32 v156, v11, v161
	v_mul_f32_e32 v11, v138, v162
	v_fma_f32 v10, v10, v161, -v4
	s_waitcnt vmcnt(34)
	v_mul_f32_e32 v161, v140, v163
	v_mul_f32_e32 v162, v141, v163
	s_waitcnt vmcnt(33) lgkmcnt(2)
	v_mul_f32_e32 v163, v142, v164
	v_mul_f32_e32 v164, v143, v164
	v_fmac_f32_e32 v11, v139, v160
	v_fma_f32 v138, v138, v160, -v157
	s_waitcnt vmcnt(32)
	v_mul_f32_e32 v139, v144, v165
	v_mul_f32_e32 v157, v145, v165
	v_fmac_f32_e32 v201, v9, v154
	v_fma_f32 v154, v8, v154, -v3
	ds_read_b128 v[2:5], v1 offset:784
	ds_read_b128 v[6:9], v1 offset:800
	v_fmac_f32_e32 v161, v141, v159
	v_fma_f32 v140, v140, v159, -v162
	v_fmac_f32_e32 v163, v143, v158
	v_fma_f32 v141, v142, v158, -v164
	s_waitcnt vmcnt(28)
	v_fmac_f32_e32 v139, v145, v169
	v_fma_f32 v142, v144, v169, -v157
	s_clause 0x7
	buffer_load_dword v157, off, s[0:3], 0 offset:380
	buffer_load_dword v158, off, s[0:3], 0 offset:388
	buffer_load_dword v159, off, s[0:3], 0 offset:396
	buffer_load_dword v160, off, s[0:3], 0 offset:404
	buffer_load_dword v162, off, s[0:3], 0 offset:400
	buffer_load_dword v164, off, s[0:3], 0 offset:392
	buffer_load_dword v165, off, s[0:3], 0 offset:384
	buffer_load_dword v169, off, s[0:3], 0 offset:376
	s_waitcnt vmcnt(35) lgkmcnt(3)
	v_mul_f32_e32 v143, v146, v170
	v_mul_f32_e32 v144, v147, v170
	s_waitcnt vmcnt(34)
	v_mul_f32_e32 v145, v148, v171
	v_mul_f32_e32 v170, v149, v171
	s_waitcnt vmcnt(33) lgkmcnt(2)
	v_mul_f32_e32 v171, v150, v172
	v_mul_f32_e32 v172, v151, v172
	v_fmac_f32_e32 v143, v147, v168
	v_fma_f32 v144, v146, v168, -v144
	s_waitcnt vmcnt(32)
	v_mul_f32_e32 v146, v152, v173
	v_mul_f32_e32 v147, v153, v173
	v_fmac_f32_e32 v145, v149, v167
	v_fmac_f32_e32 v171, v151, v166
	v_fma_f32 v149, v150, v166, -v172
	s_waitcnt vmcnt(28)
	v_fmac_f32_e32 v146, v153, v177
	v_fma_f32 v147, v152, v177, -v147
	s_waitcnt vmcnt(27) lgkmcnt(1)
	v_mul_f32_e32 v150, v2, v178
	v_mul_f32_e32 v151, v3, v178
	s_waitcnt vmcnt(26)
	v_mul_f32_e32 v152, v4, v179
	v_mul_f32_e32 v153, v5, v179
	v_fma_f32 v148, v148, v167, -v170
	s_clause 0x8
	buffer_load_dword v167, off, s[0:3], 0 offset:412
	buffer_load_dword v168, off, s[0:3], 0 offset:420
	;; [unrolled: 1-line block ×9, first 2 shown]
	v_fmac_f32_e32 v150, v3, v176
	v_fma_f32 v151, v2, v176, -v151
	buffer_load_dword v176, off, s[0:3], 0 offset:484
	v_fmac_f32_e32 v152, v5, v175
	v_fma_f32 v153, v4, v175, -v153
	s_clause 0x4
	buffer_load_dword v175, off, s[0:3], 0 offset:492
	buffer_load_dword v179, off, s[0:3], 0 offset:432
	;; [unrolled: 1-line block ×5, first 2 shown]
	v_add_f32_e32 v3, 0, v199
	v_add_f32_e32 v2, 0, v12
	s_waitcnt vmcnt(40) lgkmcnt(0)
	v_mul_f32_e32 v4, v7, v180
	v_add_f32_e32 v3, v3, v200
	v_add_f32_e32 v2, v2, v155
	v_fma_f32 v155, v6, v174, -v4
	v_add_f32_e32 v3, v3, v201
	s_clause 0x3
	buffer_load_dword v12, off, s[0:3], 0 offset:464
	buffer_load_dword v199, off, s[0:3], 0 offset:456
	;; [unrolled: 1-line block ×4, first 2 shown]
	v_add_f32_e32 v2, v2, v154
	v_mul_f32_e32 v154, v6, v180
	v_add_f32_e32 v3, v3, v156
	s_waitcnt vmcnt(43)
	v_mul_f32_e32 v156, v8, v181
	v_add_f32_e32 v2, v2, v10
	s_clause 0x2
	buffer_load_dword v10, off, s[0:3], 0 offset:488
	buffer_load_dword v205, off, s[0:3], 0 offset:480
	;; [unrolled: 1-line block ×3, first 2 shown]
	v_fmac_f32_e32 v154, v7, v174
	v_add_f32_e32 v3, v3, v11
	buffer_load_dword v11, off, s[0:3], 0 offset:184
	v_add_f32_e32 v2, v2, v138
	s_waitcnt vmcnt(43)
	v_fmac_f32_e32 v156, v9, v185
	v_add_f32_e32 v3, v3, v161
	v_add_f32_e32 v2, v2, v140
	;; [unrolled: 1-line block ×4, first 2 shown]
	ds_read_b128 v[2:5], v1 offset:816
	v_add_f32_e32 v139, v7, v139
	v_add_f32_e32 v138, v6, v142
	v_mul_f32_e32 v6, v9, v181
	v_add_f32_e32 v143, v139, v143
	v_add_f32_e32 v142, v138, v144
	v_fma_f32 v161, v8, v185, -v6
	ds_read_b128 v[6:9], v1 offset:832
	ds_read_b128 v[138:141], v1 offset:848
	v_add_f32_e32 v143, v143, v145
	v_add_f32_e32 v142, v142, v148
	;; [unrolled: 1-line block ×3, first 2 shown]
	s_waitcnt vmcnt(42) lgkmcnt(2)
	v_mul_f32_e32 v144, v3, v186
	v_mul_f32_e32 v163, v2, v186
	v_fma_f32 v174, v2, v184, -v144
	v_add_f32_e32 v2, v143, v171
	v_fmac_f32_e32 v163, v3, v184
	v_add_f32_e32 v3, v148, v147
	ds_read_b128 v[142:145], v1 offset:864
	s_waitcnt vmcnt(41)
	v_mul_f32_e32 v171, v4, v187
	v_add_f32_e32 v2, v2, v146
	s_waitcnt vmcnt(40) lgkmcnt(2)
	v_mul_f32_e32 v180, v6, v188
	v_mul_f32_e32 v146, v7, v188
	v_add_f32_e32 v3, v3, v151
	s_waitcnt vmcnt(38) lgkmcnt(1)
	v_mul_f32_e32 v184, v138, v190
	v_add_f32_e32 v2, v2, v150
	v_fmac_f32_e32 v180, v7, v182
	v_fma_f32 v182, v6, v182, -v146
	v_add_f32_e32 v6, v3, v153
	v_mul_f32_e32 v150, v139, v190
	v_add_f32_e32 v7, v2, v152
	s_waitcnt vmcnt(33)
	v_fmac_f32_e32 v184, v139, v195
	v_mul_f32_e32 v147, v5, v187
	v_add_f32_e32 v139, v6, v155
	v_fma_f32 v186, v138, v195, -v150
	v_add_f32_e32 v138, v7, v154
	v_fmac_f32_e32 v171, v5, v183
	v_fma_f32 v183, v4, v183, -v147
	v_add_f32_e32 v139, v139, v161
	s_waitcnt lgkmcnt(0)
	v_mul_f32_e32 v155, v143, v192
	v_add_f32_e32 v138, v138, v156
	v_mul_f32_e32 v187, v142, v192
	v_mul_f32_e32 v151, v9, v189
	v_add_f32_e32 v139, v139, v174
	v_fma_f32 v190, v142, v193, -v155
	v_add_f32_e32 v142, v138, v163
	v_mul_f32_e32 v181, v8, v189
	s_waitcnt vmcnt(32)
	v_fma_f32 v185, v8, v196, -v151
	v_add_f32_e32 v163, v139, v183
	ds_read_b128 v[2:5], v1 offset:880
	ds_read_b128 v[146:149], v1 offset:896
	v_add_f32_e32 v171, v142, v171
	v_fmac_f32_e32 v181, v9, v196
	v_mul_f32_e32 v154, v141, v191
	v_add_f32_e32 v163, v163, v182
	v_mul_f32_e32 v161, v140, v191
	v_add_f32_e32 v171, v171, v180
	v_fmac_f32_e32 v187, v143, v193
	v_fma_f32 v189, v140, v194, -v154
	v_add_f32_e32 v163, v163, v185
	v_fmac_f32_e32 v161, v141, v194
	v_add_f32_e32 v171, v171, v181
	ds_read_b128 v[6:9], v1 offset:912
	ds_read_b128 v[150:153], v1 offset:928
	v_add_f32_e32 v163, v163, v186
	v_add_f32_e32 v171, v171, v184
	;; [unrolled: 1-line block ×6, first 2 shown]
	s_waitcnt vmcnt(30)
	v_mul_f32_e32 v174, v144, v157
	v_mul_f32_e32 v188, v145, v157
	ds_read_b128 v[138:141], v1 offset:944
	ds_read_b128 v[154:157], v1 offset:960
	s_waitcnt vmcnt(28) lgkmcnt(5)
	v_mul_f32_e32 v180, v4, v159
	v_mul_f32_e32 v159, v5, v159
	s_waitcnt vmcnt(27) lgkmcnt(4)
	v_mul_f32_e32 v182, v146, v160
	v_mul_f32_e32 v160, v147, v160
	s_waitcnt vmcnt(23)
	v_fmac_f32_e32 v174, v145, v169
	v_fma_f32 v169, v144, v169, -v188
	ds_read_b128 v[142:145], v1 offset:976
	v_mul_f32_e32 v1, v2, v158
	v_mul_f32_e32 v158, v3, v158
	v_add_f32_e32 v161, v161, v174
	v_fma_f32 v4, v4, v164, -v159
	v_fmac_f32_e32 v180, v5, v164
	v_fmac_f32_e32 v1, v3, v165
	v_fma_f32 v2, v2, v165, -v158
	v_add_f32_e32 v158, v163, v169
	v_fma_f32 v146, v146, v162, -v160
	v_fmac_f32_e32 v182, v147, v162
	v_add_f32_e32 v1, v161, v1
	v_add_f32_e32 v2, v158, v2
	s_waitcnt vmcnt(22)
	v_mul_f32_e32 v5, v149, v167
	v_mul_f32_e32 v181, v148, v167
	v_add_f32_e32 v2, v2, v4
	v_add_f32_e32 v1, v1, v180
	s_waitcnt vmcnt(21) lgkmcnt(4)
	v_mul_f32_e32 v4, v7, v168
	v_mul_f32_e32 v183, v6, v168
	s_waitcnt vmcnt(20)
	v_mul_f32_e32 v185, v8, v170
	v_add_f32_e32 v2, v2, v146
	v_add_f32_e32 v1, v1, v182
	v_mul_f32_e32 v146, v9, v170
	s_waitcnt vmcnt(9)
	v_fma_f32 v4, v6, v203, -v4
	s_waitcnt vmcnt(8)
	v_fma_f32 v5, v148, v204, -v5
	v_fmac_f32_e32 v181, v149, v204
	v_fmac_f32_e32 v183, v7, v203
	v_fma_f32 v6, v8, v202, -v146
	s_waitcnt lgkmcnt(3)
	v_mul_f32_e32 v184, v150, v173
	v_add_f32_e32 v2, v2, v5
	v_add_f32_e32 v1, v1, v181
	v_mul_f32_e32 v5, v151, v173
	v_fmac_f32_e32 v185, v9, v202
	v_mul_f32_e32 v186, v152, v166
	v_add_f32_e32 v2, v2, v4
	v_add_f32_e32 v1, v1, v183
	v_mul_f32_e32 v4, v153, v166
	v_fma_f32 v5, v150, v179, -v5
	v_fmac_f32_e32 v184, v151, v179
	v_add_f32_e32 v2, v2, v6
	v_add_f32_e32 v1, v1, v185
	s_waitcnt lgkmcnt(2)
	v_mul_f32_e32 v6, v139, v172
	s_waitcnt vmcnt(4)
	v_fma_f32 v4, v152, v201, -v4
	v_mul_f32_e32 v188, v138, v172
	v_add_f32_e32 v2, v2, v5
	v_fmac_f32_e32 v186, v153, v201
	v_add_f32_e32 v1, v1, v184
	v_mul_f32_e32 v5, v141, v177
	v_fma_f32 v6, v138, v200, -v6
	v_add_f32_e32 v2, v2, v4
	v_mul_f32_e32 v171, v140, v177
	v_fmac_f32_e32 v188, v139, v200
	v_add_f32_e32 v1, v1, v186
	s_waitcnt lgkmcnt(1)
	v_mul_f32_e32 v4, v155, v198
	v_fma_f32 v5, v140, v199, -v5
	v_add_f32_e32 v2, v2, v6
	v_mul_f32_e32 v189, v154, v198
	v_fmac_f32_e32 v171, v141, v199
	v_add_f32_e32 v1, v1, v188
	v_mul_f32_e32 v6, v157, v178
	v_fma_f32 v4, v154, v12, -v4
	v_add_f32_e32 v2, v2, v5
	v_mul_f32_e32 v190, v156, v178
	v_fmac_f32_e32 v189, v155, v12
	v_add_f32_e32 v1, v1, v171
	s_waitcnt lgkmcnt(0)
	v_mul_f32_e32 v5, v143, v176
	s_waitcnt vmcnt(1)
	v_fma_f32 v6, v156, v206, -v6
	v_add_f32_e32 v2, v2, v4
	v_mul_f32_e32 v187, v142, v176
	v_fmac_f32_e32 v190, v157, v206
	v_add_f32_e32 v1, v1, v189
	v_mul_f32_e32 v4, v145, v175
	v_fma_f32 v5, v142, v205, -v5
	v_add_f32_e32 v2, v2, v6
	v_mul_f32_e32 v3, v144, v175
	v_fmac_f32_e32 v187, v143, v205
	v_add_f32_e32 v1, v1, v190
	v_fma_f32 v4, v144, v10, -v4
	v_add_f32_e32 v2, v2, v5
	v_fmac_f32_e32 v3, v145, v10
	v_add_f32_e32 v1, v1, v187
	v_add_f32_e32 v2, v2, v4
	;; [unrolled: 1-line block ×3, first 2 shown]
	s_waitcnt vmcnt(0)
	v_sub_f32_e32 v2, v11, v2
	v_sub_f32_e32 v1, v197, v1
	buffer_store_dword v2, off, s[0:3], 0 offset:184
	buffer_store_dword v1, off, s[0:3], 0 offset:188
	v_cmpx_lt_u32_e32 22, v0
	s_cbranch_execz .LBB61_341
; %bb.340:
	s_clause 0x1
	buffer_load_dword v1, off, s[0:3], 0 offset:176
	buffer_load_dword v2, off, s[0:3], 0 offset:180
	v_mov_b32_e32 v3, 0
	buffer_store_dword v3, off, s[0:3], 0 offset:176
	buffer_store_dword v3, off, s[0:3], 0 offset:180
	s_waitcnt vmcnt(0)
	ds_write_b64 v137, v[1:2]
.LBB61_341:
	s_or_b32 exec_lo, exec_lo, s4
	s_waitcnt lgkmcnt(0)
	s_waitcnt_vscnt null, 0x0
	s_barrier
	buffer_gl0_inv
	s_clause 0x25
	buffer_load_dword v2, off, s[0:3], 0 offset:188
	buffer_load_dword v3, off, s[0:3], 0 offset:196
	;; [unrolled: 1-line block ×38, first 2 shown]
	v_mov_b32_e32 v1, 0
	ds_read2_b64 v[4:7], v1 offset0:85 offset1:86
	ds_read2_b64 v[8:11], v1 offset0:87 offset1:88
	s_clause 0x10
	buffer_load_dword v181, off, s[0:3], 0 offset:340
	buffer_load_dword v182, off, s[0:3], 0 offset:348
	;; [unrolled: 1-line block ×17, first 2 shown]
	ds_read2_b64 v[138:141], v1 offset0:89 offset1:90
	ds_read2_b64 v[142:145], v1 offset0:91 offset1:92
	s_mov_b32 s4, exec_lo
	s_waitcnt vmcnt(54) lgkmcnt(3)
	v_mul_f32_e32 v198, v5, v2
	v_mul_f32_e32 v199, v4, v2
	s_waitcnt vmcnt(53)
	v_mul_f32_e32 v200, v6, v3
	v_mul_f32_e32 v2, v7, v3
	s_waitcnt vmcnt(52) lgkmcnt(2)
	v_mul_f32_e32 v201, v8, v12
	v_mul_f32_e32 v3, v9, v12
	s_waitcnt vmcnt(49)
	v_fma_f32 v12, v4, v148, -v198
	v_fmac_f32_e32 v199, v5, v148
	s_waitcnt vmcnt(48)
	v_mul_f32_e32 v148, v10, v149
	v_mul_f32_e32 v4, v11, v149
	v_fmac_f32_e32 v200, v7, v147
	s_waitcnt vmcnt(43) lgkmcnt(1)
	v_mul_f32_e32 v149, v139, v154
	v_fma_f32 v147, v6, v147, -v2
	v_fmac_f32_e32 v201, v9, v146
	v_fma_f32 v146, v8, v146, -v3
	v_fmac_f32_e32 v148, v11, v153
	v_fma_f32 v10, v10, v153, -v4
	ds_read2_b64 v[2:5], v1 offset0:93 offset1:94
	ds_read2_b64 v[6:9], v1 offset0:95 offset1:96
	v_mul_f32_e32 v11, v138, v154
	s_waitcnt vmcnt(42)
	v_mul_f32_e32 v153, v140, v155
	v_mul_f32_e32 v154, v141, v155
	s_waitcnt vmcnt(41) lgkmcnt(2)
	v_mul_f32_e32 v155, v142, v156
	v_fma_f32 v149, v138, v152, -v149
	s_waitcnt vmcnt(40)
	v_mul_f32_e32 v138, v145, v157
	v_mul_f32_e32 v156, v143, v156
	v_fmac_f32_e32 v11, v139, v152
	v_fmac_f32_e32 v153, v141, v151
	v_fma_f32 v151, v140, v151, -v154
	s_clause 0x3
	buffer_load_dword v198, off, s[0:3], 0 offset:404
	buffer_load_dword v202, off, s[0:3], 0 offset:412
	;; [unrolled: 1-line block ×4, first 2 shown]
	v_fmac_f32_e32 v155, v143, v150
	s_waitcnt vmcnt(40)
	v_fma_f32 v143, v144, v161, -v138
	ds_read2_b64 v[138:141], v1 offset0:97 offset1:98
	v_mul_f32_e32 v152, v144, v157
	v_fma_f32 v142, v142, v150, -v156
	s_waitcnt vmcnt(39) lgkmcnt(2)
	v_mul_f32_e32 v144, v2, v162
	v_fmac_f32_e32 v152, v145, v161
	v_mul_f32_e32 v145, v3, v162
	s_waitcnt vmcnt(37) lgkmcnt(1)
	v_mul_f32_e32 v157, v7, v164
	v_mul_f32_e32 v150, v4, v163
	;; [unrolled: 1-line block ×4, first 2 shown]
	v_fmac_f32_e32 v144, v3, v160
	v_fma_f32 v145, v2, v160, -v145
	s_waitcnt vmcnt(36)
	v_mul_f32_e32 v160, v8, v165
	v_mul_f32_e32 v2, v9, v165
	v_fma_f32 v157, v6, v158, -v157
	v_fmac_f32_e32 v150, v5, v159
	v_fma_f32 v154, v4, v159, -v154
	s_clause 0x3
	buffer_load_dword v159, off, s[0:3], 0 offset:436
	buffer_load_dword v161, off, s[0:3], 0 offset:444
	;; [unrolled: 1-line block ×4, first 2 shown]
	s_waitcnt vmcnt(35) lgkmcnt(0)
	v_mul_f32_e32 v164, v138, v170
	v_mul_f32_e32 v6, v139, v170
	v_fmac_f32_e32 v156, v7, v158
	v_fmac_f32_e32 v160, v9, v169
	v_fma_f32 v158, v8, v169, -v2
	ds_read2_b64 v[2:5], v1 offset0:99 offset1:100
	s_waitcnt vmcnt(34)
	v_mul_f32_e32 v165, v140, v171
	v_mul_f32_e32 v7, v141, v171
	buffer_load_dword v169, off, s[0:3], 0 offset:468
	v_fmac_f32_e32 v164, v139, v168
	v_fma_f32 v168, v138, v168, -v6
	v_add_f32_e32 v6, 0, v12
	s_clause 0x6
	buffer_load_dword v12, off, s[0:3], 0 offset:476
	buffer_load_dword v170, off, s[0:3], 0 offset:484
	;; [unrolled: 1-line block ×7, first 2 shown]
	v_fmac_f32_e32 v165, v141, v167
	v_fma_f32 v167, v140, v167, -v7
	v_add_f32_e32 v7, 0, v199
	v_add_f32_e32 v6, v6, v147
	;; [unrolled: 1-line block ×4, first 2 shown]
	s_waitcnt vmcnt(41) lgkmcnt(0)
	v_mul_f32_e32 v8, v3, v172
	v_add_f32_e32 v7, v7, v201
	s_clause 0x8
	buffer_load_dword v199, off, s[0:3], 0 offset:456
	buffer_load_dword v200, off, s[0:3], 0 offset:448
	;; [unrolled: 1-line block ×9, first 2 shown]
	v_add_f32_e32 v6, v6, v10
	v_add_f32_e32 v7, v7, v148
	v_mul_f32_e32 v10, v2, v172
	v_add_f32_e32 v6, v6, v149
	v_add_f32_e32 v7, v7, v11
	v_fmac_f32_e32 v10, v3, v166
	v_fma_f32 v11, v2, v166, -v8
	v_add_f32_e32 v6, v6, v151
	v_add_f32_e32 v7, v7, v153
	s_waitcnt vmcnt(49)
	v_mul_f32_e32 v151, v4, v173
	v_add_f32_e32 v6, v6, v142
	v_add_f32_e32 v7, v7, v155
	s_waitcnt vmcnt(45)
	v_fmac_f32_e32 v151, v5, v177
	v_add_f32_e32 v2, v6, v143
	v_add_f32_e32 v3, v7, v152
	ds_read2_b64 v[6:9], v1 offset0:101 offset1:102
	v_add_f32_e32 v138, v2, v145
	v_mul_f32_e32 v2, v5, v173
	v_add_f32_e32 v139, v3, v144
	v_add_f32_e32 v142, v138, v154
	v_fma_f32 v152, v4, v177, -v2
	ds_read2_b64 v[2:5], v1 offset0:103 offset1:104
	v_add_f32_e32 v143, v139, v150
	ds_read2_b64 v[138:141], v1 offset0:105 offset1:106
	v_add_f32_e32 v142, v142, v157
	v_add_f32_e32 v143, v143, v156
	;; [unrolled: 1-line block ×3, first 2 shown]
	s_waitcnt vmcnt(44) lgkmcnt(2)
	v_mul_f32_e32 v144, v7, v178
	v_mul_f32_e32 v154, v6, v178
	s_waitcnt vmcnt(43)
	v_mul_f32_e32 v156, v8, v179
	v_fma_f32 v155, v6, v176, -v144
	v_add_f32_e32 v6, v143, v160
	v_fmac_f32_e32 v154, v7, v176
	v_add_f32_e32 v7, v146, v168
	ds_read2_b64 v[142:145], v1 offset0:107 offset1:108
	s_waitcnt vmcnt(42) lgkmcnt(2)
	v_mul_f32_e32 v147, v3, v180
	v_add_f32_e32 v6, v6, v164
	v_mul_f32_e32 v158, v2, v180
	v_add_f32_e32 v7, v7, v167
	v_mul_f32_e32 v146, v9, v179
	v_fmac_f32_e32 v156, v9, v175
	v_add_f32_e32 v6, v6, v165
	v_fma_f32 v165, v2, v174, -v147
	v_add_f32_e32 v2, v7, v11
	v_fmac_f32_e32 v158, v3, v174
	v_fma_f32 v157, v8, v175, -v146
	v_add_f32_e32 v3, v6, v10
	s_waitcnt vmcnt(40) lgkmcnt(1)
	v_mul_f32_e32 v10, v139, v182
	v_add_f32_e32 v11, v2, v152
	v_mul_f32_e32 v150, v5, v181
	v_mul_f32_e32 v160, v4, v181
	;; [unrolled: 1-line block ×3, first 2 shown]
	s_waitcnt vmcnt(35)
	v_fma_f32 v167, v138, v187, -v10
	v_add_f32_e32 v10, v3, v151
	v_add_f32_e32 v11, v11, v155
	s_waitcnt vmcnt(34)
	v_fma_f32 v166, v4, v188, -v150
	ds_read2_b64 v[6:9], v1 offset0:109 offset1:110
	ds_read2_b64 v[146:149], v1 offset0:111 offset1:112
	v_fmac_f32_e32 v160, v5, v188
	v_add_f32_e32 v10, v10, v154
	v_add_f32_e32 v11, v11, v157
	v_mul_f32_e32 v138, v141, v183
	v_fmac_f32_e32 v164, v139, v187
	v_mul_f32_e32 v168, v140, v183
	v_add_f32_e32 v10, v10, v156
	v_add_f32_e32 v165, v11, v165
	s_waitcnt lgkmcnt(2)
	v_mul_f32_e32 v139, v143, v184
	v_fma_f32 v175, v140, v186, -v138
	v_mul_f32_e32 v172, v142, v184
	v_add_f32_e32 v158, v10, v158
	v_add_f32_e32 v165, v165, v166
	v_fmac_f32_e32 v168, v141, v186
	s_waitcnt vmcnt(33)
	v_mul_f32_e32 v174, v145, v189
	v_fma_f32 v176, v142, v185, -v139
	v_add_f32_e32 v158, v158, v160
	v_add_f32_e32 v165, v165, v167
	v_mul_f32_e32 v173, v144, v189
	v_fmac_f32_e32 v172, v143, v185
	s_waitcnt vmcnt(26)
	v_fma_f32 v174, v144, v196, -v174
	v_add_f32_e32 v158, v158, v164
	v_add_f32_e32 v165, v165, v175
	s_waitcnt lgkmcnt(1)
	v_mul_f32_e32 v177, v7, v190
	ds_read2_b64 v[2:5], v1 offset0:113 offset1:114
	ds_read2_b64 v[150:153], v1 offset0:115 offset1:116
	v_fmac_f32_e32 v173, v145, v196
	v_add_f32_e32 v158, v158, v168
	v_add_f32_e32 v165, v165, v176
	v_mul_f32_e32 v166, v6, v190
	v_mul_f32_e32 v178, v9, v191
	v_fma_f32 v6, v6, v195, -v177
	v_add_f32_e32 v158, v158, v172
	v_add_f32_e32 v165, v165, v174
	v_mul_f32_e32 v160, v8, v191
	v_fmac_f32_e32 v166, v7, v195
	s_waitcnt lgkmcnt(2)
	v_mul_f32_e32 v177, v147, v192
	v_add_f32_e32 v158, v158, v173
	v_fma_f32 v8, v8, v194, -v178
	v_add_f32_e32 v6, v165, v6
	v_mul_f32_e32 v167, v146, v192
	v_fmac_f32_e32 v160, v9, v194
	v_add_f32_e32 v158, v158, v166
	v_fma_f32 v146, v146, v193, -v177
	v_add_f32_e32 v6, v6, v8
	v_fmac_f32_e32 v167, v147, v193
	ds_read2_b64 v[138:141], v1 offset0:117 offset1:118
	ds_read2_b64 v[154:157], v1 offset0:119 offset1:120
	v_add_f32_e32 v8, v158, v160
	ds_read2_b64 v[142:145], v1 offset0:121 offset1:122
	ds_read_b64 v[10:11], v1 offset:984
	v_add_f32_e32 v6, v6, v146
	v_add_f32_e32 v8, v8, v167
	s_waitcnt vmcnt(24)
	v_mul_f32_e32 v173, v149, v198
	v_mul_f32_e32 v164, v148, v198
	s_waitcnt vmcnt(23) lgkmcnt(5)
	v_mul_f32_e32 v7, v2, v202
	v_mul_f32_e32 v147, v3, v202
	s_waitcnt vmcnt(22)
	v_mul_f32_e32 v146, v5, v203
	v_mul_f32_e32 v175, v4, v203
	s_waitcnt vmcnt(21) lgkmcnt(4)
	v_mul_f32_e32 v168, v150, v204
	s_waitcnt vmcnt(20)
	v_mul_f32_e32 v9, v152, v159
	s_waitcnt vmcnt(19) lgkmcnt(3)
	v_mul_f32_e32 v178, v138, v161
	s_waitcnt vmcnt(18)
	;; [unrolled: 4-line block ×3, first 2 shown]
	v_mul_f32_e32 v179, v156, v169
	s_waitcnt vmcnt(12)
	v_fmac_f32_e32 v168, v151, v205
	s_waitcnt vmcnt(11)
	v_fma_f32 v4, v4, v206, -v146
	s_waitcnt vmcnt(10)
	v_fmac_f32_e32 v7, v3, v207
	s_waitcnt vmcnt(9)
	v_fma_f32 v148, v148, v208, -v173
	v_fmac_f32_e32 v164, v149, v208
	v_fma_f32 v2, v2, v207, -v147
	v_fmac_f32_e32 v175, v5, v206
	v_mul_f32_e32 v5, v153, v159
	v_add_f32_e32 v3, v6, v148
	v_add_f32_e32 v6, v8, v164
	v_mul_f32_e32 v8, v151, v204
	s_waitcnt lgkmcnt(1)
	v_mul_f32_e32 v174, v142, v12
	v_mul_f32_e32 v180, v144, v170
	v_add_f32_e32 v2, v3, v2
	v_add_f32_e32 v3, v6, v7
	v_fma_f32 v6, v150, v205, -v8
	s_waitcnt vmcnt(6)
	v_fmac_f32_e32 v178, v139, v201
	s_waitcnt vmcnt(5)
	v_fma_f32 v5, v152, v209, -v5
	v_add_f32_e32 v2, v2, v4
	v_add_f32_e32 v3, v3, v175
	v_mul_f32_e32 v4, v139, v161
	v_fmac_f32_e32 v9, v153, v209
	v_fmac_f32_e32 v172, v141, v200
	v_add_f32_e32 v2, v2, v6
	v_add_f32_e32 v3, v3, v168
	v_mul_f32_e32 v6, v141, v162
	v_fma_f32 v4, v138, v201, -v4
	v_fmac_f32_e32 v176, v155, v199
	v_add_f32_e32 v2, v2, v5
	v_add_f32_e32 v3, v3, v9
	v_mul_f32_e32 v5, v155, v163
	v_fma_f32 v6, v140, v200, -v6
	s_waitcnt vmcnt(1)
	v_fmac_f32_e32 v179, v157, v213
	v_add_f32_e32 v2, v2, v4
	v_add_f32_e32 v3, v3, v178
	v_mul_f32_e32 v4, v157, v169
	v_fma_f32 v5, v154, v199, -v5
	v_fmac_f32_e32 v174, v143, v212
	v_add_f32_e32 v2, v2, v6
	v_add_f32_e32 v3, v3, v172
	v_mul_f32_e32 v6, v143, v12
	v_fma_f32 v4, v156, v213, -v4
	s_waitcnt lgkmcnt(0)
	v_mul_f32_e32 v165, v10, v171
	v_add_f32_e32 v2, v2, v5
	v_add_f32_e32 v3, v3, v176
	v_mul_f32_e32 v5, v145, v170
	v_fma_f32 v6, v142, v212, -v6
	v_fmac_f32_e32 v180, v145, v211
	v_add_f32_e32 v2, v2, v4
	v_add_f32_e32 v3, v3, v179
	v_mul_f32_e32 v4, v11, v171
	v_fma_f32 v5, v144, v211, -v5
	v_fmac_f32_e32 v165, v11, v210
	v_add_f32_e32 v2, v2, v6
	v_add_f32_e32 v3, v3, v174
	v_fma_f32 v4, v10, v210, -v4
	v_add_f32_e32 v2, v2, v5
	v_add_f32_e32 v3, v3, v180
	;; [unrolled: 1-line block ×4, first 2 shown]
	s_waitcnt vmcnt(0)
	v_sub_f32_e32 v2, v214, v2
	v_sub_f32_e32 v3, v197, v3
	buffer_store_dword v2, off, s[0:3], 0 offset:176
	buffer_store_dword v3, off, s[0:3], 0 offset:180
	v_cmpx_lt_u32_e32 21, v0
	s_cbranch_execz .LBB61_343
; %bb.342:
	s_clause 0x1
	buffer_load_dword v2, off, s[0:3], 0 offset:168
	buffer_load_dword v3, off, s[0:3], 0 offset:172
	buffer_store_dword v1, off, s[0:3], 0 offset:168
	buffer_store_dword v1, off, s[0:3], 0 offset:172
	s_waitcnt vmcnt(0)
	ds_write_b64 v137, v[2:3]
.LBB61_343:
	s_or_b32 exec_lo, exec_lo, s4
	s_waitcnt lgkmcnt(0)
	s_waitcnt_vscnt null, 0x0
	s_barrier
	buffer_gl0_inv
	s_clause 0x23
	buffer_load_dword v10, off, s[0:3], 0 offset:180
	buffer_load_dword v11, off, s[0:3], 0 offset:188
	;; [unrolled: 1-line block ×36, first 2 shown]
	ds_read_b128 v[2:5], v1 offset:672
	s_clause 0x1
	buffer_load_dword v187, off, s[0:3], 0 offset:316
	buffer_load_dword v188, off, s[0:3], 0 offset:324
	ds_read_b128 v[6:9], v1 offset:688
	ds_read_b128 v[138:141], v1 offset:704
	s_clause 0x7
	buffer_load_dword v189, off, s[0:3], 0 offset:332
	buffer_load_dword v190, off, s[0:3], 0 offset:340
	buffer_load_dword v191, off, s[0:3], 0 offset:348
	buffer_load_dword v192, off, s[0:3], 0 offset:356
	buffer_load_dword v193, off, s[0:3], 0 offset:352
	buffer_load_dword v194, off, s[0:3], 0 offset:344
	buffer_load_dword v195, off, s[0:3], 0 offset:336
	buffer_load_dword v196, off, s[0:3], 0 offset:328
	ds_read_b128 v[142:145], v1 offset:720
	ds_read_b128 v[146:149], v1 offset:736
	;; [unrolled: 1-line block ×3, first 2 shown]
	buffer_load_dword v199, off, s[0:3], 0 offset:172
	s_mov_b32 s4, exec_lo
	s_waitcnt vmcnt(46) lgkmcnt(5)
	v_mul_f32_e32 v197, v3, v10
	v_mul_f32_e32 v10, v2, v10
	s_waitcnt vmcnt(45)
	v_mul_f32_e32 v198, v4, v11
	v_mul_f32_e32 v11, v5, v11
	s_waitcnt vmcnt(42)
	v_fma_f32 v197, v2, v155, -v197
	v_fmac_f32_e32 v10, v3, v155
	v_fmac_f32_e32 v198, v5, v154
	v_fma_f32 v11, v4, v154, -v11
	s_waitcnt vmcnt(41) lgkmcnt(4)
	v_mul_f32_e32 v154, v6, v156
	v_mul_f32_e32 v155, v7, v156
	s_waitcnt vmcnt(40)
	v_mul_f32_e32 v156, v8, v157
	v_mul_f32_e32 v157, v9, v157
	s_waitcnt vmcnt(39) lgkmcnt(3)
	v_mul_f32_e32 v200, v138, v158
	v_mul_f32_e32 v158, v139, v158
	v_fmac_f32_e32 v154, v7, v12
	v_fma_f32 v12, v6, v12, -v155
	s_waitcnt vmcnt(38)
	v_mul_f32_e32 v155, v140, v159
	v_mul_f32_e32 v6, v141, v159
	ds_read_b128 v[2:5], v1 offset:768
	s_waitcnt vmcnt(34)
	v_fmac_f32_e32 v156, v9, v163
	v_fma_f32 v157, v8, v163, -v157
	v_fmac_f32_e32 v200, v139, v162
	v_fma_f32 v138, v138, v162, -v158
	;; [unrolled: 2-line block ×3, first 2 shown]
	s_clause 0x7
	buffer_load_dword v158, off, s[0:3], 0 offset:364
	buffer_load_dword v159, off, s[0:3], 0 offset:372
	;; [unrolled: 1-line block ×8, first 2 shown]
	s_waitcnt vmcnt(41) lgkmcnt(3)
	v_mul_f32_e32 v6, v143, v164
	s_waitcnt vmcnt(40)
	v_mul_f32_e32 v7, v145, v165
	v_mul_f32_e32 v140, v142, v164
	;; [unrolled: 1-line block ×3, first 2 shown]
	s_waitcnt vmcnt(39) lgkmcnt(2)
	v_mul_f32_e32 v164, v146, v166
	v_fma_f32 v142, v142, v160, -v6
	s_waitcnt vmcnt(34)
	v_fma_f32 v144, v144, v171, -v7
	ds_read_b128 v[6:9], v1 offset:784
	v_mul_f32_e32 v165, v147, v166
	v_fmac_f32_e32 v140, v143, v160
	v_mul_f32_e32 v143, v148, v167
	v_mul_f32_e32 v160, v149, v167
	v_fmac_f32_e32 v141, v145, v171
	v_fmac_f32_e32 v164, v147, v170
	v_fma_f32 v145, v146, v170, -v165
	v_fmac_f32_e32 v143, v149, v169
	v_fma_f32 v146, v148, v169, -v160
	s_waitcnt vmcnt(33) lgkmcnt(2)
	v_mul_f32_e32 v147, v150, v172
	v_mul_f32_e32 v148, v151, v172
	s_waitcnt vmcnt(32)
	v_mul_f32_e32 v149, v152, v173
	s_waitcnt vmcnt(31) lgkmcnt(1)
	v_mul_f32_e32 v170, v2, v174
	v_mul_f32_e32 v171, v3, v174
	;; [unrolled: 1-line block ×3, first 2 shown]
	v_fmac_f32_e32 v147, v151, v168
	v_fma_f32 v148, v150, v168, -v148
	s_waitcnt vmcnt(30)
	v_mul_f32_e32 v150, v4, v175
	v_mul_f32_e32 v151, v5, v175
	s_waitcnt vmcnt(26)
	v_fmac_f32_e32 v149, v153, v179
	v_fmac_f32_e32 v170, v3, v178
	v_fma_f32 v153, v2, v178, -v171
	s_waitcnt vmcnt(25) lgkmcnt(0)
	v_mul_f32_e32 v178, v6, v180
	v_mul_f32_e32 v2, v7, v180
	v_add_f32_e32 v3, 0, v197
	s_clause 0x3
	buffer_load_dword v160, off, s[0:3], 0 offset:396
	buffer_load_dword v165, off, s[0:3], 0 offset:404
	;; [unrolled: 1-line block ×4, first 2 shown]
	v_fma_f32 v152, v152, v179, -v169
	s_clause 0x3
	buffer_load_dword v168, off, s[0:3], 0 offset:428
	buffer_load_dword v169, off, s[0:3], 0 offset:436
	;; [unrolled: 1-line block ×4, first 2 shown]
	v_fmac_f32_e32 v150, v5, v177
	v_fma_f32 v151, v4, v177, -v151
	s_clause 0x3
	buffer_load_dword v171, off, s[0:3], 0 offset:460
	buffer_load_dword v174, off, s[0:3], 0 offset:468
	;; [unrolled: 1-line block ×4, first 2 shown]
	v_add_f32_e32 v4, 0, v10
	buffer_load_dword v10, off, s[0:3], 0 offset:492
	v_fmac_f32_e32 v178, v7, v176
	v_fma_f32 v176, v6, v176, -v2
	v_add_f32_e32 v2, v3, v11
	s_clause 0x3
	buffer_load_dword v11, off, s[0:3], 0 offset:416
	buffer_load_dword v179, off, s[0:3], 0 offset:408
	;; [unrolled: 1-line block ×4, first 2 shown]
	v_add_f32_e32 v6, v4, v198
	v_add_f32_e32 v7, v2, v12
	s_waitcnt vmcnt(41)
	v_mul_f32_e32 v2, v9, v181
	v_mul_f32_e32 v12, v8, v181
	v_add_f32_e32 v6, v6, v154
	v_add_f32_e32 v7, v7, v157
	s_waitcnt vmcnt(37)
	v_fma_f32 v181, v8, v185, -v2
	ds_read_b128 v[2:5], v1 offset:800
	v_fmac_f32_e32 v12, v9, v185
	s_clause 0x3
	buffer_load_dword v185, off, s[0:3], 0 offset:448
	buffer_load_dword v198, off, s[0:3], 0 offset:440
	;; [unrolled: 1-line block ×4, first 2 shown]
	v_add_f32_e32 v7, v7, v138
	v_add_f32_e32 v6, v6, v156
	;; [unrolled: 1-line block ×6, first 2 shown]
	ds_read_b128 v[6:9], v1 offset:816
	v_add_f32_e32 v139, v139, v140
	s_waitcnt vmcnt(40) lgkmcnt(1)
	v_mul_f32_e32 v154, v2, v186
	v_mul_f32_e32 v142, v3, v186
	s_waitcnt vmcnt(39)
	v_mul_f32_e32 v156, v4, v187
	v_fmac_f32_e32 v154, v3, v184
	v_fma_f32 v155, v2, v184, -v142
	s_clause 0x4
	buffer_load_dword v184, off, s[0:3], 0 offset:480
	buffer_load_dword v186, off, s[0:3], 0 offset:472
	;; [unrolled: 1-line block ×5, first 2 shown]
	v_add_f32_e32 v3, v139, v141
	v_add_f32_e32 v2, v138, v144
	v_mul_f32_e32 v138, v5, v187
	v_fmac_f32_e32 v156, v5, v183
	v_add_f32_e32 v3, v3, v164
	buffer_load_dword v164, off, s[0:3], 0 offset:168
	v_add_f32_e32 v2, v2, v145
	v_fma_f32 v157, v4, v183, -v138
	s_waitcnt vmcnt(44) lgkmcnt(0)
	v_mul_f32_e32 v183, v6, v188
	v_add_f32_e32 v139, v3, v143
	v_mul_f32_e32 v144, v7, v188
	v_add_f32_e32 v2, v2, v146
	s_waitcnt vmcnt(43)
	v_mul_f32_e32 v187, v8, v189
	v_mul_f32_e32 v145, v9, v189
	v_add_f32_e32 v143, v139, v147
	ds_read_b128 v[138:141], v1 offset:848
	v_add_f32_e32 v142, v2, v148
	ds_read_b128 v[2:5], v1 offset:832
	v_fmac_f32_e32 v183, v7, v182
	v_add_f32_e32 v143, v143, v149
	v_fma_f32 v182, v6, v182, -v144
	v_add_f32_e32 v142, v142, v152
	s_waitcnt vmcnt(36)
	v_fmac_f32_e32 v187, v9, v196
	v_fma_f32 v188, v8, v196, -v145
	v_add_f32_e32 v147, v143, v170
	v_add_f32_e32 v146, v142, v153
	ds_read_b128 v[6:9], v1 offset:864
	ds_read_b128 v[142:145], v1 offset:880
	v_add_f32_e32 v147, v147, v150
	v_add_f32_e32 v146, v146, v151
	;; [unrolled: 1-line block ×3, first 2 shown]
	s_waitcnt lgkmcnt(3)
	v_mul_f32_e32 v150, v139, v192
	v_add_f32_e32 v146, v146, v176
	v_mul_f32_e32 v176, v138, v192
	s_waitcnt lgkmcnt(2)
	v_mul_f32_e32 v148, v3, v190
	v_add_f32_e32 v12, v147, v12
	v_mul_f32_e32 v170, v2, v190
	v_add_f32_e32 v151, v146, v181
	v_mul_f32_e32 v149, v5, v191
	v_fma_f32 v190, v2, v195, -v148
	v_add_f32_e32 v12, v12, v154
	v_mul_f32_e32 v189, v4, v191
	v_add_f32_e32 v155, v151, v155
	v_fmac_f32_e32 v170, v3, v195
	v_fma_f32 v191, v4, v194, -v149
	v_add_f32_e32 v12, v12, v156
	v_fmac_f32_e32 v189, v5, v194
	v_add_f32_e32 v154, v155, v157
	v_fmac_f32_e32 v176, v139, v193
	ds_read_b128 v[2:5], v1 offset:896
	ds_read_b128 v[146:149], v1 offset:912
	v_add_f32_e32 v12, v12, v183
	v_add_f32_e32 v12, v12, v187
	;; [unrolled: 1-line block ×5, first 2 shown]
	s_waitcnt vmcnt(34)
	v_mul_f32_e32 v178, v140, v158
	s_waitcnt vmcnt(33) lgkmcnt(3)
	v_mul_f32_e32 v192, v6, v159
	v_mul_f32_e32 v155, v7, v159
	;; [unrolled: 1-line block ×3, first 2 shown]
	v_fma_f32 v158, v138, v193, -v150
	s_waitcnt vmcnt(32)
	v_mul_f32_e32 v193, v8, v161
	s_waitcnt vmcnt(28)
	v_fmac_f32_e32 v192, v7, v202
	v_add_f32_e32 v7, v154, v182
	s_waitcnt vmcnt(27)
	v_fma_f32 v181, v140, v203, -v152
	v_fmac_f32_e32 v178, v141, v203
	v_mul_f32_e32 v156, v9, v161
	v_fma_f32 v159, v6, v202, -v155
	v_add_f32_e32 v182, v7, v188
	ds_read_b128 v[138:141], v1 offset:928
	ds_read_b128 v[150:153], v1 offset:944
	v_add_f32_e32 v12, v12, v178
	v_fmac_f32_e32 v193, v9, v201
	v_fma_f32 v161, v8, v201, -v156
	v_add_f32_e32 v182, v182, v190
	ds_read_b128 v[6:9], v1 offset:960
	ds_read_b128 v[154:157], v1 offset:976
	s_waitcnt lgkmcnt(6)
	v_mul_f32_e32 v1, v142, v162
	v_mul_f32_e32 v162, v143, v162
	v_add_f32_e32 v12, v12, v192
	v_add_f32_e32 v182, v182, v191
	v_fmac_f32_e32 v1, v143, v163
	v_fma_f32 v142, v142, v163, -v162
	v_add_f32_e32 v12, v12, v193
	v_add_f32_e32 v158, v182, v158
	;; [unrolled: 1-line block ×5, first 2 shown]
	s_waitcnt vmcnt(26)
	v_mul_f32_e32 v170, v144, v160
	v_mul_f32_e32 v160, v145, v160
	s_waitcnt vmcnt(25) lgkmcnt(5)
	v_mul_f32_e32 v183, v2, v165
	s_waitcnt vmcnt(24)
	v_mul_f32_e32 v12, v5, v166
	v_add_f32_e32 v158, v158, v161
	v_mul_f32_e32 v161, v3, v165
	v_mul_f32_e32 v187, v4, v166
	s_waitcnt vmcnt(23) lgkmcnt(4)
	v_mul_f32_e32 v188, v146, v167
	s_waitcnt vmcnt(22)
	v_mul_f32_e32 v182, v148, v168
	v_add_f32_e32 v142, v158, v142
	s_waitcnt vmcnt(21) lgkmcnt(3)
	v_mul_f32_e32 v176, v138, v169
	s_waitcnt vmcnt(20)
	v_mul_f32_e32 v189, v140, v172
	s_waitcnt vmcnt(12)
	v_fma_f32 v4, v4, v179, -v12
	s_waitcnt vmcnt(11)
	v_fmac_f32_e32 v183, v3, v180
	s_waitcnt vmcnt(10)
	v_fma_f32 v144, v144, v197, -v160
	v_fmac_f32_e32 v170, v145, v197
	v_fma_f32 v2, v2, v180, -v161
	v_fmac_f32_e32 v187, v5, v179
	v_fmac_f32_e32 v188, v147, v11
	v_add_f32_e32 v3, v142, v144
	v_add_f32_e32 v1, v1, v170
	v_mul_f32_e32 v142, v147, v167
	s_waitcnt lgkmcnt(2)
	v_mul_f32_e32 v181, v150, v173
	v_mul_f32_e32 v178, v152, v171
	v_add_f32_e32 v2, v3, v2
	v_add_f32_e32 v1, v1, v183
	v_mul_f32_e32 v3, v149, v168
	v_fma_f32 v5, v146, v11, -v142
	s_waitcnt vmcnt(6)
	v_fmac_f32_e32 v182, v149, v205
	v_add_f32_e32 v2, v2, v4
	v_add_f32_e32 v1, v1, v187
	v_mul_f32_e32 v4, v139, v169
	v_fma_f32 v3, v148, v205, -v3
	v_fmac_f32_e32 v176, v139, v204
	v_add_f32_e32 v2, v2, v5
	v_add_f32_e32 v1, v1, v188
	v_mul_f32_e32 v5, v141, v172
	v_fma_f32 v4, v138, v204, -v4
	;; [unrolled: 5-line block ×4, first 2 shown]
	s_waitcnt lgkmcnt(1)
	v_mul_f32_e32 v190, v6, v174
	v_add_f32_e32 v2, v2, v5
	v_add_f32_e32 v1, v1, v189
	v_mul_f32_e32 v5, v7, v174
	s_waitcnt vmcnt(2)
	v_fma_f32 v4, v152, v206, -v4
	v_fmac_f32_e32 v178, v153, v206
	v_add_f32_e32 v2, v2, v3
	v_add_f32_e32 v1, v1, v181
	v_mul_f32_e32 v3, v9, v175
	v_fma_f32 v5, v6, v200, -v5
	v_mul_f32_e32 v159, v8, v175
	v_add_f32_e32 v2, v2, v4
	v_fmac_f32_e32 v190, v7, v200
	v_add_f32_e32 v1, v1, v178
	s_waitcnt lgkmcnt(0)
	v_mul_f32_e32 v4, v155, v177
	v_fma_f32 v3, v8, v186, -v3
	v_add_f32_e32 v2, v2, v5
	v_mul_f32_e32 v191, v154, v177
	v_fmac_f32_e32 v159, v9, v186
	v_add_f32_e32 v1, v1, v190
	v_mul_f32_e32 v5, v157, v10
	v_fma_f32 v4, v154, v184, -v4
	v_add_f32_e32 v2, v2, v3
	v_mul_f32_e32 v143, v156, v10
	v_fmac_f32_e32 v191, v155, v184
	v_add_f32_e32 v1, v1, v159
	s_waitcnt vmcnt(1)
	v_fma_f32 v3, v156, v207, -v5
	v_add_f32_e32 v2, v2, v4
	v_fmac_f32_e32 v143, v157, v207
	v_add_f32_e32 v1, v1, v191
	v_add_f32_e32 v2, v2, v3
	;; [unrolled: 1-line block ×3, first 2 shown]
	s_waitcnt vmcnt(0)
	v_sub_f32_e32 v2, v164, v2
	v_sub_f32_e32 v1, v199, v1
	buffer_store_dword v2, off, s[0:3], 0 offset:168
	buffer_store_dword v1, off, s[0:3], 0 offset:172
	v_cmpx_lt_u32_e32 20, v0
	s_cbranch_execz .LBB61_345
; %bb.344:
	s_clause 0x1
	buffer_load_dword v1, off, s[0:3], 0 offset:160
	buffer_load_dword v2, off, s[0:3], 0 offset:164
	v_mov_b32_e32 v3, 0
	buffer_store_dword v3, off, s[0:3], 0 offset:160
	buffer_store_dword v3, off, s[0:3], 0 offset:164
	s_waitcnt vmcnt(0)
	ds_write_b64 v137, v[1:2]
.LBB61_345:
	s_or_b32 exec_lo, exec_lo, s4
	s_waitcnt lgkmcnt(0)
	s_waitcnt_vscnt null, 0x0
	s_barrier
	buffer_gl0_inv
	s_clause 0x23
	buffer_load_dword v2, off, s[0:3], 0 offset:172
	buffer_load_dword v1, off, s[0:3], 0 offset:180
	;; [unrolled: 1-line block ×36, first 2 shown]
	v_mov_b32_e32 v138, 0
	s_mov_b32 s4, exec_lo
	ds_read2_b64 v[3:6], v138 offset0:83 offset1:84
	s_clause 0x1
	buffer_load_dword v187, off, s[0:3], 0 offset:308
	buffer_load_dword v188, off, s[0:3], 0 offset:316
	ds_read2_b64 v[7:10], v138 offset0:85 offset1:86
	s_clause 0x8
	buffer_load_dword v189, off, s[0:3], 0 offset:324
	buffer_load_dword v190, off, s[0:3], 0 offset:332
	;; [unrolled: 1-line block ×9, first 2 shown]
	ds_read2_b64 v[139:142], v138 offset0:87 offset1:88
	ds_read2_b64 v[143:146], v138 offset0:89 offset1:90
	buffer_load_dword v198, off, s[0:3], 0 offset:164
	ds_read2_b64 v[147:150], v138 offset0:91 offset1:92
	ds_read2_b64 v[151:154], v138 offset0:93 offset1:94
	s_waitcnt vmcnt(47) lgkmcnt(5)
	v_mul_f32_e32 v199, v4, v2
	v_mul_f32_e32 v200, v3, v2
	s_waitcnt vmcnt(46)
	v_mul_f32_e32 v201, v5, v1
	v_mul_f32_e32 v1, v6, v1
	s_waitcnt vmcnt(43)
	v_fma_f32 v199, v3, v155, -v199
	v_fmac_f32_e32 v200, v4, v155
	s_waitcnt vmcnt(42) lgkmcnt(4)
	v_mul_f32_e32 v155, v7, v156
	v_mul_f32_e32 v156, v8, v156
	v_fmac_f32_e32 v201, v6, v12
	v_fma_f32 v12, v5, v12, -v1
	s_waitcnt vmcnt(41)
	v_mul_f32_e32 v202, v9, v157
	v_mul_f32_e32 v5, v10, v157
	v_fmac_f32_e32 v155, v8, v11
	v_fma_f32 v11, v7, v11, -v156
	s_waitcnt vmcnt(40) lgkmcnt(3)
	v_mul_f32_e32 v156, v139, v158
	v_mul_f32_e32 v6, v140, v158
	s_waitcnt vmcnt(36)
	v_fmac_f32_e32 v202, v10, v162
	v_fma_f32 v9, v9, v162, -v5
	s_waitcnt vmcnt(35)
	v_mul_f32_e32 v10, v141, v163
	v_mul_f32_e32 v5, v142, v163
	ds_read2_b64 v[1:4], v138 offset0:95 offset1:96
	s_waitcnt vmcnt(34) lgkmcnt(3)
	v_mul_f32_e32 v157, v143, v164
	v_mul_f32_e32 v7, v144, v164
	s_waitcnt vmcnt(33)
	v_mul_f32_e32 v158, v145, v165
	v_mul_f32_e32 v8, v146, v165
	v_fmac_f32_e32 v156, v140, v161
	v_fma_f32 v139, v139, v161, -v6
	v_fmac_f32_e32 v10, v142, v160
	v_fma_f32 v140, v141, v160, -v5
	s_clause 0x6
	buffer_load_dword v160, off, s[0:3], 0 offset:364
	buffer_load_dword v161, off, s[0:3], 0 offset:372
	;; [unrolled: 1-line block ×7, first 2 shown]
	v_fma_f32 v141, v143, v159, -v7
	s_waitcnt vmcnt(36)
	v_fma_f32 v142, v145, v169, -v8
	ds_read2_b64 v[5:8], v138 offset0:97 offset1:98
	v_fmac_f32_e32 v157, v144, v159
	v_fmac_f32_e32 v158, v146, v169
	s_waitcnt vmcnt(35) lgkmcnt(3)
	v_mul_f32_e32 v144, v148, v170
	s_waitcnt vmcnt(34)
	v_mul_f32_e32 v145, v149, v171
	v_mul_f32_e32 v146, v150, v171
	;; [unrolled: 1-line block ×3, first 2 shown]
	s_waitcnt vmcnt(33) lgkmcnt(2)
	v_mul_f32_e32 v159, v151, v172
	v_mul_f32_e32 v169, v152, v172
	v_fma_f32 v144, v147, v168, -v144
	s_waitcnt vmcnt(32)
	v_mul_f32_e32 v147, v153, v173
	v_fmac_f32_e32 v145, v150, v167
	v_fma_f32 v146, v149, v167, -v146
	s_waitcnt vmcnt(31) lgkmcnt(1)
	v_mul_f32_e32 v149, v1, v174
	v_mul_f32_e32 v150, v2, v174
	v_fmac_f32_e32 v143, v148, v168
	v_mul_f32_e32 v148, v154, v173
	v_fmac_f32_e32 v159, v152, v166
	v_fma_f32 v151, v151, v166, -v169
	s_waitcnt vmcnt(27)
	v_fmac_f32_e32 v147, v154, v178
	s_clause 0x7
	buffer_load_dword v166, off, s[0:3], 0 offset:388
	buffer_load_dword v167, off, s[0:3], 0 offset:396
	buffer_load_dword v168, off, s[0:3], 0 offset:404
	buffer_load_dword v169, off, s[0:3], 0 offset:412
	buffer_load_dword v170, off, s[0:3], 0 offset:408
	buffer_load_dword v171, off, s[0:3], 0 offset:400
	buffer_load_dword v172, off, s[0:3], 0 offset:392
	buffer_load_dword v173, off, s[0:3], 0 offset:384
	v_fmac_f32_e32 v149, v2, v177
	v_fma_f32 v150, v1, v177, -v150
	s_waitcnt vmcnt(33) lgkmcnt(0)
	v_mul_f32_e32 v154, v5, v180
	v_mul_f32_e32 v1, v6, v180
	v_add_f32_e32 v2, 0, v199
	v_fma_f32 v148, v153, v178, -v148
	v_mul_f32_e32 v152, v3, v179
	v_fmac_f32_e32 v154, v6, v175
	v_fma_f32 v175, v5, v175, -v1
	v_add_f32_e32 v1, 0, v200
	v_add_f32_e32 v2, v2, v12
	v_mul_f32_e32 v153, v4, v179
	s_clause 0x1
	buffer_load_dword v174, off, s[0:3], 0 offset:420
	buffer_load_dword v177, off, s[0:3], 0 offset:428
	v_fmac_f32_e32 v152, v4, v176
	v_add_f32_e32 v1, v1, v201
	v_add_f32_e32 v5, v2, v11
	s_waitcnt vmcnt(34)
	v_mul_f32_e32 v2, v8, v181
	v_fma_f32 v153, v3, v176, -v153
	s_clause 0x5
	buffer_load_dword v176, off, s[0:3], 0 offset:436
	buffer_load_dword v178, off, s[0:3], 0 offset:444
	;; [unrolled: 1-line block ×6, first 2 shown]
	v_mul_f32_e32 v204, v7, v181
	v_add_f32_e32 v6, v1, v155
	s_waitcnt vmcnt(36)
	v_fma_f32 v155, v7, v185, -v2
	ds_read2_b64 v[1:4], v138 offset0:99 offset1:100
	s_clause 0x1
	buffer_load_dword v201, off, s[0:3], 0 offset:484
	buffer_load_dword v181, off, s[0:3], 0 offset:492
	v_fmac_f32_e32 v204, v8, v185
	v_add_f32_e32 v6, v6, v202
	s_clause 0x3
	buffer_load_dword v185, off, s[0:3], 0 offset:440
	buffer_load_dword v202, off, s[0:3], 0 offset:432
	;; [unrolled: 1-line block ×4, first 2 shown]
	v_add_f32_e32 v5, v5, v9
	v_add_f32_e32 v6, v6, v156
	;; [unrolled: 1-line block ×6, first 2 shown]
	s_waitcnt vmcnt(41) lgkmcnt(0)
	v_mul_f32_e32 v156, v1, v186
	v_mul_f32_e32 v11, v2, v186
	v_add_f32_e32 v10, v5, v141
	ds_read2_b64 v[5:8], v138 offset0:101 offset1:102
	v_fmac_f32_e32 v156, v2, v184
	v_fma_f32 v157, v1, v184, -v11
	v_add_f32_e32 v1, v9, v158
	s_clause 0x6
	buffer_load_dword v158, off, s[0:3], 0 offset:472
	buffer_load_dword v184, off, s[0:3], 0 offset:464
	;; [unrolled: 1-line block ×7, first 2 shown]
	v_add_f32_e32 v10, v10, v142
	v_add_f32_e32 v1, v1, v143
	s_waitcnt vmcnt(47)
	v_mul_f32_e32 v9, v4, v187
	v_add_f32_e32 v2, v10, v144
	v_add_f32_e32 v1, v1, v145
	;; [unrolled: 1-line block ×4, first 2 shown]
	v_fma_f32 v159, v3, v183, -v9
	s_waitcnt vmcnt(46) lgkmcnt(0)
	v_mul_f32_e32 v141, v6, v188
	s_waitcnt vmcnt(45)
	v_mul_f32_e32 v142, v8, v189
	v_add_f32_e32 v2, v2, v151
	v_add_f32_e32 v140, v10, v147
	v_mul_f32_e32 v151, v3, v187
	v_mul_f32_e32 v187, v7, v189
	ds_read2_b64 v[9:12], v138 offset0:105 offset1:106
	v_add_f32_e32 v139, v2, v148
	v_add_f32_e32 v140, v140, v149
	v_fmac_f32_e32 v151, v4, v183
	v_mul_f32_e32 v183, v5, v188
	ds_read2_b64 v[1:4], v138 offset0:103 offset1:104
	v_add_f32_e32 v139, v139, v150
	v_add_f32_e32 v144, v140, v152
	s_waitcnt vmcnt(38)
	v_fmac_f32_e32 v187, v8, v196
	v_fmac_f32_e32 v183, v6, v182
	v_fma_f32 v182, v5, v182, -v141
	v_add_f32_e32 v143, v139, v153
	v_fma_f32 v153, v7, v196, -v142
	ds_read2_b64 v[5:8], v138 offset0:107 offset1:108
	ds_read2_b64 v[139:142], v138 offset0:109 offset1:110
	v_add_f32_e32 v144, v144, v154
	v_add_f32_e32 v143, v143, v175
	;; [unrolled: 1-line block ×3, first 2 shown]
	s_waitcnt lgkmcnt(3)
	v_mul_f32_e32 v147, v10, v192
	v_add_f32_e32 v143, v143, v155
	v_mul_f32_e32 v188, v9, v192
	s_waitcnt vmcnt(37)
	v_mul_f32_e32 v150, v12, v197
	v_add_f32_e32 v149, v144, v156
	s_waitcnt lgkmcnt(2)
	v_mul_f32_e32 v145, v2, v190
	v_add_f32_e32 v148, v143, v157
	v_mul_f32_e32 v152, v1, v190
	v_mul_f32_e32 v146, v4, v191
	v_add_f32_e32 v151, v149, v151
	v_fma_f32 v154, v1, v195, -v145
	v_add_f32_e32 v155, v148, v159
	v_mul_f32_e32 v175, v3, v191
	v_fmac_f32_e32 v152, v2, v195
	v_add_f32_e32 v151, v151, v183
	v_fma_f32 v190, v3, v194, -v146
	v_add_f32_e32 v155, v155, v182
	v_fmac_f32_e32 v175, v4, v194
	v_fma_f32 v157, v9, v193, -v147
	v_add_f32_e32 v151, v151, v187
	v_mul_f32_e32 v189, v11, v197
	v_fmac_f32_e32 v188, v10, v193
	ds_read2_b64 v[1:4], v138 offset0:111 offset1:112
	ds_read2_b64 v[143:146], v138 offset0:113 offset1:114
	s_waitcnt vmcnt(35) lgkmcnt(3)
	v_mul_f32_e32 v182, v5, v160
	s_waitcnt vmcnt(34)
	v_mul_f32_e32 v183, v7, v161
	v_mul_f32_e32 v156, v6, v160
	;; [unrolled: 1-line block ×3, first 2 shown]
	s_waitcnt vmcnt(33) lgkmcnt(2)
	v_mul_f32_e32 v187, v139, v162
	s_waitcnt vmcnt(30)
	v_fmac_f32_e32 v182, v6, v165
	v_add_f32_e32 v6, v155, v153
	v_fmac_f32_e32 v183, v8, v164
	v_fma_f32 v160, v7, v164, -v160
	v_fma_f32 v161, v5, v165, -v156
	v_add_f32_e32 v165, v151, v152
	v_add_f32_e32 v164, v6, v154
	s_waitcnt vmcnt(29)
	v_fma_f32 v159, v11, v203, -v150
	v_fmac_f32_e32 v189, v12, v203
	v_mul_f32_e32 v162, v140, v162
	v_add_f32_e32 v165, v165, v175
	v_add_f32_e32 v164, v164, v190
	v_fmac_f32_e32 v187, v140, v163
	ds_read2_b64 v[9:12], v138 offset0:115 offset1:116
	ds_read2_b64 v[147:150], v138 offset0:117 offset1:118
	v_fma_f32 v139, v139, v163, -v162
	v_add_f32_e32 v165, v165, v188
	v_add_f32_e32 v157, v164, v157
	s_waitcnt vmcnt(28)
	v_mul_f32_e32 v175, v141, v166
	v_mul_f32_e32 v166, v142, v166
	s_waitcnt vmcnt(27) lgkmcnt(3)
	v_mul_f32_e32 v164, v1, v167
	v_add_f32_e32 v162, v165, v189
	v_add_f32_e32 v157, v157, v159
	v_mul_f32_e32 v165, v2, v167
	s_waitcnt vmcnt(26)
	v_mul_f32_e32 v188, v3, v168
	s_waitcnt vmcnt(21)
	v_fma_f32 v141, v141, v173, -v166
	v_fmac_f32_e32 v175, v142, v173
	v_add_f32_e32 v157, v157, v161
	v_add_f32_e32 v161, v162, v182
	v_fmac_f32_e32 v164, v2, v172
	v_fma_f32 v1, v1, v172, -v165
	s_waitcnt lgkmcnt(2)
	v_mul_f32_e32 v140, v143, v169
	v_add_f32_e32 v157, v157, v160
	v_add_f32_e32 v160, v161, v183
	v_mul_f32_e32 v161, v4, v168
	v_fmac_f32_e32 v188, v4, v171
	v_fmac_f32_e32 v140, v144, v170
	v_add_f32_e32 v139, v157, v139
	v_add_f32_e32 v157, v160, v187
	v_fma_f32 v3, v3, v171, -v161
	s_waitcnt vmcnt(20)
	v_mul_f32_e32 v4, v146, v174
	v_mul_f32_e32 v159, v145, v174
	v_add_f32_e32 v2, v139, v141
	v_add_f32_e32 v139, v157, v175
	v_mul_f32_e32 v141, v144, v169
	s_waitcnt vmcnt(19) lgkmcnt(1)
	v_mul_f32_e32 v163, v9, v177
	ds_read2_b64 v[5:8], v138 offset0:119 offset1:120
	ds_read2_b64 v[151:154], v138 offset0:121 offset1:122
	ds_read_b64 v[155:156], v138 offset:984
	v_add_f32_e32 v1, v2, v1
	v_add_f32_e32 v2, v139, v164
	v_fma_f32 v139, v143, v170, -v141
	s_waitcnt vmcnt(18)
	v_mul_f32_e32 v142, v11, v176
	s_waitcnt vmcnt(17) lgkmcnt(3)
	v_mul_f32_e32 v166, v147, v178
	v_add_f32_e32 v1, v1, v3
	v_add_f32_e32 v2, v2, v188
	v_mul_f32_e32 v3, v10, v177
	s_waitcnt vmcnt(7)
	v_fma_f32 v4, v145, v206, -v4
	v_fmac_f32_e32 v159, v146, v206
	v_add_f32_e32 v1, v1, v139
	v_add_f32_e32 v2, v2, v140
	v_mul_f32_e32 v139, v12, v176
	v_fma_f32 v3, v9, v205, -v3
	v_fmac_f32_e32 v163, v10, v205
	v_add_f32_e32 v1, v1, v4
	v_add_f32_e32 v2, v2, v159
	v_mul_f32_e32 v4, v148, v178
	;; [unrolled: 5-line block ×3, first 2 shown]
	v_fma_f32 v4, v147, v185, -v4
	v_mul_f32_e32 v162, v149, v179
	v_add_f32_e32 v1, v1, v9
	v_fmac_f32_e32 v166, v148, v185
	v_add_f32_e32 v2, v2, v142
	s_waitcnt lgkmcnt(2)
	v_mul_f32_e32 v9, v6, v180
	v_mul_f32_e32 v167, v5, v180
	s_waitcnt vmcnt(3)
	v_fma_f32 v3, v149, v207, -v3
	v_add_f32_e32 v1, v1, v4
	v_fmac_f32_e32 v162, v150, v207
	v_add_f32_e32 v2, v2, v166
	v_mul_f32_e32 v4, v8, v199
	v_fma_f32 v5, v5, v186, -v9
	v_add_f32_e32 v1, v1, v3
	v_mul_f32_e32 v173, v7, v199
	v_fmac_f32_e32 v167, v6, v186
	v_add_f32_e32 v2, v2, v162
	s_waitcnt lgkmcnt(1)
	v_mul_f32_e32 v3, v152, v200
	v_fma_f32 v4, v7, v184, -v4
	v_add_f32_e32 v1, v1, v5
	v_mul_f32_e32 v168, v151, v200
	v_fmac_f32_e32 v173, v8, v184
	v_add_f32_e32 v2, v2, v167
	v_mul_f32_e32 v5, v154, v201
	v_fma_f32 v3, v151, v158, -v3
	v_add_f32_e32 v1, v1, v4
	v_mul_f32_e32 v182, v153, v201
	v_fmac_f32_e32 v168, v152, v158
	v_add_f32_e32 v2, v2, v173
	s_waitcnt lgkmcnt(0)
	v_mul_f32_e32 v4, v156, v181
	s_waitcnt vmcnt(1)
	v_fma_f32 v5, v153, v209, -v5
	v_add_f32_e32 v1, v1, v3
	v_mul_f32_e32 v160, v155, v181
	v_fmac_f32_e32 v182, v154, v209
	v_add_f32_e32 v2, v2, v168
	v_fma_f32 v3, v155, v208, -v4
	v_add_f32_e32 v1, v1, v5
	v_fmac_f32_e32 v160, v156, v208
	v_add_f32_e32 v2, v2, v182
	v_add_f32_e32 v1, v1, v3
	;; [unrolled: 1-line block ×3, first 2 shown]
	s_waitcnt vmcnt(0)
	v_sub_f32_e32 v1, v210, v1
	v_sub_f32_e32 v2, v198, v2
	buffer_store_dword v1, off, s[0:3], 0 offset:160
	buffer_store_dword v2, off, s[0:3], 0 offset:164
	v_cmpx_lt_u32_e32 19, v0
	s_cbranch_execz .LBB61_347
; %bb.346:
	s_clause 0x1
	buffer_load_dword v1, off, s[0:3], 0 offset:152
	buffer_load_dword v2, off, s[0:3], 0 offset:156
	buffer_store_dword v138, off, s[0:3], 0 offset:152
	buffer_store_dword v138, off, s[0:3], 0 offset:156
	s_waitcnt vmcnt(0)
	ds_write_b64 v137, v[1:2]
.LBB61_347:
	s_or_b32 exec_lo, exec_lo, s4
	s_waitcnt lgkmcnt(0)
	s_waitcnt_vscnt null, 0x0
	s_barrier
	buffer_gl0_inv
	s_clause 0x24
	buffer_load_dword v139, off, s[0:3], 0 offset:164
	buffer_load_dword v140, off, s[0:3], 0 offset:172
	;; [unrolled: 1-line block ×37, first 2 shown]
	ds_read_b128 v[9:12], v138 offset:656
	ds_read_b128 v[5:8], v138 offset:672
	s_clause 0x8
	buffer_load_dword v184, off, s[0:3], 0 offset:308
	buffer_load_dword v179, off, s[0:3], 0 offset:316
	;; [unrolled: 1-line block ×9, first 2 shown]
	ds_read_b128 v[1:4], v138 offset:688
	ds_read_b128 v[185:188], v138 offset:704
	;; [unrolled: 1-line block ×4, first 2 shown]
	buffer_load_dword v197, off, s[0:3], 0 offset:156
	s_mov_b32 s4, exec_lo
	s_waitcnt vmcnt(46) lgkmcnt(5)
	v_mul_f32_e32 v198, v9, v139
	s_waitcnt vmcnt(45)
	v_mul_f32_e32 v199, v11, v140
	v_mul_f32_e32 v139, v10, v139
	;; [unrolled: 1-line block ×3, first 2 shown]
	s_waitcnt vmcnt(44) lgkmcnt(4)
	v_mul_f32_e32 v200, v5, v142
	v_mul_f32_e32 v142, v6, v142
	s_waitcnt vmcnt(41)
	v_fmac_f32_e32 v198, v10, v145
	v_fma_f32 v139, v9, v145, -v139
	s_waitcnt vmcnt(40)
	v_mul_f32_e32 v145, v7, v144
	v_mul_f32_e32 v9, v8, v144
	v_fmac_f32_e32 v199, v12, v143
	v_fma_f32 v140, v11, v143, -v140
	s_waitcnt vmcnt(35) lgkmcnt(3)
	v_mul_f32_e32 v143, v1, v152
	v_mul_f32_e32 v152, v2, v152
	v_fmac_f32_e32 v200, v6, v141
	v_fma_f32 v141, v5, v141, -v142
	v_fmac_f32_e32 v145, v8, v155
	v_fma_f32 v142, v7, v155, -v9
	s_waitcnt vmcnt(34)
	v_mul_f32_e32 v144, v3, v153
	v_mul_f32_e32 v153, v4, v153
	s_waitcnt vmcnt(33) lgkmcnt(2)
	v_mul_f32_e32 v155, v185, v151
	v_mul_f32_e32 v151, v186, v151
	v_fmac_f32_e32 v143, v2, v149
	v_fma_f32 v149, v1, v149, -v152
	s_waitcnt vmcnt(32)
	v_mul_f32_e32 v152, v187, v150
	v_mul_f32_e32 v1, v188, v150
	ds_read_b128 v[5:8], v138 offset:752
	ds_read_b128 v[9:12], v138 offset:768
	v_fmac_f32_e32 v144, v4, v147
	v_fma_f32 v147, v3, v147, -v153
	s_waitcnt vmcnt(31) lgkmcnt(3)
	v_mul_f32_e32 v153, v189, v148
	s_waitcnt vmcnt(30)
	v_mul_f32_e32 v150, v191, v154
	v_mul_f32_e32 v2, v190, v148
	v_mul_f32_e32 v3, v192, v154
	v_fmac_f32_e32 v155, v186, v146
	v_fma_f32 v146, v185, v146, -v151
	s_waitcnt vmcnt(26)
	v_fmac_f32_e32 v152, v188, v166
	v_fma_f32 v148, v187, v166, -v1
	s_clause 0x7
	buffer_load_dword v151, off, s[0:3], 0 offset:348
	buffer_load_dword v154, off, s[0:3], 0 offset:352
	;; [unrolled: 1-line block ×8, first 2 shown]
	v_fmac_f32_e32 v153, v190, v161
	v_fmac_f32_e32 v150, v192, v159
	v_fma_f32 v161, v189, v161, -v2
	v_fma_f32 v159, v191, v159, -v3
	ds_read_b128 v[1:4], v138 offset:784
	s_waitcnt vmcnt(33) lgkmcnt(3)
	v_mul_f32_e32 v189, v193, v160
	v_mul_f32_e32 v160, v194, v160
	s_waitcnt vmcnt(32)
	v_mul_f32_e32 v191, v195, v158
	v_mul_f32_e32 v158, v196, v158
	buffer_load_dword v190, off, s[0:3], 0 offset:380
	v_fmac_f32_e32 v189, v194, v156
	v_fma_f32 v156, v193, v156, -v160
	s_waitcnt vmcnt(32) lgkmcnt(2)
	v_mul_f32_e32 v160, v5, v157
	s_waitcnt vmcnt(28)
	v_fmac_f32_e32 v191, v196, v172
	v_fma_f32 v158, v195, v172, -v158
	s_waitcnt vmcnt(27)
	v_mul_f32_e32 v172, v7, v171
	v_mul_f32_e32 v157, v6, v157
	;; [unrolled: 1-line block ×3, first 2 shown]
	s_waitcnt vmcnt(26) lgkmcnt(1)
	v_mul_f32_e32 v192, v9, v170
	v_mul_f32_e32 v170, v10, v170
	v_fmac_f32_e32 v160, v6, v169
	v_fmac_f32_e32 v172, v8, v168
	v_fma_f32 v157, v5, v169, -v157
	v_fma_f32 v168, v7, v168, -v171
	s_clause 0x4
	buffer_load_dword v169, off, s[0:3], 0 offset:388
	buffer_load_dword v171, off, s[0:3], 0 offset:400
	;; [unrolled: 1-line block ×5, first 2 shown]
	s_waitcnt vmcnt(30)
	v_mul_f32_e32 v196, v11, v167
	v_mul_f32_e32 v167, v12, v167
	v_fmac_f32_e32 v192, v10, v164
	v_fma_f32 v164, v9, v164, -v170
	s_waitcnt vmcnt(25) lgkmcnt(0)
	v_mul_f32_e32 v170, v1, v182
	v_mul_f32_e32 v9, v2, v182
	ds_read_b128 v[5:8], v138 offset:800
	v_fmac_f32_e32 v196, v12, v183
	v_fma_f32 v167, v11, v183, -v167
	s_clause 0x1
	buffer_load_dword v182, off, s[0:3], 0 offset:396
	buffer_load_dword v183, off, s[0:3], 0 offset:404
	v_fmac_f32_e32 v170, v2, v178
	v_fma_f32 v178, v1, v178, -v9
	v_add_f32_e32 v1, 0, v198
	s_waitcnt vmcnt(26)
	v_mul_f32_e32 v202, v3, v180
	v_mul_f32_e32 v10, v4, v180
	s_clause 0x2
	buffer_load_dword v180, off, s[0:3], 0 offset:412
	buffer_load_dword v203, off, s[0:3], 0 offset:420
	;; [unrolled: 1-line block ×3, first 2 shown]
	v_add_f32_e32 v1, v1, v199
	s_clause 0x6
	buffer_load_dword v198, off, s[0:3], 0 offset:436
	buffer_load_dword v205, off, s[0:3], 0 offset:444
	;; [unrolled: 1-line block ×7, first 2 shown]
	v_add_f32_e32 v1, v1, v200
	s_clause 0x4
	buffer_load_dword v200, off, s[0:3], 0 offset:484
	buffer_load_dword v210, off, s[0:3], 0 offset:432
	;; [unrolled: 1-line block ×5, first 2 shown]
	v_add_f32_e32 v2, 0, v139
	v_fmac_f32_e32 v202, v4, v177
	v_add_f32_e32 v1, v1, v145
	v_fma_f32 v177, v3, v177, -v10
	s_waitcnt vmcnt(40) lgkmcnt(0)
	v_mul_f32_e32 v3, v6, v184
	v_add_f32_e32 v2, v2, v140
	v_add_f32_e32 v1, v1, v143
	;; [unrolled: 1-line block ×6, first 2 shown]
	s_clause 0x6
	buffer_load_dword v155, off, s[0:3], 0 offset:464
	buffer_load_dword v214, off, s[0:3], 0 offset:456
	;; [unrolled: 1-line block ×7, first 2 shown]
	v_add_f32_e32 v2, v2, v149
	v_add_f32_e32 v1, v1, v152
	s_waitcnt vmcnt(46)
	v_mul_f32_e32 v152, v7, v179
	v_add_f32_e32 v2, v2, v147
	v_mul_f32_e32 v147, v5, v184
	v_add_f32_e32 v1, v1, v153
	s_waitcnt vmcnt(39)
	v_fmac_f32_e32 v152, v8, v181
	v_add_f32_e32 v2, v2, v146
	v_fmac_f32_e32 v147, v6, v162
	v_add_f32_e32 v1, v1, v150
	v_add_f32_e32 v2, v2, v148
	v_fma_f32 v148, v5, v162, -v3
	v_add_f32_e32 v6, v1, v189
	v_add_f32_e32 v2, v2, v161
	buffer_load_dword v161, off, s[0:3], 0 offset:152
	v_add_f32_e32 v10, v6, v191
	v_add_f32_e32 v2, v2, v159
	;; [unrolled: 1-line block ×4, first 2 shown]
	ds_read_b128 v[1:4], v138 offset:816
	v_add_f32_e32 v140, v140, v172
	v_add_f32_e32 v9, v5, v158
	v_mul_f32_e32 v5, v8, v179
	v_add_f32_e32 v139, v9, v157
	v_fma_f32 v153, v7, v181, -v5
	ds_read_b128 v[5:8], v138 offset:832
	ds_read_b128 v[9:12], v138 offset:848
	v_add_f32_e32 v139, v139, v168
	v_add_f32_e32 v143, v139, v164
	s_waitcnt lgkmcnt(2)
	v_mul_f32_e32 v141, v2, v175
	v_mul_f32_e32 v156, v1, v175
	;; [unrolled: 1-line block ×3, first 2 shown]
	v_fma_f32 v157, v1, v176, -v141
	v_add_f32_e32 v1, v140, v192
	v_fmac_f32_e32 v156, v2, v176
	v_add_f32_e32 v2, v143, v167
	ds_read_b128 v[139:142], v138 offset:864
	v_mul_f32_e32 v143, v4, v174
	v_add_f32_e32 v1, v1, v196
	s_waitcnt lgkmcnt(2)
	v_mul_f32_e32 v159, v5, v173
	v_mul_f32_e32 v144, v6, v173
	v_add_f32_e32 v2, v2, v178
	v_fmac_f32_e32 v158, v4, v165
	v_add_f32_e32 v1, v1, v170
	v_fmac_f32_e32 v159, v6, v163
	v_fma_f32 v163, v5, v163, -v144
	v_add_f32_e32 v5, v2, v177
	v_add_f32_e32 v6, v1, v202
	s_waitcnt vmcnt(38)
	v_mul_f32_e32 v160, v7, v151
	v_mul_f32_e32 v149, v8, v151
	s_waitcnt vmcnt(36) lgkmcnt(1)
	v_mul_f32_e32 v162, v9, v166
	v_mul_f32_e32 v150, v10, v166
	v_fma_f32 v151, v3, v165, -v143
	s_waitcnt vmcnt(33) lgkmcnt(0)
	v_mul_f32_e32 v167, v139, v187
	ds_read_b128 v[1:4], v138 offset:880
	ds_read_b128 v[143:146], v138 offset:896
	v_fmac_f32_e32 v162, v10, v154
	v_add_f32_e32 v10, v5, v148
	v_fma_f32 v165, v9, v154, -v150
	v_add_f32_e32 v9, v6, v147
	s_waitcnt vmcnt(31)
	v_fma_f32 v164, v7, v201, -v149
	v_fmac_f32_e32 v160, v8, v201
	v_add_f32_e32 v10, v10, v153
	v_mul_f32_e32 v153, v12, v186
	v_add_f32_e32 v9, v9, v152
	v_mul_f32_e32 v152, v140, v187
	v_mul_f32_e32 v166, v11, v186
	v_add_f32_e32 v10, v10, v157
	v_fma_f32 v170, v11, v185, -v153
	s_waitcnt vmcnt(30)
	v_mul_f32_e32 v157, v141, v190
	v_fma_f32 v172, v139, v188, -v152
	v_add_f32_e32 v139, v9, v156
	v_add_f32_e32 v156, v10, v151
	v_fmac_f32_e32 v166, v12, v185
	v_mul_f32_e32 v168, v142, v190
	v_fmac_f32_e32 v167, v140, v188
	v_add_f32_e32 v158, v139, v158
	v_add_f32_e32 v156, v156, v163
	s_waitcnt vmcnt(29) lgkmcnt(1)
	v_mul_f32_e32 v163, v2, v169
	ds_read_b128 v[5:8], v138 offset:912
	ds_read_b128 v[147:150], v138 offset:928
	;; [unrolled: 1-line block ×4, first 2 shown]
	v_add_f32_e32 v158, v158, v159
	v_add_f32_e32 v156, v156, v164
	s_waitcnt vmcnt(25)
	v_fmac_f32_e32 v157, v142, v195
	v_fma_f32 v142, v141, v195, -v168
	v_mul_f32_e32 v168, v1, v169
	v_add_f32_e32 v158, v158, v160
	v_add_f32_e32 v156, v156, v165
	v_fma_f32 v1, v1, v194, -v163
	ds_read_b128 v[138:141], v138 offset:976
	s_waitcnt vmcnt(24)
	v_mul_f32_e32 v169, v4, v182
	v_add_f32_e32 v158, v158, v162
	v_add_f32_e32 v156, v156, v170
	v_mul_f32_e32 v159, v3, v182
	v_fmac_f32_e32 v168, v2, v194
	v_fma_f32 v3, v3, v193, -v169
	v_add_f32_e32 v158, v158, v166
	v_add_f32_e32 v156, v156, v172
	s_waitcnt vmcnt(23) lgkmcnt(5)
	v_mul_f32_e32 v164, v143, v183
	v_fmac_f32_e32 v159, v4, v193
	s_waitcnt vmcnt(22)
	v_mul_f32_e32 v160, v145, v180
	v_add_f32_e32 v158, v158, v167
	v_add_f32_e32 v142, v156, v142
	v_fmac_f32_e32 v164, v144, v171
	s_waitcnt vmcnt(21) lgkmcnt(4)
	v_mul_f32_e32 v173, v5, v203
	s_waitcnt vmcnt(20)
	v_mul_f32_e32 v165, v7, v204
	v_add_f32_e32 v156, v158, v157
	v_mul_f32_e32 v157, v144, v183
	v_add_f32_e32 v1, v142, v1
	v_mul_f32_e32 v142, v146, v180
	s_waitcnt vmcnt(8)
	v_fmac_f32_e32 v160, v146, v213
	v_add_f32_e32 v4, v156, v168
	v_fma_f32 v143, v143, v171, -v157
	v_add_f32_e32 v1, v1, v3
	v_fma_f32 v142, v145, v213, -v142
	v_fmac_f32_e32 v173, v6, v212
	v_add_f32_e32 v3, v4, v159
	v_mul_f32_e32 v4, v6, v203
	v_add_f32_e32 v1, v1, v143
	v_mul_f32_e32 v143, v8, v204
	s_waitcnt lgkmcnt(3)
	v_mul_f32_e32 v162, v147, v198
	v_add_f32_e32 v3, v3, v164
	v_fma_f32 v4, v5, v212, -v4
	v_add_f32_e32 v1, v1, v142
	v_mul_f32_e32 v5, v148, v198
	v_fma_f32 v6, v7, v211, -v143
	v_add_f32_e32 v3, v3, v160
	v_fmac_f32_e32 v165, v8, v211
	v_add_f32_e32 v1, v1, v4
	v_mul_f32_e32 v4, v150, v205
	v_fma_f32 v5, v147, v210, -v5
	v_add_f32_e32 v3, v3, v173
	v_mul_f32_e32 v174, v149, v205
	v_add_f32_e32 v1, v1, v6
	v_fmac_f32_e32 v162, v148, v210
	s_waitcnt lgkmcnt(2)
	v_mul_f32_e32 v6, v10, v206
	v_add_f32_e32 v3, v3, v165
	s_waitcnt vmcnt(4)
	v_fma_f32 v4, v149, v216, -v4
	v_add_f32_e32 v1, v1, v5
	v_mul_f32_e32 v170, v9, v206
	v_fmac_f32_e32 v174, v150, v216
	v_add_f32_e32 v3, v3, v162
	v_mul_f32_e32 v5, v12, v199
	v_fma_f32 v6, v9, v215, -v6
	v_add_f32_e32 v1, v1, v4
	v_mul_f32_e32 v166, v11, v199
	v_fmac_f32_e32 v170, v10, v215
	v_add_f32_e32 v3, v3, v174
	s_waitcnt lgkmcnt(1)
	v_mul_f32_e32 v4, v152, v207
	v_fma_f32 v5, v11, v214, -v5
	v_add_f32_e32 v1, v1, v6
	v_mul_f32_e32 v175, v151, v207
	v_fmac_f32_e32 v166, v12, v214
	v_add_f32_e32 v3, v3, v170
	v_mul_f32_e32 v6, v154, v208
	v_fma_f32 v4, v151, v155, -v4
	v_add_f32_e32 v1, v1, v5
	v_mul_f32_e32 v172, v153, v208
	v_fmac_f32_e32 v175, v152, v155
	v_add_f32_e32 v3, v3, v166
	s_waitcnt lgkmcnt(0)
	v_mul_f32_e32 v5, v139, v200
	s_waitcnt vmcnt(1)
	v_fma_f32 v6, v153, v219, -v6
	v_add_f32_e32 v1, v1, v4
	v_mul_f32_e32 v167, v138, v200
	v_fmac_f32_e32 v172, v154, v219
	v_add_f32_e32 v3, v3, v175
	v_mul_f32_e32 v4, v141, v209
	v_fma_f32 v5, v138, v218, -v5
	v_add_f32_e32 v1, v1, v6
	v_mul_f32_e32 v2, v140, v209
	v_fmac_f32_e32 v167, v139, v218
	v_add_f32_e32 v3, v3, v172
	v_fma_f32 v4, v140, v217, -v4
	v_add_f32_e32 v1, v1, v5
	v_fmac_f32_e32 v2, v141, v217
	v_add_f32_e32 v3, v3, v167
	v_add_f32_e32 v1, v1, v4
	;; [unrolled: 1-line block ×3, first 2 shown]
	s_waitcnt vmcnt(0)
	v_sub_f32_e32 v1, v161, v1
	v_sub_f32_e32 v2, v197, v2
	buffer_store_dword v1, off, s[0:3], 0 offset:152
	buffer_store_dword v2, off, s[0:3], 0 offset:156
	v_cmpx_lt_u32_e32 18, v0
	s_cbranch_execz .LBB61_349
; %bb.348:
	s_clause 0x1
	buffer_load_dword v1, off, s[0:3], 0 offset:144
	buffer_load_dword v2, off, s[0:3], 0 offset:148
	v_mov_b32_e32 v3, 0
	buffer_store_dword v3, off, s[0:3], 0 offset:144
	buffer_store_dword v3, off, s[0:3], 0 offset:148
	s_waitcnt vmcnt(0)
	ds_write_b64 v137, v[1:2]
.LBB61_349:
	s_or_b32 exec_lo, exec_lo, s4
	s_waitcnt lgkmcnt(0)
	s_waitcnt_vscnt null, 0x0
	s_barrier
	buffer_gl0_inv
	s_clause 0x25
	buffer_load_dword v140, off, s[0:3], 0 offset:156
	buffer_load_dword v141, off, s[0:3], 0 offset:164
	;; [unrolled: 1-line block ×38, first 2 shown]
	v_mov_b32_e32 v138, 0
	ds_read2_b64 v[9:12], v138 offset0:81 offset1:82
	ds_read2_b64 v[1:4], v138 offset0:83 offset1:84
	s_clause 0x7
	buffer_load_dword v181, off, s[0:3], 0 offset:308
	buffer_load_dword v178, off, s[0:3], 0 offset:316
	buffer_load_dword v175, off, s[0:3], 0 offset:324
	buffer_load_dword v174, off, s[0:3], 0 offset:332
	buffer_load_dword v165, off, s[0:3], 0 offset:328
	buffer_load_dword v167, off, s[0:3], 0 offset:320
	buffer_load_dword v179, off, s[0:3], 0 offset:312
	buffer_load_dword v183, off, s[0:3], 0 offset:304
	ds_read2_b64 v[5:8], v138 offset0:85 offset1:86
	s_clause 0x9
	buffer_load_dword v176, off, s[0:3], 0 offset:340
	buffer_load_dword v163, off, s[0:3], 0 offset:344
	;; [unrolled: 1-line block ×10, first 2 shown]
	ds_read2_b64 v[188:191], v138 offset0:87 offset1:88
	s_mov_b32 s4, exec_lo
	s_waitcnt vmcnt(55) lgkmcnt(3)
	v_mul_f32_e32 v199, v9, v140
	v_mul_f32_e32 v140, v10, v140
	s_waitcnt vmcnt(54)
	v_mul_f32_e32 v200, v11, v141
	v_mul_f32_e32 v141, v12, v141
	s_waitcnt vmcnt(51)
	v_fmac_f32_e32 v199, v10, v146
	v_fma_f32 v146, v9, v146, -v140
	s_waitcnt vmcnt(50) lgkmcnt(2)
	v_mul_f32_e32 v201, v1, v145
	v_mul_f32_e32 v140, v2, v145
	v_fmac_f32_e32 v200, v12, v143
	v_fma_f32 v143, v11, v143, -v141
	ds_read2_b64 v[9:12], v138 offset0:89 offset1:90
	s_waitcnt vmcnt(49)
	v_mul_f32_e32 v145, v3, v144
	v_mul_f32_e32 v141, v4, v144
	v_fmac_f32_e32 v201, v2, v139
	v_fma_f32 v144, v1, v139, -v140
	s_waitcnt vmcnt(48) lgkmcnt(2)
	v_mul_f32_e32 v202, v5, v142
	v_mul_f32_e32 v139, v6, v142
	s_waitcnt vmcnt(44)
	v_fmac_f32_e32 v145, v4, v154
	v_fma_f32 v154, v3, v154, -v141
	ds_read2_b64 v[1:4], v138 offset0:91 offset1:92
	s_waitcnt vmcnt(43)
	v_mul_f32_e32 v203, v7, v152
	v_mul_f32_e32 v140, v8, v152
	v_fmac_f32_e32 v202, v6, v150
	v_fma_f32 v150, v5, v150, -v139
	s_waitcnt vmcnt(42) lgkmcnt(2)
	v_mul_f32_e32 v152, v188, v151
	v_fmac_f32_e32 v203, v8, v148
	v_fma_f32 v148, v7, v148, -v140
	ds_read2_b64 v[5:8], v138 offset0:93 offset1:94
	v_mul_f32_e32 v139, v189, v151
	s_waitcnt vmcnt(41)
	v_mul_f32_e32 v151, v190, v149
	v_mul_f32_e32 v140, v191, v149
	s_waitcnt vmcnt(40) lgkmcnt(2)
	v_mul_f32_e32 v149, v9, v153
	v_mul_f32_e32 v153, v10, v153
	v_fmac_f32_e32 v152, v189, v147
	v_fma_f32 v147, v188, v147, -v139
	s_waitcnt vmcnt(36)
	v_fmac_f32_e32 v151, v191, v162
	v_fma_f32 v162, v190, v162, -v140
	ds_read2_b64 v[139:142], v138 offset0:95 offset1:96
	s_waitcnt vmcnt(35)
	v_mul_f32_e32 v188, v11, v161
	v_mul_f32_e32 v161, v12, v161
	v_fmac_f32_e32 v149, v10, v158
	v_fma_f32 v153, v9, v158, -v153
	s_waitcnt vmcnt(34) lgkmcnt(2)
	v_mul_f32_e32 v158, v1, v159
	v_mul_f32_e32 v159, v2, v159
	v_fmac_f32_e32 v188, v12, v156
	v_fma_f32 v156, v11, v156, -v161
	ds_read2_b64 v[9:12], v138 offset0:97 offset1:98
	v_fmac_f32_e32 v158, v2, v155
	v_fma_f32 v155, v1, v155, -v159
	s_waitcnt vmcnt(32) lgkmcnt(2)
	v_mul_f32_e32 v159, v5, v160
	v_mul_f32_e32 v1, v6, v160
	;; [unrolled: 1-line block ×4, first 2 shown]
	s_waitcnt vmcnt(27)
	v_mul_f32_e32 v2, v8, v172
	v_fmac_f32_e32 v159, v6, v169
	v_add_f32_e32 v6, 0, v199
	v_fmac_f32_e32 v161, v4, v173
	v_fma_f32 v157, v3, v173, -v157
	v_mul_f32_e32 v173, v7, v172
	s_waitcnt vmcnt(26) lgkmcnt(1)
	v_mul_f32_e32 v160, v139, v171
	v_add_f32_e32 v6, v6, v200
	v_mul_f32_e32 v3, v140, v171
	s_waitcnt vmcnt(25)
	v_mul_f32_e32 v171, v141, v170
	v_mul_f32_e32 v4, v142, v170
	s_clause 0x6
	buffer_load_dword v170, off, s[0:3], 0 offset:380
	buffer_load_dword v172, off, s[0:3], 0 offset:392
	;; [unrolled: 1-line block ×7, first 2 shown]
	v_add_f32_e32 v6, v6, v201
	v_fma_f32 v169, v5, v169, -v1
	v_fmac_f32_e32 v160, v140, v166
	v_fma_f32 v139, v139, v166, -v3
	s_waitcnt vmcnt(27) lgkmcnt(0)
	v_mul_f32_e32 v166, v9, v185
	v_mul_f32_e32 v5, v10, v185
	v_add_f32_e32 v6, v6, v145
	v_fmac_f32_e32 v173, v8, v168
	v_fma_f32 v168, v7, v168, -v2
	v_fmac_f32_e32 v171, v142, v186
	v_fma_f32 v140, v141, v186, -v4
	buffer_load_dword v185, off, s[0:3], 0 offset:404
	s_waitcnt vmcnt(27)
	v_mul_f32_e32 v186, v11, v180
	v_fmac_f32_e32 v166, v10, v182
	v_fma_f32 v182, v9, v182, -v5
	v_add_f32_e32 v5, 0, v146
	v_mul_f32_e32 v7, v12, v180
	v_add_f32_e32 v6, v6, v202
	ds_read2_b64 v[1:4], v138 offset0:99 offset1:100
	s_clause 0x1
	buffer_load_dword v199, off, s[0:3], 0 offset:412
	buffer_load_dword v200, off, s[0:3], 0 offset:420
	v_add_f32_e32 v5, v5, v143
	buffer_load_dword v180, off, s[0:3], 0 offset:428
	v_fmac_f32_e32 v186, v12, v177
	v_fma_f32 v143, v11, v177, -v7
	s_clause 0x7
	buffer_load_dword v177, off, s[0:3], 0 offset:436
	buffer_load_dword v201, off, s[0:3], 0 offset:444
	;; [unrolled: 1-line block ×8, first 2 shown]
	v_add_f32_e32 v6, v6, v203
	s_clause 0x3
	buffer_load_dword v203, off, s[0:3], 0 offset:424
	buffer_load_dword v211, off, s[0:3], 0 offset:416
	;; [unrolled: 1-line block ×4, first 2 shown]
	v_add_f32_e32 v5, v5, v144
	s_clause 0x3
	buffer_load_dword v214, off, s[0:3], 0 offset:456
	buffer_load_dword v215, off, s[0:3], 0 offset:448
	;; [unrolled: 1-line block ×4, first 2 shown]
	v_add_f32_e32 v6, v6, v152
	v_add_f32_e32 v5, v5, v154
	;; [unrolled: 1-line block ×3, first 2 shown]
	s_waitcnt vmcnt(45) lgkmcnt(0)
	v_mul_f32_e32 v144, v1, v184
	v_add_f32_e32 v5, v5, v150
	v_mul_f32_e32 v7, v2, v184
	v_add_f32_e32 v6, v6, v149
	v_fmac_f32_e32 v144, v2, v164
	v_add_f32_e32 v5, v5, v148
	v_fma_f32 v145, v1, v164, -v7
	v_add_f32_e32 v6, v6, v188
	v_add_f32_e32 v5, v5, v147
	s_waitcnt vmcnt(44)
	v_mul_f32_e32 v147, v3, v181
	v_add_f32_e32 v6, v6, v158
	v_add_f32_e32 v5, v5, v162
	s_clause 0x4
	buffer_load_dword v162, off, s[0:3], 0 offset:488
	buffer_load_dword v188, off, s[0:3], 0 offset:480
	buffer_load_dword v218, off, s[0:3], 0 offset:472
	buffer_load_dword v219, off, s[0:3], 0 offset:464
	buffer_load_dword v220, off, s[0:3], 0 offset:144
	v_add_f32_e32 v1, v6, v161
	s_waitcnt vmcnt(42)
	v_fmac_f32_e32 v147, v4, v183
	v_add_f32_e32 v5, v5, v153
	v_add_f32_e32 v9, v1, v159
	v_mul_f32_e32 v1, v4, v181
	v_add_f32_e32 v5, v5, v156
	v_add_f32_e32 v141, v9, v173
	v_fma_f32 v148, v3, v183, -v1
	v_add_f32_e32 v5, v5, v155
	v_add_f32_e32 v141, v141, v160
	;; [unrolled: 1-line block ×3, first 2 shown]
	ds_read2_b64 v[5:8], v138 offset0:101 offset1:102
	v_add_f32_e32 v149, v141, v171
	v_add_f32_e32 v10, v2, v169
	ds_read2_b64 v[1:4], v138 offset0:103 offset1:104
	v_add_f32_e32 v142, v10, v168
	ds_read2_b64 v[9:12], v138 offset0:105 offset1:106
	v_add_f32_e32 v139, v142, v139
	s_waitcnt lgkmcnt(2)
	v_mul_f32_e32 v146, v6, v178
	v_mul_f32_e32 v151, v5, v178
	;; [unrolled: 1-line block ×3, first 2 shown]
	v_fma_f32 v152, v5, v179, -v146
	v_add_f32_e32 v5, v139, v140
	ds_read2_b64 v[139:142], v138 offset0:107 offset1:108
	v_fmac_f32_e32 v151, v6, v179
	v_add_f32_e32 v6, v149, v166
	s_waitcnt lgkmcnt(2)
	v_mul_f32_e32 v154, v1, v174
	v_add_f32_e32 v5, v5, v182
	v_mul_f32_e32 v149, v2, v174
	s_waitcnt vmcnt(39) lgkmcnt(1)
	v_mul_f32_e32 v158, v9, v192
	v_add_f32_e32 v6, v6, v186
	v_fmac_f32_e32 v154, v2, v165
	v_add_f32_e32 v5, v5, v143
	v_fma_f32 v156, v1, v165, -v149
	v_mul_f32_e32 v149, v10, v192
	v_add_f32_e32 v1, v6, v144
	v_mul_f32_e32 v146, v8, v175
	v_add_f32_e32 v2, v5, v145
	v_fmac_f32_e32 v158, v10, v163
	v_fma_f32 v160, v9, v163, -v149
	v_add_f32_e32 v10, v1, v147
	v_fma_f32 v155, v7, v167, -v146
	v_add_f32_e32 v9, v2, v148
	v_fmac_f32_e32 v153, v8, v167
	v_mul_f32_e32 v150, v4, v176
	v_add_f32_e32 v10, v10, v151
	s_waitcnt vmcnt(36) lgkmcnt(0)
	v_mul_f32_e32 v163, v139, v195
	v_add_f32_e32 v9, v9, v152
	v_mul_f32_e32 v152, v140, v195
	v_mul_f32_e32 v157, v3, v176
	v_add_f32_e32 v10, v10, v153
	s_waitcnt vmcnt(34)
	v_fma_f32 v159, v3, v197, -v150
	ds_read2_b64 v[5:8], v138 offset0:109 offset1:110
	ds_read2_b64 v[143:146], v138 offset0:111 offset1:112
	v_fma_f32 v167, v139, v196, -v152
	v_add_f32_e32 v139, v9, v155
	v_fmac_f32_e32 v157, v4, v197
	v_add_f32_e32 v168, v10, v154
	v_mul_f32_e32 v151, v12, v194
	v_mul_f32_e32 v161, v11, v194
	v_add_f32_e32 v169, v139, v156
	s_waitcnt vmcnt(33)
	v_mul_f32_e32 v165, v142, v198
	v_add_f32_e32 v157, v168, v157
	v_fma_f32 v166, v11, v193, -v151
	v_fmac_f32_e32 v161, v12, v193
	v_add_f32_e32 v159, v169, v159
	v_mul_f32_e32 v164, v141, v198
	v_add_f32_e32 v157, v157, v158
	v_fmac_f32_e32 v163, v140, v196
	ds_read2_b64 v[1:4], v138 offset0:113 offset1:114
	ds_read2_b64 v[147:150], v138 offset0:115 offset1:116
	v_add_f32_e32 v159, v159, v160
	ds_read2_b64 v[9:12], v138 offset0:117 offset1:118
	ds_read2_b64 v[151:154], v138 offset0:119 offset1:120
	v_add_f32_e32 v157, v157, v161
	v_add_f32_e32 v159, v159, v166
	;; [unrolled: 1-line block ×4, first 2 shown]
	s_waitcnt vmcnt(31) lgkmcnt(5)
	v_mul_f32_e32 v168, v5, v170
	v_mul_f32_e32 v170, v6, v170
	s_waitcnt vmcnt(27)
	v_fma_f32 v165, v141, v191, -v165
	v_fmac_f32_e32 v164, v142, v191
	s_waitcnt vmcnt(26)
	v_mul_f32_e32 v171, v8, v204
	v_fma_f32 v5, v5, v190, -v170
	v_mul_f32_e32 v169, v7, v204
	v_add_f32_e32 v159, v159, v165
	v_fmac_f32_e32 v168, v6, v190
	v_add_f32_e32 v157, v157, v164
	s_waitcnt vmcnt(25) lgkmcnt(4)
	v_mul_f32_e32 v170, v144, v205
	v_fma_f32 v7, v7, v189, -v171
	v_add_f32_e32 v5, v159, v5
	v_mul_f32_e32 v158, v143, v205
	v_fmac_f32_e32 v169, v8, v189
	v_add_f32_e32 v157, v157, v168
	s_waitcnt vmcnt(24)
	v_mul_f32_e32 v164, v146, v185
	v_fma_f32 v143, v143, v172, -v170
	v_add_f32_e32 v5, v5, v7
	v_mul_f32_e32 v160, v145, v185
	v_fmac_f32_e32 v158, v144, v172
	v_add_f32_e32 v7, v157, v169
	ds_read2_b64 v[139:142], v138 offset0:121 offset1:122
	ds_read_b64 v[155:156], v138 offset:984
	s_waitcnt vmcnt(23) lgkmcnt(5)
	v_mul_f32_e32 v6, v1, v199
	v_mul_f32_e32 v144, v2, v199
	v_add_f32_e32 v5, v5, v143
	v_add_f32_e32 v7, v7, v158
	s_waitcnt vmcnt(22)
	v_mul_f32_e32 v143, v4, v200
	v_mul_f32_e32 v161, v3, v200
	s_waitcnt vmcnt(21) lgkmcnt(4)
	v_mul_f32_e32 v166, v147, v180
	s_waitcnt vmcnt(20)
	v_mul_f32_e32 v8, v149, v177
	s_waitcnt vmcnt(19) lgkmcnt(3)
	v_mul_f32_e32 v171, v9, v201
	s_waitcnt vmcnt(10)
	v_fmac_f32_e32 v6, v2, v212
	s_waitcnt vmcnt(9)
	v_fma_f32 v145, v145, v213, -v164
	v_fmac_f32_e32 v160, v146, v213
	v_fma_f32 v1, v1, v212, -v144
	v_fma_f32 v3, v3, v211, -v143
	v_fmac_f32_e32 v161, v4, v211
	v_add_f32_e32 v2, v5, v145
	v_add_f32_e32 v5, v7, v160
	v_mul_f32_e32 v7, v148, v180
	v_mul_f32_e32 v4, v150, v177
	v_fmac_f32_e32 v166, v148, v203
	v_add_f32_e32 v1, v2, v1
	v_add_f32_e32 v2, v5, v6
	v_fma_f32 v5, v147, v203, -v7
	s_waitcnt vmcnt(5)
	v_fma_f32 v4, v149, v217, -v4
	v_fmac_f32_e32 v8, v150, v217
	v_add_f32_e32 v1, v1, v3
	v_add_f32_e32 v2, v2, v161
	v_mul_f32_e32 v3, v10, v201
	v_mul_f32_e32 v163, v11, v206
	v_fmac_f32_e32 v171, v10, v216
	v_add_f32_e32 v1, v1, v5
	v_add_f32_e32 v2, v2, v166
	v_mul_f32_e32 v5, v12, v206
	v_fma_f32 v3, v9, v216, -v3
	s_waitcnt lgkmcnt(2)
	v_mul_f32_e32 v167, v151, v207
	v_add_f32_e32 v1, v1, v4
	v_add_f32_e32 v2, v2, v8
	v_mul_f32_e32 v4, v152, v207
	v_fma_f32 v5, v11, v215, -v5
	v_fmac_f32_e32 v163, v12, v215
	v_add_f32_e32 v1, v1, v3
	v_add_f32_e32 v2, v2, v171
	v_mul_f32_e32 v3, v154, v208
	v_fma_f32 v4, v151, v214, -v4
	v_mul_f32_e32 v173, v153, v208
	v_add_f32_e32 v1, v1, v5
	v_fmac_f32_e32 v167, v152, v214
	v_add_f32_e32 v2, v2, v163
	s_waitcnt lgkmcnt(1)
	v_mul_f32_e32 v5, v140, v202
	s_waitcnt vmcnt(1)
	v_fma_f32 v3, v153, v219, -v3
	v_add_f32_e32 v1, v1, v4
	v_mul_f32_e32 v165, v139, v202
	v_fmac_f32_e32 v173, v154, v219
	v_add_f32_e32 v2, v2, v167
	v_mul_f32_e32 v4, v142, v209
	v_fma_f32 v5, v139, v218, -v5
	v_add_f32_e32 v1, v1, v3
	v_mul_f32_e32 v174, v141, v209
	v_fmac_f32_e32 v165, v140, v218
	v_add_f32_e32 v2, v2, v173
	s_waitcnt lgkmcnt(0)
	v_mul_f32_e32 v3, v156, v210
	v_fma_f32 v4, v141, v188, -v4
	v_add_f32_e32 v1, v1, v5
	v_mul_f32_e32 v159, v155, v210
	v_fmac_f32_e32 v174, v142, v188
	v_add_f32_e32 v2, v2, v165
	v_fma_f32 v3, v155, v162, -v3
	v_add_f32_e32 v1, v1, v4
	v_fmac_f32_e32 v159, v156, v162
	v_add_f32_e32 v2, v2, v174
	v_add_f32_e32 v1, v1, v3
	;; [unrolled: 1-line block ×3, first 2 shown]
	s_waitcnt vmcnt(0)
	v_sub_f32_e32 v1, v220, v1
	v_sub_f32_e32 v2, v187, v2
	buffer_store_dword v1, off, s[0:3], 0 offset:144
	buffer_store_dword v2, off, s[0:3], 0 offset:148
	v_cmpx_lt_u32_e32 17, v0
	s_cbranch_execz .LBB61_351
; %bb.350:
	s_clause 0x1
	buffer_load_dword v1, off, s[0:3], 0 offset:136
	buffer_load_dword v2, off, s[0:3], 0 offset:140
	buffer_store_dword v138, off, s[0:3], 0 offset:136
	buffer_store_dword v138, off, s[0:3], 0 offset:140
	s_waitcnt vmcnt(0)
	ds_write_b64 v137, v[1:2]
.LBB61_351:
	s_or_b32 exec_lo, exec_lo, s4
	s_waitcnt lgkmcnt(0)
	s_waitcnt_vscnt null, 0x0
	s_barrier
	buffer_gl0_inv
	s_clause 0x2b
	buffer_load_dword v161, off, s[0:3], 0 offset:148
	buffer_load_dword v162, off, s[0:3], 0 offset:156
	;; [unrolled: 1-line block ×44, first 2 shown]
	ds_read_b128 v[9:12], v138 offset:640
	s_clause 0x1
	buffer_load_dword v187, off, s[0:3], 0 offset:316
	buffer_load_dword v181, off, s[0:3], 0 offset:324
	ds_read_b128 v[5:8], v138 offset:656
	ds_read_b128 v[1:4], v138 offset:672
	s_clause 0x7
	buffer_load_dword v182, off, s[0:3], 0 offset:332
	buffer_load_dword v171, off, s[0:3], 0 offset:340
	;; [unrolled: 1-line block ×8, first 2 shown]
	ds_read_b128 v[188:191], v138 offset:688
	buffer_load_dword v199, off, s[0:3], 0 offset:140
	s_mov_b32 s4, exec_lo
	s_waitcnt vmcnt(54) lgkmcnt(3)
	v_mul_f32_e32 v197, v9, v161
	s_waitcnt vmcnt(53)
	v_mul_f32_e32 v198, v11, v162
	v_mul_f32_e32 v161, v10, v161
	;; [unrolled: 1-line block ×3, first 2 shown]
	s_waitcnt vmcnt(50)
	v_fmac_f32_e32 v197, v10, v145
	v_fmac_f32_e32 v198, v12, v144
	v_fma_f32 v145, v9, v145, -v161
	v_fma_f32 v144, v11, v144, -v162
	ds_read_b128 v[9:12], v138 offset:704
	s_waitcnt vmcnt(49) lgkmcnt(3)
	v_mul_f32_e32 v161, v5, v142
	v_mul_f32_e32 v142, v6, v142
	s_waitcnt vmcnt(48)
	v_mul_f32_e32 v162, v7, v141
	v_mul_f32_e32 v141, v8, v141
	s_waitcnt vmcnt(47) lgkmcnt(2)
	v_mul_f32_e32 v200, v1, v140
	v_fmac_f32_e32 v161, v6, v139
	v_fma_f32 v201, v5, v139, -v142
	s_waitcnt vmcnt(46)
	v_mul_f32_e32 v202, v3, v143
	v_mul_f32_e32 v139, v2, v140
	;; [unrolled: 1-line block ×3, first 2 shown]
	s_waitcnt vmcnt(42)
	v_fmac_f32_e32 v162, v8, v151
	v_fma_f32 v143, v7, v151, -v141
	ds_read_b128 v[5:8], v138 offset:720
	v_fmac_f32_e32 v200, v2, v150
	v_fmac_f32_e32 v202, v4, v148
	v_fma_f32 v150, v1, v150, -v139
	v_fma_f32 v148, v3, v148, -v140
	ds_read_b128 v[1:4], v138 offset:736
	s_waitcnt vmcnt(41) lgkmcnt(3)
	v_mul_f32_e32 v151, v188, v149
	v_mul_f32_e32 v139, v189, v149
	s_waitcnt vmcnt(40)
	v_mul_f32_e32 v149, v190, v147
	v_mul_f32_e32 v140, v191, v147
	s_waitcnt vmcnt(39) lgkmcnt(2)
	v_mul_f32_e32 v147, v9, v152
	v_fmac_f32_e32 v151, v189, v146
	v_fma_f32 v146, v188, v146, -v139
	s_waitcnt vmcnt(34)
	v_fmac_f32_e32 v149, v191, v159
	v_fma_f32 v159, v190, v159, -v140
	ds_read_b128 v[139:142], v138 offset:752
	v_mul_f32_e32 v188, v11, v153
	v_mul_f32_e32 v153, v12, v153
	;; [unrolled: 1-line block ×3, first 2 shown]
	v_fmac_f32_e32 v147, v10, v158
	s_waitcnt vmcnt(32) lgkmcnt(2)
	v_mul_f32_e32 v189, v7, v155
	v_fmac_f32_e32 v188, v12, v156
	v_fma_f32 v153, v11, v156, -v153
	v_mul_f32_e32 v156, v5, v157
	v_mul_f32_e32 v157, v6, v157
	;; [unrolled: 1-line block ×3, first 2 shown]
	v_fma_f32 v152, v9, v158, -v152
	ds_read_b128 v[9:12], v138 offset:768
	v_fmac_f32_e32 v156, v6, v154
	v_fma_f32 v154, v5, v154, -v157
	s_waitcnt vmcnt(31) lgkmcnt(2)
	v_mul_f32_e32 v157, v1, v160
	v_mul_f32_e32 v5, v2, v160
	buffer_load_dword v158, off, s[0:3], 0 offset:364
	s_waitcnt vmcnt(28)
	v_fmac_f32_e32 v189, v8, v175
	v_fma_f32 v155, v7, v175, -v155
	s_clause 0x3
	buffer_load_dword v160, off, s[0:3], 0 offset:384
	buffer_load_dword v175, off, s[0:3], 0 offset:376
	;; [unrolled: 1-line block ×4, first 2 shown]
	s_waitcnt vmcnt(31)
	v_mul_f32_e32 v203, v3, v174
	v_mul_f32_e32 v6, v4, v174
	v_fmac_f32_e32 v157, v2, v169
	v_fma_f32 v169, v1, v169, -v5
	s_waitcnt vmcnt(30) lgkmcnt(1)
	v_mul_f32_e32 v174, v139, v166
	s_waitcnt vmcnt(29)
	v_mul_f32_e32 v204, v141, v167
	v_mul_f32_e32 v1, v140, v166
	;; [unrolled: 1-line block ×3, first 2 shown]
	s_clause 0x2
	buffer_load_dword v166, off, s[0:3], 0 offset:372
	buffer_load_dword v167, off, s[0:3], 0 offset:380
	;; [unrolled: 1-line block ×3, first 2 shown]
	v_fmac_f32_e32 v203, v4, v165
	v_fma_f32 v165, v3, v165, -v6
	v_fmac_f32_e32 v174, v140, v163
	v_fma_f32 v139, v139, v163, -v1
	s_waitcnt vmcnt(28)
	v_fma_f32 v140, v141, v186, -v2
	ds_read_b128 v[1:4], v138 offset:784
	s_waitcnt vmcnt(27) lgkmcnt(1)
	v_mul_f32_e32 v5, v10, v184
	v_add_f32_e32 v6, 0, v197
	v_fmac_f32_e32 v204, v142, v186
	v_add_f32_e32 v7, 0, v145
	v_mul_f32_e32 v141, v9, v184
	v_fma_f32 v142, v9, v180, -v5
	v_add_f32_e32 v5, v6, v198
	s_waitcnt vmcnt(26)
	v_mul_f32_e32 v163, v11, v183
	v_add_f32_e32 v6, v7, v144
	v_mul_f32_e32 v8, v12, v183
	v_fmac_f32_e32 v141, v10, v180
	v_add_f32_e32 v5, v5, v161
	s_clause 0x3
	buffer_load_dword v180, off, s[0:3], 0 offset:396
	buffer_load_dword v183, off, s[0:3], 0 offset:404
	;; [unrolled: 1-line block ×4, first 2 shown]
	v_add_f32_e32 v6, v6, v201
	v_fmac_f32_e32 v163, v12, v178
	v_fma_f32 v144, v11, v178, -v8
	v_add_f32_e32 v5, v5, v162
	s_clause 0x3
	buffer_load_dword v161, off, s[0:3], 0 offset:428
	buffer_load_dword v178, off, s[0:3], 0 offset:436
	;; [unrolled: 1-line block ×4, first 2 shown]
	v_add_f32_e32 v6, v6, v143
	s_waitcnt vmcnt(33) lgkmcnt(0)
	v_mul_f32_e32 v143, v1, v176
	v_mul_f32_e32 v7, v2, v176
	v_add_f32_e32 v5, v5, v200
	s_clause 0x3
	buffer_load_dword v162, off, s[0:3], 0 offset:460
	buffer_load_dword v201, off, s[0:3], 0 offset:468
	;; [unrolled: 1-line block ×4, first 2 shown]
	v_add_f32_e32 v6, v6, v150
	buffer_load_dword v176, off, s[0:3], 0 offset:492
	v_fmac_f32_e32 v143, v2, v172
	v_fma_f32 v145, v1, v172, -v7
	v_add_f32_e32 v5, v5, v202
	s_clause 0x3
	buffer_load_dword v172, off, s[0:3], 0 offset:416
	buffer_load_dword v200, off, s[0:3], 0 offset:408
	;; [unrolled: 1-line block ×4, first 2 shown]
	v_add_f32_e32 v1, v6, v148
	v_add_f32_e32 v5, v5, v151
	;; [unrolled: 1-line block ×3, first 2 shown]
	s_waitcnt vmcnt(41)
	v_mul_f32_e32 v146, v3, v170
	v_mul_f32_e32 v1, v4, v170
	v_add_f32_e32 v5, v5, v149
	v_add_f32_e32 v6, v6, v159
	s_waitcnt vmcnt(37)
	v_fmac_f32_e32 v146, v4, v185
	v_fma_f32 v148, v3, v185, -v1
	ds_read_b128 v[1:4], v138 offset:800
	s_clause 0x3
	buffer_load_dword v159, off, s[0:3], 0 offset:448
	buffer_load_dword v170, off, s[0:3], 0 offset:440
	;; [unrolled: 1-line block ×4, first 2 shown]
	v_add_f32_e32 v6, v6, v152
	v_add_f32_e32 v5, v5, v147
	;; [unrolled: 1-line block ×4, first 2 shown]
	ds_read_b128 v[5:8], v138 offset:816
	v_add_f32_e32 v9, v9, v154
	v_add_f32_e32 v10, v10, v156
	s_waitcnt vmcnt(40) lgkmcnt(1)
	v_mul_f32_e32 v147, v1, v179
	v_mul_f32_e32 v11, v2, v179
	s_waitcnt vmcnt(39)
	v_mul_f32_e32 v151, v3, v187
	v_fmac_f32_e32 v147, v2, v177
	v_fma_f32 v149, v1, v177, -v11
	v_add_f32_e32 v1, v9, v155
	s_clause 0x3
	buffer_load_dword v155, off, s[0:3], 0 offset:480
	buffer_load_dword v156, off, s[0:3], 0 offset:472
	buffer_load_dword v177, off, s[0:3], 0 offset:464
	buffer_load_dword v179, off, s[0:3], 0 offset:456
	v_add_f32_e32 v2, v10, v189
	v_mul_f32_e32 v9, v4, v187
	v_fmac_f32_e32 v151, v4, v173
	v_add_f32_e32 v1, v1, v169
	buffer_load_dword v169, off, s[0:3], 0 offset:488
	v_add_f32_e32 v2, v2, v157
	buffer_load_dword v157, off, s[0:3], 0 offset:136
	v_fma_f32 v152, v3, v173, -v9
	v_add_f32_e32 v1, v1, v165
	s_waitcnt vmcnt(44) lgkmcnt(0)
	v_mul_f32_e32 v153, v5, v181
	v_add_f32_e32 v10, v2, v203
	s_waitcnt vmcnt(43)
	v_mul_f32_e32 v154, v7, v182
	v_mul_f32_e32 v165, v8, v182
	v_add_f32_e32 v139, v1, v139
	ds_read_b128 v[1:4], v138 offset:832
	v_add_f32_e32 v150, v10, v174
	ds_read_b128 v[9:12], v138 offset:848
	v_fmac_f32_e32 v153, v6, v164
	v_add_f32_e32 v139, v139, v140
	v_mul_f32_e32 v140, v6, v181
	v_add_f32_e32 v150, v150, v204
	s_waitcnt vmcnt(36)
	v_fmac_f32_e32 v154, v8, v196
	v_fma_f32 v165, v7, v196, -v165
	v_add_f32_e32 v173, v139, v142
	v_fma_f32 v164, v5, v164, -v140
	v_add_f32_e32 v150, v150, v141
	ds_read_b128 v[5:8], v138 offset:864
	ds_read_b128 v[139:142], v138 offset:880
	v_add_f32_e32 v144, v173, v144
	v_add_f32_e32 v150, v150, v163
	;; [unrolled: 1-line block ×3, first 2 shown]
	s_waitcnt lgkmcnt(3)
	v_mul_f32_e32 v173, v1, v171
	v_add_f32_e32 v143, v150, v143
	v_mul_f32_e32 v171, v2, v171
	v_mul_f32_e32 v163, v3, v168
	v_add_f32_e32 v148, v144, v148
	v_mul_f32_e32 v168, v4, v168
	v_add_f32_e32 v182, v143, v146
	v_fma_f32 v171, v1, v195, -v171
	v_fmac_f32_e32 v173, v2, v195
	v_add_f32_e32 v188, v148, v149
	s_waitcnt lgkmcnt(2)
	v_mul_f32_e32 v150, v10, v192
	v_add_f32_e32 v182, v182, v147
	v_fma_f32 v168, v3, v194, -v168
	v_mul_f32_e32 v174, v9, v192
	v_add_f32_e32 v152, v188, v152
	v_fmac_f32_e32 v163, v4, v194
	v_add_f32_e32 v151, v182, v151
	v_fma_f32 v187, v9, v193, -v150
	v_fmac_f32_e32 v174, v10, v193
	ds_read_b128 v[1:4], v138 offset:896
	ds_read_b128 v[143:146], v138 offset:912
	v_add_f32_e32 v151, v151, v153
	s_waitcnt vmcnt(34)
	v_mul_f32_e32 v181, v11, v158
	v_mul_f32_e32 v158, v12, v158
	s_waitcnt vmcnt(30)
	v_fmac_f32_e32 v181, v12, v191
	v_fma_f32 v158, v11, v191, -v158
	ds_read_b128 v[9:12], v138 offset:928
	ds_read_b128 v[147:150], v138 offset:944
	s_waitcnt vmcnt(29) lgkmcnt(5)
	v_mul_f32_e32 v188, v5, v166
	v_mul_f32_e32 v166, v6, v166
	s_waitcnt vmcnt(28)
	v_mul_f32_e32 v182, v7, v167
	v_mul_f32_e32 v167, v8, v167
	v_fmac_f32_e32 v188, v6, v190
	v_add_f32_e32 v6, v152, v164
	v_fma_f32 v164, v5, v190, -v166
	v_fma_f32 v166, v7, v175, -v167
	v_add_f32_e32 v167, v151, v154
	v_fmac_f32_e32 v182, v8, v175
	v_add_f32_e32 v165, v6, v165
	ds_read_b128 v[5:8], v138 offset:960
	ds_read_b128 v[151:154], v138 offset:976
	s_waitcnt vmcnt(27) lgkmcnt(6)
	v_mul_f32_e32 v138, v139, v205
	v_add_f32_e32 v167, v167, v173
	v_add_f32_e32 v165, v165, v171
	v_mul_f32_e32 v171, v140, v205
	s_waitcnt vmcnt(26)
	v_mul_f32_e32 v175, v142, v180
	v_add_f32_e32 v163, v167, v163
	v_mul_f32_e32 v173, v141, v180
	v_add_f32_e32 v165, v165, v168
	v_fma_f32 v139, v139, v160, -v171
	v_fmac_f32_e32 v138, v140, v160
	v_add_f32_e32 v163, v163, v174
	s_waitcnt vmcnt(25) lgkmcnt(5)
	v_mul_f32_e32 v168, v1, v183
	v_add_f32_e32 v165, v165, v187
	s_waitcnt vmcnt(24)
	v_mul_f32_e32 v167, v3, v184
	s_waitcnt vmcnt(23) lgkmcnt(4)
	v_mul_f32_e32 v180, v143, v186
	v_add_f32_e32 v163, v163, v181
	s_waitcnt vmcnt(22)
	v_mul_f32_e32 v187, v145, v161
	v_add_f32_e32 v158, v165, v158
	s_waitcnt vmcnt(21) lgkmcnt(3)
	v_mul_f32_e32 v174, v9, v178
	s_waitcnt vmcnt(20)
	v_mul_f32_e32 v189, v11, v197
	v_add_f32_e32 v163, v163, v188
	s_waitcnt vmcnt(12)
	v_fmac_f32_e32 v167, v4, v200
	v_add_f32_e32 v158, v158, v164
	s_waitcnt vmcnt(10)
	v_fma_f32 v141, v141, v208, -v175
	v_fmac_f32_e32 v173, v142, v208
	v_add_f32_e32 v160, v163, v182
	v_mul_f32_e32 v163, v2, v183
	v_add_f32_e32 v158, v158, v166
	v_mul_f32_e32 v142, v4, v184
	v_fmac_f32_e32 v168, v2, v202
	v_add_f32_e32 v138, v160, v138
	v_fma_f32 v1, v1, v202, -v163
	v_add_f32_e32 v139, v158, v139
	v_fma_f32 v3, v3, v200, -v142
	v_mul_f32_e32 v4, v146, v161
	v_add_f32_e32 v138, v138, v173
	v_fmac_f32_e32 v180, v144, v172
	v_add_f32_e32 v2, v139, v141
	v_mul_f32_e32 v139, v144, v186
	s_waitcnt vmcnt(6)
	v_fma_f32 v4, v145, v209, -v4
	v_fmac_f32_e32 v187, v146, v209
	v_fmac_f32_e32 v174, v10, v185
	v_add_f32_e32 v1, v2, v1
	v_add_f32_e32 v2, v138, v168
	v_fma_f32 v138, v143, v172, -v139
	s_waitcnt lgkmcnt(2)
	v_mul_f32_e32 v165, v147, v198
	v_fmac_f32_e32 v189, v12, v170
	v_add_f32_e32 v1, v1, v3
	v_add_f32_e32 v2, v2, v167
	v_mul_f32_e32 v3, v10, v178
	v_mul_f32_e32 v181, v149, v162
	v_fmac_f32_e32 v165, v148, v159
	v_add_f32_e32 v1, v1, v138
	v_add_f32_e32 v2, v2, v180
	v_mul_f32_e32 v138, v12, v197
	v_fma_f32 v3, v9, v185, -v3
	s_waitcnt lgkmcnt(1)
	v_mul_f32_e32 v190, v5, v201
	v_add_f32_e32 v1, v1, v4
	v_add_f32_e32 v2, v2, v187
	v_mul_f32_e32 v4, v148, v198
	v_fma_f32 v9, v11, v170, -v138
	v_mul_f32_e32 v164, v7, v206
	v_add_f32_e32 v1, v1, v3
	v_add_f32_e32 v2, v2, v174
	v_mul_f32_e32 v3, v150, v162
	v_fma_f32 v4, v147, v159, -v4
	s_waitcnt vmcnt(2)
	v_fmac_f32_e32 v181, v150, v179
	v_add_f32_e32 v1, v1, v9
	v_add_f32_e32 v2, v2, v189
	v_mul_f32_e32 v9, v6, v201
	v_fma_f32 v3, v149, v179, -v3
	v_fmac_f32_e32 v190, v6, v177
	v_add_f32_e32 v1, v1, v4
	v_add_f32_e32 v2, v2, v165
	v_mul_f32_e32 v4, v8, v206
	v_fma_f32 v5, v5, v177, -v9
	s_waitcnt lgkmcnt(0)
	v_mul_f32_e32 v188, v151, v207
	v_add_f32_e32 v1, v1, v3
	v_add_f32_e32 v2, v2, v181
	v_mul_f32_e32 v3, v152, v207
	v_fma_f32 v4, v7, v156, -v4
	v_fmac_f32_e32 v164, v8, v156
	v_add_f32_e32 v1, v1, v5
	v_add_f32_e32 v2, v2, v190
	v_mul_f32_e32 v5, v154, v176
	v_fma_f32 v3, v151, v155, -v3
	v_mul_f32_e32 v140, v153, v176
	v_add_f32_e32 v1, v1, v4
	v_fmac_f32_e32 v188, v152, v155
	v_add_f32_e32 v2, v2, v164
	s_waitcnt vmcnt(1)
	v_fma_f32 v4, v153, v169, -v5
	v_fmac_f32_e32 v140, v154, v169
	v_add_f32_e32 v1, v1, v3
	v_add_f32_e32 v2, v2, v188
	;; [unrolled: 1-line block ×4, first 2 shown]
	s_waitcnt vmcnt(0)
	v_sub_f32_e32 v1, v157, v1
	v_sub_f32_e32 v2, v199, v2
	buffer_store_dword v1, off, s[0:3], 0 offset:136
	buffer_store_dword v2, off, s[0:3], 0 offset:140
	v_cmpx_lt_u32_e32 16, v0
	s_cbranch_execz .LBB61_353
; %bb.352:
	s_clause 0x1
	buffer_load_dword v1, off, s[0:3], 0 offset:128
	buffer_load_dword v2, off, s[0:3], 0 offset:132
	v_mov_b32_e32 v3, 0
	buffer_store_dword v3, off, s[0:3], 0 offset:128
	buffer_store_dword v3, off, s[0:3], 0 offset:132
	s_waitcnt vmcnt(0)
	ds_write_b64 v137, v[1:2]
.LBB61_353:
	s_or_b32 exec_lo, exec_lo, s4
	s_waitcnt lgkmcnt(0)
	s_waitcnt_vscnt null, 0x0
	s_barrier
	buffer_gl0_inv
	s_clause 0x2b
	buffer_load_dword v140, off, s[0:3], 0 offset:140
	buffer_load_dword v141, off, s[0:3], 0 offset:148
	;; [unrolled: 1-line block ×44, first 2 shown]
	v_mov_b32_e32 v138, 0
	ds_read2_b64 v[9:12], v138 offset0:79 offset1:80
	ds_read2_b64 v[5:8], v138 offset0:81 offset1:82
	s_clause 0x1
	buffer_load_dword v187, off, s[0:3], 0 offset:308
	buffer_load_dword v182, off, s[0:3], 0 offset:316
	ds_read2_b64 v[1:4], v138 offset0:83 offset1:84
	s_clause 0x9
	buffer_load_dword v181, off, s[0:3], 0 offset:324
	buffer_load_dword v169, off, s[0:3], 0 offset:332
	;; [unrolled: 1-line block ×10, first 2 shown]
	ds_read2_b64 v[189:192], v138 offset0:85 offset1:86
	s_mov_b32 s4, exec_lo
	s_waitcnt vmcnt(55) lgkmcnt(3)
	v_mul_f32_e32 v199, v9, v140
	v_mul_f32_e32 v140, v10, v140
	s_waitcnt vmcnt(54)
	v_mul_f32_e32 v200, v11, v141
	v_mul_f32_e32 v141, v12, v141
	s_waitcnt vmcnt(51)
	v_fmac_f32_e32 v199, v10, v146
	v_fma_f32 v146, v9, v146, -v140
	s_waitcnt vmcnt(50) lgkmcnt(2)
	v_mul_f32_e32 v201, v5, v145
	v_mul_f32_e32 v140, v6, v145
	v_fmac_f32_e32 v200, v12, v142
	v_fma_f32 v145, v11, v142, -v141
	ds_read2_b64 v[9:12], v138 offset0:87 offset1:88
	s_waitcnt vmcnt(49)
	v_mul_f32_e32 v202, v7, v143
	v_mul_f32_e32 v141, v8, v143
	v_fmac_f32_e32 v201, v6, v139
	v_fma_f32 v143, v5, v139, -v140
	s_waitcnt vmcnt(48) lgkmcnt(2)
	v_mul_f32_e32 v203, v1, v144
	v_mul_f32_e32 v139, v2, v144
	s_waitcnt vmcnt(44)
	v_fmac_f32_e32 v202, v8, v153
	v_fma_f32 v144, v7, v153, -v141
	ds_read2_b64 v[5:8], v138 offset0:89 offset1:90
	s_waitcnt vmcnt(43)
	v_mul_f32_e32 v153, v3, v152
	v_mul_f32_e32 v140, v4, v152
	v_fmac_f32_e32 v203, v2, v150
	v_fma_f32 v150, v1, v150, -v139
	s_waitcnt vmcnt(42) lgkmcnt(2)
	v_mul_f32_e32 v152, v189, v151
	v_mul_f32_e32 v139, v190, v151
	v_fmac_f32_e32 v153, v4, v148
	v_fma_f32 v148, v3, v148, -v140
	ds_read2_b64 v[1:4], v138 offset0:91 offset1:92
	s_waitcnt vmcnt(41)
	v_mul_f32_e32 v151, v191, v149
	v_mul_f32_e32 v140, v192, v149
	v_fmac_f32_e32 v152, v190, v147
	v_fma_f32 v147, v189, v147, -v139
	s_waitcnt vmcnt(40) lgkmcnt(2)
	v_mul_f32_e32 v149, v9, v154
	s_waitcnt vmcnt(36)
	v_fmac_f32_e32 v151, v192, v161
	v_fma_f32 v161, v191, v161, -v140
	ds_read2_b64 v[139:142], v138 offset0:93 offset1:94
	v_mul_f32_e32 v154, v10, v154
	s_waitcnt vmcnt(35)
	v_mul_f32_e32 v189, v11, v160
	v_mul_f32_e32 v160, v12, v160
	v_fmac_f32_e32 v149, v10, v158
	v_fma_f32 v154, v9, v158, -v154
	s_waitcnt vmcnt(34) lgkmcnt(2)
	v_mul_f32_e32 v158, v5, v159
	v_mul_f32_e32 v159, v6, v159
	v_fmac_f32_e32 v189, v12, v156
	v_fma_f32 v156, v11, v156, -v160
	s_waitcnt vmcnt(33)
	v_mul_f32_e32 v160, v7, v157
	v_mul_f32_e32 v157, v8, v157
	v_fmac_f32_e32 v158, v6, v155
	v_fma_f32 v155, v5, v155, -v159
	s_waitcnt vmcnt(32) lgkmcnt(1)
	v_mul_f32_e32 v159, v1, v162
	v_mul_f32_e32 v5, v2, v162
	ds_read2_b64 v[9:12], v138 offset0:95 offset1:96
	s_waitcnt vmcnt(28)
	v_fmac_f32_e32 v160, v8, v175
	v_fma_f32 v157, v7, v175, -v157
	s_clause 0x3
	buffer_load_dword v162, off, s[0:3], 0 offset:376
	buffer_load_dword v175, off, s[0:3], 0 offset:368
	;; [unrolled: 1-line block ×4, first 2 shown]
	s_waitcnt vmcnt(31)
	v_mul_f32_e32 v192, v3, v173
	v_mul_f32_e32 v6, v4, v173
	v_fmac_f32_e32 v159, v2, v171
	v_fma_f32 v171, v1, v171, -v5
	s_waitcnt vmcnt(30) lgkmcnt(1)
	v_mul_f32_e32 v173, v139, v167
	s_waitcnt vmcnt(29)
	v_mul_f32_e32 v204, v141, v168
	v_mul_f32_e32 v1, v140, v167
	;; [unrolled: 1-line block ×3, first 2 shown]
	s_clause 0x2
	buffer_load_dword v167, off, s[0:3], 0 offset:364
	buffer_load_dword v168, off, s[0:3], 0 offset:372
	;; [unrolled: 1-line block ×3, first 2 shown]
	v_fmac_f32_e32 v192, v4, v165
	v_fma_f32 v165, v3, v165, -v6
	v_fmac_f32_e32 v173, v140, v164
	v_fma_f32 v139, v139, v164, -v1
	s_waitcnt vmcnt(28)
	v_fma_f32 v140, v141, v186, -v2
	ds_read2_b64 v[1:4], v138 offset0:97 offset1:98
	v_add_f32_e32 v5, 0, v199
	s_waitcnt vmcnt(27) lgkmcnt(1)
	v_mul_f32_e32 v6, v10, v183
	v_add_f32_e32 v8, 0, v146
	v_fmac_f32_e32 v204, v142, v186
	v_mul_f32_e32 v141, v9, v183
	v_add_f32_e32 v5, v5, v200
	v_fma_f32 v146, v9, v180, -v6
	v_add_f32_e32 v6, v8, v145
	s_waitcnt vmcnt(26)
	v_mul_f32_e32 v142, v11, v184
	v_mul_f32_e32 v7, v12, v184
	v_add_f32_e32 v5, v5, v201
	v_fmac_f32_e32 v141, v10, v180
	v_add_f32_e32 v6, v6, v143
	v_fmac_f32_e32 v142, v12, v179
	v_fma_f32 v164, v11, v179, -v7
	v_add_f32_e32 v5, v5, v202
	s_clause 0x7
	buffer_load_dword v179, off, s[0:3], 0 offset:388
	buffer_load_dword v180, off, s[0:3], 0 offset:396
	;; [unrolled: 1-line block ×8, first 2 shown]
	v_add_f32_e32 v6, v6, v144
	s_clause 0x1
	buffer_load_dword v202, off, s[0:3], 0 offset:420
	buffer_load_dword v206, off, s[0:3], 0 offset:428
	s_waitcnt vmcnt(35) lgkmcnt(0)
	v_mul_f32_e32 v143, v1, v176
	v_mul_f32_e32 v7, v2, v176
	v_add_f32_e32 v5, v5, v203
	s_waitcnt vmcnt(34)
	v_mul_f32_e32 v145, v3, v172
	s_clause 0x1
	buffer_load_dword v176, off, s[0:3], 0 offset:436
	buffer_load_dword v203, off, s[0:3], 0 offset:444
	v_fmac_f32_e32 v143, v2, v174
	v_fma_f32 v144, v1, v174, -v7
	v_add_f32_e32 v1, v6, v150
	v_add_f32_e32 v2, v5, v153
	s_clause 0x3
	buffer_load_dword v174, off, s[0:3], 0 offset:452
	buffer_load_dword v207, off, s[0:3], 0 offset:460
	;; [unrolled: 1-line block ×4, first 2 shown]
	s_waitcnt vmcnt(36)
	v_fmac_f32_e32 v145, v4, v185
	buffer_load_dword v210, off, s[0:3], 0 offset:484
	v_add_f32_e32 v1, v1, v148
	v_add_f32_e32 v5, v2, v152
	v_mul_f32_e32 v2, v4, v172
	buffer_load_dword v172, off, s[0:3], 0 offset:492
	v_add_f32_e32 v6, v1, v147
	v_add_f32_e32 v5, v5, v151
	v_fma_f32 v147, v3, v185, -v2
	ds_read2_b64 v[1:4], v138 offset0:99 offset1:100
	v_add_f32_e32 v6, v6, v161
	v_add_f32_e32 v5, v5, v149
	s_clause 0x3
	buffer_load_dword v161, off, s[0:3], 0 offset:440
	buffer_load_dword v185, off, s[0:3], 0 offset:432
	;; [unrolled: 1-line block ×4, first 2 shown]
	v_add_f32_e32 v6, v6, v154
	v_add_f32_e32 v5, v5, v189
	;; [unrolled: 1-line block ×4, first 2 shown]
	ds_read2_b64 v[5:8], v138 offset0:101 offset1:102
	v_add_f32_e32 v9, v9, v155
	v_add_f32_e32 v10, v10, v160
	s_waitcnt vmcnt(41) lgkmcnt(1)
	v_mul_f32_e32 v148, v1, v178
	v_mul_f32_e32 v11, v2, v178
	s_waitcnt vmcnt(40)
	v_mul_f32_e32 v150, v3, v187
	v_fmac_f32_e32 v148, v2, v177
	v_fma_f32 v149, v1, v177, -v11
	v_add_f32_e32 v1, v9, v157
	v_add_f32_e32 v2, v10, v159
	s_clause 0x3
	buffer_load_dword v157, off, s[0:3], 0 offset:472
	buffer_load_dword v158, off, s[0:3], 0 offset:464
	;; [unrolled: 1-line block ×4, first 2 shown]
	v_mul_f32_e32 v9, v4, v187
	v_fmac_f32_e32 v150, v4, v170
	v_add_f32_e32 v1, v1, v171
	s_clause 0x1
	buffer_load_dword v171, off, s[0:3], 0 offset:488
	buffer_load_dword v177, off, s[0:3], 0 offset:480
	v_add_f32_e32 v2, v2, v192
	s_waitcnt vmcnt(45) lgkmcnt(0)
	v_mul_f32_e32 v152, v5, v182
	s_waitcnt vmcnt(44)
	v_mul_f32_e32 v153, v7, v181
	v_add_f32_e32 v1, v1, v165
	buffer_load_dword v165, off, s[0:3], 0 offset:128
	v_add_f32_e32 v2, v2, v173
	v_fma_f32 v151, v3, v170, -v9
	v_fmac_f32_e32 v152, v6, v163
	v_add_f32_e32 v10, v1, v139
	s_waitcnt vmcnt(38)
	v_fmac_f32_e32 v153, v8, v197
	v_add_f32_e32 v139, v2, v204
	ds_read2_b64 v[1:4], v138 offset0:103 offset1:104
	v_add_f32_e32 v140, v10, v140
	ds_read2_b64 v[9:12], v138 offset0:105 offset1:106
	v_add_f32_e32 v139, v139, v141
	v_mul_f32_e32 v141, v6, v182
	v_add_f32_e32 v140, v140, v146
	v_mul_f32_e32 v146, v8, v181
	v_add_f32_e32 v155, v139, v142
	v_fma_f32 v154, v5, v163, -v141
	v_fma_f32 v156, v7, v197, -v146
	v_add_f32_e32 v146, v140, v164
	v_add_f32_e32 v143, v155, v143
	ds_read2_b64 v[5:8], v138 offset0:107 offset1:108
	ds_read2_b64 v[139:142], v138 offset0:109 offset1:110
	v_add_f32_e32 v144, v146, v144
	v_add_f32_e32 v143, v143, v145
	s_waitcnt lgkmcnt(3)
	v_mul_f32_e32 v163, v2, v169
	v_mul_f32_e32 v155, v1, v169
	;; [unrolled: 1-line block ×3, first 2 shown]
	v_add_f32_e32 v144, v144, v147
	v_add_f32_e32 v148, v143, v148
	v_fma_f32 v163, v1, v196, -v163
	v_mul_f32_e32 v164, v3, v166
	v_fmac_f32_e32 v155, v2, v196
	v_add_f32_e32 v149, v144, v149
	v_add_f32_e32 v181, v148, v150
	s_waitcnt lgkmcnt(2)
	v_mul_f32_e32 v147, v10, v194
	v_fma_f32 v170, v3, v195, -v146
	v_mul_f32_e32 v166, v9, v194
	v_add_f32_e32 v151, v149, v151
	v_add_f32_e32 v152, v181, v152
	v_fmac_f32_e32 v164, v4, v195
	s_waitcnt vmcnt(37)
	v_mul_f32_e32 v173, v12, v198
	v_fma_f32 v178, v9, v193, -v147
	v_add_f32_e32 v151, v151, v154
	v_mul_f32_e32 v169, v11, v198
	v_fmac_f32_e32 v166, v10, v193
	ds_read2_b64 v[1:4], v138 offset0:111 offset1:112
	ds_read2_b64 v[143:146], v138 offset0:113 offset1:114
	v_add_f32_e32 v151, v151, v156
	v_add_f32_e32 v163, v151, v163
	v_add_f32_e32 v163, v163, v170
	v_add_f32_e32 v163, v163, v178
	s_waitcnt vmcnt(32)
	v_fma_f32 v173, v11, v191, -v173
	v_fmac_f32_e32 v169, v12, v191
	ds_read2_b64 v[9:12], v138 offset0:115 offset1:116
	ds_read2_b64 v[147:150], v138 offset0:117 offset1:118
	v_add_f32_e32 v163, v163, v173
	s_waitcnt vmcnt(31) lgkmcnt(5)
	v_mul_f32_e32 v181, v5, v167
	s_waitcnt vmcnt(30)
	v_mul_f32_e32 v182, v7, v168
	v_mul_f32_e32 v154, v6, v167
	;; [unrolled: 1-line block ×3, first 2 shown]
	s_waitcnt vmcnt(29) lgkmcnt(4)
	v_mul_f32_e32 v187, v140, v205
	v_fmac_f32_e32 v181, v6, v190
	v_add_f32_e32 v6, v152, v153
	v_fmac_f32_e32 v182, v8, v175
	v_fma_f32 v167, v7, v175, -v167
	v_fma_f32 v168, v5, v190, -v154
	v_add_f32_e32 v175, v6, v155
	ds_read2_b64 v[5:8], v138 offset0:119 offset1:120
	ds_read2_b64 v[151:154], v138 offset0:121 offset1:122
	ds_read_b64 v[155:156], v138 offset:984
	v_add_f32_e32 v163, v163, v168
	v_add_f32_e32 v164, v175, v164
	v_mul_f32_e32 v175, v139, v205
	v_fma_f32 v139, v139, v162, -v187
	s_waitcnt vmcnt(28)
	v_mul_f32_e32 v170, v141, v179
	v_mul_f32_e32 v179, v142, v179
	v_add_f32_e32 v164, v164, v166
	v_fmac_f32_e32 v175, v140, v162
	v_add_f32_e32 v163, v163, v167
	s_waitcnt vmcnt(27) lgkmcnt(6)
	v_mul_f32_e32 v166, v1, v180
	v_mul_f32_e32 v173, v2, v180
	v_add_f32_e32 v162, v164, v169
	s_waitcnt vmcnt(21)
	v_fma_f32 v141, v141, v201, -v179
	v_add_f32_e32 v139, v163, v139
	v_fmac_f32_e32 v170, v142, v201
	v_mul_f32_e32 v167, v4, v183
	v_add_f32_e32 v162, v162, v181
	v_fmac_f32_e32 v166, v2, v200
	v_fma_f32 v1, v1, v200, -v173
	v_add_f32_e32 v2, v139, v141
	v_mul_f32_e32 v178, v3, v183
	v_add_f32_e32 v162, v162, v182
	s_waitcnt lgkmcnt(5)
	v_mul_f32_e32 v141, v144, v184
	v_fma_f32 v3, v3, v199, -v167
	v_add_f32_e32 v1, v2, v1
	v_mul_f32_e32 v140, v143, v184
	v_add_f32_e32 v162, v162, v175
	v_fmac_f32_e32 v178, v4, v199
	s_waitcnt vmcnt(20)
	v_mul_f32_e32 v4, v146, v202
	v_add_f32_e32 v1, v1, v3
	v_mul_f32_e32 v164, v145, v202
	v_add_f32_e32 v139, v162, v170
	v_fmac_f32_e32 v140, v144, v186
	s_waitcnt vmcnt(19) lgkmcnt(4)
	v_mul_f32_e32 v3, v10, v206
	v_mul_f32_e32 v169, v9, v206
	s_waitcnt vmcnt(18)
	v_mul_f32_e32 v142, v11, v176
	v_add_f32_e32 v2, v139, v166
	v_fma_f32 v139, v143, v186, -v141
	s_waitcnt vmcnt(7)
	v_fma_f32 v4, v145, v212, -v4
	v_fmac_f32_e32 v164, v146, v212
	v_fma_f32 v3, v9, v211, -v3
	v_add_f32_e32 v2, v2, v178
	v_add_f32_e32 v1, v1, v139
	v_mul_f32_e32 v139, v12, v176
	v_fmac_f32_e32 v169, v10, v211
	s_waitcnt lgkmcnt(3)
	v_mul_f32_e32 v179, v147, v203
	v_add_f32_e32 v2, v2, v140
	v_add_f32_e32 v1, v1, v4
	v_mul_f32_e32 v4, v148, v203
	v_fma_f32 v9, v11, v185, -v139
	v_fmac_f32_e32 v142, v12, v185
	v_add_f32_e32 v2, v2, v164
	v_add_f32_e32 v1, v1, v3
	v_mul_f32_e32 v3, v150, v174
	v_fma_f32 v4, v147, v161, -v4
	v_mul_f32_e32 v168, v149, v174
	v_add_f32_e32 v2, v2, v169
	v_add_f32_e32 v1, v1, v9
	v_fmac_f32_e32 v179, v148, v161
	s_waitcnt lgkmcnt(2)
	v_mul_f32_e32 v9, v6, v207
	v_mul_f32_e32 v180, v5, v207
	v_add_f32_e32 v2, v2, v142
	s_waitcnt vmcnt(3)
	v_fma_f32 v3, v149, v160, -v3
	v_add_f32_e32 v1, v1, v4
	v_fmac_f32_e32 v168, v150, v160
	v_mul_f32_e32 v4, v8, v208
	v_add_f32_e32 v2, v2, v179
	v_fma_f32 v5, v5, v159, -v9
	v_add_f32_e32 v1, v1, v3
	v_mul_f32_e32 v181, v7, v208
	v_fmac_f32_e32 v180, v6, v159
	v_add_f32_e32 v2, v2, v168
	s_waitcnt lgkmcnt(1)
	v_mul_f32_e32 v3, v152, v209
	v_fma_f32 v4, v7, v158, -v4
	v_add_f32_e32 v1, v1, v5
	v_mul_f32_e32 v182, v151, v209
	v_fmac_f32_e32 v181, v8, v158
	v_add_f32_e32 v2, v2, v180
	v_mul_f32_e32 v5, v154, v210
	v_fma_f32 v3, v151, v157, -v3
	v_add_f32_e32 v1, v1, v4
	v_mul_f32_e32 v183, v153, v210
	v_fmac_f32_e32 v182, v152, v157
	v_add_f32_e32 v2, v2, v181
	s_waitcnt lgkmcnt(0)
	v_mul_f32_e32 v4, v156, v172
	s_waitcnt vmcnt(1)
	v_fma_f32 v5, v153, v177, -v5
	v_add_f32_e32 v1, v1, v3
	v_mul_f32_e32 v163, v155, v172
	v_fmac_f32_e32 v183, v154, v177
	v_add_f32_e32 v2, v2, v182
	v_fma_f32 v3, v155, v171, -v4
	v_add_f32_e32 v1, v1, v5
	v_fmac_f32_e32 v163, v156, v171
	v_add_f32_e32 v2, v2, v183
	v_add_f32_e32 v1, v1, v3
	;; [unrolled: 1-line block ×3, first 2 shown]
	s_waitcnt vmcnt(0)
	v_sub_f32_e32 v1, v165, v1
	v_sub_f32_e32 v2, v188, v2
	buffer_store_dword v1, off, s[0:3], 0 offset:128
	buffer_store_dword v2, off, s[0:3], 0 offset:132
	v_cmpx_lt_u32_e32 15, v0
	s_cbranch_execz .LBB61_355
; %bb.354:
	s_clause 0x1
	buffer_load_dword v1, off, s[0:3], 0 offset:120
	buffer_load_dword v2, off, s[0:3], 0 offset:124
	buffer_store_dword v138, off, s[0:3], 0 offset:120
	buffer_store_dword v138, off, s[0:3], 0 offset:124
	s_waitcnt vmcnt(0)
	ds_write_b64 v137, v[1:2]
.LBB61_355:
	s_or_b32 exec_lo, exec_lo, s4
	s_waitcnt lgkmcnt(0)
	s_waitcnt_vscnt null, 0x0
	s_barrier
	buffer_gl0_inv
	s_clause 0x2c
	buffer_load_dword v179, off, s[0:3], 0 offset:132
	buffer_load_dword v180, off, s[0:3], 0 offset:140
	;; [unrolled: 1-line block ×45, first 2 shown]
	ds_read_b128 v[5:8], v138 offset:624
	buffer_load_dword v173, off, s[0:3], 0 offset:308
	ds_read_b128 v[1:4], v138 offset:640
	ds_read_b128 v[189:192], v138 offset:656
	s_clause 0x7
	buffer_load_dword v187, off, s[0:3], 0 offset:316
	buffer_load_dword v185, off, s[0:3], 0 offset:324
	buffer_load_dword v184, off, s[0:3], 0 offset:332
	buffer_load_dword v183, off, s[0:3], 0 offset:340
	buffer_load_dword v181, off, s[0:3], 0 offset:336
	buffer_load_dword v182, off, s[0:3], 0 offset:328
	buffer_load_dword v186, off, s[0:3], 0 offset:320
	buffer_load_dword v188, off, s[0:3], 0 offset:312
	ds_read_b128 v[193:196], v138 offset:672
	s_mov_b32 s4, exec_lo
	s_waitcnt vmcnt(53) lgkmcnt(3)
	v_mul_f32_e32 v197, v5, v179
	s_waitcnt vmcnt(52)
	v_mul_f32_e32 v198, v7, v180
	v_mul_f32_e32 v199, v6, v179
	;; [unrolled: 1-line block ×3, first 2 shown]
	buffer_load_dword v179, off, s[0:3], 0 offset:124
	s_waitcnt vmcnt(50)
	v_fmac_f32_e32 v197, v6, v141
	v_fmac_f32_e32 v198, v8, v140
	v_fma_f32 v199, v5, v141, -v199
	v_fma_f32 v180, v7, v140, -v180
	ds_read_b128 v[5:8], v138 offset:688
	s_waitcnt vmcnt(49) lgkmcnt(3)
	v_mul_f32_e32 v200, v1, v12
	v_mul_f32_e32 v12, v2, v12
	s_waitcnt vmcnt(48)
	v_mul_f32_e32 v201, v3, v11
	v_mul_f32_e32 v11, v4, v11
	s_waitcnt vmcnt(47) lgkmcnt(2)
	v_mul_f32_e32 v202, v189, v10
	v_fmac_f32_e32 v200, v2, v9
	v_fma_f32 v203, v1, v9, -v12
	s_waitcnt vmcnt(46)
	v_mul_f32_e32 v204, v191, v139
	v_mul_f32_e32 v9, v190, v10
	;; [unrolled: 1-line block ×3, first 2 shown]
	s_waitcnt vmcnt(42)
	v_fmac_f32_e32 v201, v4, v147
	v_fma_f32 v147, v3, v147, -v11
	ds_read_b128 v[1:4], v138 offset:704
	v_fmac_f32_e32 v202, v190, v146
	v_fmac_f32_e32 v204, v192, v144
	v_fma_f32 v146, v189, v146, -v9
	v_fma_f32 v144, v191, v144, -v10
	ds_read_b128 v[9:12], v138 offset:720
	s_waitcnt vmcnt(41) lgkmcnt(3)
	v_mul_f32_e32 v189, v193, v145
	v_mul_f32_e32 v139, v194, v145
	s_waitcnt vmcnt(40)
	v_mul_f32_e32 v145, v195, v143
	v_mul_f32_e32 v140, v196, v143
	s_waitcnt vmcnt(39) lgkmcnt(2)
	v_mul_f32_e32 v143, v5, v148
	v_fmac_f32_e32 v189, v194, v142
	v_fma_f32 v190, v193, v142, -v139
	s_waitcnt vmcnt(34)
	v_fmac_f32_e32 v145, v196, v155
	v_fma_f32 v155, v195, v155, -v140
	ds_read_b128 v[139:142], v138 offset:736
	v_mul_f32_e32 v191, v7, v149
	v_mul_f32_e32 v148, v6, v148
	;; [unrolled: 1-line block ×3, first 2 shown]
	v_fmac_f32_e32 v143, v6, v154
	v_fmac_f32_e32 v191, v8, v152
	v_fma_f32 v148, v5, v154, -v148
	v_fma_f32 v149, v7, v152, -v149
	ds_read_b128 v[5:8], v138 offset:752
	s_waitcnt vmcnt(33) lgkmcnt(3)
	v_mul_f32_e32 v152, v1, v153
	v_mul_f32_e32 v153, v2, v153
	s_waitcnt vmcnt(32)
	v_mul_f32_e32 v154, v3, v151
	v_mul_f32_e32 v151, v4, v151
	s_waitcnt vmcnt(31) lgkmcnt(2)
	v_mul_f32_e32 v192, v9, v156
	v_fmac_f32_e32 v152, v2, v150
	v_fma_f32 v150, v1, v150, -v153
	s_waitcnt vmcnt(30)
	v_mul_f32_e32 v153, v11, v157
	v_mul_f32_e32 v157, v12, v157
	s_waitcnt vmcnt(26)
	v_fmac_f32_e32 v154, v4, v164
	v_fma_f32 v151, v3, v164, -v151
	ds_read_b128 v[1:4], v138 offset:768
	v_mul_f32_e32 v156, v10, v156
	v_fmac_f32_e32 v153, v12, v161
	v_fma_f32 v157, v11, v161, -v157
	s_waitcnt vmcnt(25) lgkmcnt(2)
	v_mul_f32_e32 v161, v139, v159
	v_mul_f32_e32 v159, v140, v159
	v_fmac_f32_e32 v192, v10, v163
	v_fma_f32 v156, v9, v163, -v156
	ds_read_b128 v[9:12], v138 offset:784
	v_fmac_f32_e32 v161, v140, v158
	v_fma_f32 v139, v139, v158, -v159
	s_clause 0x1
	buffer_load_dword v158, off, s[0:3], 0 offset:348
	buffer_load_dword v159, off, s[0:3], 0 offset:356
	s_waitcnt vmcnt(26)
	v_mul_f32_e32 v163, v141, v160
	v_mul_f32_e32 v160, v142, v160
	s_waitcnt vmcnt(25) lgkmcnt(2)
	v_mul_f32_e32 v164, v5, v165
	v_mul_f32_e32 v165, v6, v165
	s_waitcnt vmcnt(21)
	v_fmac_f32_e32 v163, v142, v172
	v_fma_f32 v140, v141, v172, -v160
	s_waitcnt vmcnt(20)
	v_mul_f32_e32 v141, v7, v171
	v_mul_f32_e32 v142, v8, v171
	v_fmac_f32_e32 v164, v6, v170
	v_fma_f32 v160, v5, v170, -v165
	s_clause 0x3
	buffer_load_dword v165, off, s[0:3], 0 offset:368
	buffer_load_dword v170, off, s[0:3], 0 offset:360
	;; [unrolled: 1-line block ×4, first 2 shown]
	v_fmac_f32_e32 v141, v8, v167
	v_fma_f32 v142, v7, v167, -v142
	s_waitcnt vmcnt(23) lgkmcnt(1)
	v_mul_f32_e32 v167, v1, v168
	s_waitcnt vmcnt(22)
	v_mul_f32_e32 v193, v3, v169
	v_mul_f32_e32 v5, v2, v168
	;; [unrolled: 1-line block ×3, first 2 shown]
	s_clause 0x1
	buffer_load_dword v168, off, s[0:3], 0 offset:364
	buffer_load_dword v169, off, s[0:3], 0 offset:372
	s_waitcnt vmcnt(18) lgkmcnt(0)
	v_mul_f32_e32 v196, v11, v177
	v_fmac_f32_e32 v193, v4, v178
	v_fmac_f32_e32 v167, v2, v166
	v_fma_f32 v178, v3, v178, -v6
	v_mul_f32_e32 v6, v12, v177
	v_fma_f32 v166, v1, v166, -v5
	v_mul_f32_e32 v195, v9, v176
	v_mul_f32_e32 v5, v10, v176
	v_fmac_f32_e32 v196, v12, v174
	v_fma_f32 v174, v11, v174, -v6
	v_add_f32_e32 v6, 0, v199
	v_fmac_f32_e32 v195, v10, v175
	v_fma_f32 v175, v9, v175, -v5
	v_add_f32_e32 v5, 0, v197
	buffer_load_dword v194, off, s[0:3], 0 offset:380
	v_add_f32_e32 v6, v6, v180
	ds_read_b128 v[1:4], v138 offset:800
	s_clause 0x3
	buffer_load_dword v176, off, s[0:3], 0 offset:400
	buffer_load_dword v177, off, s[0:3], 0 offset:392
	;; [unrolled: 1-line block ×4, first 2 shown]
	v_add_f32_e32 v5, v5, v198
	s_clause 0x2
	buffer_load_dword v198, off, s[0:3], 0 offset:388
	buffer_load_dword v180, off, s[0:3], 0 offset:396
	buffer_load_dword v199, off, s[0:3], 0 offset:404
	v_add_f32_e32 v6, v6, v203
	v_add_f32_e32 v5, v5, v200
	;; [unrolled: 1-line block ×4, first 2 shown]
	s_clause 0x2
	buffer_load_dword v200, off, s[0:3], 0 offset:412
	buffer_load_dword v201, off, s[0:3], 0 offset:420
	;; [unrolled: 1-line block ×3, first 2 shown]
	v_add_f32_e32 v6, v6, v146
	v_add_f32_e32 v5, v5, v202
	s_clause 0x2
	buffer_load_dword v202, off, s[0:3], 0 offset:436
	buffer_load_dword v206, off, s[0:3], 0 offset:444
	;; [unrolled: 1-line block ×3, first 2 shown]
	s_waitcnt vmcnt(31) lgkmcnt(0)
	v_mul_f32_e32 v147, v1, v173
	v_add_f32_e32 v6, v6, v144
	v_add_f32_e32 v5, v5, v204
	s_clause 0x2
	buffer_load_dword v204, off, s[0:3], 0 offset:460
	buffer_load_dword v208, off, s[0:3], 0 offset:468
	buffer_load_dword v209, off, s[0:3], 0 offset:476
	v_mul_f32_e32 v7, v2, v173
	v_add_f32_e32 v6, v6, v190
	v_add_f32_e32 v5, v5, v189
	s_clause 0x1
	buffer_load_dword v189, off, s[0:3], 0 offset:484
	buffer_load_dword v190, off, s[0:3], 0 offset:492
	v_fmac_f32_e32 v147, v2, v162
	v_add_f32_e32 v6, v6, v155
	s_clause 0x3
	buffer_load_dword v155, off, s[0:3], 0 offset:432
	buffer_load_dword v210, off, s[0:3], 0 offset:424
	;; [unrolled: 1-line block ×4, first 2 shown]
	v_add_f32_e32 v5, v5, v145
	v_add_f32_e32 v6, v6, v148
	v_fma_f32 v148, v1, v162, -v7
	v_add_f32_e32 v5, v5, v143
	v_add_f32_e32 v6, v6, v149
	;; [unrolled: 1-line block ×3, first 2 shown]
	s_clause 0x3
	buffer_load_dword v191, off, s[0:3], 0 offset:464
	buffer_load_dword v213, off, s[0:3], 0 offset:456
	;; [unrolled: 1-line block ×4, first 2 shown]
	v_add_f32_e32 v6, v6, v150
	v_add_f32_e32 v5, v5, v152
	;; [unrolled: 1-line block ×3, first 2 shown]
	s_waitcnt vmcnt(43)
	v_mul_f32_e32 v151, v3, v187
	v_add_f32_e32 v5, v5, v154
	v_add_f32_e32 v6, v6, v156
	s_waitcnt vmcnt(36)
	v_fmac_f32_e32 v151, v4, v188
	v_add_f32_e32 v5, v5, v192
	s_clause 0x3
	buffer_load_dword v192, off, s[0:3], 0 offset:488
	buffer_load_dword v216, off, s[0:3], 0 offset:480
	;; [unrolled: 1-line block ×4, first 2 shown]
	v_add_f32_e32 v6, v6, v157
	v_add_f32_e32 v5, v5, v153
	;; [unrolled: 1-line block ×4, first 2 shown]
	ds_read_b128 v[5:8], v138 offset:816
	v_add_f32_e32 v9, v1, v140
	v_mul_f32_e32 v1, v4, v187
	v_add_f32_e32 v10, v2, v163
	v_add_f32_e32 v139, v9, v160
	v_fma_f32 v152, v3, v188, -v1
	ds_read_b128 v[1:4], v138 offset:832
	v_add_f32_e32 v140, v10, v164
	ds_read_b128 v[9:12], v138 offset:848
	v_add_f32_e32 v139, v139, v142
	v_add_f32_e32 v140, v140, v141
	;; [unrolled: 1-line block ×3, first 2 shown]
	s_waitcnt lgkmcnt(2)
	v_mul_f32_e32 v142, v6, v185
	v_mul_f32_e32 v153, v5, v185
	;; [unrolled: 1-line block ×3, first 2 shown]
	v_fma_f32 v154, v5, v186, -v142
	v_add_f32_e32 v5, v140, v167
	v_fmac_f32_e32 v153, v6, v186
	v_add_f32_e32 v6, v143, v178
	ds_read_b128 v[139:142], v138 offset:864
	s_waitcnt lgkmcnt(2)
	v_mul_f32_e32 v144, v2, v183
	v_add_f32_e32 v5, v5, v193
	v_mul_f32_e32 v160, v1, v183
	v_add_f32_e32 v6, v6, v175
	v_mul_f32_e32 v143, v8, v184
	v_fma_f32 v163, v1, v181, -v144
	v_add_f32_e32 v5, v5, v195
	v_fmac_f32_e32 v160, v2, v181
	v_add_f32_e32 v1, v6, v174
	v_fma_f32 v162, v7, v182, -v143
	v_fmac_f32_e32 v157, v8, v182
	v_add_f32_e32 v2, v5, v196
	ds_read_b128 v[5:8], v138 offset:880
	ds_read_b128 v[143:146], v138 offset:896
	s_waitcnt vmcnt(38)
	v_mul_f32_e32 v161, v3, v158
	v_mul_f32_e32 v149, v4, v158
	s_waitcnt vmcnt(37) lgkmcnt(3)
	v_mul_f32_e32 v158, v9, v159
	v_mul_f32_e32 v150, v10, v159
	s_waitcnt vmcnt(34)
	v_fmac_f32_e32 v158, v10, v171
	v_add_f32_e32 v10, v1, v148
	v_fma_f32 v164, v9, v171, -v150
	v_add_f32_e32 v9, v2, v147
	s_waitcnt vmcnt(33)
	v_fma_f32 v159, v3, v172, -v149
	v_fmac_f32_e32 v161, v4, v172
	v_add_f32_e32 v10, v10, v152
	s_waitcnt vmcnt(32)
	v_mul_f32_e32 v166, v11, v168
	v_add_f32_e32 v9, v9, v151
	s_waitcnt vmcnt(31) lgkmcnt(2)
	v_mul_f32_e32 v167, v139, v169
	v_mul_f32_e32 v151, v140, v169
	v_add_f32_e32 v10, v10, v154
	v_mul_f32_e32 v152, v12, v168
	v_fmac_f32_e32 v166, v12, v170
	v_fmac_f32_e32 v167, v140, v165
	v_fma_f32 v165, v139, v165, -v151
	v_add_f32_e32 v139, v9, v153
	v_add_f32_e32 v162, v10, v162
	v_fma_f32 v170, v11, v170, -v152
	ds_read_b128 v[1:4], v138 offset:912
	ds_read_b128 v[147:150], v138 offset:928
	;; [unrolled: 1-line block ×4, first 2 shown]
	v_add_f32_e32 v157, v139, v157
	v_add_f32_e32 v162, v162, v163
	s_waitcnt vmcnt(30)
	v_mul_f32_e32 v168, v141, v194
	v_mul_f32_e32 v169, v142, v194
	v_add_f32_e32 v157, v157, v160
	v_add_f32_e32 v159, v162, v159
	s_waitcnt vmcnt(26)
	v_fmac_f32_e32 v168, v142, v205
	v_fma_f32 v142, v141, v205, -v169
	s_waitcnt vmcnt(25) lgkmcnt(5)
	v_mul_f32_e32 v163, v6, v198
	v_add_f32_e32 v157, v157, v161
	v_add_f32_e32 v159, v159, v164
	v_mul_f32_e32 v169, v5, v198
	s_waitcnt vmcnt(24)
	v_mul_f32_e32 v171, v8, v180
	v_fma_f32 v5, v5, v197, -v163
	v_add_f32_e32 v157, v157, v158
	v_add_f32_e32 v159, v159, v170
	v_mul_f32_e32 v160, v7, v180
	v_fmac_f32_e32 v169, v6, v197
	v_fma_f32 v7, v7, v177, -v171
	v_add_f32_e32 v157, v157, v166
	v_add_f32_e32 v159, v159, v165
	s_waitcnt vmcnt(23) lgkmcnt(4)
	v_mul_f32_e32 v162, v143, v199
	v_fmac_f32_e32 v160, v8, v177
	s_waitcnt vmcnt(22)
	v_mul_f32_e32 v161, v145, v200
	v_add_f32_e32 v157, v157, v167
	v_add_f32_e32 v142, v159, v142
	v_mul_f32_e32 v159, v144, v199
	v_fmac_f32_e32 v162, v144, v176
	s_waitcnt vmcnt(21) lgkmcnt(3)
	v_mul_f32_e32 v172, v1, v201
	v_add_f32_e32 v157, v157, v168
	v_add_f32_e32 v5, v142, v5
	v_mul_f32_e32 v142, v146, v200
	v_fma_f32 v143, v143, v176, -v159
	s_waitcnt vmcnt(20)
	v_mul_f32_e32 v164, v3, v203
	v_add_f32_e32 v8, v157, v169
	v_add_f32_e32 v5, v5, v7
	s_waitcnt vmcnt(8)
	v_fma_f32 v142, v145, v212, -v142
	v_fmac_f32_e32 v161, v146, v212
	v_fmac_f32_e32 v172, v2, v211
	v_add_f32_e32 v7, v8, v160
	v_mul_f32_e32 v8, v2, v201
	v_add_f32_e32 v5, v5, v143
	v_mul_f32_e32 v143, v4, v203
	s_waitcnt lgkmcnt(2)
	v_mul_f32_e32 v158, v147, v202
	v_add_f32_e32 v7, v7, v162
	v_fma_f32 v1, v1, v211, -v8
	v_add_f32_e32 v2, v5, v142
	v_fma_f32 v3, v3, v210, -v143
	v_fmac_f32_e32 v164, v4, v210
	v_add_f32_e32 v5, v7, v161
	v_mul_f32_e32 v7, v148, v202
	v_add_f32_e32 v1, v2, v1
	v_mul_f32_e32 v4, v150, v206
	v_mul_f32_e32 v173, v149, v206
	v_add_f32_e32 v2, v5, v172
	v_fma_f32 v5, v147, v155, -v7
	v_add_f32_e32 v1, v1, v3
	v_fmac_f32_e32 v158, v148, v155
	ds_read_b128 v[138:141], v138 offset:976
	v_add_f32_e32 v2, v2, v164
	s_waitcnt lgkmcnt(2)
	v_mul_f32_e32 v3, v10, v207
	s_waitcnt vmcnt(4)
	v_fma_f32 v4, v149, v215, -v4
	v_add_f32_e32 v1, v1, v5
	v_mul_f32_e32 v170, v9, v207
	v_fmac_f32_e32 v173, v150, v215
	v_add_f32_e32 v2, v2, v158
	v_mul_f32_e32 v5, v12, v204
	v_fma_f32 v3, v9, v214, -v3
	v_add_f32_e32 v1, v1, v4
	v_mul_f32_e32 v166, v11, v204
	v_fmac_f32_e32 v170, v10, v214
	v_add_f32_e32 v2, v2, v173
	s_waitcnt lgkmcnt(1)
	v_mul_f32_e32 v4, v152, v208
	v_fma_f32 v5, v11, v213, -v5
	v_add_f32_e32 v1, v1, v3
	v_mul_f32_e32 v174, v151, v208
	v_fmac_f32_e32 v166, v12, v213
	v_add_f32_e32 v2, v2, v170
	v_mul_f32_e32 v3, v154, v209
	v_fma_f32 v4, v151, v191, -v4
	v_add_f32_e32 v1, v1, v5
	v_mul_f32_e32 v165, v153, v209
	v_fmac_f32_e32 v174, v152, v191
	v_add_f32_e32 v2, v2, v166
	s_waitcnt lgkmcnt(0)
	v_mul_f32_e32 v5, v139, v189
	s_waitcnt vmcnt(1)
	v_fma_f32 v3, v153, v217, -v3
	v_add_f32_e32 v1, v1, v4
	v_mul_f32_e32 v167, v138, v189
	v_fmac_f32_e32 v165, v154, v217
	v_add_f32_e32 v2, v2, v174
	v_mul_f32_e32 v4, v141, v190
	v_fma_f32 v5, v138, v216, -v5
	v_add_f32_e32 v1, v1, v3
	v_mul_f32_e32 v6, v140, v190
	v_fmac_f32_e32 v167, v139, v216
	v_add_f32_e32 v2, v2, v165
	v_fma_f32 v3, v140, v192, -v4
	v_add_f32_e32 v1, v1, v5
	v_fmac_f32_e32 v6, v141, v192
	v_add_f32_e32 v2, v2, v167
	v_add_f32_e32 v1, v1, v3
	;; [unrolled: 1-line block ×3, first 2 shown]
	s_waitcnt vmcnt(0)
	v_sub_f32_e32 v1, v156, v1
	v_sub_f32_e32 v2, v179, v2
	buffer_store_dword v1, off, s[0:3], 0 offset:120
	buffer_store_dword v2, off, s[0:3], 0 offset:124
	v_cmpx_lt_u32_e32 14, v0
	s_cbranch_execz .LBB61_357
; %bb.356:
	s_clause 0x1
	buffer_load_dword v1, off, s[0:3], 0 offset:112
	buffer_load_dword v2, off, s[0:3], 0 offset:116
	v_mov_b32_e32 v3, 0
	buffer_store_dword v3, off, s[0:3], 0 offset:112
	buffer_store_dword v3, off, s[0:3], 0 offset:116
	s_waitcnt vmcnt(0)
	ds_write_b64 v137, v[1:2]
.LBB61_357:
	s_or_b32 exec_lo, exec_lo, s4
	s_waitcnt lgkmcnt(0)
	s_waitcnt_vscnt null, 0x0
	s_barrier
	buffer_gl0_inv
	s_clause 0x2c
	buffer_load_dword v11, off, s[0:3], 0 offset:124
	buffer_load_dword v12, off, s[0:3], 0 offset:132
	;; [unrolled: 1-line block ×45, first 2 shown]
	v_mov_b32_e32 v9, 0
	ds_read2_b64 v[5:8], v9 offset0:77 offset1:78
	ds_read2_b64 v[1:4], v9 offset0:79 offset1:80
	s_clause 0x9
	buffer_load_dword v186, off, s[0:3], 0 offset:300
	buffer_load_dword v183, off, s[0:3], 0 offset:308
	;; [unrolled: 1-line block ×10, first 2 shown]
	ds_read2_b64 v[190:193], v9 offset0:81 offset1:82
	ds_read2_b64 v[194:197], v9 offset0:83 offset1:84
	s_mov_b32 s4, exec_lo
	s_waitcnt vmcnt(54) lgkmcnt(3)
	v_mul_f32_e32 v198, v5, v11
	v_mul_f32_e32 v11, v6, v11
	s_waitcnt vmcnt(53)
	v_mul_f32_e32 v199, v7, v12
	v_mul_f32_e32 v12, v8, v12
	s_waitcnt vmcnt(52) lgkmcnt(2)
	v_mul_f32_e32 v200, v1, v138
	s_waitcnt vmcnt(49)
	v_fmac_f32_e32 v198, v6, v141
	v_fma_f32 v11, v5, v141, -v11
	s_waitcnt vmcnt(48)
	v_mul_f32_e32 v201, v3, v140
	v_mul_f32_e32 v5, v2, v138
	;; [unrolled: 1-line block ×3, first 2 shown]
	v_fmac_f32_e32 v199, v8, v139
	s_waitcnt vmcnt(43) lgkmcnt(1)
	v_mul_f32_e32 v202, v190, v148
	v_mul_f32_e32 v138, v191, v148
	v_fma_f32 v12, v7, v139, -v12
	v_fmac_f32_e32 v200, v2, v10
	v_fmac_f32_e32 v201, v4, v149
	v_fma_f32 v10, v1, v10, -v5
	v_fma_f32 v149, v3, v149, -v6
	ds_read2_b64 v[1:4], v9 offset0:85 offset1:86
	ds_read2_b64 v[5:8], v9 offset0:87 offset1:88
	s_waitcnt vmcnt(42)
	v_mul_f32_e32 v148, v192, v147
	v_mul_f32_e32 v139, v193, v147
	s_waitcnt vmcnt(41) lgkmcnt(2)
	v_mul_f32_e32 v147, v194, v145
	v_fmac_f32_e32 v202, v191, v144
	v_fma_f32 v190, v190, v144, -v138
	s_waitcnt vmcnt(40)
	v_mul_f32_e32 v191, v196, v146
	v_mul_f32_e32 v138, v195, v145
	v_mul_f32_e32 v140, v197, v146
	v_fmac_f32_e32 v148, v193, v143
	v_fma_f32 v146, v192, v143, -v139
	v_fmac_f32_e32 v147, v195, v142
	s_waitcnt vmcnt(36)
	v_fmac_f32_e32 v191, v197, v157
	v_fma_f32 v192, v194, v142, -v138
	v_fma_f32 v157, v196, v157, -v140
	ds_read2_b64 v[138:141], v9 offset0:89 offset1:90
	ds_read2_b64 v[142:145], v9 offset0:91 offset1:92
	s_waitcnt vmcnt(35) lgkmcnt(3)
	v_mul_f32_e32 v193, v1, v155
	s_waitcnt vmcnt(34)
	v_mul_f32_e32 v194, v3, v156
	v_mul_f32_e32 v155, v2, v155
	v_mul_f32_e32 v156, v4, v156
	s_waitcnt vmcnt(33) lgkmcnt(2)
	v_mul_f32_e32 v195, v5, v154
	v_mul_f32_e32 v154, v6, v154
	v_fmac_f32_e32 v193, v2, v152
	v_fmac_f32_e32 v194, v4, v151
	v_fma_f32 v152, v1, v152, -v155
	v_fma_f32 v151, v3, v151, -v156
	s_clause 0x1
	buffer_load_dword v155, off, s[0:3], 0 offset:340
	buffer_load_dword v156, off, s[0:3], 0 offset:348
	s_waitcnt vmcnt(34)
	v_mul_f32_e32 v196, v7, v153
	v_mul_f32_e32 v153, v8, v153
	v_fmac_f32_e32 v195, v6, v150
	v_fma_f32 v150, v5, v150, -v154
	ds_read2_b64 v[1:4], v9 offset0:93 offset1:94
	s_waitcnt vmcnt(29) lgkmcnt(2)
	v_mul_f32_e32 v154, v138, v165
	v_mul_f32_e32 v5, v139, v165
	s_waitcnt vmcnt(28)
	v_mul_f32_e32 v6, v141, v166
	v_fmac_f32_e32 v196, v8, v168
	v_fma_f32 v153, v7, v168, -v153
	v_fmac_f32_e32 v154, v139, v160
	v_fma_f32 v138, v138, v160, -v5
	v_fma_f32 v139, v140, v159, -v6
	ds_read2_b64 v[5:8], v9 offset0:95 offset1:96
	v_mul_f32_e32 v168, v140, v166
	s_waitcnt vmcnt(27) lgkmcnt(2)
	v_mul_f32_e32 v165, v142, v162
	s_waitcnt vmcnt(26)
	v_mul_f32_e32 v166, v144, v163
	v_mul_f32_e32 v162, v143, v162
	;; [unrolled: 1-line block ×3, first 2 shown]
	v_fmac_f32_e32 v168, v141, v159
	v_fmac_f32_e32 v165, v143, v158
	s_waitcnt vmcnt(22)
	v_fmac_f32_e32 v166, v145, v181
	v_fma_f32 v140, v142, v158, -v162
	v_fma_f32 v141, v144, v181, -v163
	s_clause 0x5
	buffer_load_dword v158, off, s[0:3], 0 offset:356
	buffer_load_dword v159, off, s[0:3], 0 offset:364
	;; [unrolled: 1-line block ×6, first 2 shown]
	s_waitcnt vmcnt(27) lgkmcnt(1)
	v_mul_f32_e32 v142, v1, v176
	s_waitcnt vmcnt(26)
	v_mul_f32_e32 v143, v3, v177
	v_mul_f32_e32 v144, v2, v176
	v_mul_f32_e32 v145, v4, v177
	v_add_f32_e32 v177, 0, v198
	v_fmac_f32_e32 v142, v2, v174
	v_fmac_f32_e32 v143, v4, v170
	v_fma_f32 v144, v1, v174, -v144
	v_fma_f32 v145, v3, v170, -v145
	ds_read2_b64 v[1:4], v9 offset0:97 offset1:98
	s_waitcnt vmcnt(25) lgkmcnt(1)
	v_mul_f32_e32 v170, v5, v171
	v_mul_f32_e32 v171, v6, v171
	buffer_load_dword v176, off, s[0:3], 0 offset:372
	s_waitcnt vmcnt(25)
	v_mul_f32_e32 v174, v7, v172
	v_mul_f32_e32 v172, v8, v172
	v_fmac_f32_e32 v170, v6, v169
	v_add_f32_e32 v6, 0, v11
	v_add_f32_e32 v11, v177, v199
	v_fma_f32 v169, v5, v169, -v171
	s_waitcnt vmcnt(21)
	v_fmac_f32_e32 v174, v8, v188
	v_fma_f32 v171, v7, v188, -v172
	v_add_f32_e32 v5, v6, v12
	v_add_f32_e32 v11, v11, v200
	s_clause 0x4
	buffer_load_dword v12, off, s[0:3], 0 offset:392
	buffer_load_dword v172, off, s[0:3], 0 offset:384
	;; [unrolled: 1-line block ×5, first 2 shown]
	v_add_f32_e32 v10, v5, v10
	v_add_f32_e32 v11, v11, v201
	ds_read2_b64 v[5:8], v9 offset0:99 offset1:100
	s_waitcnt vmcnt(25) lgkmcnt(1)
	v_mul_f32_e32 v198, v1, v187
	v_mul_f32_e32 v187, v2, v187
	v_add_f32_e32 v10, v10, v149
	v_add_f32_e32 v11, v11, v202
	s_clause 0x1
	buffer_load_dword v199, off, s[0:3], 0 offset:388
	buffer_load_dword v200, off, s[0:3], 0 offset:396
	v_fmac_f32_e32 v198, v2, v184
	v_fma_f32 v149, v1, v184, -v187
	v_add_f32_e32 v1, v10, v190
	v_add_f32_e32 v2, v11, v148
	buffer_load_dword v201, off, s[0:3], 0 offset:404
	s_waitcnt vmcnt(27)
	v_mul_f32_e32 v184, v3, v182
	v_mul_f32_e32 v10, v4, v182
	v_add_f32_e32 v1, v1, v146
	v_add_f32_e32 v2, v2, v147
	s_clause 0x2
	buffer_load_dword v187, off, s[0:3], 0 offset:412
	buffer_load_dword v190, off, s[0:3], 0 offset:420
	;; [unrolled: 1-line block ×3, first 2 shown]
	v_fmac_f32_e32 v184, v4, v178
	v_fma_f32 v10, v3, v178, -v10
	v_add_f32_e32 v2, v2, v191
	s_clause 0x1
	buffer_load_dword v178, off, s[0:3], 0 offset:436
	buffer_load_dword v202, off, s[0:3], 0 offset:444
	v_add_f32_e32 v1, v1, v192
	s_clause 0x2
	buffer_load_dword v191, off, s[0:3], 0 offset:452
	buffer_load_dword v192, off, s[0:3], 0 offset:460
	;; [unrolled: 1-line block ×3, first 2 shown]
	s_waitcnt vmcnt(34) lgkmcnt(0)
	v_mul_f32_e32 v11, v5, v186
	v_add_f32_e32 v2, v2, v193
	s_clause 0x2
	buffer_load_dword v193, off, s[0:3], 0 offset:476
	buffer_load_dword v204, off, s[0:3], 0 offset:484
	;; [unrolled: 1-line block ×3, first 2 shown]
	v_add_f32_e32 v1, v1, v157
	v_mul_f32_e32 v3, v6, v186
	v_fmac_f32_e32 v11, v6, v161
	v_add_f32_e32 v2, v2, v194
	s_clause 0x3
	buffer_load_dword v194, off, s[0:3], 0 offset:424
	buffer_load_dword v206, off, s[0:3], 0 offset:416
	buffer_load_dword v207, off, s[0:3], 0 offset:408
	buffer_load_dword v208, off, s[0:3], 0 offset:400
	v_add_f32_e32 v1, v1, v152
	v_fma_f32 v146, v5, v161, -v3
	v_add_f32_e32 v2, v2, v195
	v_add_f32_e32 v1, v1, v151
	;; [unrolled: 1-line block ×3, first 2 shown]
	s_clause 0x3
	buffer_load_dword v195, off, s[0:3], 0 offset:456
	buffer_load_dword v196, off, s[0:3], 0 offset:448
	;; [unrolled: 1-line block ×4, first 2 shown]
	v_add_f32_e32 v1, v1, v150
	s_waitcnt vmcnt(44)
	v_mul_f32_e32 v150, v7, v183
	v_add_f32_e32 v2, v2, v154
	v_add_f32_e32 v1, v1, v153
	s_waitcnt vmcnt(37)
	v_fmac_f32_e32 v150, v8, v185
	v_add_f32_e32 v2, v2, v168
	s_clause 0x4
	buffer_load_dword v168, off, s[0:3], 0 offset:488
	buffer_load_dword v211, off, s[0:3], 0 offset:480
	;; [unrolled: 1-line block ×5, first 2 shown]
	v_add_f32_e32 v1, v1, v138
	v_add_f32_e32 v2, v2, v165
	;; [unrolled: 1-line block ×6, first 2 shown]
	v_mul_f32_e32 v5, v8, v183
	v_add_f32_e32 v6, v1, v141
	ds_read2_b64 v[1:4], v9 offset0:101 offset1:102
	v_add_f32_e32 v142, v138, v143
	v_fma_f32 v151, v7, v185, -v5
	v_add_f32_e32 v139, v6, v144
	ds_read2_b64 v[5:8], v9 offset0:103 offset1:104
	v_add_f32_e32 v142, v142, v170
	v_add_f32_e32 v143, v139, v145
	ds_read2_b64 v[138:141], v9 offset0:105 offset1:106
	v_add_f32_e32 v147, v142, v174
	v_add_f32_e32 v143, v143, v169
	s_waitcnt lgkmcnt(2)
	v_mul_f32_e32 v144, v2, v179
	v_mul_f32_e32 v154, v1, v179
	;; [unrolled: 1-line block ×3, first 2 shown]
	v_fma_f32 v157, v1, v180, -v144
	v_add_f32_e32 v1, v143, v171
	v_fmac_f32_e32 v154, v2, v180
	v_add_f32_e32 v2, v147, v198
	s_waitcnt lgkmcnt(1)
	v_mul_f32_e32 v165, v5, v173
	v_mul_f32_e32 v148, v6, v173
	v_add_f32_e32 v1, v1, v149
	ds_read2_b64 v[142:145], v9 offset0:107 offset1:108
	v_add_f32_e32 v2, v2, v184
	v_fmac_f32_e32 v165, v6, v164
	v_fma_f32 v164, v5, v164, -v148
	v_add_f32_e32 v1, v1, v10
	v_mul_f32_e32 v147, v4, v175
	v_add_f32_e32 v5, v2, v11
	v_fmac_f32_e32 v161, v4, v167
	v_add_f32_e32 v6, v1, v146
	v_fma_f32 v10, v3, v167, -v147
	ds_read2_b64 v[1:4], v9 offset0:109 offset1:110
	ds_read2_b64 v[146:149], v9 offset0:111 offset1:112
	s_waitcnt vmcnt(40)
	v_mul_f32_e32 v152, v8, v155
	s_waitcnt vmcnt(39) lgkmcnt(3)
	v_mul_f32_e32 v169, v138, v156
	v_mul_f32_e32 v11, v139, v156
	;; [unrolled: 1-line block ×3, first 2 shown]
	s_waitcnt vmcnt(38)
	v_mul_f32_e32 v170, v140, v158
	s_waitcnt vmcnt(34)
	v_fmac_f32_e32 v169, v139, v163
	v_fma_f32 v163, v138, v163, -v11
	v_add_f32_e32 v11, v6, v151
	v_add_f32_e32 v139, v5, v150
	s_waitcnt vmcnt(33)
	v_fma_f32 v167, v7, v181, -v152
	v_fmac_f32_e32 v166, v8, v181
	v_fmac_f32_e32 v170, v141, v162
	v_add_f32_e32 v11, v11, v157
	v_add_f32_e32 v138, v139, v154
	v_mul_f32_e32 v139, v141, v158
	s_waitcnt lgkmcnt(2)
	v_mul_f32_e32 v158, v142, v159
	v_mul_f32_e32 v154, v143, v159
	v_add_f32_e32 v10, v11, v10
	v_add_f32_e32 v138, v138, v161
	v_fma_f32 v162, v140, v162, -v139
	s_waitcnt vmcnt(32)
	v_mul_f32_e32 v159, v145, v176
	v_fmac_f32_e32 v158, v143, v160
	v_add_f32_e32 v164, v10, v164
	v_add_f32_e32 v165, v138, v165
	v_fma_f32 v160, v142, v160, -v154
	v_mul_f32_e32 v161, v144, v176
	ds_read2_b64 v[5:8], v9 offset0:113 offset1:114
	ds_read2_b64 v[150:153], v9 offset0:115 offset1:116
	v_add_f32_e32 v164, v164, v167
	v_add_f32_e32 v165, v165, v166
	s_waitcnt vmcnt(28)
	v_fma_f32 v159, v144, v188, -v159
	s_waitcnt vmcnt(27) lgkmcnt(3)
	v_mul_f32_e32 v171, v2, v197
	v_fmac_f32_e32 v161, v145, v188
	v_add_f32_e32 v163, v164, v163
	v_add_f32_e32 v165, v165, v169
	v_mul_f32_e32 v166, v1, v197
	v_fma_f32 v1, v1, v177, -v171
	ds_read2_b64 v[138:141], v9 offset0:117 offset1:118
	ds_read2_b64 v[154:157], v9 offset0:119 offset1:120
	v_add_f32_e32 v162, v163, v162
	v_add_f32_e32 v165, v165, v170
	s_waitcnt vmcnt(26)
	v_mul_f32_e32 v173, v4, v199
	v_mul_f32_e32 v167, v3, v199
	v_fmac_f32_e32 v166, v2, v177
	v_add_f32_e32 v160, v162, v160
	v_add_f32_e32 v158, v165, v158
	s_waitcnt vmcnt(25) lgkmcnt(4)
	v_mul_f32_e32 v169, v146, v200
	v_mul_f32_e32 v171, v147, v200
	v_fma_f32 v3, v3, v172, -v173
	v_add_f32_e32 v159, v160, v159
	v_add_f32_e32 v158, v158, v161
	v_fmac_f32_e32 v167, v4, v172
	s_waitcnt vmcnt(24)
	v_mul_f32_e32 v160, v149, v201
	v_fmac_f32_e32 v169, v147, v12
	v_add_f32_e32 v1, v159, v1
	v_add_f32_e32 v158, v158, v166
	v_fma_f32 v12, v146, v12, -v171
	v_mul_f32_e32 v164, v148, v201
	s_waitcnt vmcnt(23) lgkmcnt(3)
	v_mul_f32_e32 v146, v6, v187
	v_add_f32_e32 v1, v1, v3
	v_add_f32_e32 v3, v158, v167
	v_mul_f32_e32 v2, v5, v187
	s_waitcnt vmcnt(22)
	v_mul_f32_e32 v170, v7, v190
	s_waitcnt vmcnt(21) lgkmcnt(2)
	v_mul_f32_e32 v163, v150, v182
	v_add_f32_e32 v1, v1, v12
	v_add_f32_e32 v3, v3, v169
	v_mul_f32_e32 v12, v8, v190
	s_waitcnt vmcnt(9)
	v_fma_f32 v147, v148, v208, -v160
	v_fmac_f32_e32 v164, v149, v208
	v_fma_f32 v5, v5, v207, -v146
	v_fmac_f32_e32 v2, v6, v207
	v_mul_f32_e32 v6, v151, v182
	v_add_f32_e32 v1, v1, v147
	v_add_f32_e32 v3, v3, v164
	v_fma_f32 v7, v7, v206, -v12
	v_fmac_f32_e32 v170, v8, v206
	v_mul_f32_e32 v4, v152, v178
	v_add_f32_e32 v1, v1, v5
	v_add_f32_e32 v2, v3, v2
	v_mul_f32_e32 v3, v153, v178
	v_fma_f32 v5, v150, v194, -v6
	v_fmac_f32_e32 v163, v151, v194
	v_add_f32_e32 v1, v1, v7
	v_add_f32_e32 v2, v2, v170
	s_waitcnt lgkmcnt(1)
	v_mul_f32_e32 v6, v139, v202
	s_waitcnt vmcnt(5)
	v_fma_f32 v3, v152, v210, -v3
	ds_read2_b64 v[142:145], v9 offset0:121 offset1:122
	ds_read_b64 v[10:11], v9 offset:984
	v_add_f32_e32 v1, v1, v5
	v_mul_f32_e32 v172, v138, v202
	v_fmac_f32_e32 v4, v153, v210
	v_add_f32_e32 v2, v2, v163
	v_mul_f32_e32 v5, v141, v191
	v_fma_f32 v6, v138, v209, -v6
	v_add_f32_e32 v1, v1, v3
	v_mul_f32_e32 v162, v140, v191
	v_fmac_f32_e32 v172, v139, v209
	v_add_f32_e32 v2, v2, v4
	s_waitcnt lgkmcnt(2)
	v_mul_f32_e32 v3, v155, v192
	v_fma_f32 v4, v140, v196, -v5
	v_add_f32_e32 v1, v1, v6
	v_mul_f32_e32 v165, v154, v192
	v_fmac_f32_e32 v162, v141, v196
	v_add_f32_e32 v2, v2, v172
	v_mul_f32_e32 v5, v157, v203
	v_fma_f32 v3, v154, v195, -v3
	v_add_f32_e32 v1, v1, v4
	v_mul_f32_e32 v173, v156, v203
	v_fmac_f32_e32 v165, v155, v195
	v_add_f32_e32 v2, v2, v162
	s_waitcnt lgkmcnt(1)
	v_mul_f32_e32 v4, v143, v193
	s_waitcnt vmcnt(1)
	v_fma_f32 v5, v156, v213, -v5
	v_add_f32_e32 v1, v1, v3
	v_mul_f32_e32 v161, v142, v193
	v_fmac_f32_e32 v173, v157, v213
	v_add_f32_e32 v2, v2, v165
	v_mul_f32_e32 v3, v145, v204
	v_fma_f32 v4, v142, v212, -v4
	v_add_f32_e32 v1, v1, v5
	v_mul_f32_e32 v174, v144, v204
	v_fmac_f32_e32 v161, v143, v212
	v_add_f32_e32 v2, v2, v173
	s_waitcnt lgkmcnt(0)
	v_mul_f32_e32 v5, v11, v205
	v_fma_f32 v3, v144, v211, -v3
	v_add_f32_e32 v1, v1, v4
	v_mul_f32_e32 v159, v10, v205
	v_fmac_f32_e32 v174, v145, v211
	v_add_f32_e32 v2, v2, v161
	v_fma_f32 v4, v10, v168, -v5
	v_add_f32_e32 v1, v1, v3
	v_fmac_f32_e32 v159, v11, v168
	v_add_f32_e32 v2, v2, v174
	v_add_f32_e32 v1, v1, v4
	;; [unrolled: 1-line block ×3, first 2 shown]
	s_waitcnt vmcnt(0)
	v_sub_f32_e32 v1, v214, v1
	v_sub_f32_e32 v2, v189, v2
	buffer_store_dword v1, off, s[0:3], 0 offset:112
	buffer_store_dword v2, off, s[0:3], 0 offset:116
	v_cmpx_lt_u32_e32 13, v0
	s_cbranch_execz .LBB61_359
; %bb.358:
	s_clause 0x1
	buffer_load_dword v1, off, s[0:3], 0 offset:104
	buffer_load_dword v2, off, s[0:3], 0 offset:108
	buffer_store_dword v9, off, s[0:3], 0 offset:104
	buffer_store_dword v9, off, s[0:3], 0 offset:108
	s_waitcnt vmcnt(0)
	ds_write_b64 v137, v[1:2]
.LBB61_359:
	s_or_b32 exec_lo, exec_lo, s4
	s_waitcnt lgkmcnt(0)
	s_waitcnt_vscnt null, 0x0
	s_barrier
	buffer_gl0_inv
	s_clause 0x33
	buffer_load_dword v172, off, s[0:3], 0 offset:116
	buffer_load_dword v173, off, s[0:3], 0 offset:124
	;; [unrolled: 1-line block ×52, first 2 shown]
	ds_read_b128 v[181:184], v9 offset:608
	ds_read_b128 v[185:188], v9 offset:624
	;; [unrolled: 1-line block ×3, first 2 shown]
	s_clause 0x1
	buffer_load_dword v178, off, s[0:3], 0 offset:308
	buffer_load_dword v179, off, s[0:3], 0 offset:316
	ds_read_b128 v[193:196], v9 offset:656
	s_mov_b32 s4, exec_lo
	s_waitcnt vmcnt(53) lgkmcnt(3)
	v_mul_f32_e32 v197, v181, v172
	v_mul_f32_e32 v198, v182, v172
	s_waitcnt vmcnt(52)
	v_mul_f32_e32 v199, v183, v173
	v_mul_f32_e32 v173, v184, v173
	buffer_load_dword v172, off, s[0:3], 0 offset:108
	s_waitcnt vmcnt(50)
	v_fmac_f32_e32 v197, v182, v7
	v_fma_f32 v198, v181, v7, -v198
	v_fmac_f32_e32 v199, v184, v5
	v_fma_f32 v173, v183, v5, -v173
	ds_read_b128 v[181:184], v9 offset:672
	s_waitcnt vmcnt(49) lgkmcnt(3)
	v_mul_f32_e32 v200, v185, v2
	s_waitcnt vmcnt(48)
	v_mul_f32_e32 v201, v187, v3
	v_mul_f32_e32 v2, v186, v2
	;; [unrolled: 1-line block ×3, first 2 shown]
	s_waitcnt vmcnt(47) lgkmcnt(2)
	v_mul_f32_e32 v202, v189, v6
	v_mul_f32_e32 v5, v190, v6
	v_fmac_f32_e32 v200, v186, v1
	v_fma_f32 v203, v185, v1, -v2
	s_waitcnt vmcnt(46)
	v_mul_f32_e32 v204, v191, v4
	v_mul_f32_e32 v6, v192, v4
	s_waitcnt vmcnt(42)
	v_fma_f32 v205, v187, v139, -v3
	ds_read_b128 v[1:4], v9 offset:688
	v_fmac_f32_e32 v201, v188, v139
	v_fmac_f32_e32 v202, v190, v138
	v_fma_f32 v189, v189, v138, -v5
	v_fmac_f32_e32 v204, v192, v11
	v_fma_f32 v11, v191, v11, -v6
	ds_read_b128 v[185:188], v9 offset:704
	s_waitcnt vmcnt(41) lgkmcnt(3)
	v_mul_f32_e32 v190, v193, v12
	v_mul_f32_e32 v5, v194, v12
	s_waitcnt vmcnt(40)
	v_mul_f32_e32 v12, v195, v10
	v_mul_f32_e32 v6, v196, v10
	s_waitcnt vmcnt(39) lgkmcnt(2)
	v_mul_f32_e32 v10, v181, v140
	v_fmac_f32_e32 v190, v194, v8
	v_fma_f32 v191, v193, v8, -v5
	v_mul_f32_e32 v138, v182, v140
	s_waitcnt vmcnt(38)
	v_mul_f32_e32 v139, v184, v141
	s_waitcnt vmcnt(34)
	v_fmac_f32_e32 v12, v196, v147
	v_fma_f32 v147, v195, v147, -v6
	ds_read_b128 v[5:8], v9 offset:720
	v_mul_f32_e32 v192, v183, v141
	v_fmac_f32_e32 v10, v182, v146
	v_fma_f32 v146, v181, v146, -v138
	v_fma_f32 v181, v183, v144, -v139
	ds_read_b128 v[138:141], v9 offset:736
	v_fmac_f32_e32 v192, v184, v144
	s_waitcnt vmcnt(33) lgkmcnt(3)
	v_mul_f32_e32 v182, v1, v145
	v_mul_f32_e32 v144, v2, v145
	s_waitcnt vmcnt(32)
	v_mul_f32_e32 v183, v3, v143
	v_mul_f32_e32 v143, v4, v143
	s_waitcnt vmcnt(31) lgkmcnt(2)
	v_mul_f32_e32 v184, v185, v148
	v_fmac_f32_e32 v182, v2, v142
	v_fma_f32 v193, v1, v142, -v144
	v_mul_f32_e32 v142, v186, v148
	s_waitcnt vmcnt(30)
	v_mul_f32_e32 v194, v187, v149
	v_mul_f32_e32 v144, v188, v149
	s_waitcnt vmcnt(26)
	v_fmac_f32_e32 v183, v4, v155
	v_fma_f32 v148, v3, v155, -v143
	ds_read_b128 v[1:4], v9 offset:752
	v_fmac_f32_e32 v184, v186, v154
	v_fma_f32 v149, v185, v154, -v142
	s_waitcnt vmcnt(25) lgkmcnt(2)
	v_mul_f32_e32 v154, v5, v153
	v_fmac_f32_e32 v194, v188, v152
	v_fma_f32 v152, v187, v152, -v144
	ds_read_b128 v[142:145], v9 offset:768
	v_mul_f32_e32 v153, v6, v153
	s_waitcnt vmcnt(24)
	v_mul_f32_e32 v155, v7, v151
	v_mul_f32_e32 v151, v8, v151
	s_waitcnt vmcnt(23) lgkmcnt(2)
	v_mul_f32_e32 v185, v138, v156
	v_fmac_f32_e32 v154, v6, v150
	v_mul_f32_e32 v6, v139, v156
	v_fma_f32 v5, v5, v150, -v153
	s_waitcnt vmcnt(22)
	v_mul_f32_e32 v150, v140, v157
	v_mul_f32_e32 v153, v141, v157
	s_waitcnt vmcnt(18)
	v_fmac_f32_e32 v155, v8, v164
	v_fma_f32 v7, v7, v164, -v151
	v_fmac_f32_e32 v185, v139, v163
	v_fma_f32 v6, v138, v163, -v6
	s_clause 0x5
	buffer_load_dword v151, off, s[0:3], 0 offset:332
	buffer_load_dword v156, off, s[0:3], 0 offset:336
	;; [unrolled: 1-line block ×6, first 2 shown]
	v_fma_f32 v138, v140, v159, -v153
	s_waitcnt vmcnt(23) lgkmcnt(1)
	v_mul_f32_e32 v139, v1, v160
	s_waitcnt vmcnt(22)
	v_mul_f32_e32 v153, v3, v161
	v_mul_f32_e32 v8, v2, v160
	;; [unrolled: 1-line block ×3, first 2 shown]
	v_fmac_f32_e32 v150, v141, v159
	v_fmac_f32_e32 v139, v2, v158
	s_waitcnt vmcnt(18)
	v_fmac_f32_e32 v153, v4, v171
	v_fma_f32 v141, v1, v158, -v8
	v_fma_f32 v158, v3, v171, -v140
	s_waitcnt vmcnt(17) lgkmcnt(0)
	v_mul_f32_e32 v171, v142, v169
	v_mul_f32_e32 v8, v143, v169
	s_clause 0x1
	buffer_load_dword v159, off, s[0:3], 0 offset:348
	buffer_load_dword v160, off, s[0:3], 0 offset:356
	ds_read_b128 v[1:4], v9 offset:784
	buffer_load_dword v161, off, s[0:3], 0 offset:364
	s_waitcnt vmcnt(19)
	v_mul_f32_e32 v187, v144, v170
	v_mul_f32_e32 v140, v145, v170
	v_fmac_f32_e32 v171, v143, v168
	v_fma_f32 v142, v142, v168, -v8
	s_clause 0x5
	buffer_load_dword v168, off, s[0:3], 0 offset:384
	buffer_load_dword v169, off, s[0:3], 0 offset:376
	;; [unrolled: 1-line block ×6, first 2 shown]
	v_fmac_f32_e32 v187, v145, v167
	v_fma_f32 v167, v144, v167, -v140
	v_add_f32_e32 v8, 0, v197
	v_add_f32_e32 v140, 0, v198
	v_add_f32_e32 v8, v8, v199
	v_add_f32_e32 v140, v140, v173
	buffer_load_dword v173, off, s[0:3], 0 offset:388
	s_waitcnt vmcnt(25) lgkmcnt(0)
	v_mul_f32_e32 v143, v2, v166
	v_add_f32_e32 v8, v8, v200
	v_add_f32_e32 v140, v140, v203
	s_waitcnt vmcnt(24)
	v_mul_f32_e32 v144, v4, v165
	s_clause 0x3
	buffer_load_dword v197, off, s[0:3], 0 offset:396
	buffer_load_dword v198, off, s[0:3], 0 offset:404
	;; [unrolled: 1-line block ×4, first 2 shown]
	v_add_f32_e32 v8, v8, v201
	v_add_f32_e32 v140, v140, v205
	v_mul_f32_e32 v201, v1, v166
	v_mul_f32_e32 v166, v3, v165
	v_add_f32_e32 v8, v8, v202
	v_add_f32_e32 v140, v140, v189
	v_fmac_f32_e32 v201, v2, v162
	v_fma_f32 v162, v1, v162, -v143
	s_clause 0x3
	buffer_load_dword v165, off, s[0:3], 0 offset:428
	buffer_load_dword v189, off, s[0:3], 0 offset:436
	;; [unrolled: 1-line block ×4, first 2 shown]
	v_add_f32_e32 v1, v8, v204
	v_add_f32_e32 v2, v140, v11
	s_waitcnt vmcnt(27)
	v_fmac_f32_e32 v166, v4, v180
	v_fma_f32 v11, v3, v180, -v144
	s_clause 0x1
	buffer_load_dword v180, off, s[0:3], 0 offset:460
	buffer_load_dword v204, off, s[0:3], 0 offset:468
	v_add_f32_e32 v1, v1, v190
	v_add_f32_e32 v2, v2, v191
	s_clause 0x6
	buffer_load_dword v190, off, s[0:3], 0 offset:476
	buffer_load_dword v191, off, s[0:3], 0 offset:484
	;; [unrolled: 1-line block ×7, first 2 shown]
	v_add_f32_e32 v1, v1, v12
	v_add_f32_e32 v2, v2, v147
	;; [unrolled: 1-line block ×6, first 2 shown]
	s_clause 0x3
	buffer_load_dword v181, off, s[0:3], 0 offset:448
	buffer_load_dword v192, off, s[0:3], 0 offset:440
	;; [unrolled: 1-line block ×4, first 2 shown]
	v_add_f32_e32 v1, v1, v182
	v_add_f32_e32 v2, v2, v193
	;; [unrolled: 1-line block ×3, first 2 shown]
	s_clause 0x4
	buffer_load_dword v182, off, s[0:3], 0 offset:480
	buffer_load_dword v183, off, s[0:3], 0 offset:472
	;; [unrolled: 1-line block ×5, first 2 shown]
	v_add_f32_e32 v2, v2, v148
	v_add_f32_e32 v1, v1, v184
	buffer_load_dword v184, off, s[0:3], 0 offset:488
	v_add_f32_e32 v2, v2, v149
	v_add_f32_e32 v1, v1, v194
	;; [unrolled: 1-line block ×5, first 2 shown]
	ds_read_b128 v[1:4], v9 offset:800
	v_add_f32_e32 v5, v5, v7
	v_add_f32_e32 v7, v8, v155
	;; [unrolled: 1-line block ×4, first 2 shown]
	ds_read_b128 v[5:8], v9 offset:816
	v_add_f32_e32 v10, v10, v138
	v_add_f32_e32 v12, v12, v150
	;; [unrolled: 1-line block ×4, first 2 shown]
	s_waitcnt vmcnt(44) lgkmcnt(1)
	v_mul_f32_e32 v154, v3, v179
	v_mul_f32_e32 v140, v4, v179
	v_mul_f32_e32 v152, v1, v178
	v_add_f32_e32 v10, v10, v158
	v_add_f32_e32 v12, v12, v153
	v_mul_f32_e32 v138, v2, v178
	v_fmac_f32_e32 v154, v4, v176
	v_fma_f32 v155, v3, v176, -v140
	v_add_f32_e32 v10, v10, v142
	v_add_f32_e32 v12, v12, v171
	s_waitcnt lgkmcnt(0)
	v_mul_f32_e32 v158, v5, v175
	v_mul_f32_e32 v143, v6, v175
	v_fmac_f32_e32 v152, v2, v177
	v_fma_f32 v150, v1, v177, -v138
	ds_read_b128 v[1:4], v9 offset:832
	ds_read_b128 v[138:141], v9 offset:848
	v_add_f32_e32 v10, v10, v167
	v_fmac_f32_e32 v158, v6, v174
	v_fma_f32 v174, v5, v174, -v143
	v_add_f32_e32 v12, v12, v187
	v_add_f32_e32 v10, v10, v162
	;; [unrolled: 1-line block ×9, first 2 shown]
	s_waitcnt vmcnt(42)
	v_mul_f32_e32 v176, v7, v151
	v_mul_f32_e32 v144, v8, v151
	s_waitcnt vmcnt(40) lgkmcnt(1)
	v_mul_f32_e32 v167, v1, v157
	v_mul_f32_e32 v146, v2, v157
	s_waitcnt vmcnt(37)
	v_fmac_f32_e32 v176, v8, v186
	v_fma_f32 v175, v7, v186, -v144
	ds_read_b128 v[5:8], v9 offset:864
	ds_read_b128 v[142:145], v9 offset:880
	v_fmac_f32_e32 v167, v2, v156
	v_fma_f32 v156, v1, v156, -v146
	s_waitcnt vmcnt(36)
	v_mul_f32_e32 v157, v3, v159
	v_mul_f32_e32 v147, v4, v159
	s_waitcnt vmcnt(35) lgkmcnt(2)
	v_mul_f32_e32 v159, v138, v160
	v_mul_f32_e32 v151, v139, v160
	s_waitcnt vmcnt(34)
	v_mul_f32_e32 v12, v141, v161
	v_mul_f32_e32 v162, v140, v161
	v_fmac_f32_e32 v157, v4, v164
	v_fmac_f32_e32 v159, v139, v163
	v_fma_f32 v161, v138, v163, -v151
	s_waitcnt vmcnt(29) lgkmcnt(1)
	v_mul_f32_e32 v155, v5, v195
	v_fma_f32 v163, v140, v188, -v12
	v_mul_f32_e32 v12, v6, v195
	v_fma_f32 v160, v3, v164, -v147
	s_waitcnt vmcnt(28)
	v_mul_f32_e32 v154, v7, v196
	v_fmac_f32_e32 v155, v6, v170
	v_add_f32_e32 v6, v10, v174
	v_mul_f32_e32 v164, v8, v196
	v_add_f32_e32 v10, v11, v158
	v_fmac_f32_e32 v154, v8, v169
	ds_read_b128 v[1:4], v9 offset:896
	ds_read_b128 v[146:149], v9 offset:912
	v_add_f32_e32 v166, v6, v175
	v_fma_f32 v164, v7, v169, -v164
	v_add_f32_e32 v169, v10, v176
	v_fmac_f32_e32 v162, v141, v188
	v_fma_f32 v158, v5, v170, -v12
	v_add_f32_e32 v156, v166, v156
	s_waitcnt vmcnt(27) lgkmcnt(2)
	v_mul_f32_e32 v166, v143, v173
	v_add_f32_e32 v167, v169, v167
	v_mul_f32_e32 v170, v142, v173
	s_waitcnt vmcnt(26)
	v_mul_f32_e32 v171, v145, v197
	v_add_f32_e32 v156, v156, v160
	v_fma_f32 v142, v142, v168, -v166
	v_add_f32_e32 v157, v167, v157
	v_mul_f32_e32 v169, v144, v197
	v_fmac_f32_e32 v170, v143, v168
	v_add_f32_e32 v156, v156, v161
	ds_read_b128 v[138:141], v9 offset:928
	ds_read_b128 v[150:153], v9 offset:944
	v_add_f32_e32 v157, v157, v159
	s_waitcnt vmcnt(25) lgkmcnt(3)
	v_mul_f32_e32 v160, v1, v198
	s_waitcnt vmcnt(24)
	v_mul_f32_e32 v167, v3, v199
	v_add_f32_e32 v156, v156, v163
	s_waitcnt vmcnt(23) lgkmcnt(2)
	v_mul_f32_e32 v173, v146, v200
	v_add_f32_e32 v157, v157, v162
	s_waitcnt vmcnt(22)
	v_mul_f32_e32 v161, v148, v165
	s_waitcnt vmcnt(12)
	v_fmac_f32_e32 v167, v4, v207
	v_add_f32_e32 v156, v156, v158
	s_waitcnt vmcnt(10)
	v_fma_f32 v144, v144, v209, -v171
	v_add_f32_e32 v155, v157, v155
	v_fmac_f32_e32 v169, v145, v209
	v_fmac_f32_e32 v160, v2, v208
	v_add_f32_e32 v156, v156, v164
	v_fmac_f32_e32 v173, v147, v206
	v_add_f32_e32 v154, v155, v154
	v_mul_f32_e32 v155, v2, v198
	ds_read_b128 v[5:8], v9 offset:960
	ds_read_b128 v[9:12], v9 offset:976
	v_add_f32_e32 v142, v156, v142
	s_waitcnt lgkmcnt(3)
	v_mul_f32_e32 v159, v138, v189
	v_add_f32_e32 v145, v154, v170
	v_mul_f32_e32 v154, v4, v199
	v_fma_f32 v1, v1, v208, -v155
	v_add_f32_e32 v2, v142, v144
	v_mul_f32_e32 v144, v147, v200
	v_add_f32_e32 v142, v145, v169
	v_fma_f32 v3, v3, v207, -v154
	v_mul_f32_e32 v4, v149, v165
	v_add_f32_e32 v1, v2, v1
	s_waitcnt vmcnt(6)
	v_fmac_f32_e32 v161, v149, v211
	v_add_f32_e32 v2, v142, v160
	v_fma_f32 v142, v146, v206, -v144
	v_fma_f32 v4, v148, v211, -v4
	v_add_f32_e32 v1, v1, v3
	v_mul_f32_e32 v3, v139, v189
	v_add_f32_e32 v2, v2, v167
	v_mul_f32_e32 v174, v140, v202
	v_fmac_f32_e32 v159, v139, v210
	v_add_f32_e32 v1, v1, v142
	v_mul_f32_e32 v142, v141, v202
	v_add_f32_e32 v2, v2, v173
	v_fma_f32 v3, v138, v210, -v3
	s_waitcnt lgkmcnt(2)
	v_mul_f32_e32 v163, v150, v203
	v_add_f32_e32 v1, v1, v4
	v_mul_f32_e32 v4, v151, v203
	v_add_f32_e32 v2, v2, v161
	v_fma_f32 v138, v140, v192, -v142
	v_fmac_f32_e32 v174, v141, v192
	v_add_f32_e32 v1, v1, v3
	v_mul_f32_e32 v3, v153, v180
	v_add_f32_e32 v2, v2, v159
	v_fma_f32 v4, v150, v181, -v4
	v_mul_f32_e32 v162, v152, v180
	v_add_f32_e32 v1, v1, v138
	v_fmac_f32_e32 v163, v151, v181
	v_add_f32_e32 v2, v2, v174
	s_waitcnt lgkmcnt(1)
	v_mul_f32_e32 v138, v6, v204
	s_waitcnt vmcnt(2)
	v_fma_f32 v3, v152, v212, -v3
	v_add_f32_e32 v1, v1, v4
	v_mul_f32_e32 v175, v5, v204
	v_fmac_f32_e32 v162, v153, v212
	v_add_f32_e32 v2, v2, v163
	v_mul_f32_e32 v4, v8, v190
	v_fma_f32 v5, v5, v193, -v138
	v_add_f32_e32 v1, v1, v3
	v_mul_f32_e32 v158, v7, v190
	v_fmac_f32_e32 v175, v6, v193
	v_add_f32_e32 v2, v2, v162
	s_waitcnt lgkmcnt(0)
	v_mul_f32_e32 v3, v10, v191
	v_fma_f32 v4, v7, v183, -v4
	v_add_f32_e32 v1, v1, v5
	v_mul_f32_e32 v157, v9, v191
	v_fmac_f32_e32 v158, v8, v183
	v_add_f32_e32 v2, v2, v175
	v_mul_f32_e32 v5, v12, v205
	v_fma_f32 v3, v9, v182, -v3
	v_add_f32_e32 v1, v1, v4
	v_mul_f32_e32 v143, v11, v205
	v_fmac_f32_e32 v157, v10, v182
	v_add_f32_e32 v2, v2, v158
	s_waitcnt vmcnt(0)
	v_fma_f32 v4, v11, v184, -v5
	v_add_f32_e32 v1, v1, v3
	v_fmac_f32_e32 v143, v12, v184
	v_add_f32_e32 v2, v2, v157
	v_add_f32_e32 v1, v1, v4
	;; [unrolled: 1-line block ×3, first 2 shown]
	v_sub_f32_e32 v1, v213, v1
	v_sub_f32_e32 v2, v172, v2
	buffer_store_dword v1, off, s[0:3], 0 offset:104
	buffer_store_dword v2, off, s[0:3], 0 offset:108
	v_cmpx_lt_u32_e32 12, v0
	s_cbranch_execz .LBB61_361
; %bb.360:
	s_clause 0x1
	buffer_load_dword v1, off, s[0:3], 0 offset:96
	buffer_load_dword v2, off, s[0:3], 0 offset:100
	v_mov_b32_e32 v3, 0
	buffer_store_dword v3, off, s[0:3], 0 offset:96
	buffer_store_dword v3, off, s[0:3], 0 offset:100
	s_waitcnt vmcnt(0)
	ds_write_b64 v137, v[1:2]
.LBB61_361:
	s_or_b32 exec_lo, exec_lo, s4
	s_waitcnt lgkmcnt(0)
	s_waitcnt_vscnt null, 0x0
	s_barrier
	buffer_gl0_inv
	s_clause 0x33
	buffer_load_dword v11, off, s[0:3], 0 offset:108
	buffer_load_dword v12, off, s[0:3], 0 offset:116
	;; [unrolled: 1-line block ×52, first 2 shown]
	v_mov_b32_e32 v9, 0
	ds_read2_b64 v[5:8], v9 offset0:75 offset1:76
	ds_read2_b64 v[1:4], v9 offset0:77 offset1:78
	ds_read2_b64 v[190:193], v9 offset0:79 offset1:80
	s_clause 0x2
	buffer_load_dword v187, off, s[0:3], 0 offset:300
	buffer_load_dword v188, off, s[0:3], 0 offset:308
	;; [unrolled: 1-line block ×3, first 2 shown]
	ds_read2_b64 v[194:197], v9 offset0:81 offset1:82
	s_mov_b32 s4, exec_lo
	s_waitcnt vmcnt(54) lgkmcnt(3)
	v_mul_f32_e32 v198, v5, v11
	s_waitcnt vmcnt(53)
	v_mul_f32_e32 v199, v7, v12
	v_mul_f32_e32 v11, v6, v11
	;; [unrolled: 1-line block ×3, first 2 shown]
	s_waitcnt vmcnt(50)
	v_fmac_f32_e32 v198, v6, v143
	v_fmac_f32_e32 v199, v8, v141
	v_fma_f32 v11, v5, v143, -v11
	v_fma_f32 v12, v7, v141, -v12
	ds_read2_b64 v[5:8], v9 offset0:83 offset1:84
	s_waitcnt vmcnt(49) lgkmcnt(3)
	v_mul_f32_e32 v200, v1, v138
	s_waitcnt vmcnt(48)
	v_mul_f32_e32 v201, v3, v139
	v_mul_f32_e32 v138, v2, v138
	;; [unrolled: 1-line block ×3, first 2 shown]
	s_waitcnt vmcnt(47) lgkmcnt(2)
	v_mul_f32_e32 v202, v190, v142
	v_mul_f32_e32 v141, v191, v142
	v_fmac_f32_e32 v200, v2, v10
	v_fma_f32 v10, v1, v10, -v138
	s_waitcnt vmcnt(46)
	v_mul_f32_e32 v203, v192, v140
	v_mul_f32_e32 v138, v193, v140
	s_waitcnt vmcnt(42)
	v_fmac_f32_e32 v201, v4, v149
	v_fma_f32 v149, v3, v149, -v139
	ds_read2_b64 v[1:4], v9 offset0:85 offset1:86
	v_fmac_f32_e32 v202, v191, v148
	v_fma_f32 v148, v190, v148, -v141
	v_fmac_f32_e32 v203, v193, v146
	v_fma_f32 v146, v192, v146, -v138
	ds_read2_b64 v[138:141], v9 offset0:87 offset1:88
	s_waitcnt vmcnt(41) lgkmcnt(3)
	v_mul_f32_e32 v190, v194, v147
	v_mul_f32_e32 v142, v195, v147
	s_waitcnt vmcnt(40)
	v_mul_f32_e32 v147, v196, v145
	v_mul_f32_e32 v143, v197, v145
	s_waitcnt vmcnt(39) lgkmcnt(2)
	v_mul_f32_e32 v191, v5, v150
	v_fmac_f32_e32 v190, v195, v144
	v_fma_f32 v192, v194, v144, -v142
	s_waitcnt vmcnt(38)
	v_mul_f32_e32 v193, v7, v151
	v_mul_f32_e32 v150, v6, v150
	;; [unrolled: 1-line block ×3, first 2 shown]
	s_waitcnt vmcnt(34)
	v_fmac_f32_e32 v147, v197, v157
	v_fma_f32 v157, v196, v157, -v143
	ds_read2_b64 v[142:145], v9 offset0:89 offset1:90
	v_fmac_f32_e32 v191, v6, v156
	v_fmac_f32_e32 v193, v8, v154
	v_fma_f32 v150, v5, v156, -v150
	v_fma_f32 v151, v7, v154, -v151
	ds_read2_b64 v[5:8], v9 offset0:91 offset1:92
	s_waitcnt vmcnt(33) lgkmcnt(3)
	v_mul_f32_e32 v154, v1, v155
	v_mul_f32_e32 v155, v2, v155
	s_waitcnt vmcnt(32)
	v_mul_f32_e32 v156, v3, v153
	v_mul_f32_e32 v153, v4, v153
	s_waitcnt vmcnt(31) lgkmcnt(2)
	v_mul_f32_e32 v194, v138, v158
	v_fmac_f32_e32 v154, v2, v152
	v_fma_f32 v152, v1, v152, -v155
	s_waitcnt vmcnt(30)
	v_mul_f32_e32 v155, v140, v159
	v_mul_f32_e32 v159, v141, v159
	;; [unrolled: 1-line block ×3, first 2 shown]
	s_waitcnt vmcnt(26)
	v_fmac_f32_e32 v156, v4, v166
	v_fma_f32 v153, v3, v166, -v153
	v_fmac_f32_e32 v155, v141, v163
	v_fma_f32 v159, v140, v163, -v159
	s_waitcnt vmcnt(25) lgkmcnt(1)
	v_mul_f32_e32 v163, v142, v164
	v_mul_f32_e32 v164, v143, v164
	ds_read2_b64 v[1:4], v9 offset0:93 offset1:94
	v_fmac_f32_e32 v194, v139, v165
	v_fma_f32 v158, v138, v165, -v158
	s_waitcnt vmcnt(24)
	v_mul_f32_e32 v165, v144, v162
	v_mul_f32_e32 v162, v145, v162
	s_waitcnt vmcnt(23) lgkmcnt(1)
	v_mul_f32_e32 v166, v5, v167
	v_fmac_f32_e32 v163, v143, v160
	v_fma_f32 v142, v142, v160, -v164
	v_mul_f32_e32 v160, v6, v167
	ds_read2_b64 v[138:141], v9 offset0:95 offset1:96
	s_waitcnt vmcnt(22)
	v_mul_f32_e32 v143, v7, v169
	v_mul_f32_e32 v164, v8, v169
	s_waitcnt vmcnt(18)
	v_fmac_f32_e32 v165, v145, v177
	v_fma_f32 v144, v144, v177, -v162
	v_fmac_f32_e32 v166, v6, v176
	v_fma_f32 v5, v5, v176, -v160
	s_clause 0x5
	buffer_load_dword v145, off, s[0:3], 0 offset:324
	buffer_load_dword v160, off, s[0:3], 0 offset:328
	;; [unrolled: 1-line block ×6, first 2 shown]
	v_fmac_f32_e32 v143, v8, v175
	v_fma_f32 v6, v7, v175, -v164
	s_clause 0x1
	buffer_load_dword v164, off, s[0:3], 0 offset:340
	buffer_load_dword v175, off, s[0:3], 0 offset:348
	s_waitcnt vmcnt(25) lgkmcnt(1)
	v_mul_f32_e32 v177, v1, v173
	s_waitcnt vmcnt(24)
	v_mul_f32_e32 v195, v3, v174
	v_mul_f32_e32 v7, v2, v173
	;; [unrolled: 1-line block ×3, first 2 shown]
	buffer_load_dword v173, off, s[0:3], 0 offset:356
	v_fmac_f32_e32 v177, v2, v171
	s_waitcnt vmcnt(21)
	v_fmac_f32_e32 v195, v4, v185
	v_fma_f32 v171, v1, v171, -v7
	v_fma_f32 v174, v3, v185, -v8
	ds_read2_b64 v[1:4], v9 offset0:97 offset1:98
	s_waitcnt vmcnt(20) lgkmcnt(1)
	v_mul_f32_e32 v185, v138, v183
	s_waitcnt vmcnt(19)
	v_mul_f32_e32 v196, v140, v184
	v_mul_f32_e32 v7, v139, v183
	;; [unrolled: 1-line block ×3, first 2 shown]
	s_clause 0x4
	buffer_load_dword v183, off, s[0:3], 0 offset:376
	buffer_load_dword v184, off, s[0:3], 0 offset:368
	;; [unrolled: 1-line block ×5, first 2 shown]
	v_fmac_f32_e32 v185, v139, v182
	v_fmac_f32_e32 v196, v141, v181
	v_fma_f32 v182, v138, v182, -v7
	v_add_f32_e32 v7, 0, v198
	v_fma_f32 v181, v140, v181, -v8
	buffer_load_dword v198, off, s[0:3], 0 offset:372
	v_add_f32_e32 v8, 0, v11
	v_add_f32_e32 v7, v7, v199
	buffer_load_dword v199, off, s[0:3], 0 offset:380
	v_add_f32_e32 v8, v8, v12
	v_add_f32_e32 v7, v7, v200
	s_waitcnt vmcnt(25) lgkmcnt(0)
	v_mul_f32_e32 v11, v1, v180
	v_mul_f32_e32 v12, v2, v180
	s_waitcnt vmcnt(24)
	v_mul_f32_e32 v180, v3, v179
	v_mul_f32_e32 v138, v4, v179
	v_fmac_f32_e32 v11, v2, v178
	v_add_f32_e32 v2, v7, v201
	v_fma_f32 v12, v1, v178, -v12
	s_clause 0x2
	buffer_load_dword v178, off, s[0:3], 0 offset:388
	buffer_load_dword v179, off, s[0:3], 0 offset:396
	;; [unrolled: 1-line block ×3, first 2 shown]
	v_add_f32_e32 v1, v8, v10
	buffer_load_dword v201, off, s[0:3], 0 offset:420
	v_add_f32_e32 v2, v2, v202
	s_waitcnt vmcnt(23)
	v_fmac_f32_e32 v180, v4, v186
	v_fma_f32 v10, v3, v186, -v138
	s_clause 0x5
	buffer_load_dword v186, off, s[0:3], 0 offset:412
	buffer_load_dword v202, off, s[0:3], 0 offset:408
	;; [unrolled: 1-line block ×6, first 2 shown]
	v_add_f32_e32 v1, v1, v149
	v_add_f32_e32 v2, v2, v203
	s_clause 0x1
	buffer_load_dword v203, off, s[0:3], 0 offset:436
	buffer_load_dword v210, off, s[0:3], 0 offset:444
	v_add_f32_e32 v1, v1, v148
	v_add_f32_e32 v2, v2, v190
	;; [unrolled: 1-line block ×6, first 2 shown]
	s_clause 0x5
	buffer_load_dword v190, off, s[0:3], 0 offset:452
	buffer_load_dword v192, off, s[0:3], 0 offset:460
	;; [unrolled: 1-line block ×6, first 2 shown]
	v_add_f32_e32 v2, v2, v193
	s_clause 0x3
	buffer_load_dword v193, off, s[0:3], 0 offset:440
	buffer_load_dword v214, off, s[0:3], 0 offset:432
	;; [unrolled: 1-line block ×4, first 2 shown]
	v_add_f32_e32 v1, v1, v157
	v_add_f32_e32 v2, v2, v154
	;; [unrolled: 1-line block ×6, first 2 shown]
	s_clause 0x3
	buffer_load_dword v194, off, s[0:3], 0 offset:472
	buffer_load_dword v217, off, s[0:3], 0 offset:464
	;; [unrolled: 1-line block ×4, first 2 shown]
	v_add_f32_e32 v1, v1, v152
	v_add_f32_e32 v2, v2, v155
	;; [unrolled: 1-line block ×5, first 2 shown]
	s_clause 0x1
	buffer_load_dword v158, off, s[0:3], 0 offset:488
	buffer_load_dword v220, off, s[0:3], 0 offset:480
	v_add_f32_e32 v7, v2, v165
	v_add_f32_e32 v1, v1, v159
	buffer_load_dword v159, off, s[0:3], 0 offset:96
	v_add_f32_e32 v7, v7, v166
	v_add_f32_e32 v1, v1, v142
	;; [unrolled: 1-line block ×4, first 2 shown]
	ds_read2_b64 v[1:4], v9 offset0:99 offset1:100
	v_add_f32_e32 v138, v138, v177
	v_add_f32_e32 v5, v8, v5
	;; [unrolled: 1-line block ×4, first 2 shown]
	ds_read2_b64 v[5:8], v9 offset0:101 offset1:102
	v_add_f32_e32 v142, v142, v185
	v_add_f32_e32 v139, v139, v171
	;; [unrolled: 1-line block ×4, first 2 shown]
	s_waitcnt vmcnt(47) lgkmcnt(1)
	v_mul_f32_e32 v146, v1, v187
	s_waitcnt vmcnt(46)
	v_mul_f32_e32 v150, v3, v188
	v_mul_f32_e32 v140, v2, v187
	;; [unrolled: 1-line block ×3, first 2 shown]
	v_add_f32_e32 v143, v143, v182
	v_fmac_f32_e32 v146, v2, v172
	v_fmac_f32_e32 v150, v4, v170
	v_fma_f32 v147, v1, v172, -v140
	v_fma_f32 v151, v3, v170, -v141
	v_add_f32_e32 v149, v143, v181
	ds_read2_b64 v[1:4], v9 offset0:103 offset1:104
	ds_read2_b64 v[138:141], v9 offset0:105 offset1:106
	s_waitcnt lgkmcnt(2)
	v_mul_f32_e32 v154, v5, v168
	v_mul_f32_e32 v144, v6, v168
	v_add_f32_e32 v12, v149, v12
	v_add_f32_e32 v11, v148, v11
	v_fmac_f32_e32 v154, v6, v161
	v_fma_f32 v156, v5, v161, -v144
	v_add_f32_e32 v10, v12, v10
	v_add_f32_e32 v11, v11, v180
	;; [unrolled: 1-line block ×8, first 2 shown]
	s_waitcnt vmcnt(44)
	v_mul_f32_e32 v155, v7, v145
	v_mul_f32_e32 v145, v8, v145
	s_waitcnt vmcnt(42) lgkmcnt(1)
	v_mul_f32_e32 v161, v1, v162
	v_mul_f32_e32 v148, v2, v162
	s_waitcnt vmcnt(39)
	v_fmac_f32_e32 v155, v8, v176
	v_fma_f32 v157, v7, v176, -v145
	ds_read2_b64 v[5:8], v9 offset0:107 offset1:108
	ds_read2_b64 v[142:145], v9 offset0:109 offset1:110
	s_waitcnt vmcnt(37) lgkmcnt(2)
	v_mul_f32_e32 v163, v138, v175
	v_mul_f32_e32 v152, v139, v175
	;; [unrolled: 1-line block ×3, first 2 shown]
	v_fmac_f32_e32 v161, v2, v160
	v_fma_f32 v160, v1, v160, -v148
	v_fmac_f32_e32 v163, v139, v167
	v_fma_f32 v165, v138, v167, -v152
	v_add_f32_e32 v10, v10, v157
	v_mul_f32_e32 v162, v3, v164
	v_fma_f32 v164, v3, v169, -v149
	s_waitcnt vmcnt(36)
	v_mul_f32_e32 v153, v141, v173
	v_mul_f32_e32 v12, v140, v173
	v_add_f32_e32 v160, v10, v160
	v_fmac_f32_e32 v162, v4, v169
	ds_read2_b64 v[1:4], v9 offset0:111 offset1:112
	ds_read2_b64 v[146:149], v9 offset0:113 offset1:114
	s_waitcnt vmcnt(32)
	v_fma_f32 v166, v140, v204, -v153
	v_fmac_f32_e32 v12, v141, v204
	v_add_f32_e32 v160, v160, v164
	s_waitcnt vmcnt(31) lgkmcnt(3)
	v_mul_f32_e32 v167, v5, v205
	v_mul_f32_e32 v154, v6, v205
	ds_read2_b64 v[138:141], v9 offset0:115 offset1:116
	ds_read2_b64 v[150:153], v9 offset0:117 offset1:118
	s_waitcnt vmcnt(30)
	v_mul_f32_e32 v156, v8, v198
	v_add_f32_e32 v160, v160, v165
	v_fmac_f32_e32 v167, v6, v197
	v_add_f32_e32 v6, v11, v155
	v_fma_f32 v169, v5, v197, -v154
	v_mul_f32_e32 v168, v7, v198
	v_add_f32_e32 v160, v160, v166
	v_fma_f32 v170, v7, v184, -v156
	v_add_f32_e32 v161, v6, v161
	s_waitcnt vmcnt(29) lgkmcnt(4)
	v_mul_f32_e32 v171, v143, v199
	v_fmac_f32_e32 v168, v8, v184
	v_add_f32_e32 v160, v160, v169
	ds_read2_b64 v[5:8], v9 offset0:119 offset1:120
	ds_read2_b64 v[154:157], v9 offset0:121 offset1:122
	ds_read_b64 v[10:11], v9 offset:984
	v_add_f32_e32 v161, v161, v162
	v_mul_f32_e32 v162, v142, v199
	s_waitcnt vmcnt(28)
	v_mul_f32_e32 v172, v145, v178
	v_fma_f32 v142, v142, v183, -v171
	v_add_f32_e32 v160, v160, v170
	v_add_f32_e32 v161, v161, v163
	v_mul_f32_e32 v164, v144, v178
	v_fmac_f32_e32 v162, v143, v183
	s_waitcnt vmcnt(27) lgkmcnt(6)
	v_mul_f32_e32 v163, v1, v179
	v_mul_f32_e32 v171, v2, v179
	v_add_f32_e32 v12, v161, v12
	s_waitcnt vmcnt(20)
	v_fma_f32 v144, v144, v208, -v172
	v_add_f32_e32 v142, v160, v142
	v_fmac_f32_e32 v164, v145, v208
	v_fmac_f32_e32 v163, v2, v207
	v_add_f32_e32 v12, v12, v167
	v_fma_f32 v1, v1, v207, -v171
	v_add_f32_e32 v2, v142, v144
	v_mul_f32_e32 v165, v3, v200
	s_waitcnt lgkmcnt(5)
	v_mul_f32_e32 v142, v147, v186
	v_add_f32_e32 v12, v12, v168
	v_mul_f32_e32 v168, v4, v200
	v_add_f32_e32 v1, v2, v1
	v_mul_f32_e32 v143, v146, v186
	v_fmac_f32_e32 v165, v4, v206
	v_add_f32_e32 v12, v12, v162
	v_fma_f32 v3, v3, v206, -v168
	v_mul_f32_e32 v4, v149, v201
	v_mul_f32_e32 v161, v148, v201
	v_fmac_f32_e32 v143, v147, v202
	v_add_f32_e32 v12, v12, v164
	v_add_f32_e32 v1, v1, v3
	s_waitcnt vmcnt(19) lgkmcnt(4)
	v_mul_f32_e32 v3, v139, v209
	s_waitcnt vmcnt(7)
	v_fma_f32 v4, v148, v216, -v4
	v_mul_f32_e32 v166, v138, v209
	v_add_f32_e32 v2, v12, v163
	v_fma_f32 v12, v146, v202, -v142
	v_fmac_f32_e32 v161, v149, v216
	v_fma_f32 v3, v138, v215, -v3
	v_mul_f32_e32 v145, v140, v203
	v_add_f32_e32 v2, v2, v165
	v_add_f32_e32 v1, v1, v12
	v_mul_f32_e32 v12, v141, v203
	v_fmac_f32_e32 v166, v139, v215
	s_waitcnt lgkmcnt(3)
	v_mul_f32_e32 v172, v150, v210
	v_add_f32_e32 v2, v2, v143
	v_add_f32_e32 v1, v1, v4
	v_mul_f32_e32 v4, v151, v210
	v_fma_f32 v12, v140, v214, -v12
	v_fmac_f32_e32 v145, v141, v214
	v_add_f32_e32 v2, v2, v161
	v_add_f32_e32 v1, v1, v3
	v_mul_f32_e32 v3, v153, v190
	v_fma_f32 v4, v150, v193, -v4
	v_mul_f32_e32 v167, v152, v190
	v_add_f32_e32 v2, v2, v166
	v_add_f32_e32 v1, v1, v12
	v_fmac_f32_e32 v172, v151, v193
	s_waitcnt lgkmcnt(2)
	v_mul_f32_e32 v12, v6, v192
	s_waitcnt vmcnt(3)
	v_fma_f32 v3, v152, v219, -v3
	v_add_f32_e32 v2, v2, v145
	v_add_f32_e32 v1, v1, v4
	v_mul_f32_e32 v169, v5, v192
	v_fmac_f32_e32 v167, v153, v219
	v_mul_f32_e32 v4, v8, v211
	v_add_f32_e32 v2, v2, v172
	v_fma_f32 v5, v5, v218, -v12
	v_add_f32_e32 v1, v1, v3
	v_mul_f32_e32 v173, v7, v211
	v_fmac_f32_e32 v169, v6, v218
	v_add_f32_e32 v2, v2, v167
	s_waitcnt lgkmcnt(1)
	v_mul_f32_e32 v3, v155, v212
	v_fma_f32 v4, v7, v217, -v4
	v_add_f32_e32 v1, v1, v5
	v_mul_f32_e32 v170, v154, v212
	v_fmac_f32_e32 v173, v8, v217
	v_add_f32_e32 v2, v2, v169
	v_mul_f32_e32 v5, v157, v213
	v_fma_f32 v3, v154, v194, -v3
	v_add_f32_e32 v1, v1, v4
	v_mul_f32_e32 v174, v156, v213
	v_fmac_f32_e32 v170, v155, v194
	v_add_f32_e32 v2, v2, v173
	s_waitcnt lgkmcnt(0)
	v_mul_f32_e32 v4, v11, v191
	s_waitcnt vmcnt(1)
	v_fma_f32 v5, v156, v220, -v5
	v_add_f32_e32 v1, v1, v3
	v_mul_f32_e32 v160, v10, v191
	v_fmac_f32_e32 v174, v157, v220
	v_add_f32_e32 v2, v2, v170
	v_fma_f32 v3, v10, v158, -v4
	v_add_f32_e32 v1, v1, v5
	v_fmac_f32_e32 v160, v11, v158
	v_add_f32_e32 v2, v2, v174
	v_add_f32_e32 v1, v1, v3
	;; [unrolled: 1-line block ×3, first 2 shown]
	s_waitcnt vmcnt(0)
	v_sub_f32_e32 v1, v159, v1
	v_sub_f32_e32 v2, v189, v2
	buffer_store_dword v1, off, s[0:3], 0 offset:96
	buffer_store_dword v2, off, s[0:3], 0 offset:100
	v_cmpx_lt_u32_e32 11, v0
	s_cbranch_execz .LBB61_363
; %bb.362:
	s_clause 0x1
	buffer_load_dword v1, off, s[0:3], 0 offset:88
	buffer_load_dword v2, off, s[0:3], 0 offset:92
	buffer_store_dword v9, off, s[0:3], 0 offset:88
	buffer_store_dword v9, off, s[0:3], 0 offset:92
	s_waitcnt vmcnt(0)
	ds_write_b64 v137, v[1:2]
.LBB61_363:
	s_or_b32 exec_lo, exec_lo, s4
	s_waitcnt lgkmcnt(0)
	s_waitcnt_vscnt null, 0x0
	s_barrier
	buffer_gl0_inv
	s_clause 0x35
	buffer_load_dword v1, off, s[0:3], 0 offset:100
	buffer_load_dword v3, off, s[0:3], 0 offset:108
	;; [unrolled: 1-line block ×54, first 2 shown]
	ds_read_b128 v[182:185], v9 offset:592
	ds_read_b128 v[186:189], v9 offset:608
	;; [unrolled: 1-line block ×4, first 2 shown]
	buffer_load_dword v176, off, s[0:3], 0 offset:92
	s_mov_b32 s4, exec_lo
	s_waitcnt vmcnt(54) lgkmcnt(3)
	v_mul_f32_e32 v198, v182, v1
	v_mul_f32_e32 v1, v183, v1
	s_waitcnt vmcnt(53)
	v_mul_f32_e32 v199, v184, v3
	v_mul_f32_e32 v3, v185, v3
	s_waitcnt vmcnt(52) lgkmcnt(2)
	v_mul_f32_e32 v200, v186, v5
	v_mul_f32_e32 v5, v187, v5
	s_waitcnt vmcnt(49)
	v_fma_f32 v201, v182, v7, -v1
	s_waitcnt vmcnt(48)
	v_mul_f32_e32 v1, v189, v6
	v_fmac_f32_e32 v198, v183, v7
	v_fmac_f32_e32 v199, v185, v4
	v_fma_f32 v203, v184, v4, -v3
	v_fmac_f32_e32 v200, v187, v2
	v_fma_f32 v186, v186, v2, -v5
	s_waitcnt vmcnt(44)
	v_fma_f32 v187, v188, v141, -v1
	ds_read_b128 v[1:4], v9 offset:656
	ds_read_b128 v[182:185], v9 offset:672
	v_mul_f32_e32 v202, v188, v6
	s_waitcnt vmcnt(43) lgkmcnt(3)
	v_mul_f32_e32 v188, v190, v140
	v_mul_f32_e32 v5, v191, v140
	s_waitcnt vmcnt(42)
	v_mul_f32_e32 v6, v193, v139
	s_waitcnt vmcnt(41) lgkmcnt(2)
	v_mul_f32_e32 v204, v194, v12
	v_fmac_f32_e32 v202, v189, v141
	v_mul_f32_e32 v189, v192, v139
	v_fmac_f32_e32 v188, v191, v11
	v_fma_f32 v11, v190, v11, -v5
	s_waitcnt vmcnt(40)
	v_mul_f32_e32 v190, v196, v138
	v_mul_f32_e32 v5, v195, v12
	;; [unrolled: 1-line block ×3, first 2 shown]
	v_fmac_f32_e32 v189, v193, v10
	v_fma_f32 v10, v192, v10, -v6
	v_fmac_f32_e32 v204, v195, v8
	s_waitcnt vmcnt(36)
	v_fmac_f32_e32 v190, v197, v149
	v_fma_f32 v12, v194, v8, -v5
	v_fma_f32 v149, v196, v149, -v7
	ds_read_b128 v[5:8], v9 offset:688
	ds_read_b128 v[138:141], v9 offset:704
	s_waitcnt vmcnt(35) lgkmcnt(3)
	v_mul_f32_e32 v191, v1, v148
	v_mul_f32_e32 v148, v2, v148
	s_waitcnt vmcnt(34)
	v_mul_f32_e32 v192, v3, v147
	v_mul_f32_e32 v147, v4, v147
	s_waitcnt vmcnt(33) lgkmcnt(2)
	v_mul_f32_e32 v193, v182, v145
	v_fmac_f32_e32 v191, v2, v144
	v_fma_f32 v148, v1, v144, -v148
	s_waitcnt vmcnt(32)
	v_mul_f32_e32 v194, v184, v146
	v_mul_f32_e32 v1, v183, v145
	;; [unrolled: 1-line block ×3, first 2 shown]
	v_fmac_f32_e32 v192, v4, v143
	v_fma_f32 v146, v3, v143, -v147
	v_fmac_f32_e32 v193, v183, v142
	s_waitcnt vmcnt(28)
	v_fmac_f32_e32 v194, v185, v156
	v_fma_f32 v147, v182, v142, -v1
	v_fma_f32 v156, v184, v156, -v2
	ds_read_b128 v[1:4], v9 offset:720
	ds_read_b128 v[142:145], v9 offset:736
	s_waitcnt vmcnt(27) lgkmcnt(3)
	v_mul_f32_e32 v182, v5, v155
	v_mul_f32_e32 v155, v6, v155
	s_waitcnt vmcnt(26)
	v_mul_f32_e32 v183, v7, v154
	v_mul_f32_e32 v154, v8, v154
	s_waitcnt vmcnt(25) lgkmcnt(2)
	v_mul_f32_e32 v184, v138, v153
	v_mul_f32_e32 v153, v139, v153
	v_fmac_f32_e32 v182, v6, v152
	v_fma_f32 v152, v5, v152, -v155
	s_waitcnt vmcnt(24)
	v_mul_f32_e32 v155, v140, v157
	v_mul_f32_e32 v5, v141, v157
	v_fmac_f32_e32 v183, v8, v151
	v_fma_f32 v151, v7, v151, -v154
	v_fmac_f32_e32 v184, v139, v150
	v_fma_f32 v150, v138, v150, -v153
	s_waitcnt vmcnt(20)
	v_fmac_f32_e32 v155, v141, v164
	v_fma_f32 v153, v140, v164, -v5
	ds_read_b128 v[5:8], v9 offset:752
	ds_read_b128 v[138:141], v9 offset:768
	s_waitcnt vmcnt(19) lgkmcnt(3)
	v_mul_f32_e32 v157, v2, v163
	v_mul_f32_e32 v154, v1, v163
	s_waitcnt vmcnt(18)
	v_mul_f32_e32 v163, v3, v162
	v_mul_f32_e32 v162, v4, v162
	s_waitcnt vmcnt(17) lgkmcnt(2)
	v_mul_f32_e32 v164, v142, v161
	v_fma_f32 v157, v1, v160, -v157
	s_waitcnt vmcnt(16)
	v_mul_f32_e32 v1, v145, v165
	v_mul_f32_e32 v161, v143, v161
	v_fmac_f32_e32 v154, v2, v160
	v_mul_f32_e32 v160, v144, v165
	v_fmac_f32_e32 v163, v4, v159
	v_fma_f32 v159, v3, v159, -v162
	s_clause 0x4
	buffer_load_dword v162, off, s[0:3], 0 offset:316
	buffer_load_dword v165, off, s[0:3], 0 offset:336
	;; [unrolled: 1-line block ×5, first 2 shown]
	v_fmac_f32_e32 v164, v143, v158
	s_waitcnt vmcnt(17)
	v_fma_f32 v143, v144, v173, -v1
	ds_read_b128 v[1:4], v9 offset:784
	v_fmac_f32_e32 v160, v145, v173
	v_fma_f32 v142, v142, v158, -v161
	s_waitcnt vmcnt(16) lgkmcnt(2)
	v_mul_f32_e32 v144, v5, v171
	v_mul_f32_e32 v145, v6, v171
	s_waitcnt vmcnt(15)
	v_mul_f32_e32 v158, v7, v170
	v_mul_f32_e32 v161, v8, v170
	buffer_load_dword v170, off, s[0:3], 0 offset:332
	v_fmac_f32_e32 v144, v6, v169
	v_fma_f32 v145, v5, v169, -v145
	buffer_load_dword v169, off, s[0:3], 0 offset:324
	v_fmac_f32_e32 v158, v8, v167
	v_fma_f32 v161, v7, v167, -v161
	s_waitcnt vmcnt(16) lgkmcnt(1)
	v_mul_f32_e32 v167, v138, v168
	v_mul_f32_e32 v5, v139, v168
	s_waitcnt vmcnt(15)
	v_mul_f32_e32 v6, v141, v172
	v_mul_f32_e32 v168, v140, v172
	v_fmac_f32_e32 v167, v139, v166
	v_fma_f32 v166, v138, v166, -v5
	s_waitcnt vmcnt(10)
	v_fma_f32 v171, v140, v181, -v6
	ds_read_b128 v[5:8], v9 offset:800
	s_waitcnt vmcnt(9) lgkmcnt(1)
	v_mul_f32_e32 v172, v1, v180
	v_mul_f32_e32 v138, v2, v180
	s_waitcnt vmcnt(8)
	v_mul_f32_e32 v197, v3, v179
	v_fmac_f32_e32 v168, v141, v181
	s_clause 0x2
	buffer_load_dword v173, off, s[0:3], 0 offset:340
	buffer_load_dword v180, off, s[0:3], 0 offset:348
	;; [unrolled: 1-line block ×3, first 2 shown]
	v_fmac_f32_e32 v172, v2, v178
	v_fma_f32 v178, v1, v178, -v138
	v_mul_f32_e32 v1, v4, v179
	v_fmac_f32_e32 v197, v4, v177
	v_add_f32_e32 v2, 0, v201
	s_clause 0x3
	buffer_load_dword v179, off, s[0:3], 0 offset:368
	buffer_load_dword v205, off, s[0:3], 0 offset:360
	;; [unrolled: 1-line block ×4, first 2 shown]
	v_fma_f32 v177, v3, v177, -v1
	v_add_f32_e32 v1, 0, v198
	v_add_f32_e32 v2, v2, v203
	buffer_load_dword v198, off, s[0:3], 0 offset:364
	v_add_f32_e32 v1, v1, v199
	v_add_f32_e32 v2, v2, v186
	s_waitcnt lgkmcnt(0)
	v_mul_f32_e32 v3, v6, v175
	v_add_f32_e32 v1, v1, v200
	s_clause 0x1
	buffer_load_dword v199, off, s[0:3], 0 offset:372
	buffer_load_dword v200, off, s[0:3], 0 offset:380
	v_add_f32_e32 v2, v2, v187
	v_add_f32_e32 v1, v1, v202
	;; [unrolled: 1-line block ×3, first 2 shown]
	v_fma_f32 v11, v5, v174, -v3
	v_add_f32_e32 v1, v1, v188
	s_clause 0x5
	buffer_load_dword v186, off, s[0:3], 0 offset:400
	buffer_load_dword v187, off, s[0:3], 0 offset:392
	;; [unrolled: 1-line block ×6, first 2 shown]
	v_add_f32_e32 v2, v2, v10
	v_add_f32_e32 v1, v1, v189
	buffer_load_dword v189, off, s[0:3], 0 offset:388
	v_mul_f32_e32 v10, v5, v175
	v_add_f32_e32 v2, v2, v12
	v_add_f32_e32 v1, v1, v204
	v_fmac_f32_e32 v10, v6, v174
	v_add_f32_e32 v2, v2, v149
	v_add_f32_e32 v1, v1, v190
	s_clause 0x2
	buffer_load_dword v190, off, s[0:3], 0 offset:412
	buffer_load_dword v204, off, s[0:3], 0 offset:420
	buffer_load_dword v208, off, s[0:3], 0 offset:428
	v_add_f32_e32 v2, v2, v148
	v_add_f32_e32 v1, v1, v191
	s_clause 0x2
	buffer_load_dword v191, off, s[0:3], 0 offset:436
	buffer_load_dword v209, off, s[0:3], 0 offset:444
	buffer_load_dword v210, off, s[0:3], 0 offset:452
	;; [unrolled: 6-line block ×3, first 2 shown]
	buffer_load_dword v213, off, s[0:3], 0 offset:492
	v_add_f32_e32 v2, v2, v147
	v_add_f32_e32 v1, v1, v193
	buffer_load_dword v193, off, s[0:3], 0 offset:484
	v_add_f32_e32 v2, v2, v156
	v_add_f32_e32 v1, v1, v194
	v_add_f32_e32 v2, v2, v152
	v_add_f32_e32 v1, v1, v182
	s_clause 0x3
	buffer_load_dword v182, off, s[0:3], 0 offset:432
	buffer_load_dword v194, off, s[0:3], 0 offset:424
	;; [unrolled: 1-line block ×4, first 2 shown]
	v_add_f32_e32 v2, v2, v151
	v_add_f32_e32 v1, v1, v183
	v_add_f32_e32 v2, v2, v150
	v_add_f32_e32 v1, v1, v184
	s_clause 0x7
	buffer_load_dword v183, off, s[0:3], 0 offset:464
	buffer_load_dword v184, off, s[0:3], 0 offset:456
	;; [unrolled: 1-line block ×8, first 2 shown]
	v_add_f32_e32 v2, v2, v153
	v_add_f32_e32 v1, v1, v155
	;; [unrolled: 1-line block ×8, first 2 shown]
	ds_read_b128 v[1:4], v9 offset:816
	v_add_f32_e32 v12, v5, v143
	v_add_f32_e32 v138, v6, v160
	;; [unrolled: 1-line block ×4, first 2 shown]
	ds_read_b128 v[138:141], v9 offset:848
	v_add_f32_e32 v12, v12, v161
	v_add_f32_e32 v142, v142, v158
	;; [unrolled: 1-line block ×3, first 2 shown]
	s_waitcnt vmcnt(46)
	v_mul_f32_e32 v154, v7, v162
	v_mul_f32_e32 v5, v8, v162
	s_waitcnt vmcnt(42)
	v_fmac_f32_e32 v154, v8, v196
	v_fma_f32 v155, v7, v196, -v5
	ds_read_b128 v[5:8], v9 offset:832
	s_waitcnt vmcnt(41) lgkmcnt(2)
	v_mul_f32_e32 v146, v4, v170
	s_waitcnt vmcnt(40)
	v_mul_f32_e32 v143, v2, v169
	v_mul_f32_e32 v156, v1, v169
	v_fma_f32 v161, v3, v185, -v146
	v_fma_f32 v157, v1, v195, -v143
	v_add_f32_e32 v1, v142, v167
	v_fmac_f32_e32 v156, v2, v195
	v_add_f32_e32 v2, v12, v171
	ds_read_b128 v[142:145], v9 offset:864
	v_mul_f32_e32 v12, v3, v170
	v_add_f32_e32 v1, v1, v168
	v_add_f32_e32 v2, v2, v178
	s_waitcnt vmcnt(39) lgkmcnt(1)
	v_mul_f32_e32 v147, v6, v173
	v_mul_f32_e32 v158, v5, v173
	v_add_f32_e32 v1, v1, v172
	s_waitcnt vmcnt(37)
	v_mul_f32_e32 v160, v138, v181
	v_fmac_f32_e32 v12, v4, v185
	v_fma_f32 v162, v5, v165, -v147
	v_add_f32_e32 v5, v2, v177
	v_fmac_f32_e32 v158, v6, v165
	v_add_f32_e32 v6, v1, v197
	v_mul_f32_e32 v150, v8, v180
	v_mul_f32_e32 v151, v139, v181
	v_add_f32_e32 v11, v5, v11
	s_waitcnt vmcnt(34)
	v_fmac_f32_e32 v160, v139, v206
	v_add_f32_e32 v10, v6, v10
	v_mul_f32_e32 v159, v7, v180
	s_waitcnt vmcnt(33)
	v_fma_f32 v163, v7, v207, -v150
	v_add_f32_e32 v11, v11, v155
	ds_read_b128 v[1:4], v9 offset:880
	ds_read_b128 v[146:149], v9 offset:896
	v_add_f32_e32 v10, v10, v154
	v_fmac_f32_e32 v159, v8, v207
	v_fma_f32 v164, v138, v206, -v151
	s_waitcnt vmcnt(31) lgkmcnt(2)
	v_mul_f32_e32 v166, v142, v199
	v_add_f32_e32 v11, v11, v157
	s_waitcnt vmcnt(30)
	v_mul_f32_e32 v167, v144, v200
	v_add_f32_e32 v10, v10, v156
	v_mul_f32_e32 v139, v143, v199
	v_fmac_f32_e32 v166, v143, v179
	v_add_f32_e32 v143, v11, v161
	v_mul_f32_e32 v168, v145, v200
	v_mul_f32_e32 v138, v141, v198
	;; [unrolled: 1-line block ×3, first 2 shown]
	v_fma_f32 v142, v142, v179, -v139
	s_waitcnt vmcnt(26)
	v_fmac_f32_e32 v167, v145, v201
	v_add_f32_e32 v145, v10, v12
	v_add_f32_e32 v143, v143, v162
	v_fma_f32 v169, v140, v205, -v138
	v_fmac_f32_e32 v165, v141, v205
	v_fma_f32 v144, v144, v201, -v168
	v_add_f32_e32 v145, v145, v158
	v_add_f32_e32 v143, v143, v163
	s_waitcnt vmcnt(23) lgkmcnt(1)
	v_mul_f32_e32 v162, v2, v189
	ds_read_b128 v[5:8], v9 offset:912
	ds_read_b128 v[150:153], v9 offset:928
	v_mul_f32_e32 v161, v1, v189
	v_add_f32_e32 v145, v145, v159
	v_add_f32_e32 v143, v143, v164
	v_mul_f32_e32 v168, v4, v202
	v_fma_f32 v1, v1, v188, -v162
	v_mul_f32_e32 v158, v3, v202
	v_add_f32_e32 v145, v145, v160
	v_add_f32_e32 v143, v143, v169
	v_fmac_f32_e32 v161, v2, v188
	v_fma_f32 v3, v3, v187, -v168
	s_waitcnt lgkmcnt(2)
	v_mul_f32_e32 v163, v146, v203
	v_add_f32_e32 v145, v145, v165
	v_add_f32_e32 v142, v143, v142
	v_fmac_f32_e32 v158, v4, v187
	s_waitcnt vmcnt(22)
	v_mul_f32_e32 v159, v148, v190
	v_fmac_f32_e32 v163, v147, v186
	v_add_f32_e32 v145, v145, v166
	v_add_f32_e32 v142, v142, v144
	ds_read_b128 v[138:141], v9 offset:944
	ds_read_b128 v[154:157], v9 offset:960
	s_waitcnt vmcnt(21) lgkmcnt(3)
	v_mul_f32_e32 v170, v5, v204
	s_waitcnt vmcnt(20)
	v_mul_f32_e32 v164, v7, v208
	v_add_f32_e32 v144, v145, v167
	v_mul_f32_e32 v145, v147, v203
	v_add_f32_e32 v1, v142, v1
	v_mul_f32_e32 v142, v149, v190
	s_waitcnt vmcnt(19) lgkmcnt(2)
	v_mul_f32_e32 v160, v150, v191
	v_add_f32_e32 v4, v144, v161
	v_fma_f32 v144, v146, v186, -v145
	v_add_f32_e32 v1, v1, v3
	s_waitcnt vmcnt(9)
	v_fmac_f32_e32 v170, v6, v214
	s_waitcnt vmcnt(8)
	v_fma_f32 v142, v148, v215, -v142
	v_add_f32_e32 v3, v4, v158
	v_mul_f32_e32 v4, v6, v204
	v_add_f32_e32 v1, v1, v144
	v_fmac_f32_e32 v159, v149, v215
	v_mul_f32_e32 v144, v8, v208
	v_add_f32_e32 v3, v3, v163
	v_fma_f32 v4, v5, v214, -v4
	v_add_f32_e32 v1, v1, v142
	v_mul_f32_e32 v5, v151, v191
	v_fma_f32 v6, v7, v194, -v144
	v_add_f32_e32 v3, v3, v159
	v_fmac_f32_e32 v164, v8, v194
	v_add_f32_e32 v1, v1, v4
	v_mul_f32_e32 v4, v153, v209
	v_fma_f32 v5, v150, v182, -v5
	v_add_f32_e32 v3, v3, v170
	v_mul_f32_e32 v171, v152, v209
	v_add_f32_e32 v1, v1, v6
	v_fmac_f32_e32 v160, v151, v182
	ds_read_b128 v[9:12], v9 offset:976
	v_add_f32_e32 v3, v3, v164
	s_waitcnt lgkmcnt(2)
	v_mul_f32_e32 v6, v139, v210
	s_waitcnt vmcnt(4)
	v_fma_f32 v4, v152, v217, -v4
	v_add_f32_e32 v1, v1, v5
	v_mul_f32_e32 v169, v138, v210
	v_fmac_f32_e32 v171, v153, v217
	v_add_f32_e32 v3, v3, v160
	v_mul_f32_e32 v5, v141, v192
	v_fma_f32 v6, v138, v216, -v6
	v_add_f32_e32 v1, v1, v4
	v_mul_f32_e32 v165, v140, v192
	v_fmac_f32_e32 v169, v139, v216
	v_add_f32_e32 v3, v3, v171
	s_waitcnt lgkmcnt(1)
	v_mul_f32_e32 v4, v155, v211
	v_fma_f32 v5, v140, v184, -v5
	v_add_f32_e32 v1, v1, v6
	v_mul_f32_e32 v172, v154, v211
	v_fmac_f32_e32 v165, v141, v184
	v_add_f32_e32 v3, v3, v169
	v_mul_f32_e32 v6, v157, v212
	v_fma_f32 v4, v154, v183, -v4
	v_add_f32_e32 v1, v1, v5
	v_mul_f32_e32 v143, v156, v212
	v_fmac_f32_e32 v172, v155, v183
	v_add_f32_e32 v3, v3, v165
	s_waitcnt lgkmcnt(0)
	v_mul_f32_e32 v5, v10, v193
	s_waitcnt vmcnt(1)
	v_fma_f32 v6, v156, v220, -v6
	v_add_f32_e32 v1, v1, v4
	v_mul_f32_e32 v166, v9, v193
	v_fmac_f32_e32 v143, v157, v220
	v_add_f32_e32 v3, v3, v172
	v_mul_f32_e32 v4, v12, v213
	v_fma_f32 v5, v9, v219, -v5
	v_add_f32_e32 v1, v1, v6
	v_mul_f32_e32 v2, v11, v213
	v_fmac_f32_e32 v166, v10, v219
	v_add_f32_e32 v3, v3, v143
	v_fma_f32 v4, v11, v218, -v4
	v_add_f32_e32 v1, v1, v5
	v_fmac_f32_e32 v2, v12, v218
	v_add_f32_e32 v3, v3, v166
	v_add_f32_e32 v1, v1, v4
	;; [unrolled: 1-line block ×3, first 2 shown]
	s_waitcnt vmcnt(0)
	v_sub_f32_e32 v1, v221, v1
	v_sub_f32_e32 v2, v176, v2
	buffer_store_dword v1, off, s[0:3], 0 offset:88
	buffer_store_dword v2, off, s[0:3], 0 offset:92
	v_cmpx_lt_u32_e32 10, v0
	s_cbranch_execz .LBB61_365
; %bb.364:
	s_clause 0x1
	buffer_load_dword v1, off, s[0:3], 0 offset:80
	buffer_load_dword v2, off, s[0:3], 0 offset:84
	v_mov_b32_e32 v3, 0
	buffer_store_dword v3, off, s[0:3], 0 offset:80
	buffer_store_dword v3, off, s[0:3], 0 offset:84
	s_waitcnt vmcnt(0)
	ds_write_b64 v137, v[1:2]
.LBB61_365:
	s_or_b32 exec_lo, exec_lo, s4
	s_waitcnt lgkmcnt(0)
	s_waitcnt_vscnt null, 0x0
	s_barrier
	buffer_gl0_inv
	s_clause 0x35
	buffer_load_dword v2, off, s[0:3], 0 offset:92
	buffer_load_dword v4, off, s[0:3], 0 offset:100
	;; [unrolled: 1-line block ×54, first 2 shown]
	v_mov_b32_e32 v1, 0
	ds_read2_b64 v[182:185], v1 offset0:73 offset1:74
	ds_read2_b64 v[186:189], v1 offset0:75 offset1:76
	buffer_load_dword v179, off, s[0:3], 0 offset:84
	ds_read2_b64 v[190:193], v1 offset0:77 offset1:78
	ds_read2_b64 v[194:197], v1 offset0:79 offset1:80
	s_mov_b32 s4, exec_lo
	s_waitcnt vmcnt(54) lgkmcnt(3)
	v_mul_f32_e32 v198, v182, v2
	v_mul_f32_e32 v2, v183, v2
	s_waitcnt vmcnt(53)
	v_mul_f32_e32 v199, v184, v4
	v_mul_f32_e32 v4, v185, v4
	s_waitcnt vmcnt(52) lgkmcnt(2)
	v_mul_f32_e32 v200, v186, v6
	v_mul_f32_e32 v6, v187, v6
	s_waitcnt vmcnt(49)
	v_fma_f32 v201, v182, v8, -v2
	s_waitcnt vmcnt(48)
	v_mul_f32_e32 v2, v189, v7
	v_fmac_f32_e32 v198, v183, v8
	v_fmac_f32_e32 v199, v185, v5
	v_fma_f32 v203, v184, v5, -v4
	v_fmac_f32_e32 v200, v187, v3
	v_fma_f32 v186, v186, v3, -v6
	s_waitcnt vmcnt(44)
	v_fma_f32 v187, v188, v141, -v2
	ds_read2_b64 v[2:5], v1 offset0:81 offset1:82
	ds_read2_b64 v[182:185], v1 offset0:83 offset1:84
	v_mul_f32_e32 v202, v188, v7
	s_waitcnt vmcnt(43) lgkmcnt(3)
	v_mul_f32_e32 v188, v190, v139
	v_mul_f32_e32 v6, v191, v139
	s_waitcnt vmcnt(42)
	v_mul_f32_e32 v7, v193, v140
	s_waitcnt vmcnt(41) lgkmcnt(2)
	v_mul_f32_e32 v204, v194, v138
	v_fmac_f32_e32 v202, v189, v141
	v_mul_f32_e32 v189, v192, v140
	v_mul_f32_e32 v8, v195, v138
	v_fmac_f32_e32 v188, v191, v11
	v_fma_f32 v11, v190, v11, -v6
	s_waitcnt vmcnt(40)
	v_mul_f32_e32 v190, v196, v12
	v_mul_f32_e32 v6, v197, v12
	v_fmac_f32_e32 v189, v193, v10
	v_fma_f32 v10, v192, v10, -v7
	v_fmac_f32_e32 v204, v195, v9
	v_fma_f32 v12, v194, v9, -v8
	s_waitcnt vmcnt(36)
	v_fmac_f32_e32 v190, v197, v149
	v_fma_f32 v149, v196, v149, -v6
	ds_read2_b64 v[6:9], v1 offset0:85 offset1:86
	ds_read2_b64 v[138:141], v1 offset0:87 offset1:88
	s_waitcnt vmcnt(35) lgkmcnt(3)
	v_mul_f32_e32 v191, v2, v148
	v_mul_f32_e32 v148, v3, v148
	s_waitcnt vmcnt(34)
	v_mul_f32_e32 v192, v4, v147
	v_mul_f32_e32 v147, v5, v147
	s_waitcnt vmcnt(33) lgkmcnt(2)
	v_mul_f32_e32 v193, v182, v145
	v_fmac_f32_e32 v191, v3, v144
	v_fma_f32 v148, v2, v144, -v148
	s_waitcnt vmcnt(32)
	v_mul_f32_e32 v194, v184, v146
	v_mul_f32_e32 v2, v183, v145
	;; [unrolled: 1-line block ×3, first 2 shown]
	v_fmac_f32_e32 v192, v5, v143
	v_fma_f32 v146, v4, v143, -v147
	v_fmac_f32_e32 v193, v183, v142
	s_waitcnt vmcnt(28)
	v_fmac_f32_e32 v194, v185, v157
	v_fma_f32 v147, v182, v142, -v2
	v_fma_f32 v157, v184, v157, -v3
	ds_read2_b64 v[2:5], v1 offset0:89 offset1:90
	ds_read2_b64 v[142:145], v1 offset0:91 offset1:92
	s_waitcnt vmcnt(27) lgkmcnt(3)
	v_mul_f32_e32 v182, v6, v156
	v_mul_f32_e32 v156, v7, v156
	s_waitcnt vmcnt(26)
	v_mul_f32_e32 v183, v8, v155
	v_mul_f32_e32 v155, v9, v155
	s_waitcnt vmcnt(25) lgkmcnt(2)
	v_mul_f32_e32 v184, v138, v154
	v_fmac_f32_e32 v182, v7, v152
	v_fma_f32 v152, v6, v152, -v156
	v_fmac_f32_e32 v183, v9, v151
	v_fma_f32 v151, v8, v151, -v155
	s_clause 0x4
	buffer_load_dword v155, off, s[0:3], 0 offset:308
	buffer_load_dword v156, off, s[0:3], 0 offset:328
	;; [unrolled: 1-line block ×5, first 2 shown]
	v_mul_f32_e32 v154, v139, v154
	s_waitcnt vmcnt(29)
	v_mul_f32_e32 v6, v141, v153
	v_mul_f32_e32 v197, v140, v153
	v_fmac_f32_e32 v184, v139, v150
	v_fma_f32 v138, v138, v150, -v154
	s_waitcnt vmcnt(24)
	v_fma_f32 v140, v140, v166, -v6
	ds_read2_b64 v[6:9], v1 offset0:93 offset1:94
	buffer_load_dword v154, off, s[0:3], 0 offset:316
	s_waitcnt lgkmcnt(2)
	v_mul_f32_e32 v139, v2, v158
	v_mul_f32_e32 v150, v3, v158
	v_fmac_f32_e32 v197, v141, v166
	s_waitcnt vmcnt(24)
	v_mul_f32_e32 v141, v4, v164
	v_mul_f32_e32 v153, v5, v164
	v_fmac_f32_e32 v139, v3, v162
	v_fma_f32 v150, v2, v162, -v150
	s_waitcnt vmcnt(23) lgkmcnt(1)
	v_mul_f32_e32 v158, v142, v161
	v_mul_f32_e32 v2, v143, v161
	s_waitcnt vmcnt(22)
	v_mul_f32_e32 v3, v145, v165
	v_fmac_f32_e32 v141, v5, v160
	v_fma_f32 v153, v4, v160, -v153
	s_clause 0x1
	buffer_load_dword v160, off, s[0:3], 0 offset:324
	buffer_load_dword v161, off, s[0:3], 0 offset:332
	v_mul_f32_e32 v162, v144, v165
	v_fmac_f32_e32 v158, v143, v159
	v_fma_f32 v142, v142, v159, -v2
	s_clause 0x1
	buffer_load_dword v159, off, s[0:3], 0 offset:340
	buffer_load_dword v164, off, s[0:3], 0 offset:348
	v_add_f32_e32 v143, 0, v198
	s_waitcnt vmcnt(22)
	v_fma_f32 v144, v144, v173, -v3
	ds_read2_b64 v[2:5], v1 offset0:95 offset1:96
	v_fmac_f32_e32 v162, v145, v173
	s_waitcnt vmcnt(21) lgkmcnt(1)
	v_mul_f32_e32 v145, v6, v172
	v_mul_f32_e32 v165, v7, v172
	v_add_f32_e32 v143, v143, v199
	v_add_f32_e32 v172, 0, v201
	s_waitcnt vmcnt(20)
	v_mul_f32_e32 v166, v8, v171
	v_mul_f32_e32 v171, v9, v171
	v_fmac_f32_e32 v145, v7, v170
	v_fma_f32 v165, v6, v170, -v165
	v_add_f32_e32 v6, v172, v203
	v_add_f32_e32 v7, v143, v200
	v_fmac_f32_e32 v166, v9, v169
	v_fma_f32 v169, v8, v169, -v171
	s_clause 0x3
	buffer_load_dword v170, off, s[0:3], 0 offset:360
	buffer_load_dword v171, off, s[0:3], 0 offset:352
	;; [unrolled: 1-line block ×4, first 2 shown]
	v_add_f32_e32 v6, v6, v186
	v_add_f32_e32 v143, v7, v202
	s_clause 0x2
	buffer_load_dword v186, off, s[0:3], 0 offset:356
	buffer_load_dword v198, off, s[0:3], 0 offset:364
	;; [unrolled: 1-line block ×3, first 2 shown]
	v_add_f32_e32 v187, v6, v187
	ds_read2_b64 v[6:9], v1 offset0:97 offset1:98
	v_add_f32_e32 v143, v143, v188
	s_waitcnt vmcnt(26) lgkmcnt(1)
	v_mul_f32_e32 v188, v2, v167
	v_mul_f32_e32 v167, v3, v167
	v_add_f32_e32 v11, v187, v11
	s_waitcnt vmcnt(25)
	v_mul_f32_e32 v187, v4, v168
	v_mul_f32_e32 v168, v5, v168
	v_fmac_f32_e32 v188, v3, v163
	v_add_f32_e32 v3, v143, v189
	v_fma_f32 v143, v2, v163, -v167
	v_add_f32_e32 v2, v11, v10
	s_waitcnt vmcnt(20)
	v_fmac_f32_e32 v187, v5, v181
	v_fma_f32 v163, v4, v181, -v168
	v_add_f32_e32 v10, v3, v204
	s_clause 0x4
	buffer_load_dword v167, off, s[0:3], 0 offset:392
	buffer_load_dword v168, off, s[0:3], 0 offset:384
	;; [unrolled: 1-line block ×5, first 2 shown]
	v_add_f32_e32 v12, v2, v12
	ds_read2_b64 v[2:5], v1 offset0:99 offset1:100
	v_add_f32_e32 v10, v10, v190
	s_clause 0x1
	buffer_load_dword v190, off, s[0:3], 0 offset:388
	buffer_load_dword v201, off, s[0:3], 0 offset:396
	s_waitcnt vmcnt(26) lgkmcnt(1)
	v_mul_f32_e32 v200, v6, v180
	v_mul_f32_e32 v180, v7, v180
	v_add_f32_e32 v12, v12, v149
	v_add_f32_e32 v10, v10, v191
	buffer_load_dword v191, off, s[0:3], 0 offset:404
	v_fmac_f32_e32 v200, v7, v178
	v_fma_f32 v149, v6, v178, -v180
	s_waitcnt vmcnt(26)
	v_mul_f32_e32 v178, v8, v177
	v_add_f32_e32 v7, v10, v192
	v_mul_f32_e32 v10, v9, v177
	v_add_f32_e32 v6, v12, v148
	s_clause 0x2
	buffer_load_dword v12, off, s[0:3], 0 offset:412
	buffer_load_dword v180, off, s[0:3], 0 offset:420
	;; [unrolled: 1-line block ×3, first 2 shown]
	v_add_f32_e32 v7, v7, v193
	v_fmac_f32_e32 v178, v9, v176
	v_fma_f32 v10, v8, v176, -v10
	s_clause 0x1
	buffer_load_dword v176, off, s[0:3], 0 offset:436
	buffer_load_dword v192, off, s[0:3], 0 offset:444
	v_add_f32_e32 v6, v6, v146
	v_add_f32_e32 v7, v7, v194
	s_clause 0x2
	buffer_load_dword v193, off, s[0:3], 0 offset:452
	buffer_load_dword v194, off, s[0:3], 0 offset:460
	;; [unrolled: 1-line block ×3, first 2 shown]
	s_waitcnt lgkmcnt(0)
	v_mul_f32_e32 v146, v2, v175
	v_mul_f32_e32 v8, v3, v175
	v_add_f32_e32 v6, v6, v147
	v_add_f32_e32 v7, v7, v182
	s_clause 0x2
	buffer_load_dword v182, off, s[0:3], 0 offset:476
	buffer_load_dword v203, off, s[0:3], 0 offset:484
	;; [unrolled: 1-line block ×3, first 2 shown]
	v_fmac_f32_e32 v146, v3, v174
	v_fma_f32 v147, v2, v174, -v8
	v_add_f32_e32 v6, v6, v157
	v_add_f32_e32 v7, v7, v183
	s_clause 0x3
	buffer_load_dword v183, off, s[0:3], 0 offset:424
	buffer_load_dword v205, off, s[0:3], 0 offset:416
	;; [unrolled: 1-line block ×4, first 2 shown]
	v_add_f32_e32 v6, v6, v152
	v_add_f32_e32 v7, v7, v184
	;; [unrolled: 1-line block ×4, first 2 shown]
	s_clause 0x8
	buffer_load_dword v184, off, s[0:3], 0 offset:456
	buffer_load_dword v197, off, s[0:3], 0 offset:448
	;; [unrolled: 1-line block ×9, first 2 shown]
	v_add_f32_e32 v6, v6, v138
	v_add_f32_e32 v7, v7, v139
	;; [unrolled: 1-line block ×11, first 2 shown]
	ds_read2_b64 v[6:9], v1 offset0:101 offset1:102
	v_add_f32_e32 v142, v138, v166
	v_add_f32_e32 v139, v3, v165
	;; [unrolled: 1-line block ×4, first 2 shown]
	ds_read2_b64 v[138:141], v1 offset0:105 offset1:106
	v_add_f32_e32 v148, v142, v187
	v_add_f32_e32 v143, v144, v143
	s_waitcnt vmcnt(48)
	v_mul_f32_e32 v150, v4, v155
	v_mul_f32_e32 v2, v5, v155
	s_waitcnt vmcnt(44)
	v_fmac_f32_e32 v150, v5, v196
	v_fma_f32 v151, v4, v196, -v2
	ds_read2_b64 v[2:5], v1 offset0:103 offset1:104
	s_waitcnt vmcnt(43) lgkmcnt(2)
	v_mul_f32_e32 v145, v7, v154
	v_mul_f32_e32 v155, v6, v154
	v_fma_f32 v154, v6, v195, -v145
	v_add_f32_e32 v6, v143, v163
	v_fmac_f32_e32 v155, v7, v195
	v_add_f32_e32 v7, v148, v200
	ds_read2_b64 v[142:145], v1 offset0:107 offset1:108
	v_add_f32_e32 v6, v6, v149
	s_waitcnt vmcnt(42)
	v_mul_f32_e32 v157, v8, v160
	v_add_f32_e32 v7, v7, v178
	s_waitcnt vmcnt(41) lgkmcnt(1)
	v_mul_f32_e32 v158, v2, v161
	v_mul_f32_e32 v149, v3, v161
	v_add_f32_e32 v6, v6, v10
	s_waitcnt vmcnt(39)
	v_mul_f32_e32 v153, v139, v164
	v_mul_f32_e32 v148, v9, v160
	v_fmac_f32_e32 v158, v3, v156
	v_mul_f32_e32 v160, v4, v159
	v_add_f32_e32 v3, v6, v147
	v_mul_f32_e32 v152, v5, v159
	v_mul_f32_e32 v159, v138, v164
	v_fma_f32 v161, v2, v156, -v149
	v_add_f32_e32 v2, v7, v146
	v_fma_f32 v10, v8, v185, -v148
	v_fmac_f32_e32 v157, v9, v185
	ds_read2_b64 v[6:9], v1 offset0:109 offset1:110
	ds_read2_b64 v[146:149], v1 offset0:111 offset1:112
	s_waitcnt vmcnt(36)
	v_fma_f32 v163, v138, v172, -v153
	v_add_f32_e32 v138, v3, v151
	v_fmac_f32_e32 v159, v139, v172
	v_add_f32_e32 v139, v2, v150
	s_waitcnt vmcnt(35)
	v_fma_f32 v162, v4, v173, -v152
	v_fmac_f32_e32 v160, v5, v173
	v_add_f32_e32 v138, v138, v154
	s_waitcnt vmcnt(34)
	v_mul_f32_e32 v164, v140, v186
	v_add_f32_e32 v139, v139, v155
	v_mul_f32_e32 v155, v141, v186
	s_waitcnt vmcnt(33) lgkmcnt(2)
	v_mul_f32_e32 v165, v142, v198
	v_add_f32_e32 v10, v138, v10
	v_mul_f32_e32 v154, v143, v198
	v_add_f32_e32 v139, v139, v157
	v_fmac_f32_e32 v164, v141, v171
	v_fma_f32 v171, v140, v171, -v155
	v_add_f32_e32 v161, v10, v161
	s_waitcnt vmcnt(32)
	v_mul_f32_e32 v169, v145, v199
	v_add_f32_e32 v158, v139, v158
	v_fmac_f32_e32 v165, v143, v170
	v_fma_f32 v170, v142, v170, -v154
	v_add_f32_e32 v161, v161, v162
	v_mul_f32_e32 v166, v144, v199
	v_add_f32_e32 v158, v158, v160
	s_waitcnt vmcnt(28)
	v_fma_f32 v169, v144, v11, -v169
	s_waitcnt vmcnt(27) lgkmcnt(1)
	v_mul_f32_e32 v172, v7, v189
	v_add_f32_e32 v161, v161, v163
	ds_read2_b64 v[2:5], v1 offset0:113 offset1:114
	ds_read2_b64 v[150:153], v1 offset0:115 offset1:116
	v_add_f32_e32 v158, v158, v159
	v_fmac_f32_e32 v166, v145, v11
	v_mul_f32_e32 v160, v6, v189
	v_add_f32_e32 v161, v161, v171
	s_waitcnt vmcnt(26)
	v_mul_f32_e32 v173, v9, v190
	v_add_f32_e32 v158, v158, v164
	v_fma_f32 v6, v6, v181, -v172
	v_mul_f32_e32 v162, v8, v190
	v_add_f32_e32 v161, v161, v170
	v_fmac_f32_e32 v160, v7, v181
	v_add_f32_e32 v158, v158, v165
	s_waitcnt vmcnt(25) lgkmcnt(2)
	v_mul_f32_e32 v172, v147, v201
	v_fma_f32 v8, v8, v168, -v173
	v_add_f32_e32 v161, v161, v169
	v_mul_f32_e32 v159, v146, v201
	v_add_f32_e32 v158, v158, v166
	v_fmac_f32_e32 v162, v9, v168
	s_waitcnt vmcnt(24)
	v_mul_f32_e32 v166, v149, v191
	v_add_f32_e32 v6, v161, v6
	v_fma_f32 v146, v146, v167, -v172
	v_add_f32_e32 v158, v158, v160
	v_mul_f32_e32 v163, v148, v191
	v_fmac_f32_e32 v159, v147, v167
	v_add_f32_e32 v6, v6, v8
	s_waitcnt vmcnt(23) lgkmcnt(1)
	v_mul_f32_e32 v7, v2, v12
	v_add_f32_e32 v8, v158, v162
	v_mul_f32_e32 v12, v3, v12
	ds_read2_b64 v[138:141], v1 offset0:117 offset1:118
	ds_read2_b64 v[154:157], v1 offset0:119 offset1:120
	v_add_f32_e32 v6, v6, v146
	s_waitcnt vmcnt(9)
	v_fma_f32 v147, v148, v207, -v166
	v_fmac_f32_e32 v163, v149, v207
	v_add_f32_e32 v8, v8, v159
	v_mul_f32_e32 v146, v5, v180
	v_fmac_f32_e32 v7, v3, v206
	v_fma_f32 v2, v2, v206, -v12
	v_add_f32_e32 v3, v6, v147
	v_mul_f32_e32 v164, v4, v180
	v_add_f32_e32 v6, v8, v163
	s_waitcnt lgkmcnt(2)
	v_mul_f32_e32 v8, v151, v177
	v_fma_f32 v4, v4, v205, -v146
	v_add_f32_e32 v2, v3, v2
	v_mul_f32_e32 v171, v150, v177
	v_fmac_f32_e32 v164, v5, v205
	v_add_f32_e32 v3, v6, v7
	v_mul_f32_e32 v5, v153, v176
	v_fma_f32 v6, v150, v183, -v8
	v_add_f32_e32 v2, v2, v4
	v_mul_f32_e32 v9, v152, v176
	v_fmac_f32_e32 v171, v151, v183
	v_add_f32_e32 v3, v3, v164
	s_waitcnt lgkmcnt(1)
	v_mul_f32_e32 v4, v139, v192
	s_waitcnt vmcnt(5)
	v_fma_f32 v5, v152, v209, -v5
	v_add_f32_e32 v2, v2, v6
	ds_read2_b64 v[142:145], v1 offset0:121 offset1:122
	ds_read_b64 v[10:11], v1 offset:984
	v_mul_f32_e32 v168, v138, v192
	v_fmac_f32_e32 v9, v153, v209
	v_add_f32_e32 v3, v3, v171
	v_mul_f32_e32 v6, v141, v193
	v_fma_f32 v4, v138, v208, -v4
	v_add_f32_e32 v2, v2, v5
	v_mul_f32_e32 v165, v140, v193
	v_fmac_f32_e32 v168, v139, v208
	v_add_f32_e32 v3, v3, v9
	s_waitcnt lgkmcnt(2)
	v_mul_f32_e32 v5, v155, v194
	v_fma_f32 v6, v140, v197, -v6
	v_add_f32_e32 v2, v2, v4
	v_mul_f32_e32 v170, v154, v194
	v_fmac_f32_e32 v165, v141, v197
	v_add_f32_e32 v3, v3, v168
	v_mul_f32_e32 v4, v157, v202
	v_fma_f32 v5, v154, v184, -v5
	v_add_f32_e32 v2, v2, v6
	v_mul_f32_e32 v173, v156, v202
	v_fmac_f32_e32 v170, v155, v184
	v_add_f32_e32 v3, v3, v165
	s_waitcnt lgkmcnt(1)
	v_mul_f32_e32 v6, v143, v182
	s_waitcnt vmcnt(1)
	v_fma_f32 v4, v156, v213, -v4
	v_add_f32_e32 v2, v2, v5
	v_mul_f32_e32 v169, v142, v182
	v_fmac_f32_e32 v173, v157, v213
	v_add_f32_e32 v3, v3, v170
	v_mul_f32_e32 v5, v145, v203
	v_fma_f32 v6, v142, v212, -v6
	v_add_f32_e32 v2, v2, v4
	v_mul_f32_e32 v174, v144, v203
	v_fmac_f32_e32 v169, v143, v212
	v_add_f32_e32 v3, v3, v173
	s_waitcnt lgkmcnt(0)
	v_mul_f32_e32 v4, v11, v204
	v_fma_f32 v5, v144, v211, -v5
	v_add_f32_e32 v2, v2, v6
	v_mul_f32_e32 v160, v10, v204
	v_fmac_f32_e32 v174, v145, v211
	v_add_f32_e32 v3, v3, v169
	v_fma_f32 v4, v10, v210, -v4
	v_add_f32_e32 v2, v2, v5
	v_fmac_f32_e32 v160, v11, v210
	v_add_f32_e32 v3, v3, v174
	v_add_f32_e32 v2, v2, v4
	;; [unrolled: 1-line block ×3, first 2 shown]
	s_waitcnt vmcnt(0)
	v_sub_f32_e32 v2, v214, v2
	v_sub_f32_e32 v3, v179, v3
	buffer_store_dword v2, off, s[0:3], 0 offset:80
	buffer_store_dword v3, off, s[0:3], 0 offset:84
	v_cmpx_lt_u32_e32 9, v0
	s_cbranch_execz .LBB61_367
; %bb.366:
	s_clause 0x1
	buffer_load_dword v2, off, s[0:3], 0 offset:72
	buffer_load_dword v3, off, s[0:3], 0 offset:76
	buffer_store_dword v1, off, s[0:3], 0 offset:72
	buffer_store_dword v1, off, s[0:3], 0 offset:76
	s_waitcnt vmcnt(0)
	ds_write_b64 v137, v[2:3]
.LBB61_367:
	s_or_b32 exec_lo, exec_lo, s4
	s_waitcnt lgkmcnt(0)
	s_waitcnt_vscnt null, 0x0
	s_barrier
	buffer_gl0_inv
	s_clause 0x3b
	buffer_load_dword v4, off, s[0:3], 0 offset:84
	buffer_load_dword v3, off, s[0:3], 0 offset:96
	;; [unrolled: 1-line block ×60, first 2 shown]
	ds_read_b128 v[183:186], v1 offset:576
	ds_read_b128 v[187:190], v1 offset:592
	;; [unrolled: 1-line block ×3, first 2 shown]
	buffer_load_dword v200, off, s[0:3], 0 offset:76
	s_mov_b32 s4, exec_lo
	s_waitcnt vmcnt(60) lgkmcnt(2)
	v_mul_f32_e32 v199, v183, v4
	v_mul_f32_e32 v4, v184, v4
	s_waitcnt vmcnt(56)
	v_mul_f32_e32 v201, v185, v10
	v_mul_f32_e32 v10, v186, v10
	v_fmac_f32_e32 v199, v184, v11
	v_fma_f32 v4, v183, v11, -v4
	s_waitcnt vmcnt(55) lgkmcnt(1)
	v_mul_f32_e32 v202, v187, v9
	v_fmac_f32_e32 v201, v186, v7
	v_fma_f32 v7, v185, v7, -v10
	ds_read_b128 v[183:186], v1 offset:624
	v_mul_f32_e32 v9, v188, v9
	s_waitcnt vmcnt(54)
	v_mul_f32_e32 v203, v189, v5
	v_mul_f32_e32 v5, v190, v5
	v_fmac_f32_e32 v202, v188, v3
	s_waitcnt vmcnt(48) lgkmcnt(1)
	v_mul_f32_e32 v204, v193, v169
	v_fma_f32 v3, v187, v3, -v9
	v_fmac_f32_e32 v203, v190, v173
	v_fma_f32 v5, v189, v173, -v5
	v_mul_f32_e32 v9, v192, v172
	ds_read_b128 v[187:190], v1 offset:640
	v_mul_f32_e32 v173, v191, v172
	v_fmac_f32_e32 v204, v194, v160
	v_add_f32_e32 v4, 0, v4
	v_fma_f32 v172, v191, v168, -v9
	v_mul_f32_e32 v9, v194, v169
	v_fmac_f32_e32 v173, v192, v168
	v_add_f32_e32 v4, v4, v7
	v_fma_f32 v205, v193, v160, -v9
	s_waitcnt vmcnt(47) lgkmcnt(1)
	v_mul_f32_e32 v206, v183, v164
	v_mul_f32_e32 v9, v184, v164
	ds_read_b128 v[191:194], v1 offset:656
	s_waitcnt vmcnt(46)
	v_mul_f32_e32 v207, v185, v157
	v_add_f32_e32 v3, v4, v3
	v_fmac_f32_e32 v206, v184, v148
	v_fma_f32 v148, v183, v148, -v9
	v_mul_f32_e32 v9, v186, v157
	s_waitcnt vmcnt(42)
	v_fmac_f32_e32 v207, v186, v171
	s_waitcnt vmcnt(41) lgkmcnt(1)
	v_mul_f32_e32 v209, v187, v170
	v_fma_f32 v208, v185, v171, -v9
	v_mul_f32_e32 v9, v188, v170
	ds_read_b128 v[168:171], v1 offset:672
	ds_read_b128 v[183:186], v1 offset:688
	v_fmac_f32_e32 v209, v188, v163
	s_waitcnt vmcnt(40)
	v_mul_f32_e32 v188, v189, v165
	v_fma_f32 v187, v187, v163, -v9
	v_mul_f32_e32 v9, v190, v165
	v_fmac_f32_e32 v188, v190, v155
	s_waitcnt vmcnt(39) lgkmcnt(2)
	v_mul_f32_e32 v190, v191, v161
	v_fma_f32 v189, v189, v155, -v9
	v_mul_f32_e32 v9, v192, v161
	s_waitcnt vmcnt(38)
	v_mul_f32_e32 v161, v193, v153
	v_fmac_f32_e32 v190, v192, v143
	v_fma_f32 v143, v191, v143, -v9
	v_mul_f32_e32 v9, v194, v153
	s_waitcnt vmcnt(34)
	v_fmac_f32_e32 v161, v194, v167
	s_waitcnt vmcnt(33) lgkmcnt(1)
	v_mul_f32_e32 v191, v168, v166
	s_waitcnt vmcnt(30) lgkmcnt(0)
	v_mul_f32_e32 v10, v186, v150
	v_fma_f32 v167, v193, v167, -v9
	v_mul_f32_e32 v9, v169, v166
	ds_read_b128 v[163:166], v1 offset:704
	v_fmac_f32_e32 v191, v169, v156
	v_mul_f32_e32 v169, v170, v158
	v_fma_f32 v168, v168, v156, -v9
	v_mul_f32_e32 v9, v171, v158
	v_fmac_f32_e32 v169, v171, v146
	v_mul_f32_e32 v171, v185, v150
	s_waitcnt vmcnt(26)
	v_fma_f32 v150, v185, v162, -v10
	v_fma_f32 v146, v170, v146, -v9
	v_mul_f32_e32 v170, v183, v154
	v_mul_f32_e32 v9, v184, v154
	ds_read_b128 v[153:156], v1 offset:720
	v_fmac_f32_e32 v171, v186, v162
	v_fmac_f32_e32 v170, v184, v139
	v_fma_f32 v139, v183, v139, -v9
	s_waitcnt vmcnt(25) lgkmcnt(1)
	v_mul_f32_e32 v162, v163, v159
	v_mul_f32_e32 v9, v164, v159
	ds_read_b128 v[157:160], v1 offset:736
	v_fmac_f32_e32 v162, v164, v149
	v_fma_f32 v149, v163, v149, -v9
	s_waitcnt vmcnt(24)
	v_mul_f32_e32 v163, v165, v151
	v_mul_f32_e32 v9, v166, v151
	buffer_load_dword v151, off, s[0:3], 0 offset:316
	v_fmac_f32_e32 v163, v166, v141
	v_fma_f32 v141, v165, v141, -v9
	s_waitcnt vmcnt(24) lgkmcnt(1)
	v_mul_f32_e32 v164, v153, v144
	v_mul_f32_e32 v9, v154, v144
	s_waitcnt vmcnt(23)
	v_mul_f32_e32 v144, v155, v142
	v_mul_f32_e32 v10, v156, v142
	buffer_load_dword v142, off, s[0:3], 0 offset:324
	v_fmac_f32_e32 v164, v154, v12
	v_fma_f32 v153, v153, v12, -v9
	s_waitcnt vmcnt(20)
	v_fmac_f32_e32 v144, v156, v152
	v_fma_f32 v152, v155, v152, -v10
	ds_read_b128 v[9:12], v1 offset:752
	s_waitcnt vmcnt(18) lgkmcnt(1)
	v_mul_f32_e32 v155, v159, v145
	v_mul_f32_e32 v145, v160, v145
	;; [unrolled: 1-line block ×4, first 2 shown]
	buffer_load_dword v156, off, s[0:3], 0 offset:332
	v_fmac_f32_e32 v155, v160, v138
	v_fma_f32 v138, v159, v138, -v145
	v_add_f32_e32 v159, 0, v199
	v_fmac_f32_e32 v154, v158, v140
	v_fma_f32 v140, v157, v140, -v147
	s_clause 0x6
	buffer_load_dword v157, off, s[0:3], 0 offset:352
	buffer_load_dword v147, off, s[0:3], 0 offset:344
	;; [unrolled: 1-line block ×7, first 2 shown]
	v_add_f32_e32 v7, v159, v201
	buffer_load_dword v159, off, s[0:3], 0 offset:364
	v_add_f32_e32 v7, v7, v202
	s_waitcnt vmcnt(26) lgkmcnt(0)
	v_mul_f32_e32 v183, v9, v8
	v_mul_f32_e32 v4, v10, v8
	s_waitcnt vmcnt(25)
	v_mul_f32_e32 v184, v11, v6
	v_mul_f32_e32 v6, v12, v6
	v_add_f32_e32 v8, v3, v5
	v_add_f32_e32 v7, v7, v203
	v_fmac_f32_e32 v183, v10, v2
	v_fma_f32 v10, v9, v2, -v4
	s_waitcnt vmcnt(21)
	v_fma_f32 v11, v11, v195, -v6
	ds_read_b128 v[2:5], v1 offset:768
	v_add_f32_e32 v6, v8, v172
	v_add_f32_e32 v7, v7, v173
	v_fmac_f32_e32 v184, v12, v195
	s_clause 0x6
	buffer_load_dword v12, off, s[0:3], 0 offset:384
	buffer_load_dword v172, off, s[0:3], 0 offset:376
	;; [unrolled: 1-line block ×7, first 2 shown]
	v_add_f32_e32 v6, v6, v205
	v_add_f32_e32 v7, v7, v204
	;; [unrolled: 1-line block ×6, first 2 shown]
	ds_read_b128 v[6:9], v1 offset:784
	s_waitcnt vmcnt(27) lgkmcnt(1)
	v_mul_f32_e32 v195, v2, v182
	v_mul_f32_e32 v182, v3, v182
	v_add_f32_e32 v148, v148, v209
	v_add_f32_e32 v187, v194, v187
	s_waitcnt vmcnt(26)
	v_mul_f32_e32 v194, v4, v181
	v_fmac_f32_e32 v195, v3, v179
	v_fma_f32 v179, v2, v179, -v182
	v_add_f32_e32 v3, v148, v188
	v_add_f32_e32 v2, v187, v189
	v_mul_f32_e32 v181, v5, v181
	s_clause 0x3
	buffer_load_dword v182, off, s[0:3], 0 offset:396
	buffer_load_dword v187, off, s[0:3], 0 offset:404
	buffer_load_dword v188, off, s[0:3], 0 offset:412
	buffer_load_dword v189, off, s[0:3], 0 offset:420
	v_fmac_f32_e32 v194, v5, v178
	v_add_f32_e32 v3, v3, v190
	v_add_f32_e32 v2, v2, v143
	v_fma_f32 v148, v4, v178, -v181
	s_clause 0x3
	buffer_load_dword v178, off, s[0:3], 0 offset:428
	buffer_load_dword v181, off, s[0:3], 0 offset:436
	;; [unrolled: 1-line block ×4, first 2 shown]
	v_add_f32_e32 v3, v3, v161
	v_add_f32_e32 v2, v2, v167
	s_waitcnt vmcnt(33) lgkmcnt(0)
	v_mul_f32_e32 v203, v6, v176
	v_mul_f32_e32 v4, v7, v176
	s_clause 0x3
	buffer_load_dword v161, off, s[0:3], 0 offset:460
	buffer_load_dword v167, off, s[0:3], 0 offset:468
	;; [unrolled: 1-line block ×4, first 2 shown]
	v_add_f32_e32 v3, v3, v191
	v_add_f32_e32 v2, v2, v168
	buffer_load_dword v168, off, s[0:3], 0 offset:492
	v_fmac_f32_e32 v203, v7, v175
	v_fma_f32 v175, v6, v175, -v4
	v_add_f32_e32 v6, v3, v169
	s_clause 0x3
	buffer_load_dword v169, off, s[0:3], 0 offset:416
	buffer_load_dword v176, off, s[0:3], 0 offset:408
	;; [unrolled: 1-line block ×4, first 2 shown]
	v_add_f32_e32 v2, v2, v146
	s_waitcnt vmcnt(41)
	v_mul_f32_e32 v146, v8, v174
	v_add_f32_e32 v6, v6, v170
	v_add_f32_e32 v7, v2, v139
	v_mul_f32_e32 v2, v9, v174
	s_waitcnt vmcnt(37)
	v_fmac_f32_e32 v146, v9, v197
	v_add_f32_e32 v6, v6, v171
	v_add_f32_e32 v7, v7, v150
	v_fma_f32 v174, v8, v197, -v2
	ds_read_b128 v[2:5], v1 offset:800
	s_clause 0x3
	buffer_load_dword v170, off, s[0:3], 0 offset:448
	buffer_load_dword v171, off, s[0:3], 0 offset:440
	;; [unrolled: 1-line block ×4, first 2 shown]
	v_add_f32_e32 v6, v6, v162
	v_add_f32_e32 v7, v7, v149
	;; [unrolled: 1-line block ×4, first 2 shown]
	ds_read_b128 v[6:9], v1 offset:816
	v_add_f32_e32 v139, v139, v153
	v_add_f32_e32 v141, v141, v164
	s_waitcnt vmcnt(40) lgkmcnt(1)
	v_mul_f32_e32 v150, v2, v198
	v_mul_f32_e32 v143, v3, v198
	v_fmac_f32_e32 v150, v3, v196
	v_fma_f32 v153, v2, v196, -v143
	s_clause 0x5
	buffer_load_dword v162, off, s[0:3], 0 offset:480
	buffer_load_dword v163, off, s[0:3], 0 offset:472
	;; [unrolled: 1-line block ×6, first 2 shown]
	v_add_f32_e32 v2, v139, v152
	v_add_f32_e32 v3, v141, v144
	;; [unrolled: 1-line block ×18, first 2 shown]
	s_waitcnt vmcnt(44)
	v_mul_f32_e32 v154, v4, v151
	v_mul_f32_e32 v138, v5, v151
	v_fmac_f32_e32 v154, v5, v180
	v_fma_f32 v155, v4, v180, -v138
	ds_read_b128 v[2:5], v1 offset:832
	ds_read_b128 v[138:141], v1 offset:848
	s_waitcnt vmcnt(43) lgkmcnt(2)
	v_mul_f32_e32 v11, v6, v142
	v_mul_f32_e32 v142, v7, v142
	v_add_f32_e32 v10, v10, v155
	v_fmac_f32_e32 v11, v7, v177
	s_waitcnt vmcnt(42)
	v_mul_f32_e32 v180, v8, v156
	v_mul_f32_e32 v144, v9, v156
	v_fma_f32 v156, v6, v177, -v142
	s_waitcnt vmcnt(38)
	v_fmac_f32_e32 v180, v9, v145
	v_fma_f32 v177, v8, v145, -v144
	ds_read_b128 v[6:9], v1 offset:864
	ds_read_b128 v[142:145], v1 offset:880
	s_waitcnt vmcnt(36) lgkmcnt(3)
	v_mul_f32_e32 v151, v5, v165
	v_mul_f32_e32 v179, v2, v160
	;; [unrolled: 1-line block ×4, first 2 shown]
	s_waitcnt vmcnt(35) lgkmcnt(2)
	v_mul_f32_e32 v165, v138, v166
	v_mul_f32_e32 v152, v139, v166
	v_fma_f32 v175, v4, v147, -v151
	v_add_f32_e32 v151, v149, v146
	v_fmac_f32_e32 v179, v3, v158
	v_fmac_f32_e32 v165, v139, v157
	v_fma_f32 v174, v138, v157, -v152
	v_fma_f32 v158, v2, v158, -v148
	v_add_f32_e32 v157, v151, v150
	v_fmac_f32_e32 v160, v5, v147
	s_waitcnt vmcnt(34)
	v_mul_f32_e32 v166, v140, v159
	v_mul_f32_e32 v159, v141, v159
	ds_read_b128 v[2:5], v1 offset:896
	ds_read_b128 v[146:149], v1 offset:912
	v_add_f32_e32 v154, v157, v154
	s_waitcnt vmcnt(29) lgkmcnt(3)
	v_mul_f32_e32 v183, v6, v186
	v_mul_f32_e32 v155, v7, v186
	v_fma_f32 v159, v140, v185, -v159
	v_fmac_f32_e32 v166, v141, v185
	s_waitcnt vmcnt(28)
	v_mul_f32_e32 v184, v8, v192
	v_fmac_f32_e32 v183, v7, v173
	v_add_f32_e32 v7, v10, v156
	v_add_f32_e32 v10, v154, v11
	v_fma_f32 v11, v6, v173, -v155
	v_mul_f32_e32 v157, v9, v192
	ds_read_b128 v[138:141], v1 offset:928
	ds_read_b128 v[150:153], v1 offset:944
	v_add_f32_e32 v173, v7, v177
	v_add_f32_e32 v10, v10, v180
	v_fmac_f32_e32 v184, v9, v172
	v_fma_f32 v172, v8, v172, -v157
	ds_read_b128 v[6:9], v1 offset:960
	ds_read_b128 v[154:157], v1 offset:976
	v_add_f32_e32 v158, v173, v158
	v_add_f32_e32 v10, v10, v179
	s_waitcnt vmcnt(27) lgkmcnt(6)
	v_mul_f32_e32 v1, v142, v193
	v_mul_f32_e32 v173, v143, v193
	v_add_f32_e32 v158, v158, v175
	v_add_f32_e32 v10, v10, v160
	v_fmac_f32_e32 v1, v143, v12
	s_waitcnt vmcnt(26)
	v_mul_f32_e32 v179, v145, v182
	v_fma_f32 v12, v142, v12, -v173
	v_add_f32_e32 v158, v158, v174
	v_add_f32_e32 v10, v10, v165
	v_mul_f32_e32 v177, v144, v182
	s_waitcnt vmcnt(25) lgkmcnt(5)
	v_mul_f32_e32 v175, v2, v187
	v_mul_f32_e32 v143, v3, v187
	v_add_f32_e32 v158, v158, v159
	v_add_f32_e32 v10, v10, v166
	s_waitcnt vmcnt(24)
	v_mul_f32_e32 v160, v4, v188
	s_waitcnt vmcnt(23) lgkmcnt(4)
	v_mul_f32_e32 v180, v146, v189
	s_waitcnt vmcnt(22)
	v_mul_f32_e32 v174, v148, v178
	v_add_f32_e32 v11, v158, v11
	v_add_f32_e32 v10, v10, v183
	s_waitcnt vmcnt(21) lgkmcnt(3)
	v_mul_f32_e32 v165, v138, v181
	s_waitcnt vmcnt(20)
	v_mul_f32_e32 v182, v140, v190
	s_waitcnt vmcnt(19) lgkmcnt(2)
	v_mul_f32_e32 v159, v150, v199
	v_add_f32_e32 v11, v11, v172
	v_add_f32_e32 v10, v10, v184
	s_waitcnt vmcnt(12)
	v_fmac_f32_e32 v160, v5, v176
	s_waitcnt vmcnt(11)
	v_fmac_f32_e32 v175, v3, v191
	s_waitcnt vmcnt(10)
	v_fma_f32 v144, v144, v204, -v179
	v_add_f32_e32 v11, v11, v12
	v_fmac_f32_e32 v177, v145, v204
	v_add_f32_e32 v1, v10, v1
	v_mul_f32_e32 v10, v5, v188
	v_fma_f32 v2, v2, v191, -v143
	v_add_f32_e32 v3, v11, v144
	v_mul_f32_e32 v11, v147, v189
	v_add_f32_e32 v1, v1, v177
	v_fma_f32 v4, v4, v176, -v10
	v_fmac_f32_e32 v180, v147, v169
	v_add_f32_e32 v2, v3, v2
	v_mul_f32_e32 v3, v149, v178
	v_add_f32_e32 v1, v1, v175
	v_fma_f32 v5, v146, v169, -v11
	s_waitcnt vmcnt(6)
	v_fmac_f32_e32 v174, v149, v205
	v_add_f32_e32 v2, v2, v4
	v_mul_f32_e32 v4, v139, v181
	v_add_f32_e32 v1, v1, v160
	v_fma_f32 v3, v148, v205, -v3
	v_fmac_f32_e32 v165, v139, v197
	v_add_f32_e32 v2, v2, v5
	v_mul_f32_e32 v5, v141, v190
	v_add_f32_e32 v1, v1, v180
	v_fma_f32 v4, v138, v197, -v4
	;; [unrolled: 5-line block ×3, first 2 shown]
	v_mul_f32_e32 v166, v152, v161
	v_add_f32_e32 v2, v2, v4
	v_mul_f32_e32 v4, v153, v161
	v_add_f32_e32 v1, v1, v165
	v_fma_f32 v3, v150, v170, -v3
	v_fmac_f32_e32 v159, v151, v170
	v_add_f32_e32 v2, v2, v5
	s_waitcnt lgkmcnt(1)
	v_mul_f32_e32 v5, v7, v167
	v_add_f32_e32 v1, v1, v182
	v_mul_f32_e32 v185, v6, v167
	s_waitcnt vmcnt(2)
	v_fma_f32 v4, v152, v196, -v4
	v_add_f32_e32 v2, v2, v3
	v_fmac_f32_e32 v166, v153, v196
	v_add_f32_e32 v1, v1, v159
	v_mul_f32_e32 v3, v9, v201
	v_fma_f32 v5, v6, v164, -v5
	v_add_f32_e32 v2, v2, v4
	v_mul_f32_e32 v158, v8, v201
	v_fmac_f32_e32 v185, v7, v164
	v_add_f32_e32 v1, v1, v166
	s_waitcnt lgkmcnt(0)
	v_mul_f32_e32 v4, v155, v202
	v_fma_f32 v3, v8, v163, -v3
	v_add_f32_e32 v2, v2, v5
	v_mul_f32_e32 v183, v154, v202
	v_fmac_f32_e32 v158, v9, v163
	v_add_f32_e32 v1, v1, v185
	v_mul_f32_e32 v5, v157, v168
	v_fma_f32 v4, v154, v162, -v4
	v_add_f32_e32 v2, v2, v3
	v_mul_f32_e32 v142, v156, v168
	v_fmac_f32_e32 v183, v155, v162
	v_add_f32_e32 v1, v1, v158
	s_waitcnt vmcnt(1)
	v_fma_f32 v3, v156, v198, -v5
	v_add_f32_e32 v2, v2, v4
	v_fmac_f32_e32 v142, v157, v198
	v_add_f32_e32 v1, v1, v183
	v_add_f32_e32 v2, v2, v3
	;; [unrolled: 1-line block ×3, first 2 shown]
	s_waitcnt vmcnt(0)
	v_sub_f32_e32 v2, v206, v2
	v_sub_f32_e32 v1, v200, v1
	buffer_store_dword v2, off, s[0:3], 0 offset:72
	buffer_store_dword v1, off, s[0:3], 0 offset:76
	v_cmpx_lt_u32_e32 8, v0
	s_cbranch_execz .LBB61_369
; %bb.368:
	s_clause 0x1
	buffer_load_dword v1, off, s[0:3], 0 offset:64
	buffer_load_dword v2, off, s[0:3], 0 offset:68
	v_mov_b32_e32 v3, 0
	buffer_store_dword v3, off, s[0:3], 0 offset:64
	buffer_store_dword v3, off, s[0:3], 0 offset:68
	s_waitcnt vmcnt(0)
	ds_write_b64 v137, v[1:2]
.LBB61_369:
	s_or_b32 exec_lo, exec_lo, s4
	s_waitcnt lgkmcnt(0)
	s_waitcnt_vscnt null, 0x0
	s_barrier
	buffer_gl0_inv
	s_clause 0x3b
	buffer_load_dword v9, off, s[0:3], 0 offset:76
	buffer_load_dword v2, off, s[0:3], 0 offset:88
	buffer_load_dword v4, off, s[0:3], 0 offset:80
	buffer_load_dword v7, off, s[0:3], 0 offset:72
	buffer_load_dword v6, off, s[0:3], 0 offset:84
	buffer_load_dword v5, off, s[0:3], 0 offset:92
	buffer_load_dword v3, off, s[0:3], 0 offset:100
	buffer_load_dword v148, off, s[0:3], 0 offset:120
	buffer_load_dword v160, off, s[0:3], 0 offset:112
	buffer_load_dword v168, off, s[0:3], 0 offset:104
	buffer_load_dword v173, off, s[0:3], 0 offset:96
	buffer_load_dword v172, off, s[0:3], 0 offset:108
	buffer_load_dword v169, off, s[0:3], 0 offset:116
	buffer_load_dword v164, off, s[0:3], 0 offset:124
	buffer_load_dword v157, off, s[0:3], 0 offset:132
	buffer_load_dword v143, off, s[0:3], 0 offset:152
	buffer_load_dword v155, off, s[0:3], 0 offset:144
	buffer_load_dword v163, off, s[0:3], 0 offset:136
	buffer_load_dword v171, off, s[0:3], 0 offset:128
	buffer_load_dword v170, off, s[0:3], 0 offset:140
	buffer_load_dword v165, off, s[0:3], 0 offset:148
	buffer_load_dword v161, off, s[0:3], 0 offset:156
	buffer_load_dword v153, off, s[0:3], 0 offset:164
	buffer_load_dword v139, off, s[0:3], 0 offset:184
	buffer_load_dword v146, off, s[0:3], 0 offset:176
	buffer_load_dword v156, off, s[0:3], 0 offset:168
	buffer_load_dword v167, off, s[0:3], 0 offset:160
	buffer_load_dword v166, off, s[0:3], 0 offset:172
	buffer_load_dword v158, off, s[0:3], 0 offset:180
	buffer_load_dword v154, off, s[0:3], 0 offset:188
	buffer_load_dword v150, off, s[0:3], 0 offset:196
	buffer_load_dword v12, off, s[0:3], 0 offset:216
	buffer_load_dword v141, off, s[0:3], 0 offset:208
	buffer_load_dword v149, off, s[0:3], 0 offset:200
	buffer_load_dword v162, off, s[0:3], 0 offset:192
	buffer_load_dword v159, off, s[0:3], 0 offset:204
	buffer_load_dword v151, off, s[0:3], 0 offset:212
	buffer_load_dword v144, off, s[0:3], 0 offset:220
	buffer_load_dword v142, off, s[0:3], 0 offset:228
	buffer_load_dword v8, off, s[0:3], 0 offset:248
	buffer_load_dword v138, off, s[0:3], 0 offset:240
	buffer_load_dword v140, off, s[0:3], 0 offset:232
	buffer_load_dword v152, off, s[0:3], 0 offset:224
	buffer_load_dword v147, off, s[0:3], 0 offset:236
	buffer_load_dword v145, off, s[0:3], 0 offset:244
	buffer_load_dword v11, off, s[0:3], 0 offset:252
	buffer_load_dword v10, off, s[0:3], 0 offset:260
	buffer_load_dword v175, off, s[0:3], 0 offset:280
	buffer_load_dword v178, off, s[0:3], 0 offset:272
	buffer_load_dword v180, off, s[0:3], 0 offset:264
	buffer_load_dword v195, off, s[0:3], 0 offset:256
	buffer_load_dword v182, off, s[0:3], 0 offset:268
	buffer_load_dword v181, off, s[0:3], 0 offset:276
	buffer_load_dword v177, off, s[0:3], 0 offset:284
	buffer_load_dword v174, off, s[0:3], 0 offset:292
	buffer_load_dword v176, off, s[0:3], 0 offset:312
	buffer_load_dword v179, off, s[0:3], 0 offset:304
	buffer_load_dword v196, off, s[0:3], 0 offset:296
	buffer_load_dword v197, off, s[0:3], 0 offset:288
	buffer_load_dword v198, off, s[0:3], 0 offset:300
	v_mov_b32_e32 v1, 0
	ds_read2_b64 v[183:186], v1 offset0:71 offset1:72
	ds_read2_b64 v[187:190], v1 offset0:73 offset1:74
	;; [unrolled: 1-line block ×3, first 2 shown]
	buffer_load_dword v200, off, s[0:3], 0 offset:68
	s_mov_b32 s4, exec_lo
	s_waitcnt vmcnt(60) lgkmcnt(2)
	v_mul_f32_e32 v199, v183, v9
	v_mul_f32_e32 v9, v184, v9
	s_waitcnt vmcnt(56)
	v_mul_f32_e32 v201, v185, v6
	v_mul_f32_e32 v6, v186, v6
	v_fmac_f32_e32 v199, v184, v7
	v_fma_f32 v9, v183, v7, -v9
	s_waitcnt vmcnt(55) lgkmcnt(1)
	v_mul_f32_e32 v203, v187, v5
	v_fmac_f32_e32 v201, v186, v4
	v_fma_f32 v202, v185, v4, -v6
	v_mul_f32_e32 v183, v188, v5
	ds_read2_b64 v[4:7], v1 offset0:77 offset1:78
	v_fmac_f32_e32 v203, v188, v2
	s_waitcnt vmcnt(54)
	v_mul_f32_e32 v205, v189, v3
	s_waitcnt vmcnt(49) lgkmcnt(1)
	v_mul_f32_e32 v206, v191, v172
	v_fma_f32 v204, v187, v2, -v183
	v_mul_f32_e32 v2, v190, v3
	ds_read2_b64 v[183:186], v1 offset0:79 offset1:80
	v_fmac_f32_e32 v205, v190, v173
	v_fmac_f32_e32 v206, v192, v168
	v_add_f32_e32 v9, 0, v9
	v_fma_f32 v173, v189, v173, -v2
	v_mul_f32_e32 v2, v192, v172
	ds_read2_b64 v[187:190], v1 offset0:81 offset1:82
	v_add_f32_e32 v9, v9, v202
	v_fma_f32 v172, v191, v168, -v2
	s_waitcnt vmcnt(48)
	v_mul_f32_e32 v191, v193, v169
	v_mul_f32_e32 v2, v194, v169
	v_add_f32_e32 v9, v9, v204
	s_waitcnt vmcnt(47) lgkmcnt(2)
	v_mul_f32_e32 v192, v4, v164
	v_fmac_f32_e32 v191, v194, v160
	v_fma_f32 v160, v193, v160, -v2
	v_mul_f32_e32 v2, v5, v164
	v_fmac_f32_e32 v192, v5, v148
	s_waitcnt vmcnt(46)
	v_mul_f32_e32 v193, v6, v157
	v_fma_f32 v148, v4, v148, -v2
	v_mul_f32_e32 v2, v7, v157
	s_waitcnt vmcnt(42)
	v_fmac_f32_e32 v193, v7, v171
	s_waitcnt vmcnt(41) lgkmcnt(1)
	v_mul_f32_e32 v157, v183, v170
	v_mul_f32_e32 v7, v184, v170
	v_fma_f32 v6, v6, v171, -v2
	ds_read2_b64 v[2:5], v1 offset0:83 offset1:84
	ds_read2_b64 v[168:171], v1 offset0:85 offset1:86
	v_fmac_f32_e32 v157, v184, v163
	v_fma_f32 v183, v183, v163, -v7
	s_waitcnt vmcnt(40)
	v_mul_f32_e32 v184, v185, v165
	v_mul_f32_e32 v7, v186, v165
	v_fmac_f32_e32 v184, v186, v155
	v_fma_f32 v185, v185, v155, -v7
	s_waitcnt vmcnt(39) lgkmcnt(2)
	v_mul_f32_e32 v186, v187, v161
	v_mul_f32_e32 v7, v188, v161
	s_waitcnt vmcnt(38)
	v_mul_f32_e32 v161, v189, v153
	v_fmac_f32_e32 v186, v188, v143
	v_fma_f32 v143, v187, v143, -v7
	v_mul_f32_e32 v7, v190, v153
	s_waitcnt vmcnt(34)
	v_fmac_f32_e32 v161, v190, v167
	s_waitcnt vmcnt(33) lgkmcnt(1)
	v_mul_f32_e32 v187, v2, v166
	s_waitcnt vmcnt(30) lgkmcnt(0)
	v_mul_f32_e32 v190, v170, v150
	v_fma_f32 v167, v189, v167, -v7
	v_mul_f32_e32 v7, v3, v166
	ds_read2_b64 v[163:166], v1 offset0:87 offset1:88
	v_mul_f32_e32 v189, v4, v158
	v_fmac_f32_e32 v187, v3, v156
	s_waitcnt vmcnt(26)
	v_fmac_f32_e32 v190, v171, v162
	v_fma_f32 v188, v2, v156, -v7
	v_mul_f32_e32 v2, v5, v158
	v_fmac_f32_e32 v189, v5, v146
	v_mul_f32_e32 v158, v168, v154
	v_mul_f32_e32 v7, v171, v150
	v_fma_f32 v146, v4, v146, -v2
	v_mul_f32_e32 v2, v169, v154
	v_fmac_f32_e32 v158, v169, v139
	v_fma_f32 v150, v170, v162, -v7
	ds_read2_b64 v[153:156], v1 offset0:91 offset1:92
	v_fma_f32 v139, v168, v139, -v2
	ds_read2_b64 v[2:5], v1 offset0:89 offset1:90
	s_waitcnt vmcnt(25) lgkmcnt(2)
	v_mul_f32_e32 v162, v163, v159
	v_mul_f32_e32 v7, v164, v159
	s_waitcnt vmcnt(24)
	v_mul_f32_e32 v159, v165, v151
	v_fmac_f32_e32 v162, v164, v149
	v_fma_f32 v149, v163, v149, -v7
	v_mul_f32_e32 v7, v166, v151
	v_fmac_f32_e32 v159, v166, v141
	s_clause 0x1
	buffer_load_dword v151, off, s[0:3], 0 offset:308
	buffer_load_dword v164, off, s[0:3], 0 offset:316
	v_fma_f32 v141, v165, v141, -v7
	buffer_load_dword v165, off, s[0:3], 0 offset:324
	s_waitcnt vmcnt(26) lgkmcnt(0)
	v_mul_f32_e32 v163, v2, v144
	v_mul_f32_e32 v7, v3, v144
	s_waitcnt vmcnt(25)
	v_mul_f32_e32 v144, v4, v142
	v_mul_f32_e32 v142, v5, v142
	v_fmac_f32_e32 v163, v3, v12
	v_fma_f32 v12, v2, v12, -v7
	s_waitcnt vmcnt(21)
	v_fmac_f32_e32 v144, v5, v152
	v_fma_f32 v142, v4, v152, -v142
	ds_read2_b64 v[2:5], v1 offset0:93 offset1:94
	s_waitcnt vmcnt(20)
	v_mul_f32_e32 v152, v153, v147
	v_mul_f32_e32 v7, v154, v147
	s_waitcnt vmcnt(19)
	v_mul_f32_e32 v147, v155, v145
	v_mul_f32_e32 v145, v156, v145
	v_fmac_f32_e32 v152, v154, v140
	v_fma_f32 v140, v153, v140, -v7
	v_add_f32_e32 v7, 0, v199
	v_fmac_f32_e32 v147, v156, v138
	v_fma_f32 v138, v155, v138, -v145
	s_clause 0x6
	buffer_load_dword v153, off, s[0:3], 0 offset:344
	buffer_load_dword v154, off, s[0:3], 0 offset:336
	;; [unrolled: 1-line block ×7, first 2 shown]
	v_add_f32_e32 v7, v7, v201
	buffer_load_dword v169, off, s[0:3], 0 offset:356
	v_add_f32_e32 v7, v7, v203
	s_waitcnt vmcnt(26) lgkmcnt(0)
	v_mul_f32_e32 v170, v2, v11
	v_mul_f32_e32 v11, v3, v11
	s_waitcnt vmcnt(25)
	v_mul_f32_e32 v171, v4, v10
	v_add_f32_e32 v7, v7, v205
	v_mul_f32_e32 v10, v5, v10
	v_fmac_f32_e32 v170, v3, v8
	v_fma_f32 v11, v2, v8, -v11
	v_add_f32_e32 v8, v9, v173
	v_add_f32_e32 v7, v7, v206
	s_waitcnt vmcnt(21)
	v_fmac_f32_e32 v171, v5, v195
	v_fma_f32 v10, v4, v195, -v10
	ds_read2_b64 v[2:5], v1 offset0:95 offset1:96
	v_add_f32_e32 v8, v8, v172
	v_add_f32_e32 v7, v7, v191
	s_clause 0x3
	buffer_load_dword v172, off, s[0:3], 0 offset:376
	buffer_load_dword v173, off, s[0:3], 0 offset:368
	;; [unrolled: 1-line block ×4, first 2 shown]
	v_add_f32_e32 v8, v8, v160
	v_add_f32_e32 v8, v8, v148
	;; [unrolled: 1-line block ×3, first 2 shown]
	s_clause 0x2
	buffer_load_dword v160, off, s[0:3], 0 offset:364
	buffer_load_dword v191, off, s[0:3], 0 offset:372
	;; [unrolled: 1-line block ×3, first 2 shown]
	v_add_f32_e32 v199, v8, v6
	v_add_f32_e32 v148, v148, v193
	ds_read2_b64 v[6:9], v1 offset0:97 offset1:98
	s_waitcnt vmcnt(27) lgkmcnt(1)
	v_mul_f32_e32 v193, v2, v182
	v_mul_f32_e32 v182, v3, v182
	v_add_f32_e32 v183, v199, v183
	s_waitcnt vmcnt(26)
	v_mul_f32_e32 v199, v4, v181
	v_mul_f32_e32 v181, v5, v181
	v_fmac_f32_e32 v193, v3, v180
	v_add_f32_e32 v3, v148, v157
	v_add_f32_e32 v148, v183, v185
	v_fma_f32 v157, v2, v180, -v182
	v_fmac_f32_e32 v199, v5, v178
	v_fma_f32 v178, v4, v178, -v181
	v_add_f32_e32 v2, v3, v184
	v_add_f32_e32 v3, v148, v143
	s_clause 0x7
	buffer_load_dword v180, off, s[0:3], 0 offset:388
	buffer_load_dword v181, off, s[0:3], 0 offset:396
	;; [unrolled: 1-line block ×8, first 2 shown]
	v_add_f32_e32 v2, v2, v186
	v_add_f32_e32 v3, v3, v167
	s_waitcnt vmcnt(33) lgkmcnt(0)
	v_mul_f32_e32 v148, v6, v177
	v_mul_f32_e32 v4, v7, v177
	s_clause 0x1
	buffer_load_dword v167, off, s[0:3], 0 offset:420
	buffer_load_dword v186, off, s[0:3], 0 offset:428
	v_add_f32_e32 v2, v2, v161
	v_add_f32_e32 v3, v3, v188
	v_fmac_f32_e32 v148, v7, v175
	v_fma_f32 v175, v6, v175, -v4
	s_clause 0x1
	buffer_load_dword v161, off, s[0:3], 0 offset:436
	buffer_load_dword v177, off, s[0:3], 0 offset:444
	v_add_f32_e32 v2, v2, v187
	v_add_f32_e32 v3, v3, v146
	s_clause 0x3
	buffer_load_dword v187, off, s[0:3], 0 offset:452
	buffer_load_dword v188, off, s[0:3], 0 offset:460
	;; [unrolled: 1-line block ×4, first 2 shown]
	s_waitcnt vmcnt(40)
	v_mul_f32_e32 v146, v8, v174
	v_add_f32_e32 v2, v2, v189
	v_add_f32_e32 v6, v3, v139
	v_mul_f32_e32 v3, v9, v174
	buffer_load_dword v189, off, s[0:3], 0 offset:484
	s_waitcnt vmcnt(37)
	v_fmac_f32_e32 v146, v9, v197
	v_add_f32_e32 v7, v2, v158
	v_add_f32_e32 v6, v6, v150
	v_fma_f32 v174, v8, v197, -v3
	ds_read2_b64 v[2:5], v1 offset0:99 offset1:100
	buffer_load_dword v158, off, s[0:3], 0 offset:492
	v_add_f32_e32 v7, v7, v190
	v_add_f32_e32 v6, v6, v149
	;; [unrolled: 1-line block ×3, first 2 shown]
	s_clause 0x3
	buffer_load_dword v162, off, s[0:3], 0 offset:440
	buffer_load_dword v190, off, s[0:3], 0 offset:432
	buffer_load_dword v197, off, s[0:3], 0 offset:424
	buffer_load_dword v205, off, s[0:3], 0 offset:416
	v_add_f32_e32 v6, v6, v141
	v_add_f32_e32 v139, v7, v159
	;; [unrolled: 1-line block ×3, first 2 shown]
	ds_read2_b64 v[6:9], v1 offset0:101 offset1:102
	v_add_f32_e32 v139, v139, v163
	v_add_f32_e32 v12, v12, v142
	s_waitcnt vmcnt(41) lgkmcnt(1)
	v_mul_f32_e32 v149, v2, v198
	v_mul_f32_e32 v141, v3, v198
	v_fmac_f32_e32 v149, v3, v196
	v_fma_f32 v150, v2, v196, -v141
	v_add_f32_e32 v3, v12, v140
	s_clause 0x6
	buffer_load_dword v12, off, s[0:3], 0 offset:472
	buffer_load_dword v159, off, s[0:3], 0 offset:464
	;; [unrolled: 1-line block ×7, first 2 shown]
	v_add_f32_e32 v2, v139, v144
	v_add_f32_e32 v3, v3, v138
	;; [unrolled: 1-line block ×18, first 2 shown]
	s_waitcnt vmcnt(46)
	v_mul_f32_e32 v11, v4, v151
	v_mul_f32_e32 v138, v5, v151
	s_waitcnt vmcnt(45) lgkmcnt(0)
	v_mul_f32_e32 v157, v6, v164
	v_mul_f32_e32 v143, v7, v164
	s_waitcnt vmcnt(44)
	v_mul_f32_e32 v164, v8, v165
	v_mul_f32_e32 v144, v9, v165
	v_fmac_f32_e32 v11, v5, v179
	v_fma_f32 v151, v4, v179, -v138
	ds_read2_b64 v[2:5], v1 offset0:103 offset1:104
	ds_read2_b64 v[138:141], v1 offset0:105 offset1:106
	v_fmac_f32_e32 v157, v7, v176
	v_fma_f32 v165, v6, v176, -v143
	v_add_f32_e32 v10, v10, v151
	v_add_f32_e32 v11, v150, v11
	;; [unrolled: 1-line block ×4, first 2 shown]
	s_waitcnt vmcnt(40)
	v_fmac_f32_e32 v164, v9, v145
	v_fma_f32 v170, v8, v145, -v144
	ds_read2_b64 v[6:9], v1 offset0:107 offset1:108
	ds_read2_b64 v[142:145], v1 offset0:109 offset1:110
	s_waitcnt vmcnt(39) lgkmcnt(3)
	v_mul_f32_e32 v171, v2, v156
	v_mul_f32_e32 v152, v3, v156
	s_waitcnt vmcnt(38)
	v_mul_f32_e32 v175, v4, v166
	v_mul_f32_e32 v148, v5, v166
	s_waitcnt vmcnt(37) lgkmcnt(2)
	v_mul_f32_e32 v166, v138, v168
	v_mul_f32_e32 v156, v139, v168
	v_fmac_f32_e32 v171, v3, v155
	v_fma_f32 v155, v2, v155, -v152
	v_fmac_f32_e32 v175, v5, v154
	v_fma_f32 v168, v4, v154, -v148
	s_waitcnt vmcnt(36)
	v_mul_f32_e32 v174, v140, v169
	v_mul_f32_e32 v152, v141, v169
	v_fma_f32 v169, v138, v153, -v156
	v_fmac_f32_e32 v166, v139, v153
	ds_read2_b64 v[2:5], v1 offset0:111 offset1:112
	ds_read2_b64 v[146:149], v1 offset0:113 offset1:114
	s_waitcnt vmcnt(32)
	v_fma_f32 v176, v140, v195, -v152
	v_fmac_f32_e32 v174, v141, v195
	ds_read2_b64 v[138:141], v1 offset0:115 offset1:116
	ds_read2_b64 v[150:153], v1 offset0:117 offset1:118
	s_waitcnt vmcnt(31) lgkmcnt(5)
	v_mul_f32_e32 v165, v6, v160
	v_mul_f32_e32 v154, v7, v160
	s_waitcnt vmcnt(30)
	v_mul_f32_e32 v156, v9, v191
	v_mul_f32_e32 v178, v8, v191
	v_fmac_f32_e32 v165, v7, v194
	v_add_f32_e32 v7, v10, v170
	v_add_f32_e32 v10, v11, v164
	v_fma_f32 v160, v6, v194, -v154
	v_fma_f32 v164, v8, v173, -v156
	v_fmac_f32_e32 v178, v9, v173
	v_add_f32_e32 v170, v7, v155
	v_add_f32_e32 v171, v10, v171
	ds_read2_b64 v[6:9], v1 offset0:119 offset1:120
	ds_read2_b64 v[154:157], v1 offset0:121 offset1:122
	ds_read_b64 v[10:11], v1 offset:984
	s_waitcnt vmcnt(28) lgkmcnt(7)
	v_mul_f32_e32 v179, v145, v180
	v_add_f32_e32 v168, v170, v168
	v_add_f32_e32 v171, v171, v175
	v_mul_f32_e32 v175, v143, v192
	v_mul_f32_e32 v170, v142, v192
	;; [unrolled: 1-line block ×3, first 2 shown]
	v_add_f32_e32 v168, v168, v169
	v_add_f32_e32 v166, v171, v166
	v_fma_f32 v142, v142, v172, -v175
	v_fmac_f32_e32 v170, v143, v172
	s_waitcnt vmcnt(27) lgkmcnt(6)
	v_mul_f32_e32 v169, v2, v181
	v_add_f32_e32 v168, v168, v176
	v_add_f32_e32 v166, v166, v174
	v_mul_f32_e32 v175, v3, v181
	s_waitcnt vmcnt(21)
	v_fma_f32 v144, v144, v202, -v179
	v_fmac_f32_e32 v173, v145, v202
	v_add_f32_e32 v160, v168, v160
	v_add_f32_e32 v165, v166, v165
	v_fmac_f32_e32 v169, v3, v201
	v_fma_f32 v2, v2, v201, -v175
	v_mul_f32_e32 v171, v4, v182
	v_add_f32_e32 v160, v160, v164
	v_add_f32_e32 v164, v165, v178
	v_mul_f32_e32 v165, v5, v182
	s_waitcnt lgkmcnt(5)
	v_mul_f32_e32 v143, v146, v183
	v_fmac_f32_e32 v171, v5, v185
	v_add_f32_e32 v142, v160, v142
	v_add_f32_e32 v160, v164, v170
	v_fma_f32 v4, v4, v185, -v165
	s_waitcnt vmcnt(20)
	v_mul_f32_e32 v5, v149, v167
	v_mul_f32_e32 v172, v148, v167
	v_add_f32_e32 v3, v142, v144
	v_add_f32_e32 v142, v160, v173
	v_mul_f32_e32 v144, v147, v183
	v_fmac_f32_e32 v143, v147, v184
	s_waitcnt vmcnt(19) lgkmcnt(4)
	v_mul_f32_e32 v174, v138, v186
	v_add_f32_e32 v2, v3, v2
	v_add_f32_e32 v3, v142, v169
	v_fma_f32 v142, v146, v184, -v144
	s_waitcnt vmcnt(18)
	v_mul_f32_e32 v145, v140, v161
	s_waitcnt vmcnt(8)
	v_fmac_f32_e32 v174, v139, v197
	v_add_f32_e32 v2, v2, v4
	v_add_f32_e32 v3, v3, v171
	v_mul_f32_e32 v4, v139, v186
	s_waitcnt vmcnt(7)
	v_fma_f32 v5, v148, v205, -v5
	v_fmac_f32_e32 v172, v149, v205
	v_add_f32_e32 v2, v2, v142
	v_add_f32_e32 v3, v3, v143
	v_mul_f32_e32 v142, v141, v161
	v_fma_f32 v4, v138, v197, -v4
	s_waitcnt lgkmcnt(3)
	v_mul_f32_e32 v176, v150, v177
	v_add_f32_e32 v2, v2, v5
	v_add_f32_e32 v3, v3, v172
	v_mul_f32_e32 v5, v151, v177
	v_fma_f32 v138, v140, v190, -v142
	v_fmac_f32_e32 v145, v141, v190
	v_add_f32_e32 v2, v2, v4
	v_add_f32_e32 v3, v3, v174
	v_mul_f32_e32 v4, v153, v187
	v_fma_f32 v5, v150, v162, -v5
	v_mul_f32_e32 v166, v152, v187
	v_add_f32_e32 v2, v2, v138
	v_fmac_f32_e32 v176, v151, v162
	v_add_f32_e32 v3, v3, v145
	s_waitcnt lgkmcnt(2)
	v_mul_f32_e32 v138, v7, v188
	s_waitcnt vmcnt(3)
	v_fma_f32 v4, v152, v196, -v4
	v_add_f32_e32 v2, v2, v5
	v_mul_f32_e32 v168, v6, v188
	v_fmac_f32_e32 v166, v153, v196
	v_add_f32_e32 v3, v3, v176
	v_mul_f32_e32 v5, v9, v203
	v_fma_f32 v6, v6, v163, -v138
	v_add_f32_e32 v2, v2, v4
	v_mul_f32_e32 v179, v8, v203
	v_fmac_f32_e32 v168, v7, v163
	v_add_f32_e32 v3, v3, v166
	s_waitcnt lgkmcnt(1)
	v_mul_f32_e32 v4, v155, v204
	v_fma_f32 v5, v8, v159, -v5
	v_add_f32_e32 v2, v2, v6
	v_mul_f32_e32 v178, v154, v204
	v_fmac_f32_e32 v179, v9, v159
	v_add_f32_e32 v3, v3, v168
	v_mul_f32_e32 v6, v157, v189
	v_fma_f32 v4, v154, v12, -v4
	v_add_f32_e32 v2, v2, v5
	v_mul_f32_e32 v180, v156, v189
	v_fmac_f32_e32 v178, v155, v12
	v_add_f32_e32 v3, v3, v179
	s_waitcnt lgkmcnt(0)
	v_mul_f32_e32 v5, v11, v158
	s_waitcnt vmcnt(1)
	v_fma_f32 v6, v156, v206, -v6
	v_add_f32_e32 v2, v2, v4
	v_mul_f32_e32 v164, v10, v158
	v_fmac_f32_e32 v180, v157, v206
	v_add_f32_e32 v3, v3, v178
	v_fma_f32 v4, v10, v198, -v5
	v_add_f32_e32 v2, v2, v6
	v_fmac_f32_e32 v164, v11, v198
	v_add_f32_e32 v3, v3, v180
	v_add_f32_e32 v2, v2, v4
	;; [unrolled: 1-line block ×3, first 2 shown]
	s_waitcnt vmcnt(0)
	v_sub_f32_e32 v2, v207, v2
	v_sub_f32_e32 v3, v200, v3
	buffer_store_dword v2, off, s[0:3], 0 offset:64
	buffer_store_dword v3, off, s[0:3], 0 offset:68
	v_cmpx_lt_u32_e32 7, v0
	s_cbranch_execz .LBB61_371
; %bb.370:
	s_clause 0x1
	buffer_load_dword v2, off, s[0:3], 0 offset:56
	buffer_load_dword v3, off, s[0:3], 0 offset:60
	buffer_store_dword v1, off, s[0:3], 0 offset:56
	buffer_store_dword v1, off, s[0:3], 0 offset:60
	s_waitcnt vmcnt(0)
	ds_write_b64 v137, v[2:3]
.LBB61_371:
	s_or_b32 exec_lo, exec_lo, s4
	s_waitcnt lgkmcnt(0)
	s_waitcnt_vscnt null, 0x0
	s_barrier
	buffer_gl0_inv
	s_clause 0x3c
	buffer_load_dword v9, off, s[0:3], 0 offset:68
	buffer_load_dword v10, off, s[0:3], 0 offset:76
	;; [unrolled: 1-line block ×61, first 2 shown]
	ds_read_b128 v[183:186], v1 offset:560
	ds_read_b128 v[187:190], v1 offset:576
	buffer_load_dword v198, off, s[0:3], 0 offset:60
	s_mov_b32 s4, exec_lo
	s_waitcnt vmcnt(61) lgkmcnt(1)
	v_mul_f32_e32 v196, v183, v9
	v_mul_f32_e32 v9, v184, v9
	s_waitcnt vmcnt(60)
	v_mul_f32_e32 v197, v185, v10
	v_mul_f32_e32 v10, v186, v10
	s_waitcnt vmcnt(57)
	v_fmac_f32_e32 v196, v184, v6
	v_fma_f32 v199, v183, v6, -v9
	v_fmac_f32_e32 v197, v186, v5
	v_fma_f32 v200, v185, v5, -v10
	ds_read_b128 v[183:186], v1 offset:592
	s_waitcnt vmcnt(56) lgkmcnt(1)
	v_mul_f32_e32 v201, v187, v4
	v_mul_f32_e32 v4, v188, v4
	s_waitcnt vmcnt(55)
	v_mul_f32_e32 v202, v189, v3
	v_mul_f32_e32 v3, v190, v3
	v_fmac_f32_e32 v201, v188, v2
	v_fma_f32 v187, v187, v2, -v4
	s_waitcnt vmcnt(51)
	v_fmac_f32_e32 v202, v190, v173
	v_fma_f32 v173, v189, v173, -v3
	ds_read_b128 v[2:5], v1 offset:608
	s_waitcnt vmcnt(50) lgkmcnt(1)
	v_mul_f32_e32 v188, v183, v172
	v_mul_f32_e32 v6, v184, v172
	s_waitcnt vmcnt(49)
	v_mul_f32_e32 v172, v185, v170
	v_mul_f32_e32 v9, v186, v170
	v_fmac_f32_e32 v188, v184, v166
	v_fma_f32 v166, v183, v166, -v6
	v_fmac_f32_e32 v172, v186, v159
	v_fma_f32 v159, v185, v159, -v9
	ds_read_b128 v[183:186], v1 offset:624
	s_waitcnt vmcnt(48) lgkmcnt(1)
	v_mul_f32_e32 v189, v2, v164
	v_mul_f32_e32 v6, v3, v164
	s_waitcnt vmcnt(47)
	v_mul_f32_e32 v190, v4, v162
	v_mul_f32_e32 v9, v5, v162
	v_fmac_f32_e32 v189, v3, v145
	v_fma_f32 v145, v2, v145, -v6
	s_waitcnt vmcnt(43)
	v_fmac_f32_e32 v190, v5, v171
	v_fma_f32 v203, v4, v171, -v9
	ds_read_b128 v[2:5], v1 offset:640
	s_waitcnt vmcnt(42) lgkmcnt(1)
	v_mul_f32_e32 v204, v183, v169
	v_mul_f32_e32 v6, v184, v169
	s_waitcnt vmcnt(41)
	v_mul_f32_e32 v205, v185, v168
	v_mul_f32_e32 v9, v186, v168
	ds_read_b128 v[168:171], v1 offset:656
	v_fmac_f32_e32 v204, v184, v160
	v_fma_f32 v160, v183, v160, -v6
	v_fmac_f32_e32 v205, v186, v154
	v_fma_f32 v183, v185, v154, -v9
	s_waitcnt vmcnt(40) lgkmcnt(1)
	v_mul_f32_e32 v184, v2, v158
	v_mul_f32_e32 v6, v3, v158
	s_waitcnt vmcnt(39)
	v_mul_f32_e32 v158, v4, v156
	v_mul_f32_e32 v9, v5, v156
	v_fmac_f32_e32 v184, v3, v141
	v_fma_f32 v141, v2, v141, -v6
	s_waitcnt vmcnt(35)
	v_fmac_f32_e32 v158, v5, v167
	v_fma_f32 v167, v4, v167, -v9
	ds_read_b128 v[2:5], v1 offset:672
	s_waitcnt vmcnt(34) lgkmcnt(1)
	v_mul_f32_e32 v185, v168, v165
	v_mul_f32_e32 v6, v169, v165
	s_waitcnt vmcnt(33)
	v_mul_f32_e32 v186, v170, v163
	v_mul_f32_e32 v9, v171, v163
	ds_read_b128 v[162:165], v1 offset:688
	v_fmac_f32_e32 v185, v169, v152
	v_fma_f32 v152, v168, v152, -v6
	v_fmac_f32_e32 v186, v171, v147
	v_fma_f32 v147, v170, v147, -v9
	;; [unrolled: 23-line block ×3, first 2 shown]
	s_waitcnt vmcnt(24) lgkmcnt(1)
	v_mul_f32_e32 v162, v2, v144
	v_mul_f32_e32 v6, v3, v144
	s_waitcnt vmcnt(23)
	v_mul_f32_e32 v144, v4, v143
	v_mul_f32_e32 v9, v5, v143
	v_fmac_f32_e32 v162, v3, v8
	v_fma_f32 v143, v2, v8, -v6
	s_waitcnt vmcnt(19)
	v_fmac_f32_e32 v144, v5, v153
	v_fma_f32 v153, v4, v153, -v9
	ds_read_b128 v[2:5], v1 offset:736
	s_waitcnt vmcnt(18) lgkmcnt(1)
	v_mul_f32_e32 v163, v154, v150
	v_mul_f32_e32 v6, v155, v150
	s_waitcnt vmcnt(17)
	v_mul_f32_e32 v150, v156, v148
	v_mul_f32_e32 v8, v157, v148
	v_fmac_f32_e32 v163, v155, v140
	v_fma_f32 v140, v154, v140, -v6
	v_fmac_f32_e32 v150, v157, v12
	v_fma_f32 v12, v156, v12, -v8
	ds_read_b128 v[8:11], v1 offset:752
	s_waitcnt vmcnt(16) lgkmcnt(1)
	v_mul_f32_e32 v148, v2, v139
	v_mul_f32_e32 v6, v3, v139
	s_waitcnt vmcnt(15)
	v_mul_f32_e32 v139, v4, v138
	v_mul_f32_e32 v138, v5, v138
	v_fmac_f32_e32 v148, v3, v7
	v_fma_f32 v154, v2, v7, -v6
	s_waitcnt vmcnt(11)
	v_fmac_f32_e32 v139, v5, v182
	v_fma_f32 v138, v4, v182, -v138
	ds_read_b128 v[2:5], v1 offset:768
	s_waitcnt vmcnt(10) lgkmcnt(1)
	v_mul_f32_e32 v155, v8, v181
	v_mul_f32_e32 v6, v9, v181
	s_waitcnt vmcnt(9)
	v_mul_f32_e32 v7, v11, v180
	v_mul_f32_e32 v156, v10, v180
	buffer_load_dword v180, off, s[0:3], 0 offset:316
	v_fmac_f32_e32 v155, v9, v179
	v_fma_f32 v157, v8, v179, -v6
	v_fma_f32 v10, v10, v176, -v7
	ds_read_b128 v[6:9], v1 offset:784
	v_fmac_f32_e32 v156, v11, v176
	buffer_load_dword v11, off, s[0:3], 0 offset:308
	s_waitcnt vmcnt(10) lgkmcnt(1)
	v_mul_f32_e32 v164, v2, v178
	v_mul_f32_e32 v165, v3, v178
	s_waitcnt vmcnt(9)
	v_mul_f32_e32 v171, v4, v177
	v_mul_f32_e32 v176, v5, v177
	v_fmac_f32_e32 v164, v3, v175
	v_fma_f32 v165, v2, v175, -v165
	s_waitcnt vmcnt(5)
	v_fmac_f32_e32 v171, v5, v193
	v_fma_f32 v175, v4, v193, -v176
	ds_read_b128 v[2:5], v1 offset:800
	s_waitcnt vmcnt(4) lgkmcnt(1)
	v_mul_f32_e32 v176, v6, v194
	v_mul_f32_e32 v177, v7, v194
	s_waitcnt vmcnt(3)
	v_mul_f32_e32 v178, v8, v195
	v_mul_f32_e32 v179, v9, v195
	v_fmac_f32_e32 v176, v7, v192
	v_fma_f32 v177, v6, v192, -v177
	v_fmac_f32_e32 v178, v9, v191
	v_fma_f32 v179, v8, v191, -v179
	s_clause 0x4
	buffer_load_dword v181, off, s[0:3], 0 offset:336
	buffer_load_dword v182, off, s[0:3], 0 offset:328
	;; [unrolled: 1-line block ×5, first 2 shown]
	v_add_f32_e32 v7, 0, v196
	v_add_f32_e32 v6, 0, v199
	s_clause 0x1
	buffer_load_dword v194, off, s[0:3], 0 offset:332
	buffer_load_dword v195, off, s[0:3], 0 offset:340
	v_add_f32_e32 v7, v7, v197
	v_add_f32_e32 v6, v6, v200
	;; [unrolled: 1-line block ×4, first 2 shown]
	s_clause 0x1
	buffer_load_dword v187, off, s[0:3], 0 offset:348
	buffer_load_dword v196, off, s[0:3], 0 offset:356
	v_add_f32_e32 v7, v7, v202
	v_add_f32_e32 v6, v6, v173
	;; [unrolled: 1-line block ×4, first 2 shown]
	s_clause 0x3
	buffer_load_dword v166, off, s[0:3], 0 offset:368
	buffer_load_dword v173, off, s[0:3], 0 offset:360
	buffer_load_dword v197, off, s[0:3], 0 offset:352
	buffer_load_dword v199, off, s[0:3], 0 offset:344
	v_add_f32_e32 v7, v7, v172
	v_add_f32_e32 v6, v6, v159
	s_clause 0x2
	buffer_load_dword v159, off, s[0:3], 0 offset:364
	buffer_load_dword v172, off, s[0:3], 0 offset:372
	;; [unrolled: 1-line block ×3, first 2 shown]
	v_add_f32_e32 v7, v7, v189
	v_add_f32_e32 v6, v6, v145
	;; [unrolled: 1-line block ×6, first 2 shown]
	s_clause 0x4
	buffer_load_dword v160, off, s[0:3], 0 offset:400
	buffer_load_dword v189, off, s[0:3], 0 offset:392
	;; [unrolled: 1-line block ×5, first 2 shown]
	v_add_f32_e32 v7, v7, v205
	v_add_f32_e32 v6, v6, v183
	buffer_load_dword v183, off, s[0:3], 0 offset:388
	v_add_f32_e32 v7, v7, v184
	v_add_f32_e32 v6, v6, v141
	buffer_load_dword v184, off, s[0:3], 0 offset:404
	v_add_f32_e32 v7, v7, v158
	v_add_f32_e32 v6, v6, v167
	s_clause 0x4
	buffer_load_dword v167, off, s[0:3], 0 offset:412
	buffer_load_dword v202, off, s[0:3], 0 offset:420
	;; [unrolled: 1-line block ×5, first 2 shown]
	v_add_f32_e32 v7, v7, v185
	v_add_f32_e32 v6, v6, v152
	s_clause 0x3
	buffer_load_dword v185, off, s[0:3], 0 offset:452
	buffer_load_dword v205, off, s[0:3], 0 offset:460
	;; [unrolled: 1-line block ×4, first 2 shown]
	v_add_f32_e32 v7, v7, v186
	v_add_f32_e32 v6, v6, v147
	buffer_load_dword v186, off, s[0:3], 0 offset:476
	v_add_f32_e32 v7, v7, v168
	v_add_f32_e32 v6, v6, v149
	buffer_load_dword v168, off, s[0:3], 0 offset:492
	v_add_f32_e32 v7, v7, v151
	v_add_f32_e32 v6, v6, v161
	;; [unrolled: 1-line block ×3, first 2 shown]
	s_clause 0x3
	buffer_load_dword v161, off, s[0:3], 0 offset:432
	buffer_load_dword v169, off, s[0:3], 0 offset:424
	;; [unrolled: 1-line block ×4, first 2 shown]
	v_add_f32_e32 v6, v6, v146
	v_add_f32_e32 v7, v7, v170
	;; [unrolled: 1-line block ×4, first 2 shown]
	s_clause 0x6
	buffer_load_dword v162, off, s[0:3], 0 offset:464
	buffer_load_dword v170, off, s[0:3], 0 offset:456
	;; [unrolled: 1-line block ×7, first 2 shown]
	v_add_f32_e32 v6, v6, v143
	v_add_f32_e32 v7, v7, v144
	;; [unrolled: 1-line block ×4, first 2 shown]
	buffer_load_dword v163, off, s[0:3], 0 offset:56
	v_add_f32_e32 v6, v6, v140
	v_add_f32_e32 v7, v7, v150
	;; [unrolled: 1-line block ×3, first 2 shown]
	s_waitcnt vmcnt(46) lgkmcnt(0)
	v_mul_f32_e32 v12, v2, v11
	v_mul_f32_e32 v8, v3, v11
	v_fmac_f32_e32 v12, v3, v174
	v_fma_f32 v11, v2, v174, -v8
	v_add_f32_e32 v2, v6, v154
	v_add_f32_e32 v3, v7, v148
	ds_read_b128 v[6:9], v1 offset:816
	v_mul_f32_e32 v154, v4, v180
	v_add_f32_e32 v138, v2, v138
	v_mul_f32_e32 v2, v5, v180
	v_add_f32_e32 v139, v3, v139
	v_add_f32_e32 v142, v138, v157
	v_add_f32_e32 v143, v139, v155
	ds_read_b128 v[138:141], v1 offset:848
	v_add_f32_e32 v10, v142, v10
	v_add_f32_e32 v143, v143, v156
	s_waitcnt vmcnt(42)
	v_fmac_f32_e32 v154, v5, v192
	v_fma_f32 v174, v4, v192, -v2
	ds_read_b128 v[2:5], v1 offset:832
	s_waitcnt vmcnt(41) lgkmcnt(2)
	v_mul_f32_e32 v142, v7, v193
	v_mul_f32_e32 v155, v6, v193
	v_add_f32_e32 v10, v10, v165
	s_waitcnt vmcnt(40)
	v_mul_f32_e32 v146, v9, v194
	v_fma_f32 v156, v6, v191, -v142
	v_add_f32_e32 v6, v143, v164
	v_fmac_f32_e32 v155, v7, v191
	v_add_f32_e32 v7, v10, v175
	v_mul_f32_e32 v10, v8, v194
	ds_read_b128 v[142:145], v1 offset:864
	v_add_f32_e32 v6, v6, v171
	v_fma_f32 v157, v8, v182, -v146
	v_add_f32_e32 v7, v7, v177
	v_fmac_f32_e32 v10, v9, v182
	s_waitcnt vmcnt(37) lgkmcnt(2)
	v_mul_f32_e32 v151, v139, v196
	v_add_f32_e32 v6, v6, v176
	v_mul_f32_e32 v171, v138, v196
	s_waitcnt lgkmcnt(1)
	v_mul_f32_e32 v147, v3, v195
	v_mul_f32_e32 v164, v2, v195
	v_mul_f32_e32 v150, v5, v187
	v_mul_f32_e32 v165, v4, v187
	s_waitcnt vmcnt(34)
	v_fma_f32 v177, v138, v197, -v151
	v_fma_f32 v175, v2, v181, -v147
	v_add_f32_e32 v2, v7, v179
	v_fmac_f32_e32 v164, v3, v181
	v_add_f32_e32 v3, v6, v178
	s_waitcnt vmcnt(33)
	v_fma_f32 v176, v4, v199, -v150
	ds_read_b128 v[6:9], v1 offset:880
	ds_read_b128 v[146:149], v1 offset:896
	v_add_f32_e32 v11, v2, v11
	v_fmac_f32_e32 v165, v5, v199
	v_add_f32_e32 v12, v3, v12
	s_waitcnt vmcnt(32)
	v_mul_f32_e32 v138, v141, v159
	v_fmac_f32_e32 v171, v139, v197
	v_add_f32_e32 v11, v11, v174
	v_mul_f32_e32 v174, v140, v159
	v_add_f32_e32 v12, v12, v154
	s_waitcnt vmcnt(31) lgkmcnt(2)
	v_mul_f32_e32 v159, v142, v172
	v_mul_f32_e32 v139, v143, v172
	v_add_f32_e32 v11, v11, v156
	v_fmac_f32_e32 v174, v141, v173
	v_add_f32_e32 v12, v12, v155
	v_fma_f32 v173, v140, v173, -v138
	s_waitcnt vmcnt(30)
	v_mul_f32_e32 v172, v145, v188
	v_add_f32_e32 v11, v11, v157
	v_fmac_f32_e32 v159, v143, v166
	v_add_f32_e32 v10, v12, v10
	v_fma_f32 v166, v142, v166, -v139
	v_mul_f32_e32 v178, v144, v188
	v_add_f32_e32 v11, v11, v175
	s_waitcnt vmcnt(26)
	v_fma_f32 v172, v144, v200, -v172
	v_add_f32_e32 v10, v10, v164
	s_waitcnt vmcnt(24) lgkmcnt(1)
	v_mul_f32_e32 v12, v7, v183
	ds_read_b128 v[2:5], v1 offset:912
	ds_read_b128 v[150:153], v1 offset:928
	v_add_f32_e32 v11, v11, v176
	ds_read_b128 v[138:141], v1 offset:944
	ds_read_b128 v[154:157], v1 offset:960
	v_add_f32_e32 v10, v10, v165
	v_fmac_f32_e32 v178, v145, v200
	ds_read_b128 v[142:145], v1 offset:976
	v_add_f32_e32 v11, v11, v177
	v_mul_f32_e32 v1, v6, v183
	v_add_f32_e32 v10, v10, v171
	v_mul_f32_e32 v175, v9, v201
	v_fma_f32 v6, v6, v190, -v12
	v_add_f32_e32 v11, v11, v173
	v_mul_f32_e32 v164, v8, v201
	v_add_f32_e32 v10, v10, v174
	v_fmac_f32_e32 v1, v7, v190
	s_waitcnt vmcnt(23) lgkmcnt(5)
	v_mul_f32_e32 v12, v147, v184
	v_add_f32_e32 v11, v11, v166
	v_fma_f32 v8, v8, v189, -v175
	v_add_f32_e32 v10, v10, v159
	v_mul_f32_e32 v176, v146, v184
	v_fmac_f32_e32 v164, v9, v189
	v_add_f32_e32 v11, v11, v172
	s_waitcnt vmcnt(22)
	v_mul_f32_e32 v9, v149, v167
	v_add_f32_e32 v10, v10, v178
	v_mul_f32_e32 v165, v148, v167
	v_fmac_f32_e32 v176, v147, v160
	v_add_f32_e32 v6, v11, v6
	s_waitcnt vmcnt(21) lgkmcnt(4)
	v_mul_f32_e32 v179, v2, v202
	v_add_f32_e32 v1, v10, v1
	v_fma_f32 v10, v146, v160, -v12
	s_waitcnt vmcnt(8)
	v_fma_f32 v9, v148, v209, -v9
	v_add_f32_e32 v6, v6, v8
	v_mul_f32_e32 v8, v3, v202
	v_add_f32_e32 v1, v1, v164
	v_fmac_f32_e32 v165, v149, v209
	v_fmac_f32_e32 v179, v3, v208
	v_add_f32_e32 v6, v6, v10
	v_mul_f32_e32 v10, v5, v158
	v_add_f32_e32 v1, v1, v176
	v_fma_f32 v2, v2, v208, -v8
	v_mul_f32_e32 v177, v4, v158
	v_add_f32_e32 v3, v6, v9
	s_waitcnt lgkmcnt(3)
	v_mul_f32_e32 v6, v151, v203
	v_add_f32_e32 v1, v1, v165
	v_fma_f32 v4, v4, v169, -v10
	v_mul_f32_e32 v171, v150, v203
	v_add_f32_e32 v2, v3, v2
	v_fmac_f32_e32 v177, v5, v169
	v_add_f32_e32 v1, v1, v179
	v_mul_f32_e32 v3, v153, v204
	v_fma_f32 v5, v150, v161, -v6
	v_add_f32_e32 v2, v2, v4
	v_mul_f32_e32 v180, v152, v204
	v_fmac_f32_e32 v171, v151, v161
	v_add_f32_e32 v1, v1, v177
	s_waitcnt lgkmcnt(2)
	v_mul_f32_e32 v4, v139, v185
	s_waitcnt vmcnt(4)
	v_fma_f32 v3, v152, v211, -v3
	v_add_f32_e32 v2, v2, v5
	v_mul_f32_e32 v173, v138, v185
	v_fmac_f32_e32 v180, v153, v211
	v_add_f32_e32 v1, v1, v171
	v_mul_f32_e32 v5, v141, v205
	v_fma_f32 v4, v138, v210, -v4
	v_add_f32_e32 v2, v2, v3
	v_mul_f32_e32 v174, v140, v205
	v_fmac_f32_e32 v173, v139, v210
	v_add_f32_e32 v1, v1, v180
	s_waitcnt lgkmcnt(1)
	v_mul_f32_e32 v3, v155, v206
	v_fma_f32 v5, v140, v170, -v5
	v_add_f32_e32 v2, v2, v4
	v_mul_f32_e32 v181, v154, v206
	v_fmac_f32_e32 v174, v141, v170
	v_add_f32_e32 v1, v1, v173
	v_mul_f32_e32 v4, v157, v186
	v_fma_f32 v3, v154, v162, -v3
	v_add_f32_e32 v2, v2, v5
	v_mul_f32_e32 v166, v156, v186
	v_fmac_f32_e32 v181, v155, v162
	v_add_f32_e32 v1, v1, v174
	s_waitcnt lgkmcnt(0)
	v_mul_f32_e32 v5, v143, v207
	s_waitcnt vmcnt(1)
	v_fma_f32 v4, v156, v214, -v4
	v_add_f32_e32 v2, v2, v3
	v_mul_f32_e32 v159, v142, v207
	v_fmac_f32_e32 v166, v157, v214
	v_add_f32_e32 v1, v1, v181
	v_mul_f32_e32 v3, v145, v168
	v_fma_f32 v5, v142, v213, -v5
	v_add_f32_e32 v2, v2, v4
	v_mul_f32_e32 v7, v144, v168
	v_fmac_f32_e32 v159, v143, v213
	v_add_f32_e32 v1, v1, v166
	v_fma_f32 v3, v144, v212, -v3
	v_add_f32_e32 v2, v2, v5
	v_fmac_f32_e32 v7, v145, v212
	v_add_f32_e32 v1, v1, v159
	v_add_f32_e32 v2, v2, v3
	;; [unrolled: 1-line block ×3, first 2 shown]
	s_waitcnt vmcnt(0)
	v_sub_f32_e32 v2, v163, v2
	v_sub_f32_e32 v1, v198, v1
	buffer_store_dword v2, off, s[0:3], 0 offset:56
	buffer_store_dword v1, off, s[0:3], 0 offset:60
	v_cmpx_lt_u32_e32 6, v0
	s_cbranch_execz .LBB61_373
; %bb.372:
	s_clause 0x1
	buffer_load_dword v1, off, s[0:3], 0 offset:48
	buffer_load_dword v2, off, s[0:3], 0 offset:52
	v_mov_b32_e32 v3, 0
	buffer_store_dword v3, off, s[0:3], 0 offset:48
	buffer_store_dword v3, off, s[0:3], 0 offset:52
	s_waitcnt vmcnt(0)
	ds_write_b64 v137, v[1:2]
.LBB61_373:
	s_or_b32 exec_lo, exec_lo, s4
	s_waitcnt lgkmcnt(0)
	s_waitcnt_vscnt null, 0x0
	s_barrier
	buffer_gl0_inv
	s_clause 0x3c
	buffer_load_dword v2, off, s[0:3], 0 offset:60
	buffer_load_dword v3, off, s[0:3], 0 offset:68
	;; [unrolled: 1-line block ×61, first 2 shown]
	v_mov_b32_e32 v1, 0
	ds_read2_b64 v[186:189], v1 offset0:69 offset1:70
	ds_read2_b64 v[190:193], v1 offset0:71 offset1:72
	buffer_load_dword v184, off, s[0:3], 0 offset:52
	s_mov_b32 s4, exec_lo
	s_waitcnt vmcnt(61) lgkmcnt(1)
	v_mul_f32_e32 v197, v186, v2
	v_mul_f32_e32 v2, v187, v2
	s_waitcnt vmcnt(60)
	v_mul_f32_e32 v198, v188, v3
	v_mul_f32_e32 v3, v189, v3
	s_waitcnt vmcnt(59) lgkmcnt(0)
	v_mul_f32_e32 v199, v190, v4
	v_mul_f32_e32 v200, v191, v4
	s_waitcnt vmcnt(58)
	v_mul_f32_e32 v201, v192, v5
	v_mul_f32_e32 v202, v193, v5
	s_waitcnt vmcnt(55)
	v_fmac_f32_e32 v197, v187, v8
	v_fma_f32 v8, v186, v8, -v2
	v_fmac_f32_e32 v198, v189, v7
	v_fma_f32 v7, v188, v7, -v3
	ds_read2_b64 v[2:5], v1 offset0:73 offset1:74
	ds_read2_b64 v[186:189], v1 offset0:75 offset1:76
	v_fmac_f32_e32 v199, v191, v6
	v_fma_f32 v6, v190, v6, -v200
	s_waitcnt vmcnt(51)
	v_fma_f32 v190, v192, v168, -v202
	v_fmac_f32_e32 v201, v193, v168
	v_add_f32_e32 v8, 0, v8
	v_add_f32_e32 v7, v8, v7
	;; [unrolled: 1-line block ×3, first 2 shown]
	s_waitcnt vmcnt(50) lgkmcnt(1)
	v_mul_f32_e32 v191, v2, v165
	v_mul_f32_e32 v165, v3, v165
	s_waitcnt vmcnt(49)
	v_mul_f32_e32 v192, v4, v163
	v_mul_f32_e32 v163, v5, v163
	s_waitcnt vmcnt(48) lgkmcnt(0)
	v_mul_f32_e32 v193, v186, v160
	v_fmac_f32_e32 v191, v3, v147
	v_fma_f32 v147, v2, v147, -v165
	v_fmac_f32_e32 v192, v5, v143
	v_fma_f32 v163, v4, v143, -v163
	ds_read2_b64 v[2:5], v1 offset0:77 offset1:78
	v_mul_f32_e32 v160, v187, v160
	s_waitcnt vmcnt(47)
	v_mul_f32_e32 v200, v188, v158
	v_mul_f32_e32 v158, v189, v158
	v_fmac_f32_e32 v193, v187, v138
	v_fma_f32 v138, v186, v138, -v160
	s_waitcnt vmcnt(43)
	v_fmac_f32_e32 v200, v189, v173
	v_fma_f32 v165, v188, v173, -v158
	ds_read2_b64 v[186:189], v1 offset0:79 offset1:80
	s_waitcnt vmcnt(42) lgkmcnt(1)
	v_mul_f32_e32 v173, v2, v172
	v_mul_f32_e32 v143, v3, v172
	s_waitcnt vmcnt(41)
	v_mul_f32_e32 v172, v4, v171
	v_mul_f32_e32 v158, v5, v171
	v_fmac_f32_e32 v173, v3, v153
	v_fma_f32 v153, v2, v153, -v143
	v_fmac_f32_e32 v172, v5, v150
	v_fma_f32 v150, v4, v150, -v158
	ds_read2_b64 v[2:5], v1 offset0:81 offset1:82
	s_waitcnt vmcnt(40) lgkmcnt(1)
	v_mul_f32_e32 v171, v186, v169
	s_waitcnt vmcnt(39)
	v_mul_f32_e32 v202, v188, v167
	v_mul_f32_e32 v167, v189, v167
	;; [unrolled: 1-line block ×3, first 2 shown]
	v_fmac_f32_e32 v171, v187, v144
	s_waitcnt vmcnt(35)
	v_fmac_f32_e32 v202, v189, v170
	v_fma_f32 v187, v188, v170, -v167
	ds_read2_b64 v[167:170], v1 offset0:83 offset1:84
	v_fma_f32 v186, v186, v144, -v160
	s_waitcnt vmcnt(34) lgkmcnt(1)
	v_mul_f32_e32 v188, v2, v166
	v_mul_f32_e32 v143, v3, v166
	s_waitcnt vmcnt(33)
	v_mul_f32_e32 v166, v4, v164
	v_mul_f32_e32 v144, v5, v164
	v_fmac_f32_e32 v188, v3, v148
	v_fma_f32 v148, v2, v148, -v143
	v_fmac_f32_e32 v166, v5, v145
	v_fma_f32 v203, v4, v145, -v144
	ds_read2_b64 v[2:5], v1 offset0:85 offset1:86
	s_waitcnt vmcnt(32) lgkmcnt(1)
	v_mul_f32_e32 v164, v167, v161
	v_mul_f32_e32 v158, v168, v161
	s_waitcnt vmcnt(31)
	v_mul_f32_e32 v189, v169, v159
	v_mul_f32_e32 v159, v170, v159
	v_fmac_f32_e32 v164, v168, v139
	v_fma_f32 v139, v167, v139, -v158
	s_waitcnt vmcnt(27)
	v_fmac_f32_e32 v189, v170, v162
	v_fma_f32 v162, v169, v162, -v159
	ds_read2_b64 v[158:161], v1 offset0:87 offset1:88
	s_waitcnt vmcnt(26) lgkmcnt(1)
	v_mul_f32_e32 v167, v2, v157
	v_mul_f32_e32 v143, v3, v157
	s_waitcnt vmcnt(25)
	v_mul_f32_e32 v157, v4, v156
	v_mul_f32_e32 v144, v5, v156
	v_fmac_f32_e32 v167, v3, v142
	v_fma_f32 v168, v2, v142, -v143
	v_fmac_f32_e32 v157, v5, v140
	v_fma_f32 v140, v4, v140, -v144
	ds_read2_b64 v[2:5], v1 offset0:89 offset1:90
	s_waitcnt vmcnt(24) lgkmcnt(1)
	v_mul_f32_e32 v156, v158, v154
	v_mul_f32_e32 v145, v159, v154
	s_waitcnt vmcnt(23)
	v_mul_f32_e32 v154, v160, v152
	v_mul_f32_e32 v152, v161, v152
	v_fmac_f32_e32 v156, v159, v10
	v_fma_f32 v10, v158, v10, -v145
	ds_read2_b64 v[142:145], v1 offset0:91 offset1:92
	s_waitcnt vmcnt(19)
	v_fmac_f32_e32 v154, v161, v155
	v_fma_f32 v152, v160, v155, -v152
	buffer_load_dword v155, off, s[0:3], 0 offset:300
	s_waitcnt vmcnt(18) lgkmcnt(1)
	v_mul_f32_e32 v159, v4, v149
	v_mul_f32_e32 v149, v5, v149
	;; [unrolled: 1-line block ×4, first 2 shown]
	v_fmac_f32_e32 v159, v5, v11
	v_fma_f32 v11, v4, v11, -v149
	s_clause 0x4
	buffer_load_dword v149, off, s[0:3], 0 offset:308
	buffer_load_dword v161, off, s[0:3], 0 offset:328
	;; [unrolled: 1-line block ×5, first 2 shown]
	s_waitcnt vmcnt(22) lgkmcnt(0)
	v_mul_f32_e32 v160, v142, v146
	v_mul_f32_e32 v146, v143, v146
	v_fmac_f32_e32 v158, v3, v141
	v_fma_f32 v141, v2, v141, -v151
	s_waitcnt vmcnt(21)
	v_mul_f32_e32 v2, v145, v12
	v_mul_f32_e32 v151, v144, v12
	v_fmac_f32_e32 v160, v143, v9
	v_fma_f32 v12, v142, v9, -v146
	v_add_f32_e32 v9, 0, v197
	s_waitcnt vmcnt(17)
	v_fma_f32 v142, v144, v182, -v2
	ds_read2_b64 v[2:5], v1 offset0:93 offset1:94
	buffer_load_dword v143, off, s[0:3], 0 offset:316
	v_add_f32_e32 v144, v6, v190
	v_add_f32_e32 v8, v9, v198
	v_fmac_f32_e32 v151, v145, v182
	s_clause 0x2
	buffer_load_dword v146, off, s[0:3], 0 offset:324
	buffer_load_dword v182, off, s[0:3], 0 offset:332
	;; [unrolled: 1-line block ×3, first 2 shown]
	v_add_f32_e32 v144, v144, v147
	v_add_f32_e32 v7, v8, v199
	;; [unrolled: 1-line block ×4, first 2 shown]
	ds_read2_b64 v[6:9], v1 offset0:95 offset1:96
	buffer_load_dword v163, off, s[0:3], 0 offset:348
	v_add_f32_e32 v145, v145, v191
	s_waitcnt vmcnt(21) lgkmcnt(1)
	v_mul_f32_e32 v147, v2, v181
	v_mul_f32_e32 v181, v3, v181
	s_waitcnt vmcnt(20)
	v_mul_f32_e32 v191, v4, v180
	v_mul_f32_e32 v180, v5, v180
	v_fmac_f32_e32 v147, v3, v179
	v_fma_f32 v179, v2, v179, -v181
	v_add_f32_e32 v2, v145, v192
	v_fmac_f32_e32 v191, v5, v178
	v_fma_f32 v178, v4, v178, -v180
	s_clause 0x3
	buffer_load_dword v180, off, s[0:3], 0 offset:360
	buffer_load_dword v181, off, s[0:3], 0 offset:352
	;; [unrolled: 1-line block ×4, first 2 shown]
	v_add_f32_e32 v3, v144, v138
	v_add_f32_e32 v2, v2, v193
	s_waitcnt vmcnt(23) lgkmcnt(0)
	v_mul_f32_e32 v145, v6, v176
	v_add_f32_e32 v138, v3, v165
	s_clause 0x2
	buffer_load_dword v165, off, s[0:3], 0 offset:356
	buffer_load_dword v193, off, s[0:3], 0 offset:364
	;; [unrolled: 1-line block ×3, first 2 shown]
	v_add_f32_e32 v144, v2, v200
	ds_read2_b64 v[2:5], v1 offset0:97 offset1:98
	v_fmac_f32_e32 v145, v7, v174
	v_add_f32_e32 v138, v138, v153
	v_mul_f32_e32 v153, v7, v176
	v_add_f32_e32 v144, v144, v173
	s_waitcnt vmcnt(25)
	v_mul_f32_e32 v173, v8, v175
	v_mul_f32_e32 v175, v9, v175
	v_add_f32_e32 v7, v138, v150
	v_fma_f32 v150, v6, v174, -v153
	v_add_f32_e32 v6, v144, v172
	s_waitcnt vmcnt(21)
	v_fmac_f32_e32 v173, v9, v195
	v_fma_f32 v153, v8, v195, -v175
	v_add_f32_e32 v138, v7, v186
	s_clause 0x4
	buffer_load_dword v172, off, s[0:3], 0 offset:392
	buffer_load_dword v174, off, s[0:3], 0 offset:384
	;; [unrolled: 1-line block ×5, first 2 shown]
	v_add_f32_e32 v144, v6, v171
	ds_read2_b64 v[6:9], v1 offset0:99 offset1:100
	v_add_f32_e32 v138, v138, v187
	v_add_f32_e32 v144, v144, v202
	s_waitcnt vmcnt(25) lgkmcnt(1)
	v_mul_f32_e32 v187, v3, v196
	v_mul_f32_e32 v171, v2, v196
	v_add_f32_e32 v138, v138, v148
	s_clause 0x2
	buffer_load_dword v195, off, s[0:3], 0 offset:388
	buffer_load_dword v196, off, s[0:3], 0 offset:396
	;; [unrolled: 1-line block ×3, first 2 shown]
	v_fma_f32 v148, v2, v194, -v187
	v_add_f32_e32 v2, v144, v188
	v_fmac_f32_e32 v171, v3, v194
	v_add_f32_e32 v3, v138, v203
	s_waitcnt vmcnt(27)
	v_mul_f32_e32 v187, v4, v185
	s_clause 0x1
	buffer_load_dword v188, off, s[0:3], 0 offset:412
	buffer_load_dword v194, off, s[0:3], 0 offset:420
	v_add_f32_e32 v2, v2, v166
	v_mul_f32_e32 v138, v5, v185
	v_add_f32_e32 v3, v3, v139
	s_clause 0x2
	buffer_load_dword v166, off, s[0:3], 0 offset:428
	buffer_load_dword v185, off, s[0:3], 0 offset:436
	;; [unrolled: 1-line block ×3, first 2 shown]
	v_add_f32_e32 v2, v2, v164
	v_fmac_f32_e32 v187, v5, v183
	v_add_f32_e32 v3, v3, v162
	s_clause 0x2
	buffer_load_dword v162, off, s[0:3], 0 offset:452
	buffer_load_dword v164, off, s[0:3], 0 offset:460
	;; [unrolled: 1-line block ×3, first 2 shown]
	v_fma_f32 v183, v4, v183, -v138
	v_add_f32_e32 v2, v2, v189
	v_add_f32_e32 v3, v3, v168
	s_clause 0x2
	buffer_load_dword v168, off, s[0:3], 0 offset:476
	buffer_load_dword v189, off, s[0:3], 0 offset:484
	;; [unrolled: 1-line block ×3, first 2 shown]
	v_add_f32_e32 v2, v2, v167
	s_clause 0x7
	buffer_load_dword v167, off, s[0:3], 0 offset:424
	buffer_load_dword v203, off, s[0:3], 0 offset:416
	;; [unrolled: 1-line block ×8, first 2 shown]
	v_add_f32_e32 v3, v3, v140
	v_add_f32_e32 v2, v2, v157
	;; [unrolled: 1-line block ×8, first 2 shown]
	s_clause 0x3
	buffer_load_dword v158, off, s[0:3], 0 offset:488
	buffer_load_dword v211, off, s[0:3], 0 offset:480
	;; [unrolled: 1-line block ×4, first 2 shown]
	v_add_f32_e32 v3, v3, v11
	v_add_f32_e32 v2, v2, v159
	buffer_load_dword v159, off, s[0:3], 0 offset:48
	v_add_f32_e32 v3, v3, v12
	v_add_f32_e32 v2, v2, v160
	s_waitcnt vmcnt(49) lgkmcnt(0)
	v_mul_f32_e32 v10, v6, v155
	v_mul_f32_e32 v4, v7, v155
	v_fmac_f32_e32 v10, v7, v177
	v_fma_f32 v11, v6, v177, -v4
	v_add_f32_e32 v6, v3, v142
	v_add_f32_e32 v7, v2, v151
	ds_read2_b64 v[2:5], v1 offset0:101 offset1:102
	v_add_f32_e32 v12, v6, v179
	s_waitcnt vmcnt(48)
	v_mul_f32_e32 v151, v8, v149
	v_mul_f32_e32 v6, v9, v149
	v_add_f32_e32 v138, v7, v147
	v_add_f32_e32 v12, v12, v178
	s_waitcnt vmcnt(44)
	v_fmac_f32_e32 v151, v9, v204
	v_fma_f32 v152, v8, v204, -v6
	ds_read2_b64 v[6:9], v1 offset0:103 offset1:104
	v_add_f32_e32 v142, v138, v191
	v_add_f32_e32 v12, v12, v150
	ds_read2_b64 v[138:141], v1 offset0:105 offset1:106
	v_add_f32_e32 v142, v142, v145
	v_add_f32_e32 v12, v12, v153
	s_waitcnt vmcnt(43) lgkmcnt(2)
	v_mul_f32_e32 v154, v2, v143
	v_mul_f32_e32 v143, v3, v143
	v_fmac_f32_e32 v154, v3, v170
	v_fma_f32 v155, v2, v170, -v143
	v_add_f32_e32 v2, v142, v173
	v_add_f32_e32 v3, v12, v148
	ds_read2_b64 v[142:145], v1 offset0:107 offset1:108
	s_waitcnt vmcnt(42)
	v_mul_f32_e32 v12, v4, v146
	s_waitcnt vmcnt(41) lgkmcnt(2)
	v_mul_f32_e32 v147, v7, v182
	v_add_f32_e32 v2, v2, v171
	v_add_f32_e32 v3, v3, v183
	v_mul_f32_e32 v160, v6, v182
	v_mul_f32_e32 v146, v5, v146
	v_fma_f32 v157, v6, v161, -v147
	v_add_f32_e32 v2, v2, v187
	v_add_f32_e32 v6, v3, v11
	v_fmac_f32_e32 v160, v7, v161
	s_waitcnt vmcnt(39) lgkmcnt(1)
	v_mul_f32_e32 v171, v138, v163
	v_fma_f32 v156, v4, v169, -v146
	v_add_f32_e32 v7, v2, v10
	v_mul_f32_e32 v10, v139, v163
	v_add_f32_e32 v11, v6, v152
	v_fmac_f32_e32 v12, v5, v169
	v_mul_f32_e32 v150, v9, v190
	v_mul_f32_e32 v170, v8, v190
	s_waitcnt vmcnt(36)
	v_fma_f32 v163, v138, v192, -v10
	v_add_f32_e32 v10, v7, v151
	v_add_f32_e32 v11, v11, v155
	s_waitcnt vmcnt(35)
	v_fma_f32 v161, v8, v197, -v150
	ds_read2_b64 v[2:5], v1 offset0:109 offset1:110
	ds_read2_b64 v[146:149], v1 offset0:111 offset1:112
	v_fmac_f32_e32 v170, v9, v197
	v_add_f32_e32 v10, v10, v154
	v_add_f32_e32 v11, v11, v156
	s_waitcnt vmcnt(34)
	v_mul_f32_e32 v138, v141, v165
	v_fmac_f32_e32 v171, v139, v192
	v_mul_f32_e32 v169, v140, v165
	v_add_f32_e32 v10, v10, v12
	v_add_f32_e32 v12, v11, v157
	s_waitcnt vmcnt(33) lgkmcnt(2)
	v_mul_f32_e32 v139, v143, v193
	v_fma_f32 v178, v140, v181, -v138
	v_mul_f32_e32 v165, v142, v193
	v_add_f32_e32 v160, v10, v160
	v_add_f32_e32 v12, v12, v161
	v_fmac_f32_e32 v169, v141, v181
	s_waitcnt vmcnt(32)
	v_mul_f32_e32 v173, v144, v198
	v_mul_f32_e32 v177, v145, v198
	v_add_f32_e32 v160, v160, v170
	v_add_f32_e32 v12, v12, v163
	v_fma_f32 v179, v142, v180, -v139
	v_fmac_f32_e32 v165, v143, v180
	s_waitcnt vmcnt(28)
	v_fmac_f32_e32 v173, v145, v176
	v_add_f32_e32 v160, v160, v171
	v_add_f32_e32 v12, v12, v178
	v_fma_f32 v176, v144, v176, -v177
	s_waitcnt vmcnt(27) lgkmcnt(1)
	v_mul_f32_e32 v177, v3, v186
	ds_read2_b64 v[6:9], v1 offset0:113 offset1:114
	ds_read2_b64 v[150:153], v1 offset0:115 offset1:116
	v_add_f32_e32 v160, v160, v169
	v_add_f32_e32 v12, v12, v179
	v_mul_f32_e32 v161, v2, v186
	s_waitcnt vmcnt(26)
	v_mul_f32_e32 v180, v5, v195
	v_fma_f32 v2, v2, v175, -v177
	v_add_f32_e32 v160, v160, v165
	v_add_f32_e32 v12, v12, v176
	v_mul_f32_e32 v170, v4, v195
	v_fmac_f32_e32 v161, v3, v175
	s_waitcnt vmcnt(25) lgkmcnt(2)
	v_mul_f32_e32 v177, v147, v196
	v_add_f32_e32 v160, v160, v173
	v_fma_f32 v4, v4, v174, -v180
	v_add_f32_e32 v2, v12, v2
	v_mul_f32_e32 v163, v146, v196
	v_fmac_f32_e32 v170, v5, v174
	v_add_f32_e32 v12, v160, v161
	s_waitcnt vmcnt(24)
	v_mul_f32_e32 v173, v149, v199
	v_fma_f32 v146, v146, v172, -v177
	v_add_f32_e32 v2, v2, v4
	v_mul_f32_e32 v171, v148, v199
	v_fmac_f32_e32 v163, v147, v172
	v_add_f32_e32 v4, v12, v170
	s_waitcnt vmcnt(23) lgkmcnt(1)
	v_mul_f32_e32 v12, v7, v188
	v_add_f32_e32 v2, v2, v146
	ds_read2_b64 v[138:141], v1 offset0:117 offset1:118
	ds_read2_b64 v[154:157], v1 offset0:119 offset1:120
	s_waitcnt vmcnt(9)
	v_fma_f32 v147, v148, v206, -v173
	v_mul_f32_e32 v3, v6, v188
	v_fmac_f32_e32 v171, v149, v206
	v_add_f32_e32 v4, v4, v163
	v_mul_f32_e32 v146, v9, v194
	v_fma_f32 v6, v6, v205, -v12
	v_add_f32_e32 v2, v2, v147
	v_mul_f32_e32 v175, v8, v194
	v_fmac_f32_e32 v3, v7, v205
	v_add_f32_e32 v4, v4, v171
	s_waitcnt lgkmcnt(2)
	v_mul_f32_e32 v7, v151, v166
	v_fma_f32 v8, v8, v203, -v146
	v_add_f32_e32 v2, v2, v6
	v_mul_f32_e32 v169, v150, v166
	v_fmac_f32_e32 v175, v9, v203
	v_add_f32_e32 v3, v4, v3
	v_mul_f32_e32 v4, v153, v185
	v_fma_f32 v6, v150, v167, -v7
	v_add_f32_e32 v2, v2, v8
	v_mul_f32_e32 v5, v152, v185
	v_fmac_f32_e32 v169, v151, v167
	v_add_f32_e32 v3, v3, v175
	s_waitcnt lgkmcnt(1)
	v_mul_f32_e32 v7, v139, v200
	s_waitcnt vmcnt(5)
	v_fma_f32 v4, v152, v210, -v4
	v_add_f32_e32 v2, v2, v6
	ds_read2_b64 v[142:145], v1 offset0:121 offset1:122
	ds_read_b64 v[10:11], v1 offset:984
	v_mul_f32_e32 v174, v138, v200
	v_fmac_f32_e32 v5, v153, v210
	v_add_f32_e32 v3, v3, v169
	v_mul_f32_e32 v6, v141, v162
	v_fma_f32 v7, v138, v209, -v7
	v_add_f32_e32 v2, v2, v4
	v_mul_f32_e32 v165, v140, v162
	v_fmac_f32_e32 v174, v139, v209
	v_add_f32_e32 v3, v3, v5
	s_waitcnt lgkmcnt(2)
	v_mul_f32_e32 v4, v155, v164
	v_fma_f32 v5, v140, v208, -v6
	v_add_f32_e32 v2, v2, v7
	v_mul_f32_e32 v178, v154, v164
	v_fmac_f32_e32 v165, v141, v208
	v_add_f32_e32 v3, v3, v174
	v_mul_f32_e32 v6, v157, v201
	v_fma_f32 v4, v154, v207, -v4
	v_add_f32_e32 v2, v2, v5
	v_mul_f32_e32 v179, v156, v201
	v_fmac_f32_e32 v178, v155, v207
	v_add_f32_e32 v3, v3, v165
	s_waitcnt lgkmcnt(1)
	v_mul_f32_e32 v5, v143, v168
	s_waitcnt vmcnt(1)
	v_fma_f32 v6, v156, v213, -v6
	v_add_f32_e32 v2, v2, v4
	v_mul_f32_e32 v176, v142, v168
	v_fmac_f32_e32 v179, v157, v213
	v_add_f32_e32 v3, v3, v178
	v_mul_f32_e32 v4, v145, v189
	v_fma_f32 v5, v142, v212, -v5
	v_add_f32_e32 v2, v2, v6
	v_mul_f32_e32 v180, v144, v189
	v_fmac_f32_e32 v176, v143, v212
	v_add_f32_e32 v3, v3, v179
	s_waitcnt lgkmcnt(0)
	v_mul_f32_e32 v6, v11, v202
	v_fma_f32 v4, v144, v211, -v4
	v_add_f32_e32 v2, v2, v5
	v_mul_f32_e32 v160, v10, v202
	v_fmac_f32_e32 v180, v145, v211
	v_add_f32_e32 v3, v3, v176
	v_fma_f32 v5, v10, v158, -v6
	v_add_f32_e32 v2, v2, v4
	v_fmac_f32_e32 v160, v11, v158
	v_add_f32_e32 v3, v3, v180
	v_add_f32_e32 v2, v2, v5
	;; [unrolled: 1-line block ×3, first 2 shown]
	s_waitcnt vmcnt(0)
	v_sub_f32_e32 v2, v159, v2
	v_sub_f32_e32 v3, v184, v3
	buffer_store_dword v2, off, s[0:3], 0 offset:48
	buffer_store_dword v3, off, s[0:3], 0 offset:52
	v_cmpx_lt_u32_e32 5, v0
	s_cbranch_execz .LBB61_375
; %bb.374:
	s_clause 0x1
	buffer_load_dword v2, off, s[0:3], 0 offset:40
	buffer_load_dword v3, off, s[0:3], 0 offset:44
	buffer_store_dword v1, off, s[0:3], 0 offset:40
	buffer_store_dword v1, off, s[0:3], 0 offset:44
	s_waitcnt vmcnt(0)
	ds_write_b64 v137, v[2:3]
.LBB61_375:
	s_or_b32 exec_lo, exec_lo, s4
	s_waitcnt lgkmcnt(0)
	s_waitcnt_vscnt null, 0x0
	s_barrier
	buffer_gl0_inv
	s_clause 0x34
	buffer_load_dword v173, off, s[0:3], 0 offset:52
	buffer_load_dword v174, off, s[0:3], 0 offset:60
	;; [unrolled: 1-line block ×53, first 2 shown]
	ds_read_b128 v[181:184], v1 offset:544
	ds_read_b128 v[185:188], v1 offset:560
	;; [unrolled: 1-line block ×4, first 2 shown]
	s_mov_b32 s4, exec_lo
	s_waitcnt vmcnt(52) lgkmcnt(3)
	v_mul_f32_e32 v176, v181, v173
	v_mul_f32_e32 v197, v182, v173
	s_waitcnt vmcnt(51)
	v_mul_f32_e32 v173, v183, v174
	v_mul_f32_e32 v198, v184, v174
	buffer_load_dword v174, off, s[0:3], 0 offset:44
	s_waitcnt vmcnt(49)
	v_fmac_f32_e32 v176, v182, v6
	v_fma_f32 v197, v181, v6, -v197
	v_fmac_f32_e32 v173, v184, v5
	v_fma_f32 v198, v183, v5, -v198
	ds_read_b128 v[181:184], v1 offset:608
	s_waitcnt vmcnt(48) lgkmcnt(3)
	v_mul_f32_e32 v199, v185, v4
	v_mul_f32_e32 v4, v186, v4
	s_waitcnt vmcnt(47)
	v_mul_f32_e32 v200, v187, v3
	v_mul_f32_e32 v3, v188, v3
	s_waitcnt vmcnt(46) lgkmcnt(2)
	v_mul_f32_e32 v201, v189, v8
	v_fmac_f32_e32 v199, v186, v2
	v_fma_f32 v203, v185, v2, -v4
	s_waitcnt vmcnt(41)
	v_fmac_f32_e32 v200, v188, v139
	v_fma_f32 v139, v187, v139, -v3
	ds_read_b128 v[2:5], v1 offset:624
	ds_read_b128 v[185:188], v1 offset:640
	v_mul_f32_e32 v6, v190, v8
	v_mul_f32_e32 v202, v191, v7
	;; [unrolled: 1-line block ×3, first 2 shown]
	v_fmac_f32_e32 v201, v190, v138
	v_fma_f32 v138, v189, v138, -v6
	v_fmac_f32_e32 v202, v192, v11
	v_fma_f32 v11, v191, v11, -v7
	s_waitcnt vmcnt(40) lgkmcnt(3)
	v_mul_f32_e32 v189, v193, v12
	v_mul_f32_e32 v6, v194, v12
	s_waitcnt vmcnt(39)
	v_mul_f32_e32 v12, v195, v10
	v_mul_f32_e32 v7, v196, v10
	s_waitcnt vmcnt(34) lgkmcnt(2)
	v_mul_f32_e32 v191, v181, v170
	v_fmac_f32_e32 v189, v194, v9
	v_fma_f32 v190, v193, v9, -v6
	v_fmac_f32_e32 v12, v196, v171
	v_fma_f32 v171, v195, v171, -v7
	ds_read_b128 v[6:9], v1 offset:656
	v_mul_f32_e32 v170, v182, v170
	s_waitcnt vmcnt(33)
	v_mul_f32_e32 v192, v183, v169
	v_mul_f32_e32 v169, v184, v169
	s_waitcnt vmcnt(32) lgkmcnt(2)
	v_mul_f32_e32 v193, v2, v168
	v_mul_f32_e32 v168, v3, v168
	v_fmac_f32_e32 v191, v182, v163
	v_fma_f32 v170, v181, v163, -v170
	s_waitcnt vmcnt(31)
	v_mul_f32_e32 v181, v4, v167
	v_mul_f32_e32 v163, v5, v167
	v_fmac_f32_e32 v192, v184, v159
	v_fma_f32 v159, v183, v159, -v169
	s_waitcnt vmcnt(30) lgkmcnt(1)
	v_mul_f32_e32 v167, v185, v164
	v_mul_f32_e32 v169, v186, v164
	s_waitcnt vmcnt(29)
	v_mul_f32_e32 v182, v187, v165
	v_mul_f32_e32 v183, v188, v165
	buffer_load_dword v10, off, s[0:3], 0 offset:260
	v_fmac_f32_e32 v193, v3, v149
	v_fma_f32 v149, v2, v149, -v168
	s_waitcnt vmcnt(26)
	v_fmac_f32_e32 v181, v5, v166
	v_fma_f32 v168, v4, v166, -v163
	ds_read_b128 v[2:5], v1 offset:672
	ds_read_b128 v[163:166], v1 offset:688
	v_fmac_f32_e32 v167, v186, v162
	v_fma_f32 v162, v185, v162, -v169
	v_fmac_f32_e32 v182, v188, v160
	v_fma_f32 v160, v187, v160, -v183
	s_clause 0x4
	buffer_load_dword v169, off, s[0:3], 0 offset:268
	buffer_load_dword v183, off, s[0:3], 0 offset:288
	;; [unrolled: 1-line block ×5, first 2 shown]
	s_waitcnt vmcnt(30) lgkmcnt(2)
	v_mul_f32_e32 v187, v6, v155
	v_mul_f32_e32 v155, v7, v155
	s_waitcnt vmcnt(29)
	v_mul_f32_e32 v188, v8, v153
	v_mul_f32_e32 v153, v9, v153
	v_fmac_f32_e32 v187, v7, v145
	v_fma_f32 v145, v6, v145, -v155
	s_waitcnt vmcnt(25)
	v_fmac_f32_e32 v188, v9, v161
	v_fma_f32 v153, v8, v161, -v153
	ds_read_b128 v[6:9], v1 offset:704
	s_waitcnt vmcnt(24) lgkmcnt(2)
	v_mul_f32_e32 v155, v2, v158
	v_mul_f32_e32 v158, v3, v158
	s_waitcnt vmcnt(23)
	v_mul_f32_e32 v161, v4, v157
	v_mul_f32_e32 v157, v5, v157
	v_fmac_f32_e32 v155, v3, v150
	v_fma_f32 v150, v2, v150, -v158
	s_waitcnt vmcnt(22) lgkmcnt(1)
	v_mul_f32_e32 v158, v163, v154
	v_mul_f32_e32 v2, v164, v154
	v_fmac_f32_e32 v161, v5, v146
	v_fma_f32 v146, v4, v146, -v157
	s_waitcnt vmcnt(21)
	v_mul_f32_e32 v154, v165, v148
	v_mul_f32_e32 v3, v166, v148
	s_clause 0x1
	buffer_load_dword v148, off, s[0:3], 0 offset:276
	buffer_load_dword v157, off, s[0:3], 0 offset:284
	v_fmac_f32_e32 v158, v164, v141
	v_fma_f32 v141, v163, v141, -v2
	s_waitcnt vmcnt(19)
	v_fmac_f32_e32 v154, v166, v156
	v_fma_f32 v156, v165, v156, -v3
	ds_read_b128 v[2:5], v1 offset:720
	s_waitcnt vmcnt(18) lgkmcnt(1)
	v_mul_f32_e32 v163, v6, v152
	v_mul_f32_e32 v152, v7, v152
	s_waitcnt vmcnt(17)
	v_mul_f32_e32 v164, v8, v151
	v_mul_f32_e32 v151, v9, v151
	v_fmac_f32_e32 v163, v7, v147
	v_fma_f32 v147, v6, v147, -v152
	v_fmac_f32_e32 v164, v9, v142
	v_fma_f32 v142, v8, v142, -v151
	ds_read_b128 v[6:9], v1 offset:736
	buffer_load_dword v151, off, s[0:3], 0 offset:292
	s_waitcnt vmcnt(16) lgkmcnt(1)
	v_mul_f32_e32 v165, v4, v143
	v_mul_f32_e32 v143, v5, v143
	;; [unrolled: 1-line block ×4, first 2 shown]
	s_waitcnt vmcnt(12)
	v_fmac_f32_e32 v165, v5, v180
	v_fma_f32 v143, v4, v180, -v143
	buffer_load_dword v180, off, s[0:3], 0 offset:300
	v_fmac_f32_e32 v152, v3, v140
	v_fma_f32 v140, v2, v140, -v144
	s_waitcnt vmcnt(12) lgkmcnt(0)
	v_mul_f32_e32 v144, v6, v179
	v_mul_f32_e32 v166, v7, v179
	s_waitcnt vmcnt(11)
	v_mul_f32_e32 v179, v8, v178
	v_mul_f32_e32 v178, v9, v178
	ds_read_b128 v[2:5], v1 offset:752
	v_fmac_f32_e32 v144, v7, v177
	v_fma_f32 v166, v6, v177, -v166
	v_fmac_f32_e32 v179, v9, v175
	v_fma_f32 v175, v8, v175, -v178
	s_clause 0x4
	buffer_load_dword v177, off, s[0:3], 0 offset:320
	buffer_load_dword v178, off, s[0:3], 0 offset:312
	buffer_load_dword v194, off, s[0:3], 0 offset:304
	buffer_load_dword v195, off, s[0:3], 0 offset:296
	buffer_load_dword v196, off, s[0:3], 0 offset:308
	v_add_f32_e32 v6, 0, v197
	v_add_f32_e32 v7, 0, v176
	buffer_load_dword v197, off, s[0:3], 0 offset:316
	v_add_f32_e32 v6, v6, v198
	v_add_f32_e32 v7, v7, v173
	s_clause 0x1
	buffer_load_dword v173, off, s[0:3], 0 offset:324
	buffer_load_dword v176, off, s[0:3], 0 offset:332
	v_add_f32_e32 v6, v6, v203
	v_add_f32_e32 v7, v7, v199
	;; [unrolled: 1-line block ×4, first 2 shown]
	s_clause 0x3
	buffer_load_dword v198, off, s[0:3], 0 offset:352
	buffer_load_dword v199, off, s[0:3], 0 offset:344
	;; [unrolled: 1-line block ×4, first 2 shown]
	v_add_f32_e32 v6, v6, v138
	v_add_f32_e32 v7, v7, v201
	;; [unrolled: 1-line block ×4, first 2 shown]
	s_clause 0x3
	buffer_load_dword v11, off, s[0:3], 0 offset:340
	buffer_load_dword v201, off, s[0:3], 0 offset:348
	;; [unrolled: 1-line block ×4, first 2 shown]
	v_add_f32_e32 v6, v6, v190
	v_add_f32_e32 v7, v7, v189
	v_add_f32_e32 v6, v6, v171
	v_add_f32_e32 v7, v7, v12
	v_add_f32_e32 v6, v6, v170
	v_add_f32_e32 v7, v7, v191
	v_add_f32_e32 v6, v6, v159
	v_add_f32_e32 v7, v7, v192
	v_add_f32_e32 v6, v6, v149
	v_add_f32_e32 v149, v7, v193
	v_add_f32_e32 v168, v6, v168
	v_add_f32_e32 v149, v149, v181
	v_add_f32_e32 v162, v168, v162
	v_add_f32_e32 v149, v149, v167
	s_waitcnt vmcnt(25) lgkmcnt(0)
	v_mul_f32_e32 v138, v2, v10
	v_mul_f32_e32 v8, v3, v10
	v_fmac_f32_e32 v138, v3, v172
	s_waitcnt vmcnt(24)
	v_mul_f32_e32 v10, v4, v169
	v_mul_f32_e32 v9, v5, v169
	v_fma_f32 v139, v2, v172, -v8
	s_waitcnt vmcnt(20)
	v_fmac_f32_e32 v10, v5, v186
	v_fma_f32 v12, v4, v186, -v9
	ds_read_b128 v[2:5], v1 offset:768
	s_clause 0x6
	buffer_load_dword v169, off, s[0:3], 0 offset:384
	buffer_load_dword v170, off, s[0:3], 0 offset:376
	;; [unrolled: 1-line block ×7, first 2 shown]
	ds_read_b128 v[6:9], v1 offset:784
	s_waitcnt vmcnt(26) lgkmcnt(1)
	v_mul_f32_e32 v181, v2, v148
	v_mul_f32_e32 v148, v3, v148
	s_waitcnt vmcnt(25)
	v_mul_f32_e32 v168, v4, v157
	v_mul_f32_e32 v157, v5, v157
	v_fmac_f32_e32 v181, v3, v185
	v_add_f32_e32 v3, v149, v182
	v_fma_f32 v148, v2, v185, -v148
	v_add_f32_e32 v2, v162, v160
	v_fma_f32 v149, v4, v184, -v157
	s_clause 0x3
	buffer_load_dword v160, off, s[0:3], 0 offset:396
	buffer_load_dword v162, off, s[0:3], 0 offset:404
	;; [unrolled: 1-line block ×4, first 2 shown]
	v_add_f32_e32 v3, v3, v187
	v_fmac_f32_e32 v168, v5, v184
	v_add_f32_e32 v2, v2, v145
	s_clause 0x3
	buffer_load_dword v184, off, s[0:3], 0 offset:428
	buffer_load_dword v185, off, s[0:3], 0 offset:436
	buffer_load_dword v187, off, s[0:3], 0 offset:444
	buffer_load_dword v190, off, s[0:3], 0 offset:452
	v_add_f32_e32 v3, v3, v188
	s_waitcnt vmcnt(32) lgkmcnt(0)
	v_mul_f32_e32 v4, v7, v151
	v_add_f32_e32 v2, v2, v153
	v_mul_f32_e32 v153, v6, v151
	s_clause 0x3
	buffer_load_dword v188, off, s[0:3], 0 offset:460
	buffer_load_dword v191, off, s[0:3], 0 offset:468
	;; [unrolled: 1-line block ×4, first 2 shown]
	v_add_f32_e32 v3, v3, v155
	buffer_load_dword v205, off, s[0:3], 0 offset:492
	v_add_f32_e32 v2, v2, v150
	v_fmac_f32_e32 v153, v7, v183
	v_fma_f32 v150, v6, v183, -v4
	v_add_f32_e32 v6, v3, v161
	s_clause 0x3
	buffer_load_dword v161, off, s[0:3], 0 offset:416
	buffer_load_dword v183, off, s[0:3], 0 offset:408
	;; [unrolled: 1-line block ×4, first 2 shown]
	v_add_f32_e32 v2, v2, v146
	v_add_f32_e32 v6, v6, v158
	;; [unrolled: 1-line block ×3, first 2 shown]
	s_waitcnt vmcnt(40)
	v_mul_f32_e32 v2, v9, v180
	v_mul_f32_e32 v146, v8, v180
	v_add_f32_e32 v6, v6, v154
	v_add_f32_e32 v7, v7, v156
	;; [unrolled: 1-line block ×4, first 2 shown]
	s_waitcnt vmcnt(36)
	v_fma_f32 v151, v8, v195, -v2
	ds_read_b128 v[2:5], v1 offset:800
	v_fmac_f32_e32 v146, v9, v195
	s_clause 0x3
	buffer_load_dword v158, off, s[0:3], 0 offset:448
	buffer_load_dword v180, off, s[0:3], 0 offset:440
	;; [unrolled: 1-line block ×4, first 2 shown]
	v_add_f32_e32 v141, v7, v142
	v_add_f32_e32 v142, v6, v164
	ds_read_b128 v[6:9], v1 offset:816
	v_add_f32_e32 v140, v141, v140
	v_add_f32_e32 v142, v142, v152
	s_waitcnt vmcnt(39) lgkmcnt(1)
	v_mul_f32_e32 v154, v2, v196
	v_mul_f32_e32 v141, v3, v196
	s_waitcnt vmcnt(38)
	v_mul_f32_e32 v155, v4, v197
	v_fmac_f32_e32 v154, v3, v194
	v_fma_f32 v152, v2, v194, -v141
	v_add_f32_e32 v3, v142, v165
	s_clause 0x3
	buffer_load_dword v163, off, s[0:3], 0 offset:480
	buffer_load_dword v164, off, s[0:3], 0 offset:472
	;; [unrolled: 1-line block ×4, first 2 shown]
	v_add_f32_e32 v2, v140, v143
	buffer_load_dword v196, off, s[0:3], 0 offset:40
	v_mul_f32_e32 v140, v5, v197
	v_add_f32_e32 v3, v3, v144
	v_fmac_f32_e32 v155, v5, v178
	v_add_f32_e32 v2, v2, v166
	buffer_load_dword v166, off, s[0:3], 0 offset:488
	v_fma_f32 v156, v4, v178, -v140
	v_add_f32_e32 v141, v3, v179
	s_waitcnt vmcnt(43) lgkmcnt(0)
	v_mul_f32_e32 v157, v6, v173
	v_add_f32_e32 v2, v2, v175
	v_add_f32_e32 v143, v141, v138
	v_fmac_f32_e32 v157, v7, v177
	v_add_f32_e32 v142, v2, v139
	ds_read_b128 v[2:5], v1 offset:832
	ds_read_b128 v[138:141], v1 offset:848
	v_add_f32_e32 v10, v143, v10
	s_waitcnt vmcnt(42)
	v_mul_f32_e32 v143, v9, v176
	v_add_f32_e32 v12, v142, v12
	v_mul_f32_e32 v142, v7, v173
	v_mul_f32_e32 v173, v8, v176
	v_add_f32_e32 v10, v10, v181
	s_waitcnt vmcnt(38)
	v_fma_f32 v176, v8, v203, -v143
	v_add_f32_e32 v12, v12, v148
	v_fma_f32 v175, v6, v177, -v142
	v_fmac_f32_e32 v173, v9, v203
	ds_read_b128 v[6:9], v1 offset:864
	ds_read_b128 v[142:145], v1 offset:880
	v_add_f32_e32 v10, v10, v168
	v_add_f32_e32 v12, v12, v149
	;; [unrolled: 1-line block ×4, first 2 shown]
	s_waitcnt vmcnt(36) lgkmcnt(3)
	v_mul_f32_e32 v168, v4, v201
	s_waitcnt vmcnt(35) lgkmcnt(2)
	v_mul_f32_e32 v178, v138, v204
	v_mul_f32_e32 v150, v139, v204
	v_add_f32_e32 v10, v10, v146
	v_add_f32_e32 v12, v12, v151
	v_mul_f32_e32 v147, v5, v201
	v_fmac_f32_e32 v178, v139, v198
	v_fma_f32 v197, v138, v198, -v150
	v_add_f32_e32 v10, v10, v154
	v_add_f32_e32 v12, v12, v152
	v_mul_f32_e32 v177, v2, v11
	v_mul_f32_e32 v11, v3, v11
	v_fmac_f32_e32 v168, v5, v199
	v_add_f32_e32 v10, v10, v155
	v_add_f32_e32 v12, v12, v156
	v_fma_f32 v181, v4, v199, -v147
	v_fma_f32 v11, v2, v200, -v11
	v_fmac_f32_e32 v177, v3, v200
	v_add_f32_e32 v10, v10, v157
	s_waitcnt vmcnt(34)
	v_mul_f32_e32 v179, v140, v202
	v_mul_f32_e32 v151, v141, v202
	ds_read_b128 v[2:5], v1 offset:896
	ds_read_b128 v[146:149], v1 offset:912
	v_add_f32_e32 v10, v10, v173
	v_add_f32_e32 v10, v10, v177
	;; [unrolled: 1-line block ×4, first 2 shown]
	s_waitcnt vmcnt(29) lgkmcnt(3)
	v_mul_f32_e32 v198, v6, v159
	s_waitcnt vmcnt(28)
	v_mul_f32_e32 v199, v8, v186
	v_mul_f32_e32 v154, v7, v159
	;; [unrolled: 1-line block ×3, first 2 shown]
	v_fmac_f32_e32 v179, v141, v172
	v_fmac_f32_e32 v198, v7, v171
	v_add_f32_e32 v7, v12, v175
	v_fmac_f32_e32 v199, v9, v170
	v_fma_f32 v159, v8, v170, -v155
	v_fma_f32 v172, v140, v172, -v151
	;; [unrolled: 1-line block ×3, first 2 shown]
	v_add_f32_e32 v170, v7, v176
	v_add_f32_e32 v10, v10, v179
	ds_read_b128 v[138:141], v1 offset:928
	ds_read_b128 v[150:153], v1 offset:944
	;; [unrolled: 1-line block ×4, first 2 shown]
	s_waitcnt vmcnt(27) lgkmcnt(6)
	v_mul_f32_e32 v1, v142, v189
	v_add_f32_e32 v11, v170, v11
	v_mul_f32_e32 v170, v143, v189
	v_add_f32_e32 v10, v10, v198
	v_fmac_f32_e32 v1, v143, v169
	v_add_f32_e32 v11, v11, v181
	v_fma_f32 v142, v142, v169, -v170
	v_add_f32_e32 v10, v10, v199
	v_add_f32_e32 v11, v11, v197
	;; [unrolled: 1-line block ×3, first 2 shown]
	s_waitcnt vmcnt(26)
	v_mul_f32_e32 v171, v144, v160
	v_add_f32_e32 v11, v11, v172
	v_mul_f32_e32 v160, v145, v160
	s_waitcnt vmcnt(25) lgkmcnt(5)
	v_mul_f32_e32 v173, v2, v162
	s_waitcnt vmcnt(24)
	v_mul_f32_e32 v10, v5, v167
	v_mul_f32_e32 v168, v4, v167
	v_add_f32_e32 v11, v11, v12
	s_waitcnt vmcnt(23) lgkmcnt(4)
	v_mul_f32_e32 v175, v146, v182
	s_waitcnt vmcnt(22)
	v_mul_f32_e32 v176, v148, v184
	s_waitcnt vmcnt(21) lgkmcnt(3)
	v_mul_f32_e32 v177, v138, v185
	s_waitcnt vmcnt(20)
	v_mul_f32_e32 v178, v140, v187
	v_add_f32_e32 v11, v11, v159
	v_mul_f32_e32 v159, v3, v162
	s_waitcnt vmcnt(19) lgkmcnt(2)
	v_mul_f32_e32 v172, v150, v190
	s_waitcnt vmcnt(18)
	v_mul_f32_e32 v179, v152, v188
	s_waitcnt vmcnt(17) lgkmcnt(1)
	v_mul_f32_e32 v181, v6, v191
	v_add_f32_e32 v11, v11, v142
	s_waitcnt vmcnt(13)
	v_fmac_f32_e32 v175, v147, v161
	s_waitcnt vmcnt(12)
	v_fma_f32 v4, v4, v183, -v10
	s_waitcnt vmcnt(11)
	v_fmac_f32_e32 v173, v3, v206
	s_waitcnt vmcnt(10)
	v_fma_f32 v144, v144, v207, -v160
	v_fmac_f32_e32 v171, v145, v207
	v_fma_f32 v2, v2, v206, -v159
	v_fmac_f32_e32 v168, v5, v183
	v_mul_f32_e32 v12, v8, v192
	v_add_f32_e32 v3, v11, v144
	v_add_f32_e32 v1, v1, v171
	v_mul_f32_e32 v11, v147, v182
	s_waitcnt lgkmcnt(0)
	v_mul_f32_e32 v186, v154, v193
	v_mul_f32_e32 v143, v156, v205
	v_add_f32_e32 v2, v3, v2
	v_add_f32_e32 v1, v1, v173
	v_mul_f32_e32 v3, v149, v184
	v_fma_f32 v5, v146, v161, -v11
	v_add_f32_e32 v2, v2, v4
	v_add_f32_e32 v1, v1, v168
	v_mul_f32_e32 v4, v139, v185
	s_waitcnt vmcnt(8)
	v_fmac_f32_e32 v178, v141, v180
	s_waitcnt vmcnt(7)
	v_fmac_f32_e32 v177, v139, v195
	s_waitcnt vmcnt(6)
	v_fma_f32 v3, v148, v208, -v3
	v_add_f32_e32 v2, v2, v5
	v_fmac_f32_e32 v176, v149, v208
	v_add_f32_e32 v1, v1, v175
	v_mul_f32_e32 v5, v141, v187
	v_fma_f32 v4, v138, v195, -v4
	v_add_f32_e32 v2, v2, v3
	v_mul_f32_e32 v3, v151, v190
	v_add_f32_e32 v1, v1, v176
	v_fma_f32 v5, v140, v180, -v5
	v_fmac_f32_e32 v172, v151, v158
	v_add_f32_e32 v2, v2, v4
	v_mul_f32_e32 v4, v153, v188
	v_add_f32_e32 v1, v1, v177
	v_fma_f32 v3, v150, v158, -v3
	v_add_f32_e32 v2, v2, v5
	v_mul_f32_e32 v5, v7, v191
	v_add_f32_e32 v1, v1, v178
	v_add_f32_e32 v2, v2, v3
	v_mul_f32_e32 v3, v9, v192
	v_add_f32_e32 v1, v1, v172
	s_waitcnt vmcnt(4)
	v_fmac_f32_e32 v12, v9, v164
	s_waitcnt vmcnt(3)
	v_fma_f32 v5, v6, v165, -v5
	s_waitcnt vmcnt(2)
	v_fma_f32 v4, v152, v194, -v4
	v_fmac_f32_e32 v179, v153, v194
	v_fmac_f32_e32 v181, v7, v165
	v_fma_f32 v3, v8, v164, -v3
	v_fmac_f32_e32 v186, v155, v163
	v_add_f32_e32 v2, v2, v4
	v_add_f32_e32 v1, v1, v179
	v_mul_f32_e32 v4, v155, v193
	s_waitcnt vmcnt(0)
	v_fmac_f32_e32 v143, v157, v166
	v_add_f32_e32 v2, v2, v5
	v_add_f32_e32 v1, v1, v181
	v_mul_f32_e32 v5, v157, v205
	v_fma_f32 v4, v154, v163, -v4
	v_add_f32_e32 v2, v2, v3
	v_add_f32_e32 v1, v1, v12
	v_fma_f32 v3, v156, v166, -v5
	v_add_f32_e32 v2, v2, v4
	v_add_f32_e32 v1, v1, v186
	;; [unrolled: 1-line block ×4, first 2 shown]
	v_sub_f32_e32 v2, v196, v2
	v_sub_f32_e32 v1, v174, v1
	buffer_store_dword v2, off, s[0:3], 0 offset:40
	buffer_store_dword v1, off, s[0:3], 0 offset:44
	v_cmpx_lt_u32_e32 4, v0
	s_cbranch_execz .LBB61_377
; %bb.376:
	s_clause 0x1
	buffer_load_dword v1, off, s[0:3], 0 offset:32
	buffer_load_dword v2, off, s[0:3], 0 offset:36
	v_mov_b32_e32 v3, 0
	buffer_store_dword v3, off, s[0:3], 0 offset:32
	buffer_store_dword v3, off, s[0:3], 0 offset:36
	s_waitcnt vmcnt(0)
	ds_write_b64 v137, v[1:2]
.LBB61_377:
	s_or_b32 exec_lo, exec_lo, s4
	s_waitcnt lgkmcnt(0)
	s_waitcnt_vscnt null, 0x0
	s_barrier
	buffer_gl0_inv
	s_clause 0x34
	buffer_load_dword v2, off, s[0:3], 0 offset:44
	buffer_load_dword v3, off, s[0:3], 0 offset:52
	;; [unrolled: 1-line block ×53, first 2 shown]
	v_mov_b32_e32 v1, 0
	ds_read2_b64 v[181:184], v1 offset0:67 offset1:68
	ds_read2_b64 v[185:188], v1 offset0:69 offset1:70
	;; [unrolled: 1-line block ×4, first 2 shown]
	buffer_load_dword v180, off, s[0:3], 0 offset:36
	s_mov_b32 s4, exec_lo
	s_waitcnt vmcnt(53) lgkmcnt(3)
	v_mul_f32_e32 v197, v181, v2
	v_mul_f32_e32 v2, v182, v2
	s_waitcnt vmcnt(52)
	v_mul_f32_e32 v198, v183, v3
	v_mul_f32_e32 v3, v184, v3
	s_waitcnt vmcnt(49)
	v_fmac_f32_e32 v197, v182, v8
	v_fma_f32 v199, v181, v8, -v2
	v_fmac_f32_e32 v198, v184, v7
	v_fma_f32 v200, v183, v7, -v3
	ds_read2_b64 v[181:184], v1 offset0:75 offset1:76
	s_waitcnt vmcnt(48) lgkmcnt(3)
	v_mul_f32_e32 v201, v185, v6
	v_mul_f32_e32 v2, v186, v6
	s_waitcnt vmcnt(47)
	v_mul_f32_e32 v3, v188, v5
	v_mul_f32_e32 v202, v187, v5
	s_waitcnt vmcnt(46) lgkmcnt(2)
	v_mul_f32_e32 v6, v190, v10
	s_waitcnt vmcnt(45)
	v_mul_f32_e32 v7, v192, v9
	v_fmac_f32_e32 v201, v186, v4
	v_fma_f32 v185, v185, v4, -v2
	s_waitcnt vmcnt(41)
	v_fma_f32 v186, v187, v141, -v3
	ds_read2_b64 v[2:5], v1 offset0:77 offset1:78
	v_mul_f32_e32 v203, v189, v10
	v_mul_f32_e32 v10, v191, v9
	v_fmac_f32_e32 v202, v188, v141
	v_fma_f32 v187, v189, v140, -v6
	v_fma_f32 v188, v191, v138, -v7
	ds_read2_b64 v[6:9], v1 offset0:79 offset1:80
	v_fmac_f32_e32 v10, v192, v138
	s_waitcnt vmcnt(40) lgkmcnt(3)
	v_mul_f32_e32 v189, v193, v139
	v_mul_f32_e32 v138, v194, v139
	v_fmac_f32_e32 v203, v190, v140
	s_waitcnt vmcnt(39)
	v_mul_f32_e32 v190, v195, v12
	v_mul_f32_e32 v12, v196, v12
	v_fmac_f32_e32 v189, v194, v11
	v_fma_f32 v11, v193, v11, -v138
	ds_read2_b64 v[138:141], v1 offset0:81 offset1:82
	s_waitcnt vmcnt(35)
	v_fmac_f32_e32 v190, v196, v173
	v_fma_f32 v12, v195, v173, -v12
	s_waitcnt vmcnt(34) lgkmcnt(3)
	v_mul_f32_e32 v173, v181, v172
	v_mul_f32_e32 v172, v182, v172
	s_waitcnt vmcnt(33)
	v_mul_f32_e32 v192, v183, v171
	v_mul_f32_e32 v171, v184, v171
	s_waitcnt vmcnt(32) lgkmcnt(2)
	v_mul_f32_e32 v193, v2, v170
	v_mul_f32_e32 v170, v3, v170
	v_fmac_f32_e32 v173, v182, v165
	v_fma_f32 v172, v181, v165, -v172
	s_waitcnt vmcnt(31)
	v_mul_f32_e32 v181, v4, v169
	v_mul_f32_e32 v165, v5, v169
	v_fmac_f32_e32 v192, v184, v161
	v_fma_f32 v161, v183, v161, -v171
	s_waitcnt vmcnt(30) lgkmcnt(1)
	v_mul_f32_e32 v169, v6, v166
	v_mul_f32_e32 v171, v7, v166
	s_waitcnt vmcnt(29)
	v_mul_f32_e32 v182, v8, v167
	v_mul_f32_e32 v183, v9, v167
	buffer_load_dword v191, off, s[0:3], 0 offset:252
	v_fmac_f32_e32 v193, v3, v151
	v_fma_f32 v151, v2, v151, -v170
	s_waitcnt vmcnt(26)
	v_fmac_f32_e32 v181, v5, v168
	v_fma_f32 v170, v4, v168, -v165
	ds_read2_b64 v[2:5], v1 offset0:83 offset1:84
	ds_read2_b64 v[165:168], v1 offset0:85 offset1:86
	v_fmac_f32_e32 v169, v7, v164
	v_fma_f32 v164, v6, v164, -v171
	v_fmac_f32_e32 v182, v9, v162
	v_fma_f32 v162, v8, v162, -v183
	s_clause 0x4
	buffer_load_dword v171, off, s[0:3], 0 offset:260
	buffer_load_dword v183, off, s[0:3], 0 offset:280
	;; [unrolled: 1-line block ×5, first 2 shown]
	s_waitcnt vmcnt(30) lgkmcnt(2)
	v_mul_f32_e32 v196, v138, v157
	v_mul_f32_e32 v6, v139, v157
	s_waitcnt vmcnt(29)
	v_mul_f32_e32 v7, v141, v155
	v_mul_f32_e32 v157, v140, v155
	v_fmac_f32_e32 v196, v139, v147
	v_fma_f32 v138, v138, v147, -v6
	s_waitcnt vmcnt(25)
	v_fma_f32 v139, v140, v163, -v7
	ds_read2_b64 v[6:9], v1 offset0:87 offset1:88
	v_fmac_f32_e32 v157, v141, v163
	s_waitcnt vmcnt(24) lgkmcnt(2)
	v_mul_f32_e32 v140, v2, v160
	v_mul_f32_e32 v141, v3, v160
	s_waitcnt vmcnt(23)
	v_mul_f32_e32 v147, v4, v159
	v_mul_f32_e32 v155, v5, v159
	v_fmac_f32_e32 v140, v3, v152
	v_fma_f32 v141, v2, v152, -v141
	s_waitcnt vmcnt(22) lgkmcnt(1)
	v_mul_f32_e32 v152, v165, v156
	v_mul_f32_e32 v2, v166, v156
	v_fmac_f32_e32 v147, v5, v148
	v_fma_f32 v148, v4, v148, -v155
	s_waitcnt vmcnt(21)
	v_mul_f32_e32 v155, v167, v150
	v_mul_f32_e32 v3, v168, v150
	s_clause 0x1
	buffer_load_dword v150, off, s[0:3], 0 offset:268
	buffer_load_dword v156, off, s[0:3], 0 offset:276
	v_fmac_f32_e32 v152, v166, v143
	v_fma_f32 v143, v165, v143, -v2
	s_waitcnt vmcnt(19)
	v_fmac_f32_e32 v155, v168, v158
	v_fma_f32 v158, v167, v158, -v3
	ds_read2_b64 v[2:5], v1 offset0:89 offset1:90
	s_waitcnt vmcnt(18) lgkmcnt(1)
	v_mul_f32_e32 v159, v6, v154
	v_mul_f32_e32 v154, v7, v154
	s_waitcnt vmcnt(17)
	v_mul_f32_e32 v160, v8, v153
	v_mul_f32_e32 v153, v9, v153
	buffer_load_dword v168, off, s[0:3], 0 offset:292
	v_fmac_f32_e32 v159, v7, v149
	v_fma_f32 v149, v6, v149, -v154
	v_fmac_f32_e32 v160, v9, v144
	v_fma_f32 v144, v8, v144, -v153
	ds_read2_b64 v[6:9], v1 offset0:91 offset1:92
	buffer_load_dword v153, off, s[0:3], 0 offset:284
	s_waitcnt vmcnt(18) lgkmcnt(1)
	v_mul_f32_e32 v154, v2, v146
	v_mul_f32_e32 v146, v3, v146
	s_waitcnt vmcnt(17)
	v_mul_f32_e32 v163, v4, v145
	v_mul_f32_e32 v145, v5, v145
	v_fmac_f32_e32 v154, v3, v142
	v_fma_f32 v142, v2, v142, -v146
	s_waitcnt vmcnt(13)
	v_fmac_f32_e32 v163, v5, v179
	v_fma_f32 v145, v4, v179, -v145
	ds_read2_b64 v[2:5], v1 offset0:93 offset1:94
	s_waitcnt vmcnt(12) lgkmcnt(1)
	v_mul_f32_e32 v146, v6, v178
	v_mul_f32_e32 v165, v7, v178
	s_waitcnt vmcnt(11)
	v_mul_f32_e32 v166, v8, v177
	v_mul_f32_e32 v167, v9, v177
	v_fmac_f32_e32 v146, v7, v176
	v_fma_f32 v165, v6, v176, -v165
	v_fmac_f32_e32 v166, v9, v175
	v_fma_f32 v167, v8, v175, -v167
	s_clause 0x4
	buffer_load_dword v175, off, s[0:3], 0 offset:312
	buffer_load_dword v176, off, s[0:3], 0 offset:304
	;; [unrolled: 1-line block ×5, first 2 shown]
	v_add_f32_e32 v6, 0, v197
	v_add_f32_e32 v7, 0, v199
	buffer_load_dword v197, off, s[0:3], 0 offset:308
	v_add_f32_e32 v6, v6, v198
	v_add_f32_e32 v7, v7, v200
	;; [unrolled: 1-line block ×4, first 2 shown]
	s_clause 0x1
	buffer_load_dword v185, off, s[0:3], 0 offset:316
	buffer_load_dword v198, off, s[0:3], 0 offset:324
	v_add_f32_e32 v6, v6, v202
	v_add_f32_e32 v7, v7, v186
	s_clause 0x3
	buffer_load_dword v186, off, s[0:3], 0 offset:344
	buffer_load_dword v199, off, s[0:3], 0 offset:336
	buffer_load_dword v200, off, s[0:3], 0 offset:328
	buffer_load_dword v201, off, s[0:3], 0 offset:320
	v_add_f32_e32 v6, v6, v203
	v_add_f32_e32 v7, v7, v187
	;; [unrolled: 1-line block ×4, first 2 shown]
	s_clause 0x3
	buffer_load_dword v10, off, s[0:3], 0 offset:332
	buffer_load_dword v187, off, s[0:3], 0 offset:340
	;; [unrolled: 1-line block ×4, first 2 shown]
	v_add_f32_e32 v6, v6, v189
	v_add_f32_e32 v7, v7, v11
	v_add_f32_e32 v6, v6, v190
	v_add_f32_e32 v7, v7, v12
	v_add_f32_e32 v6, v6, v173
	v_add_f32_e32 v7, v7, v172
	v_add_f32_e32 v6, v6, v192
	v_add_f32_e32 v7, v7, v161
	v_add_f32_e32 v7, v7, v151
	v_add_f32_e32 v151, v6, v193
	v_add_f32_e32 v170, v7, v170
	v_add_f32_e32 v151, v151, v181
	v_add_f32_e32 v164, v170, v164
	s_waitcnt vmcnt(25) lgkmcnt(0)
	v_mul_f32_e32 v189, v2, v191
	v_mul_f32_e32 v8, v3, v191
	v_fmac_f32_e32 v189, v3, v174
	s_waitcnt vmcnt(24)
	v_mul_f32_e32 v11, v4, v171
	v_mul_f32_e32 v9, v5, v171
	v_fma_f32 v171, v2, v174, -v8
	s_waitcnt vmcnt(20)
	v_fmac_f32_e32 v11, v5, v195
	v_fma_f32 v12, v4, v195, -v9
	ds_read2_b64 v[2:5], v1 offset0:95 offset1:96
	s_clause 0x6
	buffer_load_dword v172, off, s[0:3], 0 offset:376
	buffer_load_dword v173, off, s[0:3], 0 offset:368
	;; [unrolled: 1-line block ×7, first 2 shown]
	ds_read2_b64 v[6:9], v1 offset0:97 offset1:98
	s_waitcnt vmcnt(26) lgkmcnt(1)
	v_mul_f32_e32 v181, v2, v150
	v_mul_f32_e32 v150, v3, v150
	s_waitcnt vmcnt(25)
	v_mul_f32_e32 v170, v4, v156
	v_mul_f32_e32 v156, v5, v156
	v_fmac_f32_e32 v181, v3, v194
	v_add_f32_e32 v3, v151, v169
	v_add_f32_e32 v151, v164, v162
	v_fma_f32 v150, v2, v194, -v150
	v_fmac_f32_e32 v170, v5, v184
	v_fma_f32 v156, v4, v184, -v156
	v_add_f32_e32 v2, v3, v182
	v_add_f32_e32 v3, v151, v138
	s_clause 0x7
	buffer_load_dword v162, off, s[0:3], 0 offset:388
	buffer_load_dword v164, off, s[0:3], 0 offset:396
	;; [unrolled: 1-line block ×8, first 2 shown]
	v_add_f32_e32 v2, v2, v196
	v_add_f32_e32 v3, v3, v139
	s_waitcnt vmcnt(31) lgkmcnt(0)
	v_mul_f32_e32 v151, v6, v153
	v_mul_f32_e32 v4, v7, v153
	s_clause 0x1
	buffer_load_dword v196, off, s[0:3], 0 offset:420
	buffer_load_dword v203, off, s[0:3], 0 offset:428
	v_add_f32_e32 v2, v2, v157
	v_add_f32_e32 v3, v3, v141
	v_fmac_f32_e32 v151, v7, v183
	v_fma_f32 v153, v6, v183, -v4
	s_clause 0x1
	buffer_load_dword v204, off, s[0:3], 0 offset:436
	buffer_load_dword v205, off, s[0:3], 0 offset:444
	v_add_f32_e32 v2, v2, v140
	v_add_f32_e32 v3, v3, v148
	s_clause 0x4
	buffer_load_dword v183, off, s[0:3], 0 offset:452
	buffer_load_dword v206, off, s[0:3], 0 offset:460
	;; [unrolled: 1-line block ×5, first 2 shown]
	v_add_f32_e32 v2, v2, v147
	v_add_f32_e32 v6, v3, v143
	v_mul_f32_e32 v3, v9, v168
	v_mul_f32_e32 v147, v8, v168
	buffer_load_dword v168, off, s[0:3], 0 offset:492
	v_add_f32_e32 v7, v2, v152
	v_add_f32_e32 v6, v6, v158
	v_add_f32_e32 v7, v7, v155
	v_add_f32_e32 v6, v6, v149
	s_waitcnt vmcnt(37)
	v_fma_f32 v148, v8, v178, -v3
	ds_read2_b64 v[2:5], v1 offset0:99 offset1:100
	v_fmac_f32_e32 v147, v9, v178
	v_add_f32_e32 v7, v7, v159
	s_clause 0x3
	buffer_load_dword v158, off, s[0:3], 0 offset:440
	buffer_load_dword v159, off, s[0:3], 0 offset:432
	;; [unrolled: 1-line block ×4, first 2 shown]
	v_add_f32_e32 v6, v6, v144
	v_add_f32_e32 v138, v7, v160
	;; [unrolled: 1-line block ×3, first 2 shown]
	ds_read2_b64 v[6:9], v1 offset0:101 offset1:102
	v_add_f32_e32 v138, v138, v154
	v_add_f32_e32 v139, v139, v145
	s_waitcnt vmcnt(40) lgkmcnt(1)
	v_mul_f32_e32 v149, v2, v179
	v_mul_f32_e32 v140, v3, v179
	s_waitcnt vmcnt(39)
	v_mul_f32_e32 v154, v4, v197
	v_fmac_f32_e32 v149, v3, v177
	v_fma_f32 v152, v2, v177, -v140
	v_add_f32_e32 v2, v138, v163
	v_add_f32_e32 v3, v139, v165
	s_clause 0x3
	buffer_load_dword v160, off, s[0:3], 0 offset:472
	buffer_load_dword v163, off, s[0:3], 0 offset:464
	;; [unrolled: 1-line block ×4, first 2 shown]
	v_mul_f32_e32 v138, v5, v197
	s_waitcnt vmcnt(42) lgkmcnt(0)
	v_mul_f32_e32 v157, v6, v185
	v_add_f32_e32 v2, v2, v146
	v_add_f32_e32 v3, v3, v167
	s_clause 0x1
	buffer_load_dword v167, off, s[0:3], 0 offset:488
	buffer_load_dword v179, off, s[0:3], 0 offset:480
	v_mul_f32_e32 v142, v7, v185
	s_waitcnt vmcnt(43)
	v_mul_f32_e32 v143, v9, v198
	v_add_f32_e32 v2, v2, v166
	buffer_load_dword v166, off, s[0:3], 0 offset:32
	v_add_f32_e32 v3, v3, v171
	v_mul_f32_e32 v171, v8, v198
	v_fmac_f32_e32 v154, v5, v176
	v_add_f32_e32 v139, v2, v189
	v_fma_f32 v155, v4, v176, -v138
	v_add_f32_e32 v12, v3, v12
	ds_read2_b64 v[2:5], v1 offset0:103 offset1:104
	v_fmac_f32_e32 v157, v7, v175
	v_add_f32_e32 v11, v139, v11
	ds_read2_b64 v[138:141], v1 offset0:105 offset1:106
	v_add_f32_e32 v12, v12, v150
	v_fma_f32 v175, v6, v175, -v142
	s_waitcnt vmcnt(40)
	v_fmac_f32_e32 v171, v9, v201
	v_add_f32_e32 v11, v11, v181
	v_add_f32_e32 v12, v12, v156
	v_fma_f32 v156, v8, v201, -v143
	ds_read2_b64 v[6:9], v1 offset0:107 offset1:108
	ds_read2_b64 v[142:145], v1 offset0:109 offset1:110
	v_add_f32_e32 v11, v11, v170
	v_add_f32_e32 v12, v12, v153
	;; [unrolled: 1-line block ×4, first 2 shown]
	s_waitcnt vmcnt(39) lgkmcnt(3)
	v_mul_f32_e32 v170, v2, v10
	v_mul_f32_e32 v10, v3, v10
	v_add_f32_e32 v11, v11, v147
	s_waitcnt vmcnt(38)
	v_mul_f32_e32 v146, v5, v187
	v_add_f32_e32 v12, v12, v152
	v_mul_f32_e32 v176, v4, v187
	v_fma_f32 v10, v2, v200, -v10
	v_add_f32_e32 v11, v11, v149
	v_fmac_f32_e32 v170, v3, v200
	v_add_f32_e32 v12, v12, v155
	s_waitcnt vmcnt(37) lgkmcnt(2)
	v_mul_f32_e32 v181, v138, v202
	v_mul_f32_e32 v150, v139, v202
	v_add_f32_e32 v11, v11, v154
	v_fma_f32 v187, v4, v199, -v146
	v_add_f32_e32 v12, v12, v175
	v_fmac_f32_e32 v176, v5, v199
	s_waitcnt vmcnt(36)
	v_mul_f32_e32 v151, v141, v188
	v_add_f32_e32 v11, v11, v157
	v_fmac_f32_e32 v181, v139, v186
	v_fma_f32 v186, v138, v186, -v150
	v_mul_f32_e32 v185, v140, v188
	ds_read2_b64 v[2:5], v1 offset0:111 offset1:112
	ds_read2_b64 v[146:149], v1 offset0:113 offset1:114
	v_add_f32_e32 v11, v11, v171
	v_add_f32_e32 v170, v11, v170
	;; [unrolled: 1-line block ×4, first 2 shown]
	s_waitcnt vmcnt(31) lgkmcnt(3)
	v_mul_f32_e32 v175, v6, v161
	v_mul_f32_e32 v154, v7, v161
	v_fma_f32 v188, v140, v190, -v151
	v_fmac_f32_e32 v185, v141, v190
	s_waitcnt vmcnt(30)
	v_mul_f32_e32 v155, v9, v191
	v_fmac_f32_e32 v175, v7, v174
	v_add_f32_e32 v7, v12, v156
	v_fma_f32 v12, v6, v174, -v154
	v_mul_f32_e32 v189, v8, v191
	v_add_f32_e32 v170, v170, v185
	v_fma_f32 v161, v8, v173, -v155
	v_add_f32_e32 v171, v7, v10
	s_waitcnt vmcnt(29) lgkmcnt(2)
	v_mul_f32_e32 v176, v143, v192
	v_fmac_f32_e32 v189, v9, v173
	v_mul_f32_e32 v173, v142, v192
	v_add_f32_e32 v170, v170, v175
	v_add_f32_e32 v171, v171, v187
	v_fma_f32 v142, v142, v172, -v176
	ds_read2_b64 v[138:141], v1 offset0:115 offset1:116
	ds_read2_b64 v[150:153], v1 offset0:117 offset1:118
	v_fmac_f32_e32 v173, v143, v172
	ds_read2_b64 v[6:9], v1 offset0:119 offset1:120
	ds_read2_b64 v[154:157], v1 offset0:121 offset1:122
	ds_read_b64 v[10:11], v1 offset:984
	v_add_f32_e32 v171, v171, v186
	v_add_f32_e32 v171, v171, v188
	s_waitcnt vmcnt(28)
	v_mul_f32_e32 v174, v144, v162
	v_mul_f32_e32 v162, v145, v162
	v_add_f32_e32 v12, v171, v12
	s_waitcnt vmcnt(27) lgkmcnt(6)
	v_mul_f32_e32 v186, v2, v164
	v_mul_f32_e32 v164, v3, v164
	s_waitcnt vmcnt(26)
	v_mul_f32_e32 v181, v4, v169
	v_mul_f32_e32 v169, v5, v169
	v_add_f32_e32 v12, v12, v161
	v_add_f32_e32 v161, v170, v189
	s_waitcnt vmcnt(21)
	v_fma_f32 v144, v144, v195, -v162
	v_fmac_f32_e32 v174, v145, v195
	v_fmac_f32_e32 v186, v3, v194
	v_add_f32_e32 v12, v12, v142
	v_add_f32_e32 v142, v161, v173
	v_fma_f32 v2, v2, v194, -v164
	v_fma_f32 v4, v4, v193, -v169
	s_waitcnt lgkmcnt(5)
	v_mul_f32_e32 v143, v146, v182
	v_add_f32_e32 v3, v12, v144
	v_add_f32_e32 v12, v142, v174
	v_mul_f32_e32 v142, v147, v182
	v_fmac_f32_e32 v181, v5, v193
	s_waitcnt vmcnt(20)
	v_mul_f32_e32 v5, v149, v196
	v_add_f32_e32 v2, v3, v2
	v_add_f32_e32 v3, v12, v186
	v_fma_f32 v12, v146, v184, -v142
	v_mul_f32_e32 v172, v148, v196
	v_fmac_f32_e32 v143, v147, v184
	v_add_f32_e32 v2, v2, v4
	v_add_f32_e32 v3, v3, v181
	s_waitcnt vmcnt(19) lgkmcnt(4)
	v_mul_f32_e32 v4, v139, v203
	v_mul_f32_e32 v176, v138, v203
	s_waitcnt vmcnt(18)
	v_mul_f32_e32 v145, v140, v204
	v_add_f32_e32 v2, v2, v12
	v_add_f32_e32 v3, v3, v143
	v_mul_f32_e32 v12, v141, v204
	s_waitcnt vmcnt(17) lgkmcnt(3)
	v_mul_f32_e32 v162, v150, v205
	s_waitcnt vmcnt(16)
	v_mul_f32_e32 v171, v152, v183
	s_waitcnt vmcnt(15) lgkmcnt(2)
	v_mul_f32_e32 v175, v6, v206
	s_waitcnt vmcnt(14)
	;; [unrolled: 4-line block ×3, first 2 shown]
	v_fma_f32 v12, v140, v159, -v12
	s_waitcnt vmcnt(8)
	v_fma_f32 v4, v138, v178, -v4
	s_waitcnt vmcnt(7)
	v_fma_f32 v5, v148, v210, -v5
	v_fmac_f32_e32 v172, v149, v210
	v_fmac_f32_e32 v176, v139, v178
	;; [unrolled: 1-line block ×4, first 2 shown]
	v_add_f32_e32 v2, v2, v5
	v_add_f32_e32 v3, v3, v172
	v_mul_f32_e32 v5, v151, v205
	v_mul_f32_e32 v187, v156, v209
	s_waitcnt lgkmcnt(0)
	v_mul_f32_e32 v161, v10, v168
	v_add_f32_e32 v2, v2, v4
	v_add_f32_e32 v3, v3, v176
	v_mul_f32_e32 v4, v153, v183
	v_fma_f32 v5, v150, v158, -v5
	v_add_f32_e32 v2, v2, v12
	v_add_f32_e32 v3, v3, v145
	v_mul_f32_e32 v12, v7, v206
	v_add_f32_e32 v2, v2, v5
	v_add_f32_e32 v3, v3, v162
	v_mul_f32_e32 v5, v9, v207
	s_waitcnt vmcnt(6)
	v_fmac_f32_e32 v170, v155, v160
	s_waitcnt vmcnt(5)
	v_fmac_f32_e32 v185, v9, v163
	s_waitcnt vmcnt(4)
	v_fma_f32 v6, v6, v165, -v12
	s_waitcnt vmcnt(3)
	v_fma_f32 v4, v152, v177, -v4
	v_fmac_f32_e32 v171, v153, v177
	v_fmac_f32_e32 v175, v7, v165
	v_fma_f32 v5, v8, v163, -v5
	s_waitcnt vmcnt(2)
	v_fmac_f32_e32 v161, v11, v167
	v_add_f32_e32 v2, v2, v4
	v_add_f32_e32 v3, v3, v171
	v_mul_f32_e32 v4, v155, v208
	s_waitcnt vmcnt(1)
	v_fmac_f32_e32 v187, v157, v179
	v_add_f32_e32 v2, v2, v6
	v_add_f32_e32 v3, v3, v175
	v_mul_f32_e32 v6, v157, v209
	v_fma_f32 v4, v154, v160, -v4
	v_add_f32_e32 v2, v2, v5
	v_add_f32_e32 v3, v3, v185
	v_mul_f32_e32 v5, v11, v168
	v_fma_f32 v6, v156, v179, -v6
	v_add_f32_e32 v2, v2, v4
	v_add_f32_e32 v3, v3, v170
	v_fma_f32 v4, v10, v167, -v5
	v_add_f32_e32 v2, v2, v6
	v_add_f32_e32 v3, v3, v187
	;; [unrolled: 1-line block ×4, first 2 shown]
	s_waitcnt vmcnt(0)
	v_sub_f32_e32 v2, v166, v2
	v_sub_f32_e32 v3, v180, v3
	buffer_store_dword v2, off, s[0:3], 0 offset:32
	buffer_store_dword v3, off, s[0:3], 0 offset:36
	v_cmpx_lt_u32_e32 3, v0
	s_cbranch_execz .LBB61_379
; %bb.378:
	s_clause 0x1
	buffer_load_dword v2, off, s[0:3], 0 offset:24
	buffer_load_dword v3, off, s[0:3], 0 offset:28
	buffer_store_dword v1, off, s[0:3], 0 offset:24
	buffer_store_dword v1, off, s[0:3], 0 offset:28
	s_waitcnt vmcnt(0)
	ds_write_b64 v137, v[2:3]
.LBB61_379:
	s_or_b32 exec_lo, exec_lo, s4
	s_waitcnt lgkmcnt(0)
	s_waitcnt_vscnt null, 0x0
	s_barrier
	buffer_gl0_inv
	s_clause 0x3c
	buffer_load_dword v172, off, s[0:3], 0 offset:36
	buffer_load_dword v173, off, s[0:3], 0 offset:44
	buffer_load_dword v2, off, s[0:3], 0 offset:48
	buffer_load_dword v5, off, s[0:3], 0 offset:40
	buffer_load_dword v6, off, s[0:3], 0 offset:32
	buffer_load_dword v4, off, s[0:3], 0 offset:52
	buffer_load_dword v3, off, s[0:3], 0 offset:60
	buffer_load_dword v7, off, s[0:3], 0 offset:80
	buffer_load_dword v8, off, s[0:3], 0 offset:72
	buffer_load_dword v11, off, s[0:3], 0 offset:64
	buffer_load_dword v139, off, s[0:3], 0 offset:56
	buffer_load_dword v138, off, s[0:3], 0 offset:68
	buffer_load_dword v12, off, s[0:3], 0 offset:76
	buffer_load_dword v10, off, s[0:3], 0 offset:84
	buffer_load_dword v9, off, s[0:3], 0 offset:92
	buffer_load_dword v147, off, s[0:3], 0 offset:112
	buffer_load_dword v159, off, s[0:3], 0 offset:104
	buffer_load_dword v164, off, s[0:3], 0 offset:96
	buffer_load_dword v171, off, s[0:3], 0 offset:88
	buffer_load_dword v170, off, s[0:3], 0 offset:100
	buffer_load_dword v169, off, s[0:3], 0 offset:108
	buffer_load_dword v163, off, s[0:3], 0 offset:116
	buffer_load_dword v161, off, s[0:3], 0 offset:124
	buffer_load_dword v142, off, s[0:3], 0 offset:144
	buffer_load_dword v152, off, s[0:3], 0 offset:136
	buffer_load_dword v157, off, s[0:3], 0 offset:128
	buffer_load_dword v168, off, s[0:3], 0 offset:120
	buffer_load_dword v167, off, s[0:3], 0 offset:132
	buffer_load_dword v166, off, s[0:3], 0 offset:140
	buffer_load_dword v156, off, s[0:3], 0 offset:148
	buffer_load_dword v154, off, s[0:3], 0 offset:156
	buffer_load_dword v141, off, s[0:3], 0 offset:176
	buffer_load_dword v148, off, s[0:3], 0 offset:168
	buffer_load_dword v151, off, s[0:3], 0 offset:160
	buffer_load_dword v165, off, s[0:3], 0 offset:152
	buffer_load_dword v162, off, s[0:3], 0 offset:164
	buffer_load_dword v160, off, s[0:3], 0 offset:172
	buffer_load_dword v150, off, s[0:3], 0 offset:180
	buffer_load_dword v149, off, s[0:3], 0 offset:188
	buffer_load_dword v140, off, s[0:3], 0 offset:208
	buffer_load_dword v143, off, s[0:3], 0 offset:200
	buffer_load_dword v146, off, s[0:3], 0 offset:192
	buffer_load_dword v158, off, s[0:3], 0 offset:184
	buffer_load_dword v155, off, s[0:3], 0 offset:196
	buffer_load_dword v153, off, s[0:3], 0 offset:204
	buffer_load_dword v145, off, s[0:3], 0 offset:212
	buffer_load_dword v144, off, s[0:3], 0 offset:220
	buffer_load_dword v174, off, s[0:3], 0 offset:240
	buffer_load_dword v175, off, s[0:3], 0 offset:232
	buffer_load_dword v178, off, s[0:3], 0 offset:224
	buffer_load_dword v181, off, s[0:3], 0 offset:216
	buffer_load_dword v180, off, s[0:3], 0 offset:228
	buffer_load_dword v179, off, s[0:3], 0 offset:236
	buffer_load_dword v177, off, s[0:3], 0 offset:244
	buffer_load_dword v176, off, s[0:3], 0 offset:252
	buffer_load_dword v183, off, s[0:3], 0 offset:272
	buffer_load_dword v184, off, s[0:3], 0 offset:264
	buffer_load_dword v185, off, s[0:3], 0 offset:256
	buffer_load_dword v194, off, s[0:3], 0 offset:248
	buffer_load_dword v195, off, s[0:3], 0 offset:260
	buffer_load_dword v196, off, s[0:3], 0 offset:268
	ds_read_b128 v[186:189], v1 offset:528
	ds_read_b128 v[190:193], v1 offset:544
	s_mov_b32 s4, exec_lo
	s_waitcnt vmcnt(60) lgkmcnt(1)
	v_mul_f32_e32 v182, v186, v172
	v_mul_f32_e32 v197, v187, v172
	s_waitcnt vmcnt(59)
	v_mul_f32_e32 v172, v188, v173
	v_mul_f32_e32 v198, v189, v173
	buffer_load_dword v173, off, s[0:3], 0 offset:28
	s_waitcnt vmcnt(57)
	v_fmac_f32_e32 v182, v187, v6
	v_fma_f32 v197, v186, v6, -v197
	v_fmac_f32_e32 v172, v189, v5
	v_fma_f32 v198, v188, v5, -v198
	ds_read_b128 v[186:189], v1 offset:560
	s_waitcnt vmcnt(56) lgkmcnt(1)
	v_mul_f32_e32 v199, v190, v4
	v_mul_f32_e32 v4, v191, v4
	s_waitcnt vmcnt(55)
	v_mul_f32_e32 v200, v192, v3
	v_mul_f32_e32 v3, v193, v3
	v_fmac_f32_e32 v199, v191, v2
	v_fma_f32 v190, v190, v2, -v4
	s_waitcnt vmcnt(51)
	v_fmac_f32_e32 v200, v193, v139
	v_fma_f32 v139, v192, v139, -v3
	ds_read_b128 v[2:5], v1 offset:576
	s_waitcnt vmcnt(50) lgkmcnt(1)
	v_mul_f32_e32 v191, v186, v138
	v_mul_f32_e32 v6, v187, v138
	s_waitcnt vmcnt(49)
	v_mul_f32_e32 v138, v188, v12
	v_mul_f32_e32 v12, v189, v12
	v_fmac_f32_e32 v191, v187, v11
	v_fma_f32 v11, v186, v11, -v6
	v_fmac_f32_e32 v138, v189, v8
	v_fma_f32 v12, v188, v8, -v12
	ds_read_b128 v[186:189], v1 offset:592
	s_waitcnt vmcnt(48) lgkmcnt(1)
	v_mul_f32_e32 v192, v2, v10
	v_mul_f32_e32 v6, v3, v10
	s_waitcnt vmcnt(47)
	v_mul_f32_e32 v10, v4, v9
	v_mul_f32_e32 v8, v5, v9
	v_fmac_f32_e32 v192, v3, v7
	v_fma_f32 v193, v2, v7, -v6
	s_waitcnt vmcnt(43)
	v_fmac_f32_e32 v10, v5, v171
	v_fma_f32 v171, v4, v171, -v8
	ds_read_b128 v[2:5], v1 offset:608
	s_waitcnt vmcnt(42) lgkmcnt(1)
	v_mul_f32_e32 v201, v186, v170
	v_mul_f32_e32 v6, v187, v170
	s_waitcnt vmcnt(41)
	v_mul_f32_e32 v170, v188, v169
	v_mul_f32_e32 v7, v189, v169
	v_fmac_f32_e32 v201, v187, v164
	v_fma_f32 v164, v186, v164, -v6
	v_fmac_f32_e32 v170, v189, v159
	v_fma_f32 v159, v188, v159, -v7
	ds_read_b128 v[6:9], v1 offset:624
	s_waitcnt vmcnt(40) lgkmcnt(1)
	v_mul_f32_e32 v169, v2, v163
	v_mul_f32_e32 v163, v3, v163
	s_waitcnt vmcnt(39)
	v_mul_f32_e32 v186, v4, v161
	v_mul_f32_e32 v161, v5, v161
	buffer_load_dword v187, off, s[0:3], 0 offset:276
	v_fmac_f32_e32 v169, v3, v147
	v_fma_f32 v147, v2, v147, -v163
	s_waitcnt vmcnt(36)
	v_fmac_f32_e32 v186, v5, v168
	v_fma_f32 v161, v4, v168, -v161
	ds_read_b128 v[2:5], v1 offset:640
	s_waitcnt vmcnt(35) lgkmcnt(1)
	v_mul_f32_e32 v163, v6, v167
	v_mul_f32_e32 v167, v7, v167
	s_waitcnt vmcnt(34)
	v_mul_f32_e32 v168, v8, v166
	v_mul_f32_e32 v166, v9, v166
	v_fmac_f32_e32 v163, v7, v157
	v_fma_f32 v157, v6, v157, -v167
	v_fmac_f32_e32 v168, v9, v152
	v_fma_f32 v152, v8, v152, -v166
	ds_read_b128 v[6:9], v1 offset:656
	s_waitcnt vmcnt(33) lgkmcnt(1)
	v_mul_f32_e32 v166, v2, v156
	v_mul_f32_e32 v156, v3, v156
	s_waitcnt vmcnt(32)
	v_mul_f32_e32 v167, v4, v154
	v_mul_f32_e32 v154, v5, v154
	v_fmac_f32_e32 v166, v3, v142
	v_fma_f32 v142, v2, v142, -v156
	s_waitcnt vmcnt(28)
	v_fmac_f32_e32 v167, v5, v165
	v_fma_f32 v154, v4, v165, -v154
	ds_read_b128 v[2:5], v1 offset:672
	s_waitcnt vmcnt(27) lgkmcnt(1)
	v_mul_f32_e32 v156, v6, v162
	v_mul_f32_e32 v162, v7, v162
	s_waitcnt vmcnt(26)
	v_mul_f32_e32 v165, v8, v160
	v_mul_f32_e32 v160, v9, v160
	v_fmac_f32_e32 v156, v7, v151
	v_fma_f32 v151, v6, v151, -v162
	v_fmac_f32_e32 v165, v9, v148
	v_fma_f32 v148, v8, v148, -v160
	ds_read_b128 v[6:9], v1 offset:688
	s_waitcnt vmcnt(25) lgkmcnt(1)
	v_mul_f32_e32 v160, v2, v150
	v_mul_f32_e32 v150, v3, v150
	s_waitcnt vmcnt(24)
	v_mul_f32_e32 v162, v4, v149
	v_mul_f32_e32 v149, v5, v149
	;; [unrolled: 23-line block ×4, first 2 shown]
	v_fmac_f32_e32 v179, v3, v174
	v_fma_f32 v174, v2, v174, -v177
	s_waitcnt vmcnt(4)
	v_fmac_f32_e32 v180, v5, v194
	v_fma_f32 v176, v4, v194, -v176
	ds_read_b128 v[2:5], v1 offset:768
	s_waitcnt vmcnt(3) lgkmcnt(1)
	v_mul_f32_e32 v177, v6, v195
	v_mul_f32_e32 v188, v7, v195
	buffer_load_dword v195, off, s[0:3], 0 offset:284
	s_waitcnt vmcnt(3)
	v_mul_f32_e32 v189, v8, v196
	v_mul_f32_e32 v194, v9, v196
	v_fmac_f32_e32 v177, v7, v185
	v_fma_f32 v185, v6, v185, -v188
	v_fmac_f32_e32 v189, v9, v184
	v_fma_f32 v184, v8, v184, -v194
	s_clause 0x4
	buffer_load_dword v188, off, s[0:3], 0 offset:304
	buffer_load_dword v194, off, s[0:3], 0 offset:296
	;; [unrolled: 1-line block ×5, first 2 shown]
	s_waitcnt vmcnt(6) lgkmcnt(0)
	v_mul_f32_e32 v203, v2, v187
	v_mul_f32_e32 v7, v3, v187
	v_fmac_f32_e32 v203, v3, v183
	v_fma_f32 v183, v2, v183, -v7
	s_waitcnt vmcnt(5)
	v_mul_f32_e32 v187, v4, v195
	v_mul_f32_e32 v2, v5, v195
	s_waitcnt vmcnt(1)
	v_fmac_f32_e32 v187, v5, v6
	v_fma_f32 v195, v4, v6, -v2
	ds_read_b128 v[2:5], v1 offset:784
	ds_read_b128 v[6:9], v1 offset:800
	s_waitcnt vmcnt(0) lgkmcnt(1)
	v_mul_f32_e32 v204, v2, v202
	v_mul_f32_e32 v202, v3, v202
	v_fmac_f32_e32 v204, v3, v196
	v_fma_f32 v196, v2, v196, -v202
	s_clause 0x1
	buffer_load_dword v2, off, s[0:3], 0 offset:300
	buffer_load_dword v3, off, s[0:3], 0 offset:308
	s_waitcnt vmcnt(1)
	v_mul_f32_e32 v202, v4, v2
	v_mul_f32_e32 v2, v5, v2
	v_fmac_f32_e32 v202, v5, v194
	v_fma_f32 v194, v4, v194, -v2
	v_add_f32_e32 v2, 0, v197
	v_add_f32_e32 v4, 0, v182
	;; [unrolled: 1-line block ×4, first 2 shown]
	buffer_load_dword v172, off, s[0:3], 0 offset:316
	v_add_f32_e32 v2, v2, v190
	v_add_f32_e32 v4, v4, v199
	;; [unrolled: 1-line block ×3, first 2 shown]
	s_clause 0x3
	buffer_load_dword v182, off, s[0:3], 0 offset:336
	buffer_load_dword v190, off, s[0:3], 0 offset:328
	buffer_load_dword v197, off, s[0:3], 0 offset:320
	buffer_load_dword v139, off, s[0:3], 0 offset:312
	v_add_f32_e32 v4, v4, v200
	v_add_f32_e32 v2, v2, v11
	buffer_load_dword v11, off, s[0:3], 0 offset:324
	v_add_f32_e32 v4, v4, v191
	v_add_f32_e32 v2, v2, v12
	s_clause 0x1
	buffer_load_dword v12, off, s[0:3], 0 offset:332
	buffer_load_dword v191, off, s[0:3], 0 offset:340
	v_add_f32_e32 v4, v4, v138
	v_add_f32_e32 v2, v2, v193
	s_clause 0x1
	buffer_load_dword v193, off, s[0:3], 0 offset:348
	buffer_load_dword v198, off, s[0:3], 0 offset:356
	v_add_f32_e32 v4, v4, v192
	v_add_f32_e32 v2, v2, v171
	;; [unrolled: 1-line block ×4, first 2 shown]
	s_clause 0x3
	buffer_load_dword v10, off, s[0:3], 0 offset:368
	buffer_load_dword v164, off, s[0:3], 0 offset:360
	;; [unrolled: 1-line block ×4, first 2 shown]
	v_add_f32_e32 v4, v4, v201
	v_add_f32_e32 v2, v2, v159
	buffer_load_dword v159, off, s[0:3], 0 offset:364
	v_add_f32_e32 v4, v4, v170
	s_clause 0x1
	buffer_load_dword v170, off, s[0:3], 0 offset:372
	buffer_load_dword v199, off, s[0:3], 0 offset:380
	v_add_f32_e32 v2, v2, v147
	v_add_f32_e32 v4, v4, v169
	;; [unrolled: 1-line block ×4, first 2 shown]
	s_clause 0x3
	buffer_load_dword v161, off, s[0:3], 0 offset:400
	buffer_load_dword v169, off, s[0:3], 0 offset:392
	;; [unrolled: 1-line block ×4, first 2 shown]
	v_add_f32_e32 v2, v2, v157
	v_add_f32_e32 v4, v4, v163
	buffer_load_dword v163, off, s[0:3], 0 offset:388
	v_add_f32_e32 v2, v2, v152
	v_add_f32_e32 v4, v4, v168
	buffer_load_dword v168, off, s[0:3], 0 offset:396
	v_add_f32_e32 v2, v2, v142
	v_add_f32_e32 v4, v4, v166
	s_clause 0x2
	buffer_load_dword v166, off, s[0:3], 0 offset:404
	buffer_load_dword v201, off, s[0:3], 0 offset:412
	;; [unrolled: 1-line block ×3, first 2 shown]
	v_add_f32_e32 v2, v2, v154
	v_add_f32_e32 v4, v4, v167
	s_clause 0x2
	buffer_load_dword v167, off, s[0:3], 0 offset:428
	buffer_load_dword v206, off, s[0:3], 0 offset:436
	;; [unrolled: 1-line block ×3, first 2 shown]
	v_add_f32_e32 v2, v2, v151
	buffer_load_dword v208, off, s[0:3], 0 offset:452
	v_add_f32_e32 v4, v4, v156
	s_clause 0x2
	buffer_load_dword v209, off, s[0:3], 0 offset:460
	buffer_load_dword v210, off, s[0:3], 0 offset:468
	;; [unrolled: 1-line block ×3, first 2 shown]
	v_add_f32_e32 v2, v2, v148
	v_add_f32_e32 v4, v4, v165
	buffer_load_dword v165, off, s[0:3], 0 offset:476
	v_add_f32_e32 v2, v2, v141
	v_add_f32_e32 v4, v4, v160
	buffer_load_dword v160, off, s[0:3], 0 offset:492
	v_add_f32_e32 v2, v2, v149
	v_add_f32_e32 v4, v4, v162
	s_clause 0x3
	buffer_load_dword v162, off, s[0:3], 0 offset:432
	buffer_load_dword v212, off, s[0:3], 0 offset:424
	;; [unrolled: 1-line block ×4, first 2 shown]
	v_add_f32_e32 v2, v2, v146
	v_add_f32_e32 v4, v4, v150
	s_waitcnt vmcnt(39) lgkmcnt(0)
	v_mul_f32_e32 v150, v6, v3
	v_mul_f32_e32 v3, v7, v3
	v_add_f32_e32 v2, v2, v143
	v_add_f32_e32 v4, v4, v158
	s_clause 0x3
	buffer_load_dword v158, off, s[0:3], 0 offset:464
	buffer_load_dword v215, off, s[0:3], 0 offset:456
	;; [unrolled: 1-line block ×4, first 2 shown]
	v_fmac_f32_e32 v150, v7, v188
	v_add_f32_e32 v2, v2, v140
	v_fma_f32 v151, v6, v188, -v3
	v_add_f32_e32 v4, v4, v153
	v_add_f32_e32 v2, v2, v144
	;; [unrolled: 1-line block ×4, first 2 shown]
	s_clause 0x3
	buffer_load_dword v178, off, s[0:3], 0 offset:488
	buffer_load_dword v218, off, s[0:3], 0 offset:480
	;; [unrolled: 1-line block ×4, first 2 shown]
	v_add_f32_e32 v4, v4, v145
	v_add_f32_e32 v2, v2, v175
	;; [unrolled: 1-line block ×5, first 2 shown]
	ds_read_b128 v[2:5], v1 offset:816
	v_add_f32_e32 v138, v6, v176
	v_add_f32_e32 v142, v138, v185
	;; [unrolled: 1-line block ×4, first 2 shown]
	s_waitcnt vmcnt(46)
	v_mul_f32_e32 v154, v8, v172
	v_mul_f32_e32 v6, v9, v172
	s_waitcnt vmcnt(42)
	v_fmac_f32_e32 v154, v9, v139
	v_fma_f32 v155, v8, v139, -v6
	v_add_f32_e32 v139, v7, v180
	ds_read_b128 v[6:9], v1 offset:832
	s_waitcnt vmcnt(41) lgkmcnt(1)
	v_mul_f32_e32 v156, v2, v11
	v_mul_f32_e32 v11, v3, v11
	v_add_f32_e32 v143, v139, v177
	ds_read_b128 v[138:141], v1 offset:848
	s_waitcnt vmcnt(40)
	v_mul_f32_e32 v172, v4, v12
	v_fmac_f32_e32 v156, v3, v197
	v_fma_f32 v11, v2, v197, -v11
	v_add_f32_e32 v143, v143, v189
	v_add_f32_e32 v3, v146, v195
	v_mul_f32_e32 v12, v5, v12
	v_fmac_f32_e32 v172, v5, v190
	v_add_f32_e32 v2, v143, v203
	ds_read_b128 v[142:145], v1 offset:864
	v_add_f32_e32 v3, v3, v196
	v_fma_f32 v12, v4, v190, -v12
	v_add_f32_e32 v2, v2, v187
	s_waitcnt vmcnt(39) lgkmcnt(2)
	v_mul_f32_e32 v146, v7, v191
	v_mul_f32_e32 v174, v6, v191
	s_waitcnt vmcnt(38)
	v_mul_f32_e32 v152, v9, v193
	v_mul_f32_e32 v175, v8, v193
	v_add_f32_e32 v2, v2, v204
	s_waitcnt vmcnt(37) lgkmcnt(1)
	v_mul_f32_e32 v176, v138, v198
	v_fma_f32 v177, v6, v182, -v146
	v_add_f32_e32 v6, v3, v194
	v_fmac_f32_e32 v174, v7, v182
	v_add_f32_e32 v7, v2, v202
	v_mul_f32_e32 v153, v139, v198
	s_waitcnt vmcnt(34)
	v_fmac_f32_e32 v176, v139, v171
	v_add_f32_e32 v139, v6, v151
	s_waitcnt vmcnt(32)
	v_mul_f32_e32 v180, v140, v159
	v_fma_f32 v179, v8, v192, -v152
	v_fma_f32 v171, v138, v171, -v153
	v_add_f32_e32 v138, v7, v150
	v_add_f32_e32 v139, v139, v155
	v_mul_f32_e32 v155, v141, v159
	s_waitcnt vmcnt(31) lgkmcnt(0)
	v_mul_f32_e32 v159, v142, v170
	ds_read_b128 v[2:5], v1 offset:880
	ds_read_b128 v[146:149], v1 offset:896
	v_add_f32_e32 v138, v138, v154
	v_add_f32_e32 v11, v139, v11
	v_mul_f32_e32 v139, v143, v170
	s_waitcnt vmcnt(30)
	v_mul_f32_e32 v170, v145, v199
	v_fmac_f32_e32 v159, v143, v10
	v_fmac_f32_e32 v175, v9, v192
	v_add_f32_e32 v11, v11, v12
	v_fma_f32 v10, v142, v10, -v139
	v_add_f32_e32 v142, v138, v156
	s_waitcnt vmcnt(26)
	v_fma_f32 v12, v144, v200, -v170
	v_fmac_f32_e32 v180, v141, v164
	v_add_f32_e32 v11, v11, v177
	v_fma_f32 v164, v140, v164, -v155
	v_add_f32_e32 v170, v142, v172
	v_mul_f32_e32 v181, v144, v199
	ds_read_b128 v[6:9], v1 offset:912
	ds_read_b128 v[150:153], v1 offset:928
	v_add_f32_e32 v11, v11, v179
	ds_read_b128 v[138:141], v1 offset:944
	ds_read_b128 v[154:157], v1 offset:960
	v_add_f32_e32 v170, v170, v174
	v_fmac_f32_e32 v181, v145, v200
	ds_read_b128 v[142:145], v1 offset:976
	v_add_f32_e32 v11, v11, v171
	s_waitcnt vmcnt(25) lgkmcnt(6)
	v_mul_f32_e32 v1, v2, v163
	v_add_f32_e32 v170, v170, v175
	v_mul_f32_e32 v163, v3, v163
	s_waitcnt vmcnt(24)
	v_mul_f32_e32 v172, v4, v168
	v_add_f32_e32 v11, v11, v164
	v_mul_f32_e32 v168, v5, v168
	v_add_f32_e32 v170, v170, v176
	v_fma_f32 v2, v2, v186, -v163
	v_fmac_f32_e32 v1, v3, v186
	v_add_f32_e32 v10, v11, v10
	v_fma_f32 v4, v4, v169, -v168
	v_add_f32_e32 v170, v170, v180
	s_waitcnt vmcnt(23) lgkmcnt(5)
	v_mul_f32_e32 v174, v146, v166
	v_fmac_f32_e32 v172, v5, v169
	v_add_f32_e32 v10, v10, v12
	s_waitcnt vmcnt(22)
	v_mul_f32_e32 v5, v149, v201
	v_add_f32_e32 v159, v170, v159
	v_mul_f32_e32 v175, v148, v201
	v_fmac_f32_e32 v174, v147, v161
	v_add_f32_e32 v2, v10, v2
	s_waitcnt vmcnt(8)
	v_fma_f32 v5, v148, v214, -v5
	v_add_f32_e32 v12, v159, v181
	v_mul_f32_e32 v159, v147, v166
	s_waitcnt lgkmcnt(4)
	v_mul_f32_e32 v177, v6, v205
	v_add_f32_e32 v2, v2, v4
	v_mul_f32_e32 v4, v7, v205
	v_add_f32_e32 v1, v12, v1
	v_fma_f32 v10, v146, v161, -v159
	v_fmac_f32_e32 v175, v149, v214
	v_mul_f32_e32 v171, v8, v167
	v_fma_f32 v4, v6, v213, -v4
	v_add_f32_e32 v1, v1, v172
	v_add_f32_e32 v2, v2, v10
	v_mul_f32_e32 v10, v9, v167
	v_fmac_f32_e32 v177, v7, v213
	s_waitcnt lgkmcnt(3)
	v_mul_f32_e32 v176, v150, v206
	v_add_f32_e32 v1, v1, v174
	v_add_f32_e32 v2, v2, v5
	v_mul_f32_e32 v5, v151, v206
	v_fma_f32 v6, v8, v212, -v10
	v_fmac_f32_e32 v171, v9, v212
	v_add_f32_e32 v1, v1, v175
	v_add_f32_e32 v2, v2, v4
	v_mul_f32_e32 v4, v153, v207
	v_fma_f32 v5, v150, v162, -v5
	v_mul_f32_e32 v179, v152, v207
	v_add_f32_e32 v1, v1, v177
	v_add_f32_e32 v2, v2, v6
	v_fmac_f32_e32 v176, v151, v162
	s_waitcnt lgkmcnt(2)
	v_mul_f32_e32 v6, v139, v208
	s_waitcnt vmcnt(4)
	v_fma_f32 v4, v152, v217, -v4
	v_add_f32_e32 v1, v1, v171
	v_add_f32_e32 v2, v2, v5
	v_mul_f32_e32 v164, v138, v208
	v_fmac_f32_e32 v179, v153, v217
	v_mul_f32_e32 v5, v141, v209
	v_add_f32_e32 v1, v1, v176
	v_fma_f32 v6, v138, v216, -v6
	v_add_f32_e32 v2, v2, v4
	v_mul_f32_e32 v180, v140, v209
	v_fmac_f32_e32 v164, v139, v216
	v_add_f32_e32 v1, v1, v179
	s_waitcnt lgkmcnt(1)
	v_mul_f32_e32 v4, v155, v210
	v_fma_f32 v5, v140, v215, -v5
	v_add_f32_e32 v2, v2, v6
	v_mul_f32_e32 v182, v154, v210
	v_fmac_f32_e32 v180, v141, v215
	v_add_f32_e32 v1, v1, v164
	v_mul_f32_e32 v6, v157, v165
	v_fma_f32 v4, v154, v158, -v4
	v_add_f32_e32 v2, v2, v5
	v_mul_f32_e32 v11, v156, v165
	v_fmac_f32_e32 v182, v155, v158
	v_add_f32_e32 v1, v1, v180
	s_waitcnt lgkmcnt(0)
	v_mul_f32_e32 v5, v143, v211
	s_waitcnt vmcnt(1)
	v_fma_f32 v6, v156, v219, -v6
	v_add_f32_e32 v2, v2, v4
	v_mul_f32_e32 v170, v142, v211
	v_fmac_f32_e32 v11, v157, v219
	v_add_f32_e32 v1, v1, v182
	v_mul_f32_e32 v4, v145, v160
	v_fma_f32 v5, v142, v218, -v5
	v_add_f32_e32 v2, v2, v6
	v_mul_f32_e32 v3, v144, v160
	v_fmac_f32_e32 v170, v143, v218
	v_add_f32_e32 v1, v1, v11
	v_fma_f32 v4, v144, v178, -v4
	v_add_f32_e32 v2, v2, v5
	v_fmac_f32_e32 v3, v145, v178
	v_add_f32_e32 v1, v1, v170
	v_add_f32_e32 v2, v2, v4
	;; [unrolled: 1-line block ×3, first 2 shown]
	s_waitcnt vmcnt(0)
	v_sub_f32_e32 v2, v220, v2
	v_sub_f32_e32 v1, v173, v1
	buffer_store_dword v2, off, s[0:3], 0 offset:24
	buffer_store_dword v1, off, s[0:3], 0 offset:28
	v_cmpx_lt_u32_e32 2, v0
	s_cbranch_execz .LBB61_381
; %bb.380:
	s_clause 0x1
	buffer_load_dword v1, off, s[0:3], 0 offset:16
	buffer_load_dword v2, off, s[0:3], 0 offset:20
	v_mov_b32_e32 v3, 0
	buffer_store_dword v3, off, s[0:3], 0 offset:16
	buffer_store_dword v3, off, s[0:3], 0 offset:20
	s_waitcnt vmcnt(0)
	ds_write_b64 v137, v[1:2]
.LBB61_381:
	s_or_b32 exec_lo, exec_lo, s4
	s_waitcnt lgkmcnt(0)
	s_waitcnt_vscnt null, 0x0
	s_barrier
	buffer_gl0_inv
	s_clause 0x34
	buffer_load_dword v11, off, s[0:3], 0 offset:28
	buffer_load_dword v10, off, s[0:3], 0 offset:36
	;; [unrolled: 1-line block ×53, first 2 shown]
	v_mov_b32_e32 v9, 0
	ds_read2_b64 v[191:194], v9 offset0:65 offset1:66
	ds_read2_b64 v[5:8], v9 offset0:67 offset1:68
	;; [unrolled: 1-line block ×3, first 2 shown]
	s_clause 0x2
	buffer_load_dword v184, off, s[0:3], 0 offset:236
	buffer_load_dword v183, off, s[0:3], 0 offset:244
	;; [unrolled: 1-line block ×3, first 2 shown]
	ds_read2_b64 v[195:198], v9 offset0:71 offset1:72
	s_mov_b32 s4, exec_lo
	s_waitcnt vmcnt(55) lgkmcnt(3)
	v_mul_f32_e32 v199, v191, v11
	v_mul_f32_e32 v11, v192, v11
	s_waitcnt vmcnt(54)
	v_mul_f32_e32 v200, v193, v10
	v_mul_f32_e32 v10, v194, v10
	s_waitcnt vmcnt(51)
	v_fmac_f32_e32 v199, v192, v141
	v_fma_f32 v11, v191, v141, -v11
	v_fmac_f32_e32 v200, v194, v138
	v_fma_f32 v10, v193, v138, -v10
	ds_read2_b64 v[191:194], v9 offset0:73 offset1:74
	s_waitcnt vmcnt(50) lgkmcnt(3)
	v_mul_f32_e32 v201, v5, v140
	v_mul_f32_e32 v140, v6, v140
	s_waitcnt vmcnt(49)
	v_mul_f32_e32 v202, v7, v139
	v_mul_f32_e32 v138, v8, v139
	s_waitcnt vmcnt(48) lgkmcnt(2)
	v_mul_f32_e32 v203, v1, v142
	v_fmac_f32_e32 v201, v6, v12
	v_fma_f32 v12, v5, v12, -v140
	v_mul_f32_e32 v139, v2, v142
	s_waitcnt vmcnt(44)
	v_fmac_f32_e32 v202, v8, v150
	v_fma_f32 v150, v7, v150, -v138
	ds_read2_b64 v[5:8], v9 offset0:75 offset1:76
	s_waitcnt vmcnt(43)
	v_mul_f32_e32 v204, v3, v149
	v_mul_f32_e32 v138, v4, v149
	v_fmac_f32_e32 v203, v2, v147
	v_fma_f32 v147, v1, v147, -v139
	s_waitcnt vmcnt(42) lgkmcnt(2)
	v_mul_f32_e32 v149, v195, v148
	v_mul_f32_e32 v139, v196, v148
	v_fmac_f32_e32 v204, v4, v145
	v_fma_f32 v148, v3, v145, -v138
	ds_read2_b64 v[1:4], v9 offset0:77 offset1:78
	s_waitcnt vmcnt(41)
	v_mul_f32_e32 v205, v197, v146
	v_mul_f32_e32 v138, v198, v146
	v_fmac_f32_e32 v149, v196, v143
	v_fma_f32 v146, v195, v143, -v139
	s_waitcnt vmcnt(40) lgkmcnt(2)
	v_mul_f32_e32 v195, v191, v144
	v_mul_f32_e32 v142, v192, v144
	s_waitcnt vmcnt(36)
	v_fmac_f32_e32 v205, v198, v179
	v_fma_f32 v179, v197, v179, -v138
	ds_read2_b64 v[138:141], v9 offset0:79 offset1:80
	s_waitcnt vmcnt(35)
	v_mul_f32_e32 v196, v193, v178
	v_mul_f32_e32 v143, v194, v178
	v_fmac_f32_e32 v195, v192, v172
	v_fma_f32 v172, v191, v172, -v142
	s_waitcnt vmcnt(34) lgkmcnt(2)
	v_mul_f32_e32 v178, v5, v173
	v_fmac_f32_e32 v196, v194, v164
	v_fma_f32 v164, v193, v164, -v143
	ds_read2_b64 v[142:145], v9 offset0:81 offset1:82
	v_mul_f32_e32 v173, v6, v173
	s_waitcnt vmcnt(33)
	v_mul_f32_e32 v191, v7, v167
	v_mul_f32_e32 v167, v8, v167
	v_fmac_f32_e32 v178, v6, v156
	v_fma_f32 v156, v5, v156, -v173
	s_waitcnt vmcnt(32) lgkmcnt(2)
	v_mul_f32_e32 v173, v1, v175
	v_mul_f32_e32 v175, v2, v175
	s_waitcnt vmcnt(28)
	v_fmac_f32_e32 v191, v8, v181
	v_fma_f32 v167, v7, v181, -v167
	s_waitcnt vmcnt(27)
	v_mul_f32_e32 v181, v3, v180
	v_mul_f32_e32 v180, v4, v180
	ds_read2_b64 v[5:8], v9 offset0:83 offset1:84
	v_fmac_f32_e32 v173, v2, v174
	v_fma_f32 v174, v1, v174, -v175
	s_waitcnt vmcnt(26) lgkmcnt(2)
	v_mul_f32_e32 v175, v138, v176
	v_mul_f32_e32 v176, v139, v176
	v_fmac_f32_e32 v181, v4, v168
	v_fma_f32 v168, v3, v168, -v180
	s_waitcnt vmcnt(25)
	v_mul_f32_e32 v180, v140, v171
	v_mul_f32_e32 v171, v141, v171
	ds_read2_b64 v[1:4], v9 offset0:85 offset1:86
	v_fmac_f32_e32 v175, v139, v160
	v_fma_f32 v160, v138, v160, -v176
	s_waitcnt vmcnt(24) lgkmcnt(2)
	v_mul_f32_e32 v176, v142, v169
	v_mul_f32_e32 v138, v143, v169
	s_waitcnt vmcnt(20)
	v_fmac_f32_e32 v180, v141, v177
	v_fma_f32 v169, v140, v177, -v171
	s_clause 0x3
	buffer_load_dword v171, off, s[0:3], 0 offset:264
	buffer_load_dword v177, off, s[0:3], 0 offset:256
	;; [unrolled: 1-line block ×4, first 2 shown]
	v_fmac_f32_e32 v176, v143, v163
	v_fma_f32 v142, v142, v163, -v138
	s_waitcnt vmcnt(23)
	v_mul_f32_e32 v194, v144, v170
	s_waitcnt vmcnt(22) lgkmcnt(1)
	v_mul_f32_e32 v143, v5, v165
	v_mul_f32_e32 v163, v6, v165
	;; [unrolled: 1-line block ×3, first 2 shown]
	buffer_load_dword v170, off, s[0:3], 0 offset:276
	v_fmac_f32_e32 v194, v145, v157
	v_fmac_f32_e32 v143, v6, v152
	v_fma_f32 v152, v5, v152, -v163
	v_fma_f32 v144, v144, v157, -v139
	ds_read2_b64 v[138:141], v9 offset0:87 offset1:88
	s_waitcnt vmcnt(16) lgkmcnt(1)
	v_mul_f32_e32 v163, v3, v162
	v_mul_f32_e32 v162, v4, v162
	;; [unrolled: 1-line block ×6, first 2 shown]
	buffer_load_dword v159, off, s[0:3], 0 offset:252
	v_fmac_f32_e32 v163, v4, v153
	v_fma_f32 v153, v3, v153, -v162
	buffer_load_dword v162, off, s[0:3], 0 offset:260
	v_fmac_f32_e32 v145, v8, v166
	v_fma_f32 v157, v7, v166, -v157
	v_fmac_f32_e32 v161, v2, v158
	v_fma_f32 v158, v1, v158, -v5
	ds_read2_b64 v[5:8], v9 offset0:89 offset1:90
	s_waitcnt vmcnt(17) lgkmcnt(1)
	v_mul_f32_e32 v165, v138, v155
	v_mul_f32_e32 v1, v139, v155
	s_waitcnt vmcnt(16)
	v_mul_f32_e32 v155, v140, v154
	v_mul_f32_e32 v2, v141, v154
	buffer_load_dword v154, off, s[0:3], 0 offset:268
	v_fmac_f32_e32 v165, v139, v151
	v_fma_f32 v138, v138, v151, -v1
	s_waitcnt vmcnt(13)
	v_fmac_f32_e32 v155, v141, v189
	v_fma_f32 v139, v140, v189, -v2
	ds_read2_b64 v[1:4], v9 offset0:91 offset1:92
	s_waitcnt vmcnt(12) lgkmcnt(1)
	v_mul_f32_e32 v140, v5, v188
	v_mul_f32_e32 v141, v6, v188
	s_waitcnt vmcnt(11)
	v_mul_f32_e32 v151, v7, v187
	v_mul_f32_e32 v166, v8, v187
	v_fmac_f32_e32 v140, v6, v186
	v_fma_f32 v141, v5, v186, -v141
	v_fmac_f32_e32 v151, v8, v185
	v_fma_f32 v166, v7, v185, -v166
	s_clause 0x5
	buffer_load_dword v185, off, s[0:3], 0 offset:296
	buffer_load_dword v186, off, s[0:3], 0 offset:288
	;; [unrolled: 1-line block ×6, first 2 shown]
	v_add_f32_e32 v5, 0, v11
	v_add_f32_e32 v6, 0, v199
	buffer_load_dword v11, off, s[0:3], 0 offset:308
	s_waitcnt vmcnt(17) lgkmcnt(0)
	v_mul_f32_e32 v7, v2, v184
	v_add_f32_e32 v5, v5, v10
	buffer_load_dword v10, off, s[0:3], 0 offset:300
	v_add_f32_e32 v6, v6, v200
	s_waitcnt vmcnt(17)
	v_mul_f32_e32 v8, v4, v183
	v_add_f32_e32 v5, v5, v12
	v_mul_f32_e32 v12, v1, v184
	v_add_f32_e32 v6, v6, v201
	;; [unrolled: 2-line block ×3, first 2 shown]
	v_fmac_f32_e32 v12, v2, v182
	v_fma_f32 v150, v1, v182, -v7
	v_add_f32_e32 v6, v6, v202
	v_add_f32_e32 v5, v5, v147
	s_clause 0x3
	buffer_load_dword v147, off, s[0:3], 0 offset:328
	buffer_load_dword v182, off, s[0:3], 0 offset:320
	;; [unrolled: 1-line block ×4, first 2 shown]
	v_add_f32_e32 v6, v6, v203
	v_add_f32_e32 v5, v5, v148
	buffer_load_dword v148, off, s[0:3], 0 offset:316
	v_add_f32_e32 v6, v6, v204
	v_add_f32_e32 v5, v5, v146
	;; [unrolled: 1-line block ×8, first 2 shown]
	s_waitcnt vmcnt(17)
	v_fmac_f32_e32 v184, v4, v193
	v_fma_f32 v193, v3, v193, -v8
	ds_read2_b64 v[1:4], v9 offset0:93 offset1:94
	s_clause 0x2
	buffer_load_dword v149, off, s[0:3], 0 offset:324
	buffer_load_dword v179, off, s[0:3], 0 offset:332
	;; [unrolled: 1-line block ×3, first 2 shown]
	ds_read2_b64 v[5:8], v9 offset0:95 offset1:96
	buffer_load_dword v164, off, s[0:3], 0 offset:348
	s_waitcnt vmcnt(19) lgkmcnt(1)
	v_mul_f32_e32 v172, v1, v159
	v_mul_f32_e32 v159, v2, v159
	s_waitcnt vmcnt(18)
	v_mul_f32_e32 v200, v3, v162
	v_mul_f32_e32 v162, v4, v162
	v_fmac_f32_e32 v172, v2, v192
	v_fma_f32 v159, v1, v192, -v159
	v_add_f32_e32 v1, v195, v196
	v_fmac_f32_e32 v200, v4, v177
	v_fma_f32 v162, v3, v177, -v162
	v_add_f32_e32 v2, v146, v156
	s_clause 0x3
	buffer_load_dword v156, off, s[0:3], 0 offset:360
	buffer_load_dword v177, off, s[0:3], 0 offset:352
	;; [unrolled: 1-line block ×4, first 2 shown]
	v_add_f32_e32 v1, v1, v178
	v_add_f32_e32 v146, v2, v167
	s_clause 0x2
	buffer_load_dword v167, off, s[0:3], 0 offset:356
	buffer_load_dword v178, off, s[0:3], 0 offset:364
	;; [unrolled: 1-line block ×3, first 2 shown]
	v_add_f32_e32 v191, v1, v191
	ds_read2_b64 v[1:4], v9 offset0:97 offset1:98
	v_add_f32_e32 v146, v146, v174
	s_waitcnt vmcnt(24) lgkmcnt(1)
	v_mul_f32_e32 v174, v5, v154
	v_mul_f32_e32 v154, v6, v154
	v_add_f32_e32 v173, v191, v173
	v_mul_f32_e32 v191, v7, v170
	v_mul_f32_e32 v170, v8, v170
	v_fmac_f32_e32 v174, v6, v171
	v_add_f32_e32 v6, v146, v168
	v_fma_f32 v146, v5, v171, -v154
	v_add_f32_e32 v5, v173, v181
	v_add_f32_e32 v160, v6, v160
	s_waitcnt vmcnt(20)
	v_fmac_f32_e32 v191, v8, v188
	v_add_f32_e32 v175, v5, v175
	v_fma_f32 v154, v7, v188, -v170
	s_clause 0x4
	buffer_load_dword v168, off, s[0:3], 0 offset:392
	buffer_load_dword v170, off, s[0:3], 0 offset:384
	;; [unrolled: 1-line block ×5, first 2 shown]
	v_add_f32_e32 v160, v160, v169
	s_waitcnt vmcnt(24) lgkmcnt(0)
	v_mul_f32_e32 v169, v2, v189
	v_add_f32_e32 v175, v175, v180
	v_mul_f32_e32 v188, v1, v189
	ds_read2_b64 v[5:8], v9 offset0:99 offset1:100
	v_add_f32_e32 v142, v160, v142
	v_fma_f32 v169, v1, v187, -v169
	v_add_f32_e32 v1, v175, v176
	v_fmac_f32_e32 v188, v2, v187
	s_clause 0x1
	buffer_load_dword v180, off, s[0:3], 0 offset:388
	buffer_load_dword v189, off, s[0:3], 0 offset:396
	v_add_f32_e32 v2, v142, v144
	buffer_load_dword v160, off, s[0:3], 0 offset:404
	v_add_f32_e32 v1, v1, v194
	s_waitcnt vmcnt(26)
	v_mul_f32_e32 v187, v3, v197
	v_mul_f32_e32 v142, v4, v197
	v_add_f32_e32 v2, v2, v152
	s_clause 0x1
	buffer_load_dword v175, off, s[0:3], 0 offset:412
	buffer_load_dword v176, off, s[0:3], 0 offset:420
	v_add_f32_e32 v1, v1, v143
	buffer_load_dword v194, off, s[0:3], 0 offset:428
	v_fmac_f32_e32 v187, v4, v186
	v_add_f32_e32 v2, v2, v157
	v_fma_f32 v152, v3, v186, -v142
	v_add_f32_e32 v1, v1, v145
	s_clause 0x4
	buffer_load_dword v186, off, s[0:3], 0 offset:436
	buffer_load_dword v197, off, s[0:3], 0 offset:444
	;; [unrolled: 1-line block ×5, first 2 shown]
	v_add_f32_e32 v2, v2, v158
	s_clause 0x2
	buffer_load_dword v158, off, s[0:3], 0 offset:476
	buffer_load_dword v204, off, s[0:3], 0 offset:484
	;; [unrolled: 1-line block ×3, first 2 shown]
	v_add_f32_e32 v1, v1, v161
	s_clause 0x3
	buffer_load_dword v161, off, s[0:3], 0 offset:424
	buffer_load_dword v206, off, s[0:3], 0 offset:416
	;; [unrolled: 1-line block ×4, first 2 shown]
	s_waitcnt vmcnt(39) lgkmcnt(0)
	v_mul_f32_e32 v3, v6, v10
	v_add_f32_e32 v2, v2, v153
	v_add_f32_e32 v1, v1, v163
	;; [unrolled: 1-line block ×4, first 2 shown]
	s_clause 0x3
	buffer_load_dword v163, off, s[0:3], 0 offset:456
	buffer_load_dword v165, off, s[0:3], 0 offset:448
	;; [unrolled: 1-line block ×4, first 2 shown]
	v_add_f32_e32 v2, v2, v139
	v_add_f32_e32 v1, v1, v155
	;; [unrolled: 1-line block ×5, first 2 shown]
	s_clause 0x4
	buffer_load_dword v166, off, s[0:3], 0 offset:488
	buffer_load_dword v211, off, s[0:3], 0 offset:480
	;; [unrolled: 1-line block ×5, first 2 shown]
	v_add_f32_e32 v1, v1, v151
	v_mul_f32_e32 v151, v7, v11
	v_add_f32_e32 v2, v2, v150
	v_mul_f32_e32 v150, v5, v10
	v_fma_f32 v10, v5, v185, -v3
	v_add_f32_e32 v1, v1, v12
	s_waitcnt vmcnt(44)
	v_fmac_f32_e32 v151, v8, v198
	v_add_f32_e32 v5, v2, v193
	v_fmac_f32_e32 v150, v6, v185
	v_add_f32_e32 v6, v1, v184
	ds_read2_b64 v[1:4], v9 offset0:101 offset1:102
	v_add_f32_e32 v12, v5, v159
	v_mul_f32_e32 v5, v8, v11
	v_add_f32_e32 v138, v6, v172
	v_add_f32_e32 v12, v12, v162
	v_fma_f32 v11, v7, v198, -v5
	ds_read2_b64 v[5:8], v9 offset0:103 offset1:104
	v_add_f32_e32 v142, v138, v200
	ds_read2_b64 v[138:141], v9 offset0:105 offset1:106
	v_add_f32_e32 v12, v12, v146
	v_add_f32_e32 v142, v142, v174
	;; [unrolled: 1-line block ×3, first 2 shown]
	s_waitcnt vmcnt(43) lgkmcnt(2)
	v_mul_f32_e32 v143, v2, v148
	v_mul_f32_e32 v155, v1, v148
	v_fma_f32 v154, v1, v183, -v143
	v_add_f32_e32 v1, v142, v191
	v_fmac_f32_e32 v155, v2, v183
	v_add_f32_e32 v2, v12, v169
	ds_read2_b64 v[142:145], v9 offset0:107 offset1:108
	v_add_f32_e32 v1, v1, v188
	v_add_f32_e32 v2, v2, v152
	v_add_f32_e32 v1, v1, v187
	s_waitcnt vmcnt(42)
	v_mul_f32_e32 v146, v4, v149
	s_waitcnt vmcnt(41) lgkmcnt(2)
	v_mul_f32_e32 v148, v6, v179
	v_mul_f32_e32 v159, v5, v179
	;; [unrolled: 1-line block ×3, first 2 shown]
	s_waitcnt vmcnt(40)
	v_mul_f32_e32 v152, v8, v199
	v_fma_f32 v157, v3, v182, -v146
	v_fma_f32 v172, v5, v147, -v148
	v_add_f32_e32 v5, v2, v10
	v_fmac_f32_e32 v159, v6, v147
	v_add_f32_e32 v6, v1, v150
	s_waitcnt vmcnt(39) lgkmcnt(1)
	v_mul_f32_e32 v10, v139, v164
	v_fmac_f32_e32 v12, v4, v182
	v_add_f32_e32 v11, v5, v11
	v_mul_f32_e32 v162, v7, v199
	v_mul_f32_e32 v169, v138, v164
	ds_read2_b64 v[1:4], v9 offset0:109 offset1:110
	ds_read2_b64 v[146:149], v9 offset0:111 offset1:112
	v_add_f32_e32 v11, v11, v154
	v_add_f32_e32 v11, v11, v157
	s_waitcnt vmcnt(36)
	v_fma_f32 v174, v138, v192, -v10
	v_add_f32_e32 v10, v6, v151
	s_waitcnt vmcnt(35)
	v_fma_f32 v164, v7, v195, -v152
	v_fmac_f32_e32 v162, v8, v195
	s_waitcnt vmcnt(34)
	v_mul_f32_e32 v179, v140, v167
	v_mul_f32_e32 v138, v141, v167
	v_add_f32_e32 v10, v10, v155
	v_fmac_f32_e32 v169, v139, v192
	s_waitcnt vmcnt(33) lgkmcnt(2)
	v_mul_f32_e32 v139, v143, v178
	v_fmac_f32_e32 v179, v141, v177
	v_fma_f32 v177, v140, v177, -v138
	v_add_f32_e32 v10, v10, v12
	v_add_f32_e32 v12, v11, v172
	v_mul_f32_e32 v167, v142, v178
	s_waitcnt vmcnt(32)
	v_mul_f32_e32 v182, v144, v196
	v_mul_f32_e32 v178, v145, v196
	v_add_f32_e32 v159, v10, v159
	v_add_f32_e32 v12, v12, v164
	v_fma_f32 v183, v142, v156, -v139
	v_fmac_f32_e32 v167, v143, v156
	ds_read2_b64 v[5:8], v9 offset0:113 offset1:114
	ds_read2_b64 v[150:153], v9 offset0:115 offset1:116
	v_add_f32_e32 v159, v159, v162
	v_add_f32_e32 v12, v12, v174
	ds_read2_b64 v[138:141], v9 offset0:117 offset1:118
	ds_read2_b64 v[154:157], v9 offset0:119 offset1:120
	s_waitcnt vmcnt(28)
	v_fmac_f32_e32 v182, v145, v173
	v_add_f32_e32 v159, v159, v169
	v_add_f32_e32 v12, v12, v177
	v_fma_f32 v172, v144, v173, -v178
	s_waitcnt vmcnt(27) lgkmcnt(5)
	v_mul_f32_e32 v173, v2, v181
	v_mul_f32_e32 v164, v1, v181
	v_add_f32_e32 v159, v159, v179
	v_add_f32_e32 v12, v12, v183
	ds_read2_b64 v[142:145], v9 offset0:121 offset1:122
	ds_read_b64 v[10:11], v9 offset:984
	v_fma_f32 v1, v1, v171, -v173
	s_waitcnt vmcnt(26)
	v_mul_f32_e32 v178, v4, v180
	v_add_f32_e32 v159, v159, v167
	v_add_f32_e32 v12, v12, v172
	v_mul_f32_e32 v162, v3, v180
	v_fmac_f32_e32 v164, v2, v171
	s_waitcnt vmcnt(25) lgkmcnt(6)
	v_mul_f32_e32 v177, v147, v189
	v_add_f32_e32 v159, v159, v182
	v_fma_f32 v3, v3, v170, -v178
	v_add_f32_e32 v1, v12, v1
	v_mul_f32_e32 v174, v146, v189
	v_fmac_f32_e32 v162, v4, v170
	v_add_f32_e32 v12, v159, v164
	s_waitcnt vmcnt(24)
	v_mul_f32_e32 v169, v148, v160
	v_mul_f32_e32 v160, v149, v160
	v_fma_f32 v146, v146, v168, -v177
	v_add_f32_e32 v1, v1, v3
	v_fmac_f32_e32 v174, v147, v168
	v_add_f32_e32 v3, v12, v162
	s_waitcnt vmcnt(23) lgkmcnt(5)
	v_mul_f32_e32 v12, v6, v175
	v_mul_f32_e32 v2, v5, v175
	s_waitcnt vmcnt(9)
	v_fma_f32 v147, v148, v208, -v160
	v_add_f32_e32 v1, v1, v146
	v_fmac_f32_e32 v169, v149, v208
	v_add_f32_e32 v3, v3, v174
	v_mul_f32_e32 v146, v8, v176
	v_fma_f32 v5, v5, v207, -v12
	v_add_f32_e32 v1, v1, v147
	v_mul_f32_e32 v171, v7, v176
	v_fmac_f32_e32 v2, v6, v207
	v_add_f32_e32 v3, v3, v169
	s_waitcnt lgkmcnt(4)
	v_mul_f32_e32 v6, v151, v194
	v_fma_f32 v7, v7, v206, -v146
	v_add_f32_e32 v1, v1, v5
	v_mul_f32_e32 v173, v150, v194
	v_fmac_f32_e32 v171, v8, v206
	v_add_f32_e32 v2, v3, v2
	v_mul_f32_e32 v3, v153, v186
	v_fma_f32 v5, v150, v161, -v6
	v_add_f32_e32 v1, v1, v7
	v_mul_f32_e32 v4, v152, v186
	v_fmac_f32_e32 v173, v151, v161
	v_add_f32_e32 v2, v2, v171
	s_waitcnt lgkmcnt(3)
	v_mul_f32_e32 v6, v139, v197
	s_waitcnt vmcnt(5)
	v_fma_f32 v3, v152, v210, -v3
	v_add_f32_e32 v1, v1, v5
	v_mul_f32_e32 v170, v138, v197
	v_fmac_f32_e32 v4, v153, v210
	v_add_f32_e32 v2, v2, v173
	v_mul_f32_e32 v5, v141, v201
	v_fma_f32 v6, v138, v209, -v6
	v_add_f32_e32 v1, v1, v3
	v_mul_f32_e32 v167, v140, v201
	v_fmac_f32_e32 v170, v139, v209
	v_add_f32_e32 v2, v2, v4
	s_waitcnt lgkmcnt(2)
	v_mul_f32_e32 v3, v155, v202
	v_fma_f32 v4, v140, v165, -v5
	v_add_f32_e32 v1, v1, v6
	v_mul_f32_e32 v178, v154, v202
	v_fmac_f32_e32 v167, v141, v165
	v_add_f32_e32 v2, v2, v170
	v_mul_f32_e32 v5, v157, v203
	v_fma_f32 v3, v154, v163, -v3
	v_add_f32_e32 v1, v1, v4
	v_mul_f32_e32 v179, v156, v203
	v_fmac_f32_e32 v178, v155, v163
	v_add_f32_e32 v2, v2, v167
	s_waitcnt lgkmcnt(1)
	v_mul_f32_e32 v4, v143, v158
	s_waitcnt vmcnt(1)
	v_fma_f32 v5, v156, v213, -v5
	v_add_f32_e32 v1, v1, v3
	v_mul_f32_e32 v172, v142, v158
	v_fmac_f32_e32 v179, v157, v213
	v_add_f32_e32 v2, v2, v178
	v_mul_f32_e32 v3, v145, v204
	v_fma_f32 v4, v142, v212, -v4
	v_add_f32_e32 v1, v1, v5
	v_mul_f32_e32 v180, v144, v204
	v_fmac_f32_e32 v172, v143, v212
	v_add_f32_e32 v2, v2, v179
	s_waitcnt lgkmcnt(0)
	v_mul_f32_e32 v5, v11, v205
	v_fma_f32 v3, v144, v211, -v3
	v_add_f32_e32 v1, v1, v4
	v_mul_f32_e32 v159, v10, v205
	v_fmac_f32_e32 v180, v145, v211
	v_add_f32_e32 v2, v2, v172
	v_fma_f32 v4, v10, v166, -v5
	v_add_f32_e32 v1, v1, v3
	v_fmac_f32_e32 v159, v11, v166
	v_add_f32_e32 v2, v2, v180
	v_add_f32_e32 v1, v1, v4
	v_add_f32_e32 v2, v2, v159
	s_waitcnt vmcnt(0)
	v_sub_f32_e32 v1, v214, v1
	v_sub_f32_e32 v2, v190, v2
	buffer_store_dword v1, off, s[0:3], 0 offset:16
	buffer_store_dword v2, off, s[0:3], 0 offset:20
	v_cmpx_lt_u32_e32 1, v0
	s_cbranch_execz .LBB61_383
; %bb.382:
	s_clause 0x1
	buffer_load_dword v1, off, s[0:3], 0 offset:8
	buffer_load_dword v2, off, s[0:3], 0 offset:12
	buffer_store_dword v9, off, s[0:3], 0 offset:8
	buffer_store_dword v9, off, s[0:3], 0 offset:12
	s_waitcnt vmcnt(0)
	ds_write_b64 v137, v[1:2]
.LBB61_383:
	s_or_b32 exec_lo, exec_lo, s4
	s_waitcnt lgkmcnt(0)
	s_waitcnt_vscnt null, 0x0
	s_barrier
	buffer_gl0_inv
	s_clause 0x3c
	buffer_load_dword v172, off, s[0:3], 0 offset:20
	buffer_load_dword v173, off, s[0:3], 0 offset:28
	;; [unrolled: 1-line block ×61, first 2 shown]
	ds_read_b128 v[189:192], v9 offset:512
	ds_read_b128 v[193:196], v9 offset:528
	s_mov_b32 s4, exec_lo
	s_waitcnt vmcnt(60) lgkmcnt(1)
	v_mul_f32_e32 v183, v189, v172
	v_mul_f32_e32 v197, v190, v172
	s_waitcnt vmcnt(59)
	v_mul_f32_e32 v172, v191, v173
	v_mul_f32_e32 v198, v192, v173
	buffer_load_dword v173, off, s[0:3], 0 offset:12
	s_waitcnt vmcnt(57)
	v_fmac_f32_e32 v183, v190, v5
	v_fma_f32 v197, v189, v5, -v197
	v_fmac_f32_e32 v172, v192, v4
	v_fma_f32 v198, v191, v4, -v198
	ds_read_b128 v[189:192], v9 offset:544
	s_waitcnt vmcnt(56) lgkmcnt(1)
	v_mul_f32_e32 v199, v193, v3
	v_mul_f32_e32 v3, v194, v3
	s_waitcnt vmcnt(55)
	v_mul_f32_e32 v200, v195, v2
	v_mul_f32_e32 v2, v196, v2
	v_fmac_f32_e32 v199, v194, v1
	v_fma_f32 v193, v193, v1, -v3
	s_waitcnt vmcnt(51)
	v_fmac_f32_e32 v200, v196, v139
	v_fma_f32 v139, v195, v139, -v2
	ds_read_b128 v[1:4], v9 offset:560
	s_waitcnt vmcnt(50) lgkmcnt(1)
	v_mul_f32_e32 v194, v189, v138
	v_mul_f32_e32 v5, v190, v138
	s_waitcnt vmcnt(49)
	v_mul_f32_e32 v138, v191, v12
	v_mul_f32_e32 v12, v192, v12
	v_fmac_f32_e32 v194, v190, v11
	v_fma_f32 v11, v189, v11, -v5
	v_fmac_f32_e32 v138, v192, v7
	v_fma_f32 v12, v191, v7, -v12
	ds_read_b128 v[189:192], v9 offset:576
	s_waitcnt vmcnt(48) lgkmcnt(1)
	v_mul_f32_e32 v195, v1, v10
	v_mul_f32_e32 v5, v2, v10
	s_waitcnt vmcnt(47)
	v_mul_f32_e32 v10, v3, v8
	v_mul_f32_e32 v7, v4, v8
	v_fmac_f32_e32 v195, v2, v6
	v_fma_f32 v196, v1, v6, -v5
	s_waitcnt vmcnt(43)
	v_fmac_f32_e32 v10, v4, v147
	v_fma_f32 v147, v3, v147, -v7
	ds_read_b128 v[1:4], v9 offset:592
	s_waitcnt vmcnt(42) lgkmcnt(1)
	v_mul_f32_e32 v201, v189, v146
	v_mul_f32_e32 v5, v190, v146
	s_waitcnt vmcnt(41)
	v_mul_f32_e32 v146, v191, v145
	v_mul_f32_e32 v6, v192, v145
	v_fmac_f32_e32 v201, v190, v144
	v_fma_f32 v144, v189, v144, -v5
	v_fmac_f32_e32 v146, v192, v141
	v_fma_f32 v141, v191, v141, -v6
	ds_read_b128 v[5:8], v9 offset:608
	s_waitcnt vmcnt(40) lgkmcnt(1)
	v_mul_f32_e32 v145, v1, v143
	v_mul_f32_e32 v143, v2, v143
	s_waitcnt vmcnt(39)
	v_mul_f32_e32 v189, v3, v142
	v_mul_f32_e32 v142, v4, v142
	s_clause 0x1
	buffer_load_dword v190, off, s[0:3], 0 offset:260
	buffer_load_dword v191, off, s[0:3], 0 offset:268
	v_fmac_f32_e32 v145, v2, v140
	v_fma_f32 v140, v1, v140, -v143
	s_waitcnt vmcnt(37)
	v_fmac_f32_e32 v189, v4, v171
	v_fma_f32 v142, v3, v171, -v142
	ds_read_b128 v[1:4], v9 offset:624
	s_waitcnt vmcnt(36) lgkmcnt(1)
	v_mul_f32_e32 v143, v5, v170
	v_mul_f32_e32 v170, v6, v170
	s_waitcnt vmcnt(35)
	v_mul_f32_e32 v171, v7, v169
	v_mul_f32_e32 v169, v8, v169
	v_fmac_f32_e32 v143, v6, v164
	v_fma_f32 v164, v5, v164, -v170
	v_fmac_f32_e32 v171, v8, v159
	v_fma_f32 v159, v7, v159, -v169
	ds_read_b128 v[5:8], v9 offset:640
	s_waitcnt vmcnt(34) lgkmcnt(1)
	v_mul_f32_e32 v169, v1, v163
	v_mul_f32_e32 v163, v2, v163
	s_waitcnt vmcnt(33)
	v_mul_f32_e32 v170, v3, v161
	v_mul_f32_e32 v161, v4, v161
	v_fmac_f32_e32 v169, v2, v150
	v_fma_f32 v150, v1, v150, -v163
	s_waitcnt vmcnt(29)
	v_fmac_f32_e32 v170, v4, v168
	v_fma_f32 v161, v3, v168, -v161
	ds_read_b128 v[1:4], v9 offset:656
	s_waitcnt vmcnt(28) lgkmcnt(1)
	v_mul_f32_e32 v163, v5, v167
	v_mul_f32_e32 v167, v6, v167
	s_waitcnt vmcnt(27)
	v_mul_f32_e32 v168, v7, v166
	v_mul_f32_e32 v166, v8, v166
	v_fmac_f32_e32 v163, v6, v158
	v_fma_f32 v158, v5, v158, -v167
	v_fmac_f32_e32 v168, v8, v155
	v_fma_f32 v155, v7, v155, -v166
	ds_read_b128 v[5:8], v9 offset:672
	s_waitcnt vmcnt(26) lgkmcnt(1)
	v_mul_f32_e32 v166, v1, v157
	v_mul_f32_e32 v157, v2, v157
	s_waitcnt vmcnt(25)
	v_mul_f32_e32 v167, v3, v156
	v_mul_f32_e32 v156, v4, v156
	;; [unrolled: 23-line block ×4, first 2 shown]
	v_fmac_f32_e32 v179, v2, v174
	v_fma_f32 v174, v1, v174, -v177
	s_waitcnt vmcnt(5)
	v_fmac_f32_e32 v180, v4, v188
	v_fma_f32 v176, v3, v188, -v176
	ds_read_b128 v[1:4], v9 offset:752
	s_waitcnt vmcnt(4) lgkmcnt(1)
	v_mul_f32_e32 v177, v5, v187
	v_mul_f32_e32 v187, v6, v187
	s_waitcnt vmcnt(3)
	v_mul_f32_e32 v188, v7, v186
	v_mul_f32_e32 v186, v8, v186
	v_fmac_f32_e32 v177, v6, v185
	v_fma_f32 v185, v5, v185, -v187
	v_fmac_f32_e32 v188, v8, v184
	v_fma_f32 v184, v7, v184, -v186
	s_clause 0x5
	buffer_load_dword v186, off, s[0:3], 0 offset:288
	buffer_load_dword v187, off, s[0:3], 0 offset:280
	;; [unrolled: 1-line block ×6, first 2 shown]
	v_add_f32_e32 v6, 0, v197
	buffer_load_dword v197, off, s[0:3], 0 offset:292
	v_add_f32_e32 v7, 0, v183
	v_add_f32_e32 v6, v6, v198
	;; [unrolled: 1-line block ×3, first 2 shown]
	buffer_load_dword v172, off, s[0:3], 0 offset:300
	v_add_f32_e32 v6, v6, v193
	v_add_f32_e32 v7, v7, v199
	;; [unrolled: 1-line block ×3, first 2 shown]
	s_clause 0x3
	buffer_load_dword v183, off, s[0:3], 0 offset:320
	buffer_load_dword v139, off, s[0:3], 0 offset:312
	;; [unrolled: 1-line block ×4, first 2 shown]
	v_add_f32_e32 v7, v7, v200
	v_add_f32_e32 v6, v6, v11
	buffer_load_dword v11, off, s[0:3], 0 offset:308
	v_add_f32_e32 v7, v7, v194
	buffer_load_dword v194, off, s[0:3], 0 offset:316
	v_add_f32_e32 v6, v6, v12
	v_add_f32_e32 v7, v7, v138
	;; [unrolled: 1-line block ×5, first 2 shown]
	s_clause 0x1
	buffer_load_dword v12, off, s[0:3], 0 offset:324
	buffer_load_dword v147, off, s[0:3], 0 offset:332
	v_add_f32_e32 v7, v7, v10
	v_add_f32_e32 v6, v6, v144
	s_clause 0x3
	buffer_load_dword v10, off, s[0:3], 0 offset:352
	buffer_load_dword v195, off, s[0:3], 0 offset:344
	;; [unrolled: 1-line block ×4, first 2 shown]
	v_add_f32_e32 v7, v7, v201
	s_clause 0x3
	buffer_load_dword v199, off, s[0:3], 0 offset:340
	buffer_load_dword v200, off, s[0:3], 0 offset:348
	;; [unrolled: 1-line block ×4, first 2 shown]
	v_add_f32_e32 v6, v6, v141
	v_add_f32_e32 v7, v7, v146
	;; [unrolled: 1-line block ×6, first 2 shown]
	s_waitcnt vmcnt(25) lgkmcnt(0)
	v_mul_f32_e32 v138, v1, v190
	s_waitcnt vmcnt(24)
	v_mul_f32_e32 v145, v3, v191
	v_mul_f32_e32 v140, v4, v191
	;; [unrolled: 1-line block ×3, first 2 shown]
	v_fmac_f32_e32 v138, v2, v182
	v_fma_f32 v141, v1, v182, -v8
	s_waitcnt vmcnt(20)
	v_fmac_f32_e32 v145, v4, v5
	v_fma_f32 v142, v3, v5, -v140
	v_add_f32_e32 v5, v6, v164
	v_add_f32_e32 v6, v7, v143
	ds_read_b128 v[1:4], v9 offset:768
	s_clause 0x3
	buffer_load_dword v164, off, s[0:3], 0 offset:384
	buffer_load_dword v182, off, s[0:3], 0 offset:376
	;; [unrolled: 1-line block ×4, first 2 shown]
	v_add_f32_e32 v5, v5, v159
	v_add_f32_e32 v6, v6, v171
	;; [unrolled: 1-line block ×4, first 2 shown]
	s_clause 0x2
	buffer_load_dword v159, off, s[0:3], 0 offset:372
	buffer_load_dword v169, off, s[0:3], 0 offset:380
	;; [unrolled: 1-line block ×3, first 2 shown]
	v_add_f32_e32 v143, v5, v161
	v_add_f32_e32 v140, v140, v170
	ds_read_b128 v[5:8], v9 offset:784
	v_add_f32_e32 v143, v143, v158
	v_add_f32_e32 v140, v140, v163
	s_waitcnt vmcnt(26) lgkmcnt(1)
	v_mul_f32_e32 v146, v1, v202
	v_mul_f32_e32 v150, v2, v202
	s_waitcnt vmcnt(25)
	v_mul_f32_e32 v161, v4, v203
	v_mul_f32_e32 v158, v3, v203
	v_fmac_f32_e32 v146, v2, v192
	v_add_f32_e32 v2, v140, v168
	v_fma_f32 v150, v1, v192, -v150
	v_add_f32_e32 v1, v143, v155
	v_fma_f32 v161, v3, v187, -v161
	s_clause 0x3
	buffer_load_dword v155, off, s[0:3], 0 offset:396
	buffer_load_dword v163, off, s[0:3], 0 offset:404
	;; [unrolled: 1-line block ×4, first 2 shown]
	v_add_f32_e32 v2, v2, v166
	v_fmac_f32_e32 v158, v4, v187
	v_add_f32_e32 v1, v1, v149
	s_clause 0x3
	buffer_load_dword v166, off, s[0:3], 0 offset:428
	buffer_load_dword v187, off, s[0:3], 0 offset:436
	buffer_load_dword v191, off, s[0:3], 0 offset:444
	buffer_load_dword v192, off, s[0:3], 0 offset:452
	s_waitcnt vmcnt(32) lgkmcnt(0)
	v_mul_f32_e32 v149, v5, v197
	v_add_f32_e32 v2, v2, v167
	v_mul_f32_e32 v3, v6, v197
	v_add_f32_e32 v1, v1, v156
	s_clause 0x3
	buffer_load_dword v156, off, s[0:3], 0 offset:460
	buffer_load_dword v167, off, s[0:3], 0 offset:468
	;; [unrolled: 1-line block ×4, first 2 shown]
	v_fmac_f32_e32 v149, v6, v186
	v_add_f32_e32 v2, v2, v157
	v_fma_f32 v157, v5, v186, -v3
	v_add_f32_e32 v1, v1, v154
	buffer_load_dword v154, off, s[0:3], 0 offset:492
	v_add_f32_e32 v5, v2, v165
	s_clause 0x3
	buffer_load_dword v165, off, s[0:3], 0 offset:416
	buffer_load_dword v186, off, s[0:3], 0 offset:408
	;; [unrolled: 1-line block ×4, first 2 shown]
	v_add_f32_e32 v1, v1, v151
	v_add_f32_e32 v5, v5, v160
	;; [unrolled: 1-line block ×3, first 2 shown]
	s_waitcnt vmcnt(40)
	v_mul_f32_e32 v1, v8, v172
	v_mul_f32_e32 v148, v7, v172
	v_add_f32_e32 v5, v5, v162
	v_add_f32_e32 v6, v6, v152
	s_waitcnt vmcnt(36)
	v_fma_f32 v151, v7, v198, -v1
	ds_read_b128 v[1:4], v9 offset:800
	v_add_f32_e32 v5, v5, v153
	v_fmac_f32_e32 v148, v8, v198
	v_add_f32_e32 v6, v6, v178
	s_clause 0x3
	buffer_load_dword v160, off, s[0:3], 0 offset:448
	buffer_load_dword v162, off, s[0:3], 0 offset:440
	;; [unrolled: 1-line block ×4, first 2 shown]
	v_add_f32_e32 v143, v5, v181
	v_add_f32_e32 v140, v6, v175
	ds_read_b128 v[5:8], v9 offset:816
	v_add_f32_e32 v143, v143, v179
	v_add_f32_e32 v140, v140, v174
	s_waitcnt vmcnt(39) lgkmcnt(1)
	v_mul_f32_e32 v152, v1, v11
	v_mul_f32_e32 v11, v2, v11
	s_waitcnt vmcnt(38)
	v_mul_f32_e32 v181, v3, v194
	v_fmac_f32_e32 v152, v2, v193
	v_fma_f32 v11, v1, v193, -v11
	v_add_f32_e32 v1, v140, v176
	s_clause 0x3
	buffer_load_dword v174, off, s[0:3], 0 offset:480
	buffer_load_dword v175, off, s[0:3], 0 offset:472
	;; [unrolled: 1-line block ×4, first 2 shown]
	v_add_f32_e32 v2, v143, v180
	buffer_load_dword v180, off, s[0:3], 0 offset:488
	v_mul_f32_e32 v140, v4, v194
	v_add_f32_e32 v1, v1, v185
	v_fmac_f32_e32 v181, v4, v139
	v_add_f32_e32 v2, v2, v177
	buffer_load_dword v177, off, s[0:3], 0 offset:8
	s_waitcnt vmcnt(43) lgkmcnt(0)
	v_mul_f32_e32 v185, v5, v12
	v_add_f32_e32 v1, v1, v184
	v_fma_f32 v184, v3, v139, -v140
	v_add_f32_e32 v143, v2, v188
	s_waitcnt vmcnt(42)
	v_mul_f32_e32 v188, v7, v147
	v_mul_f32_e32 v12, v6, v12
	v_add_f32_e32 v153, v1, v141
	ds_read_b128 v[1:4], v9 offset:832
	v_add_f32_e32 v143, v143, v138
	ds_read_b128 v[138:141], v9 offset:848
	v_fmac_f32_e32 v185, v6, v183
	v_add_f32_e32 v142, v153, v142
	v_fma_f32 v12, v5, v183, -v12
	v_add_f32_e32 v143, v143, v145
	v_mul_f32_e32 v145, v8, v147
	s_waitcnt vmcnt(38)
	v_fmac_f32_e32 v188, v8, v144
	v_add_f32_e32 v147, v142, v150
	v_add_f32_e32 v146, v143, v146
	v_fma_f32 v183, v7, v144, -v145
	ds_read_b128 v[5:8], v9 offset:864
	ds_read_b128 v[142:145], v9 offset:880
	v_add_f32_e32 v147, v147, v161
	v_add_f32_e32 v146, v146, v158
	;; [unrolled: 1-line block ×3, first 2 shown]
	s_waitcnt vmcnt(37) lgkmcnt(3)
	v_mul_f32_e32 v161, v1, v199
	v_mul_f32_e32 v150, v2, v199
	v_add_f32_e32 v146, v146, v149
	s_waitcnt vmcnt(35) lgkmcnt(2)
	v_mul_f32_e32 v157, v138, v201
	v_mul_f32_e32 v193, v139, v201
	v_fmac_f32_e32 v161, v2, v196
	v_fma_f32 v196, v1, v196, -v150
	v_add_f32_e32 v150, v147, v151
	v_add_f32_e32 v151, v146, v148
	v_fmac_f32_e32 v157, v139, v10
	v_fma_f32 v193, v138, v10, -v193
	v_mul_f32_e32 v158, v3, v200
	v_add_f32_e32 v10, v150, v11
	v_add_f32_e32 v11, v151, v152
	v_mul_f32_e32 v153, v4, v200
	s_waitcnt vmcnt(34)
	v_mul_f32_e32 v194, v140, v204
	v_fmac_f32_e32 v158, v4, v195
	v_add_f32_e32 v10, v10, v184
	v_add_f32_e32 v11, v11, v181
	v_fma_f32 v195, v3, v195, -v153
	v_mul_f32_e32 v153, v141, v204
	ds_read_b128 v[1:4], v9 offset:896
	ds_read_b128 v[146:149], v9 offset:912
	s_waitcnt vmcnt(30)
	v_fmac_f32_e32 v194, v141, v190
	v_fma_f32 v190, v140, v190, -v153
	ds_read_b128 v[138:141], v9 offset:928
	ds_read_b128 v[150:153], v9 offset:944
	s_waitcnt vmcnt(29) lgkmcnt(5)
	v_mul_f32_e32 v184, v5, v159
	s_waitcnt vmcnt(28)
	v_mul_f32_e32 v181, v7, v169
	v_mul_f32_e32 v159, v6, v159
	;; [unrolled: 1-line block ×3, first 2 shown]
	v_fmac_f32_e32 v184, v6, v189
	v_add_f32_e32 v6, v10, v12
	v_add_f32_e32 v10, v11, v185
	v_fmac_f32_e32 v181, v8, v182
	v_fma_f32 v169, v7, v182, -v169
	v_fma_f32 v159, v5, v189, -v159
	v_add_f32_e32 v182, v6, v183
	v_add_f32_e32 v183, v10, v188
	s_waitcnt vmcnt(27) lgkmcnt(4)
	v_mul_f32_e32 v185, v142, v171
	v_mul_f32_e32 v171, v143, v171
	ds_read_b128 v[5:8], v9 offset:960
	ds_read_b128 v[9:12], v9 offset:976
	v_add_f32_e32 v182, v182, v196
	v_add_f32_e32 v161, v183, v161
	v_fmac_f32_e32 v185, v143, v164
	s_waitcnt vmcnt(26)
	v_mul_f32_e32 v183, v144, v155
	v_mul_f32_e32 v155, v145, v155
	v_add_f32_e32 v182, v182, v195
	v_add_f32_e32 v158, v161, v158
	v_fma_f32 v142, v142, v164, -v171
	s_waitcnt vmcnt(25) lgkmcnt(5)
	v_mul_f32_e32 v188, v1, v163
	v_mul_f32_e32 v163, v2, v163
	v_add_f32_e32 v182, v182, v193
	v_add_f32_e32 v157, v158, v157
	s_waitcnt vmcnt(24)
	v_mul_f32_e32 v161, v3, v168
	s_waitcnt vmcnt(23) lgkmcnt(4)
	v_mul_f32_e32 v189, v146, v170
	s_waitcnt vmcnt(22)
	v_mul_f32_e32 v193, v148, v166
	v_add_f32_e32 v182, v182, v190
	v_add_f32_e32 v157, v157, v194
	s_waitcnt vmcnt(21) lgkmcnt(3)
	v_mul_f32_e32 v158, v138, v187
	s_waitcnt vmcnt(20)
	v_mul_f32_e32 v195, v140, v191
	s_waitcnt vmcnt(19) lgkmcnt(2)
	v_mul_f32_e32 v190, v150, v192
	v_add_f32_e32 v159, v182, v159
	v_add_f32_e32 v157, v157, v184
	s_waitcnt vmcnt(11)
	v_fmac_f32_e32 v188, v2, v197
	s_waitcnt vmcnt(10)
	v_fma_f32 v144, v144, v205, -v155
	v_fmac_f32_e32 v183, v145, v205
	v_add_f32_e32 v159, v159, v169
	v_add_f32_e32 v157, v157, v181
	v_mul_f32_e32 v155, v4, v168
	v_fma_f32 v1, v1, v197, -v163
	v_fmac_f32_e32 v161, v4, v186
	v_add_f32_e32 v142, v159, v142
	v_add_f32_e32 v145, v157, v185
	v_fma_f32 v3, v3, v186, -v155
	v_mul_f32_e32 v4, v149, v166
	v_fmac_f32_e32 v189, v147, v165
	v_add_f32_e32 v2, v142, v144
	v_add_f32_e32 v142, v145, v183
	v_mul_f32_e32 v144, v147, v170
	s_waitcnt vmcnt(8)
	v_fmac_f32_e32 v195, v141, v162
	s_waitcnt vmcnt(7)
	v_fmac_f32_e32 v158, v139, v172
	v_add_f32_e32 v1, v2, v1
	v_add_f32_e32 v2, v142, v188
	v_fma_f32 v142, v146, v165, -v144
	s_waitcnt vmcnt(6)
	v_fma_f32 v4, v148, v178, -v4
	v_fmac_f32_e32 v193, v149, v178
	v_add_f32_e32 v1, v1, v3
	v_add_f32_e32 v2, v2, v161
	v_mul_f32_e32 v3, v139, v187
	v_mul_f32_e32 v194, v152, v156
	v_fmac_f32_e32 v190, v151, v160
	v_add_f32_e32 v1, v1, v142
	v_add_f32_e32 v2, v2, v189
	v_mul_f32_e32 v142, v141, v191
	v_fma_f32 v3, v138, v172, -v3
	s_waitcnt lgkmcnt(1)
	v_mul_f32_e32 v196, v5, v167
	v_add_f32_e32 v1, v1, v4
	v_add_f32_e32 v2, v2, v193
	v_mul_f32_e32 v4, v151, v192
	v_fma_f32 v138, v140, v162, -v142
	v_mul_f32_e32 v182, v7, v202
	v_add_f32_e32 v1, v1, v3
	v_add_f32_e32 v2, v2, v158
	v_mul_f32_e32 v3, v153, v156
	v_fma_f32 v4, v150, v160, -v4
	s_waitcnt vmcnt(2)
	v_fmac_f32_e32 v194, v153, v179
	v_add_f32_e32 v1, v1, v138
	v_add_f32_e32 v2, v2, v195
	v_mul_f32_e32 v138, v6, v167
	v_fma_f32 v3, v152, v179, -v3
	v_fmac_f32_e32 v196, v6, v176
	v_add_f32_e32 v1, v1, v4
	v_add_f32_e32 v2, v2, v190
	v_mul_f32_e32 v4, v8, v202
	v_fma_f32 v5, v5, v176, -v138
	s_waitcnt lgkmcnt(0)
	v_mul_f32_e32 v184, v9, v203
	v_add_f32_e32 v1, v1, v3
	v_add_f32_e32 v2, v2, v194
	v_mul_f32_e32 v3, v10, v203
	v_fma_f32 v4, v7, v175, -v4
	v_fmac_f32_e32 v182, v8, v175
	v_add_f32_e32 v1, v1, v5
	v_add_f32_e32 v2, v2, v196
	v_mul_f32_e32 v5, v12, v154
	v_fma_f32 v3, v9, v174, -v3
	v_mul_f32_e32 v143, v11, v154
	v_add_f32_e32 v1, v1, v4
	v_fmac_f32_e32 v184, v10, v174
	v_add_f32_e32 v2, v2, v182
	s_waitcnt vmcnt(1)
	v_fma_f32 v4, v11, v180, -v5
	v_fmac_f32_e32 v143, v12, v180
	v_add_f32_e32 v1, v1, v3
	v_add_f32_e32 v2, v2, v184
	;; [unrolled: 1-line block ×4, first 2 shown]
	s_waitcnt vmcnt(0)
	v_sub_f32_e32 v1, v177, v1
	v_sub_f32_e32 v2, v173, v2
	buffer_store_dword v1, off, s[0:3], 0 offset:8
	buffer_store_dword v2, off, s[0:3], 0 offset:12
	v_cmpx_ne_u32_e32 0, v0
	s_cbranch_execz .LBB61_385
; %bb.384:
	s_clause 0x1
	buffer_load_dword v0, off, s[0:3], 0
	buffer_load_dword v1, off, s[0:3], 0 offset:4
	v_mov_b32_e32 v2, 0
	buffer_store_dword v2, off, s[0:3], 0
	buffer_store_dword v2, off, s[0:3], 0 offset:4
	s_waitcnt vmcnt(0)
	ds_write_b64 v137, v[0:1]
.LBB61_385:
	s_or_b32 exec_lo, exec_lo, s4
	s_waitcnt lgkmcnt(0)
	s_waitcnt_vscnt null, 0x0
	s_barrier
	buffer_gl0_inv
	s_clause 0x3c
	buffer_load_dword v171, off, s[0:3], 0 offset:12
	buffer_load_dword v0, off, s[0:3], 0 offset:24
	;; [unrolled: 1-line block ×61, first 2 shown]
	v_mov_b32_e32 v6, 0
	ds_read2_b64 v[187:190], v6 offset0:63 offset1:64
	ds_read2_b64 v[191:194], v6 offset0:65 offset1:66
	ds_read2_b64 v[195:198], v6 offset0:67 offset1:68
	s_and_b32 vcc_lo, exec_lo, s22
	s_waitcnt vmcnt(60) lgkmcnt(2)
	v_mul_f32_e32 v181, v187, v171
	v_mul_f32_e32 v199, v188, v171
	buffer_load_dword v171, off, s[0:3], 0 offset:4
	s_waitcnt vmcnt(57)
	v_mul_f32_e32 v200, v189, v4
	v_mul_f32_e32 v4, v190, v4
	v_fmac_f32_e32 v181, v188, v5
	v_fma_f32 v199, v187, v5, -v199
	s_waitcnt vmcnt(56) lgkmcnt(1)
	v_mul_f32_e32 v202, v191, v3
	v_fmac_f32_e32 v200, v190, v2
	v_fma_f32 v201, v189, v2, -v4
	v_mul_f32_e32 v187, v192, v3
	ds_read2_b64 v[2:5], v6 offset0:69 offset1:70
	v_fmac_f32_e32 v202, v192, v0
	s_waitcnt vmcnt(55)
	v_mul_f32_e32 v192, v193, v1
	v_fma_f32 v191, v191, v0, -v187
	v_mul_f32_e32 v0, v194, v1
	ds_read2_b64 v[187:190], v6 offset0:71 offset1:72
	s_waitcnt vmcnt(51)
	v_fmac_f32_e32 v192, v194, v138
	s_waitcnt vmcnt(50) lgkmcnt(2)
	v_mul_f32_e32 v194, v195, v137
	v_fma_f32 v193, v193, v138, -v0
	v_mul_f32_e32 v0, v196, v137
	v_fmac_f32_e32 v194, v196, v11
	s_waitcnt vmcnt(49)
	v_mul_f32_e32 v196, v197, v12
	v_fma_f32 v195, v195, v11, -v0
	v_mul_f32_e32 v0, v198, v12
	v_fmac_f32_e32 v196, v198, v9
	s_waitcnt vmcnt(48) lgkmcnt(1)
	v_mul_f32_e32 v198, v2, v10
	s_waitcnt vmcnt(47)
	v_mul_f32_e32 v204, v4, v8
	v_fma_f32 v197, v197, v9, -v0
	v_mul_f32_e32 v0, v3, v10
	ds_read2_b64 v[9:12], v6 offset0:73 offset1:74
	v_fmac_f32_e32 v198, v3, v7
	s_waitcnt vmcnt(43)
	v_fmac_f32_e32 v204, v5, v146
	v_fma_f32 v203, v2, v7, -v0
	v_mul_f32_e32 v0, v5, v8
	s_waitcnt vmcnt(42) lgkmcnt(1)
	v_mul_f32_e32 v7, v188, v145
	v_mul_f32_e32 v5, v187, v145
	v_fma_f32 v4, v4, v146, -v0
	ds_read2_b64 v[0:3], v6 offset0:75 offset1:76
	v_fma_f32 v145, v187, v143, -v7
	s_waitcnt vmcnt(41)
	v_mul_f32_e32 v7, v190, v144
	v_mul_f32_e32 v146, v189, v144
	v_fmac_f32_e32 v5, v188, v143
	v_fma_f32 v187, v189, v141, -v7
	v_fmac_f32_e32 v146, v190, v141
	s_waitcnt vmcnt(40) lgkmcnt(1)
	v_mul_f32_e32 v7, v10, v142
	v_mul_f32_e32 v188, v9, v142
	ds_read2_b64 v[141:144], v6 offset0:77 offset1:78
	s_waitcnt vmcnt(39)
	v_mul_f32_e32 v190, v11, v140
	v_fma_f32 v189, v9, v139, -v7
	v_mul_f32_e32 v7, v12, v140
	v_fmac_f32_e32 v188, v10, v139
	s_waitcnt vmcnt(35)
	v_fmac_f32_e32 v190, v12, v170
	v_fma_f32 v11, v11, v170, -v7
	ds_read2_b64 v[7:10], v6 offset0:79 offset1:80
	s_waitcnt vmcnt(34) lgkmcnt(2)
	v_mul_f32_e32 v12, v0, v169
	v_mul_f32_e32 v137, v1, v169
	s_waitcnt vmcnt(33)
	v_mul_f32_e32 v169, v2, v166
	v_fmac_f32_e32 v12, v1, v165
	v_fma_f32 v165, v0, v165, -v137
	v_mul_f32_e32 v0, v3, v166
	v_fmac_f32_e32 v169, v3, v159
	s_waitcnt vmcnt(32) lgkmcnt(1)
	v_mul_f32_e32 v166, v141, v163
	v_mul_f32_e32 v137, v142, v163
	v_fma_f32 v159, v2, v159, -v0
	ds_read2_b64 v[0:3], v6 offset0:81 offset1:82
	v_fmac_f32_e32 v166, v142, v151
	v_fma_f32 v141, v141, v151, -v137
	s_waitcnt vmcnt(31)
	v_mul_f32_e32 v142, v143, v157
	v_mul_f32_e32 v137, v144, v157
	s_waitcnt vmcnt(26) lgkmcnt(1)
	v_mul_f32_e32 v151, v8, v167
	s_waitcnt vmcnt(25)
	v_mul_f32_e32 v157, v9, v161
	v_fmac_f32_e32 v142, v144, v168
	v_fma_f32 v143, v143, v168, -v137
	v_mul_f32_e32 v144, v7, v167
	ds_read2_b64 v[137:140], v6 offset0:83 offset1:84
	v_fma_f32 v151, v7, v160, -v151
	v_mul_f32_e32 v7, v10, v161
	v_fmac_f32_e32 v157, v10, v154
	v_fmac_f32_e32 v144, v8, v160
	v_fma_f32 v154, v9, v154, -v7
	ds_read2_b64 v[7:10], v6 offset0:85 offset1:86
	s_waitcnt vmcnt(24) lgkmcnt(2)
	v_mul_f32_e32 v160, v0, v158
	v_mul_f32_e32 v158, v1, v158
	v_fmac_f32_e32 v160, v1, v148
	v_fma_f32 v148, v0, v148, -v158
	s_waitcnt vmcnt(23)
	v_mul_f32_e32 v158, v2, v152
	v_mul_f32_e32 v0, v3, v152
	s_waitcnt vmcnt(18) lgkmcnt(1)
	v_mul_f32_e32 v161, v137, v162
	v_fmac_f32_e32 v158, v3, v164
	v_fma_f32 v152, v2, v164, -v0
	v_mul_f32_e32 v162, v138, v162
	ds_read2_b64 v[0:3], v6 offset0:87 offset1:88
	v_fmac_f32_e32 v161, v138, v155
	v_fma_f32 v155, v137, v155, -v162
	s_waitcnt vmcnt(17)
	v_mul_f32_e32 v162, v139, v156
	v_mul_f32_e32 v137, v140, v156
	s_waitcnt vmcnt(16) lgkmcnt(1)
	v_mul_f32_e32 v156, v7, v153
	v_mul_f32_e32 v153, v8, v153
	v_fmac_f32_e32 v162, v140, v150
	v_fma_f32 v150, v139, v150, -v137
	ds_read2_b64 v[137:140], v6 offset0:89 offset1:90
	v_fmac_f32_e32 v156, v8, v147
	v_fma_f32 v147, v7, v147, -v153
	s_waitcnt vmcnt(15)
	v_mul_f32_e32 v153, v9, v149
	v_mul_f32_e32 v7, v10, v149
	s_waitcnt vmcnt(11)
	v_fmac_f32_e32 v153, v10, v179
	v_fma_f32 v149, v9, v179, -v7
	ds_read2_b64 v[7:10], v6 offset0:91 offset1:92
	s_waitcnt vmcnt(10) lgkmcnt(2)
	v_mul_f32_e32 v164, v1, v178
	v_mul_f32_e32 v163, v0, v178
	s_waitcnt vmcnt(9)
	v_mul_f32_e32 v167, v2, v177
	v_fma_f32 v164, v0, v176, -v164
	v_mul_f32_e32 v0, v3, v177
	v_fmac_f32_e32 v163, v1, v176
	v_fmac_f32_e32 v167, v3, v173
	s_waitcnt vmcnt(8) lgkmcnt(1)
	v_mul_f32_e32 v170, v137, v175
	s_waitcnt vmcnt(7)
	v_mul_f32_e32 v1, v140, v174
	v_fma_f32 v168, v2, v173, -v0
	v_mul_f32_e32 v0, v138, v175
	v_mul_f32_e32 v173, v139, v174
	s_clause 0x1
	buffer_load_dword v174, off, s[0:3], 0 offset:252
	buffer_load_dword v176, off, s[0:3], 0 offset:260
	v_fmac_f32_e32 v170, v138, v172
	v_fma_f32 v137, v137, v172, -v0
	s_waitcnt vmcnt(5)
	v_fmac_f32_e32 v173, v140, v186
	v_fma_f32 v138, v139, v186, -v1
	ds_read2_b64 v[0:3], v6 offset0:93 offset1:94
	s_waitcnt vmcnt(4) lgkmcnt(1)
	v_mul_f32_e32 v139, v7, v185
	v_mul_f32_e32 v140, v8, v185
	s_waitcnt vmcnt(3)
	v_mul_f32_e32 v172, v9, v184
	v_mul_f32_e32 v175, v10, v184
	v_fmac_f32_e32 v139, v8, v183
	v_fma_f32 v140, v7, v183, -v140
	v_fmac_f32_e32 v172, v10, v182
	v_fma_f32 v175, v9, v182, -v175
	s_clause 0x6
	buffer_load_dword v177, off, s[0:3], 0 offset:280
	buffer_load_dword v178, off, s[0:3], 0 offset:272
	;; [unrolled: 1-line block ×7, first 2 shown]
	v_add_f32_e32 v8, 0, v181
	v_add_f32_e32 v9, 0, v199
	buffer_load_dword v181, off, s[0:3], 0 offset:292
	v_add_f32_e32 v8, v8, v200
	v_add_f32_e32 v9, v9, v201
	;; [unrolled: 1-line block ×5, first 2 shown]
	s_clause 0x3
	buffer_load_dword v185, off, s[0:3], 0 offset:312
	buffer_load_dword v186, off, s[0:3], 0 offset:304
	;; [unrolled: 1-line block ×4, first 2 shown]
	v_add_f32_e32 v9, v9, v193
	buffer_load_dword v193, off, s[0:3], 0 offset:300
	v_add_f32_e32 v8, v8, v194
	buffer_load_dword v194, off, s[0:3], 0 offset:308
	v_add_f32_e32 v9, v9, v195
	v_add_f32_e32 v8, v8, v196
	s_clause 0x1
	buffer_load_dword v195, off, s[0:3], 0 offset:316
	buffer_load_dword v196, off, s[0:3], 0 offset:324
	v_add_f32_e32 v9, v9, v197
	v_add_f32_e32 v8, v8, v198
	s_clause 0x3
	buffer_load_dword v197, off, s[0:3], 0 offset:344
	buffer_load_dword v198, off, s[0:3], 0 offset:336
	;; [unrolled: 1-line block ×4, first 2 shown]
	v_add_f32_e32 v9, v9, v203
	v_add_f32_e32 v8, v8, v204
	;; [unrolled: 1-line block ×5, first 2 shown]
	s_clause 0x2
	buffer_load_dword v145, off, s[0:3], 0 offset:332
	buffer_load_dword v201, off, s[0:3], 0 offset:340
	;; [unrolled: 1-line block ×3, first 2 shown]
	v_add_f32_e32 v5, v5, v146
	v_add_f32_e32 v4, v4, v187
	buffer_load_dword v187, off, s[0:3], 0 offset:356
	v_add_f32_e32 v5, v5, v188
	v_add_f32_e32 v4, v4, v189
	;; [unrolled: 1-line block ×12, first 2 shown]
	s_waitcnt vmcnt(25) lgkmcnt(0)
	v_mul_f32_e32 v146, v0, v174
	v_mul_f32_e32 v8, v1, v174
	s_waitcnt vmcnt(24)
	v_mul_f32_e32 v174, v2, v176
	v_mul_f32_e32 v9, v3, v176
	v_fmac_f32_e32 v146, v1, v180
	v_fma_f32 v176, v0, v180, -v8
	s_waitcnt vmcnt(20)
	v_fmac_f32_e32 v174, v3, v7
	v_fma_f32 v11, v2, v7, -v9
	ds_read2_b64 v[0:3], v6 offset0:95 offset1:96
	s_clause 0x6
	buffer_load_dword v165, off, s[0:3], 0 offset:376
	buffer_load_dword v180, off, s[0:3], 0 offset:368
	;; [unrolled: 1-line block ×7, first 2 shown]
	ds_read2_b64 v[7:10], v6 offset0:97 offset1:98
	s_waitcnt vmcnt(26) lgkmcnt(1)
	v_mul_f32_e32 v141, v0, v182
	v_mul_f32_e32 v143, v1, v182
	s_waitcnt vmcnt(25)
	v_mul_f32_e32 v166, v2, v183
	v_mul_f32_e32 v142, v3, v183
	v_fmac_f32_e32 v141, v1, v179
	v_add_f32_e32 v1, v4, v151
	v_fma_f32 v4, v0, v179, -v143
	v_add_f32_e32 v0, v5, v144
	v_fmac_f32_e32 v166, v3, v178
	v_fma_f32 v142, v2, v178, -v142
	v_add_f32_e32 v1, v1, v154
	s_clause 0x7
	buffer_load_dword v178, off, s[0:3], 0 offset:388
	buffer_load_dword v179, off, s[0:3], 0 offset:396
	;; [unrolled: 1-line block ×8, first 2 shown]
	v_add_f32_e32 v0, v0, v157
	s_waitcnt vmcnt(32) lgkmcnt(0)
	v_mul_f32_e32 v5, v7, v184
	v_mul_f32_e32 v2, v8, v184
	v_add_f32_e32 v1, v1, v148
	s_clause 0x1
	buffer_load_dword v157, off, s[0:3], 0 offset:420
	buffer_load_dword v206, off, s[0:3], 0 offset:428
	v_add_f32_e32 v0, v0, v160
	v_fmac_f32_e32 v5, v8, v177
	v_fma_f32 v148, v7, v177, -v2
	v_add_f32_e32 v1, v1, v152
	s_clause 0x1
	buffer_load_dword v160, off, s[0:3], 0 offset:436
	buffer_load_dword v184, off, s[0:3], 0 offset:444
	v_add_f32_e32 v0, v0, v158
	buffer_load_dword v158, off, s[0:3], 0 offset:452
	v_add_f32_e32 v1, v1, v155
	v_add_f32_e32 v0, v0, v161
	s_clause 0x3
	buffer_load_dword v161, off, s[0:3], 0 offset:460
	buffer_load_dword v177, off, s[0:3], 0 offset:468
	;; [unrolled: 1-line block ×4, first 2 shown]
	v_add_f32_e32 v1, v1, v150
	s_waitcnt vmcnt(40)
	v_mul_f32_e32 v150, v9, v181
	v_add_f32_e32 v7, v0, v162
	v_mul_f32_e32 v0, v10, v181
	buffer_load_dword v162, off, s[0:3], 0 offset:492
	v_add_f32_e32 v8, v1, v147
	s_waitcnt vmcnt(37)
	v_fmac_f32_e32 v150, v10, v192
	v_add_f32_e32 v7, v7, v156
	v_fma_f32 v147, v9, v192, -v0
	ds_read2_b64 v[0:3], v6 offset0:99 offset1:100
	v_add_f32_e32 v8, v8, v149
	v_add_f32_e32 v7, v7, v153
	;; [unrolled: 1-line block ×3, first 2 shown]
	s_clause 0x3
	buffer_load_dword v164, off, s[0:3], 0 offset:440
	buffer_load_dword v181, off, s[0:3], 0 offset:432
	;; [unrolled: 1-line block ×4, first 2 shown]
	v_add_f32_e32 v7, v7, v163
	v_add_f32_e32 v143, v8, v168
	;; [unrolled: 1-line block ×3, first 2 shown]
	ds_read2_b64 v[7:10], v6 offset0:101 offset1:102
	v_add_f32_e32 v137, v143, v137
	v_add_f32_e32 v144, v144, v170
	s_clause 0x3
	buffer_load_dword v163, off, s[0:3], 0 offset:472
	buffer_load_dword v167, off, s[0:3], 0 offset:464
	;; [unrolled: 1-line block ×4, first 2 shown]
	s_waitcnt vmcnt(44) lgkmcnt(1)
	v_mul_f32_e32 v149, v0, v193
	v_mul_f32_e32 v143, v1, v193
	s_waitcnt vmcnt(43)
	v_mul_f32_e32 v153, v2, v194
	v_fmac_f32_e32 v149, v1, v191
	v_fma_f32 v151, v0, v191, -v143
	v_add_f32_e32 v1, v144, v173
	s_clause 0x1
	buffer_load_dword v173, off, s[0:3], 0 offset:488
	buffer_load_dword v191, off, s[0:3], 0 offset:480
	v_add_f32_e32 v0, v137, v138
	v_mul_f32_e32 v137, v3, v194
	v_fmac_f32_e32 v153, v3, v186
	v_add_f32_e32 v1, v1, v139
	v_add_f32_e32 v0, v0, v140
	v_fma_f32 v152, v2, v186, -v137
	s_waitcnt vmcnt(44) lgkmcnt(0)
	v_mul_f32_e32 v144, v8, v195
	v_add_f32_e32 v1, v1, v172
	v_mul_f32_e32 v154, v7, v195
	v_add_f32_e32 v0, v0, v175
	buffer_load_dword v175, off, s[0:3], 0
	v_fma_f32 v155, v7, v185, -v144
	v_add_f32_e32 v143, v1, v146
	s_waitcnt vmcnt(44)
	v_mul_f32_e32 v146, v10, v196
	v_add_f32_e32 v138, v0, v176
	ds_read2_b64 v[0:3], v6 offset0:103 offset1:104
	v_fmac_f32_e32 v154, v8, v185
	v_add_f32_e32 v143, v143, v174
	s_waitcnt vmcnt(40)
	v_fma_f32 v172, v9, v200, -v146
	v_add_f32_e32 v11, v138, v11
	ds_read2_b64 v[137:140], v6 offset0:105 offset1:106
	v_add_f32_e32 v156, v143, v141
	v_add_f32_e32 v4, v11, v4
	v_mul_f32_e32 v11, v9, v196
	v_add_f32_e32 v146, v156, v166
	v_add_f32_e32 v4, v4, v142
	v_fmac_f32_e32 v11, v10, v200
	ds_read2_b64 v[7:10], v6 offset0:107 offset1:108
	ds_read2_b64 v[141:144], v6 offset0:109 offset1:110
	v_add_f32_e32 v5, v146, v5
	v_add_f32_e32 v4, v4, v148
	s_waitcnt vmcnt(39) lgkmcnt(3)
	v_mul_f32_e32 v166, v0, v145
	v_mul_f32_e32 v145, v1, v145
	v_add_f32_e32 v5, v5, v150
	s_waitcnt vmcnt(38)
	v_mul_f32_e32 v148, v3, v201
	v_add_f32_e32 v4, v4, v147
	v_mul_f32_e32 v174, v2, v201
	v_fma_f32 v186, v0, v199, -v145
	v_add_f32_e32 v5, v5, v149
	v_fmac_f32_e32 v166, v1, v199
	v_add_f32_e32 v4, v4, v151
	s_waitcnt vmcnt(37) lgkmcnt(2)
	v_mul_f32_e32 v156, v138, v202
	v_fma_f32 v193, v2, v198, -v148
	v_add_f32_e32 v5, v5, v153
	v_mul_f32_e32 v176, v137, v202
	v_add_f32_e32 v4, v4, v152
	v_fmac_f32_e32 v174, v3, v198
	s_waitcnt vmcnt(36)
	v_mul_f32_e32 v185, v139, v187
	v_add_f32_e32 v5, v5, v154
	v_mul_f32_e32 v150, v140, v187
	v_add_f32_e32 v4, v4, v155
	v_fma_f32 v187, v137, v197, -v156
	v_fmac_f32_e32 v176, v138, v197
	v_add_f32_e32 v11, v5, v11
	ds_read2_b64 v[0:3], v6 offset0:111 offset1:112
	ds_read2_b64 v[145:148], v6 offset0:113 offset1:114
	v_add_f32_e32 v4, v4, v172
	v_add_f32_e32 v11, v11, v166
	;; [unrolled: 1-line block ×7, first 2 shown]
	s_waitcnt vmcnt(31) lgkmcnt(3)
	v_mul_f32_e32 v194, v7, v12
	v_fmac_f32_e32 v185, v140, v189
	v_fma_f32 v189, v139, v189, -v150
	v_mul_f32_e32 v12, v8, v12
	s_waitcnt vmcnt(30)
	v_mul_f32_e32 v153, v10, v159
	v_mul_f32_e32 v195, v9, v159
	v_fmac_f32_e32 v194, v8, v188
	v_add_f32_e32 v172, v172, v189
	v_fma_f32 v12, v7, v188, -v12
	v_add_f32_e32 v11, v11, v185
	v_fma_f32 v159, v9, v180, -v153
	s_waitcnt vmcnt(29) lgkmcnt(2)
	v_mul_f32_e32 v166, v141, v169
	v_mul_f32_e32 v169, v142, v169
	v_add_f32_e32 v12, v172, v12
	v_fmac_f32_e32 v195, v10, v180
	v_add_f32_e32 v11, v11, v194
	v_fmac_f32_e32 v166, v142, v165
	v_fma_f32 v141, v141, v165, -v169
	v_add_f32_e32 v12, v12, v159
	ds_read2_b64 v[137:140], v6 offset0:115 offset1:116
	ds_read2_b64 v[149:152], v6 offset0:117 offset1:118
	v_add_f32_e32 v11, v11, v195
	ds_read2_b64 v[7:10], v6 offset0:119 offset1:120
	ds_read2_b64 v[153:156], v6 offset0:121 offset1:122
	ds_read_b64 v[4:5], v6 offset:984
	v_add_f32_e32 v12, v12, v141
	s_waitcnt vmcnt(28)
	v_mul_f32_e32 v174, v144, v178
	v_mul_f32_e32 v180, v143, v178
	s_waitcnt vmcnt(27) lgkmcnt(6)
	v_mul_f32_e32 v178, v0, v179
	v_mul_f32_e32 v172, v1, v179
	v_add_f32_e32 v11, v11, v166
	s_waitcnt vmcnt(26)
	v_mul_f32_e32 v186, v2, v182
	v_mul_f32_e32 v182, v3, v182
	s_waitcnt vmcnt(21)
	v_fma_f32 v143, v143, v205, -v174
	v_fmac_f32_e32 v180, v144, v205
	v_fmac_f32_e32 v178, v1, v204
	v_fma_f32 v0, v0, v204, -v172
	v_fma_f32 v2, v2, v203, -v182
	v_add_f32_e32 v1, v12, v143
	v_add_f32_e32 v11, v11, v180
	s_waitcnt lgkmcnt(5)
	v_mul_f32_e32 v12, v146, v183
	v_mul_f32_e32 v176, v145, v183
	v_fmac_f32_e32 v186, v3, v203
	v_add_f32_e32 v0, v1, v0
	v_add_f32_e32 v1, v11, v178
	s_waitcnt vmcnt(20)
	v_mul_f32_e32 v3, v148, v157
	v_fma_f32 v11, v145, v190, -v12
	v_mul_f32_e32 v187, v147, v157
	v_add_f32_e32 v0, v0, v2
	v_fmac_f32_e32 v176, v146, v190
	v_add_f32_e32 v1, v1, v186
	s_waitcnt vmcnt(19) lgkmcnt(4)
	v_mul_f32_e32 v2, v138, v206
	v_mul_f32_e32 v142, v137, v206
	v_add_f32_e32 v0, v0, v11
	s_waitcnt vmcnt(18)
	v_mul_f32_e32 v11, v140, v160
	v_add_f32_e32 v1, v1, v176
	v_mul_f32_e32 v165, v139, v160
	s_waitcnt vmcnt(17) lgkmcnt(3)
	v_mul_f32_e32 v169, v149, v184
	s_waitcnt vmcnt(16)
	v_mul_f32_e32 v179, v151, v158
	s_waitcnt vmcnt(15) lgkmcnt(2)
	v_mul_f32_e32 v144, v7, v161
	s_waitcnt vmcnt(14)
	;; [unrolled: 4-line block ×4, first 2 shown]
	v_fmac_f32_e32 v169, v150, v164
	s_waitcnt vmcnt(9)
	v_fma_f32 v11, v139, v181, -v11
	s_waitcnt vmcnt(8)
	v_fma_f32 v2, v137, v192, -v2
	;; [unrolled: 2-line block ×3, first 2 shown]
	v_fmac_f32_e32 v187, v148, v209
	v_fmac_f32_e32 v142, v138, v192
	;; [unrolled: 1-line block ×3, first 2 shown]
	v_add_f32_e32 v0, v0, v3
	v_add_f32_e32 v1, v1, v187
	v_mul_f32_e32 v3, v150, v184
	s_waitcnt vmcnt(6)
	v_fmac_f32_e32 v159, v154, v163
	v_add_f32_e32 v0, v0, v2
	v_add_f32_e32 v1, v1, v142
	v_mul_f32_e32 v2, v152, v158
	v_fma_f32 v3, v149, v164, -v3
	s_waitcnt vmcnt(3)
	v_fmac_f32_e32 v179, v152, v170
	v_add_f32_e32 v0, v0, v11
	v_add_f32_e32 v1, v1, v165
	v_mul_f32_e32 v11, v8, v161
	v_fma_f32 v2, v151, v170, -v2
	v_fmac_f32_e32 v144, v8, v168
	v_add_f32_e32 v0, v0, v3
	v_add_f32_e32 v1, v1, v169
	v_mul_f32_e32 v3, v10, v177
	v_fma_f32 v7, v7, v168, -v11
	;; [unrolled: 5-line block ×3, first 2 shown]
	s_waitcnt vmcnt(1)
	v_fmac_f32_e32 v185, v156, v191
	v_add_f32_e32 v0, v0, v7
	v_add_f32_e32 v1, v1, v144
	v_mul_f32_e32 v7, v156, v208
	v_fma_f32 v2, v153, v163, -v2
	v_fmac_f32_e32 v141, v5, v173
	v_add_f32_e32 v0, v0, v3
	v_add_f32_e32 v1, v1, v174
	v_mul_f32_e32 v3, v5, v162
	v_fma_f32 v7, v155, v191, -v7
	v_add_f32_e32 v0, v0, v2
	v_add_f32_e32 v1, v1, v159
	v_fma_f32 v2, v4, v173, -v3
	v_add_f32_e32 v0, v0, v7
	v_add_f32_e32 v1, v1, v185
	;; [unrolled: 1-line block ×4, first 2 shown]
	s_waitcnt vmcnt(0)
	v_sub_f32_e32 v0, v175, v0
	v_sub_f32_e32 v1, v171, v1
	buffer_store_dword v0, off, s[0:3], 0
	buffer_store_dword v1, off, s[0:3], 0 offset:4
	s_cbranch_vccz .LBB61_508
; %bb.386:
	global_load_dword v0, v6, s[20:21] offset:240
	s_waitcnt vmcnt(0)
	v_add_nc_u32_e32 v0, -1, v0
	v_cmp_ne_u32_e32 vcc_lo, 60, v0
	s_cbranch_vccz .LBB61_388
; %bb.387:
	v_lshlrev_b32_e32 v0, 3, v0
	s_clause 0x3
	buffer_load_dword v1, v0, s[0:3], 0 offen
	buffer_load_dword v2, v0, s[0:3], 0 offen offset:4
	buffer_load_dword v3, off, s[0:3], 0 offset:484
	buffer_load_dword v4, off, s[0:3], 0 offset:480
	s_waitcnt vmcnt(3)
	buffer_store_dword v1, off, s[0:3], 0 offset:480
	s_waitcnt vmcnt(2)
	buffer_store_dword v2, off, s[0:3], 0 offset:484
	s_waitcnt vmcnt(1)
	buffer_store_dword v3, v0, s[0:3], 0 offen offset:4
	s_waitcnt vmcnt(0)
	buffer_store_dword v4, v0, s[0:3], 0 offen
.LBB61_388:
	v_mov_b32_e32 v0, 0
	global_load_dword v1, v0, s[20:21] offset:236
	s_waitcnt vmcnt(0)
	v_add_nc_u32_e32 v1, -1, v1
	v_cmp_eq_u32_e32 vcc_lo, 59, v1
	s_cbranch_vccnz .LBB61_390
; %bb.389:
	v_lshlrev_b32_e32 v1, 3, v1
	s_clause 0x3
	buffer_load_dword v2, v1, s[0:3], 0 offen
	buffer_load_dword v3, v1, s[0:3], 0 offen offset:4
	buffer_load_dword v4, off, s[0:3], 0 offset:472
	buffer_load_dword v5, off, s[0:3], 0 offset:476
	s_waitcnt vmcnt(3)
	buffer_store_dword v2, off, s[0:3], 0 offset:472
	s_waitcnt vmcnt(2)
	buffer_store_dword v3, off, s[0:3], 0 offset:476
	s_waitcnt vmcnt(1)
	buffer_store_dword v4, v1, s[0:3], 0 offen
	s_waitcnt vmcnt(0)
	buffer_store_dword v5, v1, s[0:3], 0 offen offset:4
.LBB61_390:
	global_load_dword v0, v0, s[20:21] offset:232
	s_waitcnt vmcnt(0)
	v_add_nc_u32_e32 v0, -1, v0
	v_cmp_eq_u32_e32 vcc_lo, 58, v0
	s_cbranch_vccnz .LBB61_392
; %bb.391:
	v_lshlrev_b32_e32 v0, 3, v0
	s_clause 0x3
	buffer_load_dword v1, v0, s[0:3], 0 offen
	buffer_load_dword v2, v0, s[0:3], 0 offen offset:4
	buffer_load_dword v3, off, s[0:3], 0 offset:468
	buffer_load_dword v4, off, s[0:3], 0 offset:464
	s_waitcnt vmcnt(3)
	buffer_store_dword v1, off, s[0:3], 0 offset:464
	s_waitcnt vmcnt(2)
	buffer_store_dword v2, off, s[0:3], 0 offset:468
	s_waitcnt vmcnt(1)
	buffer_store_dword v3, v0, s[0:3], 0 offen offset:4
	s_waitcnt vmcnt(0)
	buffer_store_dword v4, v0, s[0:3], 0 offen
.LBB61_392:
	v_mov_b32_e32 v0, 0
	global_load_dword v1, v0, s[20:21] offset:228
	s_waitcnt vmcnt(0)
	v_add_nc_u32_e32 v1, -1, v1
	v_cmp_eq_u32_e32 vcc_lo, 57, v1
	s_cbranch_vccnz .LBB61_394
; %bb.393:
	v_lshlrev_b32_e32 v1, 3, v1
	s_clause 0x3
	buffer_load_dword v2, v1, s[0:3], 0 offen
	buffer_load_dword v3, v1, s[0:3], 0 offen offset:4
	buffer_load_dword v4, off, s[0:3], 0 offset:456
	buffer_load_dword v5, off, s[0:3], 0 offset:460
	s_waitcnt vmcnt(3)
	buffer_store_dword v2, off, s[0:3], 0 offset:456
	s_waitcnt vmcnt(2)
	buffer_store_dword v3, off, s[0:3], 0 offset:460
	s_waitcnt vmcnt(1)
	buffer_store_dword v4, v1, s[0:3], 0 offen
	s_waitcnt vmcnt(0)
	buffer_store_dword v5, v1, s[0:3], 0 offen offset:4
.LBB61_394:
	global_load_dword v0, v0, s[20:21] offset:224
	s_waitcnt vmcnt(0)
	v_add_nc_u32_e32 v0, -1, v0
	v_cmp_eq_u32_e32 vcc_lo, 56, v0
	s_cbranch_vccnz .LBB61_396
; %bb.395:
	v_lshlrev_b32_e32 v0, 3, v0
	s_clause 0x3
	buffer_load_dword v1, v0, s[0:3], 0 offen
	buffer_load_dword v2, v0, s[0:3], 0 offen offset:4
	buffer_load_dword v3, off, s[0:3], 0 offset:452
	buffer_load_dword v4, off, s[0:3], 0 offset:448
	s_waitcnt vmcnt(3)
	buffer_store_dword v1, off, s[0:3], 0 offset:448
	s_waitcnt vmcnt(2)
	buffer_store_dword v2, off, s[0:3], 0 offset:452
	s_waitcnt vmcnt(1)
	buffer_store_dword v3, v0, s[0:3], 0 offen offset:4
	s_waitcnt vmcnt(0)
	buffer_store_dword v4, v0, s[0:3], 0 offen
.LBB61_396:
	;; [unrolled: 43-line block ×29, first 2 shown]
	v_mov_b32_e32 v0, 0
	global_load_dword v1, v0, s[20:21] offset:4
	s_waitcnt vmcnt(0)
	v_add_nc_u32_e32 v1, -1, v1
	v_cmp_eq_u32_e32 vcc_lo, 1, v1
	s_cbranch_vccnz .LBB61_506
; %bb.505:
	v_lshlrev_b32_e32 v1, 3, v1
	s_clause 0x3
	buffer_load_dword v2, v1, s[0:3], 0 offen
	buffer_load_dword v3, v1, s[0:3], 0 offen offset:4
	buffer_load_dword v4, off, s[0:3], 0 offset:8
	buffer_load_dword v5, off, s[0:3], 0 offset:12
	s_waitcnt vmcnt(3)
	buffer_store_dword v2, off, s[0:3], 0 offset:8
	s_waitcnt vmcnt(2)
	buffer_store_dword v3, off, s[0:3], 0 offset:12
	s_waitcnt vmcnt(1)
	buffer_store_dword v4, v1, s[0:3], 0 offen
	s_waitcnt vmcnt(0)
	buffer_store_dword v5, v1, s[0:3], 0 offen offset:4
.LBB61_506:
	global_load_dword v0, v0, s[20:21]
	s_waitcnt vmcnt(0)
	v_add_nc_u32_e32 v0, -1, v0
	v_cmp_eq_u32_e32 vcc_lo, 0, v0
	s_cbranch_vccnz .LBB61_508
; %bb.507:
	v_lshlrev_b32_e32 v0, 3, v0
	s_clause 0x3
	buffer_load_dword v1, v0, s[0:3], 0 offen
	buffer_load_dword v2, v0, s[0:3], 0 offen offset:4
	buffer_load_dword v3, off, s[0:3], 0 offset:4
	buffer_load_dword v4, off, s[0:3], 0
	s_waitcnt vmcnt(3)
	buffer_store_dword v1, off, s[0:3], 0
	s_waitcnt vmcnt(2)
	buffer_store_dword v2, off, s[0:3], 0 offset:4
	s_waitcnt vmcnt(1)
	buffer_store_dword v3, v0, s[0:3], 0 offen offset:4
	s_waitcnt vmcnt(0)
	buffer_store_dword v4, v0, s[0:3], 0 offen
.LBB61_508:
	s_clause 0x3e
	buffer_load_dword v0, off, s[0:3], 0
	buffer_load_dword v1, off, s[0:3], 0 offset:4
	buffer_load_dword v2, off, s[0:3], 0 offset:8
	;; [unrolled: 1-line block ×62, first 2 shown]
	s_clause 0x3c
	buffer_load_dword v188, off, s[0:3], 0 offset:252
	buffer_load_dword v189, off, s[0:3], 0 offset:256
	;; [unrolled: 1-line block ×61, first 2 shown]
	s_waitcnt vmcnt(62)
	global_store_dwordx2 v[107:108], v[0:1], off
	global_store_dwordx2 v[111:112], v[2:3], off
	;; [unrolled: 1-line block ×31, first 2 shown]
	s_waitcnt vmcnt(60)
	global_store_dwordx2 v[71:72], v[187:188], off
	s_waitcnt vmcnt(58)
	global_store_dwordx2 v[73:74], v[189:190], off
	s_waitcnt vmcnt(56)
	global_store_dwordx2 v[75:76], v[191:192], off
	s_waitcnt vmcnt(54)
	global_store_dwordx2 v[77:78], v[193:194], off
	s_waitcnt vmcnt(52)
	global_store_dwordx2 v[79:80], v[195:196], off
	s_waitcnt vmcnt(50)
	global_store_dwordx2 v[81:82], v[197:198], off
	s_waitcnt vmcnt(48)
	global_store_dwordx2 v[83:84], v[199:200], off
	s_waitcnt vmcnt(46)
	global_store_dwordx2 v[85:86], v[201:202], off
	s_waitcnt vmcnt(44)
	global_store_dwordx2 v[87:88], v[203:204], off
	s_waitcnt vmcnt(42)
	global_store_dwordx2 v[89:90], v[205:206], off
	s_waitcnt vmcnt(40)
	global_store_dwordx2 v[91:92], v[207:208], off
	s_waitcnt vmcnt(38)
	global_store_dwordx2 v[93:94], v[209:210], off
	s_waitcnt vmcnt(36)
	global_store_dwordx2 v[95:96], v[211:212], off
	s_waitcnt vmcnt(34)
	global_store_dwordx2 v[97:98], v[213:214], off
	s_waitcnt vmcnt(32)
	global_store_dwordx2 v[99:100], v[215:216], off
	s_waitcnt vmcnt(30)
	global_store_dwordx2 v[101:102], v[217:218], off
	s_waitcnt vmcnt(28)
	global_store_dwordx2 v[103:104], v[219:220], off
	s_waitcnt vmcnt(26)
	global_store_dwordx2 v[105:106], v[221:222], off
	s_waitcnt vmcnt(24)
	global_store_dwordx2 v[109:110], v[223:224], off
	s_waitcnt vmcnt(22)
	global_store_dwordx2 v[113:114], v[225:226], off
	s_waitcnt vmcnt(20)
	global_store_dwordx2 v[115:116], v[227:228], off
	s_waitcnt vmcnt(18)
	global_store_dwordx2 v[117:118], v[229:230], off
	s_waitcnt vmcnt(16)
	global_store_dwordx2 v[119:120], v[231:232], off
	s_waitcnt vmcnt(14)
	global_store_dwordx2 v[121:122], v[233:234], off
	s_waitcnt vmcnt(12)
	global_store_dwordx2 v[123:124], v[235:236], off
	s_waitcnt vmcnt(10)
	global_store_dwordx2 v[125:126], v[237:238], off
	s_waitcnt vmcnt(8)
	global_store_dwordx2 v[127:128], v[239:240], off
	s_waitcnt vmcnt(6)
	global_store_dwordx2 v[129:130], v[241:242], off
	s_waitcnt vmcnt(4)
	global_store_dwordx2 v[131:132], v[243:244], off
	s_waitcnt vmcnt(2)
	global_store_dwordx2 v[133:134], v[245:246], off
	s_waitcnt vmcnt(0)
	global_store_dwordx2 v[135:136], v[247:248], off
	s_endpgm
	.section	.rodata,"a",@progbits
	.p2align	6, 0x0
	.amdhsa_kernel _ZN9rocsolver6v33100L18getri_kernel_smallILi62E19rocblas_complex_numIfEPS3_EEvT1_iilPiilS6_bb
		.amdhsa_group_segment_fixed_size 996
		.amdhsa_private_segment_fixed_size 512
		.amdhsa_kernarg_size 60
		.amdhsa_user_sgpr_count 6
		.amdhsa_user_sgpr_private_segment_buffer 1
		.amdhsa_user_sgpr_dispatch_ptr 0
		.amdhsa_user_sgpr_queue_ptr 0
		.amdhsa_user_sgpr_kernarg_segment_ptr 1
		.amdhsa_user_sgpr_dispatch_id 0
		.amdhsa_user_sgpr_flat_scratch_init 0
		.amdhsa_user_sgpr_private_segment_size 0
		.amdhsa_wavefront_size32 1
		.amdhsa_uses_dynamic_stack 0
		.amdhsa_system_sgpr_private_segment_wavefront_offset 1
		.amdhsa_system_sgpr_workgroup_id_x 1
		.amdhsa_system_sgpr_workgroup_id_y 0
		.amdhsa_system_sgpr_workgroup_id_z 0
		.amdhsa_system_sgpr_workgroup_info 0
		.amdhsa_system_vgpr_workitem_id 0
		.amdhsa_next_free_vgpr 254
		.amdhsa_next_free_sgpr 23
		.amdhsa_reserve_vcc 1
		.amdhsa_reserve_flat_scratch 0
		.amdhsa_float_round_mode_32 0
		.amdhsa_float_round_mode_16_64 0
		.amdhsa_float_denorm_mode_32 3
		.amdhsa_float_denorm_mode_16_64 3
		.amdhsa_dx10_clamp 1
		.amdhsa_ieee_mode 1
		.amdhsa_fp16_overflow 0
		.amdhsa_workgroup_processor_mode 1
		.amdhsa_memory_ordered 1
		.amdhsa_forward_progress 1
		.amdhsa_shared_vgpr_count 0
		.amdhsa_exception_fp_ieee_invalid_op 0
		.amdhsa_exception_fp_denorm_src 0
		.amdhsa_exception_fp_ieee_div_zero 0
		.amdhsa_exception_fp_ieee_overflow 0
		.amdhsa_exception_fp_ieee_underflow 0
		.amdhsa_exception_fp_ieee_inexact 0
		.amdhsa_exception_int_div_zero 0
	.end_amdhsa_kernel
	.section	.text._ZN9rocsolver6v33100L18getri_kernel_smallILi62E19rocblas_complex_numIfEPS3_EEvT1_iilPiilS6_bb,"axG",@progbits,_ZN9rocsolver6v33100L18getri_kernel_smallILi62E19rocblas_complex_numIfEPS3_EEvT1_iilPiilS6_bb,comdat
.Lfunc_end61:
	.size	_ZN9rocsolver6v33100L18getri_kernel_smallILi62E19rocblas_complex_numIfEPS3_EEvT1_iilPiilS6_bb, .Lfunc_end61-_ZN9rocsolver6v33100L18getri_kernel_smallILi62E19rocblas_complex_numIfEPS3_EEvT1_iilPiilS6_bb
                                        ; -- End function
	.set _ZN9rocsolver6v33100L18getri_kernel_smallILi62E19rocblas_complex_numIfEPS3_EEvT1_iilPiilS6_bb.num_vgpr, 254
	.set _ZN9rocsolver6v33100L18getri_kernel_smallILi62E19rocblas_complex_numIfEPS3_EEvT1_iilPiilS6_bb.num_agpr, 0
	.set _ZN9rocsolver6v33100L18getri_kernel_smallILi62E19rocblas_complex_numIfEPS3_EEvT1_iilPiilS6_bb.numbered_sgpr, 23
	.set _ZN9rocsolver6v33100L18getri_kernel_smallILi62E19rocblas_complex_numIfEPS3_EEvT1_iilPiilS6_bb.num_named_barrier, 0
	.set _ZN9rocsolver6v33100L18getri_kernel_smallILi62E19rocblas_complex_numIfEPS3_EEvT1_iilPiilS6_bb.private_seg_size, 512
	.set _ZN9rocsolver6v33100L18getri_kernel_smallILi62E19rocblas_complex_numIfEPS3_EEvT1_iilPiilS6_bb.uses_vcc, 1
	.set _ZN9rocsolver6v33100L18getri_kernel_smallILi62E19rocblas_complex_numIfEPS3_EEvT1_iilPiilS6_bb.uses_flat_scratch, 0
	.set _ZN9rocsolver6v33100L18getri_kernel_smallILi62E19rocblas_complex_numIfEPS3_EEvT1_iilPiilS6_bb.has_dyn_sized_stack, 0
	.set _ZN9rocsolver6v33100L18getri_kernel_smallILi62E19rocblas_complex_numIfEPS3_EEvT1_iilPiilS6_bb.has_recursion, 0
	.set _ZN9rocsolver6v33100L18getri_kernel_smallILi62E19rocblas_complex_numIfEPS3_EEvT1_iilPiilS6_bb.has_indirect_call, 0
	.section	.AMDGPU.csdata,"",@progbits
; Kernel info:
; codeLenInByte = 139164
; TotalNumSgprs: 25
; NumVgprs: 254
; ScratchSize: 512
; MemoryBound: 0
; FloatMode: 240
; IeeeMode: 1
; LDSByteSize: 996 bytes/workgroup (compile time only)
; SGPRBlocks: 0
; VGPRBlocks: 31
; NumSGPRsForWavesPerEU: 25
; NumVGPRsForWavesPerEU: 254
; Occupancy: 4
; WaveLimiterHint : 1
; COMPUTE_PGM_RSRC2:SCRATCH_EN: 1
; COMPUTE_PGM_RSRC2:USER_SGPR: 6
; COMPUTE_PGM_RSRC2:TRAP_HANDLER: 0
; COMPUTE_PGM_RSRC2:TGID_X_EN: 1
; COMPUTE_PGM_RSRC2:TGID_Y_EN: 0
; COMPUTE_PGM_RSRC2:TGID_Z_EN: 0
; COMPUTE_PGM_RSRC2:TIDIG_COMP_CNT: 0
	.section	.text._ZN9rocsolver6v33100L18getri_kernel_smallILi63E19rocblas_complex_numIfEPS3_EEvT1_iilPiilS6_bb,"axG",@progbits,_ZN9rocsolver6v33100L18getri_kernel_smallILi63E19rocblas_complex_numIfEPS3_EEvT1_iilPiilS6_bb,comdat
	.globl	_ZN9rocsolver6v33100L18getri_kernel_smallILi63E19rocblas_complex_numIfEPS3_EEvT1_iilPiilS6_bb ; -- Begin function _ZN9rocsolver6v33100L18getri_kernel_smallILi63E19rocblas_complex_numIfEPS3_EEvT1_iilPiilS6_bb
	.p2align	8
	.type	_ZN9rocsolver6v33100L18getri_kernel_smallILi63E19rocblas_complex_numIfEPS3_EEvT1_iilPiilS6_bb,@function
_ZN9rocsolver6v33100L18getri_kernel_smallILi63E19rocblas_complex_numIfEPS3_EEvT1_iilPiilS6_bb: ; @_ZN9rocsolver6v33100L18getri_kernel_smallILi63E19rocblas_complex_numIfEPS3_EEvT1_iilPiilS6_bb
; %bb.0:
	s_add_u32 s0, s0, s7
	s_addc_u32 s1, s1, 0
	s_mov_b32 s7, exec_lo
	v_cmpx_gt_u32_e32 63, v0
	s_cbranch_execz .LBB62_266
; %bb.1:
	s_clause 0x2
	s_load_dword s7, s[4:5], 0x38
	s_load_dwordx4 s[16:19], s[4:5], 0x10
	s_load_dwordx4 s[8:11], s[4:5], 0x28
                                        ; implicit-def: $sgpr20_sgpr21
	s_waitcnt lgkmcnt(0)
	s_bitcmp1_b32 s7, 8
	s_cselect_b32 s22, -1, 0
	s_bfe_u32 s12, s7, 0x10008
	s_ashr_i32 s7, s6, 31
	s_cmp_eq_u32 s12, 0
	s_cbranch_scc1 .LBB62_3
; %bb.2:
	s_load_dword s12, s[4:5], 0x20
	s_mul_i32 s13, s8, s7
	s_mul_hi_u32 s14, s8, s6
	s_mul_i32 s9, s9, s6
	s_add_i32 s13, s14, s13
	s_mul_i32 s8, s8, s6
	s_add_i32 s9, s13, s9
	s_lshl_b64 s[8:9], s[8:9], 2
	s_waitcnt lgkmcnt(0)
	s_ashr_i32 s13, s12, 31
	s_add_u32 s14, s18, s8
	s_addc_u32 s15, s19, s9
	s_lshl_b64 s[8:9], s[12:13], 2
	s_add_u32 s20, s14, s8
	s_addc_u32 s21, s15, s9
.LBB62_3:
	s_clause 0x1
	s_load_dwordx4 s[12:15], s[4:5], 0x0
	s_load_dword s8, s[4:5], 0x38
	s_mul_i32 s4, s16, s7
	s_mul_hi_u32 s5, s16, s6
	s_mul_i32 s9, s17, s6
	s_add_i32 s5, s5, s4
	s_mul_i32 s4, s16, s6
	s_add_i32 s5, s5, s9
	s_lshl_b64 s[4:5], s[4:5], 3
	s_waitcnt lgkmcnt(0)
	v_add3_u32 v1, s15, s15, v0
	s_ashr_i32 s17, s14, 31
	s_mov_b32 s16, s14
	s_add_u32 s9, s12, s4
	s_addc_u32 s12, s13, s5
	v_add_nc_u32_e32 v3, s15, v1
	v_ashrrev_i32_e32 v2, 31, v1
	s_lshl_b64 s[4:5], s[16:17], 3
	s_add_u32 s4, s9, s4
	v_add_nc_u32_e32 v5, s15, v3
	v_ashrrev_i32_e32 v4, 31, v3
	v_lshlrev_b64 v[1:2], 3, v[1:2]
	s_addc_u32 s5, s12, s5
	s_ashr_i32 s13, s15, 31
	v_ashrrev_i32_e32 v6, 31, v5
	v_add_nc_u32_e32 v7, s15, v5
	v_lshlrev_b64 v[3:4], 3, v[3:4]
	v_add_co_u32 v13, vcc_lo, s4, v1
	v_add_co_ci_u32_e64 v14, null, s5, v2, vcc_lo
	v_lshlrev_b64 v[1:2], 3, v[5:6]
	v_ashrrev_i32_e32 v8, 31, v7
	v_add_nc_u32_e32 v5, s15, v7
	v_add_co_u32 v15, vcc_lo, s4, v3
	v_add_co_ci_u32_e64 v16, null, s5, v4, vcc_lo
	v_lshlrev_b64 v[3:4], 3, v[7:8]
	v_ashrrev_i32_e32 v6, 31, v5
	v_add_nc_u32_e32 v7, s15, v5
	;; [unrolled: 5-line block ×20, first 2 shown]
	v_add_co_u32 v53, vcc_lo, s4, v1
	v_add_co_ci_u32_e64 v54, null, s5, v2, vcc_lo
	v_lshlrev_b64 v[1:2], 3, v[5:6]
	v_add_nc_u32_e32 v5, s15, v7
	v_ashrrev_i32_e32 v8, 31, v7
	v_add_co_u32 v55, vcc_lo, s4, v3
	v_add_co_ci_u32_e64 v56, null, s5, v4, vcc_lo
	v_ashrrev_i32_e32 v6, 31, v5
	v_add_nc_u32_e32 v4, s15, v5
	v_lshlrev_b64 v[7:8], 3, v[7:8]
	v_add_co_u32 v57, vcc_lo, s4, v1
	v_lshlrev_b64 v[9:10], 3, v[5:6]
	v_add_nc_u32_e32 v6, s15, v4
	v_ashrrev_i32_e32 v5, 31, v4
	v_add_co_ci_u32_e64 v58, null, s5, v2, vcc_lo
	v_add_co_u32 v59, vcc_lo, s4, v7
	v_add_co_ci_u32_e64 v60, null, s5, v8, vcc_lo
	v_add_nc_u32_e32 v8, s15, v6
	v_lshlrev_b64 v[4:5], 3, v[4:5]
	v_ashrrev_i32_e32 v7, 31, v6
	v_add_co_u32 v61, vcc_lo, s4, v9
	v_add_co_ci_u32_e64 v62, null, s5, v10, vcc_lo
	v_ashrrev_i32_e32 v9, 31, v8
	v_add_nc_u32_e32 v10, s15, v8
	v_lshlrev_b64 v[6:7], 3, v[6:7]
	v_add_co_u32 v63, vcc_lo, s4, v4
	v_add_co_ci_u32_e64 v64, null, s5, v5, vcc_lo
	v_lshlrev_b64 v[4:5], 3, v[8:9]
	v_ashrrev_i32_e32 v11, 31, v10
	v_add_nc_u32_e32 v8, s15, v10
	v_lshlrev_b32_e32 v3, 3, v0
	v_add_co_u32 v65, vcc_lo, s4, v6
	v_add_co_ci_u32_e64 v66, null, s5, v7, vcc_lo
	v_lshlrev_b64 v[6:7], 3, v[10:11]
	v_ashrrev_i32_e32 v9, 31, v8
	v_add_nc_u32_e32 v10, s15, v8
	global_load_dwordx2 v[1:2], v3, s[4:5]
	v_add_co_u32 v67, vcc_lo, s4, v4
	v_add_co_ci_u32_e64 v68, null, s5, v5, vcc_lo
	v_lshlrev_b64 v[4:5], 3, v[8:9]
	v_ashrrev_i32_e32 v11, 31, v10
	v_add_nc_u32_e32 v8, s15, v10
	v_add_co_u32 v69, vcc_lo, s4, v6
	v_add_co_ci_u32_e64 v70, null, s5, v7, vcc_lo
	v_lshlrev_b64 v[6:7], 3, v[10:11]
	v_ashrrev_i32_e32 v9, 31, v8
	v_add_nc_u32_e32 v10, s15, v8
	;; [unrolled: 5-line block ×14, first 2 shown]
	v_add_co_u32 v95, vcc_lo, s4, v4
	v_add_co_ci_u32_e64 v96, null, s5, v5, vcc_lo
	v_lshlrev_b64 v[4:5], 3, v[8:9]
	v_add_nc_u32_e32 v8, s15, v10
	v_ashrrev_i32_e32 v11, 31, v10
	v_add_co_u32 v97, vcc_lo, s4, v6
	v_add_co_ci_u32_e64 v98, null, s5, v7, vcc_lo
	v_ashrrev_i32_e32 v9, 31, v8
	v_add_co_u32 v99, vcc_lo, s4, v4
	v_lshlrev_b64 v[6:7], 3, v[10:11]
	v_add_co_ci_u32_e64 v100, null, s5, v5, vcc_lo
	v_lshlrev_b64 v[4:5], 3, v[8:9]
	v_add_nc_u32_e32 v8, s15, v8
	v_add_co_u32 v107, s9, s4, v3
	v_add_co_u32 v101, vcc_lo, s4, v6
	v_ashrrev_i32_e32 v9, 31, v8
	v_add_co_ci_u32_e64 v102, null, s5, v7, vcc_lo
	v_add_co_u32 v103, vcc_lo, s4, v4
	v_add_nc_u32_e32 v6, s15, v8
	v_add_co_ci_u32_e64 v104, null, s5, v5, vcc_lo
	v_lshlrev_b64 v[4:5], 3, v[8:9]
	s_mov_b32 s12, s15
	v_add_co_ci_u32_e64 v108, null, s5, 0, s9
	s_lshl_b64 s[12:13], s[12:13], 3
	v_ashrrev_i32_e32 v7, 31, v6
	v_add_co_u32 v111, vcc_lo, v107, s12
	v_add_co_ci_u32_e64 v112, null, s13, v108, vcc_lo
	v_add_co_u32 v105, vcc_lo, s4, v4
	v_add_co_ci_u32_e64 v106, null, s5, v5, vcc_lo
	v_lshlrev_b64 v[4:5], 3, v[6:7]
	v_add_nc_u32_e32 v6, s15, v6
	s_clause 0xf
	global_load_dwordx2 v[8:9], v[111:112], off
	global_load_dwordx2 v[10:11], v[13:14], off
	;; [unrolled: 1-line block ×16, first 2 shown]
	v_ashrrev_i32_e32 v7, 31, v6
	v_add_co_u32 v109, vcc_lo, s4, v4
	v_add_co_ci_u32_e64 v110, null, s5, v5, vcc_lo
	v_lshlrev_b64 v[4:5], 3, v[6:7]
	v_add_nc_u32_e32 v6, s15, v6
	s_clause 0x7
	global_load_dwordx2 v[167:168], v[43:44], off
	global_load_dwordx2 v[169:170], v[45:46], off
	;; [unrolled: 1-line block ×8, first 2 shown]
	s_bitcmp0_b32 s8, 0
	v_ashrrev_i32_e32 v7, 31, v6
	v_add_co_u32 v113, vcc_lo, s4, v4
	v_add_co_ci_u32_e64 v114, null, s5, v5, vcc_lo
	v_lshlrev_b64 v[4:5], 3, v[6:7]
	v_add_nc_u32_e32 v6, s15, v6
	v_ashrrev_i32_e32 v7, 31, v6
	v_add_co_u32 v115, vcc_lo, s4, v4
	v_add_co_ci_u32_e64 v116, null, s5, v5, vcc_lo
	v_lshlrev_b64 v[4:5], 3, v[6:7]
	v_add_nc_u32_e32 v6, s15, v6
	;; [unrolled: 5-line block ×4, first 2 shown]
	v_add_nc_u32_e32 v123, s15, v6
	v_ashrrev_i32_e32 v7, 31, v6
	v_add_co_u32 v121, vcc_lo, s4, v4
	v_add_co_ci_u32_e64 v122, null, s5, v5, vcc_lo
	v_add_nc_u32_e32 v127, s15, v123
	v_lshlrev_b64 v[4:5], 3, v[6:7]
	v_ashrrev_i32_e32 v124, 31, v123
	s_clause 0x7
	global_load_dwordx2 v[6:7], v[59:60], off
	global_load_dwordx2 v[183:184], v[61:62], off
	;; [unrolled: 1-line block ×8, first 2 shown]
	v_ashrrev_i32_e32 v128, 31, v127
	v_add_nc_u32_e32 v129, s15, v127
	v_lshlrev_b64 v[125:126], 3, v[123:124]
	v_add_co_u32 v123, vcc_lo, s4, v4
	v_add_co_ci_u32_e64 v124, null, s5, v5, vcc_lo
	v_lshlrev_b64 v[4:5], 3, v[127:128]
	v_ashrrev_i32_e32 v130, 31, v129
	v_add_co_u32 v125, vcc_lo, s4, v125
	v_add_co_ci_u32_e64 v126, null, s5, v126, vcc_lo
	v_add_co_u32 v127, vcc_lo, s4, v4
	v_add_nc_u32_e32 v131, s15, v129
	v_add_co_ci_u32_e64 v128, null, s5, v5, vcc_lo
	v_lshlrev_b64 v[4:5], 3, v[129:130]
	s_clause 0x3
	global_load_dwordx2 v[197:198], v[75:76], off
	global_load_dwordx2 v[199:200], v[77:78], off
	;; [unrolled: 1-line block ×4, first 2 shown]
	v_ashrrev_i32_e32 v132, 31, v131
	v_add_nc_u32_e32 v133, s15, v131
	s_clause 0x3
	global_load_dwordx2 v[205:206], v[83:84], off
	global_load_dwordx2 v[207:208], v[85:86], off
	;; [unrolled: 1-line block ×4, first 2 shown]
	v_add_co_u32 v129, vcc_lo, s4, v4
	v_add_co_ci_u32_e64 v130, null, s5, v5, vcc_lo
	v_lshlrev_b64 v[4:5], 3, v[131:132]
	v_add_nc_u32_e32 v135, s15, v133
	v_ashrrev_i32_e32 v134, 31, v133
	v_add_co_u32 v131, vcc_lo, s4, v4
	v_add_co_ci_u32_e64 v132, null, s5, v5, vcc_lo
	s_clause 0x12
	global_load_dwordx2 v[4:5], v[91:92], off
	global_load_dwordx2 v[213:214], v[93:94], off
	;; [unrolled: 1-line block ×19, first 2 shown]
	v_add_nc_u32_e32 v137, s15, v135
	v_ashrrev_i32_e32 v136, 31, v135
	v_lshlrev_b64 v[133:134], 3, v[133:134]
	v_ashrrev_i32_e32 v138, 31, v137
	v_lshlrev_b64 v[135:136], 3, v[135:136]
	v_add_co_u32 v133, vcc_lo, s4, v133
	v_lshlrev_b64 v[137:138], 3, v[137:138]
	v_add_co_ci_u32_e64 v134, null, s5, v134, vcc_lo
	v_add_co_u32 v135, vcc_lo, s4, v135
	v_add_co_ci_u32_e64 v136, null, s5, v136, vcc_lo
	v_add_co_u32 v137, vcc_lo, s4, v137
	v_add_co_ci_u32_e64 v138, null, s5, v138, vcc_lo
	s_clause 0x1
	global_load_dwordx2 v[249:250], v[133:134], off
	global_load_dwordx2 v[251:252], v[135:136], off
	s_mov_b32 s5, -1
	s_waitcnt vmcnt(61)
	buffer_store_dword v2, off, s[0:3], 0 offset:4
	buffer_store_dword v1, off, s[0:3], 0
	global_load_dwordx2 v[1:2], v[137:138], off
	s_waitcnt vmcnt(61)
	buffer_store_dword v9, off, s[0:3], 0 offset:12
	buffer_store_dword v8, off, s[0:3], 0 offset:8
	s_waitcnt vmcnt(60)
	buffer_store_dword v11, off, s[0:3], 0 offset:20
	buffer_store_dword v10, off, s[0:3], 0 offset:16
	s_waitcnt vmcnt(59)
	buffer_store_dword v140, off, s[0:3], 0 offset:28
	buffer_store_dword v139, off, s[0:3], 0 offset:24
	s_waitcnt vmcnt(58)
	buffer_store_dword v142, off, s[0:3], 0 offset:36
	buffer_store_dword v141, off, s[0:3], 0 offset:32
	s_waitcnt vmcnt(57)
	buffer_store_dword v144, off, s[0:3], 0 offset:44
	buffer_store_dword v143, off, s[0:3], 0 offset:40
	s_waitcnt vmcnt(56)
	buffer_store_dword v146, off, s[0:3], 0 offset:52
	buffer_store_dword v145, off, s[0:3], 0 offset:48
	s_waitcnt vmcnt(55)
	buffer_store_dword v148, off, s[0:3], 0 offset:60
	buffer_store_dword v147, off, s[0:3], 0 offset:56
	s_waitcnt vmcnt(54)
	buffer_store_dword v150, off, s[0:3], 0 offset:68
	buffer_store_dword v149, off, s[0:3], 0 offset:64
	s_waitcnt vmcnt(53)
	buffer_store_dword v151, off, s[0:3], 0 offset:72
	buffer_store_dword v152, off, s[0:3], 0 offset:76
	s_waitcnt vmcnt(52)
	buffer_store_dword v153, off, s[0:3], 0 offset:80
	buffer_store_dword v154, off, s[0:3], 0 offset:84
	s_waitcnt vmcnt(51)
	buffer_store_dword v155, off, s[0:3], 0 offset:88
	buffer_store_dword v156, off, s[0:3], 0 offset:92
	s_waitcnt vmcnt(50)
	buffer_store_dword v157, off, s[0:3], 0 offset:96
	buffer_store_dword v158, off, s[0:3], 0 offset:100
	s_waitcnt vmcnt(49)
	buffer_store_dword v159, off, s[0:3], 0 offset:104
	buffer_store_dword v160, off, s[0:3], 0 offset:108
	s_waitcnt vmcnt(48)
	buffer_store_dword v162, off, s[0:3], 0 offset:116
	buffer_store_dword v161, off, s[0:3], 0 offset:112
	s_waitcnt vmcnt(47)
	buffer_store_dword v163, off, s[0:3], 0 offset:120
	buffer_store_dword v164, off, s[0:3], 0 offset:124
	s_waitcnt vmcnt(46)
	buffer_store_dword v165, off, s[0:3], 0 offset:128
	buffer_store_dword v166, off, s[0:3], 0 offset:132
	s_waitcnt vmcnt(45)
	buffer_store_dword v167, off, s[0:3], 0 offset:136
	buffer_store_dword v168, off, s[0:3], 0 offset:140
	s_waitcnt vmcnt(44)
	buffer_store_dword v169, off, s[0:3], 0 offset:144
	buffer_store_dword v170, off, s[0:3], 0 offset:148
	s_waitcnt vmcnt(43)
	buffer_store_dword v172, off, s[0:3], 0 offset:156
	buffer_store_dword v171, off, s[0:3], 0 offset:152
	s_waitcnt vmcnt(42)
	buffer_store_dword v174, off, s[0:3], 0 offset:164
	buffer_store_dword v173, off, s[0:3], 0 offset:160
	s_waitcnt vmcnt(41)
	buffer_store_dword v175, off, s[0:3], 0 offset:168
	buffer_store_dword v176, off, s[0:3], 0 offset:172
	s_waitcnt vmcnt(40)
	buffer_store_dword v177, off, s[0:3], 0 offset:176
	buffer_store_dword v178, off, s[0:3], 0 offset:180
	s_waitcnt vmcnt(39)
	buffer_store_dword v179, off, s[0:3], 0 offset:184
	buffer_store_dword v180, off, s[0:3], 0 offset:188
	s_waitcnt vmcnt(38)
	buffer_store_dword v181, off, s[0:3], 0 offset:192
	buffer_store_dword v182, off, s[0:3], 0 offset:196
	s_waitcnt vmcnt(37)
	buffer_store_dword v7, off, s[0:3], 0 offset:204
	buffer_store_dword v6, off, s[0:3], 0 offset:200
	s_waitcnt vmcnt(36)
	buffer_store_dword v184, off, s[0:3], 0 offset:212
	buffer_store_dword v183, off, s[0:3], 0 offset:208
	s_waitcnt vmcnt(35)
	buffer_store_dword v185, off, s[0:3], 0 offset:216
	buffer_store_dword v186, off, s[0:3], 0 offset:220
	s_waitcnt vmcnt(34)
	buffer_store_dword v187, off, s[0:3], 0 offset:224
	buffer_store_dword v188, off, s[0:3], 0 offset:228
	s_waitcnt vmcnt(33)
	buffer_store_dword v189, off, s[0:3], 0 offset:232
	buffer_store_dword v190, off, s[0:3], 0 offset:236
	s_waitcnt vmcnt(32)
	buffer_store_dword v191, off, s[0:3], 0 offset:240
	buffer_store_dword v192, off, s[0:3], 0 offset:244
	s_waitcnt vmcnt(31)
	buffer_store_dword v194, off, s[0:3], 0 offset:252
	buffer_store_dword v193, off, s[0:3], 0 offset:248
	s_waitcnt vmcnt(30)
	buffer_store_dword v196, off, s[0:3], 0 offset:260
	buffer_store_dword v195, off, s[0:3], 0 offset:256
	s_waitcnt vmcnt(29)
	buffer_store_dword v197, off, s[0:3], 0 offset:264
	buffer_store_dword v198, off, s[0:3], 0 offset:268
	s_waitcnt vmcnt(28)
	buffer_store_dword v199, off, s[0:3], 0 offset:272
	buffer_store_dword v200, off, s[0:3], 0 offset:276
	s_waitcnt vmcnt(27)
	buffer_store_dword v201, off, s[0:3], 0 offset:280
	buffer_store_dword v202, off, s[0:3], 0 offset:284
	s_waitcnt vmcnt(26)
	buffer_store_dword v203, off, s[0:3], 0 offset:288
	buffer_store_dword v204, off, s[0:3], 0 offset:292
	s_waitcnt vmcnt(25)
	buffer_store_dword v206, off, s[0:3], 0 offset:300
	buffer_store_dword v205, off, s[0:3], 0 offset:296
	s_waitcnt vmcnt(24)
	buffer_store_dword v208, off, s[0:3], 0 offset:308
	buffer_store_dword v207, off, s[0:3], 0 offset:304
	s_waitcnt vmcnt(23)
	buffer_store_dword v209, off, s[0:3], 0 offset:312
	buffer_store_dword v210, off, s[0:3], 0 offset:316
	s_waitcnt vmcnt(22)
	buffer_store_dword v211, off, s[0:3], 0 offset:320
	buffer_store_dword v212, off, s[0:3], 0 offset:324
	s_waitcnt vmcnt(21)
	buffer_store_dword v4, off, s[0:3], 0 offset:328
	buffer_store_dword v5, off, s[0:3], 0 offset:332
	s_waitcnt vmcnt(20)
	buffer_store_dword v213, off, s[0:3], 0 offset:336
	buffer_store_dword v214, off, s[0:3], 0 offset:340
	s_waitcnt vmcnt(19)
	buffer_store_dword v216, off, s[0:3], 0 offset:348
	buffer_store_dword v215, off, s[0:3], 0 offset:344
	s_waitcnt vmcnt(18)
	buffer_store_dword v218, off, s[0:3], 0 offset:356
	buffer_store_dword v217, off, s[0:3], 0 offset:352
	s_waitcnt vmcnt(17)
	buffer_store_dword v219, off, s[0:3], 0 offset:360
	buffer_store_dword v220, off, s[0:3], 0 offset:364
	s_waitcnt vmcnt(16)
	buffer_store_dword v221, off, s[0:3], 0 offset:368
	buffer_store_dword v222, off, s[0:3], 0 offset:372
	s_waitcnt vmcnt(15)
	buffer_store_dword v223, off, s[0:3], 0 offset:376
	buffer_store_dword v224, off, s[0:3], 0 offset:380
	s_waitcnt vmcnt(14)
	buffer_store_dword v225, off, s[0:3], 0 offset:384
	buffer_store_dword v226, off, s[0:3], 0 offset:388
	s_waitcnt vmcnt(13)
	buffer_store_dword v228, off, s[0:3], 0 offset:396
	buffer_store_dword v227, off, s[0:3], 0 offset:392
	s_waitcnt vmcnt(12)
	buffer_store_dword v230, off, s[0:3], 0 offset:404
	buffer_store_dword v229, off, s[0:3], 0 offset:400
	s_waitcnt vmcnt(11)
	buffer_store_dword v231, off, s[0:3], 0 offset:408
	buffer_store_dword v232, off, s[0:3], 0 offset:412
	s_waitcnt vmcnt(10)
	buffer_store_dword v233, off, s[0:3], 0 offset:416
	buffer_store_dword v234, off, s[0:3], 0 offset:420
	s_waitcnt vmcnt(9)
	buffer_store_dword v235, off, s[0:3], 0 offset:424
	buffer_store_dword v236, off, s[0:3], 0 offset:428
	s_waitcnt vmcnt(8)
	buffer_store_dword v237, off, s[0:3], 0 offset:432
	buffer_store_dword v238, off, s[0:3], 0 offset:436
	s_waitcnt vmcnt(7)
	buffer_store_dword v240, off, s[0:3], 0 offset:444
	buffer_store_dword v239, off, s[0:3], 0 offset:440
	s_waitcnt vmcnt(6)
	buffer_store_dword v242, off, s[0:3], 0 offset:452
	buffer_store_dword v241, off, s[0:3], 0 offset:448
	s_waitcnt vmcnt(5)
	buffer_store_dword v243, off, s[0:3], 0 offset:456
	buffer_store_dword v244, off, s[0:3], 0 offset:460
	s_waitcnt vmcnt(4)
	buffer_store_dword v245, off, s[0:3], 0 offset:464
	buffer_store_dword v246, off, s[0:3], 0 offset:468
	s_waitcnt vmcnt(3)
	buffer_store_dword v247, off, s[0:3], 0 offset:472
	buffer_store_dword v248, off, s[0:3], 0 offset:476
	s_waitcnt vmcnt(2)
	buffer_store_dword v249, off, s[0:3], 0 offset:480
	buffer_store_dword v250, off, s[0:3], 0 offset:484
	s_waitcnt vmcnt(1)
	buffer_store_dword v252, off, s[0:3], 0 offset:492
	buffer_store_dword v251, off, s[0:3], 0 offset:488
	s_waitcnt vmcnt(0)
	buffer_store_dword v2, off, s[0:3], 0 offset:500
	buffer_store_dword v1, off, s[0:3], 0 offset:496
	s_cbranch_scc1 .LBB62_264
; %bb.4:
	v_cmp_eq_u32_e64 s4, 0, v0
	s_and_saveexec_b32 s5, s4
; %bb.5:
	v_mov_b32_e32 v1, 0
	ds_write_b32 v1, v1 offset:504
; %bb.6:
	s_or_b32 exec_lo, exec_lo, s5
	v_lshl_add_u32 v5, v0, 3, 0
	s_waitcnt lgkmcnt(0)
	s_waitcnt_vscnt null, 0x0
	s_barrier
	buffer_gl0_inv
	s_clause 0x1
	buffer_load_dword v1, v5, s[0:3], 0 offen
	buffer_load_dword v2, v5, s[0:3], 0 offen offset:4
	s_waitcnt vmcnt(1)
	v_cmp_eq_f32_e32 vcc_lo, 0, v1
	s_waitcnt vmcnt(0)
	v_cmp_eq_f32_e64 s5, 0, v2
	s_and_b32 s5, vcc_lo, s5
	s_and_saveexec_b32 s8, s5
	s_cbranch_execz .LBB62_10
; %bb.7:
	v_mov_b32_e32 v1, 0
	s_mov_b32 s9, 0
	ds_read_b32 v2, v1 offset:504
	s_waitcnt lgkmcnt(0)
	v_readfirstlane_b32 s5, v2
	v_add_nc_u32_e32 v2, 1, v0
	s_cmp_eq_u32 s5, 0
	v_cmp_gt_i32_e32 vcc_lo, s5, v2
	s_cselect_b32 s12, -1, 0
	s_or_b32 s12, s12, vcc_lo
	s_and_b32 exec_lo, exec_lo, s12
	s_cbranch_execz .LBB62_10
; %bb.8:
	v_mov_b32_e32 v4, s5
.LBB62_9:                               ; =>This Inner Loop Header: Depth=1
	ds_cmpst_rtn_b32 v4, v1, v4, v2 offset:504
	s_waitcnt lgkmcnt(0)
	v_cmp_ne_u32_e32 vcc_lo, 0, v4
	v_cmp_le_i32_e64 s5, v4, v2
	s_and_b32 s5, vcc_lo, s5
	s_and_b32 s5, exec_lo, s5
	s_or_b32 s9, s5, s9
	s_andn2_b32 exec_lo, exec_lo, s9
	s_cbranch_execnz .LBB62_9
.LBB62_10:
	s_or_b32 exec_lo, exec_lo, s8
	v_mov_b32_e32 v1, 0
	s_barrier
	buffer_gl0_inv
	ds_read_b32 v2, v1 offset:504
	s_and_saveexec_b32 s5, s4
	s_cbranch_execz .LBB62_12
; %bb.11:
	s_lshl_b64 s[8:9], s[6:7], 2
	s_add_u32 s8, s10, s8
	s_addc_u32 s9, s11, s9
	s_waitcnt lgkmcnt(0)
	global_store_dword v1, v2, s[8:9]
.LBB62_12:
	s_or_b32 exec_lo, exec_lo, s5
	s_waitcnt lgkmcnt(0)
	v_cmp_ne_u32_e32 vcc_lo, 0, v2
	s_mov_b32 s5, 0
	s_cbranch_vccnz .LBB62_264
; %bb.13:
	s_clause 0x1
	buffer_load_dword v2, v5, s[0:3], 0 offen
	buffer_load_dword v4, v5, s[0:3], 0 offen offset:4
                                        ; implicit-def: $vgpr7
                                        ; implicit-def: $vgpr6
                                        ; implicit-def: $vgpr1
	s_waitcnt vmcnt(0)
	v_cmp_ngt_f32_e64 s5, |v2|, |v4|
	s_and_saveexec_b32 s8, s5
	s_xor_b32 s5, exec_lo, s8
	s_cbranch_execz .LBB62_15
; %bb.14:
	v_div_scale_f32 v1, null, v4, v4, v2
	v_div_scale_f32 v8, vcc_lo, v2, v4, v2
	v_rcp_f32_e32 v6, v1
	v_fma_f32 v7, -v1, v6, 1.0
	v_fmac_f32_e32 v6, v7, v6
	v_mul_f32_e32 v7, v8, v6
	v_fma_f32 v9, -v1, v7, v8
	v_fmac_f32_e32 v7, v9, v6
	v_fma_f32 v1, -v1, v7, v8
	v_div_fmas_f32 v1, v1, v6, v7
	v_div_fixup_f32 v1, v1, v4, v2
	v_fmac_f32_e32 v4, v2, v1
	v_div_scale_f32 v2, null, v4, v4, 1.0
	v_rcp_f32_e32 v6, v2
	v_fma_f32 v7, -v2, v6, 1.0
	v_fmac_f32_e32 v6, v7, v6
	v_div_scale_f32 v7, vcc_lo, 1.0, v4, 1.0
	v_mul_f32_e32 v8, v7, v6
	v_fma_f32 v9, -v2, v8, v7
	v_fmac_f32_e32 v8, v9, v6
	v_fma_f32 v2, -v2, v8, v7
	v_div_fmas_f32 v2, v2, v6, v8
	v_div_fixup_f32 v2, v2, v4, 1.0
                                        ; implicit-def: $vgpr4
	v_mul_f32_e32 v7, v1, v2
	v_xor_b32_e32 v6, 0x80000000, v2
                                        ; implicit-def: $vgpr2
	v_xor_b32_e32 v1, 0x80000000, v7
.LBB62_15:
	s_andn2_saveexec_b32 s5, s5
	s_cbranch_execz .LBB62_17
; %bb.16:
	v_div_scale_f32 v1, null, v2, v2, v4
	v_div_scale_f32 v8, vcc_lo, v4, v2, v4
	v_rcp_f32_e32 v6, v1
	v_fma_f32 v7, -v1, v6, 1.0
	v_fmac_f32_e32 v6, v7, v6
	v_mul_f32_e32 v7, v8, v6
	v_fma_f32 v9, -v1, v7, v8
	v_fmac_f32_e32 v7, v9, v6
	v_fma_f32 v1, -v1, v7, v8
	v_div_fmas_f32 v1, v1, v6, v7
	v_div_fixup_f32 v6, v1, v2, v4
	v_fmac_f32_e32 v2, v4, v6
	v_div_scale_f32 v1, null, v2, v2, 1.0
	v_div_scale_f32 v8, vcc_lo, 1.0, v2, 1.0
	v_rcp_f32_e32 v4, v1
	v_fma_f32 v7, -v1, v4, 1.0
	v_fmac_f32_e32 v4, v7, v4
	v_mul_f32_e32 v7, v8, v4
	v_fma_f32 v9, -v1, v7, v8
	v_fmac_f32_e32 v7, v9, v4
	v_fma_f32 v1, -v1, v7, v8
	v_div_fmas_f32 v1, v1, v4, v7
	v_div_fixup_f32 v7, v1, v2, 1.0
	v_xor_b32_e32 v1, 0x80000000, v7
	v_mul_f32_e64 v6, v6, -v7
.LBB62_17:
	s_or_b32 exec_lo, exec_lo, s5
	buffer_store_dword v7, v5, s[0:3], 0 offen
	buffer_store_dword v6, v5, s[0:3], 0 offen offset:4
	s_clause 0x1
	buffer_load_dword v8, off, s[0:3], 0 offset:12
	buffer_load_dword v7, off, s[0:3], 0 offset:8
	v_xor_b32_e32 v2, 0x80000000, v6
	v_or_b32_e32 v4, 0x200, v3
	s_waitcnt vmcnt(0)
	ds_write2st64_b64 v3, v[1:2], v[7:8] offset1:1
	s_waitcnt lgkmcnt(0)
	s_waitcnt_vscnt null, 0x0
	s_barrier
	buffer_gl0_inv
	s_and_saveexec_b32 s5, s4
	s_cbranch_execz .LBB62_19
; %bb.18:
	s_clause 0x1
	buffer_load_dword v8, v5, s[0:3], 0 offen offset:4
	buffer_load_dword v9, v5, s[0:3], 0 offen
	ds_read_b64 v[1:2], v4
	v_mov_b32_e32 v6, 0
	ds_read_b64 v[6:7], v6 offset:8
	s_waitcnt vmcnt(1) lgkmcnt(1)
	v_mul_f32_e32 v10, v1, v8
	v_mul_f32_e32 v8, v2, v8
	s_waitcnt vmcnt(0)
	v_fmac_f32_e32 v10, v2, v9
	v_fma_f32 v1, v1, v9, -v8
	v_add_f32_e32 v2, 0, v10
	v_add_f32_e32 v1, 0, v1
	s_waitcnt lgkmcnt(0)
	v_mul_f32_e32 v8, v2, v7
	v_mul_f32_e32 v7, v1, v7
	v_fma_f32 v1, v1, v6, -v8
	v_fmac_f32_e32 v7, v2, v6
	buffer_store_dword v1, off, s[0:3], 0 offset:8
	buffer_store_dword v7, off, s[0:3], 0 offset:12
.LBB62_19:
	s_or_b32 exec_lo, exec_lo, s5
	s_waitcnt_vscnt null, 0x0
	s_barrier
	buffer_gl0_inv
	s_clause 0x1
	buffer_load_dword v1, off, s[0:3], 0 offset:16
	buffer_load_dword v2, off, s[0:3], 0 offset:20
	s_mov_b32 s5, exec_lo
	s_waitcnt vmcnt(0)
	ds_write_b64 v4, v[1:2]
	s_waitcnt lgkmcnt(0)
	s_barrier
	buffer_gl0_inv
	v_cmpx_gt_u32_e32 2, v0
	s_cbranch_execz .LBB62_23
; %bb.20:
	s_clause 0x1
	buffer_load_dword v6, v5, s[0:3], 0 offen offset:4
	buffer_load_dword v5, v5, s[0:3], 0 offen
	ds_read_b64 v[1:2], v4
	s_waitcnt vmcnt(1) lgkmcnt(0)
	v_mul_f32_e32 v7, v2, v6
	v_mul_f32_e32 v6, v1, v6
	s_waitcnt vmcnt(0)
	v_fma_f32 v1, v1, v5, -v7
	v_fmac_f32_e32 v6, v2, v5
	v_add_f32_e32 v2, 0, v1
	v_add_f32_e32 v1, 0, v6
	s_and_saveexec_b32 s8, s4
	s_cbranch_execz .LBB62_22
; %bb.21:
	s_clause 0x1
	buffer_load_dword v7, off, s[0:3], 0 offset:12
	buffer_load_dword v8, off, s[0:3], 0 offset:8
	v_mov_b32_e32 v5, 0
	ds_read_b64 v[5:6], v5 offset:520
	s_waitcnt vmcnt(1) lgkmcnt(0)
	v_mul_f32_e32 v9, v5, v7
	v_mul_f32_e32 v7, v6, v7
	s_waitcnt vmcnt(0)
	v_fmac_f32_e32 v9, v6, v8
	v_fma_f32 v5, v5, v8, -v7
	v_add_f32_e32 v1, v1, v9
	v_add_f32_e32 v2, v2, v5
.LBB62_22:
	s_or_b32 exec_lo, exec_lo, s8
	v_mov_b32_e32 v5, 0
	ds_read_b64 v[5:6], v5 offset:16
	s_waitcnt lgkmcnt(0)
	v_mul_f32_e32 v7, v1, v6
	v_mul_f32_e32 v6, v2, v6
	v_fma_f32 v2, v2, v5, -v7
	v_fmac_f32_e32 v6, v1, v5
	buffer_store_dword v2, off, s[0:3], 0 offset:16
	buffer_store_dword v6, off, s[0:3], 0 offset:20
.LBB62_23:
	s_or_b32 exec_lo, exec_lo, s5
	s_waitcnt_vscnt null, 0x0
	s_barrier
	buffer_gl0_inv
	s_clause 0x1
	buffer_load_dword v5, off, s[0:3], 0 offset:24
	buffer_load_dword v6, off, s[0:3], 0 offset:28
	v_add_nc_u32_e32 v1, -1, v0
	s_mov_b32 s4, exec_lo
	s_waitcnt vmcnt(0)
	ds_write_b64 v4, v[5:6]
	s_waitcnt lgkmcnt(0)
	s_barrier
	buffer_gl0_inv
	v_cmpx_gt_u32_e32 3, v0
	s_cbranch_execz .LBB62_27
; %bb.24:
	v_add_nc_u32_e32 v5, -1, v0
	v_or_b32_e32 v6, 0x200, v3
	v_mov_b32_e32 v7, v3
	v_mov_b32_e32 v2, 0
	;; [unrolled: 1-line block ×3, first 2 shown]
	s_mov_b32 s5, 0
	.p2align	6
.LBB62_25:                              ; =>This Inner Loop Header: Depth=1
	s_clause 0x1
	buffer_load_dword v11, v7, s[0:3], 0 offen offset:4
	buffer_load_dword v12, v7, s[0:3], 0 offen
	ds_read_b64 v[9:10], v6
	v_add_nc_u32_e32 v5, 1, v5
	v_add_nc_u32_e32 v6, 8, v6
	;; [unrolled: 1-line block ×3, first 2 shown]
	v_cmp_lt_u32_e32 vcc_lo, 1, v5
	s_or_b32 s5, vcc_lo, s5
	s_waitcnt vmcnt(1) lgkmcnt(0)
	v_mul_f32_e32 v139, v10, v11
	v_mul_f32_e32 v11, v9, v11
	s_waitcnt vmcnt(0)
	v_fma_f32 v9, v9, v12, -v139
	v_fmac_f32_e32 v11, v10, v12
	v_add_f32_e32 v8, v8, v9
	v_add_f32_e32 v2, v2, v11
	s_andn2_b32 exec_lo, exec_lo, s5
	s_cbranch_execnz .LBB62_25
; %bb.26:
	s_or_b32 exec_lo, exec_lo, s5
	v_mov_b32_e32 v5, 0
	ds_read_b64 v[5:6], v5 offset:24
	s_waitcnt lgkmcnt(0)
	v_mul_f32_e32 v7, v2, v6
	v_mul_f32_e32 v6, v8, v6
	v_fma_f32 v7, v8, v5, -v7
	v_fmac_f32_e32 v6, v2, v5
	buffer_store_dword v7, off, s[0:3], 0 offset:24
	buffer_store_dword v6, off, s[0:3], 0 offset:28
.LBB62_27:
	s_or_b32 exec_lo, exec_lo, s4
	s_waitcnt_vscnt null, 0x0
	s_barrier
	buffer_gl0_inv
	s_clause 0x1
	buffer_load_dword v5, off, s[0:3], 0 offset:32
	buffer_load_dword v6, off, s[0:3], 0 offset:36
	s_mov_b32 s4, exec_lo
	s_waitcnt vmcnt(0)
	ds_write_b64 v4, v[5:6]
	s_waitcnt lgkmcnt(0)
	s_barrier
	buffer_gl0_inv
	v_cmpx_gt_u32_e32 4, v0
	s_cbranch_execz .LBB62_31
; %bb.28:
	v_add_nc_u32_e32 v5, -1, v0
	v_or_b32_e32 v6, 0x200, v3
	v_mov_b32_e32 v7, v3
	v_mov_b32_e32 v2, 0
	;; [unrolled: 1-line block ×3, first 2 shown]
	s_mov_b32 s5, 0
	.p2align	6
.LBB62_29:                              ; =>This Inner Loop Header: Depth=1
	s_clause 0x1
	buffer_load_dword v11, v7, s[0:3], 0 offen offset:4
	buffer_load_dword v12, v7, s[0:3], 0 offen
	ds_read_b64 v[9:10], v6
	v_add_nc_u32_e32 v5, 1, v5
	v_add_nc_u32_e32 v6, 8, v6
	;; [unrolled: 1-line block ×3, first 2 shown]
	v_cmp_lt_u32_e32 vcc_lo, 2, v5
	s_or_b32 s5, vcc_lo, s5
	s_waitcnt vmcnt(1) lgkmcnt(0)
	v_mul_f32_e32 v139, v10, v11
	v_mul_f32_e32 v11, v9, v11
	s_waitcnt vmcnt(0)
	v_fma_f32 v9, v9, v12, -v139
	v_fmac_f32_e32 v11, v10, v12
	v_add_f32_e32 v8, v8, v9
	v_add_f32_e32 v2, v2, v11
	s_andn2_b32 exec_lo, exec_lo, s5
	s_cbranch_execnz .LBB62_29
; %bb.30:
	s_or_b32 exec_lo, exec_lo, s5
	v_mov_b32_e32 v5, 0
	ds_read_b64 v[5:6], v5 offset:32
	s_waitcnt lgkmcnt(0)
	v_mul_f32_e32 v7, v2, v6
	v_mul_f32_e32 v6, v8, v6
	v_fma_f32 v7, v8, v5, -v7
	v_fmac_f32_e32 v6, v2, v5
	buffer_store_dword v7, off, s[0:3], 0 offset:32
	buffer_store_dword v6, off, s[0:3], 0 offset:36
.LBB62_31:
	s_or_b32 exec_lo, exec_lo, s4
	s_waitcnt_vscnt null, 0x0
	s_barrier
	buffer_gl0_inv
	s_clause 0x1
	buffer_load_dword v5, off, s[0:3], 0 offset:40
	buffer_load_dword v6, off, s[0:3], 0 offset:44
	s_mov_b32 s4, exec_lo
	s_waitcnt vmcnt(0)
	ds_write_b64 v4, v[5:6]
	s_waitcnt lgkmcnt(0)
	s_barrier
	buffer_gl0_inv
	v_cmpx_gt_u32_e32 5, v0
	s_cbranch_execz .LBB62_35
; %bb.32:
	v_add_nc_u32_e32 v5, -1, v0
	v_or_b32_e32 v6, 0x200, v3
	v_mov_b32_e32 v7, v3
	v_mov_b32_e32 v2, 0
	;; [unrolled: 1-line block ×3, first 2 shown]
	s_mov_b32 s5, 0
	.p2align	6
.LBB62_33:                              ; =>This Inner Loop Header: Depth=1
	s_clause 0x1
	buffer_load_dword v11, v7, s[0:3], 0 offen offset:4
	buffer_load_dword v12, v7, s[0:3], 0 offen
	ds_read_b64 v[9:10], v6
	v_add_nc_u32_e32 v5, 1, v5
	v_add_nc_u32_e32 v6, 8, v6
	;; [unrolled: 1-line block ×3, first 2 shown]
	v_cmp_lt_u32_e32 vcc_lo, 3, v5
	s_or_b32 s5, vcc_lo, s5
	s_waitcnt vmcnt(1) lgkmcnt(0)
	v_mul_f32_e32 v139, v10, v11
	v_mul_f32_e32 v11, v9, v11
	s_waitcnt vmcnt(0)
	v_fma_f32 v9, v9, v12, -v139
	v_fmac_f32_e32 v11, v10, v12
	v_add_f32_e32 v8, v8, v9
	v_add_f32_e32 v2, v2, v11
	s_andn2_b32 exec_lo, exec_lo, s5
	s_cbranch_execnz .LBB62_33
; %bb.34:
	s_or_b32 exec_lo, exec_lo, s5
	v_mov_b32_e32 v5, 0
	ds_read_b64 v[5:6], v5 offset:40
	s_waitcnt lgkmcnt(0)
	v_mul_f32_e32 v7, v2, v6
	v_mul_f32_e32 v6, v8, v6
	v_fma_f32 v7, v8, v5, -v7
	v_fmac_f32_e32 v6, v2, v5
	buffer_store_dword v7, off, s[0:3], 0 offset:40
	buffer_store_dword v6, off, s[0:3], 0 offset:44
.LBB62_35:
	s_or_b32 exec_lo, exec_lo, s4
	s_waitcnt_vscnt null, 0x0
	s_barrier
	buffer_gl0_inv
	s_clause 0x1
	buffer_load_dword v5, off, s[0:3], 0 offset:48
	buffer_load_dword v6, off, s[0:3], 0 offset:52
	s_mov_b32 s4, exec_lo
	s_waitcnt vmcnt(0)
	ds_write_b64 v4, v[5:6]
	s_waitcnt lgkmcnt(0)
	s_barrier
	buffer_gl0_inv
	v_cmpx_gt_u32_e32 6, v0
	s_cbranch_execz .LBB62_39
; %bb.36:
	v_add_nc_u32_e32 v5, -1, v0
	v_or_b32_e32 v6, 0x200, v3
	v_mov_b32_e32 v7, v3
	v_mov_b32_e32 v2, 0
	;; [unrolled: 1-line block ×3, first 2 shown]
	s_mov_b32 s5, 0
	.p2align	6
.LBB62_37:                              ; =>This Inner Loop Header: Depth=1
	s_clause 0x1
	buffer_load_dword v11, v7, s[0:3], 0 offen offset:4
	buffer_load_dword v12, v7, s[0:3], 0 offen
	ds_read_b64 v[9:10], v6
	v_add_nc_u32_e32 v5, 1, v5
	v_add_nc_u32_e32 v6, 8, v6
	;; [unrolled: 1-line block ×3, first 2 shown]
	v_cmp_lt_u32_e32 vcc_lo, 4, v5
	s_or_b32 s5, vcc_lo, s5
	s_waitcnt vmcnt(1) lgkmcnt(0)
	v_mul_f32_e32 v139, v10, v11
	v_mul_f32_e32 v11, v9, v11
	s_waitcnt vmcnt(0)
	v_fma_f32 v9, v9, v12, -v139
	v_fmac_f32_e32 v11, v10, v12
	v_add_f32_e32 v8, v8, v9
	v_add_f32_e32 v2, v2, v11
	s_andn2_b32 exec_lo, exec_lo, s5
	s_cbranch_execnz .LBB62_37
; %bb.38:
	s_or_b32 exec_lo, exec_lo, s5
	v_mov_b32_e32 v5, 0
	ds_read_b64 v[5:6], v5 offset:48
	s_waitcnt lgkmcnt(0)
	v_mul_f32_e32 v7, v2, v6
	v_mul_f32_e32 v6, v8, v6
	v_fma_f32 v7, v8, v5, -v7
	v_fmac_f32_e32 v6, v2, v5
	buffer_store_dword v7, off, s[0:3], 0 offset:48
	buffer_store_dword v6, off, s[0:3], 0 offset:52
.LBB62_39:
	s_or_b32 exec_lo, exec_lo, s4
	s_waitcnt_vscnt null, 0x0
	s_barrier
	buffer_gl0_inv
	s_clause 0x1
	buffer_load_dword v5, off, s[0:3], 0 offset:56
	buffer_load_dword v6, off, s[0:3], 0 offset:60
	s_mov_b32 s4, exec_lo
	s_waitcnt vmcnt(0)
	ds_write_b64 v4, v[5:6]
	s_waitcnt lgkmcnt(0)
	s_barrier
	buffer_gl0_inv
	v_cmpx_gt_u32_e32 7, v0
	s_cbranch_execz .LBB62_43
; %bb.40:
	v_add_nc_u32_e32 v5, -1, v0
	v_or_b32_e32 v6, 0x200, v3
	v_mov_b32_e32 v7, v3
	v_mov_b32_e32 v2, 0
	;; [unrolled: 1-line block ×3, first 2 shown]
	s_mov_b32 s5, 0
	.p2align	6
.LBB62_41:                              ; =>This Inner Loop Header: Depth=1
	s_clause 0x1
	buffer_load_dword v11, v7, s[0:3], 0 offen offset:4
	buffer_load_dword v12, v7, s[0:3], 0 offen
	ds_read_b64 v[9:10], v6
	v_add_nc_u32_e32 v5, 1, v5
	v_add_nc_u32_e32 v6, 8, v6
	;; [unrolled: 1-line block ×3, first 2 shown]
	v_cmp_lt_u32_e32 vcc_lo, 5, v5
	s_or_b32 s5, vcc_lo, s5
	s_waitcnt vmcnt(1) lgkmcnt(0)
	v_mul_f32_e32 v139, v10, v11
	v_mul_f32_e32 v11, v9, v11
	s_waitcnt vmcnt(0)
	v_fma_f32 v9, v9, v12, -v139
	v_fmac_f32_e32 v11, v10, v12
	v_add_f32_e32 v8, v8, v9
	v_add_f32_e32 v2, v2, v11
	s_andn2_b32 exec_lo, exec_lo, s5
	s_cbranch_execnz .LBB62_41
; %bb.42:
	s_or_b32 exec_lo, exec_lo, s5
	v_mov_b32_e32 v5, 0
	ds_read_b64 v[5:6], v5 offset:56
	s_waitcnt lgkmcnt(0)
	v_mul_f32_e32 v7, v2, v6
	v_mul_f32_e32 v6, v8, v6
	v_fma_f32 v7, v8, v5, -v7
	v_fmac_f32_e32 v6, v2, v5
	buffer_store_dword v7, off, s[0:3], 0 offset:56
	buffer_store_dword v6, off, s[0:3], 0 offset:60
.LBB62_43:
	s_or_b32 exec_lo, exec_lo, s4
	s_waitcnt_vscnt null, 0x0
	s_barrier
	buffer_gl0_inv
	s_clause 0x1
	buffer_load_dword v5, off, s[0:3], 0 offset:64
	buffer_load_dword v6, off, s[0:3], 0 offset:68
	s_mov_b32 s4, exec_lo
	s_waitcnt vmcnt(0)
	ds_write_b64 v4, v[5:6]
	s_waitcnt lgkmcnt(0)
	s_barrier
	buffer_gl0_inv
	v_cmpx_gt_u32_e32 8, v0
	s_cbranch_execz .LBB62_47
; %bb.44:
	v_add_nc_u32_e32 v5, -1, v0
	v_or_b32_e32 v6, 0x200, v3
	v_mov_b32_e32 v7, v3
	v_mov_b32_e32 v2, 0
	;; [unrolled: 1-line block ×3, first 2 shown]
	s_mov_b32 s5, 0
	.p2align	6
.LBB62_45:                              ; =>This Inner Loop Header: Depth=1
	s_clause 0x1
	buffer_load_dword v11, v7, s[0:3], 0 offen offset:4
	buffer_load_dword v12, v7, s[0:3], 0 offen
	ds_read_b64 v[9:10], v6
	v_add_nc_u32_e32 v5, 1, v5
	v_add_nc_u32_e32 v6, 8, v6
	;; [unrolled: 1-line block ×3, first 2 shown]
	v_cmp_lt_u32_e32 vcc_lo, 6, v5
	s_or_b32 s5, vcc_lo, s5
	s_waitcnt vmcnt(1) lgkmcnt(0)
	v_mul_f32_e32 v139, v10, v11
	v_mul_f32_e32 v11, v9, v11
	s_waitcnt vmcnt(0)
	v_fma_f32 v9, v9, v12, -v139
	v_fmac_f32_e32 v11, v10, v12
	v_add_f32_e32 v8, v8, v9
	v_add_f32_e32 v2, v2, v11
	s_andn2_b32 exec_lo, exec_lo, s5
	s_cbranch_execnz .LBB62_45
; %bb.46:
	s_or_b32 exec_lo, exec_lo, s5
	v_mov_b32_e32 v5, 0
	ds_read_b64 v[5:6], v5 offset:64
	s_waitcnt lgkmcnt(0)
	v_mul_f32_e32 v7, v2, v6
	v_mul_f32_e32 v6, v8, v6
	v_fma_f32 v7, v8, v5, -v7
	v_fmac_f32_e32 v6, v2, v5
	buffer_store_dword v7, off, s[0:3], 0 offset:64
	buffer_store_dword v6, off, s[0:3], 0 offset:68
.LBB62_47:
	s_or_b32 exec_lo, exec_lo, s4
	s_waitcnt_vscnt null, 0x0
	s_barrier
	buffer_gl0_inv
	s_clause 0x1
	buffer_load_dword v5, off, s[0:3], 0 offset:72
	buffer_load_dword v6, off, s[0:3], 0 offset:76
	s_mov_b32 s4, exec_lo
	s_waitcnt vmcnt(0)
	ds_write_b64 v4, v[5:6]
	s_waitcnt lgkmcnt(0)
	s_barrier
	buffer_gl0_inv
	v_cmpx_gt_u32_e32 9, v0
	s_cbranch_execz .LBB62_51
; %bb.48:
	v_add_nc_u32_e32 v5, -1, v0
	v_or_b32_e32 v6, 0x200, v3
	v_mov_b32_e32 v7, v3
	v_mov_b32_e32 v2, 0
	;; [unrolled: 1-line block ×3, first 2 shown]
	s_mov_b32 s5, 0
	.p2align	6
.LBB62_49:                              ; =>This Inner Loop Header: Depth=1
	s_clause 0x1
	buffer_load_dword v11, v7, s[0:3], 0 offen offset:4
	buffer_load_dword v12, v7, s[0:3], 0 offen
	ds_read_b64 v[9:10], v6
	v_add_nc_u32_e32 v5, 1, v5
	v_add_nc_u32_e32 v6, 8, v6
	;; [unrolled: 1-line block ×3, first 2 shown]
	v_cmp_lt_u32_e32 vcc_lo, 7, v5
	s_or_b32 s5, vcc_lo, s5
	s_waitcnt vmcnt(1) lgkmcnt(0)
	v_mul_f32_e32 v139, v10, v11
	v_mul_f32_e32 v11, v9, v11
	s_waitcnt vmcnt(0)
	v_fma_f32 v9, v9, v12, -v139
	v_fmac_f32_e32 v11, v10, v12
	v_add_f32_e32 v8, v8, v9
	v_add_f32_e32 v2, v2, v11
	s_andn2_b32 exec_lo, exec_lo, s5
	s_cbranch_execnz .LBB62_49
; %bb.50:
	s_or_b32 exec_lo, exec_lo, s5
	v_mov_b32_e32 v5, 0
	ds_read_b64 v[5:6], v5 offset:72
	s_waitcnt lgkmcnt(0)
	v_mul_f32_e32 v7, v2, v6
	v_mul_f32_e32 v6, v8, v6
	v_fma_f32 v7, v8, v5, -v7
	v_fmac_f32_e32 v6, v2, v5
	buffer_store_dword v7, off, s[0:3], 0 offset:72
	buffer_store_dword v6, off, s[0:3], 0 offset:76
.LBB62_51:
	s_or_b32 exec_lo, exec_lo, s4
	s_waitcnt_vscnt null, 0x0
	s_barrier
	buffer_gl0_inv
	s_clause 0x1
	buffer_load_dword v5, off, s[0:3], 0 offset:80
	buffer_load_dword v6, off, s[0:3], 0 offset:84
	s_mov_b32 s4, exec_lo
	s_waitcnt vmcnt(0)
	ds_write_b64 v4, v[5:6]
	s_waitcnt lgkmcnt(0)
	s_barrier
	buffer_gl0_inv
	v_cmpx_gt_u32_e32 10, v0
	s_cbranch_execz .LBB62_55
; %bb.52:
	v_add_nc_u32_e32 v5, -1, v0
	v_or_b32_e32 v6, 0x200, v3
	v_mov_b32_e32 v7, v3
	v_mov_b32_e32 v2, 0
	;; [unrolled: 1-line block ×3, first 2 shown]
	s_mov_b32 s5, 0
	.p2align	6
.LBB62_53:                              ; =>This Inner Loop Header: Depth=1
	s_clause 0x1
	buffer_load_dword v11, v7, s[0:3], 0 offen offset:4
	buffer_load_dword v12, v7, s[0:3], 0 offen
	ds_read_b64 v[9:10], v6
	v_add_nc_u32_e32 v5, 1, v5
	v_add_nc_u32_e32 v6, 8, v6
	;; [unrolled: 1-line block ×3, first 2 shown]
	v_cmp_lt_u32_e32 vcc_lo, 8, v5
	s_or_b32 s5, vcc_lo, s5
	s_waitcnt vmcnt(1) lgkmcnt(0)
	v_mul_f32_e32 v139, v10, v11
	v_mul_f32_e32 v11, v9, v11
	s_waitcnt vmcnt(0)
	v_fma_f32 v9, v9, v12, -v139
	v_fmac_f32_e32 v11, v10, v12
	v_add_f32_e32 v8, v8, v9
	v_add_f32_e32 v2, v2, v11
	s_andn2_b32 exec_lo, exec_lo, s5
	s_cbranch_execnz .LBB62_53
; %bb.54:
	s_or_b32 exec_lo, exec_lo, s5
	v_mov_b32_e32 v5, 0
	ds_read_b64 v[5:6], v5 offset:80
	s_waitcnt lgkmcnt(0)
	v_mul_f32_e32 v7, v2, v6
	v_mul_f32_e32 v6, v8, v6
	v_fma_f32 v7, v8, v5, -v7
	v_fmac_f32_e32 v6, v2, v5
	buffer_store_dword v7, off, s[0:3], 0 offset:80
	buffer_store_dword v6, off, s[0:3], 0 offset:84
.LBB62_55:
	s_or_b32 exec_lo, exec_lo, s4
	s_waitcnt_vscnt null, 0x0
	s_barrier
	buffer_gl0_inv
	s_clause 0x1
	buffer_load_dword v5, off, s[0:3], 0 offset:88
	buffer_load_dword v6, off, s[0:3], 0 offset:92
	s_mov_b32 s4, exec_lo
	s_waitcnt vmcnt(0)
	ds_write_b64 v4, v[5:6]
	s_waitcnt lgkmcnt(0)
	s_barrier
	buffer_gl0_inv
	v_cmpx_gt_u32_e32 11, v0
	s_cbranch_execz .LBB62_59
; %bb.56:
	v_add_nc_u32_e32 v5, -1, v0
	v_or_b32_e32 v6, 0x200, v3
	v_mov_b32_e32 v7, v3
	v_mov_b32_e32 v2, 0
	;; [unrolled: 1-line block ×3, first 2 shown]
	s_mov_b32 s5, 0
	.p2align	6
.LBB62_57:                              ; =>This Inner Loop Header: Depth=1
	s_clause 0x1
	buffer_load_dword v11, v7, s[0:3], 0 offen offset:4
	buffer_load_dword v12, v7, s[0:3], 0 offen
	ds_read_b64 v[9:10], v6
	v_add_nc_u32_e32 v5, 1, v5
	v_add_nc_u32_e32 v6, 8, v6
	;; [unrolled: 1-line block ×3, first 2 shown]
	v_cmp_lt_u32_e32 vcc_lo, 9, v5
	s_or_b32 s5, vcc_lo, s5
	s_waitcnt vmcnt(1) lgkmcnt(0)
	v_mul_f32_e32 v139, v10, v11
	v_mul_f32_e32 v11, v9, v11
	s_waitcnt vmcnt(0)
	v_fma_f32 v9, v9, v12, -v139
	v_fmac_f32_e32 v11, v10, v12
	v_add_f32_e32 v8, v8, v9
	v_add_f32_e32 v2, v2, v11
	s_andn2_b32 exec_lo, exec_lo, s5
	s_cbranch_execnz .LBB62_57
; %bb.58:
	s_or_b32 exec_lo, exec_lo, s5
	v_mov_b32_e32 v5, 0
	ds_read_b64 v[5:6], v5 offset:88
	s_waitcnt lgkmcnt(0)
	v_mul_f32_e32 v7, v2, v6
	v_mul_f32_e32 v6, v8, v6
	v_fma_f32 v7, v8, v5, -v7
	v_fmac_f32_e32 v6, v2, v5
	buffer_store_dword v7, off, s[0:3], 0 offset:88
	buffer_store_dword v6, off, s[0:3], 0 offset:92
.LBB62_59:
	s_or_b32 exec_lo, exec_lo, s4
	s_waitcnt_vscnt null, 0x0
	s_barrier
	buffer_gl0_inv
	s_clause 0x1
	buffer_load_dword v5, off, s[0:3], 0 offset:96
	buffer_load_dword v6, off, s[0:3], 0 offset:100
	s_mov_b32 s4, exec_lo
	s_waitcnt vmcnt(0)
	ds_write_b64 v4, v[5:6]
	s_waitcnt lgkmcnt(0)
	s_barrier
	buffer_gl0_inv
	v_cmpx_gt_u32_e32 12, v0
	s_cbranch_execz .LBB62_63
; %bb.60:
	v_add_nc_u32_e32 v5, -1, v0
	v_or_b32_e32 v6, 0x200, v3
	v_mov_b32_e32 v7, v3
	v_mov_b32_e32 v2, 0
	;; [unrolled: 1-line block ×3, first 2 shown]
	s_mov_b32 s5, 0
	.p2align	6
.LBB62_61:                              ; =>This Inner Loop Header: Depth=1
	s_clause 0x1
	buffer_load_dword v11, v7, s[0:3], 0 offen offset:4
	buffer_load_dword v12, v7, s[0:3], 0 offen
	ds_read_b64 v[9:10], v6
	v_add_nc_u32_e32 v5, 1, v5
	v_add_nc_u32_e32 v6, 8, v6
	;; [unrolled: 1-line block ×3, first 2 shown]
	v_cmp_lt_u32_e32 vcc_lo, 10, v5
	s_or_b32 s5, vcc_lo, s5
	s_waitcnt vmcnt(1) lgkmcnt(0)
	v_mul_f32_e32 v139, v10, v11
	v_mul_f32_e32 v11, v9, v11
	s_waitcnt vmcnt(0)
	v_fma_f32 v9, v9, v12, -v139
	v_fmac_f32_e32 v11, v10, v12
	v_add_f32_e32 v8, v8, v9
	v_add_f32_e32 v2, v2, v11
	s_andn2_b32 exec_lo, exec_lo, s5
	s_cbranch_execnz .LBB62_61
; %bb.62:
	s_or_b32 exec_lo, exec_lo, s5
	v_mov_b32_e32 v5, 0
	ds_read_b64 v[5:6], v5 offset:96
	s_waitcnt lgkmcnt(0)
	v_mul_f32_e32 v7, v2, v6
	v_mul_f32_e32 v6, v8, v6
	v_fma_f32 v7, v8, v5, -v7
	v_fmac_f32_e32 v6, v2, v5
	buffer_store_dword v7, off, s[0:3], 0 offset:96
	buffer_store_dword v6, off, s[0:3], 0 offset:100
.LBB62_63:
	s_or_b32 exec_lo, exec_lo, s4
	s_waitcnt_vscnt null, 0x0
	s_barrier
	buffer_gl0_inv
	s_clause 0x1
	buffer_load_dword v5, off, s[0:3], 0 offset:104
	buffer_load_dword v6, off, s[0:3], 0 offset:108
	s_mov_b32 s4, exec_lo
	s_waitcnt vmcnt(0)
	ds_write_b64 v4, v[5:6]
	s_waitcnt lgkmcnt(0)
	s_barrier
	buffer_gl0_inv
	v_cmpx_gt_u32_e32 13, v0
	s_cbranch_execz .LBB62_67
; %bb.64:
	v_add_nc_u32_e32 v5, -1, v0
	v_or_b32_e32 v6, 0x200, v3
	v_mov_b32_e32 v7, v3
	v_mov_b32_e32 v2, 0
	v_mov_b32_e32 v8, 0
	s_mov_b32 s5, 0
	.p2align	6
.LBB62_65:                              ; =>This Inner Loop Header: Depth=1
	s_clause 0x1
	buffer_load_dword v11, v7, s[0:3], 0 offen offset:4
	buffer_load_dword v12, v7, s[0:3], 0 offen
	ds_read_b64 v[9:10], v6
	v_add_nc_u32_e32 v5, 1, v5
	v_add_nc_u32_e32 v6, 8, v6
	;; [unrolled: 1-line block ×3, first 2 shown]
	v_cmp_lt_u32_e32 vcc_lo, 11, v5
	s_or_b32 s5, vcc_lo, s5
	s_waitcnt vmcnt(1) lgkmcnt(0)
	v_mul_f32_e32 v139, v10, v11
	v_mul_f32_e32 v11, v9, v11
	s_waitcnt vmcnt(0)
	v_fma_f32 v9, v9, v12, -v139
	v_fmac_f32_e32 v11, v10, v12
	v_add_f32_e32 v8, v8, v9
	v_add_f32_e32 v2, v2, v11
	s_andn2_b32 exec_lo, exec_lo, s5
	s_cbranch_execnz .LBB62_65
; %bb.66:
	s_or_b32 exec_lo, exec_lo, s5
	v_mov_b32_e32 v5, 0
	ds_read_b64 v[5:6], v5 offset:104
	s_waitcnt lgkmcnt(0)
	v_mul_f32_e32 v7, v2, v6
	v_mul_f32_e32 v6, v8, v6
	v_fma_f32 v7, v8, v5, -v7
	v_fmac_f32_e32 v6, v2, v5
	buffer_store_dword v7, off, s[0:3], 0 offset:104
	buffer_store_dword v6, off, s[0:3], 0 offset:108
.LBB62_67:
	s_or_b32 exec_lo, exec_lo, s4
	s_waitcnt_vscnt null, 0x0
	s_barrier
	buffer_gl0_inv
	s_clause 0x1
	buffer_load_dword v5, off, s[0:3], 0 offset:112
	buffer_load_dword v6, off, s[0:3], 0 offset:116
	s_mov_b32 s4, exec_lo
	s_waitcnt vmcnt(0)
	ds_write_b64 v4, v[5:6]
	s_waitcnt lgkmcnt(0)
	s_barrier
	buffer_gl0_inv
	v_cmpx_gt_u32_e32 14, v0
	s_cbranch_execz .LBB62_71
; %bb.68:
	v_add_nc_u32_e32 v5, -1, v0
	v_or_b32_e32 v6, 0x200, v3
	v_mov_b32_e32 v7, v3
	v_mov_b32_e32 v2, 0
	;; [unrolled: 1-line block ×3, first 2 shown]
	s_mov_b32 s5, 0
	.p2align	6
.LBB62_69:                              ; =>This Inner Loop Header: Depth=1
	s_clause 0x1
	buffer_load_dword v11, v7, s[0:3], 0 offen offset:4
	buffer_load_dword v12, v7, s[0:3], 0 offen
	ds_read_b64 v[9:10], v6
	v_add_nc_u32_e32 v5, 1, v5
	v_add_nc_u32_e32 v6, 8, v6
	;; [unrolled: 1-line block ×3, first 2 shown]
	v_cmp_lt_u32_e32 vcc_lo, 12, v5
	s_or_b32 s5, vcc_lo, s5
	s_waitcnt vmcnt(1) lgkmcnt(0)
	v_mul_f32_e32 v139, v10, v11
	v_mul_f32_e32 v11, v9, v11
	s_waitcnt vmcnt(0)
	v_fma_f32 v9, v9, v12, -v139
	v_fmac_f32_e32 v11, v10, v12
	v_add_f32_e32 v8, v8, v9
	v_add_f32_e32 v2, v2, v11
	s_andn2_b32 exec_lo, exec_lo, s5
	s_cbranch_execnz .LBB62_69
; %bb.70:
	s_or_b32 exec_lo, exec_lo, s5
	v_mov_b32_e32 v5, 0
	ds_read_b64 v[5:6], v5 offset:112
	s_waitcnt lgkmcnt(0)
	v_mul_f32_e32 v7, v2, v6
	v_mul_f32_e32 v6, v8, v6
	v_fma_f32 v7, v8, v5, -v7
	v_fmac_f32_e32 v6, v2, v5
	buffer_store_dword v7, off, s[0:3], 0 offset:112
	buffer_store_dword v6, off, s[0:3], 0 offset:116
.LBB62_71:
	s_or_b32 exec_lo, exec_lo, s4
	s_waitcnt_vscnt null, 0x0
	s_barrier
	buffer_gl0_inv
	s_clause 0x1
	buffer_load_dword v5, off, s[0:3], 0 offset:120
	buffer_load_dword v6, off, s[0:3], 0 offset:124
	s_mov_b32 s4, exec_lo
	s_waitcnt vmcnt(0)
	ds_write_b64 v4, v[5:6]
	s_waitcnt lgkmcnt(0)
	s_barrier
	buffer_gl0_inv
	v_cmpx_gt_u32_e32 15, v0
	s_cbranch_execz .LBB62_75
; %bb.72:
	v_add_nc_u32_e32 v5, -1, v0
	v_or_b32_e32 v6, 0x200, v3
	v_mov_b32_e32 v7, v3
	v_mov_b32_e32 v2, 0
	v_mov_b32_e32 v8, 0
	s_mov_b32 s5, 0
	.p2align	6
.LBB62_73:                              ; =>This Inner Loop Header: Depth=1
	s_clause 0x1
	buffer_load_dword v11, v7, s[0:3], 0 offen offset:4
	buffer_load_dword v12, v7, s[0:3], 0 offen
	ds_read_b64 v[9:10], v6
	v_add_nc_u32_e32 v5, 1, v5
	v_add_nc_u32_e32 v6, 8, v6
	;; [unrolled: 1-line block ×3, first 2 shown]
	v_cmp_lt_u32_e32 vcc_lo, 13, v5
	s_or_b32 s5, vcc_lo, s5
	s_waitcnt vmcnt(1) lgkmcnt(0)
	v_mul_f32_e32 v139, v10, v11
	v_mul_f32_e32 v11, v9, v11
	s_waitcnt vmcnt(0)
	v_fma_f32 v9, v9, v12, -v139
	v_fmac_f32_e32 v11, v10, v12
	v_add_f32_e32 v8, v8, v9
	v_add_f32_e32 v2, v2, v11
	s_andn2_b32 exec_lo, exec_lo, s5
	s_cbranch_execnz .LBB62_73
; %bb.74:
	s_or_b32 exec_lo, exec_lo, s5
	v_mov_b32_e32 v5, 0
	ds_read_b64 v[5:6], v5 offset:120
	s_waitcnt lgkmcnt(0)
	v_mul_f32_e32 v7, v2, v6
	v_mul_f32_e32 v6, v8, v6
	v_fma_f32 v7, v8, v5, -v7
	v_fmac_f32_e32 v6, v2, v5
	buffer_store_dword v7, off, s[0:3], 0 offset:120
	buffer_store_dword v6, off, s[0:3], 0 offset:124
.LBB62_75:
	s_or_b32 exec_lo, exec_lo, s4
	s_waitcnt_vscnt null, 0x0
	s_barrier
	buffer_gl0_inv
	s_clause 0x1
	buffer_load_dword v5, off, s[0:3], 0 offset:128
	buffer_load_dword v6, off, s[0:3], 0 offset:132
	s_mov_b32 s4, exec_lo
	s_waitcnt vmcnt(0)
	ds_write_b64 v4, v[5:6]
	s_waitcnt lgkmcnt(0)
	s_barrier
	buffer_gl0_inv
	v_cmpx_gt_u32_e32 16, v0
	s_cbranch_execz .LBB62_79
; %bb.76:
	v_add_nc_u32_e32 v5, -1, v0
	v_or_b32_e32 v6, 0x200, v3
	v_mov_b32_e32 v7, v3
	v_mov_b32_e32 v2, 0
	;; [unrolled: 1-line block ×3, first 2 shown]
	s_mov_b32 s5, 0
	.p2align	6
.LBB62_77:                              ; =>This Inner Loop Header: Depth=1
	s_clause 0x1
	buffer_load_dword v11, v7, s[0:3], 0 offen offset:4
	buffer_load_dword v12, v7, s[0:3], 0 offen
	ds_read_b64 v[9:10], v6
	v_add_nc_u32_e32 v5, 1, v5
	v_add_nc_u32_e32 v6, 8, v6
	;; [unrolled: 1-line block ×3, first 2 shown]
	v_cmp_lt_u32_e32 vcc_lo, 14, v5
	s_or_b32 s5, vcc_lo, s5
	s_waitcnt vmcnt(1) lgkmcnt(0)
	v_mul_f32_e32 v139, v10, v11
	v_mul_f32_e32 v11, v9, v11
	s_waitcnt vmcnt(0)
	v_fma_f32 v9, v9, v12, -v139
	v_fmac_f32_e32 v11, v10, v12
	v_add_f32_e32 v8, v8, v9
	v_add_f32_e32 v2, v2, v11
	s_andn2_b32 exec_lo, exec_lo, s5
	s_cbranch_execnz .LBB62_77
; %bb.78:
	s_or_b32 exec_lo, exec_lo, s5
	v_mov_b32_e32 v5, 0
	ds_read_b64 v[5:6], v5 offset:128
	s_waitcnt lgkmcnt(0)
	v_mul_f32_e32 v7, v2, v6
	v_mul_f32_e32 v6, v8, v6
	v_fma_f32 v7, v8, v5, -v7
	v_fmac_f32_e32 v6, v2, v5
	buffer_store_dword v7, off, s[0:3], 0 offset:128
	buffer_store_dword v6, off, s[0:3], 0 offset:132
.LBB62_79:
	s_or_b32 exec_lo, exec_lo, s4
	s_waitcnt_vscnt null, 0x0
	s_barrier
	buffer_gl0_inv
	s_clause 0x1
	buffer_load_dword v5, off, s[0:3], 0 offset:136
	buffer_load_dword v6, off, s[0:3], 0 offset:140
	s_mov_b32 s4, exec_lo
	s_waitcnt vmcnt(0)
	ds_write_b64 v4, v[5:6]
	s_waitcnt lgkmcnt(0)
	s_barrier
	buffer_gl0_inv
	v_cmpx_gt_u32_e32 17, v0
	s_cbranch_execz .LBB62_83
; %bb.80:
	v_add_nc_u32_e32 v5, -1, v0
	v_or_b32_e32 v6, 0x200, v3
	v_mov_b32_e32 v7, v3
	v_mov_b32_e32 v2, 0
	;; [unrolled: 1-line block ×3, first 2 shown]
	s_mov_b32 s5, 0
	.p2align	6
.LBB62_81:                              ; =>This Inner Loop Header: Depth=1
	s_clause 0x1
	buffer_load_dword v11, v7, s[0:3], 0 offen offset:4
	buffer_load_dword v12, v7, s[0:3], 0 offen
	ds_read_b64 v[9:10], v6
	v_add_nc_u32_e32 v5, 1, v5
	v_add_nc_u32_e32 v6, 8, v6
	;; [unrolled: 1-line block ×3, first 2 shown]
	v_cmp_lt_u32_e32 vcc_lo, 15, v5
	s_or_b32 s5, vcc_lo, s5
	s_waitcnt vmcnt(1) lgkmcnt(0)
	v_mul_f32_e32 v139, v10, v11
	v_mul_f32_e32 v11, v9, v11
	s_waitcnt vmcnt(0)
	v_fma_f32 v9, v9, v12, -v139
	v_fmac_f32_e32 v11, v10, v12
	v_add_f32_e32 v8, v8, v9
	v_add_f32_e32 v2, v2, v11
	s_andn2_b32 exec_lo, exec_lo, s5
	s_cbranch_execnz .LBB62_81
; %bb.82:
	s_or_b32 exec_lo, exec_lo, s5
	v_mov_b32_e32 v5, 0
	ds_read_b64 v[5:6], v5 offset:136
	s_waitcnt lgkmcnt(0)
	v_mul_f32_e32 v7, v2, v6
	v_mul_f32_e32 v6, v8, v6
	v_fma_f32 v7, v8, v5, -v7
	v_fmac_f32_e32 v6, v2, v5
	buffer_store_dword v7, off, s[0:3], 0 offset:136
	buffer_store_dword v6, off, s[0:3], 0 offset:140
.LBB62_83:
	s_or_b32 exec_lo, exec_lo, s4
	s_waitcnt_vscnt null, 0x0
	s_barrier
	buffer_gl0_inv
	s_clause 0x1
	buffer_load_dword v5, off, s[0:3], 0 offset:144
	buffer_load_dword v6, off, s[0:3], 0 offset:148
	s_mov_b32 s4, exec_lo
	s_waitcnt vmcnt(0)
	ds_write_b64 v4, v[5:6]
	s_waitcnt lgkmcnt(0)
	s_barrier
	buffer_gl0_inv
	v_cmpx_gt_u32_e32 18, v0
	s_cbranch_execz .LBB62_87
; %bb.84:
	v_add_nc_u32_e32 v5, -1, v0
	v_or_b32_e32 v6, 0x200, v3
	v_mov_b32_e32 v7, v3
	v_mov_b32_e32 v2, 0
	;; [unrolled: 1-line block ×3, first 2 shown]
	s_mov_b32 s5, 0
	.p2align	6
.LBB62_85:                              ; =>This Inner Loop Header: Depth=1
	s_clause 0x1
	buffer_load_dword v11, v7, s[0:3], 0 offen offset:4
	buffer_load_dword v12, v7, s[0:3], 0 offen
	ds_read_b64 v[9:10], v6
	v_add_nc_u32_e32 v5, 1, v5
	v_add_nc_u32_e32 v6, 8, v6
	;; [unrolled: 1-line block ×3, first 2 shown]
	v_cmp_lt_u32_e32 vcc_lo, 16, v5
	s_or_b32 s5, vcc_lo, s5
	s_waitcnt vmcnt(1) lgkmcnt(0)
	v_mul_f32_e32 v139, v10, v11
	v_mul_f32_e32 v11, v9, v11
	s_waitcnt vmcnt(0)
	v_fma_f32 v9, v9, v12, -v139
	v_fmac_f32_e32 v11, v10, v12
	v_add_f32_e32 v8, v8, v9
	v_add_f32_e32 v2, v2, v11
	s_andn2_b32 exec_lo, exec_lo, s5
	s_cbranch_execnz .LBB62_85
; %bb.86:
	s_or_b32 exec_lo, exec_lo, s5
	v_mov_b32_e32 v5, 0
	ds_read_b64 v[5:6], v5 offset:144
	s_waitcnt lgkmcnt(0)
	v_mul_f32_e32 v7, v2, v6
	v_mul_f32_e32 v6, v8, v6
	v_fma_f32 v7, v8, v5, -v7
	v_fmac_f32_e32 v6, v2, v5
	buffer_store_dword v7, off, s[0:3], 0 offset:144
	buffer_store_dword v6, off, s[0:3], 0 offset:148
.LBB62_87:
	s_or_b32 exec_lo, exec_lo, s4
	s_waitcnt_vscnt null, 0x0
	s_barrier
	buffer_gl0_inv
	s_clause 0x1
	buffer_load_dword v5, off, s[0:3], 0 offset:152
	buffer_load_dword v6, off, s[0:3], 0 offset:156
	s_mov_b32 s4, exec_lo
	s_waitcnt vmcnt(0)
	ds_write_b64 v4, v[5:6]
	s_waitcnt lgkmcnt(0)
	s_barrier
	buffer_gl0_inv
	v_cmpx_gt_u32_e32 19, v0
	s_cbranch_execz .LBB62_91
; %bb.88:
	v_add_nc_u32_e32 v5, -1, v0
	v_or_b32_e32 v6, 0x200, v3
	v_mov_b32_e32 v7, v3
	v_mov_b32_e32 v2, 0
	;; [unrolled: 1-line block ×3, first 2 shown]
	s_mov_b32 s5, 0
	.p2align	6
.LBB62_89:                              ; =>This Inner Loop Header: Depth=1
	s_clause 0x1
	buffer_load_dword v11, v7, s[0:3], 0 offen offset:4
	buffer_load_dword v12, v7, s[0:3], 0 offen
	ds_read_b64 v[9:10], v6
	v_add_nc_u32_e32 v5, 1, v5
	v_add_nc_u32_e32 v6, 8, v6
	;; [unrolled: 1-line block ×3, first 2 shown]
	v_cmp_lt_u32_e32 vcc_lo, 17, v5
	s_or_b32 s5, vcc_lo, s5
	s_waitcnt vmcnt(1) lgkmcnt(0)
	v_mul_f32_e32 v139, v10, v11
	v_mul_f32_e32 v11, v9, v11
	s_waitcnt vmcnt(0)
	v_fma_f32 v9, v9, v12, -v139
	v_fmac_f32_e32 v11, v10, v12
	v_add_f32_e32 v8, v8, v9
	v_add_f32_e32 v2, v2, v11
	s_andn2_b32 exec_lo, exec_lo, s5
	s_cbranch_execnz .LBB62_89
; %bb.90:
	s_or_b32 exec_lo, exec_lo, s5
	v_mov_b32_e32 v5, 0
	ds_read_b64 v[5:6], v5 offset:152
	s_waitcnt lgkmcnt(0)
	v_mul_f32_e32 v7, v2, v6
	v_mul_f32_e32 v6, v8, v6
	v_fma_f32 v7, v8, v5, -v7
	v_fmac_f32_e32 v6, v2, v5
	buffer_store_dword v7, off, s[0:3], 0 offset:152
	buffer_store_dword v6, off, s[0:3], 0 offset:156
.LBB62_91:
	s_or_b32 exec_lo, exec_lo, s4
	s_waitcnt_vscnt null, 0x0
	s_barrier
	buffer_gl0_inv
	s_clause 0x1
	buffer_load_dword v5, off, s[0:3], 0 offset:160
	buffer_load_dword v6, off, s[0:3], 0 offset:164
	s_mov_b32 s4, exec_lo
	s_waitcnt vmcnt(0)
	ds_write_b64 v4, v[5:6]
	s_waitcnt lgkmcnt(0)
	s_barrier
	buffer_gl0_inv
	v_cmpx_gt_u32_e32 20, v0
	s_cbranch_execz .LBB62_95
; %bb.92:
	v_add_nc_u32_e32 v5, -1, v0
	v_or_b32_e32 v6, 0x200, v3
	v_mov_b32_e32 v7, v3
	v_mov_b32_e32 v2, 0
	;; [unrolled: 1-line block ×3, first 2 shown]
	s_mov_b32 s5, 0
	.p2align	6
.LBB62_93:                              ; =>This Inner Loop Header: Depth=1
	s_clause 0x1
	buffer_load_dword v11, v7, s[0:3], 0 offen offset:4
	buffer_load_dword v12, v7, s[0:3], 0 offen
	ds_read_b64 v[9:10], v6
	v_add_nc_u32_e32 v5, 1, v5
	v_add_nc_u32_e32 v6, 8, v6
	v_add_nc_u32_e32 v7, 8, v7
	v_cmp_lt_u32_e32 vcc_lo, 18, v5
	s_or_b32 s5, vcc_lo, s5
	s_waitcnt vmcnt(1) lgkmcnt(0)
	v_mul_f32_e32 v139, v10, v11
	v_mul_f32_e32 v11, v9, v11
	s_waitcnt vmcnt(0)
	v_fma_f32 v9, v9, v12, -v139
	v_fmac_f32_e32 v11, v10, v12
	v_add_f32_e32 v8, v8, v9
	v_add_f32_e32 v2, v2, v11
	s_andn2_b32 exec_lo, exec_lo, s5
	s_cbranch_execnz .LBB62_93
; %bb.94:
	s_or_b32 exec_lo, exec_lo, s5
	v_mov_b32_e32 v5, 0
	ds_read_b64 v[5:6], v5 offset:160
	s_waitcnt lgkmcnt(0)
	v_mul_f32_e32 v7, v2, v6
	v_mul_f32_e32 v6, v8, v6
	v_fma_f32 v7, v8, v5, -v7
	v_fmac_f32_e32 v6, v2, v5
	buffer_store_dword v7, off, s[0:3], 0 offset:160
	buffer_store_dword v6, off, s[0:3], 0 offset:164
.LBB62_95:
	s_or_b32 exec_lo, exec_lo, s4
	s_waitcnt_vscnt null, 0x0
	s_barrier
	buffer_gl0_inv
	s_clause 0x1
	buffer_load_dword v5, off, s[0:3], 0 offset:168
	buffer_load_dword v6, off, s[0:3], 0 offset:172
	s_mov_b32 s4, exec_lo
	s_waitcnt vmcnt(0)
	ds_write_b64 v4, v[5:6]
	s_waitcnt lgkmcnt(0)
	s_barrier
	buffer_gl0_inv
	v_cmpx_gt_u32_e32 21, v0
	s_cbranch_execz .LBB62_99
; %bb.96:
	v_add_nc_u32_e32 v5, -1, v0
	v_or_b32_e32 v6, 0x200, v3
	v_mov_b32_e32 v7, v3
	v_mov_b32_e32 v2, 0
	;; [unrolled: 1-line block ×3, first 2 shown]
	s_mov_b32 s5, 0
	.p2align	6
.LBB62_97:                              ; =>This Inner Loop Header: Depth=1
	s_clause 0x1
	buffer_load_dword v11, v7, s[0:3], 0 offen offset:4
	buffer_load_dword v12, v7, s[0:3], 0 offen
	ds_read_b64 v[9:10], v6
	v_add_nc_u32_e32 v5, 1, v5
	v_add_nc_u32_e32 v6, 8, v6
	;; [unrolled: 1-line block ×3, first 2 shown]
	v_cmp_lt_u32_e32 vcc_lo, 19, v5
	s_or_b32 s5, vcc_lo, s5
	s_waitcnt vmcnt(1) lgkmcnt(0)
	v_mul_f32_e32 v139, v10, v11
	v_mul_f32_e32 v11, v9, v11
	s_waitcnt vmcnt(0)
	v_fma_f32 v9, v9, v12, -v139
	v_fmac_f32_e32 v11, v10, v12
	v_add_f32_e32 v8, v8, v9
	v_add_f32_e32 v2, v2, v11
	s_andn2_b32 exec_lo, exec_lo, s5
	s_cbranch_execnz .LBB62_97
; %bb.98:
	s_or_b32 exec_lo, exec_lo, s5
	v_mov_b32_e32 v5, 0
	ds_read_b64 v[5:6], v5 offset:168
	s_waitcnt lgkmcnt(0)
	v_mul_f32_e32 v7, v2, v6
	v_mul_f32_e32 v6, v8, v6
	v_fma_f32 v7, v8, v5, -v7
	v_fmac_f32_e32 v6, v2, v5
	buffer_store_dword v7, off, s[0:3], 0 offset:168
	buffer_store_dword v6, off, s[0:3], 0 offset:172
.LBB62_99:
	s_or_b32 exec_lo, exec_lo, s4
	s_waitcnt_vscnt null, 0x0
	s_barrier
	buffer_gl0_inv
	s_clause 0x1
	buffer_load_dword v5, off, s[0:3], 0 offset:176
	buffer_load_dword v6, off, s[0:3], 0 offset:180
	s_mov_b32 s4, exec_lo
	s_waitcnt vmcnt(0)
	ds_write_b64 v4, v[5:6]
	s_waitcnt lgkmcnt(0)
	s_barrier
	buffer_gl0_inv
	v_cmpx_gt_u32_e32 22, v0
	s_cbranch_execz .LBB62_103
; %bb.100:
	v_add_nc_u32_e32 v5, -1, v0
	v_or_b32_e32 v6, 0x200, v3
	v_mov_b32_e32 v7, v3
	v_mov_b32_e32 v2, 0
	;; [unrolled: 1-line block ×3, first 2 shown]
	s_mov_b32 s5, 0
	.p2align	6
.LBB62_101:                             ; =>This Inner Loop Header: Depth=1
	s_clause 0x1
	buffer_load_dword v11, v7, s[0:3], 0 offen offset:4
	buffer_load_dword v12, v7, s[0:3], 0 offen
	ds_read_b64 v[9:10], v6
	v_add_nc_u32_e32 v5, 1, v5
	v_add_nc_u32_e32 v6, 8, v6
	;; [unrolled: 1-line block ×3, first 2 shown]
	v_cmp_lt_u32_e32 vcc_lo, 20, v5
	s_or_b32 s5, vcc_lo, s5
	s_waitcnt vmcnt(1) lgkmcnt(0)
	v_mul_f32_e32 v139, v10, v11
	v_mul_f32_e32 v11, v9, v11
	s_waitcnt vmcnt(0)
	v_fma_f32 v9, v9, v12, -v139
	v_fmac_f32_e32 v11, v10, v12
	v_add_f32_e32 v8, v8, v9
	v_add_f32_e32 v2, v2, v11
	s_andn2_b32 exec_lo, exec_lo, s5
	s_cbranch_execnz .LBB62_101
; %bb.102:
	s_or_b32 exec_lo, exec_lo, s5
	v_mov_b32_e32 v5, 0
	ds_read_b64 v[5:6], v5 offset:176
	s_waitcnt lgkmcnt(0)
	v_mul_f32_e32 v7, v2, v6
	v_mul_f32_e32 v6, v8, v6
	v_fma_f32 v7, v8, v5, -v7
	v_fmac_f32_e32 v6, v2, v5
	buffer_store_dword v7, off, s[0:3], 0 offset:176
	buffer_store_dword v6, off, s[0:3], 0 offset:180
.LBB62_103:
	s_or_b32 exec_lo, exec_lo, s4
	s_waitcnt_vscnt null, 0x0
	s_barrier
	buffer_gl0_inv
	s_clause 0x1
	buffer_load_dword v5, off, s[0:3], 0 offset:184
	buffer_load_dword v6, off, s[0:3], 0 offset:188
	s_mov_b32 s4, exec_lo
	s_waitcnt vmcnt(0)
	ds_write_b64 v4, v[5:6]
	s_waitcnt lgkmcnt(0)
	s_barrier
	buffer_gl0_inv
	v_cmpx_gt_u32_e32 23, v0
	s_cbranch_execz .LBB62_107
; %bb.104:
	v_add_nc_u32_e32 v5, -1, v0
	v_or_b32_e32 v6, 0x200, v3
	v_mov_b32_e32 v7, v3
	v_mov_b32_e32 v2, 0
	;; [unrolled: 1-line block ×3, first 2 shown]
	s_mov_b32 s5, 0
	.p2align	6
.LBB62_105:                             ; =>This Inner Loop Header: Depth=1
	s_clause 0x1
	buffer_load_dword v11, v7, s[0:3], 0 offen offset:4
	buffer_load_dword v12, v7, s[0:3], 0 offen
	ds_read_b64 v[9:10], v6
	v_add_nc_u32_e32 v5, 1, v5
	v_add_nc_u32_e32 v6, 8, v6
	;; [unrolled: 1-line block ×3, first 2 shown]
	v_cmp_lt_u32_e32 vcc_lo, 21, v5
	s_or_b32 s5, vcc_lo, s5
	s_waitcnt vmcnt(1) lgkmcnt(0)
	v_mul_f32_e32 v139, v10, v11
	v_mul_f32_e32 v11, v9, v11
	s_waitcnt vmcnt(0)
	v_fma_f32 v9, v9, v12, -v139
	v_fmac_f32_e32 v11, v10, v12
	v_add_f32_e32 v8, v8, v9
	v_add_f32_e32 v2, v2, v11
	s_andn2_b32 exec_lo, exec_lo, s5
	s_cbranch_execnz .LBB62_105
; %bb.106:
	s_or_b32 exec_lo, exec_lo, s5
	v_mov_b32_e32 v5, 0
	ds_read_b64 v[5:6], v5 offset:184
	s_waitcnt lgkmcnt(0)
	v_mul_f32_e32 v7, v2, v6
	v_mul_f32_e32 v6, v8, v6
	v_fma_f32 v7, v8, v5, -v7
	v_fmac_f32_e32 v6, v2, v5
	buffer_store_dword v7, off, s[0:3], 0 offset:184
	buffer_store_dword v6, off, s[0:3], 0 offset:188
.LBB62_107:
	s_or_b32 exec_lo, exec_lo, s4
	s_waitcnt_vscnt null, 0x0
	s_barrier
	buffer_gl0_inv
	s_clause 0x1
	buffer_load_dword v5, off, s[0:3], 0 offset:192
	buffer_load_dword v6, off, s[0:3], 0 offset:196
	s_mov_b32 s4, exec_lo
	s_waitcnt vmcnt(0)
	ds_write_b64 v4, v[5:6]
	s_waitcnt lgkmcnt(0)
	s_barrier
	buffer_gl0_inv
	v_cmpx_gt_u32_e32 24, v0
	s_cbranch_execz .LBB62_111
; %bb.108:
	v_add_nc_u32_e32 v5, -1, v0
	v_or_b32_e32 v6, 0x200, v3
	v_mov_b32_e32 v7, v3
	v_mov_b32_e32 v2, 0
	;; [unrolled: 1-line block ×3, first 2 shown]
	s_mov_b32 s5, 0
	.p2align	6
.LBB62_109:                             ; =>This Inner Loop Header: Depth=1
	s_clause 0x1
	buffer_load_dword v11, v7, s[0:3], 0 offen offset:4
	buffer_load_dword v12, v7, s[0:3], 0 offen
	ds_read_b64 v[9:10], v6
	v_add_nc_u32_e32 v5, 1, v5
	v_add_nc_u32_e32 v6, 8, v6
	;; [unrolled: 1-line block ×3, first 2 shown]
	v_cmp_lt_u32_e32 vcc_lo, 22, v5
	s_or_b32 s5, vcc_lo, s5
	s_waitcnt vmcnt(1) lgkmcnt(0)
	v_mul_f32_e32 v139, v10, v11
	v_mul_f32_e32 v11, v9, v11
	s_waitcnt vmcnt(0)
	v_fma_f32 v9, v9, v12, -v139
	v_fmac_f32_e32 v11, v10, v12
	v_add_f32_e32 v8, v8, v9
	v_add_f32_e32 v2, v2, v11
	s_andn2_b32 exec_lo, exec_lo, s5
	s_cbranch_execnz .LBB62_109
; %bb.110:
	s_or_b32 exec_lo, exec_lo, s5
	v_mov_b32_e32 v5, 0
	ds_read_b64 v[5:6], v5 offset:192
	s_waitcnt lgkmcnt(0)
	v_mul_f32_e32 v7, v2, v6
	v_mul_f32_e32 v6, v8, v6
	v_fma_f32 v7, v8, v5, -v7
	v_fmac_f32_e32 v6, v2, v5
	buffer_store_dword v7, off, s[0:3], 0 offset:192
	buffer_store_dword v6, off, s[0:3], 0 offset:196
.LBB62_111:
	s_or_b32 exec_lo, exec_lo, s4
	s_waitcnt_vscnt null, 0x0
	s_barrier
	buffer_gl0_inv
	s_clause 0x1
	buffer_load_dword v5, off, s[0:3], 0 offset:200
	buffer_load_dword v6, off, s[0:3], 0 offset:204
	s_mov_b32 s4, exec_lo
	s_waitcnt vmcnt(0)
	ds_write_b64 v4, v[5:6]
	s_waitcnt lgkmcnt(0)
	s_barrier
	buffer_gl0_inv
	v_cmpx_gt_u32_e32 25, v0
	s_cbranch_execz .LBB62_115
; %bb.112:
	v_add_nc_u32_e32 v5, -1, v0
	v_or_b32_e32 v6, 0x200, v3
	v_mov_b32_e32 v7, v3
	v_mov_b32_e32 v2, 0
	;; [unrolled: 1-line block ×3, first 2 shown]
	s_mov_b32 s5, 0
	.p2align	6
.LBB62_113:                             ; =>This Inner Loop Header: Depth=1
	s_clause 0x1
	buffer_load_dword v11, v7, s[0:3], 0 offen offset:4
	buffer_load_dword v12, v7, s[0:3], 0 offen
	ds_read_b64 v[9:10], v6
	v_add_nc_u32_e32 v5, 1, v5
	v_add_nc_u32_e32 v6, 8, v6
	;; [unrolled: 1-line block ×3, first 2 shown]
	v_cmp_lt_u32_e32 vcc_lo, 23, v5
	s_or_b32 s5, vcc_lo, s5
	s_waitcnt vmcnt(1) lgkmcnt(0)
	v_mul_f32_e32 v139, v10, v11
	v_mul_f32_e32 v11, v9, v11
	s_waitcnt vmcnt(0)
	v_fma_f32 v9, v9, v12, -v139
	v_fmac_f32_e32 v11, v10, v12
	v_add_f32_e32 v8, v8, v9
	v_add_f32_e32 v2, v2, v11
	s_andn2_b32 exec_lo, exec_lo, s5
	s_cbranch_execnz .LBB62_113
; %bb.114:
	s_or_b32 exec_lo, exec_lo, s5
	v_mov_b32_e32 v5, 0
	ds_read_b64 v[5:6], v5 offset:200
	s_waitcnt lgkmcnt(0)
	v_mul_f32_e32 v7, v2, v6
	v_mul_f32_e32 v6, v8, v6
	v_fma_f32 v7, v8, v5, -v7
	v_fmac_f32_e32 v6, v2, v5
	buffer_store_dword v7, off, s[0:3], 0 offset:200
	buffer_store_dword v6, off, s[0:3], 0 offset:204
.LBB62_115:
	s_or_b32 exec_lo, exec_lo, s4
	s_waitcnt_vscnt null, 0x0
	s_barrier
	buffer_gl0_inv
	s_clause 0x1
	buffer_load_dword v5, off, s[0:3], 0 offset:208
	buffer_load_dword v6, off, s[0:3], 0 offset:212
	s_mov_b32 s4, exec_lo
	s_waitcnt vmcnt(0)
	ds_write_b64 v4, v[5:6]
	s_waitcnt lgkmcnt(0)
	s_barrier
	buffer_gl0_inv
	v_cmpx_gt_u32_e32 26, v0
	s_cbranch_execz .LBB62_119
; %bb.116:
	v_add_nc_u32_e32 v5, -1, v0
	v_or_b32_e32 v6, 0x200, v3
	v_mov_b32_e32 v7, v3
	v_mov_b32_e32 v2, 0
	;; [unrolled: 1-line block ×3, first 2 shown]
	s_mov_b32 s5, 0
	.p2align	6
.LBB62_117:                             ; =>This Inner Loop Header: Depth=1
	s_clause 0x1
	buffer_load_dword v11, v7, s[0:3], 0 offen offset:4
	buffer_load_dword v12, v7, s[0:3], 0 offen
	ds_read_b64 v[9:10], v6
	v_add_nc_u32_e32 v5, 1, v5
	v_add_nc_u32_e32 v6, 8, v6
	;; [unrolled: 1-line block ×3, first 2 shown]
	v_cmp_lt_u32_e32 vcc_lo, 24, v5
	s_or_b32 s5, vcc_lo, s5
	s_waitcnt vmcnt(1) lgkmcnt(0)
	v_mul_f32_e32 v139, v10, v11
	v_mul_f32_e32 v11, v9, v11
	s_waitcnt vmcnt(0)
	v_fma_f32 v9, v9, v12, -v139
	v_fmac_f32_e32 v11, v10, v12
	v_add_f32_e32 v8, v8, v9
	v_add_f32_e32 v2, v2, v11
	s_andn2_b32 exec_lo, exec_lo, s5
	s_cbranch_execnz .LBB62_117
; %bb.118:
	s_or_b32 exec_lo, exec_lo, s5
	v_mov_b32_e32 v5, 0
	ds_read_b64 v[5:6], v5 offset:208
	s_waitcnt lgkmcnt(0)
	v_mul_f32_e32 v7, v2, v6
	v_mul_f32_e32 v6, v8, v6
	v_fma_f32 v7, v8, v5, -v7
	v_fmac_f32_e32 v6, v2, v5
	buffer_store_dword v7, off, s[0:3], 0 offset:208
	buffer_store_dword v6, off, s[0:3], 0 offset:212
.LBB62_119:
	s_or_b32 exec_lo, exec_lo, s4
	s_waitcnt_vscnt null, 0x0
	s_barrier
	buffer_gl0_inv
	s_clause 0x1
	buffer_load_dword v5, off, s[0:3], 0 offset:216
	buffer_load_dword v6, off, s[0:3], 0 offset:220
	s_mov_b32 s4, exec_lo
	s_waitcnt vmcnt(0)
	ds_write_b64 v4, v[5:6]
	s_waitcnt lgkmcnt(0)
	s_barrier
	buffer_gl0_inv
	v_cmpx_gt_u32_e32 27, v0
	s_cbranch_execz .LBB62_123
; %bb.120:
	v_add_nc_u32_e32 v5, -1, v0
	v_or_b32_e32 v6, 0x200, v3
	v_mov_b32_e32 v7, v3
	v_mov_b32_e32 v2, 0
	;; [unrolled: 1-line block ×3, first 2 shown]
	s_mov_b32 s5, 0
	.p2align	6
.LBB62_121:                             ; =>This Inner Loop Header: Depth=1
	s_clause 0x1
	buffer_load_dword v11, v7, s[0:3], 0 offen offset:4
	buffer_load_dword v12, v7, s[0:3], 0 offen
	ds_read_b64 v[9:10], v6
	v_add_nc_u32_e32 v5, 1, v5
	v_add_nc_u32_e32 v6, 8, v6
	;; [unrolled: 1-line block ×3, first 2 shown]
	v_cmp_lt_u32_e32 vcc_lo, 25, v5
	s_or_b32 s5, vcc_lo, s5
	s_waitcnt vmcnt(1) lgkmcnt(0)
	v_mul_f32_e32 v139, v10, v11
	v_mul_f32_e32 v11, v9, v11
	s_waitcnt vmcnt(0)
	v_fma_f32 v9, v9, v12, -v139
	v_fmac_f32_e32 v11, v10, v12
	v_add_f32_e32 v8, v8, v9
	v_add_f32_e32 v2, v2, v11
	s_andn2_b32 exec_lo, exec_lo, s5
	s_cbranch_execnz .LBB62_121
; %bb.122:
	s_or_b32 exec_lo, exec_lo, s5
	v_mov_b32_e32 v5, 0
	ds_read_b64 v[5:6], v5 offset:216
	s_waitcnt lgkmcnt(0)
	v_mul_f32_e32 v7, v2, v6
	v_mul_f32_e32 v6, v8, v6
	v_fma_f32 v7, v8, v5, -v7
	v_fmac_f32_e32 v6, v2, v5
	buffer_store_dword v7, off, s[0:3], 0 offset:216
	buffer_store_dword v6, off, s[0:3], 0 offset:220
.LBB62_123:
	s_or_b32 exec_lo, exec_lo, s4
	s_waitcnt_vscnt null, 0x0
	s_barrier
	buffer_gl0_inv
	s_clause 0x1
	buffer_load_dword v5, off, s[0:3], 0 offset:224
	buffer_load_dword v6, off, s[0:3], 0 offset:228
	s_mov_b32 s4, exec_lo
	s_waitcnt vmcnt(0)
	ds_write_b64 v4, v[5:6]
	s_waitcnt lgkmcnt(0)
	s_barrier
	buffer_gl0_inv
	v_cmpx_gt_u32_e32 28, v0
	s_cbranch_execz .LBB62_127
; %bb.124:
	v_add_nc_u32_e32 v5, -1, v0
	v_or_b32_e32 v6, 0x200, v3
	v_mov_b32_e32 v7, v3
	v_mov_b32_e32 v2, 0
	;; [unrolled: 1-line block ×3, first 2 shown]
	s_mov_b32 s5, 0
	.p2align	6
.LBB62_125:                             ; =>This Inner Loop Header: Depth=1
	s_clause 0x1
	buffer_load_dword v11, v7, s[0:3], 0 offen offset:4
	buffer_load_dword v12, v7, s[0:3], 0 offen
	ds_read_b64 v[9:10], v6
	v_add_nc_u32_e32 v5, 1, v5
	v_add_nc_u32_e32 v6, 8, v6
	;; [unrolled: 1-line block ×3, first 2 shown]
	v_cmp_lt_u32_e32 vcc_lo, 26, v5
	s_or_b32 s5, vcc_lo, s5
	s_waitcnt vmcnt(1) lgkmcnt(0)
	v_mul_f32_e32 v139, v10, v11
	v_mul_f32_e32 v11, v9, v11
	s_waitcnt vmcnt(0)
	v_fma_f32 v9, v9, v12, -v139
	v_fmac_f32_e32 v11, v10, v12
	v_add_f32_e32 v8, v8, v9
	v_add_f32_e32 v2, v2, v11
	s_andn2_b32 exec_lo, exec_lo, s5
	s_cbranch_execnz .LBB62_125
; %bb.126:
	s_or_b32 exec_lo, exec_lo, s5
	v_mov_b32_e32 v5, 0
	ds_read_b64 v[5:6], v5 offset:224
	s_waitcnt lgkmcnt(0)
	v_mul_f32_e32 v7, v2, v6
	v_mul_f32_e32 v6, v8, v6
	v_fma_f32 v7, v8, v5, -v7
	v_fmac_f32_e32 v6, v2, v5
	buffer_store_dword v7, off, s[0:3], 0 offset:224
	buffer_store_dword v6, off, s[0:3], 0 offset:228
.LBB62_127:
	s_or_b32 exec_lo, exec_lo, s4
	s_waitcnt_vscnt null, 0x0
	s_barrier
	buffer_gl0_inv
	s_clause 0x1
	buffer_load_dword v5, off, s[0:3], 0 offset:232
	buffer_load_dword v6, off, s[0:3], 0 offset:236
	s_mov_b32 s4, exec_lo
	s_waitcnt vmcnt(0)
	ds_write_b64 v4, v[5:6]
	s_waitcnt lgkmcnt(0)
	s_barrier
	buffer_gl0_inv
	v_cmpx_gt_u32_e32 29, v0
	s_cbranch_execz .LBB62_131
; %bb.128:
	v_add_nc_u32_e32 v5, -1, v0
	v_or_b32_e32 v6, 0x200, v3
	v_mov_b32_e32 v7, v3
	v_mov_b32_e32 v2, 0
	;; [unrolled: 1-line block ×3, first 2 shown]
	s_mov_b32 s5, 0
	.p2align	6
.LBB62_129:                             ; =>This Inner Loop Header: Depth=1
	s_clause 0x1
	buffer_load_dword v11, v7, s[0:3], 0 offen offset:4
	buffer_load_dword v12, v7, s[0:3], 0 offen
	ds_read_b64 v[9:10], v6
	v_add_nc_u32_e32 v5, 1, v5
	v_add_nc_u32_e32 v6, 8, v6
	;; [unrolled: 1-line block ×3, first 2 shown]
	v_cmp_lt_u32_e32 vcc_lo, 27, v5
	s_or_b32 s5, vcc_lo, s5
	s_waitcnt vmcnt(1) lgkmcnt(0)
	v_mul_f32_e32 v139, v10, v11
	v_mul_f32_e32 v11, v9, v11
	s_waitcnt vmcnt(0)
	v_fma_f32 v9, v9, v12, -v139
	v_fmac_f32_e32 v11, v10, v12
	v_add_f32_e32 v8, v8, v9
	v_add_f32_e32 v2, v2, v11
	s_andn2_b32 exec_lo, exec_lo, s5
	s_cbranch_execnz .LBB62_129
; %bb.130:
	s_or_b32 exec_lo, exec_lo, s5
	v_mov_b32_e32 v5, 0
	ds_read_b64 v[5:6], v5 offset:232
	s_waitcnt lgkmcnt(0)
	v_mul_f32_e32 v7, v2, v6
	v_mul_f32_e32 v6, v8, v6
	v_fma_f32 v7, v8, v5, -v7
	v_fmac_f32_e32 v6, v2, v5
	buffer_store_dword v7, off, s[0:3], 0 offset:232
	buffer_store_dword v6, off, s[0:3], 0 offset:236
.LBB62_131:
	s_or_b32 exec_lo, exec_lo, s4
	s_waitcnt_vscnt null, 0x0
	s_barrier
	buffer_gl0_inv
	s_clause 0x1
	buffer_load_dword v5, off, s[0:3], 0 offset:240
	buffer_load_dword v6, off, s[0:3], 0 offset:244
	s_mov_b32 s4, exec_lo
	s_waitcnt vmcnt(0)
	ds_write_b64 v4, v[5:6]
	s_waitcnt lgkmcnt(0)
	s_barrier
	buffer_gl0_inv
	v_cmpx_gt_u32_e32 30, v0
	s_cbranch_execz .LBB62_135
; %bb.132:
	v_add_nc_u32_e32 v5, -1, v0
	v_or_b32_e32 v6, 0x200, v3
	v_mov_b32_e32 v7, v3
	v_mov_b32_e32 v2, 0
	;; [unrolled: 1-line block ×3, first 2 shown]
	s_mov_b32 s5, 0
	.p2align	6
.LBB62_133:                             ; =>This Inner Loop Header: Depth=1
	s_clause 0x1
	buffer_load_dword v11, v7, s[0:3], 0 offen offset:4
	buffer_load_dword v12, v7, s[0:3], 0 offen
	ds_read_b64 v[9:10], v6
	v_add_nc_u32_e32 v5, 1, v5
	v_add_nc_u32_e32 v6, 8, v6
	;; [unrolled: 1-line block ×3, first 2 shown]
	v_cmp_lt_u32_e32 vcc_lo, 28, v5
	s_or_b32 s5, vcc_lo, s5
	s_waitcnt vmcnt(1) lgkmcnt(0)
	v_mul_f32_e32 v139, v10, v11
	v_mul_f32_e32 v11, v9, v11
	s_waitcnt vmcnt(0)
	v_fma_f32 v9, v9, v12, -v139
	v_fmac_f32_e32 v11, v10, v12
	v_add_f32_e32 v8, v8, v9
	v_add_f32_e32 v2, v2, v11
	s_andn2_b32 exec_lo, exec_lo, s5
	s_cbranch_execnz .LBB62_133
; %bb.134:
	s_or_b32 exec_lo, exec_lo, s5
	v_mov_b32_e32 v5, 0
	ds_read_b64 v[5:6], v5 offset:240
	s_waitcnt lgkmcnt(0)
	v_mul_f32_e32 v7, v2, v6
	v_mul_f32_e32 v6, v8, v6
	v_fma_f32 v7, v8, v5, -v7
	v_fmac_f32_e32 v6, v2, v5
	buffer_store_dword v7, off, s[0:3], 0 offset:240
	buffer_store_dword v6, off, s[0:3], 0 offset:244
.LBB62_135:
	s_or_b32 exec_lo, exec_lo, s4
	s_waitcnt_vscnt null, 0x0
	s_barrier
	buffer_gl0_inv
	s_clause 0x1
	buffer_load_dword v5, off, s[0:3], 0 offset:248
	buffer_load_dword v6, off, s[0:3], 0 offset:252
	s_mov_b32 s4, exec_lo
	s_waitcnt vmcnt(0)
	ds_write_b64 v4, v[5:6]
	s_waitcnt lgkmcnt(0)
	s_barrier
	buffer_gl0_inv
	v_cmpx_gt_u32_e32 31, v0
	s_cbranch_execz .LBB62_139
; %bb.136:
	v_add_nc_u32_e32 v5, -1, v0
	v_or_b32_e32 v6, 0x200, v3
	v_mov_b32_e32 v7, v3
	v_mov_b32_e32 v2, 0
	;; [unrolled: 1-line block ×3, first 2 shown]
	s_mov_b32 s5, 0
	.p2align	6
.LBB62_137:                             ; =>This Inner Loop Header: Depth=1
	s_clause 0x1
	buffer_load_dword v11, v7, s[0:3], 0 offen offset:4
	buffer_load_dword v12, v7, s[0:3], 0 offen
	ds_read_b64 v[9:10], v6
	v_add_nc_u32_e32 v5, 1, v5
	v_add_nc_u32_e32 v6, 8, v6
	;; [unrolled: 1-line block ×3, first 2 shown]
	v_cmp_lt_u32_e32 vcc_lo, 29, v5
	s_or_b32 s5, vcc_lo, s5
	s_waitcnt vmcnt(1) lgkmcnt(0)
	v_mul_f32_e32 v139, v10, v11
	v_mul_f32_e32 v11, v9, v11
	s_waitcnt vmcnt(0)
	v_fma_f32 v9, v9, v12, -v139
	v_fmac_f32_e32 v11, v10, v12
	v_add_f32_e32 v8, v8, v9
	v_add_f32_e32 v2, v2, v11
	s_andn2_b32 exec_lo, exec_lo, s5
	s_cbranch_execnz .LBB62_137
; %bb.138:
	s_or_b32 exec_lo, exec_lo, s5
	v_mov_b32_e32 v5, 0
	ds_read_b64 v[5:6], v5 offset:248
	s_waitcnt lgkmcnt(0)
	v_mul_f32_e32 v7, v2, v6
	v_mul_f32_e32 v6, v8, v6
	v_fma_f32 v7, v8, v5, -v7
	v_fmac_f32_e32 v6, v2, v5
	buffer_store_dword v7, off, s[0:3], 0 offset:248
	buffer_store_dword v6, off, s[0:3], 0 offset:252
.LBB62_139:
	s_or_b32 exec_lo, exec_lo, s4
	s_waitcnt_vscnt null, 0x0
	s_barrier
	buffer_gl0_inv
	s_clause 0x1
	buffer_load_dword v5, off, s[0:3], 0 offset:256
	buffer_load_dword v6, off, s[0:3], 0 offset:260
	s_mov_b32 s4, exec_lo
	s_waitcnt vmcnt(0)
	ds_write_b64 v4, v[5:6]
	s_waitcnt lgkmcnt(0)
	s_barrier
	buffer_gl0_inv
	v_cmpx_gt_u32_e32 32, v0
	s_cbranch_execz .LBB62_143
; %bb.140:
	v_add_nc_u32_e32 v5, -1, v0
	v_or_b32_e32 v6, 0x200, v3
	v_mov_b32_e32 v7, v3
	v_mov_b32_e32 v2, 0
	;; [unrolled: 1-line block ×3, first 2 shown]
	s_mov_b32 s5, 0
	.p2align	6
.LBB62_141:                             ; =>This Inner Loop Header: Depth=1
	s_clause 0x1
	buffer_load_dword v11, v7, s[0:3], 0 offen offset:4
	buffer_load_dword v12, v7, s[0:3], 0 offen
	ds_read_b64 v[9:10], v6
	v_add_nc_u32_e32 v5, 1, v5
	v_add_nc_u32_e32 v6, 8, v6
	;; [unrolled: 1-line block ×3, first 2 shown]
	v_cmp_lt_u32_e32 vcc_lo, 30, v5
	s_or_b32 s5, vcc_lo, s5
	s_waitcnt vmcnt(1) lgkmcnt(0)
	v_mul_f32_e32 v139, v10, v11
	v_mul_f32_e32 v11, v9, v11
	s_waitcnt vmcnt(0)
	v_fma_f32 v9, v9, v12, -v139
	v_fmac_f32_e32 v11, v10, v12
	v_add_f32_e32 v8, v8, v9
	v_add_f32_e32 v2, v2, v11
	s_andn2_b32 exec_lo, exec_lo, s5
	s_cbranch_execnz .LBB62_141
; %bb.142:
	s_or_b32 exec_lo, exec_lo, s5
	v_mov_b32_e32 v5, 0
	ds_read_b64 v[5:6], v5 offset:256
	s_waitcnt lgkmcnt(0)
	v_mul_f32_e32 v7, v2, v6
	v_mul_f32_e32 v6, v8, v6
	v_fma_f32 v7, v8, v5, -v7
	v_fmac_f32_e32 v6, v2, v5
	buffer_store_dword v7, off, s[0:3], 0 offset:256
	buffer_store_dword v6, off, s[0:3], 0 offset:260
.LBB62_143:
	s_or_b32 exec_lo, exec_lo, s4
	s_waitcnt_vscnt null, 0x0
	s_barrier
	buffer_gl0_inv
	s_clause 0x1
	buffer_load_dword v5, off, s[0:3], 0 offset:264
	buffer_load_dword v6, off, s[0:3], 0 offset:268
	s_mov_b32 s4, exec_lo
	s_waitcnt vmcnt(0)
	ds_write_b64 v4, v[5:6]
	s_waitcnt lgkmcnt(0)
	s_barrier
	buffer_gl0_inv
	v_cmpx_gt_u32_e32 33, v0
	s_cbranch_execz .LBB62_147
; %bb.144:
	v_add_nc_u32_e32 v5, -1, v0
	v_or_b32_e32 v6, 0x200, v3
	v_mov_b32_e32 v7, v3
	v_mov_b32_e32 v2, 0
	;; [unrolled: 1-line block ×3, first 2 shown]
	s_mov_b32 s5, 0
	.p2align	6
.LBB62_145:                             ; =>This Inner Loop Header: Depth=1
	s_clause 0x1
	buffer_load_dword v11, v7, s[0:3], 0 offen offset:4
	buffer_load_dword v12, v7, s[0:3], 0 offen
	ds_read_b64 v[9:10], v6
	v_add_nc_u32_e32 v5, 1, v5
	v_add_nc_u32_e32 v6, 8, v6
	;; [unrolled: 1-line block ×3, first 2 shown]
	v_cmp_lt_u32_e32 vcc_lo, 31, v5
	s_or_b32 s5, vcc_lo, s5
	s_waitcnt vmcnt(1) lgkmcnt(0)
	v_mul_f32_e32 v139, v10, v11
	v_mul_f32_e32 v11, v9, v11
	s_waitcnt vmcnt(0)
	v_fma_f32 v9, v9, v12, -v139
	v_fmac_f32_e32 v11, v10, v12
	v_add_f32_e32 v8, v8, v9
	v_add_f32_e32 v2, v2, v11
	s_andn2_b32 exec_lo, exec_lo, s5
	s_cbranch_execnz .LBB62_145
; %bb.146:
	s_or_b32 exec_lo, exec_lo, s5
	v_mov_b32_e32 v5, 0
	ds_read_b64 v[5:6], v5 offset:264
	s_waitcnt lgkmcnt(0)
	v_mul_f32_e32 v7, v2, v6
	v_mul_f32_e32 v6, v8, v6
	v_fma_f32 v7, v8, v5, -v7
	v_fmac_f32_e32 v6, v2, v5
	buffer_store_dword v7, off, s[0:3], 0 offset:264
	buffer_store_dword v6, off, s[0:3], 0 offset:268
.LBB62_147:
	s_or_b32 exec_lo, exec_lo, s4
	s_waitcnt_vscnt null, 0x0
	s_barrier
	buffer_gl0_inv
	s_clause 0x1
	buffer_load_dword v5, off, s[0:3], 0 offset:272
	buffer_load_dword v6, off, s[0:3], 0 offset:276
	s_mov_b32 s4, exec_lo
	s_waitcnt vmcnt(0)
	ds_write_b64 v4, v[5:6]
	s_waitcnt lgkmcnt(0)
	s_barrier
	buffer_gl0_inv
	v_cmpx_gt_u32_e32 34, v0
	s_cbranch_execz .LBB62_151
; %bb.148:
	v_add_nc_u32_e32 v5, -1, v0
	v_or_b32_e32 v6, 0x200, v3
	v_mov_b32_e32 v7, v3
	v_mov_b32_e32 v2, 0
	;; [unrolled: 1-line block ×3, first 2 shown]
	s_mov_b32 s5, 0
	.p2align	6
.LBB62_149:                             ; =>This Inner Loop Header: Depth=1
	s_clause 0x1
	buffer_load_dword v11, v7, s[0:3], 0 offen offset:4
	buffer_load_dword v12, v7, s[0:3], 0 offen
	ds_read_b64 v[9:10], v6
	v_add_nc_u32_e32 v5, 1, v5
	v_add_nc_u32_e32 v6, 8, v6
	;; [unrolled: 1-line block ×3, first 2 shown]
	v_cmp_lt_u32_e32 vcc_lo, 32, v5
	s_or_b32 s5, vcc_lo, s5
	s_waitcnt vmcnt(1) lgkmcnt(0)
	v_mul_f32_e32 v139, v10, v11
	v_mul_f32_e32 v11, v9, v11
	s_waitcnt vmcnt(0)
	v_fma_f32 v9, v9, v12, -v139
	v_fmac_f32_e32 v11, v10, v12
	v_add_f32_e32 v8, v8, v9
	v_add_f32_e32 v2, v2, v11
	s_andn2_b32 exec_lo, exec_lo, s5
	s_cbranch_execnz .LBB62_149
; %bb.150:
	s_or_b32 exec_lo, exec_lo, s5
	v_mov_b32_e32 v5, 0
	ds_read_b64 v[5:6], v5 offset:272
	s_waitcnt lgkmcnt(0)
	v_mul_f32_e32 v7, v2, v6
	v_mul_f32_e32 v6, v8, v6
	v_fma_f32 v7, v8, v5, -v7
	v_fmac_f32_e32 v6, v2, v5
	buffer_store_dword v7, off, s[0:3], 0 offset:272
	buffer_store_dword v6, off, s[0:3], 0 offset:276
.LBB62_151:
	s_or_b32 exec_lo, exec_lo, s4
	s_waitcnt_vscnt null, 0x0
	s_barrier
	buffer_gl0_inv
	s_clause 0x1
	buffer_load_dword v5, off, s[0:3], 0 offset:280
	buffer_load_dword v6, off, s[0:3], 0 offset:284
	s_mov_b32 s4, exec_lo
	s_waitcnt vmcnt(0)
	ds_write_b64 v4, v[5:6]
	s_waitcnt lgkmcnt(0)
	s_barrier
	buffer_gl0_inv
	v_cmpx_gt_u32_e32 35, v0
	s_cbranch_execz .LBB62_155
; %bb.152:
	v_add_nc_u32_e32 v5, -1, v0
	v_or_b32_e32 v6, 0x200, v3
	v_mov_b32_e32 v7, v3
	v_mov_b32_e32 v2, 0
	;; [unrolled: 1-line block ×3, first 2 shown]
	s_mov_b32 s5, 0
	.p2align	6
.LBB62_153:                             ; =>This Inner Loop Header: Depth=1
	s_clause 0x1
	buffer_load_dword v11, v7, s[0:3], 0 offen offset:4
	buffer_load_dword v12, v7, s[0:3], 0 offen
	ds_read_b64 v[9:10], v6
	v_add_nc_u32_e32 v5, 1, v5
	v_add_nc_u32_e32 v6, 8, v6
	;; [unrolled: 1-line block ×3, first 2 shown]
	v_cmp_lt_u32_e32 vcc_lo, 33, v5
	s_or_b32 s5, vcc_lo, s5
	s_waitcnt vmcnt(1) lgkmcnt(0)
	v_mul_f32_e32 v139, v10, v11
	v_mul_f32_e32 v11, v9, v11
	s_waitcnt vmcnt(0)
	v_fma_f32 v9, v9, v12, -v139
	v_fmac_f32_e32 v11, v10, v12
	v_add_f32_e32 v8, v8, v9
	v_add_f32_e32 v2, v2, v11
	s_andn2_b32 exec_lo, exec_lo, s5
	s_cbranch_execnz .LBB62_153
; %bb.154:
	s_or_b32 exec_lo, exec_lo, s5
	v_mov_b32_e32 v5, 0
	ds_read_b64 v[5:6], v5 offset:280
	s_waitcnt lgkmcnt(0)
	v_mul_f32_e32 v7, v2, v6
	v_mul_f32_e32 v6, v8, v6
	v_fma_f32 v7, v8, v5, -v7
	v_fmac_f32_e32 v6, v2, v5
	buffer_store_dword v7, off, s[0:3], 0 offset:280
	buffer_store_dword v6, off, s[0:3], 0 offset:284
.LBB62_155:
	s_or_b32 exec_lo, exec_lo, s4
	s_waitcnt_vscnt null, 0x0
	s_barrier
	buffer_gl0_inv
	s_clause 0x1
	buffer_load_dword v5, off, s[0:3], 0 offset:288
	buffer_load_dword v6, off, s[0:3], 0 offset:292
	s_mov_b32 s4, exec_lo
	s_waitcnt vmcnt(0)
	ds_write_b64 v4, v[5:6]
	s_waitcnt lgkmcnt(0)
	s_barrier
	buffer_gl0_inv
	v_cmpx_gt_u32_e32 36, v0
	s_cbranch_execz .LBB62_159
; %bb.156:
	v_add_nc_u32_e32 v5, -1, v0
	v_or_b32_e32 v6, 0x200, v3
	v_mov_b32_e32 v7, v3
	v_mov_b32_e32 v2, 0
	;; [unrolled: 1-line block ×3, first 2 shown]
	s_mov_b32 s5, 0
	.p2align	6
.LBB62_157:                             ; =>This Inner Loop Header: Depth=1
	s_clause 0x1
	buffer_load_dword v11, v7, s[0:3], 0 offen offset:4
	buffer_load_dword v12, v7, s[0:3], 0 offen
	ds_read_b64 v[9:10], v6
	v_add_nc_u32_e32 v5, 1, v5
	v_add_nc_u32_e32 v6, 8, v6
	;; [unrolled: 1-line block ×3, first 2 shown]
	v_cmp_lt_u32_e32 vcc_lo, 34, v5
	s_or_b32 s5, vcc_lo, s5
	s_waitcnt vmcnt(1) lgkmcnt(0)
	v_mul_f32_e32 v139, v10, v11
	v_mul_f32_e32 v11, v9, v11
	s_waitcnt vmcnt(0)
	v_fma_f32 v9, v9, v12, -v139
	v_fmac_f32_e32 v11, v10, v12
	v_add_f32_e32 v8, v8, v9
	v_add_f32_e32 v2, v2, v11
	s_andn2_b32 exec_lo, exec_lo, s5
	s_cbranch_execnz .LBB62_157
; %bb.158:
	s_or_b32 exec_lo, exec_lo, s5
	v_mov_b32_e32 v5, 0
	ds_read_b64 v[5:6], v5 offset:288
	s_waitcnt lgkmcnt(0)
	v_mul_f32_e32 v7, v2, v6
	v_mul_f32_e32 v6, v8, v6
	v_fma_f32 v7, v8, v5, -v7
	v_fmac_f32_e32 v6, v2, v5
	buffer_store_dword v7, off, s[0:3], 0 offset:288
	buffer_store_dword v6, off, s[0:3], 0 offset:292
.LBB62_159:
	s_or_b32 exec_lo, exec_lo, s4
	s_waitcnt_vscnt null, 0x0
	s_barrier
	buffer_gl0_inv
	s_clause 0x1
	buffer_load_dword v5, off, s[0:3], 0 offset:296
	buffer_load_dword v6, off, s[0:3], 0 offset:300
	s_mov_b32 s4, exec_lo
	s_waitcnt vmcnt(0)
	ds_write_b64 v4, v[5:6]
	s_waitcnt lgkmcnt(0)
	s_barrier
	buffer_gl0_inv
	v_cmpx_gt_u32_e32 37, v0
	s_cbranch_execz .LBB62_163
; %bb.160:
	v_add_nc_u32_e32 v5, -1, v0
	v_or_b32_e32 v6, 0x200, v3
	v_mov_b32_e32 v7, v3
	v_mov_b32_e32 v2, 0
	;; [unrolled: 1-line block ×3, first 2 shown]
	s_mov_b32 s5, 0
	.p2align	6
.LBB62_161:                             ; =>This Inner Loop Header: Depth=1
	s_clause 0x1
	buffer_load_dword v11, v7, s[0:3], 0 offen offset:4
	buffer_load_dword v12, v7, s[0:3], 0 offen
	ds_read_b64 v[9:10], v6
	v_add_nc_u32_e32 v5, 1, v5
	v_add_nc_u32_e32 v6, 8, v6
	;; [unrolled: 1-line block ×3, first 2 shown]
	v_cmp_lt_u32_e32 vcc_lo, 35, v5
	s_or_b32 s5, vcc_lo, s5
	s_waitcnt vmcnt(1) lgkmcnt(0)
	v_mul_f32_e32 v139, v10, v11
	v_mul_f32_e32 v11, v9, v11
	s_waitcnt vmcnt(0)
	v_fma_f32 v9, v9, v12, -v139
	v_fmac_f32_e32 v11, v10, v12
	v_add_f32_e32 v8, v8, v9
	v_add_f32_e32 v2, v2, v11
	s_andn2_b32 exec_lo, exec_lo, s5
	s_cbranch_execnz .LBB62_161
; %bb.162:
	s_or_b32 exec_lo, exec_lo, s5
	v_mov_b32_e32 v5, 0
	ds_read_b64 v[5:6], v5 offset:296
	s_waitcnt lgkmcnt(0)
	v_mul_f32_e32 v7, v2, v6
	v_mul_f32_e32 v6, v8, v6
	v_fma_f32 v7, v8, v5, -v7
	v_fmac_f32_e32 v6, v2, v5
	buffer_store_dword v7, off, s[0:3], 0 offset:296
	buffer_store_dword v6, off, s[0:3], 0 offset:300
.LBB62_163:
	s_or_b32 exec_lo, exec_lo, s4
	s_waitcnt_vscnt null, 0x0
	s_barrier
	buffer_gl0_inv
	s_clause 0x1
	buffer_load_dword v5, off, s[0:3], 0 offset:304
	buffer_load_dword v6, off, s[0:3], 0 offset:308
	s_mov_b32 s4, exec_lo
	s_waitcnt vmcnt(0)
	ds_write_b64 v4, v[5:6]
	s_waitcnt lgkmcnt(0)
	s_barrier
	buffer_gl0_inv
	v_cmpx_gt_u32_e32 38, v0
	s_cbranch_execz .LBB62_167
; %bb.164:
	v_add_nc_u32_e32 v5, -1, v0
	v_or_b32_e32 v6, 0x200, v3
	v_mov_b32_e32 v7, v3
	v_mov_b32_e32 v2, 0
	;; [unrolled: 1-line block ×3, first 2 shown]
	s_mov_b32 s5, 0
	.p2align	6
.LBB62_165:                             ; =>This Inner Loop Header: Depth=1
	s_clause 0x1
	buffer_load_dword v11, v7, s[0:3], 0 offen offset:4
	buffer_load_dword v12, v7, s[0:3], 0 offen
	ds_read_b64 v[9:10], v6
	v_add_nc_u32_e32 v5, 1, v5
	v_add_nc_u32_e32 v6, 8, v6
	;; [unrolled: 1-line block ×3, first 2 shown]
	v_cmp_lt_u32_e32 vcc_lo, 36, v5
	s_or_b32 s5, vcc_lo, s5
	s_waitcnt vmcnt(1) lgkmcnt(0)
	v_mul_f32_e32 v139, v10, v11
	v_mul_f32_e32 v11, v9, v11
	s_waitcnt vmcnt(0)
	v_fma_f32 v9, v9, v12, -v139
	v_fmac_f32_e32 v11, v10, v12
	v_add_f32_e32 v8, v8, v9
	v_add_f32_e32 v2, v2, v11
	s_andn2_b32 exec_lo, exec_lo, s5
	s_cbranch_execnz .LBB62_165
; %bb.166:
	s_or_b32 exec_lo, exec_lo, s5
	v_mov_b32_e32 v5, 0
	ds_read_b64 v[5:6], v5 offset:304
	s_waitcnt lgkmcnt(0)
	v_mul_f32_e32 v7, v2, v6
	v_mul_f32_e32 v6, v8, v6
	v_fma_f32 v7, v8, v5, -v7
	v_fmac_f32_e32 v6, v2, v5
	buffer_store_dword v7, off, s[0:3], 0 offset:304
	buffer_store_dword v6, off, s[0:3], 0 offset:308
.LBB62_167:
	s_or_b32 exec_lo, exec_lo, s4
	s_waitcnt_vscnt null, 0x0
	s_barrier
	buffer_gl0_inv
	s_clause 0x1
	buffer_load_dword v5, off, s[0:3], 0 offset:312
	buffer_load_dword v6, off, s[0:3], 0 offset:316
	s_mov_b32 s4, exec_lo
	s_waitcnt vmcnt(0)
	ds_write_b64 v4, v[5:6]
	s_waitcnt lgkmcnt(0)
	s_barrier
	buffer_gl0_inv
	v_cmpx_gt_u32_e32 39, v0
	s_cbranch_execz .LBB62_171
; %bb.168:
	v_add_nc_u32_e32 v5, -1, v0
	v_or_b32_e32 v6, 0x200, v3
	v_mov_b32_e32 v7, v3
	v_mov_b32_e32 v2, 0
	;; [unrolled: 1-line block ×3, first 2 shown]
	s_mov_b32 s5, 0
	.p2align	6
.LBB62_169:                             ; =>This Inner Loop Header: Depth=1
	s_clause 0x1
	buffer_load_dword v11, v7, s[0:3], 0 offen offset:4
	buffer_load_dword v12, v7, s[0:3], 0 offen
	ds_read_b64 v[9:10], v6
	v_add_nc_u32_e32 v5, 1, v5
	v_add_nc_u32_e32 v6, 8, v6
	;; [unrolled: 1-line block ×3, first 2 shown]
	v_cmp_lt_u32_e32 vcc_lo, 37, v5
	s_or_b32 s5, vcc_lo, s5
	s_waitcnt vmcnt(1) lgkmcnt(0)
	v_mul_f32_e32 v139, v10, v11
	v_mul_f32_e32 v11, v9, v11
	s_waitcnt vmcnt(0)
	v_fma_f32 v9, v9, v12, -v139
	v_fmac_f32_e32 v11, v10, v12
	v_add_f32_e32 v8, v8, v9
	v_add_f32_e32 v2, v2, v11
	s_andn2_b32 exec_lo, exec_lo, s5
	s_cbranch_execnz .LBB62_169
; %bb.170:
	s_or_b32 exec_lo, exec_lo, s5
	v_mov_b32_e32 v5, 0
	ds_read_b64 v[5:6], v5 offset:312
	s_waitcnt lgkmcnt(0)
	v_mul_f32_e32 v7, v2, v6
	v_mul_f32_e32 v6, v8, v6
	v_fma_f32 v7, v8, v5, -v7
	v_fmac_f32_e32 v6, v2, v5
	buffer_store_dword v7, off, s[0:3], 0 offset:312
	buffer_store_dword v6, off, s[0:3], 0 offset:316
.LBB62_171:
	s_or_b32 exec_lo, exec_lo, s4
	s_waitcnt_vscnt null, 0x0
	s_barrier
	buffer_gl0_inv
	s_clause 0x1
	buffer_load_dword v5, off, s[0:3], 0 offset:320
	buffer_load_dword v6, off, s[0:3], 0 offset:324
	s_mov_b32 s4, exec_lo
	s_waitcnt vmcnt(0)
	ds_write_b64 v4, v[5:6]
	s_waitcnt lgkmcnt(0)
	s_barrier
	buffer_gl0_inv
	v_cmpx_gt_u32_e32 40, v0
	s_cbranch_execz .LBB62_175
; %bb.172:
	v_add_nc_u32_e32 v5, -1, v0
	v_or_b32_e32 v6, 0x200, v3
	v_mov_b32_e32 v7, v3
	v_mov_b32_e32 v2, 0
	;; [unrolled: 1-line block ×3, first 2 shown]
	s_mov_b32 s5, 0
	.p2align	6
.LBB62_173:                             ; =>This Inner Loop Header: Depth=1
	s_clause 0x1
	buffer_load_dword v11, v7, s[0:3], 0 offen offset:4
	buffer_load_dword v12, v7, s[0:3], 0 offen
	ds_read_b64 v[9:10], v6
	v_add_nc_u32_e32 v5, 1, v5
	v_add_nc_u32_e32 v6, 8, v6
	;; [unrolled: 1-line block ×3, first 2 shown]
	v_cmp_lt_u32_e32 vcc_lo, 38, v5
	s_or_b32 s5, vcc_lo, s5
	s_waitcnt vmcnt(1) lgkmcnt(0)
	v_mul_f32_e32 v139, v10, v11
	v_mul_f32_e32 v11, v9, v11
	s_waitcnt vmcnt(0)
	v_fma_f32 v9, v9, v12, -v139
	v_fmac_f32_e32 v11, v10, v12
	v_add_f32_e32 v8, v8, v9
	v_add_f32_e32 v2, v2, v11
	s_andn2_b32 exec_lo, exec_lo, s5
	s_cbranch_execnz .LBB62_173
; %bb.174:
	s_or_b32 exec_lo, exec_lo, s5
	v_mov_b32_e32 v5, 0
	ds_read_b64 v[5:6], v5 offset:320
	s_waitcnt lgkmcnt(0)
	v_mul_f32_e32 v7, v2, v6
	v_mul_f32_e32 v6, v8, v6
	v_fma_f32 v7, v8, v5, -v7
	v_fmac_f32_e32 v6, v2, v5
	buffer_store_dword v7, off, s[0:3], 0 offset:320
	buffer_store_dword v6, off, s[0:3], 0 offset:324
.LBB62_175:
	s_or_b32 exec_lo, exec_lo, s4
	s_waitcnt_vscnt null, 0x0
	s_barrier
	buffer_gl0_inv
	s_clause 0x1
	buffer_load_dword v5, off, s[0:3], 0 offset:328
	buffer_load_dword v6, off, s[0:3], 0 offset:332
	s_mov_b32 s4, exec_lo
	s_waitcnt vmcnt(0)
	ds_write_b64 v4, v[5:6]
	s_waitcnt lgkmcnt(0)
	s_barrier
	buffer_gl0_inv
	v_cmpx_gt_u32_e32 41, v0
	s_cbranch_execz .LBB62_179
; %bb.176:
	v_add_nc_u32_e32 v5, -1, v0
	v_or_b32_e32 v6, 0x200, v3
	v_mov_b32_e32 v7, v3
	v_mov_b32_e32 v2, 0
	;; [unrolled: 1-line block ×3, first 2 shown]
	s_mov_b32 s5, 0
	.p2align	6
.LBB62_177:                             ; =>This Inner Loop Header: Depth=1
	s_clause 0x1
	buffer_load_dword v11, v7, s[0:3], 0 offen offset:4
	buffer_load_dword v12, v7, s[0:3], 0 offen
	ds_read_b64 v[9:10], v6
	v_add_nc_u32_e32 v5, 1, v5
	v_add_nc_u32_e32 v6, 8, v6
	;; [unrolled: 1-line block ×3, first 2 shown]
	v_cmp_lt_u32_e32 vcc_lo, 39, v5
	s_or_b32 s5, vcc_lo, s5
	s_waitcnt vmcnt(1) lgkmcnt(0)
	v_mul_f32_e32 v139, v10, v11
	v_mul_f32_e32 v11, v9, v11
	s_waitcnt vmcnt(0)
	v_fma_f32 v9, v9, v12, -v139
	v_fmac_f32_e32 v11, v10, v12
	v_add_f32_e32 v8, v8, v9
	v_add_f32_e32 v2, v2, v11
	s_andn2_b32 exec_lo, exec_lo, s5
	s_cbranch_execnz .LBB62_177
; %bb.178:
	s_or_b32 exec_lo, exec_lo, s5
	v_mov_b32_e32 v5, 0
	ds_read_b64 v[5:6], v5 offset:328
	s_waitcnt lgkmcnt(0)
	v_mul_f32_e32 v7, v2, v6
	v_mul_f32_e32 v6, v8, v6
	v_fma_f32 v7, v8, v5, -v7
	v_fmac_f32_e32 v6, v2, v5
	buffer_store_dword v7, off, s[0:3], 0 offset:328
	buffer_store_dword v6, off, s[0:3], 0 offset:332
.LBB62_179:
	s_or_b32 exec_lo, exec_lo, s4
	s_waitcnt_vscnt null, 0x0
	s_barrier
	buffer_gl0_inv
	s_clause 0x1
	buffer_load_dword v5, off, s[0:3], 0 offset:336
	buffer_load_dword v6, off, s[0:3], 0 offset:340
	s_mov_b32 s4, exec_lo
	s_waitcnt vmcnt(0)
	ds_write_b64 v4, v[5:6]
	s_waitcnt lgkmcnt(0)
	s_barrier
	buffer_gl0_inv
	v_cmpx_gt_u32_e32 42, v0
	s_cbranch_execz .LBB62_183
; %bb.180:
	v_add_nc_u32_e32 v5, -1, v0
	v_or_b32_e32 v6, 0x200, v3
	v_mov_b32_e32 v7, v3
	v_mov_b32_e32 v2, 0
	;; [unrolled: 1-line block ×3, first 2 shown]
	s_mov_b32 s5, 0
	.p2align	6
.LBB62_181:                             ; =>This Inner Loop Header: Depth=1
	s_clause 0x1
	buffer_load_dword v11, v7, s[0:3], 0 offen offset:4
	buffer_load_dword v12, v7, s[0:3], 0 offen
	ds_read_b64 v[9:10], v6
	v_add_nc_u32_e32 v5, 1, v5
	v_add_nc_u32_e32 v6, 8, v6
	;; [unrolled: 1-line block ×3, first 2 shown]
	v_cmp_lt_u32_e32 vcc_lo, 40, v5
	s_or_b32 s5, vcc_lo, s5
	s_waitcnt vmcnt(1) lgkmcnt(0)
	v_mul_f32_e32 v139, v10, v11
	v_mul_f32_e32 v11, v9, v11
	s_waitcnt vmcnt(0)
	v_fma_f32 v9, v9, v12, -v139
	v_fmac_f32_e32 v11, v10, v12
	v_add_f32_e32 v8, v8, v9
	v_add_f32_e32 v2, v2, v11
	s_andn2_b32 exec_lo, exec_lo, s5
	s_cbranch_execnz .LBB62_181
; %bb.182:
	s_or_b32 exec_lo, exec_lo, s5
	v_mov_b32_e32 v5, 0
	ds_read_b64 v[5:6], v5 offset:336
	s_waitcnt lgkmcnt(0)
	v_mul_f32_e32 v7, v2, v6
	v_mul_f32_e32 v6, v8, v6
	v_fma_f32 v7, v8, v5, -v7
	v_fmac_f32_e32 v6, v2, v5
	buffer_store_dword v7, off, s[0:3], 0 offset:336
	buffer_store_dword v6, off, s[0:3], 0 offset:340
.LBB62_183:
	s_or_b32 exec_lo, exec_lo, s4
	s_waitcnt_vscnt null, 0x0
	s_barrier
	buffer_gl0_inv
	s_clause 0x1
	buffer_load_dword v5, off, s[0:3], 0 offset:344
	buffer_load_dword v6, off, s[0:3], 0 offset:348
	s_mov_b32 s4, exec_lo
	s_waitcnt vmcnt(0)
	ds_write_b64 v4, v[5:6]
	s_waitcnt lgkmcnt(0)
	s_barrier
	buffer_gl0_inv
	v_cmpx_gt_u32_e32 43, v0
	s_cbranch_execz .LBB62_187
; %bb.184:
	v_add_nc_u32_e32 v5, -1, v0
	v_or_b32_e32 v6, 0x200, v3
	v_mov_b32_e32 v7, v3
	v_mov_b32_e32 v2, 0
	;; [unrolled: 1-line block ×3, first 2 shown]
	s_mov_b32 s5, 0
	.p2align	6
.LBB62_185:                             ; =>This Inner Loop Header: Depth=1
	s_clause 0x1
	buffer_load_dword v11, v7, s[0:3], 0 offen offset:4
	buffer_load_dword v12, v7, s[0:3], 0 offen
	ds_read_b64 v[9:10], v6
	v_add_nc_u32_e32 v5, 1, v5
	v_add_nc_u32_e32 v6, 8, v6
	;; [unrolled: 1-line block ×3, first 2 shown]
	v_cmp_lt_u32_e32 vcc_lo, 41, v5
	s_or_b32 s5, vcc_lo, s5
	s_waitcnt vmcnt(1) lgkmcnt(0)
	v_mul_f32_e32 v139, v10, v11
	v_mul_f32_e32 v11, v9, v11
	s_waitcnt vmcnt(0)
	v_fma_f32 v9, v9, v12, -v139
	v_fmac_f32_e32 v11, v10, v12
	v_add_f32_e32 v8, v8, v9
	v_add_f32_e32 v2, v2, v11
	s_andn2_b32 exec_lo, exec_lo, s5
	s_cbranch_execnz .LBB62_185
; %bb.186:
	s_or_b32 exec_lo, exec_lo, s5
	v_mov_b32_e32 v5, 0
	ds_read_b64 v[5:6], v5 offset:344
	s_waitcnt lgkmcnt(0)
	v_mul_f32_e32 v7, v2, v6
	v_mul_f32_e32 v6, v8, v6
	v_fma_f32 v7, v8, v5, -v7
	v_fmac_f32_e32 v6, v2, v5
	buffer_store_dword v7, off, s[0:3], 0 offset:344
	buffer_store_dword v6, off, s[0:3], 0 offset:348
.LBB62_187:
	s_or_b32 exec_lo, exec_lo, s4
	s_waitcnt_vscnt null, 0x0
	s_barrier
	buffer_gl0_inv
	s_clause 0x1
	buffer_load_dword v5, off, s[0:3], 0 offset:352
	buffer_load_dword v6, off, s[0:3], 0 offset:356
	s_mov_b32 s4, exec_lo
	s_waitcnt vmcnt(0)
	ds_write_b64 v4, v[5:6]
	s_waitcnt lgkmcnt(0)
	s_barrier
	buffer_gl0_inv
	v_cmpx_gt_u32_e32 44, v0
	s_cbranch_execz .LBB62_191
; %bb.188:
	v_add_nc_u32_e32 v5, -1, v0
	v_or_b32_e32 v6, 0x200, v3
	v_mov_b32_e32 v7, v3
	v_mov_b32_e32 v2, 0
	v_mov_b32_e32 v8, 0
	s_mov_b32 s5, 0
	.p2align	6
.LBB62_189:                             ; =>This Inner Loop Header: Depth=1
	s_clause 0x1
	buffer_load_dword v11, v7, s[0:3], 0 offen offset:4
	buffer_load_dword v12, v7, s[0:3], 0 offen
	ds_read_b64 v[9:10], v6
	v_add_nc_u32_e32 v5, 1, v5
	v_add_nc_u32_e32 v6, 8, v6
	;; [unrolled: 1-line block ×3, first 2 shown]
	v_cmp_lt_u32_e32 vcc_lo, 42, v5
	s_or_b32 s5, vcc_lo, s5
	s_waitcnt vmcnt(1) lgkmcnt(0)
	v_mul_f32_e32 v139, v10, v11
	v_mul_f32_e32 v11, v9, v11
	s_waitcnt vmcnt(0)
	v_fma_f32 v9, v9, v12, -v139
	v_fmac_f32_e32 v11, v10, v12
	v_add_f32_e32 v8, v8, v9
	v_add_f32_e32 v2, v2, v11
	s_andn2_b32 exec_lo, exec_lo, s5
	s_cbranch_execnz .LBB62_189
; %bb.190:
	s_or_b32 exec_lo, exec_lo, s5
	v_mov_b32_e32 v5, 0
	ds_read_b64 v[5:6], v5 offset:352
	s_waitcnt lgkmcnt(0)
	v_mul_f32_e32 v7, v2, v6
	v_mul_f32_e32 v6, v8, v6
	v_fma_f32 v7, v8, v5, -v7
	v_fmac_f32_e32 v6, v2, v5
	buffer_store_dword v7, off, s[0:3], 0 offset:352
	buffer_store_dword v6, off, s[0:3], 0 offset:356
.LBB62_191:
	s_or_b32 exec_lo, exec_lo, s4
	s_waitcnt_vscnt null, 0x0
	s_barrier
	buffer_gl0_inv
	s_clause 0x1
	buffer_load_dword v5, off, s[0:3], 0 offset:360
	buffer_load_dword v6, off, s[0:3], 0 offset:364
	s_mov_b32 s4, exec_lo
	s_waitcnt vmcnt(0)
	ds_write_b64 v4, v[5:6]
	s_waitcnt lgkmcnt(0)
	s_barrier
	buffer_gl0_inv
	v_cmpx_gt_u32_e32 45, v0
	s_cbranch_execz .LBB62_195
; %bb.192:
	v_add_nc_u32_e32 v5, -1, v0
	v_or_b32_e32 v6, 0x200, v3
	v_mov_b32_e32 v7, v3
	v_mov_b32_e32 v2, 0
	;; [unrolled: 1-line block ×3, first 2 shown]
	s_mov_b32 s5, 0
	.p2align	6
.LBB62_193:                             ; =>This Inner Loop Header: Depth=1
	s_clause 0x1
	buffer_load_dword v11, v7, s[0:3], 0 offen offset:4
	buffer_load_dword v12, v7, s[0:3], 0 offen
	ds_read_b64 v[9:10], v6
	v_add_nc_u32_e32 v5, 1, v5
	v_add_nc_u32_e32 v6, 8, v6
	v_add_nc_u32_e32 v7, 8, v7
	v_cmp_lt_u32_e32 vcc_lo, 43, v5
	s_or_b32 s5, vcc_lo, s5
	s_waitcnt vmcnt(1) lgkmcnt(0)
	v_mul_f32_e32 v139, v10, v11
	v_mul_f32_e32 v11, v9, v11
	s_waitcnt vmcnt(0)
	v_fma_f32 v9, v9, v12, -v139
	v_fmac_f32_e32 v11, v10, v12
	v_add_f32_e32 v8, v8, v9
	v_add_f32_e32 v2, v2, v11
	s_andn2_b32 exec_lo, exec_lo, s5
	s_cbranch_execnz .LBB62_193
; %bb.194:
	s_or_b32 exec_lo, exec_lo, s5
	v_mov_b32_e32 v5, 0
	ds_read_b64 v[5:6], v5 offset:360
	s_waitcnt lgkmcnt(0)
	v_mul_f32_e32 v7, v2, v6
	v_mul_f32_e32 v6, v8, v6
	v_fma_f32 v7, v8, v5, -v7
	v_fmac_f32_e32 v6, v2, v5
	buffer_store_dword v7, off, s[0:3], 0 offset:360
	buffer_store_dword v6, off, s[0:3], 0 offset:364
.LBB62_195:
	s_or_b32 exec_lo, exec_lo, s4
	s_waitcnt_vscnt null, 0x0
	s_barrier
	buffer_gl0_inv
	s_clause 0x1
	buffer_load_dword v5, off, s[0:3], 0 offset:368
	buffer_load_dword v6, off, s[0:3], 0 offset:372
	s_mov_b32 s4, exec_lo
	s_waitcnt vmcnt(0)
	ds_write_b64 v4, v[5:6]
	s_waitcnt lgkmcnt(0)
	s_barrier
	buffer_gl0_inv
	v_cmpx_gt_u32_e32 46, v0
	s_cbranch_execz .LBB62_199
; %bb.196:
	v_add_nc_u32_e32 v5, -1, v0
	v_or_b32_e32 v6, 0x200, v3
	v_mov_b32_e32 v7, v3
	v_mov_b32_e32 v2, 0
	v_mov_b32_e32 v8, 0
	s_mov_b32 s5, 0
	.p2align	6
.LBB62_197:                             ; =>This Inner Loop Header: Depth=1
	s_clause 0x1
	buffer_load_dword v11, v7, s[0:3], 0 offen offset:4
	buffer_load_dword v12, v7, s[0:3], 0 offen
	ds_read_b64 v[9:10], v6
	v_add_nc_u32_e32 v5, 1, v5
	v_add_nc_u32_e32 v6, 8, v6
	;; [unrolled: 1-line block ×3, first 2 shown]
	v_cmp_lt_u32_e32 vcc_lo, 44, v5
	s_or_b32 s5, vcc_lo, s5
	s_waitcnt vmcnt(1) lgkmcnt(0)
	v_mul_f32_e32 v139, v10, v11
	v_mul_f32_e32 v11, v9, v11
	s_waitcnt vmcnt(0)
	v_fma_f32 v9, v9, v12, -v139
	v_fmac_f32_e32 v11, v10, v12
	v_add_f32_e32 v8, v8, v9
	v_add_f32_e32 v2, v2, v11
	s_andn2_b32 exec_lo, exec_lo, s5
	s_cbranch_execnz .LBB62_197
; %bb.198:
	s_or_b32 exec_lo, exec_lo, s5
	v_mov_b32_e32 v5, 0
	ds_read_b64 v[5:6], v5 offset:368
	s_waitcnt lgkmcnt(0)
	v_mul_f32_e32 v7, v2, v6
	v_mul_f32_e32 v6, v8, v6
	v_fma_f32 v7, v8, v5, -v7
	v_fmac_f32_e32 v6, v2, v5
	buffer_store_dword v7, off, s[0:3], 0 offset:368
	buffer_store_dword v6, off, s[0:3], 0 offset:372
.LBB62_199:
	s_or_b32 exec_lo, exec_lo, s4
	s_waitcnt_vscnt null, 0x0
	s_barrier
	buffer_gl0_inv
	s_clause 0x1
	buffer_load_dword v5, off, s[0:3], 0 offset:376
	buffer_load_dword v6, off, s[0:3], 0 offset:380
	s_mov_b32 s4, exec_lo
	s_waitcnt vmcnt(0)
	ds_write_b64 v4, v[5:6]
	s_waitcnt lgkmcnt(0)
	s_barrier
	buffer_gl0_inv
	v_cmpx_gt_u32_e32 47, v0
	s_cbranch_execz .LBB62_203
; %bb.200:
	v_add_nc_u32_e32 v5, -1, v0
	v_or_b32_e32 v6, 0x200, v3
	v_mov_b32_e32 v7, v3
	v_mov_b32_e32 v2, 0
	;; [unrolled: 1-line block ×3, first 2 shown]
	s_mov_b32 s5, 0
	.p2align	6
.LBB62_201:                             ; =>This Inner Loop Header: Depth=1
	s_clause 0x1
	buffer_load_dword v11, v7, s[0:3], 0 offen offset:4
	buffer_load_dword v12, v7, s[0:3], 0 offen
	ds_read_b64 v[9:10], v6
	v_add_nc_u32_e32 v5, 1, v5
	v_add_nc_u32_e32 v6, 8, v6
	v_add_nc_u32_e32 v7, 8, v7
	v_cmp_lt_u32_e32 vcc_lo, 45, v5
	s_or_b32 s5, vcc_lo, s5
	s_waitcnt vmcnt(1) lgkmcnt(0)
	v_mul_f32_e32 v139, v10, v11
	v_mul_f32_e32 v11, v9, v11
	s_waitcnt vmcnt(0)
	v_fma_f32 v9, v9, v12, -v139
	v_fmac_f32_e32 v11, v10, v12
	v_add_f32_e32 v8, v8, v9
	v_add_f32_e32 v2, v2, v11
	s_andn2_b32 exec_lo, exec_lo, s5
	s_cbranch_execnz .LBB62_201
; %bb.202:
	s_or_b32 exec_lo, exec_lo, s5
	v_mov_b32_e32 v5, 0
	ds_read_b64 v[5:6], v5 offset:376
	s_waitcnt lgkmcnt(0)
	v_mul_f32_e32 v7, v2, v6
	v_mul_f32_e32 v6, v8, v6
	v_fma_f32 v7, v8, v5, -v7
	v_fmac_f32_e32 v6, v2, v5
	buffer_store_dword v7, off, s[0:3], 0 offset:376
	buffer_store_dword v6, off, s[0:3], 0 offset:380
.LBB62_203:
	s_or_b32 exec_lo, exec_lo, s4
	s_waitcnt_vscnt null, 0x0
	s_barrier
	buffer_gl0_inv
	s_clause 0x1
	buffer_load_dword v5, off, s[0:3], 0 offset:384
	buffer_load_dword v6, off, s[0:3], 0 offset:388
	s_mov_b32 s4, exec_lo
	s_waitcnt vmcnt(0)
	ds_write_b64 v4, v[5:6]
	s_waitcnt lgkmcnt(0)
	s_barrier
	buffer_gl0_inv
	v_cmpx_gt_u32_e32 48, v0
	s_cbranch_execz .LBB62_207
; %bb.204:
	v_add_nc_u32_e32 v5, -1, v0
	v_or_b32_e32 v6, 0x200, v3
	v_mov_b32_e32 v7, v3
	v_mov_b32_e32 v2, 0
	v_mov_b32_e32 v8, 0
	s_mov_b32 s5, 0
	.p2align	6
.LBB62_205:                             ; =>This Inner Loop Header: Depth=1
	s_clause 0x1
	buffer_load_dword v11, v7, s[0:3], 0 offen offset:4
	buffer_load_dword v12, v7, s[0:3], 0 offen
	ds_read_b64 v[9:10], v6
	v_add_nc_u32_e32 v5, 1, v5
	v_add_nc_u32_e32 v6, 8, v6
	;; [unrolled: 1-line block ×3, first 2 shown]
	v_cmp_lt_u32_e32 vcc_lo, 46, v5
	s_or_b32 s5, vcc_lo, s5
	s_waitcnt vmcnt(1) lgkmcnt(0)
	v_mul_f32_e32 v139, v10, v11
	v_mul_f32_e32 v11, v9, v11
	s_waitcnt vmcnt(0)
	v_fma_f32 v9, v9, v12, -v139
	v_fmac_f32_e32 v11, v10, v12
	v_add_f32_e32 v8, v8, v9
	v_add_f32_e32 v2, v2, v11
	s_andn2_b32 exec_lo, exec_lo, s5
	s_cbranch_execnz .LBB62_205
; %bb.206:
	s_or_b32 exec_lo, exec_lo, s5
	v_mov_b32_e32 v5, 0
	ds_read_b64 v[5:6], v5 offset:384
	s_waitcnt lgkmcnt(0)
	v_mul_f32_e32 v7, v2, v6
	v_mul_f32_e32 v6, v8, v6
	v_fma_f32 v7, v8, v5, -v7
	v_fmac_f32_e32 v6, v2, v5
	buffer_store_dword v7, off, s[0:3], 0 offset:384
	buffer_store_dword v6, off, s[0:3], 0 offset:388
.LBB62_207:
	s_or_b32 exec_lo, exec_lo, s4
	s_waitcnt_vscnt null, 0x0
	s_barrier
	buffer_gl0_inv
	s_clause 0x1
	buffer_load_dword v5, off, s[0:3], 0 offset:392
	buffer_load_dword v6, off, s[0:3], 0 offset:396
	s_mov_b32 s4, exec_lo
	s_waitcnt vmcnt(0)
	ds_write_b64 v4, v[5:6]
	s_waitcnt lgkmcnt(0)
	s_barrier
	buffer_gl0_inv
	v_cmpx_gt_u32_e32 49, v0
	s_cbranch_execz .LBB62_211
; %bb.208:
	v_add_nc_u32_e32 v5, -1, v0
	v_or_b32_e32 v6, 0x200, v3
	v_mov_b32_e32 v7, v3
	v_mov_b32_e32 v2, 0
	;; [unrolled: 1-line block ×3, first 2 shown]
	s_mov_b32 s5, 0
	.p2align	6
.LBB62_209:                             ; =>This Inner Loop Header: Depth=1
	s_clause 0x1
	buffer_load_dword v11, v7, s[0:3], 0 offen offset:4
	buffer_load_dword v12, v7, s[0:3], 0 offen
	ds_read_b64 v[9:10], v6
	v_add_nc_u32_e32 v5, 1, v5
	v_add_nc_u32_e32 v6, 8, v6
	;; [unrolled: 1-line block ×3, first 2 shown]
	v_cmp_lt_u32_e32 vcc_lo, 47, v5
	s_or_b32 s5, vcc_lo, s5
	s_waitcnt vmcnt(1) lgkmcnt(0)
	v_mul_f32_e32 v139, v10, v11
	v_mul_f32_e32 v11, v9, v11
	s_waitcnt vmcnt(0)
	v_fma_f32 v9, v9, v12, -v139
	v_fmac_f32_e32 v11, v10, v12
	v_add_f32_e32 v8, v8, v9
	v_add_f32_e32 v2, v2, v11
	s_andn2_b32 exec_lo, exec_lo, s5
	s_cbranch_execnz .LBB62_209
; %bb.210:
	s_or_b32 exec_lo, exec_lo, s5
	v_mov_b32_e32 v5, 0
	ds_read_b64 v[5:6], v5 offset:392
	s_waitcnt lgkmcnt(0)
	v_mul_f32_e32 v7, v2, v6
	v_mul_f32_e32 v6, v8, v6
	v_fma_f32 v7, v8, v5, -v7
	v_fmac_f32_e32 v6, v2, v5
	buffer_store_dword v7, off, s[0:3], 0 offset:392
	buffer_store_dword v6, off, s[0:3], 0 offset:396
.LBB62_211:
	s_or_b32 exec_lo, exec_lo, s4
	s_waitcnt_vscnt null, 0x0
	s_barrier
	buffer_gl0_inv
	s_clause 0x1
	buffer_load_dword v5, off, s[0:3], 0 offset:400
	buffer_load_dword v6, off, s[0:3], 0 offset:404
	s_mov_b32 s4, exec_lo
	s_waitcnt vmcnt(0)
	ds_write_b64 v4, v[5:6]
	s_waitcnt lgkmcnt(0)
	s_barrier
	buffer_gl0_inv
	v_cmpx_gt_u32_e32 50, v0
	s_cbranch_execz .LBB62_215
; %bb.212:
	v_add_nc_u32_e32 v5, -1, v0
	v_or_b32_e32 v6, 0x200, v3
	v_mov_b32_e32 v7, v3
	v_mov_b32_e32 v2, 0
	;; [unrolled: 1-line block ×3, first 2 shown]
	s_mov_b32 s5, 0
	.p2align	6
.LBB62_213:                             ; =>This Inner Loop Header: Depth=1
	s_clause 0x1
	buffer_load_dword v11, v7, s[0:3], 0 offen offset:4
	buffer_load_dword v12, v7, s[0:3], 0 offen
	ds_read_b64 v[9:10], v6
	v_add_nc_u32_e32 v5, 1, v5
	v_add_nc_u32_e32 v6, 8, v6
	;; [unrolled: 1-line block ×3, first 2 shown]
	v_cmp_lt_u32_e32 vcc_lo, 48, v5
	s_or_b32 s5, vcc_lo, s5
	s_waitcnt vmcnt(1) lgkmcnt(0)
	v_mul_f32_e32 v139, v10, v11
	v_mul_f32_e32 v11, v9, v11
	s_waitcnt vmcnt(0)
	v_fma_f32 v9, v9, v12, -v139
	v_fmac_f32_e32 v11, v10, v12
	v_add_f32_e32 v8, v8, v9
	v_add_f32_e32 v2, v2, v11
	s_andn2_b32 exec_lo, exec_lo, s5
	s_cbranch_execnz .LBB62_213
; %bb.214:
	s_or_b32 exec_lo, exec_lo, s5
	v_mov_b32_e32 v5, 0
	ds_read_b64 v[5:6], v5 offset:400
	s_waitcnt lgkmcnt(0)
	v_mul_f32_e32 v7, v2, v6
	v_mul_f32_e32 v6, v8, v6
	v_fma_f32 v7, v8, v5, -v7
	v_fmac_f32_e32 v6, v2, v5
	buffer_store_dword v7, off, s[0:3], 0 offset:400
	buffer_store_dword v6, off, s[0:3], 0 offset:404
.LBB62_215:
	s_or_b32 exec_lo, exec_lo, s4
	s_waitcnt_vscnt null, 0x0
	s_barrier
	buffer_gl0_inv
	s_clause 0x1
	buffer_load_dword v5, off, s[0:3], 0 offset:408
	buffer_load_dword v6, off, s[0:3], 0 offset:412
	s_mov_b32 s4, exec_lo
	s_waitcnt vmcnt(0)
	ds_write_b64 v4, v[5:6]
	s_waitcnt lgkmcnt(0)
	s_barrier
	buffer_gl0_inv
	v_cmpx_gt_u32_e32 51, v0
	s_cbranch_execz .LBB62_219
; %bb.216:
	v_add_nc_u32_e32 v5, -1, v0
	v_or_b32_e32 v6, 0x200, v3
	v_mov_b32_e32 v7, v3
	v_mov_b32_e32 v2, 0
	;; [unrolled: 1-line block ×3, first 2 shown]
	s_mov_b32 s5, 0
	.p2align	6
.LBB62_217:                             ; =>This Inner Loop Header: Depth=1
	s_clause 0x1
	buffer_load_dword v11, v7, s[0:3], 0 offen offset:4
	buffer_load_dword v12, v7, s[0:3], 0 offen
	ds_read_b64 v[9:10], v6
	v_add_nc_u32_e32 v5, 1, v5
	v_add_nc_u32_e32 v6, 8, v6
	;; [unrolled: 1-line block ×3, first 2 shown]
	v_cmp_lt_u32_e32 vcc_lo, 49, v5
	s_or_b32 s5, vcc_lo, s5
	s_waitcnt vmcnt(1) lgkmcnt(0)
	v_mul_f32_e32 v139, v10, v11
	v_mul_f32_e32 v11, v9, v11
	s_waitcnt vmcnt(0)
	v_fma_f32 v9, v9, v12, -v139
	v_fmac_f32_e32 v11, v10, v12
	v_add_f32_e32 v8, v8, v9
	v_add_f32_e32 v2, v2, v11
	s_andn2_b32 exec_lo, exec_lo, s5
	s_cbranch_execnz .LBB62_217
; %bb.218:
	s_or_b32 exec_lo, exec_lo, s5
	v_mov_b32_e32 v5, 0
	ds_read_b64 v[5:6], v5 offset:408
	s_waitcnt lgkmcnt(0)
	v_mul_f32_e32 v7, v2, v6
	v_mul_f32_e32 v6, v8, v6
	v_fma_f32 v7, v8, v5, -v7
	v_fmac_f32_e32 v6, v2, v5
	buffer_store_dword v7, off, s[0:3], 0 offset:408
	buffer_store_dword v6, off, s[0:3], 0 offset:412
.LBB62_219:
	s_or_b32 exec_lo, exec_lo, s4
	s_waitcnt_vscnt null, 0x0
	s_barrier
	buffer_gl0_inv
	s_clause 0x1
	buffer_load_dword v5, off, s[0:3], 0 offset:416
	buffer_load_dword v6, off, s[0:3], 0 offset:420
	s_mov_b32 s4, exec_lo
	s_waitcnt vmcnt(0)
	ds_write_b64 v4, v[5:6]
	s_waitcnt lgkmcnt(0)
	s_barrier
	buffer_gl0_inv
	v_cmpx_gt_u32_e32 52, v0
	s_cbranch_execz .LBB62_223
; %bb.220:
	v_add_nc_u32_e32 v5, -1, v0
	v_or_b32_e32 v6, 0x200, v3
	v_mov_b32_e32 v7, v3
	v_mov_b32_e32 v2, 0
	;; [unrolled: 1-line block ×3, first 2 shown]
	s_mov_b32 s5, 0
	.p2align	6
.LBB62_221:                             ; =>This Inner Loop Header: Depth=1
	s_clause 0x1
	buffer_load_dword v11, v7, s[0:3], 0 offen offset:4
	buffer_load_dword v12, v7, s[0:3], 0 offen
	ds_read_b64 v[9:10], v6
	v_add_nc_u32_e32 v5, 1, v5
	v_add_nc_u32_e32 v6, 8, v6
	;; [unrolled: 1-line block ×3, first 2 shown]
	v_cmp_lt_u32_e32 vcc_lo, 50, v5
	s_or_b32 s5, vcc_lo, s5
	s_waitcnt vmcnt(1) lgkmcnt(0)
	v_mul_f32_e32 v139, v10, v11
	v_mul_f32_e32 v11, v9, v11
	s_waitcnt vmcnt(0)
	v_fma_f32 v9, v9, v12, -v139
	v_fmac_f32_e32 v11, v10, v12
	v_add_f32_e32 v8, v8, v9
	v_add_f32_e32 v2, v2, v11
	s_andn2_b32 exec_lo, exec_lo, s5
	s_cbranch_execnz .LBB62_221
; %bb.222:
	s_or_b32 exec_lo, exec_lo, s5
	v_mov_b32_e32 v5, 0
	ds_read_b64 v[5:6], v5 offset:416
	s_waitcnt lgkmcnt(0)
	v_mul_f32_e32 v7, v2, v6
	v_mul_f32_e32 v6, v8, v6
	v_fma_f32 v7, v8, v5, -v7
	v_fmac_f32_e32 v6, v2, v5
	buffer_store_dword v7, off, s[0:3], 0 offset:416
	buffer_store_dword v6, off, s[0:3], 0 offset:420
.LBB62_223:
	s_or_b32 exec_lo, exec_lo, s4
	s_waitcnt_vscnt null, 0x0
	s_barrier
	buffer_gl0_inv
	s_clause 0x1
	buffer_load_dword v5, off, s[0:3], 0 offset:424
	buffer_load_dword v6, off, s[0:3], 0 offset:428
	s_mov_b32 s4, exec_lo
	s_waitcnt vmcnt(0)
	ds_write_b64 v4, v[5:6]
	s_waitcnt lgkmcnt(0)
	s_barrier
	buffer_gl0_inv
	v_cmpx_gt_u32_e32 53, v0
	s_cbranch_execz .LBB62_227
; %bb.224:
	v_add_nc_u32_e32 v5, -1, v0
	v_or_b32_e32 v6, 0x200, v3
	v_mov_b32_e32 v7, v3
	v_mov_b32_e32 v2, 0
	;; [unrolled: 1-line block ×3, first 2 shown]
	s_mov_b32 s5, 0
	.p2align	6
.LBB62_225:                             ; =>This Inner Loop Header: Depth=1
	s_clause 0x1
	buffer_load_dword v11, v7, s[0:3], 0 offen offset:4
	buffer_load_dword v12, v7, s[0:3], 0 offen
	ds_read_b64 v[9:10], v6
	v_add_nc_u32_e32 v5, 1, v5
	v_add_nc_u32_e32 v6, 8, v6
	;; [unrolled: 1-line block ×3, first 2 shown]
	v_cmp_lt_u32_e32 vcc_lo, 51, v5
	s_or_b32 s5, vcc_lo, s5
	s_waitcnt vmcnt(1) lgkmcnt(0)
	v_mul_f32_e32 v139, v10, v11
	v_mul_f32_e32 v11, v9, v11
	s_waitcnt vmcnt(0)
	v_fma_f32 v9, v9, v12, -v139
	v_fmac_f32_e32 v11, v10, v12
	v_add_f32_e32 v8, v8, v9
	v_add_f32_e32 v2, v2, v11
	s_andn2_b32 exec_lo, exec_lo, s5
	s_cbranch_execnz .LBB62_225
; %bb.226:
	s_or_b32 exec_lo, exec_lo, s5
	v_mov_b32_e32 v5, 0
	ds_read_b64 v[5:6], v5 offset:424
	s_waitcnt lgkmcnt(0)
	v_mul_f32_e32 v7, v2, v6
	v_mul_f32_e32 v6, v8, v6
	v_fma_f32 v7, v8, v5, -v7
	v_fmac_f32_e32 v6, v2, v5
	buffer_store_dword v7, off, s[0:3], 0 offset:424
	buffer_store_dword v6, off, s[0:3], 0 offset:428
.LBB62_227:
	s_or_b32 exec_lo, exec_lo, s4
	s_waitcnt_vscnt null, 0x0
	s_barrier
	buffer_gl0_inv
	s_clause 0x1
	buffer_load_dword v5, off, s[0:3], 0 offset:432
	buffer_load_dword v6, off, s[0:3], 0 offset:436
	s_mov_b32 s4, exec_lo
	s_waitcnt vmcnt(0)
	ds_write_b64 v4, v[5:6]
	s_waitcnt lgkmcnt(0)
	s_barrier
	buffer_gl0_inv
	v_cmpx_gt_u32_e32 54, v0
	s_cbranch_execz .LBB62_231
; %bb.228:
	v_add_nc_u32_e32 v5, -1, v0
	v_or_b32_e32 v6, 0x200, v3
	v_mov_b32_e32 v7, v3
	v_mov_b32_e32 v2, 0
	;; [unrolled: 1-line block ×3, first 2 shown]
	s_mov_b32 s5, 0
	.p2align	6
.LBB62_229:                             ; =>This Inner Loop Header: Depth=1
	s_clause 0x1
	buffer_load_dword v11, v7, s[0:3], 0 offen offset:4
	buffer_load_dword v12, v7, s[0:3], 0 offen
	ds_read_b64 v[9:10], v6
	v_add_nc_u32_e32 v5, 1, v5
	v_add_nc_u32_e32 v6, 8, v6
	v_add_nc_u32_e32 v7, 8, v7
	v_cmp_lt_u32_e32 vcc_lo, 52, v5
	s_or_b32 s5, vcc_lo, s5
	s_waitcnt vmcnt(1) lgkmcnt(0)
	v_mul_f32_e32 v139, v10, v11
	v_mul_f32_e32 v11, v9, v11
	s_waitcnt vmcnt(0)
	v_fma_f32 v9, v9, v12, -v139
	v_fmac_f32_e32 v11, v10, v12
	v_add_f32_e32 v8, v8, v9
	v_add_f32_e32 v2, v2, v11
	s_andn2_b32 exec_lo, exec_lo, s5
	s_cbranch_execnz .LBB62_229
; %bb.230:
	s_or_b32 exec_lo, exec_lo, s5
	v_mov_b32_e32 v5, 0
	ds_read_b64 v[5:6], v5 offset:432
	s_waitcnt lgkmcnt(0)
	v_mul_f32_e32 v7, v2, v6
	v_mul_f32_e32 v6, v8, v6
	v_fma_f32 v7, v8, v5, -v7
	v_fmac_f32_e32 v6, v2, v5
	buffer_store_dword v7, off, s[0:3], 0 offset:432
	buffer_store_dword v6, off, s[0:3], 0 offset:436
.LBB62_231:
	s_or_b32 exec_lo, exec_lo, s4
	s_waitcnt_vscnt null, 0x0
	s_barrier
	buffer_gl0_inv
	s_clause 0x1
	buffer_load_dword v5, off, s[0:3], 0 offset:440
	buffer_load_dword v6, off, s[0:3], 0 offset:444
	s_mov_b32 s4, exec_lo
	s_waitcnt vmcnt(0)
	ds_write_b64 v4, v[5:6]
	s_waitcnt lgkmcnt(0)
	s_barrier
	buffer_gl0_inv
	v_cmpx_gt_u32_e32 55, v0
	s_cbranch_execz .LBB62_235
; %bb.232:
	v_add_nc_u32_e32 v5, -1, v0
	v_or_b32_e32 v6, 0x200, v3
	v_mov_b32_e32 v7, v3
	v_mov_b32_e32 v2, 0
	;; [unrolled: 1-line block ×3, first 2 shown]
	s_mov_b32 s5, 0
	.p2align	6
.LBB62_233:                             ; =>This Inner Loop Header: Depth=1
	s_clause 0x1
	buffer_load_dword v11, v7, s[0:3], 0 offen offset:4
	buffer_load_dword v12, v7, s[0:3], 0 offen
	ds_read_b64 v[9:10], v6
	v_add_nc_u32_e32 v5, 1, v5
	v_add_nc_u32_e32 v6, 8, v6
	;; [unrolled: 1-line block ×3, first 2 shown]
	v_cmp_lt_u32_e32 vcc_lo, 53, v5
	s_or_b32 s5, vcc_lo, s5
	s_waitcnt vmcnt(1) lgkmcnt(0)
	v_mul_f32_e32 v139, v10, v11
	v_mul_f32_e32 v11, v9, v11
	s_waitcnt vmcnt(0)
	v_fma_f32 v9, v9, v12, -v139
	v_fmac_f32_e32 v11, v10, v12
	v_add_f32_e32 v8, v8, v9
	v_add_f32_e32 v2, v2, v11
	s_andn2_b32 exec_lo, exec_lo, s5
	s_cbranch_execnz .LBB62_233
; %bb.234:
	s_or_b32 exec_lo, exec_lo, s5
	v_mov_b32_e32 v5, 0
	ds_read_b64 v[5:6], v5 offset:440
	s_waitcnt lgkmcnt(0)
	v_mul_f32_e32 v7, v2, v6
	v_mul_f32_e32 v6, v8, v6
	v_fma_f32 v7, v8, v5, -v7
	v_fmac_f32_e32 v6, v2, v5
	buffer_store_dword v7, off, s[0:3], 0 offset:440
	buffer_store_dword v6, off, s[0:3], 0 offset:444
.LBB62_235:
	s_or_b32 exec_lo, exec_lo, s4
	s_waitcnt_vscnt null, 0x0
	s_barrier
	buffer_gl0_inv
	s_clause 0x1
	buffer_load_dword v5, off, s[0:3], 0 offset:448
	buffer_load_dword v6, off, s[0:3], 0 offset:452
	s_mov_b32 s4, exec_lo
	s_waitcnt vmcnt(0)
	ds_write_b64 v4, v[5:6]
	s_waitcnt lgkmcnt(0)
	s_barrier
	buffer_gl0_inv
	v_cmpx_gt_u32_e32 56, v0
	s_cbranch_execz .LBB62_239
; %bb.236:
	v_add_nc_u32_e32 v5, -1, v0
	v_or_b32_e32 v6, 0x200, v3
	v_mov_b32_e32 v7, v3
	v_mov_b32_e32 v2, 0
	;; [unrolled: 1-line block ×3, first 2 shown]
	s_mov_b32 s5, 0
	.p2align	6
.LBB62_237:                             ; =>This Inner Loop Header: Depth=1
	s_clause 0x1
	buffer_load_dword v11, v7, s[0:3], 0 offen offset:4
	buffer_load_dword v12, v7, s[0:3], 0 offen
	ds_read_b64 v[9:10], v6
	v_add_nc_u32_e32 v5, 1, v5
	v_add_nc_u32_e32 v6, 8, v6
	;; [unrolled: 1-line block ×3, first 2 shown]
	v_cmp_lt_u32_e32 vcc_lo, 54, v5
	s_or_b32 s5, vcc_lo, s5
	s_waitcnt vmcnt(1) lgkmcnt(0)
	v_mul_f32_e32 v139, v10, v11
	v_mul_f32_e32 v11, v9, v11
	s_waitcnt vmcnt(0)
	v_fma_f32 v9, v9, v12, -v139
	v_fmac_f32_e32 v11, v10, v12
	v_add_f32_e32 v8, v8, v9
	v_add_f32_e32 v2, v2, v11
	s_andn2_b32 exec_lo, exec_lo, s5
	s_cbranch_execnz .LBB62_237
; %bb.238:
	s_or_b32 exec_lo, exec_lo, s5
	v_mov_b32_e32 v5, 0
	ds_read_b64 v[5:6], v5 offset:448
	s_waitcnt lgkmcnt(0)
	v_mul_f32_e32 v7, v2, v6
	v_mul_f32_e32 v6, v8, v6
	v_fma_f32 v7, v8, v5, -v7
	v_fmac_f32_e32 v6, v2, v5
	buffer_store_dword v7, off, s[0:3], 0 offset:448
	buffer_store_dword v6, off, s[0:3], 0 offset:452
.LBB62_239:
	s_or_b32 exec_lo, exec_lo, s4
	s_waitcnt_vscnt null, 0x0
	s_barrier
	buffer_gl0_inv
	s_clause 0x1
	buffer_load_dword v5, off, s[0:3], 0 offset:456
	buffer_load_dword v6, off, s[0:3], 0 offset:460
	s_mov_b32 s4, exec_lo
	s_waitcnt vmcnt(0)
	ds_write_b64 v4, v[5:6]
	s_waitcnt lgkmcnt(0)
	s_barrier
	buffer_gl0_inv
	v_cmpx_gt_u32_e32 57, v0
	s_cbranch_execz .LBB62_243
; %bb.240:
	v_add_nc_u32_e32 v5, -1, v0
	v_or_b32_e32 v6, 0x200, v3
	v_mov_b32_e32 v7, v3
	v_mov_b32_e32 v2, 0
	;; [unrolled: 1-line block ×3, first 2 shown]
	s_mov_b32 s5, 0
	.p2align	6
.LBB62_241:                             ; =>This Inner Loop Header: Depth=1
	s_clause 0x1
	buffer_load_dword v11, v7, s[0:3], 0 offen offset:4
	buffer_load_dword v12, v7, s[0:3], 0 offen
	ds_read_b64 v[9:10], v6
	v_add_nc_u32_e32 v5, 1, v5
	v_add_nc_u32_e32 v6, 8, v6
	;; [unrolled: 1-line block ×3, first 2 shown]
	v_cmp_lt_u32_e32 vcc_lo, 55, v5
	s_or_b32 s5, vcc_lo, s5
	s_waitcnt vmcnt(1) lgkmcnt(0)
	v_mul_f32_e32 v139, v10, v11
	v_mul_f32_e32 v11, v9, v11
	s_waitcnt vmcnt(0)
	v_fma_f32 v9, v9, v12, -v139
	v_fmac_f32_e32 v11, v10, v12
	v_add_f32_e32 v8, v8, v9
	v_add_f32_e32 v2, v2, v11
	s_andn2_b32 exec_lo, exec_lo, s5
	s_cbranch_execnz .LBB62_241
; %bb.242:
	s_or_b32 exec_lo, exec_lo, s5
	v_mov_b32_e32 v5, 0
	ds_read_b64 v[5:6], v5 offset:456
	s_waitcnt lgkmcnt(0)
	v_mul_f32_e32 v7, v2, v6
	v_mul_f32_e32 v6, v8, v6
	v_fma_f32 v7, v8, v5, -v7
	v_fmac_f32_e32 v6, v2, v5
	buffer_store_dword v7, off, s[0:3], 0 offset:456
	buffer_store_dword v6, off, s[0:3], 0 offset:460
.LBB62_243:
	s_or_b32 exec_lo, exec_lo, s4
	s_waitcnt_vscnt null, 0x0
	s_barrier
	buffer_gl0_inv
	s_clause 0x1
	buffer_load_dword v5, off, s[0:3], 0 offset:464
	buffer_load_dword v6, off, s[0:3], 0 offset:468
	s_mov_b32 s4, exec_lo
	s_waitcnt vmcnt(0)
	ds_write_b64 v4, v[5:6]
	s_waitcnt lgkmcnt(0)
	s_barrier
	buffer_gl0_inv
	v_cmpx_gt_u32_e32 58, v0
	s_cbranch_execz .LBB62_247
; %bb.244:
	v_add_nc_u32_e32 v5, -1, v0
	v_or_b32_e32 v6, 0x200, v3
	v_mov_b32_e32 v7, v3
	v_mov_b32_e32 v2, 0
	;; [unrolled: 1-line block ×3, first 2 shown]
	s_mov_b32 s5, 0
	.p2align	6
.LBB62_245:                             ; =>This Inner Loop Header: Depth=1
	s_clause 0x1
	buffer_load_dword v11, v7, s[0:3], 0 offen offset:4
	buffer_load_dword v12, v7, s[0:3], 0 offen
	ds_read_b64 v[9:10], v6
	v_add_nc_u32_e32 v5, 1, v5
	v_add_nc_u32_e32 v6, 8, v6
	;; [unrolled: 1-line block ×3, first 2 shown]
	v_cmp_lt_u32_e32 vcc_lo, 56, v5
	s_or_b32 s5, vcc_lo, s5
	s_waitcnt vmcnt(1) lgkmcnt(0)
	v_mul_f32_e32 v139, v10, v11
	v_mul_f32_e32 v11, v9, v11
	s_waitcnt vmcnt(0)
	v_fma_f32 v9, v9, v12, -v139
	v_fmac_f32_e32 v11, v10, v12
	v_add_f32_e32 v8, v8, v9
	v_add_f32_e32 v2, v2, v11
	s_andn2_b32 exec_lo, exec_lo, s5
	s_cbranch_execnz .LBB62_245
; %bb.246:
	s_or_b32 exec_lo, exec_lo, s5
	v_mov_b32_e32 v5, 0
	ds_read_b64 v[5:6], v5 offset:464
	s_waitcnt lgkmcnt(0)
	v_mul_f32_e32 v7, v2, v6
	v_mul_f32_e32 v6, v8, v6
	v_fma_f32 v7, v8, v5, -v7
	v_fmac_f32_e32 v6, v2, v5
	buffer_store_dword v7, off, s[0:3], 0 offset:464
	buffer_store_dword v6, off, s[0:3], 0 offset:468
.LBB62_247:
	s_or_b32 exec_lo, exec_lo, s4
	s_waitcnt_vscnt null, 0x0
	s_barrier
	buffer_gl0_inv
	s_clause 0x1
	buffer_load_dword v5, off, s[0:3], 0 offset:472
	buffer_load_dword v6, off, s[0:3], 0 offset:476
	s_mov_b32 s4, exec_lo
	s_waitcnt vmcnt(0)
	ds_write_b64 v4, v[5:6]
	s_waitcnt lgkmcnt(0)
	s_barrier
	buffer_gl0_inv
	v_cmpx_gt_u32_e32 59, v0
	s_cbranch_execz .LBB62_251
; %bb.248:
	v_add_nc_u32_e32 v5, -1, v0
	v_or_b32_e32 v6, 0x200, v3
	v_mov_b32_e32 v7, v3
	v_mov_b32_e32 v2, 0
	;; [unrolled: 1-line block ×3, first 2 shown]
	s_mov_b32 s5, 0
	.p2align	6
.LBB62_249:                             ; =>This Inner Loop Header: Depth=1
	s_clause 0x1
	buffer_load_dword v11, v7, s[0:3], 0 offen offset:4
	buffer_load_dword v12, v7, s[0:3], 0 offen
	ds_read_b64 v[9:10], v6
	v_add_nc_u32_e32 v5, 1, v5
	v_add_nc_u32_e32 v6, 8, v6
	;; [unrolled: 1-line block ×3, first 2 shown]
	v_cmp_lt_u32_e32 vcc_lo, 57, v5
	s_or_b32 s5, vcc_lo, s5
	s_waitcnt vmcnt(1) lgkmcnt(0)
	v_mul_f32_e32 v139, v10, v11
	v_mul_f32_e32 v11, v9, v11
	s_waitcnt vmcnt(0)
	v_fma_f32 v9, v9, v12, -v139
	v_fmac_f32_e32 v11, v10, v12
	v_add_f32_e32 v8, v8, v9
	v_add_f32_e32 v2, v2, v11
	s_andn2_b32 exec_lo, exec_lo, s5
	s_cbranch_execnz .LBB62_249
; %bb.250:
	s_or_b32 exec_lo, exec_lo, s5
	v_mov_b32_e32 v5, 0
	ds_read_b64 v[5:6], v5 offset:472
	s_waitcnt lgkmcnt(0)
	v_mul_f32_e32 v7, v2, v6
	v_mul_f32_e32 v6, v8, v6
	v_fma_f32 v7, v8, v5, -v7
	v_fmac_f32_e32 v6, v2, v5
	buffer_store_dword v7, off, s[0:3], 0 offset:472
	buffer_store_dword v6, off, s[0:3], 0 offset:476
.LBB62_251:
	s_or_b32 exec_lo, exec_lo, s4
	s_waitcnt_vscnt null, 0x0
	s_barrier
	buffer_gl0_inv
	s_clause 0x1
	buffer_load_dword v5, off, s[0:3], 0 offset:480
	buffer_load_dword v6, off, s[0:3], 0 offset:484
	s_mov_b32 s4, exec_lo
	s_waitcnt vmcnt(0)
	ds_write_b64 v4, v[5:6]
	s_waitcnt lgkmcnt(0)
	s_barrier
	buffer_gl0_inv
	v_cmpx_gt_u32_e32 60, v0
	s_cbranch_execz .LBB62_255
; %bb.252:
	v_add_nc_u32_e32 v5, -1, v0
	v_or_b32_e32 v6, 0x200, v3
	v_mov_b32_e32 v7, v3
	v_mov_b32_e32 v2, 0
	;; [unrolled: 1-line block ×3, first 2 shown]
	s_mov_b32 s5, 0
	.p2align	6
.LBB62_253:                             ; =>This Inner Loop Header: Depth=1
	s_clause 0x1
	buffer_load_dword v11, v7, s[0:3], 0 offen offset:4
	buffer_load_dword v12, v7, s[0:3], 0 offen
	ds_read_b64 v[9:10], v6
	v_add_nc_u32_e32 v5, 1, v5
	v_add_nc_u32_e32 v6, 8, v6
	;; [unrolled: 1-line block ×3, first 2 shown]
	v_cmp_lt_u32_e32 vcc_lo, 58, v5
	s_or_b32 s5, vcc_lo, s5
	s_waitcnt vmcnt(1) lgkmcnt(0)
	v_mul_f32_e32 v139, v10, v11
	v_mul_f32_e32 v11, v9, v11
	s_waitcnt vmcnt(0)
	v_fma_f32 v9, v9, v12, -v139
	v_fmac_f32_e32 v11, v10, v12
	v_add_f32_e32 v8, v8, v9
	v_add_f32_e32 v2, v2, v11
	s_andn2_b32 exec_lo, exec_lo, s5
	s_cbranch_execnz .LBB62_253
; %bb.254:
	s_or_b32 exec_lo, exec_lo, s5
	v_mov_b32_e32 v5, 0
	ds_read_b64 v[5:6], v5 offset:480
	s_waitcnt lgkmcnt(0)
	v_mul_f32_e32 v7, v2, v6
	v_mul_f32_e32 v6, v8, v6
	v_fma_f32 v7, v8, v5, -v7
	v_fmac_f32_e32 v6, v2, v5
	buffer_store_dword v7, off, s[0:3], 0 offset:480
	buffer_store_dword v6, off, s[0:3], 0 offset:484
.LBB62_255:
	s_or_b32 exec_lo, exec_lo, s4
	s_waitcnt_vscnt null, 0x0
	s_barrier
	buffer_gl0_inv
	s_clause 0x1
	buffer_load_dword v5, off, s[0:3], 0 offset:488
	buffer_load_dword v6, off, s[0:3], 0 offset:492
	s_mov_b32 s4, exec_lo
	s_waitcnt vmcnt(0)
	ds_write_b64 v4, v[5:6]
	s_waitcnt lgkmcnt(0)
	s_barrier
	buffer_gl0_inv
	v_cmpx_gt_u32_e32 61, v0
	s_cbranch_execz .LBB62_259
; %bb.256:
	v_add_nc_u32_e32 v5, -1, v0
	v_or_b32_e32 v6, 0x200, v3
	v_mov_b32_e32 v7, v3
	v_mov_b32_e32 v2, 0
	;; [unrolled: 1-line block ×3, first 2 shown]
	s_mov_b32 s5, 0
	.p2align	6
.LBB62_257:                             ; =>This Inner Loop Header: Depth=1
	s_clause 0x1
	buffer_load_dword v11, v7, s[0:3], 0 offen offset:4
	buffer_load_dword v12, v7, s[0:3], 0 offen
	ds_read_b64 v[9:10], v6
	v_add_nc_u32_e32 v5, 1, v5
	v_add_nc_u32_e32 v6, 8, v6
	v_add_nc_u32_e32 v7, 8, v7
	v_cmp_lt_u32_e32 vcc_lo, 59, v5
	s_or_b32 s5, vcc_lo, s5
	s_waitcnt vmcnt(1) lgkmcnt(0)
	v_mul_f32_e32 v139, v10, v11
	v_mul_f32_e32 v11, v9, v11
	s_waitcnt vmcnt(0)
	v_fma_f32 v9, v9, v12, -v139
	v_fmac_f32_e32 v11, v10, v12
	v_add_f32_e32 v8, v8, v9
	v_add_f32_e32 v2, v2, v11
	s_andn2_b32 exec_lo, exec_lo, s5
	s_cbranch_execnz .LBB62_257
; %bb.258:
	s_or_b32 exec_lo, exec_lo, s5
	v_mov_b32_e32 v5, 0
	ds_read_b64 v[5:6], v5 offset:488
	s_waitcnt lgkmcnt(0)
	v_mul_f32_e32 v7, v2, v6
	v_mul_f32_e32 v6, v8, v6
	v_fma_f32 v7, v8, v5, -v7
	v_fmac_f32_e32 v6, v2, v5
	buffer_store_dword v7, off, s[0:3], 0 offset:488
	buffer_store_dword v6, off, s[0:3], 0 offset:492
.LBB62_259:
	s_or_b32 exec_lo, exec_lo, s4
	s_waitcnt_vscnt null, 0x0
	s_barrier
	buffer_gl0_inv
	s_clause 0x1
	buffer_load_dword v5, off, s[0:3], 0 offset:496
	buffer_load_dword v6, off, s[0:3], 0 offset:500
	s_mov_b32 s4, exec_lo
	s_waitcnt vmcnt(0)
	ds_write_b64 v4, v[5:6]
	s_waitcnt lgkmcnt(0)
	s_barrier
	buffer_gl0_inv
	v_cmpx_ne_u32_e32 62, v0
	s_cbranch_execz .LBB62_263
; %bb.260:
	v_mov_b32_e32 v2, 0
	v_mov_b32_e32 v5, 0
	s_mov_b32 s5, 0
	.p2align	6
.LBB62_261:                             ; =>This Inner Loop Header: Depth=1
	s_clause 0x1
	buffer_load_dword v8, v3, s[0:3], 0 offen offset:4
	buffer_load_dword v9, v3, s[0:3], 0 offen
	ds_read_b64 v[6:7], v4
	v_add_nc_u32_e32 v1, 1, v1
	v_add_nc_u32_e32 v4, 8, v4
	;; [unrolled: 1-line block ×3, first 2 shown]
	v_cmp_lt_u32_e32 vcc_lo, 60, v1
	s_or_b32 s5, vcc_lo, s5
	s_waitcnt vmcnt(1) lgkmcnt(0)
	v_mul_f32_e32 v10, v7, v8
	v_mul_f32_e32 v8, v6, v8
	s_waitcnt vmcnt(0)
	v_fma_f32 v6, v6, v9, -v10
	v_fmac_f32_e32 v8, v7, v9
	v_add_f32_e32 v5, v5, v6
	v_add_f32_e32 v2, v2, v8
	s_andn2_b32 exec_lo, exec_lo, s5
	s_cbranch_execnz .LBB62_261
; %bb.262:
	s_or_b32 exec_lo, exec_lo, s5
	v_mov_b32_e32 v1, 0
	ds_read_b64 v[3:4], v1 offset:496
	s_waitcnt lgkmcnt(0)
	v_mul_f32_e32 v1, v2, v4
	v_mul_f32_e32 v4, v5, v4
	v_fma_f32 v1, v5, v3, -v1
	v_fmac_f32_e32 v4, v2, v3
	buffer_store_dword v1, off, s[0:3], 0 offset:496
	buffer_store_dword v4, off, s[0:3], 0 offset:500
.LBB62_263:
	s_or_b32 exec_lo, exec_lo, s4
	s_mov_b32 s5, -1
	s_waitcnt_vscnt null, 0x0
	s_barrier
	buffer_gl0_inv
.LBB62_264:
	s_and_b32 vcc_lo, exec_lo, s5
	s_cbranch_vccz .LBB62_266
; %bb.265:
	s_lshl_b64 s[4:5], s[6:7], 2
	v_mov_b32_e32 v1, 0
	s_add_u32 s4, s10, s4
	s_addc_u32 s5, s11, s5
	global_load_dword v1, v1, s[4:5]
	s_waitcnt vmcnt(0)
	v_cmp_ne_u32_e32 vcc_lo, 0, v1
	s_cbranch_vccz .LBB62_267
.LBB62_266:
	s_endpgm
.LBB62_267:
	v_lshl_or_b32 v139, v0, 3, 0x200
	s_mov_b32 s4, exec_lo
	v_cmpx_eq_u32_e32 62, v0
	s_cbranch_execz .LBB62_269
; %bb.268:
	s_clause 0x1
	buffer_load_dword v1, off, s[0:3], 0 offset:488
	buffer_load_dword v2, off, s[0:3], 0 offset:492
	v_mov_b32_e32 v3, 0
	buffer_store_dword v3, off, s[0:3], 0 offset:488
	buffer_store_dword v3, off, s[0:3], 0 offset:492
	s_waitcnt vmcnt(0)
	ds_write_b64 v139, v[1:2]
.LBB62_269:
	s_or_b32 exec_lo, exec_lo, s4
	s_waitcnt lgkmcnt(0)
	s_waitcnt_vscnt null, 0x0
	s_barrier
	buffer_gl0_inv
	s_clause 0x3
	buffer_load_dword v4, off, s[0:3], 0 offset:500
	buffer_load_dword v5, off, s[0:3], 0 offset:496
	;; [unrolled: 1-line block ×4, first 2 shown]
	v_mov_b32_e32 v1, 0
	s_mov_b32 s4, exec_lo
	ds_read_b64 v[2:3], v1 offset:1008
	s_waitcnt vmcnt(3) lgkmcnt(0)
	v_mul_f32_e32 v8, v3, v4
	v_mul_f32_e32 v4, v2, v4
	s_waitcnt vmcnt(2)
	v_fma_f32 v2, v2, v5, -v8
	v_fmac_f32_e32 v4, v3, v5
	v_add_f32_e32 v2, 0, v2
	v_add_f32_e32 v3, 0, v4
	s_waitcnt vmcnt(1)
	v_sub_f32_e32 v2, v6, v2
	s_waitcnt vmcnt(0)
	v_sub_f32_e32 v3, v7, v3
	buffer_store_dword v2, off, s[0:3], 0 offset:488
	buffer_store_dword v3, off, s[0:3], 0 offset:492
	v_cmpx_lt_u32_e32 60, v0
	s_cbranch_execz .LBB62_271
; %bb.270:
	s_clause 0x1
	buffer_load_dword v2, off, s[0:3], 0 offset:480
	buffer_load_dword v3, off, s[0:3], 0 offset:484
	buffer_store_dword v1, off, s[0:3], 0 offset:480
	buffer_store_dword v1, off, s[0:3], 0 offset:484
	s_waitcnt vmcnt(0)
	ds_write_b64 v139, v[2:3]
.LBB62_271:
	s_or_b32 exec_lo, exec_lo, s4
	s_waitcnt lgkmcnt(0)
	s_waitcnt_vscnt null, 0x0
	s_barrier
	buffer_gl0_inv
	s_clause 0x5
	buffer_load_dword v5, off, s[0:3], 0 offset:492
	buffer_load_dword v6, off, s[0:3], 0 offset:500
	;; [unrolled: 1-line block ×6, first 2 shown]
	ds_read2_b64 v[1:4], v1 offset0:125 offset1:126
	s_mov_b32 s4, exec_lo
	s_waitcnt vmcnt(5) lgkmcnt(0)
	v_mul_f32_e32 v11, v2, v5
	v_mul_f32_e32 v5, v1, v5
	s_waitcnt vmcnt(4)
	v_mul_f32_e32 v12, v3, v6
	v_mul_f32_e32 v6, v4, v6
	s_waitcnt vmcnt(3)
	v_fma_f32 v1, v1, v7, -v11
	v_fmac_f32_e32 v5, v2, v7
	s_waitcnt vmcnt(2)
	v_fmac_f32_e32 v12, v4, v8
	v_fma_f32 v2, v3, v8, -v6
	v_add_f32_e32 v1, 0, v1
	v_add_f32_e32 v3, 0, v5
	;; [unrolled: 1-line block ×4, first 2 shown]
	s_waitcnt vmcnt(1)
	v_sub_f32_e32 v1, v9, v1
	s_waitcnt vmcnt(0)
	v_sub_f32_e32 v2, v10, v2
	buffer_store_dword v1, off, s[0:3], 0 offset:480
	buffer_store_dword v2, off, s[0:3], 0 offset:484
	v_cmpx_lt_u32_e32 59, v0
	s_cbranch_execz .LBB62_273
; %bb.272:
	s_clause 0x1
	buffer_load_dword v1, off, s[0:3], 0 offset:472
	buffer_load_dword v2, off, s[0:3], 0 offset:476
	v_mov_b32_e32 v3, 0
	buffer_store_dword v3, off, s[0:3], 0 offset:472
	buffer_store_dword v3, off, s[0:3], 0 offset:476
	s_waitcnt vmcnt(0)
	ds_write_b64 v139, v[1:2]
.LBB62_273:
	s_or_b32 exec_lo, exec_lo, s4
	s_waitcnt lgkmcnt(0)
	s_waitcnt_vscnt null, 0x0
	s_barrier
	buffer_gl0_inv
	s_clause 0x7
	buffer_load_dword v8, off, s[0:3], 0 offset:484
	buffer_load_dword v9, off, s[0:3], 0 offset:492
	;; [unrolled: 1-line block ×8, first 2 shown]
	v_mov_b32_e32 v1, 0
	ds_read_b128 v[2:5], v1 offset:992
	ds_read_b64 v[6:7], v1 offset:1008
	s_mov_b32 s4, exec_lo
	s_waitcnt vmcnt(7) lgkmcnt(1)
	v_mul_f32_e32 v143, v3, v8
	v_mul_f32_e32 v8, v2, v8
	s_waitcnt vmcnt(6)
	v_mul_f32_e32 v144, v4, v9
	v_mul_f32_e32 v9, v5, v9
	s_waitcnt vmcnt(5) lgkmcnt(0)
	v_mul_f32_e32 v145, v6, v10
	s_waitcnt vmcnt(4)
	v_fma_f32 v2, v2, v11, -v143
	v_fmac_f32_e32 v8, v3, v11
	v_mul_f32_e32 v3, v7, v10
	s_waitcnt vmcnt(3)
	v_fma_f32 v4, v4, v12, -v9
	v_fmac_f32_e32 v144, v5, v12
	v_add_f32_e32 v2, 0, v2
	v_add_f32_e32 v5, 0, v8
	s_waitcnt vmcnt(2)
	v_fma_f32 v3, v6, v140, -v3
	v_fmac_f32_e32 v145, v7, v140
	v_add_f32_e32 v2, v2, v4
	v_add_f32_e32 v4, v5, v144
	;; [unrolled: 1-line block ×4, first 2 shown]
	s_waitcnt vmcnt(1)
	v_sub_f32_e32 v2, v141, v2
	s_waitcnt vmcnt(0)
	v_sub_f32_e32 v3, v142, v3
	buffer_store_dword v2, off, s[0:3], 0 offset:472
	buffer_store_dword v3, off, s[0:3], 0 offset:476
	v_cmpx_lt_u32_e32 58, v0
	s_cbranch_execz .LBB62_275
; %bb.274:
	s_clause 0x1
	buffer_load_dword v2, off, s[0:3], 0 offset:464
	buffer_load_dword v3, off, s[0:3], 0 offset:468
	buffer_store_dword v1, off, s[0:3], 0 offset:464
	buffer_store_dword v1, off, s[0:3], 0 offset:468
	s_waitcnt vmcnt(0)
	ds_write_b64 v139, v[2:3]
.LBB62_275:
	s_or_b32 exec_lo, exec_lo, s4
	s_waitcnt lgkmcnt(0)
	s_waitcnt_vscnt null, 0x0
	s_barrier
	buffer_gl0_inv
	s_clause 0x9
	buffer_load_dword v10, off, s[0:3], 0 offset:476
	buffer_load_dword v11, off, s[0:3], 0 offset:484
	;; [unrolled: 1-line block ×10, first 2 shown]
	ds_read2_b64 v[2:5], v1 offset0:123 offset1:124
	ds_read2_b64 v[6:9], v1 offset0:125 offset1:126
	s_mov_b32 s4, exec_lo
	s_waitcnt vmcnt(9) lgkmcnt(1)
	v_mul_f32_e32 v1, v2, v10
	v_mul_f32_e32 v10, v3, v10
	s_waitcnt vmcnt(8)
	v_mul_f32_e32 v147, v4, v11
	v_mul_f32_e32 v11, v5, v11
	s_waitcnt vmcnt(7) lgkmcnt(0)
	v_mul_f32_e32 v148, v6, v12
	s_waitcnt vmcnt(5)
	v_fmac_f32_e32 v1, v3, v141
	v_fma_f32 v2, v2, v141, -v10
	v_mul_f32_e32 v3, v7, v12
	s_waitcnt vmcnt(4)
	v_fma_f32 v4, v4, v142, -v11
	v_fmac_f32_e32 v147, v5, v142
	v_add_f32_e32 v1, 0, v1
	v_add_f32_e32 v2, 0, v2
	v_mul_f32_e32 v5, v9, v140
	s_waitcnt vmcnt(3)
	v_fma_f32 v3, v6, v143, -v3
	v_mul_f32_e32 v149, v8, v140
	v_fmac_f32_e32 v148, v7, v143
	v_add_f32_e32 v2, v2, v4
	v_add_f32_e32 v1, v1, v147
	s_waitcnt vmcnt(2)
	v_fma_f32 v4, v8, v144, -v5
	v_fmac_f32_e32 v149, v9, v144
	v_add_f32_e32 v2, v2, v3
	v_add_f32_e32 v1, v1, v148
	;; [unrolled: 1-line block ×4, first 2 shown]
	s_waitcnt vmcnt(1)
	v_sub_f32_e32 v2, v145, v2
	s_waitcnt vmcnt(0)
	v_sub_f32_e32 v1, v146, v1
	buffer_store_dword v2, off, s[0:3], 0 offset:464
	buffer_store_dword v1, off, s[0:3], 0 offset:468
	v_cmpx_lt_u32_e32 57, v0
	s_cbranch_execz .LBB62_277
; %bb.276:
	s_clause 0x1
	buffer_load_dword v1, off, s[0:3], 0 offset:456
	buffer_load_dword v2, off, s[0:3], 0 offset:460
	v_mov_b32_e32 v3, 0
	buffer_store_dword v3, off, s[0:3], 0 offset:456
	buffer_store_dword v3, off, s[0:3], 0 offset:460
	s_waitcnt vmcnt(0)
	ds_write_b64 v139, v[1:2]
.LBB62_277:
	s_or_b32 exec_lo, exec_lo, s4
	s_waitcnt lgkmcnt(0)
	s_waitcnt_vscnt null, 0x0
	s_barrier
	buffer_gl0_inv
	s_clause 0xb
	buffer_load_dword v12, off, s[0:3], 0 offset:468
	buffer_load_dword v140, off, s[0:3], 0 offset:476
	;; [unrolled: 1-line block ×12, first 2 shown]
	v_mov_b32_e32 v1, 0
	ds_read_b128 v[2:5], v1 offset:976
	ds_read_b128 v[6:9], v1 offset:992
	ds_read_b64 v[10:11], v1 offset:1008
	s_mov_b32 s4, exec_lo
	s_waitcnt vmcnt(11) lgkmcnt(2)
	v_mul_f32_e32 v151, v2, v12
	v_mul_f32_e32 v12, v3, v12
	s_waitcnt vmcnt(10)
	v_mul_f32_e32 v152, v4, v140
	v_mul_f32_e32 v140, v5, v140
	s_waitcnt vmcnt(9) lgkmcnt(1)
	v_mul_f32_e32 v153, v6, v141
	s_waitcnt vmcnt(6)
	v_fmac_f32_e32 v151, v3, v144
	v_fma_f32 v2, v2, v144, -v12
	v_mul_f32_e32 v3, v7, v141
	s_waitcnt vmcnt(5)
	v_fma_f32 v4, v4, v145, -v140
	v_fmac_f32_e32 v152, v5, v145
	v_add_f32_e32 v5, 0, v151
	v_add_f32_e32 v2, 0, v2
	v_mul_f32_e32 v12, v9, v142
	s_waitcnt vmcnt(4)
	v_fma_f32 v3, v6, v146, -v3
	v_mul_f32_e32 v154, v8, v142
	v_fmac_f32_e32 v153, v7, v146
	v_add_f32_e32 v2, v2, v4
	v_add_f32_e32 v4, v5, v152
	s_waitcnt lgkmcnt(0)
	v_mul_f32_e32 v5, v11, v143
	s_waitcnt vmcnt(3)
	v_fma_f32 v6, v8, v147, -v12
	v_mul_f32_e32 v155, v10, v143
	v_add_f32_e32 v2, v2, v3
	v_fmac_f32_e32 v154, v9, v147
	v_add_f32_e32 v3, v4, v153
	s_waitcnt vmcnt(2)
	v_fma_f32 v4, v10, v148, -v5
	v_fmac_f32_e32 v155, v11, v148
	v_add_f32_e32 v2, v2, v6
	v_add_f32_e32 v3, v3, v154
	;; [unrolled: 1-line block ×4, first 2 shown]
	s_waitcnt vmcnt(1)
	v_sub_f32_e32 v2, v149, v2
	s_waitcnt vmcnt(0)
	v_sub_f32_e32 v3, v150, v3
	buffer_store_dword v2, off, s[0:3], 0 offset:456
	buffer_store_dword v3, off, s[0:3], 0 offset:460
	v_cmpx_lt_u32_e32 56, v0
	s_cbranch_execz .LBB62_279
; %bb.278:
	s_clause 0x1
	buffer_load_dword v2, off, s[0:3], 0 offset:448
	buffer_load_dword v3, off, s[0:3], 0 offset:452
	buffer_store_dword v1, off, s[0:3], 0 offset:448
	buffer_store_dword v1, off, s[0:3], 0 offset:452
	s_waitcnt vmcnt(0)
	ds_write_b64 v139, v[2:3]
.LBB62_279:
	s_or_b32 exec_lo, exec_lo, s4
	s_waitcnt lgkmcnt(0)
	s_waitcnt_vscnt null, 0x0
	s_barrier
	buffer_gl0_inv
	s_clause 0xd
	buffer_load_dword v10, off, s[0:3], 0 offset:460
	buffer_load_dword v11, off, s[0:3], 0 offset:468
	;; [unrolled: 1-line block ×14, first 2 shown]
	ds_read2_b64 v[2:5], v1 offset0:121 offset1:122
	ds_read2_b64 v[6:9], v1 offset0:123 offset1:124
	;; [unrolled: 1-line block ×3, first 2 shown]
	s_mov_b32 s4, exec_lo
	s_waitcnt vmcnt(13) lgkmcnt(2)
	v_mul_f32_e32 v1, v2, v10
	v_mul_f32_e32 v10, v3, v10
	s_waitcnt vmcnt(12)
	v_mul_f32_e32 v155, v4, v11
	v_mul_f32_e32 v11, v5, v11
	s_waitcnt vmcnt(11) lgkmcnt(1)
	v_mul_f32_e32 v156, v6, v12
	s_waitcnt vmcnt(10)
	v_mul_f32_e32 v157, v8, v144
	s_waitcnt vmcnt(7)
	v_fma_f32 v2, v2, v147, -v10
	v_fmac_f32_e32 v1, v3, v147
	v_mul_f32_e32 v3, v7, v12
	s_waitcnt vmcnt(6)
	v_fma_f32 v4, v4, v148, -v11
	v_fmac_f32_e32 v155, v5, v148
	v_add_f32_e32 v2, 0, v2
	v_add_f32_e32 v1, 0, v1
	v_mul_f32_e32 v5, v9, v144
	s_waitcnt vmcnt(5)
	v_fma_f32 v3, v6, v149, -v3
	v_fmac_f32_e32 v156, v7, v149
	v_add_f32_e32 v2, v2, v4
	v_add_f32_e32 v1, v1, v155
	s_waitcnt lgkmcnt(0)
	v_mul_f32_e32 v4, v141, v145
	s_waitcnt vmcnt(4)
	v_fma_f32 v5, v8, v150, -v5
	v_mul_f32_e32 v158, v140, v145
	v_add_f32_e32 v2, v2, v3
	v_fmac_f32_e32 v157, v9, v150
	v_add_f32_e32 v1, v1, v156
	v_mul_f32_e32 v3, v143, v146
	s_waitcnt vmcnt(3)
	v_fma_f32 v4, v140, v151, -v4
	v_add_f32_e32 v2, v2, v5
	v_mul_f32_e32 v159, v142, v146
	v_fmac_f32_e32 v158, v141, v151
	v_add_f32_e32 v1, v1, v157
	s_waitcnt vmcnt(2)
	v_fma_f32 v3, v142, v152, -v3
	v_add_f32_e32 v2, v2, v4
	v_fmac_f32_e32 v159, v143, v152
	v_add_f32_e32 v1, v1, v158
	v_add_f32_e32 v2, v2, v3
	;; [unrolled: 1-line block ×3, first 2 shown]
	s_waitcnt vmcnt(1)
	v_sub_f32_e32 v2, v153, v2
	s_waitcnt vmcnt(0)
	v_sub_f32_e32 v1, v154, v1
	buffer_store_dword v2, off, s[0:3], 0 offset:448
	buffer_store_dword v1, off, s[0:3], 0 offset:452
	v_cmpx_lt_u32_e32 55, v0
	s_cbranch_execz .LBB62_281
; %bb.280:
	s_clause 0x1
	buffer_load_dword v1, off, s[0:3], 0 offset:440
	buffer_load_dword v2, off, s[0:3], 0 offset:444
	v_mov_b32_e32 v3, 0
	buffer_store_dword v3, off, s[0:3], 0 offset:440
	buffer_store_dword v3, off, s[0:3], 0 offset:444
	s_waitcnt vmcnt(0)
	ds_write_b64 v139, v[1:2]
.LBB62_281:
	s_or_b32 exec_lo, exec_lo, s4
	s_waitcnt lgkmcnt(0)
	s_waitcnt_vscnt null, 0x0
	s_barrier
	buffer_gl0_inv
	s_clause 0xf
	buffer_load_dword v12, off, s[0:3], 0 offset:452
	buffer_load_dword v144, off, s[0:3], 0 offset:460
	;; [unrolled: 1-line block ×16, first 2 shown]
	v_mov_b32_e32 v1, 0
	ds_read_b128 v[2:5], v1 offset:960
	ds_read_b128 v[6:9], v1 offset:976
	;; [unrolled: 1-line block ×3, first 2 shown]
	ds_read_b64 v[10:11], v1 offset:1008
	s_mov_b32 s4, exec_lo
	s_waitcnt vmcnt(15) lgkmcnt(3)
	v_mul_f32_e32 v159, v2, v12
	v_mul_f32_e32 v12, v3, v12
	s_waitcnt vmcnt(14)
	v_mul_f32_e32 v160, v4, v144
	v_mul_f32_e32 v144, v5, v144
	s_waitcnt vmcnt(13) lgkmcnt(2)
	v_mul_f32_e32 v161, v6, v145
	s_waitcnt vmcnt(12)
	v_mul_f32_e32 v162, v8, v146
	s_waitcnt vmcnt(11) lgkmcnt(1)
	v_mul_f32_e32 v163, v140, v147
	s_waitcnt vmcnt(8)
	v_fma_f32 v2, v2, v150, -v12
	v_fmac_f32_e32 v159, v3, v150
	v_mul_f32_e32 v3, v7, v145
	s_waitcnt vmcnt(7)
	v_fma_f32 v4, v4, v151, -v144
	v_fmac_f32_e32 v160, v5, v151
	v_add_f32_e32 v2, 0, v2
	v_add_f32_e32 v5, 0, v159
	v_mul_f32_e32 v12, v9, v146
	s_waitcnt vmcnt(6)
	v_fma_f32 v3, v6, v152, -v3
	v_fmac_f32_e32 v161, v7, v152
	v_add_f32_e32 v2, v2, v4
	v_add_f32_e32 v4, v5, v160
	;; [unrolled: 6-line block ×3, first 2 shown]
	v_mul_f32_e32 v4, v143, v148
	s_waitcnt vmcnt(4)
	v_fma_f32 v5, v140, v154, -v5
	v_mul_f32_e32 v164, v142, v148
	v_add_f32_e32 v2, v2, v6
	v_fmac_f32_e32 v163, v141, v154
	v_add_f32_e32 v3, v3, v162
	s_waitcnt lgkmcnt(0)
	v_mul_f32_e32 v6, v11, v149
	s_waitcnt vmcnt(3)
	v_fma_f32 v4, v142, v155, -v4
	v_add_f32_e32 v2, v2, v5
	v_mul_f32_e32 v165, v10, v149
	v_fmac_f32_e32 v164, v143, v155
	v_add_f32_e32 v3, v3, v163
	s_waitcnt vmcnt(2)
	v_fma_f32 v5, v10, v156, -v6
	v_add_f32_e32 v2, v2, v4
	v_fmac_f32_e32 v165, v11, v156
	v_add_f32_e32 v3, v3, v164
	v_add_f32_e32 v2, v2, v5
	;; [unrolled: 1-line block ×3, first 2 shown]
	s_waitcnt vmcnt(1)
	v_sub_f32_e32 v2, v157, v2
	s_waitcnt vmcnt(0)
	v_sub_f32_e32 v3, v158, v3
	buffer_store_dword v2, off, s[0:3], 0 offset:440
	buffer_store_dword v3, off, s[0:3], 0 offset:444
	v_cmpx_lt_u32_e32 54, v0
	s_cbranch_execz .LBB62_283
; %bb.282:
	s_clause 0x1
	buffer_load_dword v2, off, s[0:3], 0 offset:432
	buffer_load_dword v3, off, s[0:3], 0 offset:436
	buffer_store_dword v1, off, s[0:3], 0 offset:432
	buffer_store_dword v1, off, s[0:3], 0 offset:436
	s_waitcnt vmcnt(0)
	ds_write_b64 v139, v[2:3]
.LBB62_283:
	s_or_b32 exec_lo, exec_lo, s4
	s_waitcnt lgkmcnt(0)
	s_waitcnt_vscnt null, 0x0
	s_barrier
	buffer_gl0_inv
	s_clause 0x11
	buffer_load_dword v10, off, s[0:3], 0 offset:444
	buffer_load_dword v11, off, s[0:3], 0 offset:452
	;; [unrolled: 1-line block ×18, first 2 shown]
	ds_read2_b64 v[2:5], v1 offset0:119 offset1:120
	ds_read2_b64 v[6:9], v1 offset0:121 offset1:122
	ds_read2_b64 v[140:143], v1 offset0:123 offset1:124
	ds_read2_b64 v[144:147], v1 offset0:125 offset1:126
	s_mov_b32 s4, exec_lo
	s_waitcnt vmcnt(17) lgkmcnt(3)
	v_mul_f32_e32 v1, v2, v10
	v_mul_f32_e32 v10, v3, v10
	s_waitcnt vmcnt(16)
	v_mul_f32_e32 v163, v4, v11
	v_mul_f32_e32 v11, v5, v11
	s_waitcnt vmcnt(15) lgkmcnt(2)
	v_mul_f32_e32 v164, v6, v12
	s_waitcnt vmcnt(14)
	v_mul_f32_e32 v165, v8, v148
	s_waitcnt vmcnt(13) lgkmcnt(1)
	v_mul_f32_e32 v166, v140, v149
	s_waitcnt vmcnt(12)
	v_mul_f32_e32 v167, v142, v150
	s_waitcnt vmcnt(9)
	v_fma_f32 v2, v2, v153, -v10
	v_fmac_f32_e32 v1, v3, v153
	v_mul_f32_e32 v3, v7, v12
	s_waitcnt vmcnt(8)
	v_fma_f32 v4, v4, v154, -v11
	v_fmac_f32_e32 v163, v5, v154
	v_add_f32_e32 v2, 0, v2
	v_add_f32_e32 v1, 0, v1
	v_mul_f32_e32 v5, v9, v148
	s_waitcnt vmcnt(7)
	v_fma_f32 v3, v6, v155, -v3
	v_fmac_f32_e32 v164, v7, v155
	v_add_f32_e32 v2, v2, v4
	v_add_f32_e32 v1, v1, v163
	;; [unrolled: 6-line block ×4, first 2 shown]
	s_waitcnt lgkmcnt(0)
	v_mul_f32_e32 v5, v145, v151
	s_waitcnt vmcnt(4)
	v_fma_f32 v3, v142, v158, -v3
	v_mul_f32_e32 v168, v144, v151
	v_add_f32_e32 v2, v2, v4
	v_fmac_f32_e32 v167, v143, v158
	v_add_f32_e32 v1, v1, v166
	v_mul_f32_e32 v4, v147, v152
	s_waitcnt vmcnt(3)
	v_fma_f32 v5, v144, v159, -v5
	v_add_f32_e32 v2, v2, v3
	v_mul_f32_e32 v169, v146, v152
	v_fmac_f32_e32 v168, v145, v159
	v_add_f32_e32 v1, v1, v167
	s_waitcnt vmcnt(2)
	v_fma_f32 v3, v146, v160, -v4
	v_add_f32_e32 v2, v2, v5
	v_fmac_f32_e32 v169, v147, v160
	v_add_f32_e32 v1, v1, v168
	v_add_f32_e32 v2, v2, v3
	;; [unrolled: 1-line block ×3, first 2 shown]
	s_waitcnt vmcnt(1)
	v_sub_f32_e32 v2, v161, v2
	s_waitcnt vmcnt(0)
	v_sub_f32_e32 v1, v162, v1
	buffer_store_dword v2, off, s[0:3], 0 offset:432
	buffer_store_dword v1, off, s[0:3], 0 offset:436
	v_cmpx_lt_u32_e32 53, v0
	s_cbranch_execz .LBB62_285
; %bb.284:
	s_clause 0x1
	buffer_load_dword v1, off, s[0:3], 0 offset:424
	buffer_load_dword v2, off, s[0:3], 0 offset:428
	v_mov_b32_e32 v3, 0
	buffer_store_dword v3, off, s[0:3], 0 offset:424
	buffer_store_dword v3, off, s[0:3], 0 offset:428
	s_waitcnt vmcnt(0)
	ds_write_b64 v139, v[1:2]
.LBB62_285:
	s_or_b32 exec_lo, exec_lo, s4
	s_waitcnt lgkmcnt(0)
	s_waitcnt_vscnt null, 0x0
	s_barrier
	buffer_gl0_inv
	s_clause 0x13
	buffer_load_dword v12, off, s[0:3], 0 offset:436
	buffer_load_dword v148, off, s[0:3], 0 offset:444
	;; [unrolled: 1-line block ×20, first 2 shown]
	v_mov_b32_e32 v1, 0
	ds_read_b128 v[2:5], v1 offset:944
	ds_read_b128 v[6:9], v1 offset:960
	;; [unrolled: 1-line block ×4, first 2 shown]
	ds_read_b64 v[10:11], v1 offset:1008
	s_mov_b32 s4, exec_lo
	s_waitcnt vmcnt(19) lgkmcnt(4)
	v_mul_f32_e32 v167, v2, v12
	v_mul_f32_e32 v12, v3, v12
	s_waitcnt vmcnt(18)
	v_mul_f32_e32 v168, v4, v148
	v_mul_f32_e32 v148, v5, v148
	s_waitcnt vmcnt(17) lgkmcnt(3)
	v_mul_f32_e32 v169, v6, v149
	s_waitcnt vmcnt(16)
	v_mul_f32_e32 v170, v8, v150
	s_waitcnt vmcnt(15) lgkmcnt(2)
	v_mul_f32_e32 v171, v140, v151
	s_waitcnt vmcnt(14)
	;; [unrolled: 4-line block ×3, first 2 shown]
	v_fma_f32 v2, v2, v156, -v12
	v_fmac_f32_e32 v167, v3, v156
	v_mul_f32_e32 v3, v7, v149
	s_waitcnt vmcnt(9)
	v_fma_f32 v4, v4, v157, -v148
	v_fmac_f32_e32 v168, v5, v157
	v_add_f32_e32 v2, 0, v2
	v_add_f32_e32 v5, 0, v167
	v_mul_f32_e32 v12, v9, v150
	s_waitcnt vmcnt(8)
	v_fma_f32 v3, v6, v158, -v3
	v_fmac_f32_e32 v169, v7, v158
	v_add_f32_e32 v2, v2, v4
	v_add_f32_e32 v4, v5, v168
	;; [unrolled: 6-line block ×5, first 2 shown]
	v_mul_f32_e32 v5, v147, v154
	s_waitcnt vmcnt(4)
	v_fma_f32 v6, v144, v162, -v6
	v_mul_f32_e32 v174, v146, v154
	v_add_f32_e32 v2, v2, v4
	v_fmac_f32_e32 v173, v145, v162
	v_add_f32_e32 v3, v3, v172
	s_waitcnt lgkmcnt(0)
	v_mul_f32_e32 v4, v11, v155
	s_waitcnt vmcnt(3)
	v_fma_f32 v5, v146, v163, -v5
	v_add_f32_e32 v2, v2, v6
	v_mul_f32_e32 v175, v10, v155
	v_fmac_f32_e32 v174, v147, v163
	v_add_f32_e32 v3, v3, v173
	s_waitcnt vmcnt(2)
	v_fma_f32 v4, v10, v164, -v4
	v_add_f32_e32 v2, v2, v5
	v_fmac_f32_e32 v175, v11, v164
	v_add_f32_e32 v3, v3, v174
	v_add_f32_e32 v2, v2, v4
	;; [unrolled: 1-line block ×3, first 2 shown]
	s_waitcnt vmcnt(1)
	v_sub_f32_e32 v2, v165, v2
	s_waitcnt vmcnt(0)
	v_sub_f32_e32 v3, v166, v3
	buffer_store_dword v2, off, s[0:3], 0 offset:424
	buffer_store_dword v3, off, s[0:3], 0 offset:428
	v_cmpx_lt_u32_e32 52, v0
	s_cbranch_execz .LBB62_287
; %bb.286:
	s_clause 0x1
	buffer_load_dword v2, off, s[0:3], 0 offset:416
	buffer_load_dword v3, off, s[0:3], 0 offset:420
	buffer_store_dword v1, off, s[0:3], 0 offset:416
	buffer_store_dword v1, off, s[0:3], 0 offset:420
	s_waitcnt vmcnt(0)
	ds_write_b64 v139, v[2:3]
.LBB62_287:
	s_or_b32 exec_lo, exec_lo, s4
	s_waitcnt lgkmcnt(0)
	s_waitcnt_vscnt null, 0x0
	s_barrier
	buffer_gl0_inv
	s_clause 0x15
	buffer_load_dword v10, off, s[0:3], 0 offset:428
	buffer_load_dword v11, off, s[0:3], 0 offset:436
	;; [unrolled: 1-line block ×22, first 2 shown]
	ds_read2_b64 v[2:5], v1 offset0:117 offset1:118
	ds_read2_b64 v[6:9], v1 offset0:119 offset1:120
	;; [unrolled: 1-line block ×5, first 2 shown]
	s_mov_b32 s4, exec_lo
	s_waitcnt vmcnt(21) lgkmcnt(4)
	v_mul_f32_e32 v1, v2, v10
	v_mul_f32_e32 v10, v3, v10
	s_waitcnt vmcnt(20)
	v_mul_f32_e32 v171, v4, v11
	v_mul_f32_e32 v11, v5, v11
	s_waitcnt vmcnt(19) lgkmcnt(3)
	v_mul_f32_e32 v172, v6, v12
	s_waitcnt vmcnt(18)
	v_mul_f32_e32 v173, v8, v152
	s_waitcnt vmcnt(17) lgkmcnt(2)
	v_mul_f32_e32 v174, v140, v153
	s_waitcnt vmcnt(16)
	;; [unrolled: 4-line block ×3, first 2 shown]
	v_mul_f32_e32 v177, v146, v156
	s_waitcnt vmcnt(11)
	v_fma_f32 v2, v2, v159, -v10
	v_fmac_f32_e32 v1, v3, v159
	v_mul_f32_e32 v3, v7, v12
	s_waitcnt vmcnt(10)
	v_fma_f32 v4, v4, v160, -v11
	v_fmac_f32_e32 v171, v5, v160
	v_add_f32_e32 v2, 0, v2
	v_add_f32_e32 v1, 0, v1
	v_mul_f32_e32 v5, v9, v152
	s_waitcnt vmcnt(9)
	v_fma_f32 v3, v6, v161, -v3
	v_fmac_f32_e32 v172, v7, v161
	v_add_f32_e32 v2, v2, v4
	v_add_f32_e32 v1, v1, v171
	;; [unrolled: 6-line block ×6, first 2 shown]
	s_waitcnt lgkmcnt(0)
	v_mul_f32_e32 v3, v149, v157
	s_waitcnt vmcnt(4)
	v_fma_f32 v4, v146, v166, -v4
	v_mul_f32_e32 v178, v148, v157
	v_add_f32_e32 v2, v2, v5
	v_fmac_f32_e32 v177, v147, v166
	v_add_f32_e32 v1, v1, v176
	v_mul_f32_e32 v5, v151, v158
	s_waitcnt vmcnt(3)
	v_fma_f32 v3, v148, v167, -v3
	v_add_f32_e32 v2, v2, v4
	v_mul_f32_e32 v179, v150, v158
	v_fmac_f32_e32 v178, v149, v167
	v_add_f32_e32 v1, v1, v177
	s_waitcnt vmcnt(2)
	v_fma_f32 v4, v150, v168, -v5
	v_add_f32_e32 v2, v2, v3
	v_fmac_f32_e32 v179, v151, v168
	v_add_f32_e32 v1, v1, v178
	v_add_f32_e32 v2, v2, v4
	;; [unrolled: 1-line block ×3, first 2 shown]
	s_waitcnt vmcnt(1)
	v_sub_f32_e32 v2, v169, v2
	s_waitcnt vmcnt(0)
	v_sub_f32_e32 v1, v170, v1
	buffer_store_dword v2, off, s[0:3], 0 offset:416
	buffer_store_dword v1, off, s[0:3], 0 offset:420
	v_cmpx_lt_u32_e32 51, v0
	s_cbranch_execz .LBB62_289
; %bb.288:
	s_clause 0x1
	buffer_load_dword v1, off, s[0:3], 0 offset:408
	buffer_load_dword v2, off, s[0:3], 0 offset:412
	v_mov_b32_e32 v3, 0
	buffer_store_dword v3, off, s[0:3], 0 offset:408
	buffer_store_dword v3, off, s[0:3], 0 offset:412
	s_waitcnt vmcnt(0)
	ds_write_b64 v139, v[1:2]
.LBB62_289:
	s_or_b32 exec_lo, exec_lo, s4
	s_waitcnt lgkmcnt(0)
	s_waitcnt_vscnt null, 0x0
	s_barrier
	buffer_gl0_inv
	s_clause 0x17
	buffer_load_dword v12, off, s[0:3], 0 offset:420
	buffer_load_dword v152, off, s[0:3], 0 offset:428
	;; [unrolled: 1-line block ×24, first 2 shown]
	v_mov_b32_e32 v1, 0
	ds_read_b128 v[2:5], v1 offset:928
	ds_read_b128 v[6:9], v1 offset:944
	;; [unrolled: 1-line block ×5, first 2 shown]
	ds_read_b64 v[10:11], v1 offset:1008
	s_mov_b32 s4, exec_lo
	s_waitcnt vmcnt(23) lgkmcnt(5)
	v_mul_f32_e32 v175, v2, v12
	v_mul_f32_e32 v12, v3, v12
	s_waitcnt vmcnt(22)
	v_mul_f32_e32 v176, v4, v152
	v_mul_f32_e32 v152, v5, v152
	s_waitcnt vmcnt(21) lgkmcnt(4)
	v_mul_f32_e32 v177, v6, v153
	s_waitcnt vmcnt(20)
	v_mul_f32_e32 v178, v8, v154
	s_waitcnt vmcnt(19) lgkmcnt(3)
	v_mul_f32_e32 v179, v140, v155
	s_waitcnt vmcnt(18)
	;; [unrolled: 4-line block ×4, first 2 shown]
	v_fma_f32 v2, v2, v162, -v12
	v_fmac_f32_e32 v175, v3, v162
	v_mul_f32_e32 v3, v7, v153
	s_waitcnt vmcnt(11)
	v_fma_f32 v4, v4, v163, -v152
	v_fmac_f32_e32 v176, v5, v163
	v_add_f32_e32 v2, 0, v2
	v_add_f32_e32 v5, 0, v175
	v_mul_f32_e32 v12, v9, v154
	s_waitcnt vmcnt(10)
	v_fma_f32 v3, v6, v164, -v3
	v_fmac_f32_e32 v177, v7, v164
	v_add_f32_e32 v2, v2, v4
	v_add_f32_e32 v4, v5, v176
	;; [unrolled: 6-line block ×7, first 2 shown]
	v_mul_f32_e32 v6, v151, v160
	s_waitcnt vmcnt(4)
	v_fma_f32 v4, v148, v170, -v4
	v_mul_f32_e32 v184, v150, v160
	v_add_f32_e32 v2, v2, v5
	v_fmac_f32_e32 v183, v149, v170
	v_add_f32_e32 v3, v3, v182
	s_waitcnt lgkmcnt(0)
	v_mul_f32_e32 v5, v11, v161
	s_waitcnt vmcnt(3)
	v_fma_f32 v6, v150, v171, -v6
	v_add_f32_e32 v2, v2, v4
	v_mul_f32_e32 v185, v10, v161
	v_fmac_f32_e32 v184, v151, v171
	v_add_f32_e32 v3, v3, v183
	s_waitcnt vmcnt(2)
	v_fma_f32 v4, v10, v172, -v5
	v_add_f32_e32 v2, v2, v6
	v_fmac_f32_e32 v185, v11, v172
	v_add_f32_e32 v3, v3, v184
	v_add_f32_e32 v2, v2, v4
	;; [unrolled: 1-line block ×3, first 2 shown]
	s_waitcnt vmcnt(1)
	v_sub_f32_e32 v2, v173, v2
	s_waitcnt vmcnt(0)
	v_sub_f32_e32 v3, v174, v3
	buffer_store_dword v2, off, s[0:3], 0 offset:408
	buffer_store_dword v3, off, s[0:3], 0 offset:412
	v_cmpx_lt_u32_e32 50, v0
	s_cbranch_execz .LBB62_291
; %bb.290:
	s_clause 0x1
	buffer_load_dword v2, off, s[0:3], 0 offset:400
	buffer_load_dword v3, off, s[0:3], 0 offset:404
	buffer_store_dword v1, off, s[0:3], 0 offset:400
	buffer_store_dword v1, off, s[0:3], 0 offset:404
	s_waitcnt vmcnt(0)
	ds_write_b64 v139, v[2:3]
.LBB62_291:
	s_or_b32 exec_lo, exec_lo, s4
	s_waitcnt lgkmcnt(0)
	s_waitcnt_vscnt null, 0x0
	s_barrier
	buffer_gl0_inv
	s_clause 0x19
	buffer_load_dword v10, off, s[0:3], 0 offset:412
	buffer_load_dword v11, off, s[0:3], 0 offset:420
	;; [unrolled: 1-line block ×26, first 2 shown]
	ds_read2_b64 v[2:5], v1 offset0:115 offset1:116
	ds_read2_b64 v[6:9], v1 offset0:117 offset1:118
	;; [unrolled: 1-line block ×6, first 2 shown]
	s_mov_b32 s4, exec_lo
	s_waitcnt vmcnt(25) lgkmcnt(5)
	v_mul_f32_e32 v1, v2, v10
	v_mul_f32_e32 v10, v3, v10
	s_waitcnt vmcnt(24)
	v_mul_f32_e32 v179, v4, v11
	v_mul_f32_e32 v11, v5, v11
	s_waitcnt vmcnt(23) lgkmcnt(4)
	v_mul_f32_e32 v180, v6, v12
	s_waitcnt vmcnt(22)
	v_mul_f32_e32 v181, v8, v156
	s_waitcnt vmcnt(21) lgkmcnt(3)
	v_mul_f32_e32 v182, v140, v157
	s_waitcnt vmcnt(20)
	;; [unrolled: 4-line block ×4, first 2 shown]
	v_mul_f32_e32 v187, v150, v162
	s_waitcnt vmcnt(13)
	v_fma_f32 v2, v2, v165, -v10
	v_fmac_f32_e32 v1, v3, v165
	v_mul_f32_e32 v3, v7, v12
	s_waitcnt vmcnt(12)
	v_fma_f32 v4, v4, v166, -v11
	v_fmac_f32_e32 v179, v5, v166
	v_add_f32_e32 v2, 0, v2
	v_add_f32_e32 v1, 0, v1
	v_mul_f32_e32 v5, v9, v156
	s_waitcnt vmcnt(11)
	v_fma_f32 v3, v6, v167, -v3
	v_fmac_f32_e32 v180, v7, v167
	v_add_f32_e32 v2, v2, v4
	v_add_f32_e32 v1, v1, v179
	;; [unrolled: 6-line block ×8, first 2 shown]
	s_waitcnt lgkmcnt(0)
	v_mul_f32_e32 v4, v153, v163
	s_waitcnt vmcnt(4)
	v_fma_f32 v5, v150, v174, -v5
	v_mul_f32_e32 v188, v152, v163
	v_add_f32_e32 v2, v2, v3
	v_fmac_f32_e32 v187, v151, v174
	v_add_f32_e32 v1, v1, v186
	v_mul_f32_e32 v3, v155, v164
	s_waitcnt vmcnt(3)
	v_fma_f32 v4, v152, v175, -v4
	v_add_f32_e32 v2, v2, v5
	v_mul_f32_e32 v189, v154, v164
	v_fmac_f32_e32 v188, v153, v175
	v_add_f32_e32 v1, v1, v187
	s_waitcnt vmcnt(2)
	v_fma_f32 v3, v154, v176, -v3
	v_add_f32_e32 v2, v2, v4
	v_fmac_f32_e32 v189, v155, v176
	v_add_f32_e32 v1, v1, v188
	v_add_f32_e32 v2, v2, v3
	;; [unrolled: 1-line block ×3, first 2 shown]
	s_waitcnt vmcnt(1)
	v_sub_f32_e32 v2, v177, v2
	s_waitcnt vmcnt(0)
	v_sub_f32_e32 v1, v178, v1
	buffer_store_dword v2, off, s[0:3], 0 offset:400
	buffer_store_dword v1, off, s[0:3], 0 offset:404
	v_cmpx_lt_u32_e32 49, v0
	s_cbranch_execz .LBB62_293
; %bb.292:
	s_clause 0x1
	buffer_load_dword v1, off, s[0:3], 0 offset:392
	buffer_load_dword v2, off, s[0:3], 0 offset:396
	v_mov_b32_e32 v3, 0
	buffer_store_dword v3, off, s[0:3], 0 offset:392
	buffer_store_dword v3, off, s[0:3], 0 offset:396
	s_waitcnt vmcnt(0)
	ds_write_b64 v139, v[1:2]
.LBB62_293:
	s_or_b32 exec_lo, exec_lo, s4
	s_waitcnt lgkmcnt(0)
	s_waitcnt_vscnt null, 0x0
	s_barrier
	buffer_gl0_inv
	s_clause 0x1b
	buffer_load_dword v12, off, s[0:3], 0 offset:404
	buffer_load_dword v156, off, s[0:3], 0 offset:412
	;; [unrolled: 1-line block ×28, first 2 shown]
	v_mov_b32_e32 v1, 0
	ds_read_b128 v[2:5], v1 offset:912
	ds_read_b128 v[6:9], v1 offset:928
	;; [unrolled: 1-line block ×6, first 2 shown]
	ds_read_b64 v[10:11], v1 offset:1008
	s_mov_b32 s4, exec_lo
	s_waitcnt vmcnt(27) lgkmcnt(6)
	v_mul_f32_e32 v183, v2, v12
	v_mul_f32_e32 v12, v3, v12
	s_waitcnt vmcnt(26)
	v_mul_f32_e32 v184, v4, v156
	v_mul_f32_e32 v156, v5, v156
	s_waitcnt vmcnt(25) lgkmcnt(5)
	v_mul_f32_e32 v185, v6, v157
	s_waitcnt vmcnt(24)
	v_mul_f32_e32 v186, v8, v158
	s_waitcnt vmcnt(23) lgkmcnt(4)
	v_mul_f32_e32 v187, v140, v159
	s_waitcnt vmcnt(22)
	;; [unrolled: 4-line block ×5, first 2 shown]
	v_fma_f32 v2, v2, v168, -v12
	v_fmac_f32_e32 v183, v3, v168
	v_mul_f32_e32 v3, v7, v157
	s_waitcnt vmcnt(13)
	v_fma_f32 v4, v4, v169, -v156
	v_fmac_f32_e32 v184, v5, v169
	v_add_f32_e32 v2, 0, v2
	v_add_f32_e32 v5, 0, v183
	v_mul_f32_e32 v12, v9, v158
	s_waitcnt vmcnt(12)
	v_fma_f32 v3, v6, v170, -v3
	v_fmac_f32_e32 v185, v7, v170
	v_add_f32_e32 v2, v2, v4
	v_add_f32_e32 v4, v5, v184
	;; [unrolled: 6-line block ×9, first 2 shown]
	v_mul_f32_e32 v4, v155, v166
	s_waitcnt vmcnt(4)
	v_fma_f32 v5, v152, v178, -v5
	v_mul_f32_e32 v194, v154, v166
	v_add_f32_e32 v2, v2, v6
	v_fmac_f32_e32 v193, v153, v178
	v_add_f32_e32 v3, v3, v192
	s_waitcnt lgkmcnt(0)
	v_mul_f32_e32 v6, v11, v167
	s_waitcnt vmcnt(3)
	v_fma_f32 v4, v154, v179, -v4
	v_add_f32_e32 v2, v2, v5
	v_mul_f32_e32 v195, v10, v167
	v_fmac_f32_e32 v194, v155, v179
	v_add_f32_e32 v3, v3, v193
	s_waitcnt vmcnt(2)
	v_fma_f32 v5, v10, v180, -v6
	v_add_f32_e32 v2, v2, v4
	v_fmac_f32_e32 v195, v11, v180
	v_add_f32_e32 v3, v3, v194
	v_add_f32_e32 v2, v2, v5
	;; [unrolled: 1-line block ×3, first 2 shown]
	s_waitcnt vmcnt(1)
	v_sub_f32_e32 v2, v181, v2
	s_waitcnt vmcnt(0)
	v_sub_f32_e32 v3, v182, v3
	buffer_store_dword v2, off, s[0:3], 0 offset:392
	buffer_store_dword v3, off, s[0:3], 0 offset:396
	v_cmpx_lt_u32_e32 48, v0
	s_cbranch_execz .LBB62_295
; %bb.294:
	s_clause 0x1
	buffer_load_dword v2, off, s[0:3], 0 offset:384
	buffer_load_dword v3, off, s[0:3], 0 offset:388
	buffer_store_dword v1, off, s[0:3], 0 offset:384
	buffer_store_dword v1, off, s[0:3], 0 offset:388
	s_waitcnt vmcnt(0)
	ds_write_b64 v139, v[2:3]
.LBB62_295:
	s_or_b32 exec_lo, exec_lo, s4
	s_waitcnt lgkmcnt(0)
	s_waitcnt_vscnt null, 0x0
	s_barrier
	buffer_gl0_inv
	s_clause 0x1d
	buffer_load_dword v10, off, s[0:3], 0 offset:396
	buffer_load_dword v11, off, s[0:3], 0 offset:404
	;; [unrolled: 1-line block ×30, first 2 shown]
	ds_read2_b64 v[2:5], v1 offset0:113 offset1:114
	ds_read2_b64 v[6:9], v1 offset0:115 offset1:116
	;; [unrolled: 1-line block ×7, first 2 shown]
	s_mov_b32 s4, exec_lo
	s_waitcnt vmcnt(29) lgkmcnt(6)
	v_mul_f32_e32 v1, v2, v10
	v_mul_f32_e32 v10, v3, v10
	s_waitcnt vmcnt(28)
	v_mul_f32_e32 v187, v4, v11
	v_mul_f32_e32 v11, v5, v11
	s_waitcnt vmcnt(27) lgkmcnt(5)
	v_mul_f32_e32 v188, v6, v12
	s_waitcnt vmcnt(26)
	v_mul_f32_e32 v189, v8, v160
	s_waitcnt vmcnt(25) lgkmcnt(4)
	v_mul_f32_e32 v190, v140, v161
	s_waitcnt vmcnt(24)
	;; [unrolled: 4-line block ×5, first 2 shown]
	v_mul_f32_e32 v197, v154, v168
	s_waitcnt vmcnt(15)
	v_fma_f32 v2, v2, v171, -v10
	v_fmac_f32_e32 v1, v3, v171
	v_mul_f32_e32 v3, v7, v12
	s_waitcnt vmcnt(14)
	v_fma_f32 v4, v4, v172, -v11
	v_fmac_f32_e32 v187, v5, v172
	v_add_f32_e32 v2, 0, v2
	v_add_f32_e32 v1, 0, v1
	v_mul_f32_e32 v5, v9, v160
	s_waitcnt vmcnt(13)
	v_fma_f32 v3, v6, v173, -v3
	v_fmac_f32_e32 v188, v7, v173
	v_add_f32_e32 v2, v2, v4
	v_add_f32_e32 v1, v1, v187
	;; [unrolled: 6-line block ×10, first 2 shown]
	s_waitcnt lgkmcnt(0)
	v_mul_f32_e32 v5, v157, v169
	s_waitcnt vmcnt(4)
	v_fma_f32 v3, v154, v182, -v3
	v_mul_f32_e32 v198, v156, v169
	v_add_f32_e32 v2, v2, v4
	v_fmac_f32_e32 v197, v155, v182
	v_add_f32_e32 v1, v1, v196
	v_mul_f32_e32 v4, v159, v170
	s_waitcnt vmcnt(3)
	v_fma_f32 v5, v156, v183, -v5
	v_add_f32_e32 v2, v2, v3
	v_mul_f32_e32 v199, v158, v170
	v_fmac_f32_e32 v198, v157, v183
	v_add_f32_e32 v1, v1, v197
	s_waitcnt vmcnt(2)
	v_fma_f32 v3, v158, v184, -v4
	v_add_f32_e32 v2, v2, v5
	v_fmac_f32_e32 v199, v159, v184
	v_add_f32_e32 v1, v1, v198
	v_add_f32_e32 v2, v2, v3
	;; [unrolled: 1-line block ×3, first 2 shown]
	s_waitcnt vmcnt(1)
	v_sub_f32_e32 v2, v185, v2
	s_waitcnt vmcnt(0)
	v_sub_f32_e32 v1, v186, v1
	buffer_store_dword v2, off, s[0:3], 0 offset:384
	buffer_store_dword v1, off, s[0:3], 0 offset:388
	v_cmpx_lt_u32_e32 47, v0
	s_cbranch_execz .LBB62_297
; %bb.296:
	s_clause 0x1
	buffer_load_dword v1, off, s[0:3], 0 offset:376
	buffer_load_dword v2, off, s[0:3], 0 offset:380
	v_mov_b32_e32 v3, 0
	buffer_store_dword v3, off, s[0:3], 0 offset:376
	buffer_store_dword v3, off, s[0:3], 0 offset:380
	s_waitcnt vmcnt(0)
	ds_write_b64 v139, v[1:2]
.LBB62_297:
	s_or_b32 exec_lo, exec_lo, s4
	s_waitcnt lgkmcnt(0)
	s_waitcnt_vscnt null, 0x0
	s_barrier
	buffer_gl0_inv
	s_clause 0x1f
	buffer_load_dword v12, off, s[0:3], 0 offset:388
	buffer_load_dword v160, off, s[0:3], 0 offset:396
	;; [unrolled: 1-line block ×32, first 2 shown]
	v_mov_b32_e32 v1, 0
	ds_read_b128 v[2:5], v1 offset:896
	ds_read_b128 v[6:9], v1 offset:912
	;; [unrolled: 1-line block ×7, first 2 shown]
	ds_read_b64 v[10:11], v1 offset:1008
	s_mov_b32 s4, exec_lo
	s_waitcnt vmcnt(31) lgkmcnt(7)
	v_mul_f32_e32 v191, v2, v12
	v_mul_f32_e32 v12, v3, v12
	s_waitcnt vmcnt(30)
	v_mul_f32_e32 v192, v4, v160
	v_mul_f32_e32 v160, v5, v160
	s_waitcnt vmcnt(29) lgkmcnt(6)
	v_mul_f32_e32 v193, v6, v161
	s_waitcnt vmcnt(28)
	v_mul_f32_e32 v194, v8, v162
	s_waitcnt vmcnt(27) lgkmcnt(5)
	v_mul_f32_e32 v195, v140, v163
	s_waitcnt vmcnt(26)
	;; [unrolled: 4-line block ×6, first 2 shown]
	v_fma_f32 v2, v2, v174, -v12
	v_fmac_f32_e32 v191, v3, v174
	v_mul_f32_e32 v3, v7, v161
	s_waitcnt vmcnt(15)
	v_fma_f32 v4, v4, v175, -v160
	v_fmac_f32_e32 v192, v5, v175
	v_add_f32_e32 v2, 0, v2
	v_add_f32_e32 v5, 0, v191
	v_mul_f32_e32 v12, v9, v162
	s_waitcnt vmcnt(14)
	v_fma_f32 v3, v6, v176, -v3
	v_fmac_f32_e32 v193, v7, v176
	v_add_f32_e32 v2, v2, v4
	v_add_f32_e32 v4, v5, v192
	;; [unrolled: 6-line block ×11, first 2 shown]
	v_mul_f32_e32 v5, v159, v172
	s_waitcnt vmcnt(4)
	v_fma_f32 v6, v156, v186, -v6
	v_mul_f32_e32 v204, v158, v172
	v_add_f32_e32 v2, v2, v4
	v_fmac_f32_e32 v203, v157, v186
	v_add_f32_e32 v3, v3, v202
	s_waitcnt lgkmcnt(0)
	v_mul_f32_e32 v4, v11, v173
	s_waitcnt vmcnt(3)
	v_fma_f32 v5, v158, v187, -v5
	v_add_f32_e32 v2, v2, v6
	v_mul_f32_e32 v205, v10, v173
	v_fmac_f32_e32 v204, v159, v187
	v_add_f32_e32 v3, v3, v203
	s_waitcnt vmcnt(2)
	v_fma_f32 v4, v10, v188, -v4
	v_add_f32_e32 v2, v2, v5
	v_fmac_f32_e32 v205, v11, v188
	v_add_f32_e32 v3, v3, v204
	v_add_f32_e32 v2, v2, v4
	;; [unrolled: 1-line block ×3, first 2 shown]
	s_waitcnt vmcnt(1)
	v_sub_f32_e32 v2, v189, v2
	s_waitcnt vmcnt(0)
	v_sub_f32_e32 v3, v190, v3
	buffer_store_dword v2, off, s[0:3], 0 offset:376
	buffer_store_dword v3, off, s[0:3], 0 offset:380
	v_cmpx_lt_u32_e32 46, v0
	s_cbranch_execz .LBB62_299
; %bb.298:
	s_clause 0x1
	buffer_load_dword v2, off, s[0:3], 0 offset:368
	buffer_load_dword v3, off, s[0:3], 0 offset:372
	buffer_store_dword v1, off, s[0:3], 0 offset:368
	buffer_store_dword v1, off, s[0:3], 0 offset:372
	s_waitcnt vmcnt(0)
	ds_write_b64 v139, v[2:3]
.LBB62_299:
	s_or_b32 exec_lo, exec_lo, s4
	s_waitcnt lgkmcnt(0)
	s_waitcnt_vscnt null, 0x0
	s_barrier
	buffer_gl0_inv
	s_clause 0x21
	buffer_load_dword v10, off, s[0:3], 0 offset:380
	buffer_load_dword v11, off, s[0:3], 0 offset:388
	;; [unrolled: 1-line block ×34, first 2 shown]
	ds_read2_b64 v[2:5], v1 offset0:111 offset1:112
	ds_read2_b64 v[6:9], v1 offset0:113 offset1:114
	;; [unrolled: 1-line block ×8, first 2 shown]
	s_mov_b32 s4, exec_lo
	s_waitcnt vmcnt(33) lgkmcnt(7)
	v_mul_f32_e32 v1, v2, v10
	v_mul_f32_e32 v10, v3, v10
	s_waitcnt vmcnt(32)
	v_mul_f32_e32 v195, v4, v11
	v_mul_f32_e32 v11, v5, v11
	s_waitcnt vmcnt(31) lgkmcnt(6)
	v_mul_f32_e32 v196, v6, v12
	s_waitcnt vmcnt(30)
	v_mul_f32_e32 v197, v8, v164
	s_waitcnt vmcnt(29) lgkmcnt(5)
	v_mul_f32_e32 v198, v140, v165
	s_waitcnt vmcnt(28)
	;; [unrolled: 4-line block ×6, first 2 shown]
	v_mul_f32_e32 v207, v158, v174
	s_waitcnt vmcnt(17)
	v_fma_f32 v2, v2, v177, -v10
	v_fmac_f32_e32 v1, v3, v177
	v_mul_f32_e32 v3, v7, v12
	s_waitcnt vmcnt(16)
	v_fma_f32 v4, v4, v178, -v11
	v_fmac_f32_e32 v195, v5, v178
	v_add_f32_e32 v2, 0, v2
	v_add_f32_e32 v1, 0, v1
	v_mul_f32_e32 v5, v9, v164
	s_waitcnt vmcnt(15)
	v_fma_f32 v3, v6, v179, -v3
	v_fmac_f32_e32 v196, v7, v179
	v_add_f32_e32 v2, v2, v4
	v_add_f32_e32 v1, v1, v195
	;; [unrolled: 6-line block ×12, first 2 shown]
	s_waitcnt lgkmcnt(0)
	v_mul_f32_e32 v3, v161, v175
	s_waitcnt vmcnt(4)
	v_fma_f32 v4, v158, v190, -v4
	v_mul_f32_e32 v208, v160, v175
	v_add_f32_e32 v2, v2, v5
	v_fmac_f32_e32 v207, v159, v190
	v_add_f32_e32 v1, v1, v206
	v_mul_f32_e32 v5, v163, v176
	s_waitcnt vmcnt(3)
	v_fma_f32 v3, v160, v191, -v3
	v_add_f32_e32 v2, v2, v4
	v_mul_f32_e32 v209, v162, v176
	v_fmac_f32_e32 v208, v161, v191
	v_add_f32_e32 v1, v1, v207
	s_waitcnt vmcnt(2)
	v_fma_f32 v4, v162, v192, -v5
	v_add_f32_e32 v2, v2, v3
	v_fmac_f32_e32 v209, v163, v192
	v_add_f32_e32 v1, v1, v208
	v_add_f32_e32 v2, v2, v4
	;; [unrolled: 1-line block ×3, first 2 shown]
	s_waitcnt vmcnt(1)
	v_sub_f32_e32 v2, v193, v2
	s_waitcnt vmcnt(0)
	v_sub_f32_e32 v1, v194, v1
	buffer_store_dword v2, off, s[0:3], 0 offset:368
	buffer_store_dword v1, off, s[0:3], 0 offset:372
	v_cmpx_lt_u32_e32 45, v0
	s_cbranch_execz .LBB62_301
; %bb.300:
	s_clause 0x1
	buffer_load_dword v1, off, s[0:3], 0 offset:360
	buffer_load_dword v2, off, s[0:3], 0 offset:364
	v_mov_b32_e32 v3, 0
	buffer_store_dword v3, off, s[0:3], 0 offset:360
	buffer_store_dword v3, off, s[0:3], 0 offset:364
	s_waitcnt vmcnt(0)
	ds_write_b64 v139, v[1:2]
.LBB62_301:
	s_or_b32 exec_lo, exec_lo, s4
	s_waitcnt lgkmcnt(0)
	s_waitcnt_vscnt null, 0x0
	s_barrier
	buffer_gl0_inv
	s_clause 0x23
	buffer_load_dword v12, off, s[0:3], 0 offset:372
	buffer_load_dword v164, off, s[0:3], 0 offset:380
	;; [unrolled: 1-line block ×36, first 2 shown]
	v_mov_b32_e32 v1, 0
	ds_read_b128 v[2:5], v1 offset:880
	ds_read_b128 v[6:9], v1 offset:896
	;; [unrolled: 1-line block ×8, first 2 shown]
	ds_read_b64 v[10:11], v1 offset:1008
	s_mov_b32 s4, exec_lo
	s_waitcnt vmcnt(35) lgkmcnt(8)
	v_mul_f32_e32 v199, v2, v12
	v_mul_f32_e32 v12, v3, v12
	s_waitcnt vmcnt(34)
	v_mul_f32_e32 v200, v4, v164
	v_mul_f32_e32 v164, v5, v164
	s_waitcnt vmcnt(33) lgkmcnt(7)
	v_mul_f32_e32 v201, v6, v165
	s_waitcnt vmcnt(32)
	v_mul_f32_e32 v202, v8, v166
	s_waitcnt vmcnt(31) lgkmcnt(6)
	v_mul_f32_e32 v203, v140, v167
	s_waitcnt vmcnt(30)
	;; [unrolled: 4-line block ×7, first 2 shown]
	v_fma_f32 v2, v2, v180, -v12
	v_fmac_f32_e32 v199, v3, v180
	v_mul_f32_e32 v3, v7, v165
	s_waitcnt vmcnt(17)
	v_fma_f32 v4, v4, v181, -v164
	v_fmac_f32_e32 v200, v5, v181
	v_add_f32_e32 v2, 0, v2
	v_add_f32_e32 v5, 0, v199
	v_mul_f32_e32 v12, v9, v166
	s_waitcnt vmcnt(16)
	v_fma_f32 v3, v6, v182, -v3
	v_fmac_f32_e32 v201, v7, v182
	v_add_f32_e32 v2, v2, v4
	v_add_f32_e32 v4, v5, v200
	v_mul_f32_e32 v5, v141, v167
	s_waitcnt vmcnt(15)
	v_fma_f32 v6, v8, v183, -v12
	v_fmac_f32_e32 v202, v9, v183
	v_add_f32_e32 v2, v2, v3
	v_add_f32_e32 v3, v4, v201
	v_mul_f32_e32 v4, v143, v168
	s_waitcnt vmcnt(14)
	v_fma_f32 v5, v140, v184, -v5
	v_fmac_f32_e32 v203, v141, v184
	v_add_f32_e32 v2, v2, v6
	v_add_f32_e32 v3, v3, v202
	v_mul_f32_e32 v6, v145, v169
	s_waitcnt vmcnt(13)
	v_fma_f32 v4, v142, v185, -v4
	v_fmac_f32_e32 v204, v143, v185
	v_add_f32_e32 v2, v2, v5
	v_add_f32_e32 v3, v3, v203
	v_mul_f32_e32 v5, v147, v170
	s_waitcnt vmcnt(12)
	v_fma_f32 v6, v144, v186, -v6
	v_fmac_f32_e32 v205, v145, v186
	v_add_f32_e32 v2, v2, v4
	v_add_f32_e32 v3, v3, v204
	v_mul_f32_e32 v4, v149, v171
	s_waitcnt vmcnt(11)
	v_fma_f32 v5, v146, v187, -v5
	v_fmac_f32_e32 v206, v147, v187
	v_add_f32_e32 v2, v2, v6
	v_add_f32_e32 v3, v3, v205
	v_mul_f32_e32 v6, v151, v172
	s_waitcnt vmcnt(10)
	v_fma_f32 v4, v148, v188, -v4
	v_fmac_f32_e32 v207, v149, v188
	v_add_f32_e32 v2, v2, v5
	v_add_f32_e32 v3, v3, v206
	v_mul_f32_e32 v5, v153, v173
	s_waitcnt vmcnt(9)
	v_fma_f32 v6, v150, v189, -v6
	v_fmac_f32_e32 v208, v151, v189
	v_add_f32_e32 v2, v2, v4
	v_add_f32_e32 v3, v3, v207
	v_mul_f32_e32 v4, v155, v174
	s_waitcnt vmcnt(8)
	v_fma_f32 v5, v152, v190, -v5
	v_fmac_f32_e32 v209, v153, v190
	v_add_f32_e32 v2, v2, v6
	v_add_f32_e32 v3, v3, v208
	v_mul_f32_e32 v6, v157, v175
	s_waitcnt vmcnt(7)
	v_fma_f32 v4, v154, v191, -v4
	v_fmac_f32_e32 v210, v155, v191
	v_add_f32_e32 v2, v2, v5
	v_add_f32_e32 v3, v3, v209
	v_mul_f32_e32 v5, v159, v176
	s_waitcnt vmcnt(6)
	v_fma_f32 v6, v156, v192, -v6
	v_fmac_f32_e32 v211, v157, v192
	v_add_f32_e32 v2, v2, v4
	v_add_f32_e32 v3, v3, v210
	v_mul_f32_e32 v4, v161, v177
	s_waitcnt vmcnt(5)
	v_fma_f32 v5, v158, v193, -v5
	v_fmac_f32_e32 v212, v159, v193
	v_add_f32_e32 v2, v2, v6
	v_add_f32_e32 v3, v3, v211
	v_mul_f32_e32 v6, v163, v178
	s_waitcnt vmcnt(4)
	v_fma_f32 v4, v160, v194, -v4
	v_mul_f32_e32 v214, v162, v178
	v_add_f32_e32 v2, v2, v5
	v_fmac_f32_e32 v213, v161, v194
	v_add_f32_e32 v3, v3, v212
	s_waitcnt lgkmcnt(0)
	v_mul_f32_e32 v5, v11, v179
	s_waitcnt vmcnt(3)
	v_fma_f32 v6, v162, v195, -v6
	v_add_f32_e32 v2, v2, v4
	v_mul_f32_e32 v215, v10, v179
	v_fmac_f32_e32 v214, v163, v195
	v_add_f32_e32 v3, v3, v213
	s_waitcnt vmcnt(2)
	v_fma_f32 v4, v10, v196, -v5
	v_add_f32_e32 v2, v2, v6
	v_fmac_f32_e32 v215, v11, v196
	v_add_f32_e32 v3, v3, v214
	v_add_f32_e32 v2, v2, v4
	;; [unrolled: 1-line block ×3, first 2 shown]
	s_waitcnt vmcnt(1)
	v_sub_f32_e32 v2, v197, v2
	s_waitcnt vmcnt(0)
	v_sub_f32_e32 v3, v198, v3
	buffer_store_dword v2, off, s[0:3], 0 offset:360
	buffer_store_dword v3, off, s[0:3], 0 offset:364
	v_cmpx_lt_u32_e32 44, v0
	s_cbranch_execz .LBB62_303
; %bb.302:
	s_clause 0x1
	buffer_load_dword v2, off, s[0:3], 0 offset:352
	buffer_load_dword v3, off, s[0:3], 0 offset:356
	buffer_store_dword v1, off, s[0:3], 0 offset:352
	buffer_store_dword v1, off, s[0:3], 0 offset:356
	s_waitcnt vmcnt(0)
	ds_write_b64 v139, v[2:3]
.LBB62_303:
	s_or_b32 exec_lo, exec_lo, s4
	s_waitcnt lgkmcnt(0)
	s_waitcnt_vscnt null, 0x0
	s_barrier
	buffer_gl0_inv
	s_clause 0x25
	buffer_load_dword v10, off, s[0:3], 0 offset:364
	buffer_load_dword v11, off, s[0:3], 0 offset:372
	;; [unrolled: 1-line block ×38, first 2 shown]
	ds_read2_b64 v[2:5], v1 offset0:109 offset1:110
	ds_read2_b64 v[6:9], v1 offset0:111 offset1:112
	;; [unrolled: 1-line block ×9, first 2 shown]
	s_mov_b32 s4, exec_lo
	s_waitcnt vmcnt(37) lgkmcnt(8)
	v_mul_f32_e32 v1, v2, v10
	v_mul_f32_e32 v10, v3, v10
	s_waitcnt vmcnt(36)
	v_mul_f32_e32 v203, v4, v11
	v_mul_f32_e32 v11, v5, v11
	s_waitcnt vmcnt(35) lgkmcnt(7)
	v_mul_f32_e32 v204, v6, v12
	s_waitcnt vmcnt(34)
	v_mul_f32_e32 v205, v8, v168
	s_waitcnt vmcnt(33) lgkmcnt(6)
	v_mul_f32_e32 v206, v140, v169
	s_waitcnt vmcnt(32)
	;; [unrolled: 4-line block ×7, first 2 shown]
	v_mul_f32_e32 v217, v162, v180
	s_waitcnt vmcnt(19)
	v_fma_f32 v2, v2, v183, -v10
	v_fmac_f32_e32 v1, v3, v183
	v_mul_f32_e32 v3, v7, v12
	s_waitcnt vmcnt(18)
	v_fma_f32 v4, v4, v184, -v11
	v_fmac_f32_e32 v203, v5, v184
	v_add_f32_e32 v2, 0, v2
	v_add_f32_e32 v1, 0, v1
	v_mul_f32_e32 v5, v9, v168
	s_waitcnt vmcnt(17)
	v_fma_f32 v3, v6, v185, -v3
	v_fmac_f32_e32 v204, v7, v185
	v_add_f32_e32 v2, v2, v4
	v_add_f32_e32 v1, v1, v203
	;; [unrolled: 6-line block ×14, first 2 shown]
	s_waitcnt lgkmcnt(0)
	v_mul_f32_e32 v4, v165, v181
	s_waitcnt vmcnt(4)
	v_fma_f32 v5, v162, v198, -v5
	v_mul_f32_e32 v218, v164, v181
	v_add_f32_e32 v2, v2, v3
	v_fmac_f32_e32 v217, v163, v198
	v_add_f32_e32 v1, v1, v216
	v_mul_f32_e32 v3, v167, v182
	s_waitcnt vmcnt(3)
	v_fma_f32 v4, v164, v199, -v4
	v_add_f32_e32 v2, v2, v5
	v_mul_f32_e32 v219, v166, v182
	v_fmac_f32_e32 v218, v165, v199
	v_add_f32_e32 v1, v1, v217
	s_waitcnt vmcnt(2)
	v_fma_f32 v3, v166, v200, -v3
	v_add_f32_e32 v2, v2, v4
	v_fmac_f32_e32 v219, v167, v200
	v_add_f32_e32 v1, v1, v218
	v_add_f32_e32 v2, v2, v3
	;; [unrolled: 1-line block ×3, first 2 shown]
	s_waitcnt vmcnt(1)
	v_sub_f32_e32 v2, v201, v2
	s_waitcnt vmcnt(0)
	v_sub_f32_e32 v1, v202, v1
	buffer_store_dword v2, off, s[0:3], 0 offset:352
	buffer_store_dword v1, off, s[0:3], 0 offset:356
	v_cmpx_lt_u32_e32 43, v0
	s_cbranch_execz .LBB62_305
; %bb.304:
	s_clause 0x1
	buffer_load_dword v1, off, s[0:3], 0 offset:344
	buffer_load_dword v2, off, s[0:3], 0 offset:348
	v_mov_b32_e32 v3, 0
	buffer_store_dword v3, off, s[0:3], 0 offset:344
	buffer_store_dword v3, off, s[0:3], 0 offset:348
	s_waitcnt vmcnt(0)
	ds_write_b64 v139, v[1:2]
.LBB62_305:
	s_or_b32 exec_lo, exec_lo, s4
	s_waitcnt lgkmcnt(0)
	s_waitcnt_vscnt null, 0x0
	s_barrier
	buffer_gl0_inv
	s_clause 0x27
	buffer_load_dword v12, off, s[0:3], 0 offset:356
	buffer_load_dword v168, off, s[0:3], 0 offset:364
	;; [unrolled: 1-line block ×40, first 2 shown]
	v_mov_b32_e32 v1, 0
	ds_read_b128 v[2:5], v1 offset:864
	ds_read_b128 v[6:9], v1 offset:880
	;; [unrolled: 1-line block ×9, first 2 shown]
	ds_read_b64 v[10:11], v1 offset:1008
	s_mov_b32 s4, exec_lo
	s_waitcnt vmcnt(39) lgkmcnt(9)
	v_mul_f32_e32 v207, v2, v12
	v_mul_f32_e32 v12, v3, v12
	s_waitcnt vmcnt(38)
	v_mul_f32_e32 v208, v4, v168
	v_mul_f32_e32 v168, v5, v168
	s_waitcnt vmcnt(37) lgkmcnt(8)
	v_mul_f32_e32 v209, v6, v169
	s_waitcnt vmcnt(36)
	v_mul_f32_e32 v210, v8, v170
	s_waitcnt vmcnt(35) lgkmcnt(7)
	v_mul_f32_e32 v211, v140, v171
	s_waitcnt vmcnt(34)
	;; [unrolled: 4-line block ×8, first 2 shown]
	v_fma_f32 v2, v2, v186, -v12
	v_fmac_f32_e32 v207, v3, v186
	v_mul_f32_e32 v3, v7, v169
	s_waitcnt vmcnt(19)
	v_fma_f32 v4, v4, v187, -v168
	v_fmac_f32_e32 v208, v5, v187
	v_add_f32_e32 v2, 0, v2
	v_add_f32_e32 v5, 0, v207
	v_mul_f32_e32 v12, v9, v170
	s_waitcnt vmcnt(18)
	v_fma_f32 v3, v6, v188, -v3
	v_fmac_f32_e32 v209, v7, v188
	v_add_f32_e32 v2, v2, v4
	v_add_f32_e32 v4, v5, v208
	;; [unrolled: 6-line block ×15, first 2 shown]
	v_mul_f32_e32 v4, v167, v184
	s_waitcnt vmcnt(4)
	v_fma_f32 v5, v164, v202, -v5
	v_mul_f32_e32 v224, v166, v184
	v_add_f32_e32 v2, v2, v6
	v_fmac_f32_e32 v223, v165, v202
	v_add_f32_e32 v3, v3, v222
	s_waitcnt lgkmcnt(0)
	v_mul_f32_e32 v6, v11, v185
	s_waitcnt vmcnt(3)
	v_fma_f32 v4, v166, v203, -v4
	v_add_f32_e32 v2, v2, v5
	v_mul_f32_e32 v225, v10, v185
	v_fmac_f32_e32 v224, v167, v203
	v_add_f32_e32 v3, v3, v223
	s_waitcnt vmcnt(2)
	v_fma_f32 v5, v10, v204, -v6
	v_add_f32_e32 v2, v2, v4
	v_fmac_f32_e32 v225, v11, v204
	v_add_f32_e32 v3, v3, v224
	v_add_f32_e32 v2, v2, v5
	;; [unrolled: 1-line block ×3, first 2 shown]
	s_waitcnt vmcnt(1)
	v_sub_f32_e32 v2, v205, v2
	s_waitcnt vmcnt(0)
	v_sub_f32_e32 v3, v206, v3
	buffer_store_dword v2, off, s[0:3], 0 offset:344
	buffer_store_dword v3, off, s[0:3], 0 offset:348
	v_cmpx_lt_u32_e32 42, v0
	s_cbranch_execz .LBB62_307
; %bb.306:
	s_clause 0x1
	buffer_load_dword v2, off, s[0:3], 0 offset:336
	buffer_load_dword v3, off, s[0:3], 0 offset:340
	buffer_store_dword v1, off, s[0:3], 0 offset:336
	buffer_store_dword v1, off, s[0:3], 0 offset:340
	s_waitcnt vmcnt(0)
	ds_write_b64 v139, v[2:3]
.LBB62_307:
	s_or_b32 exec_lo, exec_lo, s4
	s_waitcnt lgkmcnt(0)
	s_waitcnt_vscnt null, 0x0
	s_barrier
	buffer_gl0_inv
	s_clause 0x29
	buffer_load_dword v10, off, s[0:3], 0 offset:348
	buffer_load_dword v11, off, s[0:3], 0 offset:356
	;; [unrolled: 1-line block ×42, first 2 shown]
	ds_read2_b64 v[2:5], v1 offset0:107 offset1:108
	ds_read2_b64 v[6:9], v1 offset0:109 offset1:110
	ds_read2_b64 v[140:143], v1 offset0:111 offset1:112
	ds_read2_b64 v[144:147], v1 offset0:113 offset1:114
	ds_read2_b64 v[148:151], v1 offset0:115 offset1:116
	ds_read2_b64 v[152:155], v1 offset0:117 offset1:118
	ds_read2_b64 v[156:159], v1 offset0:119 offset1:120
	ds_read2_b64 v[160:163], v1 offset0:121 offset1:122
	ds_read2_b64 v[164:167], v1 offset0:123 offset1:124
	ds_read2_b64 v[168:171], v1 offset0:125 offset1:126
	s_mov_b32 s4, exec_lo
	s_waitcnt vmcnt(41) lgkmcnt(9)
	v_mul_f32_e32 v1, v2, v10
	v_mul_f32_e32 v10, v3, v10
	s_waitcnt vmcnt(40)
	v_mul_f32_e32 v211, v4, v11
	v_mul_f32_e32 v11, v5, v11
	s_waitcnt vmcnt(39) lgkmcnt(8)
	v_mul_f32_e32 v212, v6, v12
	s_waitcnt vmcnt(38)
	v_mul_f32_e32 v213, v8, v172
	s_waitcnt vmcnt(37) lgkmcnt(7)
	v_mul_f32_e32 v214, v140, v173
	s_waitcnt vmcnt(36)
	;; [unrolled: 4-line block ×8, first 2 shown]
	v_mul_f32_e32 v227, v166, v186
	s_waitcnt vmcnt(21)
	v_fma_f32 v2, v2, v189, -v10
	v_fmac_f32_e32 v1, v3, v189
	v_mul_f32_e32 v3, v7, v12
	s_waitcnt vmcnt(20)
	v_fma_f32 v4, v4, v190, -v11
	v_fmac_f32_e32 v211, v5, v190
	v_add_f32_e32 v2, 0, v2
	v_add_f32_e32 v1, 0, v1
	v_mul_f32_e32 v5, v9, v172
	s_waitcnt vmcnt(19)
	v_fma_f32 v3, v6, v191, -v3
	v_fmac_f32_e32 v212, v7, v191
	v_add_f32_e32 v2, v2, v4
	v_add_f32_e32 v1, v1, v211
	v_mul_f32_e32 v4, v141, v173
	s_waitcnt vmcnt(18)
	v_fma_f32 v5, v8, v192, -v5
	v_fmac_f32_e32 v213, v9, v192
	v_add_f32_e32 v2, v2, v3
	v_add_f32_e32 v1, v1, v212
	v_mul_f32_e32 v3, v143, v174
	s_waitcnt vmcnt(17)
	v_fma_f32 v4, v140, v193, -v4
	v_fmac_f32_e32 v214, v141, v193
	v_add_f32_e32 v2, v2, v5
	v_add_f32_e32 v1, v1, v213
	v_mul_f32_e32 v5, v145, v175
	s_waitcnt vmcnt(16)
	v_fma_f32 v3, v142, v194, -v3
	v_fmac_f32_e32 v215, v143, v194
	v_add_f32_e32 v2, v2, v4
	v_add_f32_e32 v1, v1, v214
	v_mul_f32_e32 v4, v147, v176
	s_waitcnt vmcnt(15)
	v_fma_f32 v5, v144, v195, -v5
	v_fmac_f32_e32 v216, v145, v195
	v_add_f32_e32 v2, v2, v3
	v_add_f32_e32 v1, v1, v215
	v_mul_f32_e32 v3, v149, v177
	s_waitcnt vmcnt(14)
	v_fma_f32 v4, v146, v196, -v4
	v_fmac_f32_e32 v217, v147, v196
	v_add_f32_e32 v2, v2, v5
	v_add_f32_e32 v1, v1, v216
	v_mul_f32_e32 v5, v151, v178
	s_waitcnt vmcnt(13)
	v_fma_f32 v3, v148, v197, -v3
	v_fmac_f32_e32 v218, v149, v197
	v_add_f32_e32 v2, v2, v4
	v_add_f32_e32 v1, v1, v217
	v_mul_f32_e32 v4, v153, v179
	s_waitcnt vmcnt(12)
	v_fma_f32 v5, v150, v198, -v5
	v_fmac_f32_e32 v219, v151, v198
	v_add_f32_e32 v2, v2, v3
	v_add_f32_e32 v1, v1, v218
	v_mul_f32_e32 v3, v155, v180
	s_waitcnt vmcnt(11)
	v_fma_f32 v4, v152, v199, -v4
	v_fmac_f32_e32 v220, v153, v199
	v_add_f32_e32 v2, v2, v5
	v_add_f32_e32 v1, v1, v219
	v_mul_f32_e32 v5, v157, v181
	s_waitcnt vmcnt(10)
	v_fma_f32 v3, v154, v200, -v3
	v_fmac_f32_e32 v221, v155, v200
	v_add_f32_e32 v2, v2, v4
	v_add_f32_e32 v1, v1, v220
	v_mul_f32_e32 v4, v159, v182
	s_waitcnt vmcnt(9)
	v_fma_f32 v5, v156, v201, -v5
	v_fmac_f32_e32 v222, v157, v201
	v_add_f32_e32 v2, v2, v3
	v_add_f32_e32 v1, v1, v221
	v_mul_f32_e32 v3, v161, v183
	s_waitcnt vmcnt(8)
	v_fma_f32 v4, v158, v202, -v4
	v_fmac_f32_e32 v223, v159, v202
	v_add_f32_e32 v2, v2, v5
	v_add_f32_e32 v1, v1, v222
	v_mul_f32_e32 v5, v163, v184
	s_waitcnt vmcnt(7)
	v_fma_f32 v3, v160, v203, -v3
	v_fmac_f32_e32 v224, v161, v203
	v_add_f32_e32 v2, v2, v4
	v_add_f32_e32 v1, v1, v223
	v_mul_f32_e32 v4, v165, v185
	s_waitcnt vmcnt(6)
	v_fma_f32 v5, v162, v204, -v5
	v_fmac_f32_e32 v225, v163, v204
	v_add_f32_e32 v2, v2, v3
	v_add_f32_e32 v1, v1, v224
	v_mul_f32_e32 v3, v167, v186
	s_waitcnt vmcnt(5)
	v_fma_f32 v4, v164, v205, -v4
	v_fmac_f32_e32 v226, v165, v205
	v_add_f32_e32 v2, v2, v5
	v_add_f32_e32 v1, v1, v225
	s_waitcnt lgkmcnt(0)
	v_mul_f32_e32 v5, v169, v187
	s_waitcnt vmcnt(4)
	v_fma_f32 v3, v166, v206, -v3
	v_mul_f32_e32 v228, v168, v187
	v_add_f32_e32 v2, v2, v4
	v_fmac_f32_e32 v227, v167, v206
	v_add_f32_e32 v1, v1, v226
	v_mul_f32_e32 v4, v171, v188
	s_waitcnt vmcnt(3)
	v_fma_f32 v5, v168, v207, -v5
	v_add_f32_e32 v2, v2, v3
	v_mul_f32_e32 v229, v170, v188
	v_fmac_f32_e32 v228, v169, v207
	v_add_f32_e32 v1, v1, v227
	s_waitcnt vmcnt(2)
	v_fma_f32 v3, v170, v208, -v4
	v_add_f32_e32 v2, v2, v5
	v_fmac_f32_e32 v229, v171, v208
	v_add_f32_e32 v1, v1, v228
	v_add_f32_e32 v2, v2, v3
	;; [unrolled: 1-line block ×3, first 2 shown]
	s_waitcnt vmcnt(1)
	v_sub_f32_e32 v2, v209, v2
	s_waitcnt vmcnt(0)
	v_sub_f32_e32 v1, v210, v1
	buffer_store_dword v2, off, s[0:3], 0 offset:336
	buffer_store_dword v1, off, s[0:3], 0 offset:340
	v_cmpx_lt_u32_e32 41, v0
	s_cbranch_execz .LBB62_309
; %bb.308:
	s_clause 0x1
	buffer_load_dword v1, off, s[0:3], 0 offset:328
	buffer_load_dword v2, off, s[0:3], 0 offset:332
	v_mov_b32_e32 v3, 0
	buffer_store_dword v3, off, s[0:3], 0 offset:328
	buffer_store_dword v3, off, s[0:3], 0 offset:332
	s_waitcnt vmcnt(0)
	ds_write_b64 v139, v[1:2]
.LBB62_309:
	s_or_b32 exec_lo, exec_lo, s4
	s_waitcnt lgkmcnt(0)
	s_waitcnt_vscnt null, 0x0
	s_barrier
	buffer_gl0_inv
	s_clause 0x2b
	buffer_load_dword v12, off, s[0:3], 0 offset:340
	buffer_load_dword v172, off, s[0:3], 0 offset:348
	buffer_load_dword v173, off, s[0:3], 0 offset:356
	buffer_load_dword v174, off, s[0:3], 0 offset:364
	buffer_load_dword v175, off, s[0:3], 0 offset:372
	buffer_load_dword v176, off, s[0:3], 0 offset:380
	buffer_load_dword v177, off, s[0:3], 0 offset:388
	buffer_load_dword v178, off, s[0:3], 0 offset:396
	buffer_load_dword v179, off, s[0:3], 0 offset:404
	buffer_load_dword v180, off, s[0:3], 0 offset:412
	buffer_load_dword v181, off, s[0:3], 0 offset:420
	buffer_load_dword v182, off, s[0:3], 0 offset:428
	buffer_load_dword v183, off, s[0:3], 0 offset:436
	buffer_load_dword v184, off, s[0:3], 0 offset:444
	buffer_load_dword v185, off, s[0:3], 0 offset:452
	buffer_load_dword v186, off, s[0:3], 0 offset:460
	buffer_load_dword v187, off, s[0:3], 0 offset:468
	buffer_load_dword v188, off, s[0:3], 0 offset:476
	buffer_load_dword v189, off, s[0:3], 0 offset:484
	buffer_load_dword v190, off, s[0:3], 0 offset:492
	buffer_load_dword v191, off, s[0:3], 0 offset:500
	buffer_load_dword v192, off, s[0:3], 0 offset:336
	buffer_load_dword v193, off, s[0:3], 0 offset:344
	buffer_load_dword v194, off, s[0:3], 0 offset:352
	buffer_load_dword v195, off, s[0:3], 0 offset:360
	buffer_load_dword v196, off, s[0:3], 0 offset:368
	buffer_load_dword v197, off, s[0:3], 0 offset:376
	buffer_load_dword v198, off, s[0:3], 0 offset:384
	buffer_load_dword v199, off, s[0:3], 0 offset:392
	buffer_load_dword v200, off, s[0:3], 0 offset:400
	buffer_load_dword v201, off, s[0:3], 0 offset:408
	buffer_load_dword v202, off, s[0:3], 0 offset:416
	buffer_load_dword v203, off, s[0:3], 0 offset:424
	buffer_load_dword v204, off, s[0:3], 0 offset:432
	buffer_load_dword v205, off, s[0:3], 0 offset:440
	buffer_load_dword v206, off, s[0:3], 0 offset:448
	buffer_load_dword v207, off, s[0:3], 0 offset:456
	buffer_load_dword v208, off, s[0:3], 0 offset:464
	buffer_load_dword v209, off, s[0:3], 0 offset:472
	buffer_load_dword v210, off, s[0:3], 0 offset:480
	buffer_load_dword v211, off, s[0:3], 0 offset:488
	buffer_load_dword v212, off, s[0:3], 0 offset:496
	buffer_load_dword v213, off, s[0:3], 0 offset:328
	buffer_load_dword v214, off, s[0:3], 0 offset:332
	v_mov_b32_e32 v1, 0
	ds_read_b128 v[2:5], v1 offset:848
	ds_read_b128 v[6:9], v1 offset:864
	;; [unrolled: 1-line block ×10, first 2 shown]
	ds_read_b64 v[10:11], v1 offset:1008
	s_mov_b32 s4, exec_lo
	s_waitcnt vmcnt(43) lgkmcnt(10)
	v_mul_f32_e32 v215, v2, v12
	v_mul_f32_e32 v12, v3, v12
	s_waitcnt vmcnt(42)
	v_mul_f32_e32 v216, v4, v172
	v_mul_f32_e32 v172, v5, v172
	s_waitcnt vmcnt(41) lgkmcnt(9)
	v_mul_f32_e32 v217, v6, v173
	s_waitcnt vmcnt(40)
	v_mul_f32_e32 v218, v8, v174
	s_waitcnt vmcnt(39) lgkmcnt(8)
	v_mul_f32_e32 v219, v140, v175
	s_waitcnt vmcnt(38)
	;; [unrolled: 4-line block ×9, first 2 shown]
	v_fma_f32 v2, v2, v192, -v12
	v_fmac_f32_e32 v215, v3, v192
	v_mul_f32_e32 v3, v7, v173
	s_waitcnt vmcnt(21)
	v_fma_f32 v4, v4, v193, -v172
	v_fmac_f32_e32 v216, v5, v193
	v_add_f32_e32 v2, 0, v2
	v_add_f32_e32 v5, 0, v215
	v_mul_f32_e32 v12, v9, v174
	s_waitcnt vmcnt(20)
	v_fma_f32 v3, v6, v194, -v3
	v_fmac_f32_e32 v217, v7, v194
	v_add_f32_e32 v2, v2, v4
	v_add_f32_e32 v4, v5, v216
	;; [unrolled: 6-line block ×17, first 2 shown]
	v_mul_f32_e32 v5, v171, v190
	s_waitcnt vmcnt(4)
	v_fma_f32 v6, v168, v210, -v6
	v_mul_f32_e32 v234, v170, v190
	v_add_f32_e32 v2, v2, v4
	v_fmac_f32_e32 v233, v169, v210
	v_add_f32_e32 v3, v3, v232
	s_waitcnt lgkmcnt(0)
	v_mul_f32_e32 v4, v11, v191
	s_waitcnt vmcnt(3)
	v_fma_f32 v5, v170, v211, -v5
	v_add_f32_e32 v2, v2, v6
	v_mul_f32_e32 v235, v10, v191
	v_fmac_f32_e32 v234, v171, v211
	v_add_f32_e32 v3, v3, v233
	s_waitcnt vmcnt(2)
	v_fma_f32 v4, v10, v212, -v4
	v_add_f32_e32 v2, v2, v5
	v_fmac_f32_e32 v235, v11, v212
	v_add_f32_e32 v3, v3, v234
	v_add_f32_e32 v2, v2, v4
	;; [unrolled: 1-line block ×3, first 2 shown]
	s_waitcnt vmcnt(1)
	v_sub_f32_e32 v2, v213, v2
	s_waitcnt vmcnt(0)
	v_sub_f32_e32 v3, v214, v3
	buffer_store_dword v2, off, s[0:3], 0 offset:328
	buffer_store_dword v3, off, s[0:3], 0 offset:332
	v_cmpx_lt_u32_e32 40, v0
	s_cbranch_execz .LBB62_311
; %bb.310:
	s_clause 0x1
	buffer_load_dword v2, off, s[0:3], 0 offset:320
	buffer_load_dword v3, off, s[0:3], 0 offset:324
	buffer_store_dword v1, off, s[0:3], 0 offset:320
	buffer_store_dword v1, off, s[0:3], 0 offset:324
	s_waitcnt vmcnt(0)
	ds_write_b64 v139, v[2:3]
.LBB62_311:
	s_or_b32 exec_lo, exec_lo, s4
	s_waitcnt lgkmcnt(0)
	s_waitcnt_vscnt null, 0x0
	s_barrier
	buffer_gl0_inv
	s_clause 0x2d
	buffer_load_dword v10, off, s[0:3], 0 offset:332
	buffer_load_dword v11, off, s[0:3], 0 offset:340
	;; [unrolled: 1-line block ×46, first 2 shown]
	ds_read2_b64 v[2:5], v1 offset0:105 offset1:106
	ds_read2_b64 v[6:9], v1 offset0:107 offset1:108
	;; [unrolled: 1-line block ×11, first 2 shown]
	s_mov_b32 s4, exec_lo
	s_waitcnt vmcnt(45) lgkmcnt(10)
	v_mul_f32_e32 v1, v2, v10
	v_mul_f32_e32 v10, v3, v10
	s_waitcnt vmcnt(44)
	v_mul_f32_e32 v219, v4, v11
	v_mul_f32_e32 v11, v5, v11
	s_waitcnt vmcnt(43) lgkmcnt(9)
	v_mul_f32_e32 v220, v6, v12
	s_waitcnt vmcnt(42)
	v_mul_f32_e32 v221, v8, v176
	s_waitcnt vmcnt(41) lgkmcnt(8)
	v_mul_f32_e32 v222, v140, v177
	s_waitcnt vmcnt(40)
	;; [unrolled: 4-line block ×9, first 2 shown]
	v_mul_f32_e32 v237, v170, v192
	s_waitcnt vmcnt(23)
	v_fma_f32 v2, v2, v195, -v10
	v_fmac_f32_e32 v1, v3, v195
	v_mul_f32_e32 v3, v7, v12
	s_waitcnt vmcnt(22)
	v_fma_f32 v4, v4, v196, -v11
	v_fmac_f32_e32 v219, v5, v196
	v_add_f32_e32 v2, 0, v2
	v_add_f32_e32 v1, 0, v1
	v_mul_f32_e32 v5, v9, v176
	s_waitcnt vmcnt(21)
	v_fma_f32 v3, v6, v197, -v3
	v_fmac_f32_e32 v220, v7, v197
	v_add_f32_e32 v2, v2, v4
	v_add_f32_e32 v1, v1, v219
	;; [unrolled: 6-line block ×18, first 2 shown]
	s_waitcnt lgkmcnt(0)
	v_mul_f32_e32 v3, v173, v193
	s_waitcnt vmcnt(4)
	v_fma_f32 v4, v170, v214, -v4
	v_mul_f32_e32 v238, v172, v193
	v_add_f32_e32 v2, v2, v5
	v_fmac_f32_e32 v237, v171, v214
	v_add_f32_e32 v1, v1, v236
	v_mul_f32_e32 v5, v175, v194
	s_waitcnt vmcnt(3)
	v_fma_f32 v3, v172, v215, -v3
	v_add_f32_e32 v2, v2, v4
	v_mul_f32_e32 v239, v174, v194
	v_fmac_f32_e32 v238, v173, v215
	v_add_f32_e32 v1, v1, v237
	s_waitcnt vmcnt(2)
	v_fma_f32 v4, v174, v216, -v5
	v_add_f32_e32 v2, v2, v3
	v_fmac_f32_e32 v239, v175, v216
	v_add_f32_e32 v1, v1, v238
	v_add_f32_e32 v2, v2, v4
	;; [unrolled: 1-line block ×3, first 2 shown]
	s_waitcnt vmcnt(1)
	v_sub_f32_e32 v2, v217, v2
	s_waitcnt vmcnt(0)
	v_sub_f32_e32 v1, v218, v1
	buffer_store_dword v2, off, s[0:3], 0 offset:320
	buffer_store_dword v1, off, s[0:3], 0 offset:324
	v_cmpx_lt_u32_e32 39, v0
	s_cbranch_execz .LBB62_313
; %bb.312:
	s_clause 0x1
	buffer_load_dword v1, off, s[0:3], 0 offset:312
	buffer_load_dword v2, off, s[0:3], 0 offset:316
	v_mov_b32_e32 v3, 0
	buffer_store_dword v3, off, s[0:3], 0 offset:312
	buffer_store_dword v3, off, s[0:3], 0 offset:316
	s_waitcnt vmcnt(0)
	ds_write_b64 v139, v[1:2]
.LBB62_313:
	s_or_b32 exec_lo, exec_lo, s4
	s_waitcnt lgkmcnt(0)
	s_waitcnt_vscnt null, 0x0
	s_barrier
	buffer_gl0_inv
	s_clause 0x2f
	buffer_load_dword v12, off, s[0:3], 0 offset:324
	buffer_load_dword v176, off, s[0:3], 0 offset:332
	;; [unrolled: 1-line block ×48, first 2 shown]
	v_mov_b32_e32 v1, 0
	ds_read_b128 v[2:5], v1 offset:832
	ds_read_b128 v[6:9], v1 offset:848
	;; [unrolled: 1-line block ×11, first 2 shown]
	ds_read_b64 v[10:11], v1 offset:1008
	s_mov_b32 s4, exec_lo
	s_waitcnt vmcnt(47) lgkmcnt(11)
	v_mul_f32_e32 v223, v2, v12
	v_mul_f32_e32 v12, v3, v12
	s_waitcnt vmcnt(46)
	v_mul_f32_e32 v224, v4, v176
	v_mul_f32_e32 v176, v5, v176
	s_waitcnt vmcnt(45) lgkmcnt(10)
	v_mul_f32_e32 v225, v6, v177
	s_waitcnt vmcnt(44)
	v_mul_f32_e32 v226, v8, v178
	s_waitcnt vmcnt(43) lgkmcnt(9)
	v_mul_f32_e32 v227, v140, v179
	s_waitcnt vmcnt(42)
	;; [unrolled: 4-line block ×10, first 2 shown]
	v_fma_f32 v2, v2, v198, -v12
	v_fmac_f32_e32 v223, v3, v198
	v_mul_f32_e32 v3, v7, v177
	s_waitcnt vmcnt(23)
	v_fma_f32 v4, v4, v199, -v176
	v_fmac_f32_e32 v224, v5, v199
	v_add_f32_e32 v2, 0, v2
	v_add_f32_e32 v5, 0, v223
	v_mul_f32_e32 v12, v9, v178
	s_waitcnt vmcnt(22)
	v_fma_f32 v3, v6, v200, -v3
	v_fmac_f32_e32 v225, v7, v200
	v_add_f32_e32 v2, v2, v4
	v_add_f32_e32 v4, v5, v224
	;; [unrolled: 6-line block ×19, first 2 shown]
	v_mul_f32_e32 v6, v175, v196
	s_waitcnt vmcnt(4)
	v_fma_f32 v4, v172, v218, -v4
	v_mul_f32_e32 v244, v174, v196
	v_add_f32_e32 v2, v2, v5
	v_fmac_f32_e32 v243, v173, v218
	v_add_f32_e32 v3, v3, v242
	s_waitcnt lgkmcnt(0)
	v_mul_f32_e32 v5, v11, v197
	s_waitcnt vmcnt(3)
	v_fma_f32 v6, v174, v219, -v6
	v_add_f32_e32 v2, v2, v4
	v_mul_f32_e32 v245, v10, v197
	v_fmac_f32_e32 v244, v175, v219
	v_add_f32_e32 v3, v3, v243
	s_waitcnt vmcnt(2)
	v_fma_f32 v4, v10, v220, -v5
	v_add_f32_e32 v2, v2, v6
	v_fmac_f32_e32 v245, v11, v220
	v_add_f32_e32 v3, v3, v244
	v_add_f32_e32 v2, v2, v4
	;; [unrolled: 1-line block ×3, first 2 shown]
	s_waitcnt vmcnt(1)
	v_sub_f32_e32 v2, v221, v2
	s_waitcnt vmcnt(0)
	v_sub_f32_e32 v3, v222, v3
	buffer_store_dword v2, off, s[0:3], 0 offset:312
	buffer_store_dword v3, off, s[0:3], 0 offset:316
	v_cmpx_lt_u32_e32 38, v0
	s_cbranch_execz .LBB62_315
; %bb.314:
	s_clause 0x1
	buffer_load_dword v2, off, s[0:3], 0 offset:304
	buffer_load_dword v3, off, s[0:3], 0 offset:308
	buffer_store_dword v1, off, s[0:3], 0 offset:304
	buffer_store_dword v1, off, s[0:3], 0 offset:308
	s_waitcnt vmcnt(0)
	ds_write_b64 v139, v[2:3]
.LBB62_315:
	s_or_b32 exec_lo, exec_lo, s4
	s_waitcnt lgkmcnt(0)
	s_waitcnt_vscnt null, 0x0
	s_barrier
	buffer_gl0_inv
	s_clause 0x31
	buffer_load_dword v10, off, s[0:3], 0 offset:316
	buffer_load_dword v11, off, s[0:3], 0 offset:324
	;; [unrolled: 1-line block ×50, first 2 shown]
	ds_read2_b64 v[2:5], v1 offset0:103 offset1:104
	ds_read2_b64 v[6:9], v1 offset0:105 offset1:106
	;; [unrolled: 1-line block ×12, first 2 shown]
	s_mov_b32 s4, exec_lo
	s_waitcnt vmcnt(49) lgkmcnt(11)
	v_mul_f32_e32 v1, v2, v10
	v_mul_f32_e32 v10, v3, v10
	s_waitcnt vmcnt(48)
	v_mul_f32_e32 v227, v4, v11
	v_mul_f32_e32 v11, v5, v11
	s_waitcnt vmcnt(47) lgkmcnt(10)
	v_mul_f32_e32 v228, v6, v12
	s_waitcnt vmcnt(46)
	v_mul_f32_e32 v229, v8, v180
	s_waitcnt vmcnt(45) lgkmcnt(9)
	v_mul_f32_e32 v230, v140, v181
	s_waitcnt vmcnt(44)
	;; [unrolled: 4-line block ×10, first 2 shown]
	v_mul_f32_e32 v247, v174, v198
	s_waitcnt vmcnt(25)
	v_fma_f32 v2, v2, v201, -v10
	v_fmac_f32_e32 v1, v3, v201
	v_mul_f32_e32 v3, v7, v12
	s_waitcnt vmcnt(24)
	v_fma_f32 v4, v4, v202, -v11
	v_fmac_f32_e32 v227, v5, v202
	v_add_f32_e32 v2, 0, v2
	v_add_f32_e32 v1, 0, v1
	v_mul_f32_e32 v5, v9, v180
	s_waitcnt vmcnt(23)
	v_fma_f32 v3, v6, v203, -v3
	v_fmac_f32_e32 v228, v7, v203
	v_add_f32_e32 v2, v2, v4
	v_add_f32_e32 v1, v1, v227
	;; [unrolled: 6-line block ×20, first 2 shown]
	s_waitcnt lgkmcnt(0)
	v_mul_f32_e32 v4, v177, v199
	s_waitcnt vmcnt(4)
	v_fma_f32 v5, v174, v222, -v5
	v_mul_f32_e32 v248, v176, v199
	v_add_f32_e32 v2, v2, v3
	v_fmac_f32_e32 v247, v175, v222
	v_add_f32_e32 v1, v1, v246
	v_mul_f32_e32 v3, v179, v200
	s_waitcnt vmcnt(3)
	v_fma_f32 v4, v176, v223, -v4
	v_add_f32_e32 v2, v2, v5
	v_mul_f32_e32 v249, v178, v200
	v_fmac_f32_e32 v248, v177, v223
	v_add_f32_e32 v1, v1, v247
	s_waitcnt vmcnt(2)
	v_fma_f32 v3, v178, v224, -v3
	v_add_f32_e32 v2, v2, v4
	v_fmac_f32_e32 v249, v179, v224
	v_add_f32_e32 v1, v1, v248
	v_add_f32_e32 v2, v2, v3
	;; [unrolled: 1-line block ×3, first 2 shown]
	s_waitcnt vmcnt(1)
	v_sub_f32_e32 v2, v225, v2
	s_waitcnt vmcnt(0)
	v_sub_f32_e32 v1, v226, v1
	buffer_store_dword v2, off, s[0:3], 0 offset:304
	buffer_store_dword v1, off, s[0:3], 0 offset:308
	v_cmpx_lt_u32_e32 37, v0
	s_cbranch_execz .LBB62_317
; %bb.316:
	s_clause 0x1
	buffer_load_dword v1, off, s[0:3], 0 offset:296
	buffer_load_dword v2, off, s[0:3], 0 offset:300
	v_mov_b32_e32 v3, 0
	buffer_store_dword v3, off, s[0:3], 0 offset:296
	buffer_store_dword v3, off, s[0:3], 0 offset:300
	s_waitcnt vmcnt(0)
	ds_write_b64 v139, v[1:2]
.LBB62_317:
	s_or_b32 exec_lo, exec_lo, s4
	s_waitcnt lgkmcnt(0)
	s_waitcnt_vscnt null, 0x0
	s_barrier
	buffer_gl0_inv
	s_clause 0x33
	buffer_load_dword v10, off, s[0:3], 0 offset:308
	buffer_load_dword v11, off, s[0:3], 0 offset:316
	;; [unrolled: 1-line block ×52, first 2 shown]
	v_mov_b32_e32 v1, 0
	ds_read_b128 v[2:5], v1 offset:816
	ds_read_b128 v[6:9], v1 offset:832
	;; [unrolled: 1-line block ×4, first 2 shown]
	s_mov_b32 s4, exec_lo
	s_waitcnt vmcnt(51) lgkmcnt(3)
	v_mul_f32_e32 v197, v2, v10
	s_waitcnt vmcnt(50)
	v_mul_f32_e32 v198, v4, v11
	v_mul_f32_e32 v10, v3, v10
	;; [unrolled: 1-line block ×3, first 2 shown]
	s_waitcnt vmcnt(49) lgkmcnt(2)
	v_mul_f32_e32 v199, v6, v12
	s_waitcnt vmcnt(48)
	v_mul_f32_e32 v200, v8, v148
	v_mul_f32_e32 v12, v7, v12
	;; [unrolled: 1-line block ×3, first 2 shown]
	s_waitcnt vmcnt(43)
	v_fmac_f32_e32 v197, v3, v153
	v_fmac_f32_e32 v198, v5, v152
	v_fma_f32 v10, v2, v153, -v10
	v_fma_f32 v11, v4, v152, -v11
	v_fmac_f32_e32 v199, v7, v151
	s_waitcnt vmcnt(39)
	v_fmac_f32_e32 v200, v9, v157
	v_fma_f32 v12, v6, v151, -v12
	v_fma_f32 v157, v8, v157, -v148
	ds_read_b128 v[2:5], v1 offset:880
	ds_read_b128 v[6:9], v1 offset:896
	s_waitcnt lgkmcnt(3)
	v_mul_f32_e32 v202, v142, v150
	v_mul_f32_e32 v150, v143, v150
	v_add_f32_e32 v10, 0, v10
	s_waitcnt vmcnt(38) lgkmcnt(2)
	v_mul_f32_e32 v204, v144, v158
	v_mul_f32_e32 v152, v145, v158
	v_fmac_f32_e32 v202, v143, v155
	v_fma_f32 v203, v142, v155, -v150
	v_add_f32_e32 v155, 0, v197
	v_add_f32_e32 v10, v10, v11
	v_mul_f32_e32 v201, v140, v149
	v_mul_f32_e32 v149, v141, v149
	s_waitcnt vmcnt(37)
	v_mul_f32_e32 v205, v146, v159
	v_add_f32_e32 v158, v155, v198
	v_add_f32_e32 v10, v10, v12
	v_fmac_f32_e32 v201, v141, v156
	v_fma_f32 v156, v140, v156, -v149
	v_mul_f32_e32 v153, v147, v159
	v_add_f32_e32 v11, v158, v199
	s_waitcnt vmcnt(32) lgkmcnt(1)
	v_mul_f32_e32 v198, v2, v164
	v_add_f32_e32 v10, v10, v157
	v_mul_f32_e32 v158, v3, v164
	s_waitcnt vmcnt(31)
	v_mul_f32_e32 v12, v4, v165
	v_mul_f32_e32 v159, v5, v165
	v_fmac_f32_e32 v198, v3, v162
	v_add_f32_e32 v3, v11, v200
	v_add_f32_e32 v165, v10, v156
	v_fma_f32 v197, v144, v154, -v152
	v_fmac_f32_e32 v204, v145, v154
	v_fmac_f32_e32 v205, v147, v163
	v_add_f32_e32 v164, v3, v201
	v_add_f32_e32 v165, v165, v203
	v_fma_f32 v163, v146, v163, -v153
	ds_read_b128 v[140:143], v1 offset:912
	ds_read_b128 v[148:151], v1 offset:928
	s_waitcnt vmcnt(30) lgkmcnt(2)
	v_mul_f32_e32 v199, v6, v166
	v_add_f32_e32 v164, v164, v202
	v_add_f32_e32 v165, v165, v197
	v_mul_f32_e32 v166, v7, v166
	v_fma_f32 v162, v2, v162, -v158
	v_fmac_f32_e32 v199, v7, v160
	v_add_f32_e32 v164, v164, v204
	v_add_f32_e32 v163, v165, v163
	v_fma_f32 v6, v6, v160, -v166
	v_fmac_f32_e32 v12, v5, v161
	v_fma_f32 v161, v4, v161, -v159
	v_add_f32_e32 v160, v164, v205
	v_add_f32_e32 v162, v163, v162
	s_waitcnt vmcnt(29)
	v_mul_f32_e32 v200, v8, v167
	v_mul_f32_e32 v167, v9, v167
	ds_read_b128 v[144:147], v1 offset:944
	ds_read_b128 v[152:155], v1 offset:960
	v_add_f32_e32 v160, v160, v198
	v_add_f32_e32 v161, v162, v161
	s_waitcnt vmcnt(28) lgkmcnt(3)
	v_mul_f32_e32 v166, v141, v168
	s_waitcnt vmcnt(20)
	v_fma_f32 v8, v8, v176, -v167
	v_mul_f32_e32 v201, v140, v168
	v_add_f32_e32 v12, v160, v12
	v_add_f32_e32 v6, v161, v6
	v_fmac_f32_e32 v200, v9, v176
	v_mul_f32_e32 v160, v143, v169
	v_fma_f32 v140, v140, v175, -v166
	v_add_f32_e32 v12, v12, v199
	v_add_f32_e32 v6, v6, v8
	v_mul_f32_e32 v197, v142, v169
	v_fmac_f32_e32 v201, v141, v175
	v_fma_f32 v141, v142, v174, -v160
	v_add_f32_e32 v8, v12, v200
	s_waitcnt lgkmcnt(2)
	v_mul_f32_e32 v12, v149, v170
	v_add_f32_e32 v6, v6, v140
	v_mul_f32_e32 v7, v148, v170
	v_fmac_f32_e32 v197, v143, v174
	v_add_f32_e32 v8, v8, v201
	v_mul_f32_e32 v140, v151, v171
	v_fma_f32 v12, v148, v173, -v12
	v_add_f32_e32 v6, v6, v141
	v_mul_f32_e32 v164, v150, v171
	v_fmac_f32_e32 v7, v149, v173
	v_add_f32_e32 v8, v8, v197
	s_waitcnt lgkmcnt(1)
	v_mul_f32_e32 v141, v145, v172
	s_waitcnt vmcnt(8)
	v_fma_f32 v140, v150, v188, -v140
	v_add_f32_e32 v6, v6, v12
	v_mul_f32_e32 v165, v144, v172
	v_fmac_f32_e32 v164, v151, v188
	v_add_f32_e32 v7, v8, v7
	ds_read_b128 v[2:5], v1 offset:976
	ds_read_b128 v[156:159], v1 offset:992
	ds_read_b64 v[10:11], v1 offset:1008
	v_mul_f32_e32 v8, v147, v177
	v_fma_f32 v12, v144, v187, -v141
	v_add_f32_e32 v6, v6, v140
	v_mul_f32_e32 v9, v146, v177
	v_fmac_f32_e32 v165, v145, v187
	v_add_f32_e32 v7, v7, v164
	s_waitcnt lgkmcnt(3)
	v_mul_f32_e32 v140, v153, v178
	v_fma_f32 v8, v146, v186, -v8
	v_add_f32_e32 v6, v6, v12
	v_mul_f32_e32 v167, v152, v178
	v_fmac_f32_e32 v9, v147, v186
	v_add_f32_e32 v7, v7, v165
	v_mul_f32_e32 v12, v155, v179
	v_fma_f32 v140, v152, v185, -v140
	v_add_f32_e32 v6, v6, v8
	v_mul_f32_e32 v163, v154, v179
	v_fmac_f32_e32 v167, v153, v185
	v_add_f32_e32 v7, v7, v9
	s_waitcnt lgkmcnt(2)
	v_mul_f32_e32 v168, v2, v180
	v_mul_f32_e32 v8, v3, v180
	s_waitcnt vmcnt(4)
	v_fma_f32 v9, v154, v192, -v12
	v_add_f32_e32 v6, v6, v140
	v_fmac_f32_e32 v163, v155, v192
	v_add_f32_e32 v7, v7, v167
	v_mul_f32_e32 v12, v5, v181
	v_fmac_f32_e32 v168, v3, v191
	v_fma_f32 v2, v2, v191, -v8
	v_add_f32_e32 v3, v6, v9
	v_mul_f32_e32 v176, v4, v181
	v_add_f32_e32 v6, v7, v163
	s_waitcnt lgkmcnt(1)
	v_mul_f32_e32 v7, v157, v182
	v_fma_f32 v4, v4, v190, -v12
	v_add_f32_e32 v2, v3, v2
	v_mul_f32_e32 v162, v156, v182
	v_fmac_f32_e32 v176, v5, v190
	v_add_f32_e32 v3, v6, v168
	v_mul_f32_e32 v5, v159, v183
	v_fma_f32 v6, v156, v189, -v7
	v_add_f32_e32 v2, v2, v4
	v_mul_f32_e32 v169, v158, v183
	v_fmac_f32_e32 v162, v157, v189
	v_add_f32_e32 v3, v3, v176
	s_waitcnt lgkmcnt(0)
	v_mul_f32_e32 v4, v11, v184
	s_waitcnt vmcnt(2)
	v_fma_f32 v5, v158, v194, -v5
	v_add_f32_e32 v2, v2, v6
	v_mul_f32_e32 v161, v10, v184
	v_fmac_f32_e32 v169, v159, v194
	v_add_f32_e32 v3, v3, v162
	v_fma_f32 v4, v10, v193, -v4
	v_add_f32_e32 v2, v2, v5
	v_fmac_f32_e32 v161, v11, v193
	v_add_f32_e32 v3, v3, v169
	v_add_f32_e32 v2, v2, v4
	;; [unrolled: 1-line block ×3, first 2 shown]
	s_waitcnt vmcnt(1)
	v_sub_f32_e32 v2, v195, v2
	s_waitcnt vmcnt(0)
	v_sub_f32_e32 v3, v196, v3
	buffer_store_dword v2, off, s[0:3], 0 offset:296
	buffer_store_dword v3, off, s[0:3], 0 offset:300
	v_cmpx_lt_u32_e32 36, v0
	s_cbranch_execz .LBB62_319
; %bb.318:
	s_clause 0x1
	buffer_load_dword v2, off, s[0:3], 0 offset:288
	buffer_load_dword v3, off, s[0:3], 0 offset:292
	buffer_store_dword v1, off, s[0:3], 0 offset:288
	buffer_store_dword v1, off, s[0:3], 0 offset:292
	s_waitcnt vmcnt(0)
	ds_write_b64 v139, v[2:3]
.LBB62_319:
	s_or_b32 exec_lo, exec_lo, s4
	s_waitcnt lgkmcnt(0)
	s_waitcnt_vscnt null, 0x0
	s_barrier
	buffer_gl0_inv
	s_clause 0x35
	buffer_load_dword v12, off, s[0:3], 0 offset:300
	buffer_load_dword v144, off, s[0:3], 0 offset:308
	;; [unrolled: 1-line block ×54, first 2 shown]
	ds_read2_b64 v[4:7], v1 offset0:101 offset1:102
	ds_read2_b64 v[8:11], v1 offset0:103 offset1:104
	;; [unrolled: 1-line block ×3, first 2 shown]
	s_mov_b32 s4, exec_lo
	s_waitcnt vmcnt(53) lgkmcnt(2)
	v_mul_f32_e32 v198, v4, v12
	s_waitcnt vmcnt(52)
	v_mul_f32_e32 v199, v6, v144
	v_mul_f32_e32 v200, v7, v144
	ds_read2_b64 v[144:147], v1 offset0:107 offset1:108
	v_mul_f32_e32 v12, v5, v12
	s_waitcnt vmcnt(49)
	v_fmac_f32_e32 v198, v5, v150
	v_fmac_f32_e32 v199, v7, v149
	v_fma_f32 v149, v6, v149, -v200
	s_waitcnt vmcnt(48) lgkmcnt(2)
	v_mul_f32_e32 v200, v8, v151
	v_fma_f32 v12, v4, v150, -v12
	v_mul_f32_e32 v150, v9, v151
	s_waitcnt vmcnt(47)
	v_mul_f32_e32 v201, v10, v152
	v_mul_f32_e32 v151, v11, v152
	v_fmac_f32_e32 v200, v9, v148
	s_waitcnt vmcnt(42) lgkmcnt(1)
	v_mul_f32_e32 v202, v140, v155
	v_fma_f32 v152, v8, v148, -v150
	v_mul_f32_e32 v148, v141, v155
	ds_read2_b64 v[4:7], v1 offset0:109 offset1:110
	v_fmac_f32_e32 v201, v11, v154
	v_fma_f32 v154, v10, v154, -v151
	v_add_f32_e32 v12, 0, v12
	ds_read2_b64 v[8:11], v1 offset0:111 offset1:112
	s_waitcnt vmcnt(41)
	v_mul_f32_e32 v203, v142, v156
	s_waitcnt vmcnt(40) lgkmcnt(2)
	v_mul_f32_e32 v204, v144, v157
	v_mul_f32_e32 v151, v145, v157
	v_mul_f32_e32 v150, v143, v156
	v_fmac_f32_e32 v202, v141, v153
	v_fma_f32 v153, v140, v153, -v148
	v_add_f32_e32 v140, 0, v198
	v_fmac_f32_e32 v204, v145, v2
	v_fma_f32 v198, v144, v2, -v151
	v_add_f32_e32 v2, v12, v149
	s_waitcnt vmcnt(39)
	v_mul_f32_e32 v205, v146, v158
	v_mul_f32_e32 v155, v147, v158
	v_fmac_f32_e32 v203, v143, v3
	v_fma_f32 v156, v142, v3, -v150
	v_add_f32_e32 v3, v140, v199
	v_add_f32_e32 v152, v2, v152
	s_waitcnt vmcnt(34)
	v_fmac_f32_e32 v205, v147, v163
	v_fma_f32 v163, v146, v163, -v155
	s_waitcnt lgkmcnt(1)
	v_mul_f32_e32 v206, v4, v159
	v_add_f32_e32 v155, v3, v200
	v_add_f32_e32 v152, v152, v154
	v_mul_f32_e32 v12, v5, v159
	s_waitcnt vmcnt(31) lgkmcnt(0)
	v_mul_f32_e32 v199, v10, v166
	v_fmac_f32_e32 v206, v5, v162
	v_add_f32_e32 v155, v155, v201
	v_add_f32_e32 v152, v152, v153
	v_fma_f32 v12, v4, v162, -v12
	v_mul_f32_e32 v162, v6, v164
	v_mul_f32_e32 v154, v7, v164
	v_add_f32_e32 v158, v155, v202
	v_mul_f32_e32 v164, v8, v165
	v_mul_f32_e32 v153, v9, v165
	v_add_f32_e32 v165, v152, v156
	v_mul_f32_e32 v157, v11, v166
	s_waitcnt vmcnt(27)
	v_fmac_f32_e32 v199, v11, v170
	v_add_f32_e32 v11, v158, v203
	ds_read2_b64 v[140:143], v1 offset0:113 offset1:114
	ds_read2_b64 v[148:151], v1 offset0:115 offset1:116
	v_add_f32_e32 v165, v165, v198
	v_fmac_f32_e32 v162, v7, v161
	v_fma_f32 v161, v6, v161, -v154
	v_add_f32_e32 v11, v11, v204
	v_fmac_f32_e32 v164, v9, v160
	v_add_f32_e32 v163, v165, v163
	v_fma_f32 v160, v8, v160, -v153
	v_fma_f32 v10, v10, v170, -v157
	v_add_f32_e32 v11, v11, v205
	ds_read2_b64 v[2:5], v1 offset0:117 offset1:118
	ds_read2_b64 v[144:147], v1 offset0:119 offset1:120
	v_add_f32_e32 v12, v163, v12
	ds_read2_b64 v[6:9], v1 offset0:121 offset1:122
	ds_read2_b64 v[152:155], v1 offset0:123 offset1:124
	;; [unrolled: 1-line block ×3, first 2 shown]
	v_add_f32_e32 v11, v11, v206
	v_add_f32_e32 v12, v12, v161
	;; [unrolled: 1-line block ×3, first 2 shown]
	s_waitcnt vmcnt(26) lgkmcnt(6)
	v_mul_f32_e32 v166, v141, v171
	v_add_f32_e32 v12, v12, v160
	v_mul_f32_e32 v1, v140, v171
	s_waitcnt vmcnt(25)
	v_mul_f32_e32 v171, v143, v172
	v_add_f32_e32 v11, v11, v164
	v_fma_f32 v140, v140, v169, -v166
	v_add_f32_e32 v10, v12, v10
	v_mul_f32_e32 v170, v142, v172
	v_fmac_f32_e32 v1, v141, v169
	v_add_f32_e32 v11, v11, v199
	s_waitcnt vmcnt(24) lgkmcnt(5)
	v_mul_f32_e32 v12, v149, v173
	v_fma_f32 v142, v142, v168, -v171
	v_add_f32_e32 v10, v10, v140
	v_mul_f32_e32 v165, v148, v173
	v_fmac_f32_e32 v170, v143, v168
	v_add_f32_e32 v1, v11, v1
	s_waitcnt vmcnt(23)
	v_mul_f32_e32 v11, v151, v174
	v_fma_f32 v12, v148, v167, -v12
	v_add_f32_e32 v10, v10, v142
	v_mul_f32_e32 v172, v150, v174
	v_fmac_f32_e32 v165, v149, v167
	v_add_f32_e32 v1, v1, v170
	s_waitcnt vmcnt(22) lgkmcnt(4)
	v_mul_f32_e32 v198, v2, v175
	v_mul_f32_e32 v140, v3, v175
	s_waitcnt vmcnt(9)
	v_fma_f32 v11, v150, v188, -v11
	v_add_f32_e32 v10, v10, v12
	v_fmac_f32_e32 v172, v151, v188
	v_add_f32_e32 v1, v1, v165
	v_mul_f32_e32 v12, v5, v176
	v_fmac_f32_e32 v198, v3, v187
	v_fma_f32 v2, v2, v187, -v140
	v_add_f32_e32 v3, v10, v11
	v_mul_f32_e32 v163, v4, v176
	v_add_f32_e32 v1, v1, v172
	s_waitcnt lgkmcnt(3)
	v_mul_f32_e32 v10, v145, v177
	v_fma_f32 v4, v4, v186, -v12
	v_add_f32_e32 v2, v3, v2
	v_mul_f32_e32 v200, v144, v177
	v_fmac_f32_e32 v163, v5, v186
	v_add_f32_e32 v1, v1, v198
	v_mul_f32_e32 v3, v147, v178
	v_fma_f32 v5, v144, v185, -v10
	v_add_f32_e32 v2, v2, v4
	v_mul_f32_e32 v201, v146, v178
	v_fmac_f32_e32 v200, v145, v185
	v_add_f32_e32 v1, v1, v163
	s_waitcnt lgkmcnt(2)
	v_mul_f32_e32 v4, v7, v179
	s_waitcnt vmcnt(5)
	v_fma_f32 v3, v146, v192, -v3
	v_add_f32_e32 v2, v2, v5
	v_mul_f32_e32 v161, v6, v179
	v_fmac_f32_e32 v201, v147, v192
	v_add_f32_e32 v1, v1, v200
	v_mul_f32_e32 v5, v9, v180
	v_fma_f32 v4, v6, v191, -v4
	v_add_f32_e32 v2, v2, v3
	v_mul_f32_e32 v162, v8, v180
	v_fmac_f32_e32 v161, v7, v191
	v_add_f32_e32 v1, v1, v201
	s_waitcnt lgkmcnt(1)
	v_mul_f32_e32 v3, v153, v181
	v_fma_f32 v5, v8, v190, -v5
	v_add_f32_e32 v2, v2, v4
	v_mul_f32_e32 v202, v152, v181
	v_fmac_f32_e32 v162, v9, v190
	v_add_f32_e32 v1, v1, v161
	v_mul_f32_e32 v4, v155, v182
	v_fma_f32 v3, v152, v189, -v3
	v_add_f32_e32 v2, v2, v5
	v_mul_f32_e32 v160, v154, v182
	v_fmac_f32_e32 v202, v153, v189
	v_add_f32_e32 v1, v1, v162
	s_waitcnt lgkmcnt(0)
	v_mul_f32_e32 v5, v157, v183
	s_waitcnt vmcnt(2)
	v_fma_f32 v4, v154, v195, -v4
	v_add_f32_e32 v2, v2, v3
	v_mul_f32_e32 v164, v156, v183
	v_fmac_f32_e32 v160, v155, v195
	v_add_f32_e32 v1, v1, v202
	v_mul_f32_e32 v3, v159, v184
	v_fma_f32 v5, v156, v194, -v5
	v_add_f32_e32 v2, v2, v4
	v_mul_f32_e32 v141, v158, v184
	v_fmac_f32_e32 v164, v157, v194
	v_add_f32_e32 v1, v1, v160
	v_fma_f32 v3, v158, v193, -v3
	v_add_f32_e32 v2, v2, v5
	v_fmac_f32_e32 v141, v159, v193
	v_add_f32_e32 v1, v1, v164
	v_add_f32_e32 v2, v2, v3
	;; [unrolled: 1-line block ×3, first 2 shown]
	s_waitcnt vmcnt(1)
	v_sub_f32_e32 v2, v196, v2
	s_waitcnt vmcnt(0)
	v_sub_f32_e32 v1, v197, v1
	buffer_store_dword v2, off, s[0:3], 0 offset:288
	buffer_store_dword v1, off, s[0:3], 0 offset:292
	v_cmpx_lt_u32_e32 35, v0
	s_cbranch_execz .LBB62_321
; %bb.320:
	s_clause 0x1
	buffer_load_dword v1, off, s[0:3], 0 offset:280
	buffer_load_dword v2, off, s[0:3], 0 offset:284
	v_mov_b32_e32 v3, 0
	buffer_store_dword v3, off, s[0:3], 0 offset:280
	buffer_store_dword v3, off, s[0:3], 0 offset:284
	s_waitcnt vmcnt(0)
	ds_write_b64 v139, v[1:2]
.LBB62_321:
	s_or_b32 exec_lo, exec_lo, s4
	s_waitcnt lgkmcnt(0)
	s_waitcnt_vscnt null, 0x0
	s_barrier
	buffer_gl0_inv
	s_clause 0x37
	buffer_load_dword v153, off, s[0:3], 0 offset:292
	buffer_load_dword v157, off, s[0:3], 0 offset:300
	;; [unrolled: 1-line block ×56, first 2 shown]
	v_mov_b32_e32 v1, 0
	ds_read_b128 v[141:144], v1 offset:800
	ds_read_b128 v[145:148], v1 offset:816
	;; [unrolled: 1-line block ×3, first 2 shown]
	s_mov_b32 s4, exec_lo
	s_waitcnt vmcnt(55) lgkmcnt(2)
	v_mul_f32_e32 v200, v141, v153
	v_mul_f32_e32 v201, v142, v153
	ds_read_b128 v[153:156], v1 offset:848
	s_waitcnt vmcnt(54)
	v_mul_f32_e32 v202, v143, v157
	v_mul_f32_e32 v157, v144, v157
	s_waitcnt vmcnt(51)
	v_fmac_f32_e32 v200, v142, v160
	v_fma_f32 v160, v141, v160, -v201
	s_waitcnt vmcnt(50) lgkmcnt(2)
	v_mul_f32_e32 v201, v145, v161
	v_fmac_f32_e32 v202, v144, v159
	v_fma_f32 v157, v143, v159, -v157
	s_waitcnt vmcnt(49)
	v_mul_f32_e32 v203, v147, v162
	v_mul_f32_e32 v159, v146, v161
	;; [unrolled: 1-line block ×3, first 2 shown]
	ds_read_b128 v[141:144], v1 offset:864
	v_fmac_f32_e32 v201, v146, v158
	s_waitcnt vmcnt(45)
	v_fmac_f32_e32 v203, v148, v166
	v_fma_f32 v158, v145, v158, -v159
	v_fma_f32 v161, v147, v166, -v161
	s_waitcnt vmcnt(44) lgkmcnt(2)
	v_mul_f32_e32 v166, v149, v167
	v_mul_f32_e32 v159, v150, v167
	ds_read_b128 v[145:148], v1 offset:880
	s_waitcnt vmcnt(43)
	v_mul_f32_e32 v167, v151, v168
	v_mul_f32_e32 v162, v152, v168
	v_add_f32_e32 v168, 0, v200
	v_fmac_f32_e32 v166, v150, v165
	v_fma_f32 v165, v149, v165, -v159
	v_add_f32_e32 v149, 0, v160
	s_waitcnt vmcnt(42) lgkmcnt(2)
	v_mul_f32_e32 v200, v153, v169
	v_add_f32_e32 v150, v168, v202
	v_mul_f32_e32 v159, v154, v169
	s_waitcnt vmcnt(41)
	v_mul_f32_e32 v202, v155, v170
	v_add_f32_e32 v149, v149, v157
	v_mul_f32_e32 v168, v156, v170
	s_waitcnt vmcnt(40) lgkmcnt(1)
	v_mul_f32_e32 v204, v141, v171
	v_fma_f32 v169, v151, v164, -v162
	v_fmac_f32_e32 v200, v154, v163
	v_fma_f32 v170, v153, v163, -v159
	v_add_f32_e32 v153, v150, v201
	v_add_f32_e32 v154, v149, v158
	v_mul_f32_e32 v162, v142, v171
	s_waitcnt vmcnt(37)
	v_fmac_f32_e32 v204, v142, v174
	s_waitcnt vmcnt(36)
	v_fmac_f32_e32 v202, v156, v175
	v_add_f32_e32 v142, v153, v203
	v_fma_f32 v171, v155, v175, -v168
	v_fma_f32 v174, v141, v174, -v162
	v_add_f32_e32 v141, v154, v161
	s_waitcnt vmcnt(35)
	v_mul_f32_e32 v175, v143, v176
	v_add_f32_e32 v142, v142, v166
	v_mul_f32_e32 v166, v144, v176
	s_waitcnt vmcnt(34) lgkmcnt(0)
	v_mul_f32_e32 v176, v145, v177
	v_add_f32_e32 v141, v141, v165
	v_mul_f32_e32 v165, v146, v177
	v_fmac_f32_e32 v167, v152, v164
	s_waitcnt vmcnt(33)
	v_mul_f32_e32 v201, v147, v178
	v_mul_f32_e32 v177, v148, v178
	v_fmac_f32_e32 v176, v146, v172
	v_fma_f32 v172, v145, v172, -v165
	v_add_f32_e32 v145, v141, v169
	v_add_f32_e32 v142, v142, v167
	s_waitcnt vmcnt(29)
	v_fmac_f32_e32 v201, v148, v182
	v_fma_f32 v177, v147, v182, -v177
	ds_read_b128 v[149:152], v1 offset:896
	ds_read_b128 v[157:160], v1 offset:912
	v_add_f32_e32 v182, v145, v170
	v_add_f32_e32 v178, v142, v200
	v_fmac_f32_e32 v175, v144, v173
	v_fma_f32 v173, v143, v173, -v166
	ds_read_b128 v[153:156], v1 offset:928
	ds_read_b128 v[161:164], v1 offset:944
	v_add_f32_e32 v171, v182, v171
	v_add_f32_e32 v178, v178, v202
	ds_read_b128 v[141:144], v1 offset:960
	ds_read_b128 v[165:168], v1 offset:976
	;; [unrolled: 1-line block ×3, first 2 shown]
	ds_read_b64 v[169:170], v1 offset:1008
	v_add_f32_e32 v171, v171, v174
	v_add_f32_e32 v178, v178, v204
	;; [unrolled: 1-line block ×4, first 2 shown]
	s_waitcnt vmcnt(28) lgkmcnt(7)
	v_mul_f32_e32 v200, v149, v183
	v_mul_f32_e32 v183, v150, v183
	v_add_f32_e32 v171, v171, v172
	v_add_f32_e32 v172, v175, v176
	s_waitcnt vmcnt(27)
	v_mul_f32_e32 v182, v151, v184
	v_mul_f32_e32 v184, v152, v184
	v_fma_f32 v149, v149, v181, -v183
	v_add_f32_e32 v171, v171, v177
	v_fmac_f32_e32 v200, v150, v181
	v_add_f32_e32 v172, v172, v201
	s_waitcnt vmcnt(26) lgkmcnt(6)
	v_mul_f32_e32 v181, v158, v185
	v_fma_f32 v151, v151, v180, -v184
	v_add_f32_e32 v149, v171, v149
	v_mul_f32_e32 v202, v157, v185
	v_fmac_f32_e32 v182, v152, v180
	v_add_f32_e32 v171, v172, v200
	s_waitcnt vmcnt(25)
	v_mul_f32_e32 v177, v160, v186
	v_fma_f32 v157, v157, v179, -v181
	v_add_f32_e32 v149, v149, v151
	v_mul_f32_e32 v174, v159, v186
	v_fmac_f32_e32 v202, v158, v179
	v_add_f32_e32 v151, v171, v182
	s_waitcnt vmcnt(24) lgkmcnt(5)
	v_mul_f32_e32 v158, v154, v187
	s_waitcnt vmcnt(10)
	v_fma_f32 v159, v159, v193, -v177
	v_add_f32_e32 v149, v149, v157
	v_mul_f32_e32 v150, v153, v187
	v_fmac_f32_e32 v174, v160, v193
	v_add_f32_e32 v151, v151, v202
	v_mul_f32_e32 v157, v156, v188
	v_fma_f32 v153, v153, v192, -v158
	v_add_f32_e32 v149, v149, v159
	v_mul_f32_e32 v178, v155, v188
	v_fmac_f32_e32 v150, v154, v192
	v_add_f32_e32 v151, v151, v174
	s_waitcnt lgkmcnt(4)
	v_mul_f32_e32 v154, v162, v189
	v_fma_f32 v155, v155, v191, -v157
	v_add_f32_e32 v149, v149, v153
	v_mul_f32_e32 v173, v161, v189
	v_fmac_f32_e32 v178, v156, v191
	v_add_f32_e32 v150, v151, v150
	v_mul_f32_e32 v152, v163, v140
	v_mul_f32_e32 v140, v164, v140
	v_fma_f32 v151, v161, v190, -v154
	v_add_f32_e32 v149, v149, v155
	v_fmac_f32_e32 v173, v162, v190
	v_add_f32_e32 v150, v150, v178
	s_waitcnt lgkmcnt(3)
	v_mul_f32_e32 v180, v141, v11
	v_mul_f32_e32 v11, v142, v11
	s_waitcnt vmcnt(6)
	v_fma_f32 v140, v163, v197, -v140
	v_add_f32_e32 v149, v149, v151
	v_fmac_f32_e32 v152, v164, v197
	v_add_f32_e32 v150, v150, v173
	v_mul_f32_e32 v175, v143, v10
	v_mul_f32_e32 v10, v144, v10
	v_fma_f32 v11, v141, v196, -v11
	v_add_f32_e32 v140, v149, v140
	v_fmac_f32_e32 v180, v142, v196
	v_add_f32_e32 v141, v150, v152
	s_waitcnt lgkmcnt(2)
	v_mul_f32_e32 v176, v165, v9
	v_mul_f32_e32 v9, v166, v9
	v_fma_f32 v10, v143, v195, -v10
	v_add_f32_e32 v11, v140, v11
	v_fmac_f32_e32 v175, v144, v195
	v_add_f32_e32 v140, v141, v180
	v_mul_f32_e32 v183, v167, v7
	v_mul_f32_e32 v7, v168, v7
	v_fma_f32 v9, v165, v194, -v9
	v_add_f32_e32 v10, v11, v10
	v_fmac_f32_e32 v176, v166, v194
	v_add_f32_e32 v11, v140, v175
	s_waitcnt lgkmcnt(1)
	v_mul_f32_e32 v184, v145, v6
	v_mul_f32_e32 v6, v146, v6
	s_waitcnt vmcnt(2)
	v_fma_f32 v7, v167, v199, -v7
	v_add_f32_e32 v9, v10, v9
	v_fmac_f32_e32 v183, v168, v199
	v_add_f32_e32 v10, v11, v176
	v_mul_f32_e32 v185, v147, v2
	v_mul_f32_e32 v2, v148, v2
	v_fma_f32 v6, v145, v198, -v6
	v_add_f32_e32 v7, v9, v7
	v_fmac_f32_e32 v184, v146, v198
	v_add_f32_e32 v9, v10, v183
	s_waitcnt lgkmcnt(0)
	v_mul_f32_e32 v172, v169, v3
	v_mul_f32_e32 v3, v170, v3
	v_fma_f32 v2, v147, v12, -v2
	v_add_f32_e32 v6, v7, v6
	v_fmac_f32_e32 v185, v148, v12
	v_add_f32_e32 v7, v9, v184
	v_fma_f32 v3, v169, v8, -v3
	v_fmac_f32_e32 v172, v170, v8
	v_add_f32_e32 v2, v6, v2
	v_add_f32_e32 v6, v7, v185
	;; [unrolled: 1-line block ×4, first 2 shown]
	s_waitcnt vmcnt(1)
	v_sub_f32_e32 v2, v4, v2
	s_waitcnt vmcnt(0)
	v_sub_f32_e32 v3, v5, v3
	buffer_store_dword v2, off, s[0:3], 0 offset:280
	buffer_store_dword v3, off, s[0:3], 0 offset:284
	v_cmpx_lt_u32_e32 34, v0
	s_cbranch_execz .LBB62_323
; %bb.322:
	s_clause 0x1
	buffer_load_dword v2, off, s[0:3], 0 offset:272
	buffer_load_dword v3, off, s[0:3], 0 offset:276
	buffer_store_dword v1, off, s[0:3], 0 offset:272
	buffer_store_dword v1, off, s[0:3], 0 offset:276
	s_waitcnt vmcnt(0)
	ds_write_b64 v139, v[2:3]
.LBB62_323:
	s_or_b32 exec_lo, exec_lo, s4
	s_waitcnt lgkmcnt(0)
	s_waitcnt_vscnt null, 0x0
	s_barrier
	buffer_gl0_inv
	s_clause 0x39
	buffer_load_dword v160, off, s[0:3], 0 offset:284
	buffer_load_dword v161, off, s[0:3], 0 offset:292
	;; [unrolled: 1-line block ×58, first 2 shown]
	ds_read2_b64 v[148:151], v1 offset0:99 offset1:100
	ds_read2_b64 v[152:155], v1 offset0:101 offset1:102
	;; [unrolled: 1-line block ×3, first 2 shown]
	s_mov_b32 s4, exec_lo
	s_waitcnt vmcnt(57) lgkmcnt(2)
	v_mul_f32_e32 v199, v148, v160
	v_mul_f32_e32 v160, v149, v160
	s_waitcnt vmcnt(56)
	v_mul_f32_e32 v200, v150, v161
	v_mul_f32_e32 v161, v151, v161
	s_waitcnt vmcnt(53)
	v_fmac_f32_e32 v199, v149, v164
	v_fma_f32 v160, v148, v164, -v160
	v_fmac_f32_e32 v200, v151, v163
	v_fma_f32 v164, v150, v163, -v161
	ds_read2_b64 v[148:151], v1 offset0:105 offset1:106
	s_waitcnt vmcnt(52) lgkmcnt(2)
	v_mul_f32_e32 v201, v152, v165
	v_mul_f32_e32 v161, v153, v165
	s_waitcnt vmcnt(51)
	v_mul_f32_e32 v165, v154, v166
	v_mul_f32_e32 v163, v155, v166
	s_waitcnt vmcnt(50) lgkmcnt(1)
	v_mul_f32_e32 v202, v156, v167
	v_mul_f32_e32 v166, v157, v167
	s_waitcnt vmcnt(49)
	v_mul_f32_e32 v203, v158, v168
	v_mul_f32_e32 v167, v159, v168
	v_fmac_f32_e32 v201, v153, v162
	v_fma_f32 v168, v152, v162, -v161
	s_waitcnt vmcnt(45)
	v_fmac_f32_e32 v165, v155, v171
	v_fma_f32 v171, v154, v171, -v163
	ds_read2_b64 v[152:155], v1 offset0:107 offset1:108
	v_fmac_f32_e32 v202, v157, v170
	v_fma_f32 v170, v156, v170, -v166
	v_fmac_f32_e32 v203, v159, v169
	v_fma_f32 v204, v158, v169, -v167
	ds_read2_b64 v[156:159], v1 offset0:109 offset1:110
	v_add_f32_e32 v166, 0, v199
	s_waitcnt vmcnt(44) lgkmcnt(2)
	v_mul_f32_e32 v205, v148, v172
	v_mul_f32_e32 v161, v149, v172
	s_waitcnt vmcnt(43)
	v_mul_f32_e32 v172, v150, v173
	v_mul_f32_e32 v162, v151, v173
	v_add_f32_e32 v166, v166, v200
	v_fmac_f32_e32 v205, v149, v147
	v_fma_f32 v173, v148, v147, -v161
	s_waitcnt vmcnt(39)
	v_fmac_f32_e32 v172, v151, v177
	v_add_f32_e32 v151, 0, v160
	v_fma_f32 v177, v150, v177, -v162
	ds_read2_b64 v[147:150], v1 offset0:111 offset1:112
	ds_read2_b64 v[160:163], v1 offset0:113 offset1:114
	v_add_f32_e32 v166, v166, v201
	v_add_f32_e32 v151, v151, v164
	s_waitcnt vmcnt(38) lgkmcnt(3)
	v_mul_f32_e32 v199, v152, v178
	v_mul_f32_e32 v164, v153, v178
	s_waitcnt vmcnt(37)
	v_mul_f32_e32 v178, v154, v179
	v_mul_f32_e32 v167, v155, v179
	v_add_f32_e32 v151, v151, v168
	s_waitcnt vmcnt(36) lgkmcnt(2)
	v_mul_f32_e32 v179, v156, v180
	s_waitcnt vmcnt(35)
	v_mul_f32_e32 v200, v158, v181
	v_mul_f32_e32 v168, v157, v180
	v_fmac_f32_e32 v178, v155, v175
	v_add_f32_e32 v155, v151, v171
	v_add_f32_e32 v169, v166, v165
	v_mul_f32_e32 v171, v159, v181
	v_fmac_f32_e32 v179, v157, v174
	s_waitcnt vmcnt(31)
	v_fmac_f32_e32 v200, v159, v184
	v_fma_f32 v159, v156, v174, -v168
	v_add_f32_e32 v174, v155, v170
	v_fma_f32 v180, v154, v175, -v167
	v_add_f32_e32 v175, v169, v202
	v_fma_f32 v181, v158, v184, -v171
	s_waitcnt vmcnt(30) lgkmcnt(1)
	v_mul_f32_e32 v184, v147, v185
	v_add_f32_e32 v174, v174, v204
	v_mul_f32_e32 v185, v148, v185
	v_add_f32_e32 v175, v175, v203
	v_fmac_f32_e32 v199, v153, v176
	v_fmac_f32_e32 v184, v148, v183
	v_add_f32_e32 v148, v174, v173
	v_fma_f32 v176, v152, v176, -v164
	v_add_f32_e32 v173, v175, v205
	v_fma_f32 v183, v147, v183, -v185
	ds_read2_b64 v[151:154], v1 offset0:115 offset1:116
	ds_read2_b64 v[164:167], v1 offset0:117 offset1:118
	v_add_f32_e32 v177, v148, v177
	s_waitcnt vmcnt(29)
	v_mul_f32_e32 v201, v149, v186
	v_add_f32_e32 v185, v173, v172
	v_mul_f32_e32 v186, v150, v186
	ds_read2_b64 v[155:158], v1 offset0:119 offset1:120
	ds_read2_b64 v[168:171], v1 offset0:121 offset1:122
	v_add_f32_e32 v176, v177, v176
	v_fmac_f32_e32 v201, v150, v182
	v_add_f32_e32 v185, v185, v199
	v_fma_f32 v182, v149, v182, -v186
	ds_read2_b64 v[147:150], v1 offset0:123 offset1:124
	ds_read2_b64 v[172:175], v1 offset0:125 offset1:126
	v_add_f32_e32 v176, v176, v180
	s_waitcnt vmcnt(28) lgkmcnt(6)
	v_mul_f32_e32 v1, v160, v187
	v_add_f32_e32 v178, v185, v178
	v_mul_f32_e32 v177, v161, v187
	s_waitcnt vmcnt(27)
	v_mul_f32_e32 v187, v163, v188
	v_add_f32_e32 v159, v176, v159
	v_fmac_f32_e32 v1, v161, v12
	v_add_f32_e32 v178, v178, v179
	v_fma_f32 v12, v160, v12, -v177
	v_mul_f32_e32 v186, v162, v188
	v_add_f32_e32 v159, v159, v181
	s_waitcnt vmcnt(26) lgkmcnt(5)
	v_mul_f32_e32 v180, v151, v145
	v_add_f32_e32 v178, v178, v200
	v_mul_f32_e32 v145, v152, v145
	s_waitcnt vmcnt(11)
	v_fma_f32 v162, v162, v192, -v187
	v_add_f32_e32 v159, v159, v183
	v_fmac_f32_e32 v186, v163, v192
	v_add_f32_e32 v178, v178, v184
	v_mul_f32_e32 v185, v153, v144
	v_mul_f32_e32 v144, v154, v144
	v_add_f32_e32 v159, v159, v182
	v_fma_f32 v145, v151, v191, -v145
	v_add_f32_e32 v161, v178, v201
	v_fmac_f32_e32 v180, v152, v191
	s_waitcnt lgkmcnt(4)
	v_mul_f32_e32 v188, v164, v143
	v_add_f32_e32 v12, v159, v12
	v_mul_f32_e32 v143, v165, v143
	v_add_f32_e32 v1, v161, v1
	v_fma_f32 v144, v153, v190, -v144
	v_fmac_f32_e32 v185, v154, v190
	v_add_f32_e32 v12, v12, v162
	v_mul_f32_e32 v176, v166, v142
	v_add_f32_e32 v1, v1, v186
	v_mul_f32_e32 v142, v167, v142
	v_fma_f32 v143, v164, v189, -v143
	v_add_f32_e32 v12, v12, v145
	v_fmac_f32_e32 v188, v165, v189
	v_add_f32_e32 v1, v1, v180
	s_waitcnt lgkmcnt(3)
	v_mul_f32_e32 v179, v155, v140
	v_mul_f32_e32 v140, v156, v140
	v_add_f32_e32 v12, v12, v144
	s_waitcnt vmcnt(7)
	v_fma_f32 v142, v166, v196, -v142
	v_add_f32_e32 v1, v1, v185
	v_fmac_f32_e32 v176, v167, v196
	v_mul_f32_e32 v199, v157, v11
	v_add_f32_e32 v12, v12, v143
	v_mul_f32_e32 v11, v158, v11
	v_add_f32_e32 v1, v1, v188
	v_fma_f32 v140, v155, v195, -v140
	v_fmac_f32_e32 v179, v156, v195
	v_add_f32_e32 v12, v12, v142
	s_waitcnt lgkmcnt(2)
	v_mul_f32_e32 v181, v168, v10
	v_add_f32_e32 v1, v1, v176
	v_mul_f32_e32 v10, v169, v10
	v_fma_f32 v11, v157, v194, -v11
	v_add_f32_e32 v12, v12, v140
	v_fmac_f32_e32 v199, v158, v194
	v_add_f32_e32 v1, v1, v179
	v_mul_f32_e32 v200, v170, v8
	v_mul_f32_e32 v8, v171, v8
	v_fma_f32 v10, v168, v193, -v10
	v_add_f32_e32 v11, v12, v11
	v_fmac_f32_e32 v181, v169, v193
	v_add_f32_e32 v1, v1, v199
	s_waitcnt lgkmcnt(1)
	v_mul_f32_e32 v202, v147, v7
	v_mul_f32_e32 v7, v148, v7
	s_waitcnt vmcnt(3)
	v_fma_f32 v8, v170, v198, -v8
	v_add_f32_e32 v10, v11, v10
	v_fmac_f32_e32 v200, v171, v198
	v_add_f32_e32 v1, v1, v181
	v_mul_f32_e32 v183, v149, v6
	v_mul_f32_e32 v6, v150, v6
	v_fma_f32 v7, v147, v197, -v7
	v_add_f32_e32 v8, v10, v8
	v_fmac_f32_e32 v202, v148, v197
	v_add_f32_e32 v1, v1, v200
	s_waitcnt lgkmcnt(0)
	v_mul_f32_e32 v184, v172, v5
	v_mul_f32_e32 v5, v173, v5
	v_fma_f32 v6, v149, v146, -v6
	v_add_f32_e32 v7, v8, v7
	v_fmac_f32_e32 v183, v150, v146
	v_add_f32_e32 v1, v1, v202
	v_mul_f32_e32 v160, v174, v2
	v_mul_f32_e32 v2, v175, v2
	v_fma_f32 v5, v172, v141, -v5
	v_add_f32_e32 v6, v7, v6
	v_fmac_f32_e32 v184, v173, v141
	v_add_f32_e32 v1, v1, v183
	s_waitcnt vmcnt(2)
	v_fma_f32 v2, v174, v9, -v2
	v_fmac_f32_e32 v160, v175, v9
	v_add_f32_e32 v5, v6, v5
	v_add_f32_e32 v1, v1, v184
	;; [unrolled: 1-line block ×4, first 2 shown]
	s_waitcnt vmcnt(1)
	v_sub_f32_e32 v2, v3, v2
	s_waitcnt vmcnt(0)
	v_sub_f32_e32 v1, v4, v1
	buffer_store_dword v2, off, s[0:3], 0 offset:272
	buffer_store_dword v1, off, s[0:3], 0 offset:276
	v_cmpx_lt_u32_e32 33, v0
	s_cbranch_execz .LBB62_325
; %bb.324:
	s_clause 0x1
	buffer_load_dword v1, off, s[0:3], 0 offset:264
	buffer_load_dword v2, off, s[0:3], 0 offset:268
	v_mov_b32_e32 v3, 0
	buffer_store_dword v3, off, s[0:3], 0 offset:264
	buffer_store_dword v3, off, s[0:3], 0 offset:268
	s_waitcnt vmcnt(0)
	ds_write_b64 v139, v[1:2]
.LBB62_325:
	s_or_b32 exec_lo, exec_lo, s4
	s_waitcnt lgkmcnt(0)
	s_waitcnt_vscnt null, 0x0
	s_barrier
	buffer_gl0_inv
	s_clause 0x3b
	buffer_load_dword v171, off, s[0:3], 0 offset:276
	buffer_load_dword v172, off, s[0:3], 0 offset:284
	;; [unrolled: 1-line block ×60, first 2 shown]
	v_mov_b32_e32 v1, 0
	ds_read_b128 v[159:162], v1 offset:784
	ds_read_b128 v[163:166], v1 offset:800
	;; [unrolled: 1-line block ×3, first 2 shown]
	s_mov_b32 s4, exec_lo
	s_waitcnt vmcnt(59) lgkmcnt(2)
	v_mul_f32_e32 v201, v159, v171
	s_waitcnt vmcnt(58)
	v_mul_f32_e32 v202, v161, v172
	v_mul_f32_e32 v171, v160, v171
	;; [unrolled: 1-line block ×3, first 2 shown]
	s_waitcnt vmcnt(55)
	v_fmac_f32_e32 v201, v160, v174
	v_fmac_f32_e32 v202, v162, v173
	v_fma_f32 v171, v159, v174, -v171
	v_fma_f32 v172, v161, v173, -v172
	ds_read_b128 v[159:162], v1 offset:832
	s_waitcnt vmcnt(54) lgkmcnt(2)
	v_mul_f32_e32 v203, v163, v158
	v_mul_f32_e32 v158, v164, v158
	s_waitcnt vmcnt(53)
	v_mul_f32_e32 v204, v165, v157
	v_mul_f32_e32 v157, v166, v157
	v_add_f32_e32 v173, 0, v201
	v_fmac_f32_e32 v203, v164, v152
	v_fma_f32 v152, v163, v152, -v158
	s_waitcnt vmcnt(48)
	v_fmac_f32_e32 v204, v166, v177
	v_fma_f32 v177, v165, v177, -v157
	s_waitcnt vmcnt(47) lgkmcnt(1)
	v_mul_f32_e32 v157, v170, v178
	ds_read_b128 v[163:166], v1 offset:848
	v_mul_f32_e32 v205, v167, v155
	v_mul_f32_e32 v155, v168, v155
	;; [unrolled: 1-line block ×3, first 2 shown]
	v_fma_f32 v207, v169, v175, -v157
	v_fmac_f32_e32 v205, v168, v176
	v_fma_f32 v155, v167, v176, -v155
	v_fmac_f32_e32 v206, v170, v175
	s_waitcnt vmcnt(46) lgkmcnt(1)
	v_mul_f32_e32 v208, v159, v179
	s_waitcnt vmcnt(45)
	v_mul_f32_e32 v209, v161, v180
	v_mul_f32_e32 v157, v160, v179
	;; [unrolled: 1-line block ×3, first 2 shown]
	ds_read_b128 v[167:170], v1 offset:864
	v_fmac_f32_e32 v208, v160, v154
	v_add_f32_e32 v160, 0, v171
	s_waitcnt vmcnt(41)
	v_fmac_f32_e32 v209, v162, v183
	v_fma_f32 v183, v161, v183, -v158
	v_add_f32_e32 v162, v173, v202
	v_fma_f32 v154, v159, v154, -v157
	v_add_f32_e32 v161, v160, v172
	s_waitcnt vmcnt(39) lgkmcnt(1)
	v_mul_f32_e32 v175, v166, v185
	v_mul_f32_e32 v202, v165, v185
	v_add_f32_e32 v162, v162, v203
	ds_read_b128 v[157:160], v1 offset:880
	ds_read_b128 v[171:174], v1 offset:896
	v_add_f32_e32 v152, v161, v152
	v_fma_f32 v210, v165, v181, -v175
	v_mul_f32_e32 v161, v164, v184
	v_add_f32_e32 v162, v162, v204
	v_mul_f32_e32 v201, v163, v184
	v_add_f32_e32 v152, v152, v177
	v_fmac_f32_e32 v202, v166, v181
	v_fma_f32 v184, v163, v182, -v161
	v_add_f32_e32 v165, v162, v205
	s_waitcnt vmcnt(37) lgkmcnt(2)
	v_mul_f32_e32 v204, v169, v150
	v_add_f32_e32 v152, v152, v155
	v_fmac_f32_e32 v201, v164, v182
	v_mul_f32_e32 v150, v170, v150
	v_add_f32_e32 v155, v165, v206
	v_mul_f32_e32 v203, v167, v186
	v_add_f32_e32 v152, v152, v207
	v_mul_f32_e32 v179, v168, v186
	s_waitcnt vmcnt(33)
	v_fmac_f32_e32 v204, v170, v189
	v_add_f32_e32 v155, v155, v208
	v_fma_f32 v150, v169, v189, -v150
	v_add_f32_e32 v152, v152, v154
	v_fmac_f32_e32 v203, v168, v147
	v_fma_f32 v147, v167, v147, -v179
	v_add_f32_e32 v155, v155, v209
	s_waitcnt vmcnt(32) lgkmcnt(1)
	v_mul_f32_e32 v169, v157, v190
	v_add_f32_e32 v152, v152, v183
	v_mul_f32_e32 v154, v158, v190
	ds_read_b128 v[161:164], v1 offset:912
	ds_read_b128 v[175:178], v1 offset:928
	v_add_f32_e32 v189, v155, v201
	s_waitcnt vmcnt(30) lgkmcnt(2)
	v_mul_f32_e32 v190, v171, v145
	v_add_f32_e32 v152, v152, v184
	v_mul_f32_e32 v145, v172, v145
	v_mul_f32_e32 v170, v159, v191
	v_add_f32_e32 v189, v189, v202
	v_mul_f32_e32 v185, v160, v191
	v_add_f32_e32 v152, v152, v210
	v_fmac_f32_e32 v169, v158, v188
	v_fma_f32 v188, v157, v188, -v154
	v_add_f32_e32 v189, v189, v203
	v_fmac_f32_e32 v190, v172, v141
	v_add_f32_e32 v147, v152, v147
	v_fma_f32 v141, v171, v141, -v145
	v_fmac_f32_e32 v170, v160, v187
	v_add_f32_e32 v171, v189, v204
	v_fma_f32 v187, v159, v187, -v185
	v_add_f32_e32 v147, v147, v150
	s_waitcnt vmcnt(29)
	v_mul_f32_e32 v191, v173, v146
	v_mul_f32_e32 v146, v174, v146
	v_add_f32_e32 v169, v171, v169
	s_waitcnt vmcnt(28) lgkmcnt(1)
	v_mul_f32_e32 v201, v161, v142
	v_add_f32_e32 v147, v147, v188
	v_mul_f32_e32 v142, v162, v142
	s_waitcnt vmcnt(20)
	v_fma_f32 v146, v173, v195, -v146
	v_add_f32_e32 v169, v169, v170
	ds_read_b128 v[165:168], v1 offset:944
	ds_read_b128 v[179:182], v1 offset:960
	v_add_f32_e32 v147, v147, v187
	v_fmac_f32_e32 v191, v174, v195
	v_mul_f32_e32 v152, v163, v10
	v_mul_f32_e32 v10, v164, v10
	v_fma_f32 v142, v161, v194, -v142
	v_add_f32_e32 v141, v147, v141
	v_add_f32_e32 v147, v169, v190
	v_fmac_f32_e32 v201, v162, v194
	s_waitcnt lgkmcnt(2)
	v_mul_f32_e32 v145, v175, v8
	v_mul_f32_e32 v8, v176, v8
	v_add_f32_e32 v141, v141, v146
	v_add_f32_e32 v146, v147, v191
	v_fma_f32 v10, v163, v193, -v10
	v_fmac_f32_e32 v152, v164, v193
	v_mul_f32_e32 v172, v177, v6
	v_add_f32_e32 v141, v141, v142
	v_add_f32_e32 v142, v146, v201
	v_mul_f32_e32 v6, v178, v6
	v_fma_f32 v8, v175, v192, -v8
	v_fmac_f32_e32 v145, v176, v192
	v_add_f32_e32 v10, v141, v10
	v_add_f32_e32 v141, v142, v152
	s_waitcnt lgkmcnt(1)
	v_mul_f32_e32 v150, v165, v5
	v_mul_f32_e32 v5, v166, v5
	s_waitcnt vmcnt(8)
	v_fma_f32 v6, v177, v200, -v6
	v_add_f32_e32 v8, v10, v8
	v_fmac_f32_e32 v172, v178, v200
	v_add_f32_e32 v10, v141, v145
	ds_read_b128 v[157:160], v1 offset:976
	ds_read_b128 v[183:186], v1 offset:992
	ds_read_b64 v[154:155], v1 offset:1008
	v_mul_f32_e32 v141, v168, v196
	v_fma_f32 v5, v165, v199, -v5
	v_add_f32_e32 v6, v8, v6
	v_mul_f32_e32 v173, v167, v196
	v_fmac_f32_e32 v150, v166, v199
	v_add_f32_e32 v8, v10, v172
	s_waitcnt lgkmcnt(3)
	v_mul_f32_e32 v10, v180, v197
	v_fma_f32 v141, v167, v198, -v141
	v_add_f32_e32 v5, v6, v5
	v_mul_f32_e32 v174, v179, v197
	v_fmac_f32_e32 v173, v168, v198
	v_add_f32_e32 v6, v8, v150
	v_mul_f32_e32 v8, v182, v151
	v_fma_f32 v10, v179, v156, -v10
	v_add_f32_e32 v5, v5, v141
	v_mul_f32_e32 v171, v181, v151
	v_fmac_f32_e32 v174, v180, v156
	v_add_f32_e32 v6, v6, v173
	s_waitcnt lgkmcnt(2)
	v_mul_f32_e32 v141, v158, v148
	s_waitcnt vmcnt(4)
	v_fma_f32 v8, v181, v153, -v8
	v_add_f32_e32 v5, v5, v10
	v_mul_f32_e32 v188, v157, v148
	v_fmac_f32_e32 v171, v182, v153
	v_add_f32_e32 v6, v6, v174
	v_mul_f32_e32 v10, v160, v144
	v_fma_f32 v141, v157, v149, -v141
	v_add_f32_e32 v5, v5, v8
	v_mul_f32_e32 v189, v159, v144
	v_fmac_f32_e32 v188, v158, v149
	v_add_f32_e32 v6, v6, v171
	s_waitcnt lgkmcnt(1)
	v_mul_f32_e32 v8, v184, v140
	v_fma_f32 v10, v159, v143, -v10
	v_add_f32_e32 v5, v5, v141
	v_mul_f32_e32 v170, v183, v140
	v_fmac_f32_e32 v189, v160, v143
	v_add_f32_e32 v6, v6, v188
	v_mul_f32_e32 v187, v185, v9
	v_mul_f32_e32 v9, v186, v9
	v_fma_f32 v8, v183, v12, -v8
	v_add_f32_e32 v5, v5, v10
	v_fmac_f32_e32 v170, v184, v12
	v_add_f32_e32 v6, v6, v189
	s_waitcnt lgkmcnt(0)
	v_mul_f32_e32 v169, v154, v4
	v_mul_f32_e32 v4, v155, v4
	s_waitcnt vmcnt(2)
	v_fma_f32 v9, v185, v11, -v9
	v_add_f32_e32 v5, v5, v8
	v_fmac_f32_e32 v187, v186, v11
	v_add_f32_e32 v6, v6, v170
	v_fma_f32 v4, v154, v7, -v4
	v_fmac_f32_e32 v169, v155, v7
	v_add_f32_e32 v5, v5, v9
	v_add_f32_e32 v6, v6, v187
	;; [unrolled: 1-line block ×4, first 2 shown]
	s_waitcnt vmcnt(1)
	v_sub_f32_e32 v2, v2, v4
	s_waitcnt vmcnt(0)
	v_sub_f32_e32 v3, v3, v5
	buffer_store_dword v2, off, s[0:3], 0 offset:264
	buffer_store_dword v3, off, s[0:3], 0 offset:268
	v_cmpx_lt_u32_e32 32, v0
	s_cbranch_execz .LBB62_327
; %bb.326:
	s_clause 0x1
	buffer_load_dword v2, off, s[0:3], 0 offset:256
	buffer_load_dword v3, off, s[0:3], 0 offset:260
	buffer_store_dword v1, off, s[0:3], 0 offset:256
	buffer_store_dword v1, off, s[0:3], 0 offset:260
	s_waitcnt vmcnt(0)
	ds_write_b64 v139, v[2:3]
.LBB62_327:
	s_or_b32 exec_lo, exec_lo, s4
	s_waitcnt lgkmcnt(0)
	s_waitcnt_vscnt null, 0x0
	s_barrier
	buffer_gl0_inv
	s_clause 0x3d
	buffer_load_dword v171, off, s[0:3], 0 offset:268
	buffer_load_dword v172, off, s[0:3], 0 offset:276
	;; [unrolled: 1-line block ×62, first 2 shown]
	ds_read2_b64 v[163:166], v1 offset0:97 offset1:98
	ds_read2_b64 v[167:170], v1 offset0:99 offset1:100
	s_mov_b32 s4, exec_lo
	s_waitcnt vmcnt(61) lgkmcnt(1)
	v_mul_f32_e32 v199, v163, v171
	s_waitcnt vmcnt(60)
	v_mul_f32_e32 v200, v165, v172
	v_mul_f32_e32 v171, v164, v171
	;; [unrolled: 1-line block ×3, first 2 shown]
	s_waitcnt vmcnt(57)
	v_fmac_f32_e32 v199, v164, v174
	v_fmac_f32_e32 v200, v166, v173
	v_fma_f32 v171, v163, v174, -v171
	v_fma_f32 v201, v165, v173, -v172
	ds_read2_b64 v[163:166], v1 offset0:101 offset1:102
	s_waitcnt vmcnt(56) lgkmcnt(1)
	v_mul_f32_e32 v202, v167, v160
	v_mul_f32_e32 v160, v168, v160
	s_waitcnt vmcnt(55)
	v_mul_f32_e32 v203, v169, v161
	v_mul_f32_e32 v161, v170, v161
	v_fmac_f32_e32 v202, v168, v154
	v_fma_f32 v154, v167, v154, -v160
	s_waitcnt vmcnt(51)
	v_fmac_f32_e32 v203, v170, v175
	v_fma_f32 v175, v169, v175, -v161
	ds_read2_b64 v[167:170], v1 offset0:103 offset1:104
	v_add_f32_e32 v161, 0, v199
	v_add_f32_e32 v161, v161, v200
	s_waitcnt vmcnt(50) lgkmcnt(1)
	v_mul_f32_e32 v204, v163, v151
	v_mul_f32_e32 v151, v164, v151
	s_waitcnt vmcnt(49)
	v_mul_f32_e32 v205, v165, v150
	v_mul_f32_e32 v150, v166, v150
	v_fmac_f32_e32 v204, v164, v148
	v_fma_f32 v148, v163, v148, -v151
	v_fmac_f32_e32 v205, v166, v147
	v_fma_f32 v147, v165, v147, -v150
	ds_read2_b64 v[163:166], v1 offset0:105 offset1:106
	s_waitcnt vmcnt(48) lgkmcnt(1)
	v_mul_f32_e32 v150, v167, v9
	v_mul_f32_e32 v9, v168, v9
	s_waitcnt vmcnt(47)
	v_mul_f32_e32 v151, v169, v176
	v_mul_f32_e32 v160, v170, v176
	v_fmac_f32_e32 v150, v168, v5
	v_fma_f32 v5, v167, v5, -v9
	s_waitcnt vmcnt(43)
	v_fmac_f32_e32 v151, v170, v177
	v_fma_f32 v9, v169, v177, -v160
	ds_read2_b64 v[167:170], v1 offset0:107 offset1:108
	v_add_f32_e32 v160, 0, v171
	ds_read2_b64 v[171:174], v1 offset0:109 offset1:110
	v_add_f32_e32 v160, v160, v201
	s_waitcnt vmcnt(42) lgkmcnt(2)
	v_mul_f32_e32 v199, v163, v162
	v_mul_f32_e32 v162, v164, v162
	v_add_f32_e32 v154, v160, v154
	s_waitcnt vmcnt(41)
	v_mul_f32_e32 v201, v165, v155
	v_mul_f32_e32 v155, v166, v155
	v_fmac_f32_e32 v199, v164, v156
	v_fma_f32 v200, v163, v156, -v162
	v_add_f32_e32 v156, v161, v202
	v_add_f32_e32 v154, v154, v175
	ds_read2_b64 v[160:163], v1 offset0:111 offset1:112
	s_waitcnt vmcnt(40) lgkmcnt(2)
	v_mul_f32_e32 v202, v167, v152
	v_mul_f32_e32 v152, v168, v152
	v_add_f32_e32 v156, v156, v203
	v_add_f32_e32 v148, v154, v148
	s_waitcnt vmcnt(39)
	v_mul_f32_e32 v203, v169, v157
	v_fmac_f32_e32 v202, v168, v8
	v_fma_f32 v152, v167, v8, -v152
	v_add_f32_e32 v154, v156, v204
	v_add_f32_e32 v8, v148, v147
	v_mul_f32_e32 v175, v170, v157
	v_fmac_f32_e32 v201, v166, v10
	v_fma_f32 v10, v165, v10, -v155
	v_add_f32_e32 v147, v154, v205
	v_add_f32_e32 v5, v8, v5
	s_waitcnt vmcnt(34)
	v_fmac_f32_e32 v203, v170, v179
	v_fma_f32 v148, v169, v179, -v175
	s_waitcnt lgkmcnt(1)
	v_mul_f32_e32 v204, v171, v144
	v_add_f32_e32 v8, v147, v150
	v_add_f32_e32 v5, v5, v9
	s_waitcnt vmcnt(33)
	v_mul_f32_e32 v147, v173, v145
	v_mul_f32_e32 v9, v174, v145
	s_waitcnt vmcnt(32) lgkmcnt(0)
	v_mul_f32_e32 v150, v160, v142
	v_add_f32_e32 v8, v8, v151
	v_mul_f32_e32 v142, v161, v142
	v_add_f32_e32 v5, v5, v200
	s_waitcnt vmcnt(31)
	v_mul_f32_e32 v179, v163, v143
	v_fmac_f32_e32 v147, v174, v12
	v_fma_f32 v12, v173, v12, -v9
	v_fma_f32 v173, v160, v11, -v142
	v_add_f32_e32 v160, v8, v199
	v_add_f32_e32 v5, v5, v10
	s_waitcnt vmcnt(27)
	v_fma_f32 v174, v162, v183, -v179
	v_mul_f32_e32 v144, v172, v144
	ds_read2_b64 v[154:157], v1 offset0:113 offset1:114
	ds_read2_b64 v[164:167], v1 offset0:115 offset1:116
	v_add_f32_e32 v179, v160, v201
	v_add_f32_e32 v5, v5, v152
	v_fmac_f32_e32 v204, v172, v178
	v_fma_f32 v172, v171, v178, -v144
	v_mul_f32_e32 v151, v162, v143
	v_add_f32_e32 v179, v179, v202
	v_add_f32_e32 v5, v5, v148
	v_fmac_f32_e32 v150, v161, v11
	ds_read2_b64 v[168:171], v1 offset0:117 offset1:118
	ds_read2_b64 v[175:178], v1 offset0:119 offset1:120
	;; [unrolled: 1-line block ×4, first 2 shown]
	v_add_f32_e32 v179, v179, v203
	v_add_f32_e32 v5, v5, v172
	v_fmac_f32_e32 v151, v163, v183
	ds_read2_b64 v[160:163], v1 offset0:125 offset1:126
	v_add_f32_e32 v179, v179, v204
	v_add_f32_e32 v5, v5, v12
	s_waitcnt vmcnt(26) lgkmcnt(6)
	v_mul_f32_e32 v152, v155, v184
	v_mul_f32_e32 v1, v154, v184
	v_add_f32_e32 v147, v179, v147
	v_add_f32_e32 v5, v5, v173
	s_waitcnt vmcnt(25)
	v_mul_f32_e32 v184, v157, v185
	v_fma_f32 v152, v154, v182, -v152
	v_mul_f32_e32 v183, v156, v185
	v_add_f32_e32 v147, v147, v150
	v_add_f32_e32 v5, v5, v174
	v_fmac_f32_e32 v1, v155, v182
	v_fma_f32 v155, v156, v181, -v184
	s_waitcnt vmcnt(24) lgkmcnt(5)
	v_mul_f32_e32 v148, v164, v186
	v_add_f32_e32 v147, v147, v151
	v_mul_f32_e32 v151, v165, v186
	v_add_f32_e32 v5, v5, v152
	v_fmac_f32_e32 v183, v157, v181
	s_waitcnt vmcnt(23)
	v_mul_f32_e32 v185, v166, v187
	v_add_f32_e32 v1, v147, v1
	v_mul_f32_e32 v147, v167, v187
	v_fma_f32 v151, v164, v180, -v151
	v_add_f32_e32 v5, v5, v155
	v_fmac_f32_e32 v148, v165, v180
	v_add_f32_e32 v1, v1, v183
	s_waitcnt vmcnt(22) lgkmcnt(4)
	v_mul_f32_e32 v152, v169, v188
	s_waitcnt vmcnt(9)
	v_fma_f32 v147, v166, v193, -v147
	v_add_f32_e32 v5, v5, v151
	v_mul_f32_e32 v199, v168, v188
	v_fmac_f32_e32 v185, v167, v193
	v_add_f32_e32 v1, v1, v148
	v_mul_f32_e32 v148, v171, v189
	v_fma_f32 v151, v168, v192, -v152
	v_add_f32_e32 v5, v5, v147
	v_mul_f32_e32 v172, v170, v189
	v_fmac_f32_e32 v199, v169, v192
	v_add_f32_e32 v1, v1, v185
	s_waitcnt lgkmcnt(3)
	v_mul_f32_e32 v147, v176, v190
	v_fma_f32 v148, v170, v191, -v148
	v_add_f32_e32 v5, v5, v151
	v_mul_f32_e32 v200, v175, v190
	v_fmac_f32_e32 v172, v171, v191
	v_add_f32_e32 v1, v1, v199
	v_mul_f32_e32 v151, v178, v153
	v_fma_f32 v147, v175, v159, -v147
	v_add_f32_e32 v5, v5, v148
	v_mul_f32_e32 v201, v177, v153
	v_fmac_f32_e32 v200, v176, v159
	v_add_f32_e32 v1, v1, v172
	s_waitcnt lgkmcnt(2)
	v_mul_f32_e32 v12, v8, v146
	v_mul_f32_e32 v146, v9, v146
	s_waitcnt vmcnt(5)
	v_fma_f32 v148, v177, v158, -v151
	v_add_f32_e32 v5, v5, v147
	v_fmac_f32_e32 v201, v178, v158
	v_add_f32_e32 v1, v1, v200
	v_mul_f32_e32 v179, v10, v140
	v_mul_f32_e32 v140, v11, v140
	v_fma_f32 v8, v8, v149, -v146
	v_add_f32_e32 v5, v5, v148
	v_fmac_f32_e32 v12, v9, v149
	v_add_f32_e32 v1, v1, v201
	s_waitcnt lgkmcnt(1)
	v_mul_f32_e32 v202, v142, v7
	v_mul_f32_e32 v7, v143, v7
	v_fma_f32 v9, v10, v141, -v140
	v_add_f32_e32 v5, v5, v8
	v_fmac_f32_e32 v179, v11, v141
	v_add_f32_e32 v1, v1, v12
	v_mul_f32_e32 v173, v144, v4
	v_mul_f32_e32 v4, v145, v4
	v_fmac_f32_e32 v202, v143, v6
	v_fma_f32 v6, v142, v6, -v7
	v_add_f32_e32 v5, v5, v9
	v_add_f32_e32 v1, v1, v179
	s_waitcnt lgkmcnt(0)
	v_mul_f32_e32 v150, v160, v3
	v_mul_f32_e32 v3, v161, v3
	s_waitcnt vmcnt(2)
	v_fma_f32 v4, v144, v196, -v4
	v_add_f32_e32 v5, v5, v6
	v_fmac_f32_e32 v173, v145, v196
	v_add_f32_e32 v1, v1, v202
	v_mul_f32_e32 v154, v162, v2
	v_mul_f32_e32 v2, v163, v2
	v_fma_f32 v3, v160, v195, -v3
	v_add_f32_e32 v4, v5, v4
	v_fmac_f32_e32 v150, v161, v195
	v_add_f32_e32 v1, v1, v173
	v_fma_f32 v2, v162, v194, -v2
	v_fmac_f32_e32 v154, v163, v194
	v_add_f32_e32 v3, v4, v3
	v_add_f32_e32 v1, v1, v150
	;; [unrolled: 1-line block ×4, first 2 shown]
	s_waitcnt vmcnt(1)
	v_sub_f32_e32 v2, v197, v2
	s_waitcnt vmcnt(0)
	v_sub_f32_e32 v1, v198, v1
	buffer_store_dword v2, off, s[0:3], 0 offset:256
	buffer_store_dword v1, off, s[0:3], 0 offset:260
	v_cmpx_lt_u32_e32 31, v0
	s_cbranch_execz .LBB62_329
; %bb.328:
	s_clause 0x1
	buffer_load_dword v1, off, s[0:3], 0 offset:248
	buffer_load_dword v2, off, s[0:3], 0 offset:252
	v_mov_b32_e32 v3, 0
	buffer_store_dword v3, off, s[0:3], 0 offset:248
	buffer_store_dword v3, off, s[0:3], 0 offset:252
	s_waitcnt vmcnt(0)
	ds_write_b64 v139, v[1:2]
.LBB62_329:
	s_or_b32 exec_lo, exec_lo, s4
	s_waitcnt lgkmcnt(0)
	s_waitcnt_vscnt null, 0x0
	s_barrier
	buffer_gl0_inv
	s_clause 0x3e
	buffer_load_dword v10, off, s[0:3], 0 offset:260
	buffer_load_dword v11, off, s[0:3], 0 offset:268
	;; [unrolled: 1-line block ×64, first 2 shown]
	v_mov_b32_e32 v1, 0
	ds_read_b128 v[2:5], v1 offset:768
	ds_read_b128 v[6:9], v1 offset:784
	s_mov_b32 s4, exec_lo
	s_waitcnt vmcnt(62) lgkmcnt(1)
	v_mul_f32_e32 v201, v3, v10
	v_mul_f32_e32 v10, v2, v10
	;; [unrolled: 1-line block ×4, first 2 shown]
	s_waitcnt vmcnt(59)
	v_fma_f32 v201, v2, v141, -v201
	v_fmac_f32_e32 v10, v3, v141
	v_fmac_f32_e32 v202, v5, v140
	v_fma_f32 v11, v4, v140, -v11
	ds_read_b128 v[2:5], v1 offset:800
	s_waitcnt vmcnt(58) lgkmcnt(1)
	v_mul_f32_e32 v203, v6, v142
	v_mul_f32_e32 v140, v7, v142
	s_waitcnt vmcnt(57)
	v_mul_f32_e32 v204, v8, v143
	v_mul_f32_e32 v141, v9, v143
	v_add_f32_e32 v10, 0, v10
	v_fmac_f32_e32 v203, v7, v12
	v_fma_f32 v12, v6, v12, -v140
	s_waitcnt vmcnt(53)
	v_fmac_f32_e32 v204, v9, v147
	v_fma_f32 v147, v8, v147, -v141
	ds_read_b128 v[6:9], v1 offset:816
	v_add_f32_e32 v10, v10, v202
	v_add_f32_e32 v10, v10, v203
	s_waitcnt vmcnt(52) lgkmcnt(1)
	v_mul_f32_e32 v205, v2, v148
	v_mul_f32_e32 v140, v3, v148
	s_waitcnt vmcnt(51)
	v_mul_f32_e32 v148, v4, v149
	v_mul_f32_e32 v141, v5, v149
	v_fmac_f32_e32 v205, v3, v146
	v_fma_f32 v149, v2, v146, -v140
	v_fmac_f32_e32 v148, v5, v145
	v_fma_f32 v206, v4, v145, -v141
	ds_read_b128 v[2:5], v1 offset:832
	s_waitcnt vmcnt(50) lgkmcnt(1)
	v_mul_f32_e32 v140, v7, v150
	v_mul_f32_e32 v207, v6, v150
	s_waitcnt vmcnt(49)
	v_mul_f32_e32 v208, v8, v151
	v_mul_f32_e32 v141, v9, v151
	v_fma_f32 v150, v6, v144, -v140
	v_add_f32_e32 v140, 0, v201
	v_fmac_f32_e32 v207, v7, v144
	s_waitcnt vmcnt(45)
	v_fmac_f32_e32 v208, v9, v155
	v_fma_f32 v155, v8, v155, -v141
	ds_read_b128 v[6:9], v1 offset:848
	v_add_f32_e32 v11, v140, v11
	ds_read_b128 v[140:143], v1 offset:864
	v_add_f32_e32 v11, v11, v12
	s_waitcnt vmcnt(44) lgkmcnt(2)
	v_mul_f32_e32 v144, v3, v156
	v_mul_f32_e32 v12, v2, v156
	v_add_f32_e32 v11, v11, v147
	v_fma_f32 v156, v2, v154, -v144
	v_add_f32_e32 v2, v10, v204
	v_fmac_f32_e32 v12, v3, v154
	v_add_f32_e32 v3, v11, v149
	ds_read_b128 v[144:147], v1 offset:880
	s_waitcnt vmcnt(43)
	v_mul_f32_e32 v10, v4, v157
	v_add_f32_e32 v2, v2, v205
	s_waitcnt vmcnt(42) lgkmcnt(2)
	v_mul_f32_e32 v149, v7, v158
	v_add_f32_e32 v3, v3, v206
	v_mul_f32_e32 v201, v6, v158
	v_mul_f32_e32 v11, v5, v157
	v_add_f32_e32 v2, v2, v148
	s_waitcnt vmcnt(40) lgkmcnt(1)
	v_mul_f32_e32 v203, v140, v160
	v_fma_f32 v157, v6, v152, -v149
	v_add_f32_e32 v6, v3, v150
	v_fmac_f32_e32 v201, v7, v152
	v_add_f32_e32 v7, v2, v207
	v_mul_f32_e32 v152, v141, v160
	s_waitcnt vmcnt(37)
	v_fmac_f32_e32 v203, v141, v163
	v_add_f32_e32 v141, v6, v155
	v_fma_f32 v11, v4, v153, -v11
	v_fmac_f32_e32 v10, v5, v153
	v_fma_f32 v163, v140, v163, -v152
	v_add_f32_e32 v140, v7, v208
	v_add_f32_e32 v141, v141, v156
	v_mul_f32_e32 v154, v9, v159
	v_mul_f32_e32 v202, v8, v159
	ds_read_b128 v[2:5], v1 offset:896
	ds_read_b128 v[148:151], v1 offset:912
	v_add_f32_e32 v12, v140, v12
	v_add_f32_e32 v11, v141, v11
	s_waitcnt vmcnt(36)
	v_fma_f32 v160, v8, v164, -v154
	v_fmac_f32_e32 v202, v9, v164
	s_waitcnt vmcnt(35)
	v_mul_f32_e32 v164, v142, v165
	v_add_f32_e32 v10, v12, v10
	v_add_f32_e32 v12, v11, v157
	v_mul_f32_e32 v156, v143, v165
	s_waitcnt vmcnt(34) lgkmcnt(2)
	v_mul_f32_e32 v165, v144, v166
	s_waitcnt vmcnt(33)
	v_mul_f32_e32 v204, v146, v167
	v_mul_f32_e32 v140, v145, v166
	v_mul_f32_e32 v166, v147, v167
	v_add_f32_e32 v167, v10, v201
	v_add_f32_e32 v12, v12, v160
	v_fmac_f32_e32 v164, v143, v162
	v_fma_f32 v162, v142, v162, -v156
	v_fmac_f32_e32 v165, v145, v161
	v_add_f32_e32 v167, v167, v202
	v_add_f32_e32 v12, v12, v163
	v_fma_f32 v161, v144, v161, -v140
	s_waitcnt vmcnt(29)
	v_fma_f32 v166, v146, v171, -v166
	s_waitcnt vmcnt(28) lgkmcnt(1)
	v_mul_f32_e32 v160, v2, v172
	v_add_f32_e32 v167, v167, v203
	v_add_f32_e32 v12, v12, v162
	v_mul_f32_e32 v172, v3, v172
	ds_read_b128 v[6:9], v1 offset:928
	ds_read_b128 v[152:155], v1 offset:944
	v_fmac_f32_e32 v204, v147, v171
	v_add_f32_e32 v164, v167, v164
	v_add_f32_e32 v12, v12, v161
	s_waitcnt vmcnt(27)
	v_mul_f32_e32 v171, v4, v173
	v_mul_f32_e32 v173, v5, v173
	v_fma_f32 v2, v2, v170, -v172
	v_add_f32_e32 v161, v164, v165
	v_add_f32_e32 v12, v12, v166
	v_fmac_f32_e32 v160, v3, v170
	s_waitcnt vmcnt(26) lgkmcnt(2)
	v_mul_f32_e32 v170, v149, v174
	v_fma_f32 v4, v4, v169, -v173
	v_add_f32_e32 v161, v161, v204
	v_add_f32_e32 v2, v12, v2
	v_mul_f32_e32 v163, v148, v174
	v_fmac_f32_e32 v171, v5, v169
	s_waitcnt vmcnt(25)
	v_mul_f32_e32 v166, v151, v175
	v_add_f32_e32 v12, v161, v160
	v_fma_f32 v148, v148, v168, -v170
	v_add_f32_e32 v2, v2, v4
	v_mul_f32_e32 v201, v150, v175
	v_fmac_f32_e32 v163, v149, v168
	v_add_f32_e32 v4, v12, v171
	s_waitcnt vmcnt(24) lgkmcnt(1)
	v_mul_f32_e32 v12, v7, v176
	s_waitcnt vmcnt(10)
	v_fma_f32 v149, v150, v190, -v166
	v_add_f32_e32 v2, v2, v148
	ds_read_b128 v[140:143], v1 offset:960
	ds_read_b128 v[156:159], v1 offset:976
	v_mul_f32_e32 v3, v6, v176
	v_fmac_f32_e32 v201, v151, v190
	v_add_f32_e32 v4, v4, v163
	v_mul_f32_e32 v148, v9, v177
	v_fma_f32 v6, v6, v189, -v12
	v_add_f32_e32 v2, v2, v149
	v_mul_f32_e32 v162, v8, v177
	v_fmac_f32_e32 v3, v7, v189
	v_add_f32_e32 v4, v4, v201
	s_waitcnt lgkmcnt(2)
	v_mul_f32_e32 v7, v153, v178
	v_fma_f32 v8, v8, v188, -v148
	v_add_f32_e32 v2, v2, v6
	v_mul_f32_e32 v167, v152, v178
	v_fmac_f32_e32 v162, v9, v188
	v_add_f32_e32 v3, v4, v3
	v_mul_f32_e32 v4, v155, v179
	v_fma_f32 v6, v152, v187, -v7
	v_add_f32_e32 v2, v2, v8
	v_mul_f32_e32 v5, v154, v179
	v_fmac_f32_e32 v167, v153, v187
	v_add_f32_e32 v3, v3, v162
	s_waitcnt lgkmcnt(1)
	v_mul_f32_e32 v7, v141, v180
	s_waitcnt vmcnt(6)
	v_fma_f32 v4, v154, v194, -v4
	v_add_f32_e32 v2, v2, v6
	ds_read_b128 v[144:147], v1 offset:992
	ds_read_b64 v[10:11], v1 offset:1008
	v_mul_f32_e32 v169, v140, v180
	v_fmac_f32_e32 v5, v155, v194
	v_add_f32_e32 v3, v3, v167
	v_mul_f32_e32 v6, v143, v181
	v_fma_f32 v7, v140, v193, -v7
	v_add_f32_e32 v2, v2, v4
	v_mul_f32_e32 v164, v142, v181
	v_fmac_f32_e32 v169, v141, v193
	v_add_f32_e32 v3, v3, v5
	s_waitcnt lgkmcnt(2)
	v_mul_f32_e32 v4, v157, v182
	v_fma_f32 v5, v142, v192, -v6
	v_add_f32_e32 v2, v2, v7
	v_mul_f32_e32 v165, v156, v182
	v_fmac_f32_e32 v164, v143, v192
	v_add_f32_e32 v3, v3, v169
	v_mul_f32_e32 v6, v159, v183
	v_fma_f32 v4, v156, v191, -v4
	v_add_f32_e32 v2, v2, v5
	v_mul_f32_e32 v172, v158, v183
	v_fmac_f32_e32 v165, v157, v191
	v_add_f32_e32 v3, v3, v164
	s_waitcnt lgkmcnt(1)
	v_mul_f32_e32 v5, v145, v184
	s_waitcnt vmcnt(2)
	v_fma_f32 v6, v158, v198, -v6
	v_add_f32_e32 v2, v2, v4
	v_mul_f32_e32 v173, v144, v184
	v_fmac_f32_e32 v172, v159, v198
	v_add_f32_e32 v3, v3, v165
	v_mul_f32_e32 v4, v147, v185
	v_fma_f32 v5, v144, v197, -v5
	v_add_f32_e32 v2, v2, v6
	v_mul_f32_e32 v174, v146, v185
	v_fmac_f32_e32 v173, v145, v197
	v_add_f32_e32 v3, v3, v172
	s_waitcnt lgkmcnt(0)
	v_mul_f32_e32 v6, v11, v186
	v_fma_f32 v4, v146, v196, -v4
	v_add_f32_e32 v2, v2, v5
	v_mul_f32_e32 v160, v10, v186
	v_fmac_f32_e32 v174, v147, v196
	v_add_f32_e32 v3, v3, v173
	v_fma_f32 v5, v10, v195, -v6
	v_add_f32_e32 v2, v2, v4
	v_fmac_f32_e32 v160, v11, v195
	v_add_f32_e32 v3, v3, v174
	v_add_f32_e32 v2, v2, v5
	v_add_f32_e32 v3, v3, v160
	s_waitcnt vmcnt(1)
	v_sub_f32_e32 v2, v199, v2
	s_waitcnt vmcnt(0)
	v_sub_f32_e32 v3, v200, v3
	buffer_store_dword v2, off, s[0:3], 0 offset:248
	buffer_store_dword v3, off, s[0:3], 0 offset:252
	v_cmpx_lt_u32_e32 30, v0
	s_cbranch_execz .LBB62_331
; %bb.330:
	s_clause 0x1
	buffer_load_dword v2, off, s[0:3], 0 offset:240
	buffer_load_dword v3, off, s[0:3], 0 offset:244
	buffer_store_dword v1, off, s[0:3], 0 offset:240
	buffer_store_dword v1, off, s[0:3], 0 offset:244
	s_waitcnt vmcnt(0)
	ds_write_b64 v139, v[2:3]
.LBB62_331:
	s_or_b32 exec_lo, exec_lo, s4
	s_waitcnt lgkmcnt(0)
	s_waitcnt_vscnt null, 0x0
	s_barrier
	buffer_gl0_inv
	s_clause 0x31
	buffer_load_dword v10, off, s[0:3], 0 offset:252
	buffer_load_dword v11, off, s[0:3], 0 offset:260
	;; [unrolled: 1-line block ×50, first 2 shown]
	ds_read2_b64 v[2:5], v1 offset0:95 offset1:96
	s_clause 0x4
	buffer_load_dword v191, off, s[0:3], 0 offset:500
	buffer_load_dword v192, off, s[0:3], 0 offset:424
	buffer_load_dword v193, off, s[0:3], 0 offset:416
	buffer_load_dword v194, off, s[0:3], 0 offset:408
	buffer_load_dword v195, off, s[0:3], 0 offset:400
	ds_read2_b64 v[6:9], v1 offset0:97 offset1:98
	ds_read2_b64 v[140:143], v1 offset0:99 offset1:100
	s_clause 0x4
	buffer_load_dword v196, off, s[0:3], 0 offset:456
	buffer_load_dword v197, off, s[0:3], 0 offset:448
	;; [unrolled: 1-line block ×5, first 2 shown]
	s_mov_b32 s4, exec_lo
	s_waitcnt vmcnt(59) lgkmcnt(2)
	v_mul_f32_e32 v200, v3, v10
	v_mul_f32_e32 v10, v2, v10
	s_waitcnt vmcnt(58)
	v_mul_f32_e32 v202, v4, v11
	v_mul_f32_e32 v11, v5, v11
	s_waitcnt vmcnt(55)
	v_fma_f32 v200, v2, v145, -v200
	v_fmac_f32_e32 v10, v3, v145
	s_waitcnt vmcnt(54) lgkmcnt(1)
	v_mul_f32_e32 v145, v6, v146
	v_mul_f32_e32 v146, v7, v146
	v_fmac_f32_e32 v202, v5, v144
	v_fma_f32 v11, v4, v144, -v11
	ds_read2_b64 v[2:5], v1 offset0:101 offset1:102
	s_clause 0x3
	buffer_load_dword v203, off, s[0:3], 0 offset:488
	buffer_load_dword v204, off, s[0:3], 0 offset:480
	buffer_load_dword v205, off, s[0:3], 0 offset:472
	buffer_load_dword v206, off, s[0:3], 0 offset:464
	s_waitcnt vmcnt(57)
	v_mul_f32_e32 v144, v8, v147
	v_mul_f32_e32 v147, v9, v147
	v_fmac_f32_e32 v145, v7, v12
	v_fma_f32 v12, v6, v12, -v146
	s_waitcnt vmcnt(56) lgkmcnt(1)
	v_mul_f32_e32 v146, v140, v148
	v_mul_f32_e32 v6, v141, v148
	s_waitcnt vmcnt(51)
	v_mul_f32_e32 v148, v142, v153
	v_mul_f32_e32 v7, v143, v153
	v_fmac_f32_e32 v144, v9, v152
	v_fma_f32 v147, v8, v152, -v147
	v_fmac_f32_e32 v146, v141, v151
	v_fma_f32 v151, v140, v151, -v6
	;; [unrolled: 2-line block ×3, first 2 shown]
	ds_read2_b64 v[6:9], v1 offset0:103 offset1:104
	buffer_load_dword v207, off, s[0:3], 0 offset:496
	s_waitcnt vmcnt(51) lgkmcnt(1)
	v_mul_f32_e32 v152, v2, v154
	v_mul_f32_e32 v140, v3, v154
	s_waitcnt vmcnt(50)
	v_mul_f32_e32 v153, v4, v155
	v_mul_f32_e32 v141, v5, v155
	v_fmac_f32_e32 v152, v3, v149
	v_fma_f32 v149, v2, v149, -v140
	s_waitcnt vmcnt(46)
	v_fmac_f32_e32 v153, v5, v159
	v_fma_f32 v154, v4, v159, -v141
	ds_read2_b64 v[2:5], v1 offset0:105 offset1:106
	s_waitcnt vmcnt(45) lgkmcnt(1)
	v_mul_f32_e32 v155, v6, v160
	v_mul_f32_e32 v140, v7, v160
	buffer_load_dword v160, off, s[0:3], 0 offset:240
	v_fmac_f32_e32 v155, v7, v158
	v_fma_f32 v158, v6, v158, -v140
	v_add_f32_e32 v6, 0, v200
	v_add_f32_e32 v7, 0, v10
	s_waitcnt vmcnt(45)
	v_mul_f32_e32 v10, v9, v161
	v_add_f32_e32 v6, v6, v11
	v_add_f32_e32 v140, v7, v202
	v_mul_f32_e32 v11, v8, v161
	v_fma_f32 v10, v8, v157, -v10
	s_waitcnt vmcnt(43) lgkmcnt(0)
	v_mul_f32_e32 v159, v4, v163
	v_add_f32_e32 v12, v6, v12
	v_add_f32_e32 v145, v140, v145
	v_fmac_f32_e32 v11, v9, v157
	v_mul_f32_e32 v157, v2, v162
	ds_read2_b64 v[6:9], v1 offset0:107 offset1:108
	ds_read2_b64 v[140:143], v1 offset0:109 offset1:110
	v_add_f32_e32 v12, v12, v147
	v_add_f32_e32 v144, v145, v144
	v_mul_f32_e32 v147, v3, v162
	v_mul_f32_e32 v145, v5, v163
	v_fmac_f32_e32 v157, v3, v156
	v_add_f32_e32 v12, v12, v151
	v_add_f32_e32 v151, v144, v146
	v_fma_f32 v156, v2, v156, -v147
	s_waitcnt vmcnt(39)
	v_fmac_f32_e32 v159, v5, v167
	v_fma_f32 v161, v4, v167, -v145
	v_add_f32_e32 v12, v12, v150
	ds_read2_b64 v[2:5], v1 offset0:111 offset1:112
	ds_read2_b64 v[144:147], v1 offset0:113 offset1:114
	v_add_f32_e32 v148, v151, v148
	v_add_f32_e32 v12, v12, v149
	;; [unrolled: 1-line block ×3, first 2 shown]
	s_waitcnt vmcnt(38) lgkmcnt(3)
	v_mul_f32_e32 v162, v6, v168
	v_mul_f32_e32 v150, v7, v168
	v_add_f32_e32 v12, v12, v154
	s_waitcnt vmcnt(37)
	v_mul_f32_e32 v163, v8, v169
	v_add_f32_e32 v152, v148, v153
	v_mul_f32_e32 v151, v9, v169
	v_fmac_f32_e32 v162, v7, v166
	v_add_f32_e32 v12, v12, v158
	v_fma_f32 v166, v6, v166, -v150
	v_add_f32_e32 v158, v152, v155
	s_waitcnt vmcnt(36) lgkmcnt(2)
	v_mul_f32_e32 v167, v140, v170
	v_mul_f32_e32 v168, v141, v170
	v_add_f32_e32 v10, v12, v10
	s_waitcnt vmcnt(30) lgkmcnt(1)
	v_mul_f32_e32 v12, v2, v176
	v_add_f32_e32 v11, v158, v11
	v_mul_f32_e32 v158, v3, v176
	v_fmac_f32_e32 v163, v9, v165
	v_fma_f32 v165, v8, v165, -v151
	v_fmac_f32_e32 v12, v3, v174
	v_add_f32_e32 v3, v10, v156
	v_add_f32_e32 v10, v11, v157
	v_mul_f32_e32 v153, v143, v171
	v_fmac_f32_e32 v167, v141, v164
	v_fma_f32 v164, v140, v164, -v168
	v_add_f32_e32 v161, v3, v161
	v_add_f32_e32 v10, v10, v159
	v_mul_f32_e32 v169, v142, v171
	v_fma_f32 v168, v142, v175, -v153
	ds_read2_b64 v[6:9], v1 offset0:115 offset1:116
	ds_read2_b64 v[148:151], v1 offset0:117 offset1:118
	v_add_f32_e32 v161, v161, v166
	v_add_f32_e32 v10, v10, v162
	v_fmac_f32_e32 v169, v143, v175
	s_waitcnt vmcnt(29)
	v_mul_f32_e32 v171, v5, v177
	v_fma_f32 v11, v2, v174, -v158
	v_add_f32_e32 v161, v161, v165
	v_add_f32_e32 v10, v10, v163
	v_mul_f32_e32 v170, v4, v177
	v_fma_f32 v171, v4, v173, -v171
	s_waitcnt vmcnt(28) lgkmcnt(2)
	v_mul_f32_e32 v166, v145, v178
	v_add_f32_e32 v161, v161, v164
	v_add_f32_e32 v10, v10, v167
	ds_read2_b64 v[140:143], v1 offset0:119 offset1:120
	ds_read2_b64 v[152:155], v1 offset0:121 offset1:122
	v_fmac_f32_e32 v170, v5, v173
	ds_read2_b64 v[2:5], v1 offset0:123 offset1:124
	ds_read2_b64 v[156:159], v1 offset0:125 offset1:126
	v_add_f32_e32 v161, v161, v168
	v_add_f32_e32 v10, v10, v169
	v_mul_f32_e32 v1, v144, v178
	s_waitcnt vmcnt(27)
	v_mul_f32_e32 v173, v147, v179
	v_fma_f32 v144, v144, v172, -v166
	v_add_f32_e32 v11, v161, v11
	v_add_f32_e32 v10, v10, v12
	v_mul_f32_e32 v162, v146, v179
	v_fmac_f32_e32 v1, v145, v172
	s_waitcnt vmcnt(26) lgkmcnt(5)
	v_mul_f32_e32 v165, v6, v180
	v_add_f32_e32 v11, v11, v171
	v_add_f32_e32 v10, v10, v170
	v_mul_f32_e32 v166, v7, v180
	s_waitcnt vmcnt(11)
	v_fma_f32 v146, v146, v195, -v173
	v_fmac_f32_e32 v162, v147, v195
	v_add_f32_e32 v11, v11, v144
	v_add_f32_e32 v1, v10, v1
	v_mul_f32_e32 v10, v9, v181
	v_fmac_f32_e32 v165, v7, v194
	v_fma_f32 v6, v6, v194, -v166
	v_add_f32_e32 v7, v11, v146
	v_mul_f32_e32 v163, v8, v181
	v_add_f32_e32 v1, v1, v162
	s_waitcnt lgkmcnt(4)
	v_mul_f32_e32 v11, v149, v182
	v_fma_f32 v8, v8, v193, -v10
	v_add_f32_e32 v6, v7, v6
	v_mul_f32_e32 v174, v148, v182
	v_fmac_f32_e32 v163, v9, v193
	v_add_f32_e32 v1, v1, v165
	v_mul_f32_e32 v7, v151, v183
	v_fma_f32 v9, v148, v192, -v11
	v_add_f32_e32 v6, v6, v8
	v_mul_f32_e32 v164, v150, v183
	v_fmac_f32_e32 v174, v149, v192
	v_add_f32_e32 v1, v1, v163
	s_waitcnt lgkmcnt(3)
	v_mul_f32_e32 v8, v141, v184
	s_waitcnt vmcnt(7)
	v_fma_f32 v7, v150, v199, -v7
	v_add_f32_e32 v6, v6, v9
	v_mul_f32_e32 v167, v140, v184
	v_fmac_f32_e32 v164, v151, v199
	v_add_f32_e32 v1, v1, v174
	v_mul_f32_e32 v9, v143, v185
	v_fma_f32 v8, v140, v198, -v8
	v_add_f32_e32 v6, v6, v7
	v_mul_f32_e32 v175, v142, v185
	v_fmac_f32_e32 v167, v141, v198
	v_add_f32_e32 v1, v1, v164
	s_waitcnt lgkmcnt(2)
	v_mul_f32_e32 v7, v153, v186
	v_fma_f32 v9, v142, v197, -v9
	v_add_f32_e32 v6, v6, v8
	v_mul_f32_e32 v168, v152, v186
	v_fmac_f32_e32 v175, v143, v197
	v_add_f32_e32 v1, v1, v167
	v_mul_f32_e32 v8, v155, v187
	v_fma_f32 v7, v152, v196, -v7
	v_add_f32_e32 v6, v6, v9
	v_mul_f32_e32 v169, v154, v187
	v_fmac_f32_e32 v168, v153, v196
	v_add_f32_e32 v1, v1, v175
	s_waitcnt lgkmcnt(1)
	v_mul_f32_e32 v176, v2, v188
	v_mul_f32_e32 v9, v3, v188
	v_add_f32_e32 v6, v6, v7
	v_mul_f32_e32 v7, v5, v189
	v_add_f32_e32 v1, v1, v168
	v_mul_f32_e32 v161, v4, v189
	s_waitcnt lgkmcnt(0)
	v_mul_f32_e32 v12, v156, v190
	v_mul_f32_e32 v145, v158, v191
	s_waitcnt vmcnt(5)
	v_fmac_f32_e32 v12, v157, v203
	s_waitcnt vmcnt(4)
	v_fma_f32 v4, v4, v204, -v7
	s_waitcnt vmcnt(3)
	v_fmac_f32_e32 v176, v3, v205
	s_waitcnt vmcnt(2)
	v_fma_f32 v8, v154, v206, -v8
	v_fmac_f32_e32 v169, v155, v206
	v_fma_f32 v2, v2, v205, -v9
	v_fmac_f32_e32 v161, v5, v204
	v_add_f32_e32 v3, v6, v8
	v_add_f32_e32 v1, v1, v169
	v_mul_f32_e32 v6, v157, v190
	v_add_f32_e32 v2, v3, v2
	v_add_f32_e32 v1, v1, v176
	v_mul_f32_e32 v3, v159, v191
	v_fma_f32 v5, v156, v203, -v6
	v_add_f32_e32 v2, v2, v4
	v_add_f32_e32 v1, v1, v161
	s_waitcnt vmcnt(1)
	v_fma_f32 v3, v158, v207, -v3
	v_fmac_f32_e32 v145, v159, v207
	v_add_f32_e32 v2, v2, v5
	v_add_f32_e32 v1, v1, v12
	v_add_f32_e32 v2, v2, v3
	v_add_f32_e32 v1, v1, v145
	v_sub_f32_e32 v1, v201, v1
	s_waitcnt vmcnt(0)
	v_sub_f32_e32 v2, v160, v2
	buffer_store_dword v2, off, s[0:3], 0 offset:240
	buffer_store_dword v1, off, s[0:3], 0 offset:244
	v_cmpx_lt_u32_e32 29, v0
	s_cbranch_execz .LBB62_333
; %bb.332:
	s_clause 0x1
	buffer_load_dword v1, off, s[0:3], 0 offset:232
	buffer_load_dword v2, off, s[0:3], 0 offset:236
	v_mov_b32_e32 v3, 0
	buffer_store_dword v3, off, s[0:3], 0 offset:232
	buffer_store_dword v3, off, s[0:3], 0 offset:236
	s_waitcnt vmcnt(0)
	ds_write_b64 v139, v[1:2]
.LBB62_333:
	s_or_b32 exec_lo, exec_lo, s4
	s_waitcnt lgkmcnt(0)
	s_waitcnt_vscnt null, 0x0
	s_barrier
	buffer_gl0_inv
	s_clause 0x26
	buffer_load_dword v2, off, s[0:3], 0 offset:244
	buffer_load_dword v3, off, s[0:3], 0 offset:252
	;; [unrolled: 1-line block ×39, first 2 shown]
	v_mov_b32_e32 v1, 0
	s_clause 0x2
	buffer_load_dword v180, off, s[0:3], 0 offset:404
	buffer_load_dword v181, off, s[0:3], 0 offset:412
	;; [unrolled: 1-line block ×3, first 2 shown]
	s_mov_b32 s4, exec_lo
	ds_read_b128 v[4:7], v1 offset:752
	s_clause 0x1
	buffer_load_dword v183, off, s[0:3], 0 offset:428
	buffer_load_dword v184, off, s[0:3], 0 offset:436
	ds_read_b128 v[8:11], v1 offset:768
	s_clause 0xc
	buffer_load_dword v185, off, s[0:3], 0 offset:416
	buffer_load_dword v186, off, s[0:3], 0 offset:408
	;; [unrolled: 1-line block ×13, first 2 shown]
	ds_read_b128 v[140:143], v1 offset:784
	s_waitcnt vmcnt(56) lgkmcnt(2)
	v_mul_f32_e32 v198, v5, v2
	v_mul_f32_e32 v199, v4, v2
	s_waitcnt vmcnt(55)
	v_mul_f32_e32 v200, v6, v3
	v_mul_f32_e32 v2, v7, v3
	s_waitcnt vmcnt(54) lgkmcnt(1)
	v_mul_f32_e32 v201, v8, v12
	s_waitcnt vmcnt(51)
	v_fma_f32 v198, v4, v146, -v198
	v_fmac_f32_e32 v199, v5, v146
	v_fmac_f32_e32 v200, v7, v145
	v_fma_f32 v145, v6, v145, -v2
	ds_read_b128 v[2:5], v1 offset:800
	s_clause 0x3
	buffer_load_dword v202, off, s[0:3], 0 offset:448
	buffer_load_dword v203, off, s[0:3], 0 offset:440
	;; [unrolled: 1-line block ×4, first 2 shown]
	s_waitcnt vmcnt(54)
	v_mul_f32_e32 v146, v10, v147
	v_mul_f32_e32 v6, v11, v147
	;; [unrolled: 1-line block ×3, first 2 shown]
	v_fmac_f32_e32 v201, v9, v144
	s_waitcnt vmcnt(48) lgkmcnt(1)
	v_mul_f32_e32 v147, v143, v153
	v_fmac_f32_e32 v146, v11, v151
	v_fma_f32 v10, v10, v151, -v6
	v_mul_f32_e32 v11, v140, v152
	v_mul_f32_e32 v6, v141, v152
	v_fma_f32 v12, v8, v144, -v12
	v_mul_f32_e32 v144, v142, v153
	v_fma_f32 v147, v142, v149, -v147
	v_fmac_f32_e32 v11, v141, v150
	v_fma_f32 v150, v140, v150, -v6
	ds_read_b128 v[6:9], v1 offset:816
	s_clause 0x3
	buffer_load_dword v206, off, s[0:3], 0 offset:480
	buffer_load_dword v207, off, s[0:3], 0 offset:472
	;; [unrolled: 1-line block ×4, first 2 shown]
	v_fmac_f32_e32 v144, v143, v149
	v_add_f32_e32 v141, 0, v198
	s_waitcnt vmcnt(51) lgkmcnt(1)
	v_mul_f32_e32 v149, v2, v154
	v_mul_f32_e32 v140, v3, v154
	s_waitcnt vmcnt(50)
	v_mul_f32_e32 v151, v4, v155
	v_fmac_f32_e32 v149, v3, v148
	v_fma_f32 v148, v2, v148, -v140
	v_mul_f32_e32 v2, v5, v155
	s_waitcnt vmcnt(46)
	v_fmac_f32_e32 v151, v5, v159
	v_fma_f32 v152, v4, v159, -v2
	ds_read_b128 v[2:5], v1 offset:832
	s_waitcnt vmcnt(45) lgkmcnt(1)
	v_mul_f32_e32 v153, v6, v160
	v_mul_f32_e32 v140, v7, v160
	s_clause 0x1
	buffer_load_dword v160, off, s[0:3], 0 offset:496
	buffer_load_dword v198, off, s[0:3], 0 offset:488
	v_fmac_f32_e32 v153, v7, v158
	v_add_f32_e32 v7, 0, v199
	buffer_load_dword v199, off, s[0:3], 0 offset:232
	v_fma_f32 v154, v6, v158, -v140
	v_add_f32_e32 v6, v141, v145
	s_waitcnt vmcnt(47)
	v_mul_f32_e32 v140, v9, v161
	v_add_f32_e32 v7, v7, v200
	v_add_f32_e32 v6, v6, v12
	v_mul_f32_e32 v12, v8, v161
	v_add_f32_e32 v141, v7, v201
	v_fma_f32 v155, v8, v157, -v140
	s_waitcnt vmcnt(45) lgkmcnt(0)
	v_mul_f32_e32 v158, v4, v163
	v_add_f32_e32 v10, v6, v10
	v_fmac_f32_e32 v12, v9, v157
	v_add_f32_e32 v145, v141, v146
	v_mul_f32_e32 v157, v2, v162
	v_mul_f32_e32 v146, v3, v162
	v_add_f32_e32 v10, v10, v150
	ds_read_b128 v[6:9], v1 offset:848
	ds_read_b128 v[140:143], v1 offset:864
	v_add_f32_e32 v11, v145, v11
	v_mul_f32_e32 v145, v5, v163
	v_add_f32_e32 v10, v10, v147
	v_fmac_f32_e32 v157, v3, v156
	v_fma_f32 v156, v2, v156, -v146
	v_add_f32_e32 v11, v11, v144
	s_waitcnt vmcnt(41)
	v_fmac_f32_e32 v158, v5, v167
	v_add_f32_e32 v10, v10, v148
	v_fma_f32 v159, v4, v167, -v145
	ds_read_b128 v[2:5], v1 offset:880
	ds_read_b128 v[144:147], v1 offset:896
	v_add_f32_e32 v11, v11, v149
	v_add_f32_e32 v10, v10, v152
	;; [unrolled: 1-line block ×4, first 2 shown]
	s_waitcnt vmcnt(40) lgkmcnt(3)
	v_mul_f32_e32 v161, v6, v168
	v_mul_f32_e32 v148, v7, v168
	v_add_f32_e32 v11, v11, v153
	s_waitcnt vmcnt(39)
	v_mul_f32_e32 v162, v8, v169
	v_add_f32_e32 v10, v10, v155
	v_mul_f32_e32 v149, v9, v169
	v_fmac_f32_e32 v161, v7, v166
	v_add_f32_e32 v11, v11, v12
	v_fma_f32 v166, v6, v166, -v148
	v_add_f32_e32 v10, v10, v156
	s_waitcnt vmcnt(32) lgkmcnt(1)
	v_mul_f32_e32 v12, v2, v176
	v_mul_f32_e32 v156, v3, v176
	v_add_f32_e32 v11, v11, v157
	v_mul_f32_e32 v163, v140, v170
	v_mul_f32_e32 v152, v141, v170
	v_fmac_f32_e32 v12, v3, v174
	v_add_f32_e32 v3, v10, v159
	v_add_f32_e32 v10, v11, v158
	v_fmac_f32_e32 v162, v9, v165
	v_fma_f32 v165, v8, v165, -v149
	v_mul_f32_e32 v153, v143, v171
	v_add_f32_e32 v166, v3, v166
	v_add_f32_e32 v161, v10, v161
	v_fmac_f32_e32 v163, v141, v164
	v_fma_f32 v164, v140, v164, -v152
	v_mul_f32_e32 v167, v142, v171
	v_add_f32_e32 v165, v166, v165
	v_add_f32_e32 v161, v161, v162
	v_fma_f32 v168, v142, v175, -v153
	ds_read_b128 v[6:9], v1 offset:912
	ds_read_b128 v[148:151], v1 offset:928
	v_fmac_f32_e32 v167, v143, v175
	v_add_f32_e32 v164, v165, v164
	v_add_f32_e32 v161, v161, v163
	s_waitcnt vmcnt(31)
	v_mul_f32_e32 v169, v4, v177
	v_mul_f32_e32 v157, v5, v177
	v_fma_f32 v170, v2, v174, -v156
	v_add_f32_e32 v164, v164, v168
	v_add_f32_e32 v161, v161, v167
	v_fmac_f32_e32 v169, v5, v173
	v_fma_f32 v171, v4, v173, -v157
	s_waitcnt vmcnt(30) lgkmcnt(2)
	v_mul_f32_e32 v173, v145, v178
	v_add_f32_e32 v164, v164, v170
	v_mul_f32_e32 v166, v144, v178
	v_add_f32_e32 v12, v161, v12
	s_waitcnt vmcnt(29)
	v_mul_f32_e32 v174, v147, v179
	v_fma_f32 v144, v144, v172, -v173
	v_add_f32_e32 v164, v164, v171
	v_mul_f32_e32 v162, v146, v179
	v_fmac_f32_e32 v166, v145, v172
	v_add_f32_e32 v12, v12, v169
	s_waitcnt vmcnt(28) lgkmcnt(1)
	v_mul_f32_e32 v165, v6, v180
	v_mul_f32_e32 v172, v7, v180
	s_waitcnt vmcnt(20)
	v_fma_f32 v146, v146, v188, -v174
	v_add_f32_e32 v144, v164, v144
	ds_read_b128 v[140:143], v1 offset:944
	ds_read_b128 v[152:155], v1 offset:960
	v_fmac_f32_e32 v162, v147, v188
	v_add_f32_e32 v12, v12, v166
	v_mul_f32_e32 v169, v9, v181
	v_fmac_f32_e32 v165, v7, v187
	v_fma_f32 v6, v6, v187, -v172
	v_add_f32_e32 v7, v144, v146
	v_mul_f32_e32 v163, v8, v181
	v_add_f32_e32 v12, v12, v162
	s_waitcnt lgkmcnt(2)
	v_mul_f32_e32 v144, v149, v182
	v_fma_f32 v8, v8, v186, -v169
	v_add_f32_e32 v6, v7, v6
	v_mul_f32_e32 v145, v148, v182
	v_fmac_f32_e32 v163, v9, v186
	v_add_f32_e32 v7, v12, v165
	v_mul_f32_e32 v9, v151, v183
	v_fma_f32 v12, v148, v185, -v144
	v_add_f32_e32 v6, v6, v8
	v_mul_f32_e32 v168, v150, v183
	v_fmac_f32_e32 v145, v149, v185
	v_add_f32_e32 v7, v7, v163
	s_waitcnt lgkmcnt(1)
	v_mul_f32_e32 v8, v141, v184
	v_add_f32_e32 v6, v6, v12
	v_mul_f32_e32 v167, v140, v184
	ds_read_b128 v[2:5], v1 offset:976
	ds_read_b128 v[156:159], v1 offset:992
	ds_read_b64 v[10:11], v1 offset:1008
	v_add_f32_e32 v7, v7, v145
	s_waitcnt vmcnt(19)
	v_mul_f32_e32 v12, v143, v189
	v_mul_f32_e32 v147, v142, v189
	s_waitcnt vmcnt(18) lgkmcnt(3)
	v_mul_f32_e32 v173, v152, v190
	s_waitcnt vmcnt(17)
	v_mul_f32_e32 v161, v154, v191
	s_waitcnt vmcnt(16) lgkmcnt(2)
	v_mul_f32_e32 v170, v2, v192
	s_waitcnt vmcnt(15)
	;; [unrolled: 4-line block ×4, first 2 shown]
	v_fmac_f32_e32 v173, v153, v202
	s_waitcnt vmcnt(9)
	v_fma_f32 v12, v142, v203, -v12
	s_waitcnt vmcnt(8)
	v_fma_f32 v8, v140, v204, -v8
	;; [unrolled: 2-line block ×3, first 2 shown]
	v_fmac_f32_e32 v168, v151, v205
	v_fmac_f32_e32 v167, v141, v204
	;; [unrolled: 1-line block ×3, first 2 shown]
	v_add_f32_e32 v6, v6, v9
	v_add_f32_e32 v7, v7, v168
	v_mul_f32_e32 v9, v153, v190
	v_add_f32_e32 v6, v6, v8
	v_add_f32_e32 v7, v7, v167
	v_mul_f32_e32 v8, v155, v191
	v_fma_f32 v9, v152, v202, -v9
	s_waitcnt vmcnt(5)
	v_fmac_f32_e32 v174, v5, v207
	v_add_f32_e32 v6, v6, v12
	v_add_f32_e32 v7, v7, v147
	v_mul_f32_e32 v12, v3, v192
	s_waitcnt vmcnt(3)
	v_fma_f32 v8, v154, v209, -v8
	v_fmac_f32_e32 v161, v155, v209
	v_add_f32_e32 v6, v6, v9
	v_add_f32_e32 v7, v7, v173
	v_mul_f32_e32 v9, v5, v193
	v_fmac_f32_e32 v170, v3, v208
	v_fma_f32 v2, v2, v208, -v12
	v_add_f32_e32 v3, v6, v8
	v_add_f32_e32 v6, v7, v161
	v_mul_f32_e32 v7, v157, v194
	v_fma_f32 v4, v4, v207, -v9
	v_mul_f32_e32 v5, v159, v195
	v_add_f32_e32 v2, v3, v2
	v_add_f32_e32 v3, v6, v170
	v_fma_f32 v6, v156, v206, -v7
	v_fmac_f32_e32 v171, v157, v206
	v_add_f32_e32 v2, v2, v4
	v_add_f32_e32 v3, v3, v174
	v_mul_f32_e32 v4, v11, v196
	s_waitcnt vmcnt(1)
	v_fma_f32 v5, v158, v198, -v5
	v_fmac_f32_e32 v175, v159, v198
	v_add_f32_e32 v2, v2, v6
	v_add_f32_e32 v3, v3, v171
	v_fma_f32 v4, v10, v160, -v4
	v_fmac_f32_e32 v164, v11, v160
	v_add_f32_e32 v2, v2, v5
	v_add_f32_e32 v3, v3, v175
	;; [unrolled: 1-line block ×4, first 2 shown]
	s_waitcnt vmcnt(0)
	v_sub_f32_e32 v2, v199, v2
	v_sub_f32_e32 v3, v197, v3
	buffer_store_dword v2, off, s[0:3], 0 offset:232
	buffer_store_dword v3, off, s[0:3], 0 offset:236
	v_cmpx_lt_u32_e32 28, v0
	s_cbranch_execz .LBB62_335
; %bb.334:
	s_clause 0x1
	buffer_load_dword v2, off, s[0:3], 0 offset:224
	buffer_load_dword v3, off, s[0:3], 0 offset:228
	buffer_store_dword v1, off, s[0:3], 0 offset:224
	buffer_store_dword v1, off, s[0:3], 0 offset:228
	s_waitcnt vmcnt(0)
	ds_write_b64 v139, v[2:3]
.LBB62_335:
	s_or_b32 exec_lo, exec_lo, s4
	s_waitcnt lgkmcnt(0)
	s_waitcnt_vscnt null, 0x0
	s_barrier
	buffer_gl0_inv
	s_clause 0x24
	buffer_load_dword v10, off, s[0:3], 0 offset:236
	buffer_load_dword v11, off, s[0:3], 0 offset:244
	;; [unrolled: 1-line block ×37, first 2 shown]
	ds_read2_b64 v[2:5], v1 offset0:93 offset1:94
	s_clause 0x1
	buffer_load_dword v186, off, s[0:3], 0 offset:380
	buffer_load_dword v187, off, s[0:3], 0 offset:388
	ds_read2_b64 v[6:9], v1 offset0:95 offset1:96
	s_clause 0xa
	buffer_load_dword v188, off, s[0:3], 0 offset:396
	buffer_load_dword v189, off, s[0:3], 0 offset:404
	;; [unrolled: 1-line block ×11, first 2 shown]
	ds_read2_b64 v[140:143], v1 offset0:97 offset1:98
	ds_read2_b64 v[144:147], v1 offset0:99 offset1:100
	;; [unrolled: 1-line block ×3, first 2 shown]
	s_clause 0x7
	buffer_load_dword v201, off, s[0:3], 0 offset:228
	buffer_load_dword v202, off, s[0:3], 0 offset:452
	;; [unrolled: 1-line block ×8, first 2 shown]
	s_mov_b32 s4, exec_lo
	s_waitcnt vmcnt(57) lgkmcnt(4)
	v_mul_f32_e32 v199, v3, v10
	v_mul_f32_e32 v10, v2, v10
	s_waitcnt vmcnt(56)
	v_mul_f32_e32 v200, v4, v11
	v_mul_f32_e32 v11, v5, v11
	s_waitcnt vmcnt(53)
	v_fma_f32 v199, v2, v153, -v199
	v_fmac_f32_e32 v10, v3, v153
	v_fmac_f32_e32 v200, v5, v152
	v_fma_f32 v11, v4, v152, -v11
	s_waitcnt vmcnt(52) lgkmcnt(3)
	v_mul_f32_e32 v152, v6, v154
	v_mul_f32_e32 v2, v7, v154
	s_waitcnt vmcnt(51)
	v_mul_f32_e32 v3, v9, v155
	v_mul_f32_e32 v153, v8, v155
	s_waitcnt vmcnt(46) lgkmcnt(2)
	v_mul_f32_e32 v154, v140, v160
	v_fmac_f32_e32 v152, v7, v12
	v_fma_f32 v6, v6, v12, -v2
	v_fma_f32 v12, v8, v159, -v3
	v_mul_f32_e32 v2, v141, v160
	s_waitcnt vmcnt(45)
	v_mul_f32_e32 v155, v142, v161
	v_mul_f32_e32 v3, v143, v161
	s_clause 0x3
	buffer_load_dword v160, off, s[0:3], 0 offset:440
	buffer_load_dword v161, off, s[0:3], 0 offset:432
	;; [unrolled: 1-line block ×4, first 2 shown]
	v_fmac_f32_e32 v153, v9, v159
	v_fmac_f32_e32 v154, v141, v158
	v_fma_f32 v140, v140, v158, -v2
	v_fmac_f32_e32 v155, v143, v157
	v_fma_f32 v157, v142, v157, -v3
	s_waitcnt vmcnt(48) lgkmcnt(1)
	v_mul_f32_e32 v158, v144, v162
	v_mul_f32_e32 v2, v145, v162
	s_waitcnt vmcnt(47)
	v_mul_f32_e32 v159, v146, v163
	v_mul_f32_e32 v3, v147, v163
	s_waitcnt vmcnt(42) lgkmcnt(0)
	v_mul_f32_e32 v162, v148, v168
	v_mul_f32_e32 v7, v149, v168
	s_waitcnt vmcnt(41)
	v_mul_f32_e32 v163, v150, v169
	v_mul_f32_e32 v8, v151, v169
	v_fmac_f32_e32 v158, v145, v156
	v_fma_f32 v144, v144, v156, -v2
	v_fmac_f32_e32 v159, v147, v167
	v_fma_f32 v156, v146, v167, -v3
	ds_read2_b64 v[2:5], v1 offset0:103 offset1:104
	v_fmac_f32_e32 v162, v149, v166
	v_fma_f32 v148, v148, v166, -v7
	v_fmac_f32_e32 v163, v151, v165
	v_fma_f32 v149, v150, v165, -v8
	s_clause 0x7
	buffer_load_dword v165, off, s[0:3], 0 offset:472
	buffer_load_dword v166, off, s[0:3], 0 offset:464
	;; [unrolled: 1-line block ×8, first 2 shown]
	v_add_f32_e32 v7, 0, v199
	v_add_f32_e32 v8, 0, v10
	v_add_f32_e32 v7, v7, v11
	v_add_f32_e32 v8, v8, v200
	s_waitcnt vmcnt(48) lgkmcnt(0)
	v_mul_f32_e32 v10, v2, v170
	v_mul_f32_e32 v9, v3, v170
	v_fmac_f32_e32 v10, v3, v164
	v_fma_f32 v11, v2, v164, -v9
	v_add_f32_e32 v2, v7, v6
	v_add_f32_e32 v3, v8, v152
	ds_read2_b64 v[6:9], v1 offset0:105 offset1:106
	s_waitcnt vmcnt(47)
	v_mul_f32_e32 v164, v4, v171
	v_add_f32_e32 v12, v2, v12
	v_mul_f32_e32 v2, v5, v171
	v_add_f32_e32 v141, v3, v153
	s_waitcnt vmcnt(43)
	v_fmac_f32_e32 v164, v5, v175
	v_add_f32_e32 v12, v12, v140
	v_fma_f32 v170, v4, v175, -v2
	ds_read2_b64 v[2:5], v1 offset0:107 offset1:108
	v_add_f32_e32 v145, v141, v154
	ds_read2_b64 v[140:143], v1 offset0:109 offset1:110
	v_add_f32_e32 v12, v12, v157
	v_add_f32_e32 v145, v145, v155
	;; [unrolled: 1-line block ×3, first 2 shown]
	s_waitcnt vmcnt(42) lgkmcnt(2)
	v_mul_f32_e32 v146, v7, v176
	v_mul_f32_e32 v157, v6, v176
	s_waitcnt vmcnt(41)
	v_mul_f32_e32 v150, v9, v177
	v_fma_f32 v171, v6, v174, -v146
	v_add_f32_e32 v6, v145, v158
	v_fmac_f32_e32 v157, v7, v174
	v_add_f32_e32 v7, v12, v156
	v_mul_f32_e32 v12, v8, v177
	s_waitcnt vmcnt(40) lgkmcnt(1)
	v_mul_f32_e32 v174, v2, v178
	v_add_f32_e32 v6, v6, v159
	v_mul_f32_e32 v151, v3, v178
	v_add_f32_e32 v7, v7, v148
	ds_read2_b64 v[144:147], v1 offset0:111 offset1:112
	v_fmac_f32_e32 v174, v3, v172
	v_add_f32_e32 v6, v6, v162
	v_fma_f32 v172, v2, v172, -v151
	v_add_f32_e32 v2, v7, v149
	v_fma_f32 v156, v8, v173, -v150
	v_fmac_f32_e32 v12, v9, v173
	v_add_f32_e32 v3, v6, v163
	s_waitcnt vmcnt(39)
	v_mul_f32_e32 v152, v5, v179
	v_add_f32_e32 v11, v2, v11
	v_mul_f32_e32 v175, v4, v179
	s_waitcnt vmcnt(38) lgkmcnt(1)
	v_mul_f32_e32 v153, v141, v180
	v_add_f32_e32 v10, v3, v10
	s_waitcnt vmcnt(34)
	v_fma_f32 v163, v4, v184, -v152
	v_add_f32_e32 v11, v11, v170
	v_mul_f32_e32 v162, v140, v180
	ds_read2_b64 v[6:9], v1 offset0:113 offset1:114
	ds_read2_b64 v[148:151], v1 offset0:115 offset1:116
	v_add_f32_e32 v10, v10, v164
	v_fmac_f32_e32 v175, v5, v184
	v_add_f32_e32 v11, v11, v171
	v_fma_f32 v173, v140, v183, -v153
	s_waitcnt vmcnt(33)
	v_mul_f32_e32 v140, v143, v185
	v_add_f32_e32 v10, v10, v157
	v_fmac_f32_e32 v162, v141, v183
	v_add_f32_e32 v11, v11, v156
	v_mul_f32_e32 v170, v142, v185
	s_waitcnt vmcnt(32) lgkmcnt(2)
	v_mul_f32_e32 v141, v145, v186
	v_add_f32_e32 v10, v10, v12
	v_fma_f32 v177, v142, v182, -v140
	v_add_f32_e32 v11, v11, v172
	v_mul_f32_e32 v164, v144, v186
	v_fmac_f32_e32 v170, v143, v182
	v_add_f32_e32 v10, v10, v174
	s_waitcnt vmcnt(31)
	v_mul_f32_e32 v176, v147, v187
	v_add_f32_e32 v11, v11, v163
	v_fma_f32 v178, v144, v181, -v141
	v_mul_f32_e32 v171, v146, v187
	v_add_f32_e32 v10, v10, v175
	v_fmac_f32_e32 v164, v145, v181
	v_add_f32_e32 v11, v11, v173
	s_waitcnt vmcnt(24)
	v_fma_f32 v176, v146, v194, -v176
	s_waitcnt lgkmcnt(1)
	v_mul_f32_e32 v12, v7, v188
	v_add_f32_e32 v10, v10, v162
	ds_read2_b64 v[2:5], v1 offset0:117 offset1:118
	ds_read2_b64 v[152:155], v1 offset0:119 offset1:120
	v_add_f32_e32 v11, v11, v177
	ds_read2_b64 v[140:143], v1 offset0:121 offset1:122
	ds_read2_b64 v[156:159], v1 offset0:123 offset1:124
	v_fmac_f32_e32 v171, v147, v194
	v_add_f32_e32 v10, v10, v170
	ds_read2_b64 v[144:147], v1 offset0:125 offset1:126
	v_add_f32_e32 v11, v11, v178
	v_mul_f32_e32 v1, v6, v188
	v_mul_f32_e32 v174, v9, v189
	v_add_f32_e32 v10, v10, v164
	v_fma_f32 v6, v6, v193, -v12
	v_add_f32_e32 v11, v11, v176
	v_mul_f32_e32 v172, v8, v189
	v_fmac_f32_e32 v1, v7, v193
	v_add_f32_e32 v10, v10, v171
	s_waitcnt lgkmcnt(5)
	v_mul_f32_e32 v12, v149, v190
	v_fma_f32 v8, v8, v192, -v174
	v_add_f32_e32 v6, v11, v6
	v_mul_f32_e32 v163, v148, v190
	v_fmac_f32_e32 v172, v9, v192
	v_add_f32_e32 v1, v10, v1
	s_waitcnt vmcnt(23)
	v_mul_f32_e32 v9, v151, v195
	v_fma_f32 v10, v148, v191, -v12
	v_add_f32_e32 v6, v6, v8
	v_mul_f32_e32 v175, v150, v195
	v_fmac_f32_e32 v163, v149, v191
	v_add_f32_e32 v1, v1, v172
	s_waitcnt vmcnt(22) lgkmcnt(4)
	v_mul_f32_e32 v179, v2, v196
	v_mul_f32_e32 v8, v3, v196
	v_add_f32_e32 v6, v6, v10
	s_waitcnt vmcnt(21)
	v_mul_f32_e32 v10, v5, v197
	v_add_f32_e32 v1, v1, v163
	v_mul_f32_e32 v173, v4, v197
	s_waitcnt vmcnt(20) lgkmcnt(3)
	v_mul_f32_e32 v162, v152, v198
	s_waitcnt vmcnt(18)
	v_mul_f32_e32 v180, v154, v202
	s_waitcnt vmcnt(17) lgkmcnt(2)
	v_mul_f32_e32 v177, v140, v203
	s_waitcnt vmcnt(16)
	;; [unrolled: 4-line block ×4, first 2 shown]
	v_mul_f32_e32 v7, v146, v208
	s_waitcnt vmcnt(11)
	v_fmac_f32_e32 v162, v153, v160
	s_waitcnt vmcnt(10)
	v_fma_f32 v4, v4, v161, -v10
	s_waitcnt vmcnt(9)
	v_fmac_f32_e32 v179, v3, v209
	s_waitcnt vmcnt(8)
	v_fma_f32 v9, v150, v210, -v9
	v_fmac_f32_e32 v175, v151, v210
	v_fma_f32 v2, v2, v209, -v8
	v_fmac_f32_e32 v173, v5, v161
	v_add_f32_e32 v3, v6, v9
	v_add_f32_e32 v1, v1, v175
	v_mul_f32_e32 v6, v153, v198
	v_add_f32_e32 v2, v3, v2
	v_add_f32_e32 v1, v1, v179
	v_mul_f32_e32 v3, v155, v202
	v_fma_f32 v5, v152, v160, -v6
	v_add_f32_e32 v2, v2, v4
	v_add_f32_e32 v1, v1, v173
	v_mul_f32_e32 v4, v141, v203
	s_waitcnt vmcnt(5)
	v_fmac_f32_e32 v177, v141, v167
	s_waitcnt vmcnt(4)
	v_fma_f32 v3, v154, v168, -v3
	v_add_f32_e32 v2, v2, v5
	v_fmac_f32_e32 v180, v155, v168
	v_add_f32_e32 v1, v1, v162
	v_mul_f32_e32 v5, v143, v204
	v_fma_f32 v4, v140, v167, -v4
	v_add_f32_e32 v2, v2, v3
	v_mul_f32_e32 v3, v157, v205
	v_add_f32_e32 v1, v1, v180
	v_fma_f32 v5, v142, v166, -v5
	v_fmac_f32_e32 v170, v143, v166
	v_add_f32_e32 v2, v2, v4
	v_mul_f32_e32 v4, v159, v206
	v_add_f32_e32 v1, v1, v177
	v_fma_f32 v3, v156, v165, -v3
	v_fmac_f32_e32 v181, v157, v165
	v_add_f32_e32 v2, v2, v5
	v_mul_f32_e32 v5, v145, v207
	v_add_f32_e32 v1, v1, v170
	s_waitcnt vmcnt(1)
	v_fma_f32 v4, v158, v212, -v4
	v_fmac_f32_e32 v178, v159, v212
	v_add_f32_e32 v2, v2, v3
	v_mul_f32_e32 v3, v147, v208
	v_add_f32_e32 v1, v1, v181
	v_fma_f32 v5, v144, v211, -v5
	v_fmac_f32_e32 v164, v145, v211
	v_add_f32_e32 v2, v2, v4
	v_fma_f32 v3, v146, v169, -v3
	v_add_f32_e32 v1, v1, v178
	v_fmac_f32_e32 v7, v147, v169
	v_add_f32_e32 v2, v2, v5
	v_add_f32_e32 v1, v1, v164
	;; [unrolled: 1-line block ×4, first 2 shown]
	s_waitcnt vmcnt(0)
	v_sub_f32_e32 v2, v213, v2
	v_sub_f32_e32 v1, v201, v1
	buffer_store_dword v2, off, s[0:3], 0 offset:224
	buffer_store_dword v1, off, s[0:3], 0 offset:228
	v_cmpx_lt_u32_e32 27, v0
	s_cbranch_execz .LBB62_337
; %bb.336:
	s_clause 0x1
	buffer_load_dword v1, off, s[0:3], 0 offset:216
	buffer_load_dword v2, off, s[0:3], 0 offset:220
	v_mov_b32_e32 v3, 0
	buffer_store_dword v3, off, s[0:3], 0 offset:216
	buffer_store_dword v3, off, s[0:3], 0 offset:220
	s_waitcnt vmcnt(0)
	ds_write_b64 v139, v[1:2]
.LBB62_337:
	s_or_b32 exec_lo, exec_lo, s4
	s_waitcnt lgkmcnt(0)
	s_waitcnt_vscnt null, 0x0
	s_barrier
	buffer_gl0_inv
	s_clause 0x23
	buffer_load_dword v2, off, s[0:3], 0 offset:228
	buffer_load_dword v3, off, s[0:3], 0 offset:236
	;; [unrolled: 1-line block ×36, first 2 shown]
	v_mov_b32_e32 v1, 0
	s_clause 0x1
	buffer_load_dword v181, off, s[0:3], 0 offset:364
	buffer_load_dword v182, off, s[0:3], 0 offset:372
	s_mov_b32 s4, exec_lo
	ds_read_b128 v[4:7], v1 offset:736
	s_clause 0x7
	buffer_load_dword v183, off, s[0:3], 0 offset:380
	buffer_load_dword v184, off, s[0:3], 0 offset:388
	;; [unrolled: 1-line block ×8, first 2 shown]
	ds_read_b128 v[8:11], v1 offset:752
	s_clause 0x3
	buffer_load_dword v191, off, s[0:3], 0 offset:412
	buffer_load_dword v192, off, s[0:3], 0 offset:420
	;; [unrolled: 1-line block ×4, first 2 shown]
	ds_read_b128 v[140:143], v1 offset:768
	s_clause 0x4
	buffer_load_dword v195, off, s[0:3], 0 offset:444
	buffer_load_dword v196, off, s[0:3], 0 offset:452
	buffer_load_dword v197, off, s[0:3], 0 offset:460
	buffer_load_dword v198, off, s[0:3], 0 offset:468
	buffer_load_dword v199, off, s[0:3], 0 offset:220
	ds_read_b128 v[144:147], v1 offset:784
	s_waitcnt vmcnt(54) lgkmcnt(3)
	v_mul_f32_e32 v200, v5, v2
	v_mul_f32_e32 v201, v4, v2
	s_waitcnt vmcnt(53)
	v_mul_f32_e32 v202, v6, v3
	v_mul_f32_e32 v2, v7, v3
	s_waitcnt vmcnt(50)
	v_fma_f32 v200, v4, v149, -v200
	v_fmac_f32_e32 v201, v5, v149
	v_fmac_f32_e32 v202, v7, v148
	v_fma_f32 v148, v6, v148, -v2
	ds_read_b128 v[2:5], v1 offset:800
	s_waitcnt vmcnt(49) lgkmcnt(3)
	v_mul_f32_e32 v149, v8, v150
	v_mul_f32_e32 v6, v9, v150
	s_clause 0x7
	buffer_load_dword v204, off, s[0:3], 0 offset:476
	buffer_load_dword v205, off, s[0:3], 0 offset:484
	;; [unrolled: 1-line block ×8, first 2 shown]
	s_waitcnt vmcnt(56)
	v_mul_f32_e32 v150, v10, v151
	v_mul_f32_e32 v7, v11, v151
	s_waitcnt vmcnt(55) lgkmcnt(2)
	v_mul_f32_e32 v151, v140, v152
	v_mul_f32_e32 v152, v141, v152
	v_fmac_f32_e32 v149, v9, v12
	v_fma_f32 v12, v8, v12, -v6
	s_waitcnt vmcnt(54)
	v_mul_f32_e32 v6, v143, v153
	v_mul_f32_e32 v203, v142, v153
	s_waitcnt vmcnt(50)
	v_fmac_f32_e32 v150, v11, v157
	v_fma_f32 v11, v140, v156, -v152
	s_waitcnt vmcnt(49) lgkmcnt(1)
	v_mul_f32_e32 v152, v144, v158
	v_fma_f32 v140, v142, v155, -v6
	v_mul_f32_e32 v6, v145, v158
	v_fma_f32 v10, v10, v157, -v7
	v_fmac_f32_e32 v151, v141, v156
	v_fmac_f32_e32 v203, v143, v155
	s_waitcnt vmcnt(48)
	v_mul_f32_e32 v153, v146, v159
	v_mul_f32_e32 v7, v147, v159
	v_fmac_f32_e32 v152, v145, v154
	v_fma_f32 v144, v144, v154, -v6
	s_waitcnt vmcnt(43) lgkmcnt(0)
	v_mul_f32_e32 v154, v2, v164
	v_mul_f32_e32 v141, v3, v164
	s_waitcnt vmcnt(42)
	v_mul_f32_e32 v155, v4, v165
	v_mul_f32_e32 v142, v5, v165
	v_fmac_f32_e32 v153, v147, v163
	v_fma_f32 v145, v146, v163, -v7
	ds_read_b128 v[6:9], v1 offset:816
	v_fmac_f32_e32 v154, v3, v162
	v_fma_f32 v156, v2, v162, -v141
	v_fmac_f32_e32 v155, v5, v161
	v_fma_f32 v157, v4, v161, -v142
	s_clause 0x3
	buffer_load_dword v161, off, s[0:3], 0 offset:464
	buffer_load_dword v162, off, s[0:3], 0 offset:456
	;; [unrolled: 1-line block ×4, first 2 shown]
	v_add_f32_e32 v2, 0, v200
	s_clause 0x3
	buffer_load_dword v165, off, s[0:3], 0 offset:496
	buffer_load_dword v200, off, s[0:3], 0 offset:488
	;; [unrolled: 1-line block ×4, first 2 shown]
	v_add_f32_e32 v3, 0, v201
	buffer_load_dword v201, off, s[0:3], 0 offset:216
	v_add_f32_e32 v2, v2, v148
	v_add_f32_e32 v3, v3, v202
	;; [unrolled: 1-line block ×4, first 2 shown]
	s_waitcnt vmcnt(50) lgkmcnt(0)
	v_mul_f32_e32 v12, v6, v166
	v_mul_f32_e32 v4, v7, v166
	v_fmac_f32_e32 v12, v7, v160
	v_fma_f32 v148, v6, v160, -v4
	v_add_f32_e32 v6, v2, v10
	v_add_f32_e32 v7, v3, v150
	ds_read_b128 v[2:5], v1 offset:832
	v_add_f32_e32 v10, v6, v11
	s_waitcnt vmcnt(49)
	v_mul_f32_e32 v11, v8, v167
	v_mul_f32_e32 v6, v9, v167
	v_add_f32_e32 v141, v7, v151
	v_add_f32_e32 v10, v10, v140
	s_waitcnt vmcnt(45)
	v_fmac_f32_e32 v11, v9, v171
	v_fma_f32 v158, v8, v171, -v6
	ds_read_b128 v[6:9], v1 offset:848
	v_add_f32_e32 v146, v141, v203
	ds_read_b128 v[140:143], v1 offset:864
	v_add_f32_e32 v10, v10, v144
	v_add_f32_e32 v146, v146, v152
	;; [unrolled: 1-line block ×3, first 2 shown]
	s_waitcnt vmcnt(44) lgkmcnt(2)
	v_mul_f32_e32 v144, v3, v172
	v_mul_f32_e32 v159, v2, v172
	s_waitcnt vmcnt(43)
	v_mul_f32_e32 v149, v5, v173
	v_fma_f32 v160, v2, v170, -v144
	v_add_f32_e32 v2, v146, v153
	v_fmac_f32_e32 v159, v3, v170
	v_add_f32_e32 v3, v10, v156
	ds_read_b128 v[144:147], v1 offset:880
	v_mul_f32_e32 v10, v4, v173
	v_add_f32_e32 v2, v2, v154
	s_waitcnt vmcnt(42) lgkmcnt(2)
	v_mul_f32_e32 v150, v7, v174
	v_add_f32_e32 v3, v3, v157
	v_mul_f32_e32 v166, v6, v174
	s_waitcnt vmcnt(40) lgkmcnt(1)
	v_mul_f32_e32 v170, v140, v176
	v_add_f32_e32 v2, v2, v155
	v_fma_f32 v157, v6, v168, -v150
	v_add_f32_e32 v6, v3, v148
	v_fmac_f32_e32 v166, v7, v168
	s_waitcnt vmcnt(37)
	v_fmac_f32_e32 v170, v141, v179
	v_add_f32_e32 v7, v2, v12
	v_mul_f32_e32 v12, v141, v176
	v_add_f32_e32 v141, v6, v158
	v_fma_f32 v156, v4, v169, -v149
	v_fmac_f32_e32 v10, v5, v169
	v_add_f32_e32 v11, v7, v11
	v_fma_f32 v12, v140, v179, -v12
	v_add_f32_e32 v140, v141, v160
	v_mul_f32_e32 v152, v9, v175
	v_mul_f32_e32 v167, v8, v175
	v_add_f32_e32 v11, v11, v159
	ds_read_b128 v[2:5], v1 offset:896
	ds_read_b128 v[148:151], v1 offset:912
	v_add_f32_e32 v140, v140, v156
	s_waitcnt vmcnt(36)
	v_fma_f32 v168, v8, v180, -v152
	v_fmac_f32_e32 v167, v9, v180
	v_add_f32_e32 v10, v11, v10
	s_waitcnt vmcnt(35)
	v_mul_f32_e32 v141, v143, v181
	v_add_f32_e32 v175, v140, v157
	v_mul_f32_e32 v160, v142, v181
	s_waitcnt vmcnt(34) lgkmcnt(2)
	v_mul_f32_e32 v156, v145, v182
	v_add_f32_e32 v166, v10, v166
	v_fma_f32 v173, v142, v178, -v141
	v_add_f32_e32 v168, v175, v168
	v_mul_f32_e32 v169, v144, v182
	v_fmac_f32_e32 v160, v143, v178
	v_add_f32_e32 v166, v166, v167
	s_waitcnt vmcnt(33)
	v_mul_f32_e32 v172, v147, v183
	v_add_f32_e32 v12, v168, v12
	v_fma_f32 v174, v144, v177, -v156
	v_mul_f32_e32 v171, v146, v183
	v_add_f32_e32 v166, v166, v170
	v_fmac_f32_e32 v169, v145, v177
	v_add_f32_e32 v12, v12, v173
	s_waitcnt vmcnt(26)
	v_fma_f32 v172, v146, v190, -v172
	s_waitcnt lgkmcnt(1)
	v_mul_f32_e32 v176, v3, v184
	v_add_f32_e32 v160, v166, v160
	ds_read_b128 v[6:9], v1 offset:928
	ds_read_b128 v[152:155], v1 offset:944
	v_add_f32_e32 v12, v12, v174
	v_fmac_f32_e32 v171, v147, v190
	v_mul_f32_e32 v175, v2, v184
	v_add_f32_e32 v160, v160, v169
	v_mul_f32_e32 v177, v5, v185
	v_fma_f32 v2, v2, v189, -v176
	v_add_f32_e32 v12, v12, v172
	v_mul_f32_e32 v167, v4, v185
	v_fmac_f32_e32 v175, v3, v189
	v_add_f32_e32 v160, v160, v171
	s_waitcnt lgkmcnt(2)
	v_mul_f32_e32 v176, v149, v186
	v_fma_f32 v4, v4, v188, -v177
	v_add_f32_e32 v2, v12, v2
	v_mul_f32_e32 v168, v148, v186
	v_fmac_f32_e32 v167, v5, v188
	v_add_f32_e32 v12, v160, v175
	s_waitcnt vmcnt(25)
	v_mul_f32_e32 v171, v151, v191
	v_fma_f32 v148, v148, v187, -v176
	v_add_f32_e32 v2, v2, v4
	v_mul_f32_e32 v170, v150, v191
	v_fmac_f32_e32 v168, v149, v187
	v_add_f32_e32 v4, v12, v167
	s_waitcnt vmcnt(24) lgkmcnt(1)
	v_mul_f32_e32 v12, v7, v192
	v_add_f32_e32 v2, v2, v148
	ds_read_b128 v[140:143], v1 offset:960
	ds_read_b128 v[156:159], v1 offset:976
	v_mul_f32_e32 v3, v6, v192
	v_add_f32_e32 v4, v4, v168
	s_waitcnt vmcnt(23)
	v_mul_f32_e32 v148, v9, v193
	v_mul_f32_e32 v173, v8, v193
	s_waitcnt vmcnt(22) lgkmcnt(2)
	v_mul_f32_e32 v166, v152, v194
	s_waitcnt vmcnt(21)
	v_mul_f32_e32 v5, v154, v195
	ds_read_b128 v[144:147], v1 offset:992
	ds_read_b64 v[10:11], v1 offset:1008
	s_waitcnt vmcnt(20) lgkmcnt(3)
	v_mul_f32_e32 v177, v140, v196
	s_waitcnt vmcnt(19)
	v_mul_f32_e32 v169, v142, v197
	s_waitcnt vmcnt(18) lgkmcnt(2)
	v_mul_f32_e32 v174, v156, v198
	s_waitcnt vmcnt(16)
	v_mul_f32_e32 v178, v158, v204
	s_waitcnt vmcnt(12)
	v_fmac_f32_e32 v166, v153, v208
	s_waitcnt vmcnt(11)
	v_fma_f32 v8, v8, v209, -v148
	s_waitcnt vmcnt(10)
	v_fma_f32 v6, v6, v210, -v12
	s_waitcnt vmcnt(9)
	v_fma_f32 v149, v150, v211, -v171
	v_fmac_f32_e32 v170, v151, v211
	v_fmac_f32_e32 v3, v7, v210
	v_mul_f32_e32 v7, v153, v194
	v_fmac_f32_e32 v173, v9, v209
	v_add_f32_e32 v2, v2, v149
	v_add_f32_e32 v4, v4, v170
	s_waitcnt lgkmcnt(1)
	v_mul_f32_e32 v172, v144, v205
	v_mul_f32_e32 v179, v146, v206
	s_waitcnt lgkmcnt(0)
	v_mul_f32_e32 v160, v10, v207
	v_add_f32_e32 v2, v2, v6
	v_add_f32_e32 v3, v4, v3
	v_mul_f32_e32 v4, v155, v195
	v_fma_f32 v6, v152, v208, -v7
	v_mul_f32_e32 v7, v141, v196
	v_add_f32_e32 v2, v2, v8
	v_add_f32_e32 v3, v3, v173
	;; [unrolled: 1-line block ×4, first 2 shown]
	v_mul_f32_e32 v6, v143, v197
	s_waitcnt vmcnt(8)
	v_fmac_f32_e32 v174, v157, v161
	s_waitcnt vmcnt(7)
	v_fmac_f32_e32 v169, v143, v162
	s_waitcnt vmcnt(6)
	v_fma_f32 v7, v140, v163, -v7
	s_waitcnt vmcnt(5)
	v_fma_f32 v4, v154, v164, -v4
	v_fmac_f32_e32 v5, v155, v164
	v_fmac_f32_e32 v177, v141, v163
	s_waitcnt vmcnt(1)
	v_fmac_f32_e32 v178, v159, v213
	v_fmac_f32_e32 v172, v145, v212
	v_add_f32_e32 v2, v2, v4
	v_add_f32_e32 v3, v3, v5
	v_mul_f32_e32 v4, v157, v198
	v_fma_f32 v5, v142, v162, -v6
	v_mul_f32_e32 v6, v159, v204
	v_add_f32_e32 v2, v2, v7
	v_add_f32_e32 v3, v3, v177
	v_fma_f32 v4, v156, v161, -v4
	v_fmac_f32_e32 v179, v147, v200
	v_fma_f32 v6, v158, v213, -v6
	v_add_f32_e32 v2, v2, v5
	v_add_f32_e32 v3, v3, v169
	v_mul_f32_e32 v5, v145, v205
	v_fmac_f32_e32 v160, v11, v165
	v_add_f32_e32 v2, v2, v4
	v_add_f32_e32 v3, v3, v174
	v_mul_f32_e32 v4, v147, v206
	v_fma_f32 v5, v144, v212, -v5
	v_add_f32_e32 v2, v2, v6
	v_add_f32_e32 v3, v3, v178
	v_mul_f32_e32 v6, v11, v207
	v_fma_f32 v4, v146, v200, -v4
	v_add_f32_e32 v2, v2, v5
	v_add_f32_e32 v3, v3, v172
	v_fma_f32 v5, v10, v165, -v6
	v_add_f32_e32 v2, v2, v4
	v_add_f32_e32 v3, v3, v179
	;; [unrolled: 1-line block ×4, first 2 shown]
	s_waitcnt vmcnt(0)
	v_sub_f32_e32 v2, v201, v2
	v_sub_f32_e32 v3, v199, v3
	buffer_store_dword v2, off, s[0:3], 0 offset:216
	buffer_store_dword v3, off, s[0:3], 0 offset:220
	v_cmpx_lt_u32_e32 26, v0
	s_cbranch_execz .LBB62_339
; %bb.338:
	s_clause 0x1
	buffer_load_dword v2, off, s[0:3], 0 offset:208
	buffer_load_dword v3, off, s[0:3], 0 offset:212
	buffer_store_dword v1, off, s[0:3], 0 offset:208
	buffer_store_dword v1, off, s[0:3], 0 offset:212
	s_waitcnt vmcnt(0)
	ds_write_b64 v139, v[2:3]
.LBB62_339:
	s_or_b32 exec_lo, exec_lo, s4
	s_waitcnt lgkmcnt(0)
	s_waitcnt_vscnt null, 0x0
	s_barrier
	buffer_gl0_inv
	s_clause 0x23
	buffer_load_dword v148, off, s[0:3], 0 offset:220
	buffer_load_dword v149, off, s[0:3], 0 offset:228
	buffer_load_dword v152, off, s[0:3], 0 offset:232
	buffer_load_dword v150, off, s[0:3], 0 offset:224
	buffer_load_dword v151, off, s[0:3], 0 offset:216
	buffer_load_dword v153, off, s[0:3], 0 offset:236
	buffer_load_dword v154, off, s[0:3], 0 offset:244
	buffer_load_dword v155, off, s[0:3], 0 offset:252
	buffer_load_dword v156, off, s[0:3], 0 offset:260
	buffer_load_dword v157, off, s[0:3], 0 offset:264
	buffer_load_dword v158, off, s[0:3], 0 offset:256
	buffer_load_dword v159, off, s[0:3], 0 offset:248
	buffer_load_dword v160, off, s[0:3], 0 offset:240
	buffer_load_dword v161, off, s[0:3], 0 offset:268
	buffer_load_dword v162, off, s[0:3], 0 offset:276
	buffer_load_dword v163, off, s[0:3], 0 offset:284
	buffer_load_dword v164, off, s[0:3], 0 offset:296
	buffer_load_dword v165, off, s[0:3], 0 offset:288
	buffer_load_dword v166, off, s[0:3], 0 offset:280
	buffer_load_dword v167, off, s[0:3], 0 offset:272
	buffer_load_dword v168, off, s[0:3], 0 offset:292
	buffer_load_dword v169, off, s[0:3], 0 offset:300
	buffer_load_dword v170, off, s[0:3], 0 offset:308
	buffer_load_dword v171, off, s[0:3], 0 offset:328
	buffer_load_dword v172, off, s[0:3], 0 offset:320
	buffer_load_dword v173, off, s[0:3], 0 offset:312
	buffer_load_dword v174, off, s[0:3], 0 offset:304
	buffer_load_dword v175, off, s[0:3], 0 offset:316
	buffer_load_dword v176, off, s[0:3], 0 offset:324
	buffer_load_dword v177, off, s[0:3], 0 offset:332
	buffer_load_dword v178, off, s[0:3], 0 offset:340
	buffer_load_dword v179, off, s[0:3], 0 offset:360
	buffer_load_dword v180, off, s[0:3], 0 offset:352
	buffer_load_dword v181, off, s[0:3], 0 offset:344
	buffer_load_dword v182, off, s[0:3], 0 offset:336
	buffer_load_dword v183, off, s[0:3], 0 offset:348
	ds_read2_b64 v[5:8], v1 offset0:91 offset1:92
	s_clause 0x2
	buffer_load_dword v184, off, s[0:3], 0 offset:356
	buffer_load_dword v185, off, s[0:3], 0 offset:364
	;; [unrolled: 1-line block ×3, first 2 shown]
	ds_read2_b64 v[9:12], v1 offset0:93 offset1:94
	s_clause 0x3
	buffer_load_dword v187, off, s[0:3], 0 offset:404
	buffer_load_dword v4, off, s[0:3], 0 offset:412
	;; [unrolled: 1-line block ×4, first 2 shown]
	ds_read2_b64 v[140:143], v1 offset0:95 offset1:96
	s_clause 0x6
	buffer_load_dword v188, off, s[0:3], 0 offset:380
	buffer_load_dword v189, off, s[0:3], 0 offset:388
	;; [unrolled: 1-line block ×7, first 2 shown]
	ds_read2_b64 v[144:147], v1 offset0:97 offset1:98
	buffer_load_dword v198, off, s[0:3], 0 offset:212
	s_mov_b32 s4, exec_lo
	s_waitcnt vmcnt(50) lgkmcnt(3)
	v_mul_f32_e32 v195, v6, v148
	v_mul_f32_e32 v196, v5, v148
	s_waitcnt vmcnt(49)
	v_mul_f32_e32 v197, v7, v149
	v_mul_f32_e32 v148, v8, v149
	s_waitcnt vmcnt(46)
	v_fma_f32 v195, v5, v151, -v195
	v_fmac_f32_e32 v196, v6, v151
	v_fmac_f32_e32 v197, v8, v150
	v_fma_f32 v199, v7, v150, -v148
	ds_read2_b64 v[5:8], v1 offset0:99 offset1:100
	ds_read2_b64 v[148:151], v1 offset0:101 offset1:102
	s_waitcnt vmcnt(45) lgkmcnt(4)
	v_mul_f32_e32 v200, v9, v153
	v_mul_f32_e32 v153, v10, v153
	s_waitcnt vmcnt(43) lgkmcnt(3)
	v_mul_f32_e32 v202, v140, v155
	v_mul_f32_e32 v155, v141, v155
	;; [unrolled: 1-line block ×3, first 2 shown]
	v_fmac_f32_e32 v200, v10, v152
	v_fma_f32 v152, v9, v152, -v153
	s_waitcnt vmcnt(42)
	v_mul_f32_e32 v9, v143, v156
	v_mul_f32_e32 v154, v12, v154
	;; [unrolled: 1-line block ×3, first 2 shown]
	s_waitcnt vmcnt(39)
	v_fmac_f32_e32 v202, v141, v159
	v_fma_f32 v140, v140, v159, -v155
	v_fma_f32 v141, v142, v158, -v9
	s_waitcnt vmcnt(37) lgkmcnt(2)
	v_mul_f32_e32 v142, v144, v161
	v_mul_f32_e32 v9, v145, v161
	s_waitcnt vmcnt(36)
	v_mul_f32_e32 v155, v146, v162
	v_mul_f32_e32 v10, v147, v162
	v_fmac_f32_e32 v201, v12, v160
	v_fma_f32 v154, v11, v160, -v154
	s_clause 0x3
	buffer_load_dword v160, off, s[0:3], 0 offset:436
	buffer_load_dword v203, off, s[0:3], 0 offset:444
	;; [unrolled: 1-line block ×4, first 2 shown]
	v_fmac_f32_e32 v153, v143, v158
	s_clause 0x4
	buffer_load_dword v206, off, s[0:3], 0 offset:468
	buffer_load_dword v207, off, s[0:3], 0 offset:476
	;; [unrolled: 1-line block ×5, first 2 shown]
	v_fmac_f32_e32 v142, v145, v157
	v_fma_f32 v143, v144, v157, -v9
	s_waitcnt vmcnt(44) lgkmcnt(1)
	v_mul_f32_e32 v144, v5, v163
	v_mul_f32_e32 v9, v6, v163
	s_waitcnt vmcnt(40)
	v_fmac_f32_e32 v155, v147, v167
	v_fma_f32 v145, v146, v167, -v10
	s_waitcnt vmcnt(39)
	v_mul_f32_e32 v156, v7, v168
	v_mul_f32_e32 v10, v8, v168
	s_clause 0x3
	buffer_load_dword v162, off, s[0:3], 0 offset:424
	buffer_load_dword v163, off, s[0:3], 0 offset:416
	;; [unrolled: 1-line block ×4, first 2 shown]
	v_fmac_f32_e32 v144, v6, v166
	v_fma_f32 v146, v5, v166, -v9
	v_fmac_f32_e32 v156, v8, v165
	v_fma_f32 v157, v7, v165, -v10
	ds_read2_b64 v[5:8], v1 offset0:103 offset1:104
	s_waitcnt vmcnt(42) lgkmcnt(1)
	v_mul_f32_e32 v158, v148, v169
	v_mul_f32_e32 v9, v149, v169
	s_waitcnt vmcnt(41)
	v_mul_f32_e32 v159, v150, v170
	v_mul_f32_e32 v10, v151, v170
	v_fmac_f32_e32 v158, v149, v164
	v_fma_f32 v148, v148, v164, -v9
	s_clause 0x3
	buffer_load_dword v164, off, s[0:3], 0 offset:456
	buffer_load_dword v165, off, s[0:3], 0 offset:448
	;; [unrolled: 1-line block ×4, first 2 shown]
	v_add_f32_e32 v9, 0, v195
	s_waitcnt vmcnt(41)
	v_fmac_f32_e32 v159, v151, v174
	v_fma_f32 v149, v150, v174, -v10
	v_add_f32_e32 v10, 0, v196
	v_add_f32_e32 v147, v9, v199
	;; [unrolled: 1-line block ×3, first 2 shown]
	ds_read2_b64 v[9:12], v1 offset0:105 offset1:106
	v_add_f32_e32 v147, v147, v152
	s_waitcnt vmcnt(40) lgkmcnt(1)
	v_mul_f32_e32 v152, v5, v175
	v_mul_f32_e32 v151, v6, v175
	v_add_f32_e32 v150, v150, v200
	s_waitcnt vmcnt(39)
	v_mul_f32_e32 v199, v7, v176
	v_fmac_f32_e32 v152, v6, v173
	v_fma_f32 v170, v5, v173, -v151
	s_clause 0x5
	buffer_load_dword v173, off, s[0:3], 0 offset:488
	buffer_load_dword v174, off, s[0:3], 0 offset:480
	;; [unrolled: 1-line block ×6, first 2 shown]
	v_add_f32_e32 v5, v147, v154
	v_add_f32_e32 v6, v150, v201
	v_fmac_f32_e32 v199, v8, v172
	v_add_f32_e32 v5, v5, v140
	v_add_f32_e32 v6, v6, v202
	v_mul_f32_e32 v140, v8, v176
	s_waitcnt vmcnt(43) lgkmcnt(0)
	v_mul_f32_e32 v151, v12, v178
	v_mul_f32_e32 v176, v9, v177
	v_add_f32_e32 v5, v5, v141
	v_add_f32_e32 v141, v6, v153
	v_fma_f32 v172, v7, v172, -v140
	v_fmac_f32_e32 v176, v10, v171
	v_add_f32_e32 v147, v5, v143
	ds_read2_b64 v[5:8], v1 offset0:107 offset1:108
	v_add_f32_e32 v150, v141, v142
	ds_read2_b64 v[140:143], v1 offset0:109 offset1:110
	v_add_f32_e32 v145, v147, v145
	v_mul_f32_e32 v147, v10, v177
	v_add_f32_e32 v150, v150, v155
	v_mul_f32_e32 v177, v11, v178
	s_waitcnt vmcnt(39)
	v_fma_f32 v178, v11, v182, -v151
	v_add_f32_e32 v153, v145, v146
	v_fma_f32 v171, v9, v171, -v147
	v_add_f32_e32 v150, v150, v144
	v_fmac_f32_e32 v177, v12, v182
	ds_read2_b64 v[9:12], v1 offset0:111 offset1:112
	ds_read2_b64 v[144:147], v1 offset0:113 offset1:114
	v_add_f32_e32 v151, v153, v157
	v_add_f32_e32 v150, v150, v156
	;; [unrolled: 1-line block ×3, first 2 shown]
	s_waitcnt vmcnt(38) lgkmcnt(3)
	v_mul_f32_e32 v182, v5, v183
	v_mul_f32_e32 v153, v6, v183
	s_waitcnt vmcnt(37)
	v_mul_f32_e32 v183, v7, v184
	v_mul_f32_e32 v154, v8, v184
	v_add_f32_e32 v150, v150, v158
	v_fmac_f32_e32 v182, v6, v181
	v_fma_f32 v181, v5, v181, -v153
	v_add_f32_e32 v153, v148, v149
	v_fmac_f32_e32 v183, v8, v180
	v_fma_f32 v180, v7, v180, -v154
	v_add_f32_e32 v154, v150, v159
	s_waitcnt vmcnt(35) lgkmcnt(2)
	v_mul_f32_e32 v156, v143, v186
	v_add_f32_e32 v157, v153, v170
	s_waitcnt vmcnt(30) lgkmcnt(1)
	v_mul_f32_e32 v158, v10, v188
	v_mul_f32_e32 v184, v140, v185
	;; [unrolled: 1-line block ×3, first 2 shown]
	s_waitcnt vmcnt(24)
	v_fma_f32 v170, v142, v194, -v156
	v_add_f32_e32 v156, v154, v152
	v_add_f32_e32 v157, v157, v172
	v_mul_f32_e32 v172, v9, v188
	v_fmac_f32_e32 v184, v141, v179
	v_fma_f32 v179, v140, v179, -v155
	v_add_f32_e32 v156, v156, v199
	v_mul_f32_e32 v185, v142, v186
	v_fmac_f32_e32 v172, v10, v193
	v_add_f32_e32 v10, v157, v171
	ds_read2_b64 v[5:8], v1 offset0:115 offset1:116
	ds_read2_b64 v[148:151], v1 offset0:117 offset1:118
	v_add_f32_e32 v156, v156, v176
	v_fmac_f32_e32 v185, v143, v194
	v_mul_f32_e32 v159, v12, v189
	v_add_f32_e32 v178, v10, v178
	v_fma_f32 v171, v9, v193, -v158
	v_add_f32_e32 v177, v156, v177
	v_mul_f32_e32 v186, v11, v189
	v_fma_f32 v176, v11, v192, -v159
	v_add_f32_e32 v178, v178, v181
	s_waitcnt lgkmcnt(2)
	v_mul_f32_e32 v181, v145, v190
	v_add_f32_e32 v177, v177, v182
	ds_read2_b64 v[140:143], v1 offset0:119 offset1:120
	ds_read2_b64 v[152:155], v1 offset0:121 offset1:122
	v_fmac_f32_e32 v186, v12, v192
	v_add_f32_e32 v178, v178, v180
	ds_read2_b64 v[9:12], v1 offset0:123 offset1:124
	ds_read2_b64 v[156:159], v1 offset0:125 offset1:126
	v_add_f32_e32 v177, v177, v183
	v_mul_f32_e32 v1, v144, v190
	v_mul_f32_e32 v182, v146, v187
	v_add_f32_e32 v178, v178, v179
	v_mul_f32_e32 v187, v147, v187
	v_add_f32_e32 v177, v177, v184
	v_fma_f32 v144, v144, v191, -v181
	v_fmac_f32_e32 v1, v145, v191
	v_add_f32_e32 v170, v178, v170
	s_waitcnt lgkmcnt(5)
	v_mul_f32_e32 v180, v5, v4
	v_add_f32_e32 v177, v177, v185
	v_mul_f32_e32 v4, v6, v4
	v_mul_f32_e32 v183, v7, v3
	v_add_f32_e32 v170, v170, v171
	v_mul_f32_e32 v3, v8, v3
	v_add_f32_e32 v172, v177, v172
	s_waitcnt lgkmcnt(4)
	v_mul_f32_e32 v188, v148, v2
	v_mul_f32_e32 v2, v149, v2
	v_add_f32_e32 v170, v170, v176
	v_add_f32_e32 v172, v172, v186
	;; [unrolled: 1-line block ×4, first 2 shown]
	s_waitcnt vmcnt(22)
	v_mul_f32_e32 v179, v150, v160
	s_waitcnt vmcnt(21) lgkmcnt(3)
	v_mul_f32_e32 v184, v140, v203
	s_waitcnt vmcnt(20)
	v_mul_f32_e32 v189, v142, v204
	s_waitcnt vmcnt(19) lgkmcnt(2)
	v_mul_f32_e32 v178, v152, v205
	s_waitcnt vmcnt(18)
	v_mul_f32_e32 v185, v154, v206
	s_waitcnt vmcnt(17) lgkmcnt(1)
	v_mul_f32_e32 v190, v9, v207
	s_waitcnt vmcnt(16)
	v_mul_f32_e32 v171, v11, v208
	s_waitcnt vmcnt(15) lgkmcnt(0)
	v_mul_f32_e32 v177, v156, v209
	s_waitcnt vmcnt(14)
	v_mul_f32_e32 v145, v158, v161
	s_waitcnt vmcnt(13)
	v_fma_f32 v2, v148, v162, -v2
	s_waitcnt vmcnt(12)
	v_fma_f32 v3, v7, v163, -v3
	s_waitcnt vmcnt(11)
	v_fma_f32 v4, v5, v167, -v4
	s_waitcnt vmcnt(10)
	v_fma_f32 v146, v146, v168, -v187
	v_fmac_f32_e32 v182, v147, v168
	v_fmac_f32_e32 v180, v6, v167
	;; [unrolled: 1-line block ×4, first 2 shown]
	v_add_f32_e32 v5, v144, v146
	v_add_f32_e32 v1, v1, v182
	v_add_f32_e32 v4, v5, v4
	v_add_f32_e32 v1, v1, v180
	v_mul_f32_e32 v5, v151, v160
	s_waitcnt vmcnt(6)
	v_fmac_f32_e32 v179, v151, v169
	v_fmac_f32_e32 v184, v141, v166
	v_add_f32_e32 v3, v4, v3
	v_add_f32_e32 v1, v1, v183
	v_mul_f32_e32 v4, v141, v203
	v_fma_f32 v5, v150, v169, -v5
	v_fmac_f32_e32 v189, v143, v165
	v_add_f32_e32 v2, v3, v2
	v_add_f32_e32 v1, v1, v188
	v_mul_f32_e32 v3, v143, v204
	v_fma_f32 v4, v140, v166, -v4
	;; [unrolled: 5-line block ×3, first 2 shown]
	s_waitcnt vmcnt(5)
	v_fmac_f32_e32 v177, v157, v173
	v_add_f32_e32 v2, v2, v4
	v_add_f32_e32 v1, v1, v184
	v_mul_f32_e32 v4, v155, v206
	v_fma_f32 v5, v152, v164, -v5
	s_waitcnt vmcnt(2)
	v_fmac_f32_e32 v185, v155, v195
	v_add_f32_e32 v2, v2, v3
	v_add_f32_e32 v1, v1, v189
	v_mul_f32_e32 v3, v10, v207
	v_fma_f32 v4, v154, v195, -v4
	v_fmac_f32_e32 v190, v10, v175
	v_add_f32_e32 v2, v2, v5
	v_add_f32_e32 v1, v1, v178
	v_mul_f32_e32 v5, v12, v208
	v_fma_f32 v3, v9, v175, -v3
	;; [unrolled: 5-line block ×3, first 2 shown]
	s_waitcnt vmcnt(1)
	v_fmac_f32_e32 v145, v159, v196
	v_add_f32_e32 v2, v2, v3
	v_add_f32_e32 v1, v1, v190
	v_mul_f32_e32 v3, v159, v161
	v_fma_f32 v4, v156, v173, -v4
	v_add_f32_e32 v2, v2, v5
	v_add_f32_e32 v1, v1, v171
	v_fma_f32 v3, v158, v196, -v3
	v_add_f32_e32 v2, v2, v4
	v_add_f32_e32 v1, v1, v177
	;; [unrolled: 1-line block ×4, first 2 shown]
	s_waitcnt vmcnt(0)
	v_sub_f32_e32 v2, v197, v2
	v_sub_f32_e32 v1, v198, v1
	buffer_store_dword v2, off, s[0:3], 0 offset:208
	buffer_store_dword v1, off, s[0:3], 0 offset:212
	v_cmpx_lt_u32_e32 25, v0
	s_cbranch_execz .LBB62_341
; %bb.340:
	s_clause 0x1
	buffer_load_dword v1, off, s[0:3], 0 offset:200
	buffer_load_dword v2, off, s[0:3], 0 offset:204
	v_mov_b32_e32 v3, 0
	buffer_store_dword v3, off, s[0:3], 0 offset:200
	buffer_store_dword v3, off, s[0:3], 0 offset:204
	s_waitcnt vmcnt(0)
	ds_write_b64 v139, v[1:2]
.LBB62_341:
	s_or_b32 exec_lo, exec_lo, s4
	s_waitcnt lgkmcnt(0)
	s_waitcnt_vscnt null, 0x0
	s_barrier
	buffer_gl0_inv
	s_clause 0x25
	buffer_load_dword v2, off, s[0:3], 0 offset:212
	buffer_load_dword v3, off, s[0:3], 0 offset:220
	;; [unrolled: 1-line block ×38, first 2 shown]
	v_mov_b32_e32 v1, 0
	ds_read_b128 v[4:7], v1 offset:720
	ds_read_b128 v[8:11], v1 offset:736
	s_clause 0x10
	buffer_load_dword v183, off, s[0:3], 0 offset:364
	buffer_load_dword v184, off, s[0:3], 0 offset:372
	;; [unrolled: 1-line block ×17, first 2 shown]
	ds_read_b128 v[140:143], v1 offset:752
	ds_read_b128 v[144:147], v1 offset:768
	s_mov_b32 s4, exec_lo
	s_waitcnt vmcnt(54) lgkmcnt(3)
	v_mul_f32_e32 v200, v5, v2
	v_mul_f32_e32 v201, v4, v2
	s_waitcnt vmcnt(53)
	v_mul_f32_e32 v202, v6, v3
	v_mul_f32_e32 v2, v7, v3
	s_waitcnt vmcnt(52) lgkmcnt(2)
	v_mul_f32_e32 v203, v8, v12
	v_mul_f32_e32 v3, v9, v12
	s_waitcnt vmcnt(49)
	v_fma_f32 v12, v4, v150, -v200
	s_waitcnt vmcnt(48)
	v_mul_f32_e32 v4, v11, v151
	v_fmac_f32_e32 v201, v5, v150
	v_mul_f32_e32 v150, v10, v151
	v_fmac_f32_e32 v202, v7, v149
	v_fma_f32 v149, v6, v149, -v2
	v_fmac_f32_e32 v203, v9, v148
	v_fma_f32 v148, v8, v148, -v3
	s_waitcnt vmcnt(44)
	v_fma_f32 v10, v10, v155, -v4
	ds_read_b128 v[2:5], v1 offset:784
	ds_read_b128 v[6:9], v1 offset:800
	v_fmac_f32_e32 v150, v11, v155
	s_waitcnt vmcnt(43) lgkmcnt(3)
	v_mul_f32_e32 v11, v140, v156
	v_mul_f32_e32 v151, v141, v156
	s_waitcnt vmcnt(42)
	v_mul_f32_e32 v155, v142, v157
	v_mul_f32_e32 v156, v143, v157
	s_waitcnt vmcnt(41) lgkmcnt(2)
	v_mul_f32_e32 v157, v144, v158
	v_mul_f32_e32 v158, v145, v158
	v_fmac_f32_e32 v11, v141, v154
	v_fma_f32 v140, v140, v154, -v151
	s_waitcnt vmcnt(40)
	v_mul_f32_e32 v141, v146, v159
	v_mul_f32_e32 v151, v147, v159
	v_fmac_f32_e32 v155, v143, v153
	v_fma_f32 v142, v142, v153, -v156
	v_fmac_f32_e32 v157, v145, v152
	v_fma_f32 v143, v144, v152, -v158
	s_waitcnt vmcnt(36)
	v_fmac_f32_e32 v141, v147, v163
	v_fma_f32 v144, v146, v163, -v151
	s_clause 0x3
	buffer_load_dword v200, off, s[0:3], 0 offset:428
	buffer_load_dword v204, off, s[0:3], 0 offset:436
	;; [unrolled: 1-line block ×4, first 2 shown]
	s_waitcnt vmcnt(39) lgkmcnt(1)
	v_mul_f32_e32 v145, v2, v164
	v_mul_f32_e32 v146, v3, v164
	s_waitcnt vmcnt(38)
	v_mul_f32_e32 v147, v4, v165
	v_mul_f32_e32 v151, v5, v165
	s_waitcnt vmcnt(37) lgkmcnt(0)
	v_mul_f32_e32 v153, v7, v166
	s_clause 0x3
	buffer_load_dword v163, off, s[0:3], 0 offset:460
	buffer_load_dword v207, off, s[0:3], 0 offset:468
	;; [unrolled: 1-line block ×4, first 2 shown]
	v_fmac_f32_e32 v145, v3, v162
	v_fma_f32 v146, v2, v162, -v146
	v_mul_f32_e32 v152, v6, v166
	v_fmac_f32_e32 v147, v5, v161
	v_fma_f32 v151, v4, v161, -v151
	ds_read_b128 v[2:5], v1 offset:816
	v_fma_f32 v153, v6, v160, -v153
	s_waitcnt vmcnt(40)
	v_mul_f32_e32 v6, v9, v167
	s_clause 0x1
	buffer_load_dword v164, off, s[0:3], 0 offset:492
	buffer_load_dword v161, off, s[0:3], 0 offset:500
	v_fmac_f32_e32 v152, v7, v160
	v_mul_f32_e32 v154, v8, v167
	s_waitcnt vmcnt(38)
	v_fma_f32 v156, v8, v171, -v6
	v_add_f32_e32 v6, 0, v12
	s_clause 0x3
	buffer_load_dword v12, off, s[0:3], 0 offset:448
	buffer_load_dword v160, off, s[0:3], 0 offset:440
	;; [unrolled: 1-line block ×4, first 2 shown]
	v_add_f32_e32 v7, 0, v201
	v_fmac_f32_e32 v154, v9, v171
	v_add_f32_e32 v6, v6, v149
	v_add_f32_e32 v149, v7, v202
	;; [unrolled: 1-line block ×3, first 2 shown]
	ds_read_b128 v[6:9], v1 offset:832
	s_waitcnt vmcnt(41) lgkmcnt(1)
	v_mul_f32_e32 v158, v2, v172
	v_mul_f32_e32 v159, v3, v172
	v_add_f32_e32 v149, v149, v203
	v_add_f32_e32 v10, v148, v10
	v_fmac_f32_e32 v158, v3, v170
	v_fma_f32 v148, v2, v170, -v159
	s_clause 0x6
	buffer_load_dword v166, off, s[0:3], 0 offset:480
	buffer_load_dword v167, off, s[0:3], 0 offset:472
	;; [unrolled: 1-line block ×7, first 2 shown]
	v_add_f32_e32 v2, v149, v150
	v_add_f32_e32 v3, v10, v140
	s_waitcnt vmcnt(47)
	v_mul_f32_e32 v10, v4, v173
	v_add_f32_e32 v2, v2, v11
	v_add_f32_e32 v3, v3, v142
	v_mul_f32_e32 v11, v5, v173
	v_fmac_f32_e32 v10, v5, v169
	s_waitcnt vmcnt(45) lgkmcnt(0)
	v_mul_f32_e32 v159, v8, v175
	v_add_f32_e32 v2, v2, v155
	v_add_f32_e32 v3, v3, v143
	v_fma_f32 v11, v4, v169, -v11
	s_waitcnt vmcnt(41)
	v_fmac_f32_e32 v159, v9, v179
	v_add_f32_e32 v140, v2, v157
	v_add_f32_e32 v144, v3, v144
	ds_read_b128 v[2:5], v1 offset:848
	v_mul_f32_e32 v157, v6, v174
	v_add_f32_e32 v149, v140, v141
	v_add_f32_e32 v144, v144, v146
	v_mul_f32_e32 v146, v7, v174
	ds_read_b128 v[140:143], v1 offset:864
	v_fmac_f32_e32 v157, v7, v168
	v_add_f32_e32 v145, v149, v145
	v_mul_f32_e32 v149, v9, v175
	v_add_f32_e32 v150, v144, v151
	v_fma_f32 v168, v6, v168, -v146
	v_fma_f32 v169, v8, v179, -v149
	v_add_f32_e32 v149, v145, v147
	v_add_f32_e32 v150, v150, v153
	ds_read_b128 v[6:9], v1 offset:880
	ds_read_b128 v[144:147], v1 offset:896
	v_add_f32_e32 v149, v149, v152
	s_waitcnt vmcnt(39) lgkmcnt(3)
	v_mul_f32_e32 v174, v4, v181
	v_mul_f32_e32 v152, v5, v181
	v_add_f32_e32 v150, v150, v156
	v_mul_f32_e32 v151, v3, v180
	v_add_f32_e32 v149, v149, v154
	v_fmac_f32_e32 v174, v5, v177
	v_fma_f32 v177, v4, v177, -v152
	v_add_f32_e32 v152, v150, v148
	v_mul_f32_e32 v173, v2, v180
	v_add_f32_e32 v154, v149, v158
	v_fma_f32 v156, v2, v178, -v151
	s_waitcnt vmcnt(38) lgkmcnt(2)
	v_mul_f32_e32 v175, v140, v182
	v_add_f32_e32 v11, v152, v11
	v_fmac_f32_e32 v173, v3, v178
	v_add_f32_e32 v10, v154, v10
	v_mul_f32_e32 v153, v141, v182
	s_waitcnt vmcnt(37)
	v_mul_f32_e32 v155, v143, v183
	v_add_f32_e32 v11, v11, v168
	s_waitcnt vmcnt(36) lgkmcnt(1)
	v_mul_f32_e32 v168, v6, v184
	v_add_f32_e32 v10, v10, v157
	v_mul_f32_e32 v157, v7, v184
	v_fmac_f32_e32 v175, v141, v176
	v_fma_f32 v176, v140, v176, -v153
	s_waitcnt vmcnt(31)
	v_fmac_f32_e32 v168, v7, v189
	v_add_f32_e32 v7, v11, v169
	v_add_f32_e32 v10, v10, v159
	v_mul_f32_e32 v179, v142, v183
	s_waitcnt vmcnt(30)
	v_fma_f32 v178, v142, v190, -v155
	ds_read_b128 v[2:5], v1 offset:912
	ds_read_b128 v[148:151], v1 offset:928
	v_add_f32_e32 v182, v7, v156
	v_add_f32_e32 v173, v10, v173
	v_fmac_f32_e32 v179, v143, v190
	v_mul_f32_e32 v158, v9, v185
	v_fma_f32 v169, v6, v189, -v157
	v_add_f32_e32 v177, v182, v177
	v_add_f32_e32 v173, v173, v174
	v_mul_f32_e32 v180, v8, v185
	v_fma_f32 v181, v8, v188, -v158
	s_waitcnt lgkmcnt(2)
	v_mul_f32_e32 v183, v145, v186
	v_add_f32_e32 v176, v177, v176
	v_add_f32_e32 v173, v173, v175
	v_fmac_f32_e32 v180, v9, v188
	v_mul_f32_e32 v182, v144, v186
	s_waitcnt vmcnt(29)
	v_mul_f32_e32 v184, v147, v191
	v_add_f32_e32 v176, v176, v178
	v_add_f32_e32 v173, v173, v179
	v_fma_f32 v144, v144, v187, -v183
	v_mul_f32_e32 v174, v146, v191
	v_fmac_f32_e32 v182, v145, v187
	v_add_f32_e32 v169, v176, v169
	v_add_f32_e32 v168, v173, v168
	s_waitcnt vmcnt(28) lgkmcnt(1)
	v_mul_f32_e32 v177, v2, v192
	v_mul_f32_e32 v183, v3, v192
	s_waitcnt vmcnt(22)
	v_fma_f32 v146, v146, v198, -v184
	v_add_f32_e32 v169, v169, v181
	v_add_f32_e32 v168, v168, v180
	ds_read_b128 v[140:143], v1 offset:944
	ds_read_b128 v[152:155], v1 offset:960
	v_fmac_f32_e32 v174, v147, v198
	v_mul_f32_e32 v180, v5, v193
	v_add_f32_e32 v144, v169, v144
	v_add_f32_e32 v168, v168, v182
	v_fmac_f32_e32 v177, v3, v197
	v_fma_f32 v2, v2, v197, -v183
	v_mul_f32_e32 v175, v4, v193
	v_add_f32_e32 v3, v144, v146
	v_add_f32_e32 v144, v168, v174
	s_waitcnt lgkmcnt(2)
	v_mul_f32_e32 v146, v149, v194
	v_fma_f32 v4, v4, v196, -v180
	v_mul_f32_e32 v145, v148, v194
	v_add_f32_e32 v2, v3, v2
	v_fmac_f32_e32 v175, v5, v196
	v_add_f32_e32 v3, v144, v177
	v_fma_f32 v144, v148, v195, -v146
	v_fmac_f32_e32 v145, v149, v195
	v_add_f32_e32 v2, v2, v4
	ds_read_b128 v[6:9], v1 offset:976
	ds_read_b128 v[156:159], v1 offset:992
	ds_read_b64 v[10:11], v1 offset:1008
	v_add_f32_e32 v3, v3, v175
	v_add_f32_e32 v2, v2, v144
	;; [unrolled: 1-line block ×3, first 2 shown]
	s_waitcnt vmcnt(20)
	v_mul_f32_e32 v5, v151, v200
	v_mul_f32_e32 v178, v150, v200
	s_waitcnt vmcnt(19) lgkmcnt(4)
	v_mul_f32_e32 v4, v141, v204
	v_mul_f32_e32 v179, v140, v204
	s_waitcnt vmcnt(18)
	v_mul_f32_e32 v144, v143, v205
	v_mul_f32_e32 v147, v142, v205
	s_waitcnt vmcnt(17) lgkmcnt(3)
	v_mul_f32_e32 v184, v152, v206
	s_waitcnt vmcnt(16)
	v_mul_f32_e32 v173, v154, v163
	s_waitcnt vmcnt(15) lgkmcnt(2)
	v_mul_f32_e32 v176, v6, v207
	s_waitcnt vmcnt(14)
	;; [unrolled: 4-line block ×4, first 2 shown]
	v_fmac_f32_e32 v184, v153, v12
	s_waitcnt vmcnt(9)
	v_fmac_f32_e32 v147, v143, v160
	s_waitcnt vmcnt(8)
	v_fma_f32 v4, v140, v162, -v4
	s_waitcnt vmcnt(7)
	v_fma_f32 v5, v150, v165, -v5
	v_fmac_f32_e32 v178, v151, v165
	v_fmac_f32_e32 v179, v141, v162
	v_fma_f32 v140, v142, v160, -v144
	v_add_f32_e32 v2, v2, v5
	v_add_f32_e32 v3, v3, v178
	v_mul_f32_e32 v5, v153, v206
	v_add_f32_e32 v2, v2, v4
	v_add_f32_e32 v3, v3, v179
	v_mul_f32_e32 v4, v155, v163
	v_fma_f32 v5, v152, v12, -v5
	v_mul_f32_e32 v12, v7, v207
	v_add_f32_e32 v2, v2, v140
	v_add_f32_e32 v3, v3, v147
	s_waitcnt vmcnt(4)
	v_fmac_f32_e32 v176, v7, v170
	s_waitcnt vmcnt(3)
	v_fma_f32 v4, v154, v171, -v4
	v_fmac_f32_e32 v173, v155, v171
	v_add_f32_e32 v2, v2, v5
	v_add_f32_e32 v3, v3, v184
	v_mul_f32_e32 v5, v9, v208
	v_fma_f32 v6, v6, v170, -v12
	v_fmac_f32_e32 v185, v9, v167
	v_add_f32_e32 v2, v2, v4
	v_add_f32_e32 v3, v3, v173
	v_mul_f32_e32 v4, v157, v209
	;; [unrolled: 5-line block ×3, first 2 shown]
	v_fma_f32 v4, v156, v166, -v4
	s_waitcnt vmcnt(1)
	v_fmac_f32_e32 v186, v159, v201
	v_add_f32_e32 v2, v2, v5
	v_add_f32_e32 v3, v3, v185
	v_mul_f32_e32 v5, v11, v161
	v_fma_f32 v6, v158, v201, -v6
	v_fmac_f32_e32 v169, v11, v172
	v_add_f32_e32 v2, v2, v4
	v_add_f32_e32 v3, v3, v181
	v_fma_f32 v4, v10, v172, -v5
	v_add_f32_e32 v2, v2, v6
	v_add_f32_e32 v3, v3, v186
	;; [unrolled: 1-line block ×4, first 2 shown]
	s_waitcnt vmcnt(0)
	v_sub_f32_e32 v2, v202, v2
	v_sub_f32_e32 v3, v199, v3
	buffer_store_dword v2, off, s[0:3], 0 offset:200
	buffer_store_dword v3, off, s[0:3], 0 offset:204
	v_cmpx_lt_u32_e32 24, v0
	s_cbranch_execz .LBB62_343
; %bb.342:
	s_clause 0x1
	buffer_load_dword v2, off, s[0:3], 0 offset:192
	buffer_load_dword v3, off, s[0:3], 0 offset:196
	buffer_store_dword v1, off, s[0:3], 0 offset:192
	buffer_store_dword v1, off, s[0:3], 0 offset:196
	s_waitcnt vmcnt(0)
	ds_write_b64 v139, v[2:3]
.LBB62_343:
	s_or_b32 exec_lo, exec_lo, s4
	s_waitcnt lgkmcnt(0)
	s_waitcnt_vscnt null, 0x0
	s_barrier
	buffer_gl0_inv
	s_clause 0x1e
	buffer_load_dword v2, off, s[0:3], 0 offset:204
	buffer_load_dword v3, off, s[0:3], 0 offset:212
	;; [unrolled: 1-line block ×31, first 2 shown]
	ds_read2_b64 v[4:7], v1 offset0:89 offset1:90
	s_clause 0x3
	buffer_load_dword v184, off, s[0:3], 0 offset:344
	buffer_load_dword v185, off, s[0:3], 0 offset:336
	;; [unrolled: 1-line block ×4, first 2 shown]
	ds_read2_b64 v[8:11], v1 offset0:91 offset1:92
	s_clause 0xa
	buffer_load_dword v188, off, s[0:3], 0 offset:332
	buffer_load_dword v189, off, s[0:3], 0 offset:340
	;; [unrolled: 1-line block ×11, first 2 shown]
	ds_read2_b64 v[140:143], v1 offset0:93 offset1:94
	ds_read2_b64 v[144:147], v1 offset0:95 offset1:96
	;; [unrolled: 1-line block ×4, first 2 shown]
	buffer_load_dword v199, off, s[0:3], 0 offset:196
	s_mov_b32 s4, exec_lo
	s_waitcnt vmcnt(46) lgkmcnt(5)
	v_mul_f32_e32 v200, v5, v2
	v_mul_f32_e32 v201, v4, v2
	s_waitcnt vmcnt(45)
	v_mul_f32_e32 v202, v6, v3
	v_mul_f32_e32 v2, v7, v3
	s_waitcnt vmcnt(44) lgkmcnt(4)
	v_mul_f32_e32 v203, v8, v12
	v_mul_f32_e32 v3, v9, v12
	s_waitcnt vmcnt(41)
	v_fma_f32 v12, v4, v158, -v200
	v_fmac_f32_e32 v201, v5, v158
	s_waitcnt vmcnt(40)
	v_mul_f32_e32 v158, v10, v159
	v_mul_f32_e32 v4, v11, v159
	v_fmac_f32_e32 v202, v7, v157
	s_waitcnt vmcnt(35) lgkmcnt(3)
	v_mul_f32_e32 v159, v141, v164
	v_fma_f32 v157, v6, v157, -v2
	v_fmac_f32_e32 v158, v11, v163
	v_mul_f32_e32 v11, v140, v164
	v_fma_f32 v10, v10, v163, -v4
	s_waitcnt vmcnt(34)
	v_mul_f32_e32 v163, v142, v165
	v_mul_f32_e32 v164, v143, v165
	s_waitcnt vmcnt(33) lgkmcnt(2)
	v_mul_f32_e32 v165, v144, v166
	v_mul_f32_e32 v166, v145, v166
	v_fmac_f32_e32 v11, v141, v162
	v_fma_f32 v140, v140, v162, -v159
	s_waitcnt vmcnt(32)
	v_mul_f32_e32 v141, v146, v167
	v_mul_f32_e32 v159, v147, v167
	v_fmac_f32_e32 v203, v9, v156
	v_fma_f32 v156, v8, v156, -v3
	ds_read2_b64 v[2:5], v1 offset0:101 offset1:102
	ds_read2_b64 v[6:9], v1 offset0:103 offset1:104
	v_fmac_f32_e32 v163, v143, v161
	v_fma_f32 v142, v142, v161, -v164
	v_fmac_f32_e32 v165, v145, v160
	v_fma_f32 v143, v144, v160, -v166
	s_waitcnt vmcnt(28)
	v_fmac_f32_e32 v141, v147, v171
	v_fma_f32 v144, v146, v171, -v159
	s_clause 0x7
	buffer_load_dword v159, off, s[0:3], 0 offset:388
	buffer_load_dword v160, off, s[0:3], 0 offset:396
	;; [unrolled: 1-line block ×8, first 2 shown]
	s_waitcnt vmcnt(35) lgkmcnt(3)
	v_mul_f32_e32 v145, v148, v172
	v_mul_f32_e32 v146, v149, v172
	s_waitcnt vmcnt(34)
	v_mul_f32_e32 v147, v150, v173
	v_mul_f32_e32 v172, v151, v173
	s_waitcnt vmcnt(33) lgkmcnt(2)
	v_mul_f32_e32 v173, v152, v174
	v_mul_f32_e32 v174, v153, v174
	v_fmac_f32_e32 v145, v149, v170
	v_fma_f32 v146, v148, v170, -v146
	s_waitcnt vmcnt(32)
	v_mul_f32_e32 v148, v154, v175
	v_mul_f32_e32 v149, v155, v175
	v_fmac_f32_e32 v147, v151, v169
	v_fmac_f32_e32 v173, v153, v168
	v_fma_f32 v151, v152, v168, -v174
	s_waitcnt vmcnt(28)
	v_fmac_f32_e32 v148, v155, v179
	v_fma_f32 v149, v154, v179, -v149
	s_waitcnt vmcnt(27) lgkmcnt(1)
	v_mul_f32_e32 v152, v2, v180
	v_mul_f32_e32 v153, v3, v180
	s_waitcnt vmcnt(26)
	v_mul_f32_e32 v154, v4, v181
	v_mul_f32_e32 v155, v5, v181
	v_fma_f32 v150, v150, v169, -v172
	s_clause 0x8
	buffer_load_dword v169, off, s[0:3], 0 offset:420
	buffer_load_dword v170, off, s[0:3], 0 offset:428
	;; [unrolled: 1-line block ×9, first 2 shown]
	v_fmac_f32_e32 v152, v3, v178
	v_fma_f32 v153, v2, v178, -v153
	buffer_load_dword v178, off, s[0:3], 0 offset:492
	v_fmac_f32_e32 v154, v5, v177
	v_fma_f32 v155, v4, v177, -v155
	s_clause 0x4
	buffer_load_dword v177, off, s[0:3], 0 offset:500
	buffer_load_dword v181, off, s[0:3], 0 offset:440
	;; [unrolled: 1-line block ×5, first 2 shown]
	v_add_f32_e32 v3, 0, v201
	v_add_f32_e32 v2, 0, v12
	s_waitcnt vmcnt(40) lgkmcnt(0)
	v_mul_f32_e32 v4, v7, v182
	v_add_f32_e32 v3, v3, v202
	v_add_f32_e32 v2, v2, v157
	v_fma_f32 v157, v6, v176, -v4
	v_add_f32_e32 v3, v3, v203
	s_clause 0x3
	buffer_load_dword v12, off, s[0:3], 0 offset:472
	buffer_load_dword v201, off, s[0:3], 0 offset:464
	;; [unrolled: 1-line block ×4, first 2 shown]
	v_add_f32_e32 v2, v2, v156
	v_mul_f32_e32 v156, v6, v182
	v_add_f32_e32 v3, v3, v158
	s_waitcnt vmcnt(43)
	v_mul_f32_e32 v158, v8, v183
	v_add_f32_e32 v2, v2, v10
	s_clause 0x2
	buffer_load_dword v10, off, s[0:3], 0 offset:496
	buffer_load_dword v207, off, s[0:3], 0 offset:488
	;; [unrolled: 1-line block ×3, first 2 shown]
	v_fmac_f32_e32 v156, v7, v176
	v_add_f32_e32 v3, v3, v11
	buffer_load_dword v11, off, s[0:3], 0 offset:192
	v_add_f32_e32 v2, v2, v140
	s_waitcnt vmcnt(43)
	v_fmac_f32_e32 v158, v9, v187
	v_add_f32_e32 v3, v3, v163
	v_add_f32_e32 v2, v2, v142
	;; [unrolled: 1-line block ×4, first 2 shown]
	ds_read2_b64 v[2:5], v1 offset0:105 offset1:106
	v_add_f32_e32 v141, v7, v141
	v_add_f32_e32 v140, v6, v144
	v_mul_f32_e32 v6, v9, v183
	v_add_f32_e32 v145, v141, v145
	v_add_f32_e32 v144, v140, v146
	v_fma_f32 v163, v8, v187, -v6
	ds_read2_b64 v[6:9], v1 offset0:107 offset1:108
	ds_read2_b64 v[140:143], v1 offset0:109 offset1:110
	v_add_f32_e32 v145, v145, v147
	v_add_f32_e32 v144, v144, v150
	;; [unrolled: 1-line block ×3, first 2 shown]
	s_waitcnt vmcnt(42) lgkmcnt(2)
	v_mul_f32_e32 v146, v3, v188
	v_mul_f32_e32 v165, v2, v188
	v_fma_f32 v176, v2, v186, -v146
	v_add_f32_e32 v2, v145, v173
	v_fmac_f32_e32 v165, v3, v186
	v_add_f32_e32 v3, v150, v149
	ds_read2_b64 v[144:147], v1 offset0:111 offset1:112
	s_waitcnt vmcnt(41)
	v_mul_f32_e32 v173, v4, v189
	v_add_f32_e32 v2, v2, v148
	s_waitcnt vmcnt(40) lgkmcnt(2)
	v_mul_f32_e32 v182, v6, v190
	v_mul_f32_e32 v148, v7, v190
	v_add_f32_e32 v3, v3, v153
	s_waitcnt vmcnt(38) lgkmcnt(1)
	v_mul_f32_e32 v186, v140, v192
	v_add_f32_e32 v2, v2, v152
	v_fmac_f32_e32 v182, v7, v184
	v_fma_f32 v184, v6, v184, -v148
	v_add_f32_e32 v6, v3, v155
	v_mul_f32_e32 v152, v141, v192
	v_add_f32_e32 v7, v2, v154
	s_waitcnt vmcnt(33)
	v_fmac_f32_e32 v186, v141, v197
	v_mul_f32_e32 v149, v5, v189
	v_add_f32_e32 v141, v6, v157
	v_fma_f32 v188, v140, v197, -v152
	v_add_f32_e32 v140, v7, v156
	v_fmac_f32_e32 v173, v5, v185
	v_fma_f32 v185, v4, v185, -v149
	v_add_f32_e32 v141, v141, v163
	s_waitcnt lgkmcnt(0)
	v_mul_f32_e32 v157, v145, v194
	v_add_f32_e32 v140, v140, v158
	v_mul_f32_e32 v189, v144, v194
	v_mul_f32_e32 v153, v9, v191
	v_add_f32_e32 v141, v141, v176
	v_fma_f32 v192, v144, v195, -v157
	v_add_f32_e32 v144, v140, v165
	v_mul_f32_e32 v183, v8, v191
	s_waitcnt vmcnt(32)
	v_fma_f32 v187, v8, v198, -v153
	v_add_f32_e32 v165, v141, v185
	ds_read2_b64 v[2:5], v1 offset0:113 offset1:114
	ds_read2_b64 v[148:151], v1 offset0:115 offset1:116
	v_add_f32_e32 v173, v144, v173
	v_fmac_f32_e32 v183, v9, v198
	v_mul_f32_e32 v156, v143, v193
	v_add_f32_e32 v165, v165, v184
	v_mul_f32_e32 v163, v142, v193
	v_add_f32_e32 v173, v173, v182
	v_fmac_f32_e32 v189, v145, v195
	v_fma_f32 v191, v142, v196, -v156
	v_add_f32_e32 v165, v165, v187
	v_fmac_f32_e32 v163, v143, v196
	v_add_f32_e32 v173, v173, v183
	ds_read2_b64 v[6:9], v1 offset0:117 offset1:118
	ds_read2_b64 v[152:155], v1 offset0:119 offset1:120
	v_add_f32_e32 v165, v165, v188
	v_add_f32_e32 v173, v173, v186
	;; [unrolled: 1-line block ×6, first 2 shown]
	s_waitcnt vmcnt(30)
	v_mul_f32_e32 v176, v146, v159
	v_mul_f32_e32 v190, v147, v159
	ds_read2_b64 v[140:143], v1 offset0:121 offset1:122
	ds_read2_b64 v[156:159], v1 offset0:123 offset1:124
	s_waitcnt vmcnt(28) lgkmcnt(5)
	v_mul_f32_e32 v182, v4, v161
	v_mul_f32_e32 v161, v5, v161
	s_waitcnt vmcnt(27) lgkmcnt(4)
	v_mul_f32_e32 v184, v148, v162
	v_mul_f32_e32 v162, v149, v162
	s_waitcnt vmcnt(23)
	v_fmac_f32_e32 v176, v147, v171
	v_fma_f32 v171, v146, v171, -v190
	ds_read2_b64 v[144:147], v1 offset0:125 offset1:126
	v_mul_f32_e32 v1, v2, v160
	v_mul_f32_e32 v160, v3, v160
	v_add_f32_e32 v163, v163, v176
	v_fma_f32 v4, v4, v166, -v161
	v_fmac_f32_e32 v182, v5, v166
	v_fmac_f32_e32 v1, v3, v167
	v_fma_f32 v2, v2, v167, -v160
	v_add_f32_e32 v160, v165, v171
	v_fma_f32 v148, v148, v164, -v162
	v_fmac_f32_e32 v184, v149, v164
	v_add_f32_e32 v1, v163, v1
	v_add_f32_e32 v2, v160, v2
	s_waitcnt vmcnt(22)
	v_mul_f32_e32 v5, v151, v169
	v_mul_f32_e32 v183, v150, v169
	v_add_f32_e32 v2, v2, v4
	v_add_f32_e32 v1, v1, v182
	s_waitcnt vmcnt(21) lgkmcnt(4)
	v_mul_f32_e32 v4, v7, v170
	v_mul_f32_e32 v185, v6, v170
	s_waitcnt vmcnt(20)
	v_mul_f32_e32 v187, v8, v172
	v_add_f32_e32 v2, v2, v148
	v_add_f32_e32 v1, v1, v184
	v_mul_f32_e32 v148, v9, v172
	s_waitcnt vmcnt(9)
	v_fma_f32 v4, v6, v205, -v4
	s_waitcnt vmcnt(8)
	v_fma_f32 v5, v150, v206, -v5
	v_fmac_f32_e32 v183, v151, v206
	v_fmac_f32_e32 v185, v7, v205
	v_fma_f32 v6, v8, v204, -v148
	s_waitcnt lgkmcnt(3)
	v_mul_f32_e32 v186, v152, v175
	v_add_f32_e32 v2, v2, v5
	v_add_f32_e32 v1, v1, v183
	v_mul_f32_e32 v5, v153, v175
	v_fmac_f32_e32 v187, v9, v204
	v_mul_f32_e32 v188, v154, v168
	v_add_f32_e32 v2, v2, v4
	v_add_f32_e32 v1, v1, v185
	v_mul_f32_e32 v4, v155, v168
	v_fma_f32 v5, v152, v181, -v5
	v_fmac_f32_e32 v186, v153, v181
	v_add_f32_e32 v2, v2, v6
	v_add_f32_e32 v1, v1, v187
	s_waitcnt lgkmcnt(2)
	v_mul_f32_e32 v6, v141, v174
	s_waitcnt vmcnt(4)
	v_fma_f32 v4, v154, v203, -v4
	v_mul_f32_e32 v190, v140, v174
	v_add_f32_e32 v2, v2, v5
	v_fmac_f32_e32 v188, v155, v203
	v_add_f32_e32 v1, v1, v186
	v_mul_f32_e32 v5, v143, v179
	v_fma_f32 v6, v140, v202, -v6
	v_add_f32_e32 v2, v2, v4
	v_mul_f32_e32 v173, v142, v179
	v_fmac_f32_e32 v190, v141, v202
	v_add_f32_e32 v1, v1, v188
	s_waitcnt lgkmcnt(1)
	v_mul_f32_e32 v4, v157, v200
	v_fma_f32 v5, v142, v201, -v5
	v_add_f32_e32 v2, v2, v6
	v_mul_f32_e32 v191, v156, v200
	v_fmac_f32_e32 v173, v143, v201
	v_add_f32_e32 v1, v1, v190
	v_mul_f32_e32 v6, v159, v180
	v_fma_f32 v4, v156, v12, -v4
	v_add_f32_e32 v2, v2, v5
	v_mul_f32_e32 v192, v158, v180
	v_fmac_f32_e32 v191, v157, v12
	v_add_f32_e32 v1, v1, v173
	s_waitcnt lgkmcnt(0)
	v_mul_f32_e32 v5, v145, v178
	s_waitcnt vmcnt(1)
	v_fma_f32 v6, v158, v208, -v6
	v_add_f32_e32 v2, v2, v4
	v_mul_f32_e32 v189, v144, v178
	v_fmac_f32_e32 v192, v159, v208
	v_add_f32_e32 v1, v1, v191
	v_mul_f32_e32 v4, v147, v177
	v_fma_f32 v5, v144, v207, -v5
	v_add_f32_e32 v2, v2, v6
	v_mul_f32_e32 v3, v146, v177
	v_fmac_f32_e32 v189, v145, v207
	v_add_f32_e32 v1, v1, v192
	v_fma_f32 v4, v146, v10, -v4
	v_add_f32_e32 v2, v2, v5
	v_fmac_f32_e32 v3, v147, v10
	v_add_f32_e32 v1, v1, v189
	v_add_f32_e32 v2, v2, v4
	;; [unrolled: 1-line block ×3, first 2 shown]
	s_waitcnt vmcnt(0)
	v_sub_f32_e32 v2, v11, v2
	v_sub_f32_e32 v1, v199, v1
	buffer_store_dword v2, off, s[0:3], 0 offset:192
	buffer_store_dword v1, off, s[0:3], 0 offset:196
	v_cmpx_lt_u32_e32 23, v0
	s_cbranch_execz .LBB62_345
; %bb.344:
	s_clause 0x1
	buffer_load_dword v1, off, s[0:3], 0 offset:184
	buffer_load_dword v2, off, s[0:3], 0 offset:188
	v_mov_b32_e32 v3, 0
	buffer_store_dword v3, off, s[0:3], 0 offset:184
	buffer_store_dword v3, off, s[0:3], 0 offset:188
	s_waitcnt vmcnt(0)
	ds_write_b64 v139, v[1:2]
.LBB62_345:
	s_or_b32 exec_lo, exec_lo, s4
	s_waitcnt lgkmcnt(0)
	s_waitcnt_vscnt null, 0x0
	s_barrier
	buffer_gl0_inv
	s_clause 0x25
	buffer_load_dword v2, off, s[0:3], 0 offset:196
	buffer_load_dword v3, off, s[0:3], 0 offset:204
	;; [unrolled: 1-line block ×38, first 2 shown]
	v_mov_b32_e32 v1, 0
	ds_read_b128 v[4:7], v1 offset:704
	ds_read_b128 v[8:11], v1 offset:720
	s_clause 0x10
	buffer_load_dword v183, off, s[0:3], 0 offset:348
	buffer_load_dword v184, off, s[0:3], 0 offset:356
	;; [unrolled: 1-line block ×17, first 2 shown]
	ds_read_b128 v[140:143], v1 offset:736
	ds_read_b128 v[144:147], v1 offset:752
	s_mov_b32 s4, exec_lo
	s_waitcnt vmcnt(54) lgkmcnt(3)
	v_mul_f32_e32 v200, v5, v2
	v_mul_f32_e32 v201, v4, v2
	s_waitcnt vmcnt(53)
	v_mul_f32_e32 v202, v6, v3
	v_mul_f32_e32 v2, v7, v3
	s_waitcnt vmcnt(52) lgkmcnt(2)
	v_mul_f32_e32 v203, v8, v12
	v_mul_f32_e32 v3, v9, v12
	s_waitcnt vmcnt(49)
	v_fma_f32 v12, v4, v150, -v200
	v_fmac_f32_e32 v201, v5, v150
	s_waitcnt vmcnt(48)
	v_mul_f32_e32 v150, v10, v151
	v_mul_f32_e32 v4, v11, v151
	v_fmac_f32_e32 v202, v7, v149
	s_waitcnt vmcnt(43) lgkmcnt(1)
	v_mul_f32_e32 v151, v141, v156
	v_fma_f32 v149, v6, v149, -v2
	v_fmac_f32_e32 v203, v9, v148
	v_fma_f32 v148, v8, v148, -v3
	v_fmac_f32_e32 v150, v11, v155
	v_fma_f32 v10, v10, v155, -v4
	ds_read_b128 v[2:5], v1 offset:768
	ds_read_b128 v[6:9], v1 offset:784
	v_mul_f32_e32 v11, v140, v156
	s_waitcnt vmcnt(42)
	v_mul_f32_e32 v155, v142, v157
	v_mul_f32_e32 v156, v143, v157
	s_waitcnt vmcnt(41) lgkmcnt(2)
	v_mul_f32_e32 v157, v144, v158
	v_fma_f32 v151, v140, v154, -v151
	s_waitcnt vmcnt(40)
	v_mul_f32_e32 v140, v147, v159
	v_mul_f32_e32 v158, v145, v158
	v_fmac_f32_e32 v11, v141, v154
	v_fmac_f32_e32 v155, v143, v153
	v_fma_f32 v153, v142, v153, -v156
	s_clause 0x3
	buffer_load_dword v200, off, s[0:3], 0 offset:412
	buffer_load_dword v204, off, s[0:3], 0 offset:420
	;; [unrolled: 1-line block ×4, first 2 shown]
	v_fmac_f32_e32 v157, v145, v152
	s_waitcnt vmcnt(40)
	v_fma_f32 v145, v146, v163, -v140
	ds_read_b128 v[140:143], v1 offset:800
	v_mul_f32_e32 v154, v146, v159
	v_fma_f32 v144, v144, v152, -v158
	s_waitcnt vmcnt(39) lgkmcnt(2)
	v_mul_f32_e32 v146, v2, v164
	v_fmac_f32_e32 v154, v147, v163
	v_mul_f32_e32 v147, v3, v164
	s_waitcnt vmcnt(37) lgkmcnt(1)
	v_mul_f32_e32 v159, v7, v166
	v_mul_f32_e32 v152, v4, v165
	;; [unrolled: 1-line block ×4, first 2 shown]
	v_fmac_f32_e32 v146, v3, v162
	v_fma_f32 v147, v2, v162, -v147
	s_waitcnt vmcnt(36)
	v_mul_f32_e32 v162, v8, v167
	v_mul_f32_e32 v2, v9, v167
	v_fma_f32 v159, v6, v160, -v159
	v_fmac_f32_e32 v152, v5, v161
	v_fma_f32 v156, v4, v161, -v156
	s_clause 0x3
	buffer_load_dword v161, off, s[0:3], 0 offset:444
	buffer_load_dword v163, off, s[0:3], 0 offset:452
	;; [unrolled: 1-line block ×4, first 2 shown]
	s_waitcnt vmcnt(35) lgkmcnt(0)
	v_mul_f32_e32 v166, v140, v172
	v_mul_f32_e32 v6, v141, v172
	v_fmac_f32_e32 v158, v7, v160
	v_fmac_f32_e32 v162, v9, v171
	v_fma_f32 v160, v8, v171, -v2
	ds_read_b128 v[2:5], v1 offset:816
	s_waitcnt vmcnt(34)
	v_mul_f32_e32 v167, v142, v173
	v_mul_f32_e32 v7, v143, v173
	buffer_load_dword v171, off, s[0:3], 0 offset:476
	v_fmac_f32_e32 v166, v141, v170
	v_fma_f32 v170, v140, v170, -v6
	v_add_f32_e32 v6, 0, v12
	s_clause 0x6
	buffer_load_dword v12, off, s[0:3], 0 offset:484
	buffer_load_dword v172, off, s[0:3], 0 offset:492
	buffer_load_dword v173, off, s[0:3], 0 offset:500
	buffer_load_dword v207, off, s[0:3], 0 offset:432
	buffer_load_dword v208, off, s[0:3], 0 offset:424
	buffer_load_dword v209, off, s[0:3], 0 offset:416
	buffer_load_dword v210, off, s[0:3], 0 offset:408
	v_fmac_f32_e32 v167, v143, v169
	v_fma_f32 v169, v142, v169, -v7
	v_add_f32_e32 v7, 0, v201
	v_add_f32_e32 v6, v6, v149
	;; [unrolled: 1-line block ×4, first 2 shown]
	s_waitcnt vmcnt(41) lgkmcnt(0)
	v_mul_f32_e32 v8, v3, v174
	v_add_f32_e32 v7, v7, v203
	s_clause 0x8
	buffer_load_dword v201, off, s[0:3], 0 offset:464
	buffer_load_dword v202, off, s[0:3], 0 offset:456
	;; [unrolled: 1-line block ×9, first 2 shown]
	v_add_f32_e32 v6, v6, v10
	v_add_f32_e32 v7, v7, v150
	v_mul_f32_e32 v10, v2, v174
	v_add_f32_e32 v6, v6, v151
	v_add_f32_e32 v7, v7, v11
	v_fmac_f32_e32 v10, v3, v168
	v_fma_f32 v11, v2, v168, -v8
	v_add_f32_e32 v6, v6, v153
	v_add_f32_e32 v7, v7, v155
	s_waitcnt vmcnt(49)
	v_mul_f32_e32 v153, v4, v175
	v_add_f32_e32 v6, v6, v144
	v_add_f32_e32 v7, v7, v157
	s_waitcnt vmcnt(45)
	v_fmac_f32_e32 v153, v5, v179
	v_add_f32_e32 v2, v6, v145
	v_add_f32_e32 v3, v7, v154
	ds_read_b128 v[6:9], v1 offset:832
	v_add_f32_e32 v140, v2, v147
	v_mul_f32_e32 v2, v5, v175
	v_add_f32_e32 v141, v3, v146
	v_add_f32_e32 v144, v140, v156
	v_fma_f32 v154, v4, v179, -v2
	ds_read_b128 v[2:5], v1 offset:848
	v_add_f32_e32 v145, v141, v152
	ds_read_b128 v[140:143], v1 offset:864
	v_add_f32_e32 v144, v144, v159
	v_add_f32_e32 v145, v145, v158
	;; [unrolled: 1-line block ×3, first 2 shown]
	s_waitcnt vmcnt(44) lgkmcnt(2)
	v_mul_f32_e32 v146, v7, v180
	v_mul_f32_e32 v156, v6, v180
	s_waitcnt vmcnt(43)
	v_mul_f32_e32 v158, v8, v181
	v_fma_f32 v157, v6, v178, -v146
	v_add_f32_e32 v6, v145, v162
	v_fmac_f32_e32 v156, v7, v178
	v_add_f32_e32 v7, v148, v170
	ds_read_b128 v[144:147], v1 offset:880
	s_waitcnt vmcnt(42) lgkmcnt(2)
	v_mul_f32_e32 v149, v3, v182
	v_add_f32_e32 v6, v6, v166
	v_mul_f32_e32 v160, v2, v182
	v_add_f32_e32 v7, v7, v169
	v_mul_f32_e32 v148, v9, v181
	v_fmac_f32_e32 v158, v9, v177
	v_add_f32_e32 v6, v6, v167
	v_fma_f32 v167, v2, v176, -v149
	v_add_f32_e32 v2, v7, v11
	v_fmac_f32_e32 v160, v3, v176
	v_fma_f32 v159, v8, v177, -v148
	v_add_f32_e32 v3, v6, v10
	s_waitcnt vmcnt(40) lgkmcnt(1)
	v_mul_f32_e32 v10, v141, v184
	v_add_f32_e32 v11, v2, v154
	v_mul_f32_e32 v152, v5, v183
	v_mul_f32_e32 v162, v4, v183
	;; [unrolled: 1-line block ×3, first 2 shown]
	s_waitcnt vmcnt(35)
	v_fma_f32 v169, v140, v189, -v10
	v_add_f32_e32 v10, v3, v153
	v_add_f32_e32 v11, v11, v157
	s_waitcnt vmcnt(34)
	v_fma_f32 v168, v4, v190, -v152
	ds_read_b128 v[6:9], v1 offset:896
	ds_read_b128 v[148:151], v1 offset:912
	v_fmac_f32_e32 v162, v5, v190
	v_add_f32_e32 v10, v10, v156
	v_add_f32_e32 v11, v11, v159
	v_mul_f32_e32 v140, v143, v185
	v_fmac_f32_e32 v166, v141, v189
	v_mul_f32_e32 v170, v142, v185
	v_add_f32_e32 v10, v10, v158
	v_add_f32_e32 v167, v11, v167
	s_waitcnt lgkmcnt(2)
	v_mul_f32_e32 v141, v145, v186
	v_fma_f32 v177, v142, v188, -v140
	v_mul_f32_e32 v174, v144, v186
	v_add_f32_e32 v160, v10, v160
	v_add_f32_e32 v167, v167, v168
	v_fmac_f32_e32 v170, v143, v188
	s_waitcnt vmcnt(33)
	v_mul_f32_e32 v176, v147, v191
	v_fma_f32 v178, v144, v187, -v141
	v_add_f32_e32 v160, v160, v162
	v_add_f32_e32 v167, v167, v169
	v_mul_f32_e32 v175, v146, v191
	v_fmac_f32_e32 v174, v145, v187
	s_waitcnt vmcnt(26)
	v_fma_f32 v176, v146, v198, -v176
	v_add_f32_e32 v160, v160, v166
	v_add_f32_e32 v167, v167, v177
	s_waitcnt lgkmcnt(1)
	v_mul_f32_e32 v179, v7, v192
	ds_read_b128 v[2:5], v1 offset:928
	ds_read_b128 v[152:155], v1 offset:944
	v_fmac_f32_e32 v175, v147, v198
	v_add_f32_e32 v160, v160, v170
	v_add_f32_e32 v167, v167, v178
	v_mul_f32_e32 v168, v6, v192
	v_mul_f32_e32 v180, v9, v193
	v_fma_f32 v6, v6, v197, -v179
	v_add_f32_e32 v160, v160, v174
	v_add_f32_e32 v167, v167, v176
	v_mul_f32_e32 v162, v8, v193
	v_fmac_f32_e32 v168, v7, v197
	s_waitcnt lgkmcnt(2)
	v_mul_f32_e32 v179, v149, v194
	v_add_f32_e32 v160, v160, v175
	v_fma_f32 v8, v8, v196, -v180
	v_add_f32_e32 v6, v167, v6
	v_mul_f32_e32 v169, v148, v194
	v_fmac_f32_e32 v162, v9, v196
	v_add_f32_e32 v160, v160, v168
	v_fma_f32 v148, v148, v195, -v179
	v_add_f32_e32 v6, v6, v8
	v_fmac_f32_e32 v169, v149, v195
	ds_read_b128 v[140:143], v1 offset:960
	ds_read_b128 v[156:159], v1 offset:976
	v_add_f32_e32 v8, v160, v162
	ds_read_b128 v[144:147], v1 offset:992
	ds_read_b64 v[10:11], v1 offset:1008
	v_add_f32_e32 v6, v6, v148
	v_add_f32_e32 v8, v8, v169
	s_waitcnt vmcnt(24)
	v_mul_f32_e32 v175, v151, v200
	v_mul_f32_e32 v166, v150, v200
	s_waitcnt vmcnt(23) lgkmcnt(5)
	v_mul_f32_e32 v7, v2, v204
	v_mul_f32_e32 v149, v3, v204
	s_waitcnt vmcnt(22)
	v_mul_f32_e32 v148, v5, v205
	v_mul_f32_e32 v177, v4, v205
	s_waitcnt vmcnt(21) lgkmcnt(4)
	v_mul_f32_e32 v170, v152, v206
	s_waitcnt vmcnt(20)
	v_mul_f32_e32 v9, v154, v161
	s_waitcnt vmcnt(19) lgkmcnt(3)
	v_mul_f32_e32 v180, v140, v163
	s_waitcnt vmcnt(18)
	;; [unrolled: 4-line block ×3, first 2 shown]
	v_mul_f32_e32 v181, v158, v171
	s_waitcnt vmcnt(12)
	v_fmac_f32_e32 v170, v153, v207
	s_waitcnt vmcnt(11)
	v_fma_f32 v4, v4, v208, -v148
	s_waitcnt vmcnt(10)
	v_fmac_f32_e32 v7, v3, v209
	s_waitcnt vmcnt(9)
	v_fma_f32 v150, v150, v210, -v175
	v_fmac_f32_e32 v166, v151, v210
	v_fma_f32 v2, v2, v209, -v149
	v_fmac_f32_e32 v177, v5, v208
	v_mul_f32_e32 v5, v155, v161
	v_add_f32_e32 v3, v6, v150
	v_add_f32_e32 v6, v8, v166
	v_mul_f32_e32 v8, v153, v206
	s_waitcnt lgkmcnt(1)
	v_mul_f32_e32 v176, v144, v12
	v_mul_f32_e32 v182, v146, v172
	v_add_f32_e32 v2, v3, v2
	v_add_f32_e32 v3, v6, v7
	v_fma_f32 v6, v152, v207, -v8
	s_waitcnt vmcnt(6)
	v_fmac_f32_e32 v180, v141, v203
	s_waitcnt vmcnt(5)
	v_fma_f32 v5, v154, v211, -v5
	v_add_f32_e32 v2, v2, v4
	v_add_f32_e32 v3, v3, v177
	v_mul_f32_e32 v4, v141, v163
	v_fmac_f32_e32 v9, v155, v211
	v_fmac_f32_e32 v174, v143, v202
	v_add_f32_e32 v2, v2, v6
	v_add_f32_e32 v3, v3, v170
	v_mul_f32_e32 v6, v143, v164
	v_fma_f32 v4, v140, v203, -v4
	v_fmac_f32_e32 v178, v157, v201
	v_add_f32_e32 v2, v2, v5
	v_add_f32_e32 v3, v3, v9
	v_mul_f32_e32 v5, v157, v165
	v_fma_f32 v6, v142, v202, -v6
	s_waitcnt vmcnt(1)
	v_fmac_f32_e32 v181, v159, v215
	v_add_f32_e32 v2, v2, v4
	v_add_f32_e32 v3, v3, v180
	v_mul_f32_e32 v4, v159, v171
	v_fma_f32 v5, v156, v201, -v5
	v_fmac_f32_e32 v176, v145, v214
	v_add_f32_e32 v2, v2, v6
	v_add_f32_e32 v3, v3, v174
	v_mul_f32_e32 v6, v145, v12
	v_fma_f32 v4, v158, v215, -v4
	s_waitcnt lgkmcnt(0)
	v_mul_f32_e32 v167, v10, v173
	v_add_f32_e32 v2, v2, v5
	v_add_f32_e32 v3, v3, v178
	v_mul_f32_e32 v5, v147, v172
	v_fma_f32 v6, v144, v214, -v6
	v_fmac_f32_e32 v182, v147, v213
	v_add_f32_e32 v2, v2, v4
	v_add_f32_e32 v3, v3, v181
	v_mul_f32_e32 v4, v11, v173
	v_fma_f32 v5, v146, v213, -v5
	v_fmac_f32_e32 v167, v11, v212
	v_add_f32_e32 v2, v2, v6
	v_add_f32_e32 v3, v3, v176
	v_fma_f32 v4, v10, v212, -v4
	v_add_f32_e32 v2, v2, v5
	v_add_f32_e32 v3, v3, v182
	;; [unrolled: 1-line block ×4, first 2 shown]
	s_waitcnt vmcnt(0)
	v_sub_f32_e32 v2, v216, v2
	v_sub_f32_e32 v3, v199, v3
	buffer_store_dword v2, off, s[0:3], 0 offset:184
	buffer_store_dword v3, off, s[0:3], 0 offset:188
	v_cmpx_lt_u32_e32 22, v0
	s_cbranch_execz .LBB62_347
; %bb.346:
	s_clause 0x1
	buffer_load_dword v2, off, s[0:3], 0 offset:176
	buffer_load_dword v3, off, s[0:3], 0 offset:180
	buffer_store_dword v1, off, s[0:3], 0 offset:176
	buffer_store_dword v1, off, s[0:3], 0 offset:180
	s_waitcnt vmcnt(0)
	ds_write_b64 v139, v[2:3]
.LBB62_347:
	s_or_b32 exec_lo, exec_lo, s4
	s_waitcnt lgkmcnt(0)
	s_waitcnt_vscnt null, 0x0
	s_barrier
	buffer_gl0_inv
	s_clause 0x23
	buffer_load_dword v10, off, s[0:3], 0 offset:188
	buffer_load_dword v11, off, s[0:3], 0 offset:196
	;; [unrolled: 1-line block ×36, first 2 shown]
	ds_read2_b64 v[2:5], v1 offset0:87 offset1:88
	s_clause 0x1
	buffer_load_dword v189, off, s[0:3], 0 offset:324
	buffer_load_dword v190, off, s[0:3], 0 offset:332
	ds_read2_b64 v[6:9], v1 offset0:89 offset1:90
	ds_read2_b64 v[140:143], v1 offset0:91 offset1:92
	s_clause 0x7
	buffer_load_dword v191, off, s[0:3], 0 offset:340
	buffer_load_dword v192, off, s[0:3], 0 offset:348
	;; [unrolled: 1-line block ×8, first 2 shown]
	ds_read2_b64 v[144:147], v1 offset0:93 offset1:94
	ds_read2_b64 v[148:151], v1 offset0:95 offset1:96
	;; [unrolled: 1-line block ×3, first 2 shown]
	buffer_load_dword v201, off, s[0:3], 0 offset:180
	s_mov_b32 s4, exec_lo
	s_waitcnt vmcnt(46) lgkmcnt(5)
	v_mul_f32_e32 v199, v3, v10
	v_mul_f32_e32 v10, v2, v10
	s_waitcnt vmcnt(45)
	v_mul_f32_e32 v200, v4, v11
	v_mul_f32_e32 v11, v5, v11
	s_waitcnt vmcnt(42)
	v_fma_f32 v199, v2, v157, -v199
	v_fmac_f32_e32 v10, v3, v157
	v_fmac_f32_e32 v200, v5, v156
	v_fma_f32 v11, v4, v156, -v11
	s_waitcnt vmcnt(41) lgkmcnt(4)
	v_mul_f32_e32 v156, v6, v158
	v_mul_f32_e32 v157, v7, v158
	s_waitcnt vmcnt(40)
	v_mul_f32_e32 v158, v8, v159
	v_mul_f32_e32 v159, v9, v159
	s_waitcnt vmcnt(39) lgkmcnt(3)
	v_mul_f32_e32 v202, v140, v160
	v_mul_f32_e32 v160, v141, v160
	v_fmac_f32_e32 v156, v7, v12
	v_fma_f32 v12, v6, v12, -v157
	s_waitcnt vmcnt(38)
	v_mul_f32_e32 v157, v142, v161
	v_mul_f32_e32 v6, v143, v161
	ds_read2_b64 v[2:5], v1 offset0:99 offset1:100
	s_waitcnt vmcnt(34)
	v_fmac_f32_e32 v158, v9, v165
	v_fma_f32 v159, v8, v165, -v159
	v_fmac_f32_e32 v202, v141, v164
	v_fma_f32 v140, v140, v164, -v160
	;; [unrolled: 2-line block ×3, first 2 shown]
	s_clause 0x7
	buffer_load_dword v160, off, s[0:3], 0 offset:372
	buffer_load_dword v161, off, s[0:3], 0 offset:380
	;; [unrolled: 1-line block ×8, first 2 shown]
	s_waitcnt vmcnt(41) lgkmcnt(3)
	v_mul_f32_e32 v6, v145, v166
	s_waitcnt vmcnt(40)
	v_mul_f32_e32 v7, v147, v167
	v_mul_f32_e32 v142, v144, v166
	;; [unrolled: 1-line block ×3, first 2 shown]
	s_waitcnt vmcnt(39) lgkmcnt(2)
	v_mul_f32_e32 v166, v148, v168
	v_fma_f32 v144, v144, v162, -v6
	s_waitcnt vmcnt(34)
	v_fma_f32 v146, v146, v173, -v7
	ds_read2_b64 v[6:9], v1 offset0:101 offset1:102
	v_mul_f32_e32 v167, v149, v168
	v_fmac_f32_e32 v142, v145, v162
	v_mul_f32_e32 v145, v150, v169
	v_mul_f32_e32 v162, v151, v169
	v_fmac_f32_e32 v143, v147, v173
	v_fmac_f32_e32 v166, v149, v172
	v_fma_f32 v147, v148, v172, -v167
	v_fmac_f32_e32 v145, v151, v171
	v_fma_f32 v148, v150, v171, -v162
	s_waitcnt vmcnt(33) lgkmcnt(2)
	v_mul_f32_e32 v149, v152, v174
	v_mul_f32_e32 v150, v153, v174
	s_waitcnt vmcnt(32)
	v_mul_f32_e32 v151, v154, v175
	s_waitcnt vmcnt(31) lgkmcnt(1)
	v_mul_f32_e32 v172, v2, v176
	v_mul_f32_e32 v173, v3, v176
	;; [unrolled: 1-line block ×3, first 2 shown]
	v_fmac_f32_e32 v149, v153, v170
	v_fma_f32 v150, v152, v170, -v150
	s_waitcnt vmcnt(30)
	v_mul_f32_e32 v152, v4, v177
	v_mul_f32_e32 v153, v5, v177
	s_waitcnt vmcnt(26)
	v_fmac_f32_e32 v151, v155, v181
	v_fmac_f32_e32 v172, v3, v180
	v_fma_f32 v155, v2, v180, -v173
	s_waitcnt vmcnt(25) lgkmcnt(0)
	v_mul_f32_e32 v180, v6, v182
	v_mul_f32_e32 v2, v7, v182
	v_add_f32_e32 v3, 0, v199
	s_clause 0x3
	buffer_load_dword v162, off, s[0:3], 0 offset:404
	buffer_load_dword v167, off, s[0:3], 0 offset:412
	;; [unrolled: 1-line block ×4, first 2 shown]
	v_fma_f32 v154, v154, v181, -v171
	s_clause 0x3
	buffer_load_dword v170, off, s[0:3], 0 offset:436
	buffer_load_dword v171, off, s[0:3], 0 offset:444
	;; [unrolled: 1-line block ×4, first 2 shown]
	v_fmac_f32_e32 v152, v5, v179
	v_fma_f32 v153, v4, v179, -v153
	s_clause 0x3
	buffer_load_dword v173, off, s[0:3], 0 offset:468
	buffer_load_dword v176, off, s[0:3], 0 offset:476
	;; [unrolled: 1-line block ×4, first 2 shown]
	v_add_f32_e32 v4, 0, v10
	buffer_load_dword v10, off, s[0:3], 0 offset:500
	v_fmac_f32_e32 v180, v7, v178
	v_fma_f32 v178, v6, v178, -v2
	v_add_f32_e32 v2, v3, v11
	s_clause 0x3
	buffer_load_dword v11, off, s[0:3], 0 offset:424
	buffer_load_dword v181, off, s[0:3], 0 offset:416
	;; [unrolled: 1-line block ×4, first 2 shown]
	v_add_f32_e32 v6, v4, v200
	v_add_f32_e32 v7, v2, v12
	s_waitcnt vmcnt(41)
	v_mul_f32_e32 v2, v9, v183
	v_mul_f32_e32 v12, v8, v183
	v_add_f32_e32 v6, v6, v156
	v_add_f32_e32 v7, v7, v159
	s_waitcnt vmcnt(37)
	v_fma_f32 v183, v8, v187, -v2
	ds_read2_b64 v[2:5], v1 offset0:103 offset1:104
	v_fmac_f32_e32 v12, v9, v187
	s_clause 0x3
	buffer_load_dword v187, off, s[0:3], 0 offset:456
	buffer_load_dword v200, off, s[0:3], 0 offset:448
	;; [unrolled: 1-line block ×4, first 2 shown]
	v_add_f32_e32 v7, v7, v140
	v_add_f32_e32 v6, v6, v158
	;; [unrolled: 1-line block ×6, first 2 shown]
	ds_read2_b64 v[6:9], v1 offset0:105 offset1:106
	v_add_f32_e32 v141, v141, v142
	s_waitcnt vmcnt(40) lgkmcnt(1)
	v_mul_f32_e32 v156, v2, v188
	v_mul_f32_e32 v144, v3, v188
	s_waitcnt vmcnt(39)
	v_mul_f32_e32 v158, v4, v189
	v_fmac_f32_e32 v156, v3, v186
	v_fma_f32 v157, v2, v186, -v144
	s_clause 0x4
	buffer_load_dword v186, off, s[0:3], 0 offset:488
	buffer_load_dword v188, off, s[0:3], 0 offset:480
	buffer_load_dword v202, off, s[0:3], 0 offset:472
	buffer_load_dword v208, off, s[0:3], 0 offset:464
	buffer_load_dword v209, off, s[0:3], 0 offset:496
	v_add_f32_e32 v3, v141, v143
	v_add_f32_e32 v2, v140, v146
	v_mul_f32_e32 v140, v5, v189
	v_fmac_f32_e32 v158, v5, v185
	v_add_f32_e32 v3, v3, v166
	buffer_load_dword v166, off, s[0:3], 0 offset:176
	v_add_f32_e32 v2, v2, v147
	v_fma_f32 v159, v4, v185, -v140
	s_waitcnt vmcnt(44) lgkmcnt(0)
	v_mul_f32_e32 v185, v6, v190
	v_add_f32_e32 v141, v3, v145
	v_mul_f32_e32 v146, v7, v190
	v_add_f32_e32 v2, v2, v148
	s_waitcnt vmcnt(43)
	v_mul_f32_e32 v189, v8, v191
	v_mul_f32_e32 v147, v9, v191
	v_add_f32_e32 v145, v141, v149
	ds_read2_b64 v[140:143], v1 offset0:109 offset1:110
	v_add_f32_e32 v144, v2, v150
	ds_read2_b64 v[2:5], v1 offset0:107 offset1:108
	v_fmac_f32_e32 v185, v7, v184
	v_add_f32_e32 v145, v145, v151
	v_fma_f32 v184, v6, v184, -v146
	v_add_f32_e32 v144, v144, v154
	s_waitcnt vmcnt(36)
	v_fmac_f32_e32 v189, v9, v198
	v_fma_f32 v190, v8, v198, -v147
	v_add_f32_e32 v149, v145, v172
	v_add_f32_e32 v148, v144, v155
	ds_read2_b64 v[6:9], v1 offset0:111 offset1:112
	ds_read2_b64 v[144:147], v1 offset0:113 offset1:114
	v_add_f32_e32 v149, v149, v152
	v_add_f32_e32 v148, v148, v153
	;; [unrolled: 1-line block ×3, first 2 shown]
	s_waitcnt lgkmcnt(3)
	v_mul_f32_e32 v152, v141, v194
	v_add_f32_e32 v148, v148, v178
	v_mul_f32_e32 v178, v140, v194
	s_waitcnt lgkmcnt(2)
	v_mul_f32_e32 v150, v3, v192
	v_add_f32_e32 v12, v149, v12
	v_mul_f32_e32 v172, v2, v192
	v_add_f32_e32 v153, v148, v183
	v_mul_f32_e32 v151, v5, v193
	v_fma_f32 v192, v2, v197, -v150
	v_add_f32_e32 v12, v12, v156
	v_mul_f32_e32 v191, v4, v193
	v_add_f32_e32 v157, v153, v157
	v_fmac_f32_e32 v172, v3, v197
	v_fma_f32 v193, v4, v196, -v151
	v_add_f32_e32 v12, v12, v158
	v_fmac_f32_e32 v191, v5, v196
	v_add_f32_e32 v156, v157, v159
	v_fmac_f32_e32 v178, v141, v195
	ds_read2_b64 v[2:5], v1 offset0:115 offset1:116
	ds_read2_b64 v[148:151], v1 offset0:117 offset1:118
	v_add_f32_e32 v12, v12, v185
	v_add_f32_e32 v12, v12, v189
	;; [unrolled: 1-line block ×5, first 2 shown]
	s_waitcnt vmcnt(34)
	v_mul_f32_e32 v180, v142, v160
	s_waitcnt vmcnt(33) lgkmcnt(3)
	v_mul_f32_e32 v194, v6, v161
	v_mul_f32_e32 v157, v7, v161
	;; [unrolled: 1-line block ×3, first 2 shown]
	v_fma_f32 v160, v140, v195, -v152
	s_waitcnt vmcnt(32)
	v_mul_f32_e32 v195, v8, v163
	s_waitcnt vmcnt(28)
	v_fmac_f32_e32 v194, v7, v204
	v_add_f32_e32 v7, v156, v184
	s_waitcnt vmcnt(27)
	v_fma_f32 v183, v142, v205, -v154
	v_fmac_f32_e32 v180, v143, v205
	v_mul_f32_e32 v158, v9, v163
	v_fma_f32 v161, v6, v204, -v157
	v_add_f32_e32 v184, v7, v190
	ds_read2_b64 v[140:143], v1 offset0:119 offset1:120
	ds_read2_b64 v[152:155], v1 offset0:121 offset1:122
	v_add_f32_e32 v12, v12, v180
	v_fmac_f32_e32 v195, v9, v203
	v_fma_f32 v163, v8, v203, -v158
	v_add_f32_e32 v184, v184, v192
	ds_read2_b64 v[6:9], v1 offset0:123 offset1:124
	ds_read2_b64 v[156:159], v1 offset0:125 offset1:126
	s_waitcnt lgkmcnt(6)
	v_mul_f32_e32 v1, v144, v164
	v_mul_f32_e32 v164, v145, v164
	v_add_f32_e32 v12, v12, v194
	v_add_f32_e32 v184, v184, v193
	v_fmac_f32_e32 v1, v145, v165
	v_fma_f32 v144, v144, v165, -v164
	v_add_f32_e32 v12, v12, v195
	v_add_f32_e32 v160, v184, v160
	;; [unrolled: 1-line block ×5, first 2 shown]
	s_waitcnt vmcnt(26)
	v_mul_f32_e32 v172, v146, v162
	v_mul_f32_e32 v162, v147, v162
	s_waitcnt vmcnt(25) lgkmcnt(5)
	v_mul_f32_e32 v185, v2, v167
	s_waitcnt vmcnt(24)
	v_mul_f32_e32 v12, v5, v168
	v_add_f32_e32 v160, v160, v163
	v_mul_f32_e32 v163, v3, v167
	v_mul_f32_e32 v189, v4, v168
	s_waitcnt vmcnt(23) lgkmcnt(4)
	v_mul_f32_e32 v190, v148, v169
	s_waitcnt vmcnt(22)
	v_mul_f32_e32 v184, v150, v170
	v_add_f32_e32 v144, v160, v144
	s_waitcnt vmcnt(21) lgkmcnt(3)
	v_mul_f32_e32 v178, v140, v171
	s_waitcnt vmcnt(20)
	v_mul_f32_e32 v191, v142, v174
	s_waitcnt vmcnt(12)
	v_fma_f32 v4, v4, v181, -v12
	s_waitcnt vmcnt(11)
	v_fmac_f32_e32 v185, v3, v182
	s_waitcnt vmcnt(10)
	v_fma_f32 v146, v146, v199, -v162
	v_fmac_f32_e32 v172, v147, v199
	v_fma_f32 v2, v2, v182, -v163
	v_fmac_f32_e32 v189, v5, v181
	v_fmac_f32_e32 v190, v149, v11
	v_add_f32_e32 v3, v144, v146
	v_add_f32_e32 v1, v1, v172
	v_mul_f32_e32 v144, v149, v169
	s_waitcnt lgkmcnt(2)
	v_mul_f32_e32 v183, v152, v175
	v_mul_f32_e32 v180, v154, v173
	v_add_f32_e32 v2, v3, v2
	v_add_f32_e32 v1, v1, v185
	v_mul_f32_e32 v3, v151, v170
	v_fma_f32 v5, v148, v11, -v144
	s_waitcnt vmcnt(6)
	v_fmac_f32_e32 v184, v151, v207
	v_add_f32_e32 v2, v2, v4
	v_add_f32_e32 v1, v1, v189
	v_mul_f32_e32 v4, v141, v171
	v_fma_f32 v3, v150, v207, -v3
	v_fmac_f32_e32 v178, v141, v206
	v_add_f32_e32 v2, v2, v5
	v_add_f32_e32 v1, v1, v190
	v_mul_f32_e32 v5, v143, v174
	v_fma_f32 v4, v140, v206, -v4
	;; [unrolled: 5-line block ×4, first 2 shown]
	s_waitcnt lgkmcnt(1)
	v_mul_f32_e32 v192, v6, v176
	v_add_f32_e32 v2, v2, v5
	v_add_f32_e32 v1, v1, v191
	v_mul_f32_e32 v5, v7, v176
	s_waitcnt vmcnt(2)
	v_fma_f32 v4, v154, v208, -v4
	v_fmac_f32_e32 v180, v155, v208
	v_add_f32_e32 v2, v2, v3
	v_add_f32_e32 v1, v1, v183
	v_mul_f32_e32 v3, v9, v177
	v_fma_f32 v5, v6, v202, -v5
	v_mul_f32_e32 v161, v8, v177
	v_add_f32_e32 v2, v2, v4
	v_fmac_f32_e32 v192, v7, v202
	v_add_f32_e32 v1, v1, v180
	s_waitcnt lgkmcnt(0)
	v_mul_f32_e32 v4, v157, v179
	v_fma_f32 v3, v8, v188, -v3
	v_add_f32_e32 v2, v2, v5
	v_mul_f32_e32 v193, v156, v179
	v_fmac_f32_e32 v161, v9, v188
	v_add_f32_e32 v1, v1, v192
	v_mul_f32_e32 v5, v159, v10
	v_fma_f32 v4, v156, v186, -v4
	v_add_f32_e32 v2, v2, v3
	v_mul_f32_e32 v145, v158, v10
	v_fmac_f32_e32 v193, v157, v186
	v_add_f32_e32 v1, v1, v161
	s_waitcnt vmcnt(1)
	v_fma_f32 v3, v158, v209, -v5
	v_add_f32_e32 v2, v2, v4
	v_fmac_f32_e32 v145, v159, v209
	v_add_f32_e32 v1, v1, v193
	v_add_f32_e32 v2, v2, v3
	;; [unrolled: 1-line block ×3, first 2 shown]
	s_waitcnt vmcnt(0)
	v_sub_f32_e32 v2, v166, v2
	v_sub_f32_e32 v1, v201, v1
	buffer_store_dword v2, off, s[0:3], 0 offset:176
	buffer_store_dword v1, off, s[0:3], 0 offset:180
	v_cmpx_lt_u32_e32 21, v0
	s_cbranch_execz .LBB62_349
; %bb.348:
	s_clause 0x1
	buffer_load_dword v1, off, s[0:3], 0 offset:168
	buffer_load_dword v2, off, s[0:3], 0 offset:172
	v_mov_b32_e32 v3, 0
	buffer_store_dword v3, off, s[0:3], 0 offset:168
	buffer_store_dword v3, off, s[0:3], 0 offset:172
	s_waitcnt vmcnt(0)
	ds_write_b64 v139, v[1:2]
.LBB62_349:
	s_or_b32 exec_lo, exec_lo, s4
	s_waitcnt lgkmcnt(0)
	s_waitcnt_vscnt null, 0x0
	s_barrier
	buffer_gl0_inv
	s_clause 0x23
	buffer_load_dword v143, off, s[0:3], 0 offset:180
	buffer_load_dword v142, off, s[0:3], 0 offset:188
	;; [unrolled: 1-line block ×36, first 2 shown]
	v_mov_b32_e32 v140, 0
	s_mov_b32 s4, exec_lo
	ds_read_b128 v[5:8], v140 offset:688
	s_clause 0x1
	buffer_load_dword v185, off, s[0:3], 0 offset:316
	buffer_load_dword v184, off, s[0:3], 0 offset:324
	ds_read_b128 v[1:4], v140 offset:704
	s_clause 0x8
	buffer_load_dword v182, off, s[0:3], 0 offset:332
	buffer_load_dword v168, off, s[0:3], 0 offset:340
	;; [unrolled: 1-line block ×9, first 2 shown]
	ds_read_b128 v[9:12], v140 offset:720
	ds_read_b128 v[188:191], v140 offset:736
	buffer_load_dword v200, off, s[0:3], 0 offset:172
	ds_read_b128 v[192:195], v140 offset:752
	ds_read_b128 v[196:199], v140 offset:768
	s_waitcnt vmcnt(47) lgkmcnt(5)
	v_mul_f32_e32 v201, v5, v143
	v_mul_f32_e32 v143, v6, v143
	s_waitcnt vmcnt(46)
	v_mul_f32_e32 v202, v7, v142
	v_mul_f32_e32 v142, v8, v142
	s_waitcnt vmcnt(43)
	v_fmac_f32_e32 v201, v6, v148
	v_fma_f32 v143, v5, v148, -v143
	s_waitcnt vmcnt(42) lgkmcnt(4)
	v_mul_f32_e32 v148, v1, v147
	v_mul_f32_e32 v147, v2, v147
	v_fmac_f32_e32 v202, v8, v145
	v_fma_f32 v142, v7, v145, -v142
	s_waitcnt vmcnt(41)
	v_mul_f32_e32 v145, v3, v146
	v_mul_f32_e32 v146, v4, v146
	v_fmac_f32_e32 v148, v2, v141
	v_fma_f32 v141, v1, v141, -v147
	s_waitcnt vmcnt(40) lgkmcnt(3)
	v_mul_f32_e32 v147, v9, v144
	v_mul_f32_e32 v1, v10, v144
	s_waitcnt vmcnt(36)
	v_fma_f32 v144, v3, v155, -v146
	s_waitcnt vmcnt(35)
	v_mul_f32_e32 v146, v11, v154
	v_mul_f32_e32 v2, v12, v154
	ds_read_b128 v[5:8], v140 offset:784
	v_fmac_f32_e32 v145, v4, v155
	v_fmac_f32_e32 v147, v10, v151
	;; [unrolled: 1-line block ×3, first 2 shown]
	v_fma_f32 v10, v11, v150, -v2
	s_clause 0x6
	buffer_load_dword v150, off, s[0:3], 0 offset:360
	buffer_load_dword v155, off, s[0:3], 0 offset:368
	;; [unrolled: 1-line block ×7, first 2 shown]
	s_waitcnt vmcnt(41) lgkmcnt(3)
	v_mul_f32_e32 v3, v189, v153
	s_waitcnt vmcnt(40)
	v_mul_f32_e32 v4, v191, v152
	v_fma_f32 v9, v9, v151, -v1
	v_mul_f32_e32 v154, v188, v153
	v_mul_f32_e32 v153, v190, v152
	v_fma_f32 v11, v188, v149, -v3
	s_waitcnt vmcnt(36)
	v_fma_f32 v12, v190, v167, -v4
	ds_read_b128 v[1:4], v140 offset:800
	v_fmac_f32_e32 v154, v189, v149
	s_waitcnt vmcnt(35) lgkmcnt(3)
	v_mul_f32_e32 v149, v192, v164
	v_mul_f32_e32 v151, v193, v164
	s_waitcnt vmcnt(34)
	v_mul_f32_e32 v152, v194, v163
	v_mul_f32_e32 v163, v195, v163
	v_fmac_f32_e32 v153, v191, v167
	s_waitcnt vmcnt(33) lgkmcnt(2)
	v_mul_f32_e32 v164, v196, v162
	v_mul_f32_e32 v162, v197, v162
	v_fmac_f32_e32 v149, v193, v159
	v_fma_f32 v151, v192, v159, -v151
	s_waitcnt vmcnt(32)
	v_mul_f32_e32 v159, v198, v160
	v_mul_f32_e32 v160, v199, v160
	v_fmac_f32_e32 v152, v195, v158
	v_fma_f32 v158, v194, v158, -v163
	s_waitcnt vmcnt(31) lgkmcnt(1)
	v_mul_f32_e32 v163, v5, v169
	v_mul_f32_e32 v167, v6, v169
	s_waitcnt vmcnt(26)
	v_mul_f32_e32 v193, v7, v179
	v_mul_f32_e32 v179, v8, v179
	v_fmac_f32_e32 v164, v197, v157
	v_fma_f32 v157, v196, v157, -v162
	v_fmac_f32_e32 v159, v199, v181
	v_fma_f32 v160, v198, v181, -v160
	s_clause 0x7
	buffer_load_dword v162, off, s[0:3], 0 offset:396
	buffer_load_dword v169, off, s[0:3], 0 offset:404
	buffer_load_dword v181, off, s[0:3], 0 offset:412
	buffer_load_dword v188, off, s[0:3], 0 offset:420
	buffer_load_dword v189, off, s[0:3], 0 offset:416
	buffer_load_dword v190, off, s[0:3], 0 offset:408
	buffer_load_dword v191, off, s[0:3], 0 offset:400
	buffer_load_dword v192, off, s[0:3], 0 offset:392
	v_fmac_f32_e32 v163, v6, v178
	v_fma_f32 v167, v5, v178, -v167
	v_fmac_f32_e32 v193, v8, v176
	v_fma_f32 v176, v7, v176, -v179
	s_waitcnt vmcnt(33) lgkmcnt(0)
	v_mul_f32_e32 v179, v1, v177
	v_mul_f32_e32 v5, v2, v177
	v_add_f32_e32 v6, 0, v201
	s_clause 0x3
	buffer_load_dword v178, off, s[0:3], 0 offset:428
	buffer_load_dword v194, off, s[0:3], 0 offset:436
	;; [unrolled: 1-line block ×4, first 2 shown]
	v_fmac_f32_e32 v179, v2, v174
	v_fma_f32 v174, v1, v174, -v5
	v_add_f32_e32 v1, 0, v143
	v_add_f32_e32 v2, v6, v202
	s_clause 0x4
	buffer_load_dword v196, off, s[0:3], 0 offset:460
	buffer_load_dword v197, off, s[0:3], 0 offset:468
	buffer_load_dword v198, off, s[0:3], 0 offset:476
	buffer_load_dword v199, off, s[0:3], 0 offset:484
	buffer_load_dword v201, off, s[0:3], 0 offset:492
	v_add_f32_e32 v1, v1, v142
	v_add_f32_e32 v5, v2, v148
	s_waitcnt vmcnt(41)
	v_mul_f32_e32 v148, v3, v171
	v_mul_f32_e32 v2, v4, v171
	buffer_load_dword v171, off, s[0:3], 0 offset:500
	v_add_f32_e32 v6, v1, v141
	v_add_f32_e32 v5, v5, v145
	s_waitcnt vmcnt(38)
	v_fmac_f32_e32 v148, v4, v187
	v_fma_f32 v187, v3, v187, -v2
	ds_read_b128 v[1:4], v140 offset:816
	v_add_f32_e32 v6, v6, v144
	s_clause 0x3
	buffer_load_dword v202, off, s[0:3], 0 offset:448
	buffer_load_dword v208, off, s[0:3], 0 offset:440
	buffer_load_dword v209, off, s[0:3], 0 offset:432
	buffer_load_dword v210, off, s[0:3], 0 offset:424
	v_add_f32_e32 v5, v5, v147
	v_add_f32_e32 v6, v6, v9
	;; [unrolled: 1-line block ×5, first 2 shown]
	ds_read_b128 v[5:8], v140 offset:832
	v_add_f32_e32 v9, v9, v11
	v_add_f32_e32 v10, v10, v153
	s_waitcnt vmcnt(41) lgkmcnt(1)
	v_mul_f32_e32 v145, v1, v183
	v_mul_f32_e32 v11, v2, v183
	v_fmac_f32_e32 v145, v2, v180
	v_fma_f32 v146, v1, v180, -v11
	s_clause 0x6
	buffer_load_dword v180, off, s[0:3], 0 offset:480
	buffer_load_dword v183, off, s[0:3], 0 offset:472
	;; [unrolled: 1-line block ×7, first 2 shown]
	v_add_f32_e32 v1, v9, v12
	v_add_f32_e32 v2, v10, v149
	s_waitcnt vmcnt(47)
	v_mul_f32_e32 v149, v3, v185
	v_mul_f32_e32 v9, v4, v185
	s_waitcnt vmcnt(46) lgkmcnt(0)
	v_mul_f32_e32 v153, v5, v184
	v_add_f32_e32 v1, v1, v151
	v_add_f32_e32 v2, v2, v152
	v_fmac_f32_e32 v149, v4, v175
	v_fma_f32 v151, v3, v175, -v9
	v_mul_f32_e32 v143, v6, v184
	v_add_f32_e32 v1, v1, v158
	v_add_f32_e32 v2, v2, v164
	s_waitcnt vmcnt(45)
	v_mul_f32_e32 v154, v7, v182
	v_mul_f32_e32 v144, v8, v182
	v_fmac_f32_e32 v153, v6, v165
	v_add_f32_e32 v10, v1, v157
	v_add_f32_e32 v141, v2, v159
	ds_read_b128 v[1:4], v140 offset:848
	v_fma_f32 v157, v5, v165, -v143
	s_waitcnt vmcnt(38)
	v_fmac_f32_e32 v154, v8, v186
	v_add_f32_e32 v142, v10, v160
	ds_read_b128 v[9:12], v140 offset:864
	v_add_f32_e32 v141, v141, v163
	v_fma_f32 v158, v7, v186, -v144
	v_add_f32_e32 v142, v142, v167
	v_add_f32_e32 v147, v141, v193
	;; [unrolled: 1-line block ×3, first 2 shown]
	ds_read_b128 v[5:8], v140 offset:880
	ds_read_b128 v[141:144], v140 offset:896
	v_add_f32_e32 v147, v147, v179
	v_add_f32_e32 v152, v152, v174
	;; [unrolled: 1-line block ×3, first 2 shown]
	s_waitcnt lgkmcnt(3)
	v_mul_f32_e32 v159, v1, v168
	v_mul_f32_e32 v160, v2, v168
	v_add_f32_e32 v148, v152, v187
	v_mul_f32_e32 v163, v3, v166
	v_mul_f32_e32 v164, v4, v166
	s_waitcnt lgkmcnt(2)
	v_mul_f32_e32 v165, v9, v173
	v_mul_f32_e32 v152, v10, v173
	v_add_f32_e32 v167, v147, v145
	v_add_f32_e32 v168, v148, v146
	v_fmac_f32_e32 v163, v4, v170
	v_fma_f32 v164, v3, v170, -v164
	v_fmac_f32_e32 v165, v10, v156
	v_fma_f32 v170, v9, v156, -v152
	v_add_f32_e32 v156, v167, v149
	v_add_f32_e32 v167, v168, v151
	v_fma_f32 v160, v1, v172, -v160
	v_fmac_f32_e32 v159, v2, v172
	s_waitcnt vmcnt(37)
	v_mul_f32_e32 v166, v11, v161
	v_add_f32_e32 v153, v156, v153
	v_add_f32_e32 v156, v167, v157
	v_mul_f32_e32 v161, v12, v161
	ds_read_b128 v[1:4], v140 offset:912
	ds_read_b128 v[145:148], v140 offset:928
	s_waitcnt vmcnt(35)
	v_fma_f32 v161, v11, v150, -v161
	v_fmac_f32_e32 v166, v12, v150
	s_waitcnt vmcnt(33) lgkmcnt(3)
	v_mul_f32_e32 v168, v5, v203
	v_mul_f32_e32 v157, v6, v203
	s_waitcnt vmcnt(31)
	v_mul_f32_e32 v172, v8, v205
	v_mul_f32_e32 v167, v7, v205
	s_waitcnt vmcnt(30) lgkmcnt(2)
	v_mul_f32_e32 v174, v142, v206
	v_fmac_f32_e32 v168, v6, v155
	v_add_f32_e32 v6, v153, v154
	v_add_f32_e32 v153, v156, v158
	v_fma_f32 v173, v5, v155, -v157
	v_fma_f32 v172, v7, v204, -v172
	v_fmac_f32_e32 v167, v8, v204
	v_add_f32_e32 v159, v6, v159
	v_add_f32_e32 v160, v153, v160
	ds_read_b128 v[9:12], v140 offset:944
	ds_read_b128 v[149:152], v140 offset:960
	;; [unrolled: 1-line block ×4, first 2 shown]
	ds_read_b64 v[157:158], v140 offset:1008
	v_add_f32_e32 v159, v159, v163
	v_add_f32_e32 v160, v160, v164
	v_mul_f32_e32 v163, v141, v206
	s_waitcnt vmcnt(29)
	v_fma_f32 v141, v141, v207, -v174
	v_add_f32_e32 v159, v159, v165
	v_add_f32_e32 v160, v160, v170
	v_fmac_f32_e32 v163, v142, v207
	v_add_f32_e32 v159, v159, v166
	v_add_f32_e32 v160, v160, v161
	s_waitcnt vmcnt(28)
	v_mul_f32_e32 v164, v143, v162
	v_mul_f32_e32 v162, v144, v162
	s_waitcnt vmcnt(27) lgkmcnt(6)
	v_mul_f32_e32 v165, v1, v169
	v_add_f32_e32 v159, v159, v168
	v_add_f32_e32 v160, v160, v173
	v_mul_f32_e32 v169, v2, v169
	s_waitcnt vmcnt(26)
	v_mul_f32_e32 v170, v3, v181
	s_waitcnt vmcnt(21)
	v_fma_f32 v143, v143, v192, -v162
	v_add_f32_e32 v159, v159, v167
	v_add_f32_e32 v160, v160, v172
	v_fmac_f32_e32 v164, v144, v192
	v_mul_f32_e32 v167, v4, v181
	v_fmac_f32_e32 v165, v2, v191
	v_add_f32_e32 v159, v159, v163
	v_add_f32_e32 v141, v160, v141
	v_fma_f32 v1, v1, v191, -v169
	v_fma_f32 v3, v3, v190, -v167
	s_waitcnt lgkmcnt(5)
	v_mul_f32_e32 v142, v145, v188
	v_fmac_f32_e32 v170, v4, v190
	v_add_f32_e32 v2, v141, v143
	v_add_f32_e32 v141, v159, v164
	v_mul_f32_e32 v143, v146, v188
	s_waitcnt vmcnt(20)
	v_mul_f32_e32 v4, v148, v178
	v_mul_f32_e32 v166, v147, v178
	v_add_f32_e32 v1, v2, v1
	v_add_f32_e32 v2, v141, v165
	v_fma_f32 v141, v145, v189, -v143
	v_fmac_f32_e32 v142, v146, v189
	s_waitcnt vmcnt(19) lgkmcnt(4)
	v_mul_f32_e32 v161, v9, v194
	v_add_f32_e32 v1, v1, v3
	v_add_f32_e32 v2, v2, v170
	v_mul_f32_e32 v3, v10, v194
	s_waitcnt vmcnt(18)
	v_mul_f32_e32 v144, v11, v177
	s_waitcnt vmcnt(17) lgkmcnt(3)
	v_mul_f32_e32 v162, v149, v195
	v_add_f32_e32 v1, v1, v141
	s_waitcnt vmcnt(7)
	v_fma_f32 v4, v147, v210, -v4
	v_fmac_f32_e32 v166, v148, v210
	v_add_f32_e32 v2, v2, v142
	v_mul_f32_e32 v141, v12, v177
	v_fma_f32 v3, v9, v209, -v3
	v_add_f32_e32 v1, v1, v4
	v_fmac_f32_e32 v161, v10, v209
	v_add_f32_e32 v2, v2, v166
	v_mul_f32_e32 v4, v150, v195
	v_fma_f32 v9, v11, v208, -v141
	v_add_f32_e32 v1, v1, v3
	;; [unrolled: 5-line block ×3, first 2 shown]
	v_mul_f32_e32 v168, v151, v196
	v_fmac_f32_e32 v162, v150, v202
	v_add_f32_e32 v2, v2, v144
	s_waitcnt lgkmcnt(2)
	v_mul_f32_e32 v9, v6, v197
	v_add_f32_e32 v1, v1, v4
	v_mul_f32_e32 v173, v5, v197
	v_mul_f32_e32 v4, v8, v198
	v_add_f32_e32 v2, v2, v162
	s_waitcnt vmcnt(4)
	v_fma_f32 v5, v5, v211, -v9
	s_waitcnt vmcnt(3)
	v_fma_f32 v3, v151, v212, -v3
	v_fmac_f32_e32 v168, v152, v212
	v_mul_f32_e32 v174, v7, v198
	v_fmac_f32_e32 v173, v6, v211
	v_fma_f32 v4, v7, v183, -v4
	v_add_f32_e32 v1, v1, v3
	v_add_f32_e32 v2, v2, v168
	s_waitcnt lgkmcnt(1)
	v_mul_f32_e32 v3, v154, v199
	v_mul_f32_e32 v172, v153, v199
	v_fmac_f32_e32 v174, v8, v183
	v_add_f32_e32 v1, v1, v5
	v_add_f32_e32 v2, v2, v173
	v_mul_f32_e32 v5, v156, v201
	v_fma_f32 v3, v153, v180, -v3
	v_mul_f32_e32 v175, v155, v201
	v_add_f32_e32 v1, v1, v4
	v_fmac_f32_e32 v172, v154, v180
	v_add_f32_e32 v2, v2, v174
	s_waitcnt lgkmcnt(0)
	v_mul_f32_e32 v4, v158, v171
	s_waitcnt vmcnt(1)
	v_fma_f32 v5, v155, v214, -v5
	v_add_f32_e32 v1, v1, v3
	v_mul_f32_e32 v160, v157, v171
	v_fmac_f32_e32 v175, v156, v214
	v_add_f32_e32 v2, v2, v172
	v_fma_f32 v3, v157, v213, -v4
	v_add_f32_e32 v1, v1, v5
	v_fmac_f32_e32 v160, v158, v213
	v_add_f32_e32 v2, v2, v175
	v_add_f32_e32 v1, v1, v3
	;; [unrolled: 1-line block ×3, first 2 shown]
	s_waitcnt vmcnt(0)
	v_sub_f32_e32 v1, v215, v1
	v_sub_f32_e32 v2, v200, v2
	buffer_store_dword v1, off, s[0:3], 0 offset:168
	buffer_store_dword v2, off, s[0:3], 0 offset:172
	v_cmpx_lt_u32_e32 20, v0
	s_cbranch_execz .LBB62_351
; %bb.350:
	s_clause 0x1
	buffer_load_dword v1, off, s[0:3], 0 offset:160
	buffer_load_dword v2, off, s[0:3], 0 offset:164
	buffer_store_dword v140, off, s[0:3], 0 offset:160
	buffer_store_dword v140, off, s[0:3], 0 offset:164
	s_waitcnt vmcnt(0)
	ds_write_b64 v139, v[1:2]
.LBB62_351:
	s_or_b32 exec_lo, exec_lo, s4
	s_waitcnt lgkmcnt(0)
	s_waitcnt_vscnt null, 0x0
	s_barrier
	buffer_gl0_inv
	s_clause 0x24
	buffer_load_dword v141, off, s[0:3], 0 offset:172
	buffer_load_dword v142, off, s[0:3], 0 offset:180
	;; [unrolled: 1-line block ×37, first 2 shown]
	ds_read2_b64 v[9:12], v140 offset0:85 offset1:86
	ds_read2_b64 v[5:8], v140 offset0:87 offset1:88
	s_clause 0x8
	buffer_load_dword v186, off, s[0:3], 0 offset:316
	buffer_load_dword v181, off, s[0:3], 0 offset:324
	;; [unrolled: 1-line block ×9, first 2 shown]
	ds_read2_b64 v[1:4], v140 offset0:89 offset1:90
	ds_read2_b64 v[187:190], v140 offset0:91 offset1:92
	;; [unrolled: 1-line block ×4, first 2 shown]
	buffer_load_dword v199, off, s[0:3], 0 offset:164
	s_mov_b32 s4, exec_lo
	s_waitcnt vmcnt(46) lgkmcnt(5)
	v_mul_f32_e32 v200, v9, v141
	s_waitcnt vmcnt(45)
	v_mul_f32_e32 v201, v11, v142
	v_mul_f32_e32 v141, v10, v141
	;; [unrolled: 1-line block ×3, first 2 shown]
	s_waitcnt vmcnt(44) lgkmcnt(4)
	v_mul_f32_e32 v202, v5, v144
	v_mul_f32_e32 v144, v6, v144
	s_waitcnt vmcnt(41)
	v_fmac_f32_e32 v200, v10, v147
	v_fma_f32 v141, v9, v147, -v141
	s_waitcnt vmcnt(40)
	v_mul_f32_e32 v147, v7, v146
	v_mul_f32_e32 v9, v8, v146
	v_fmac_f32_e32 v201, v12, v145
	v_fma_f32 v142, v11, v145, -v142
	s_waitcnt vmcnt(35) lgkmcnt(3)
	v_mul_f32_e32 v145, v1, v154
	v_mul_f32_e32 v154, v2, v154
	v_fmac_f32_e32 v202, v6, v143
	v_fma_f32 v143, v5, v143, -v144
	v_fmac_f32_e32 v147, v8, v157
	v_fma_f32 v144, v7, v157, -v9
	s_waitcnt vmcnt(34)
	v_mul_f32_e32 v146, v3, v155
	v_mul_f32_e32 v155, v4, v155
	s_waitcnt vmcnt(33) lgkmcnt(2)
	v_mul_f32_e32 v157, v187, v153
	v_mul_f32_e32 v153, v188, v153
	v_fmac_f32_e32 v145, v2, v151
	v_fma_f32 v151, v1, v151, -v154
	s_waitcnt vmcnt(32)
	v_mul_f32_e32 v154, v189, v152
	v_mul_f32_e32 v1, v190, v152
	ds_read2_b64 v[5:8], v140 offset0:97 offset1:98
	ds_read2_b64 v[9:12], v140 offset0:99 offset1:100
	v_fmac_f32_e32 v146, v4, v149
	v_fma_f32 v149, v3, v149, -v155
	s_waitcnt vmcnt(31) lgkmcnt(3)
	v_mul_f32_e32 v155, v191, v150
	s_waitcnt vmcnt(30)
	v_mul_f32_e32 v152, v193, v156
	v_mul_f32_e32 v2, v192, v150
	;; [unrolled: 1-line block ×3, first 2 shown]
	v_fmac_f32_e32 v157, v188, v148
	v_fma_f32 v148, v187, v148, -v153
	s_waitcnt vmcnt(26)
	v_fmac_f32_e32 v154, v190, v168
	v_fma_f32 v150, v189, v168, -v1
	s_clause 0x7
	buffer_load_dword v153, off, s[0:3], 0 offset:356
	buffer_load_dword v156, off, s[0:3], 0 offset:360
	;; [unrolled: 1-line block ×8, first 2 shown]
	v_fmac_f32_e32 v155, v192, v163
	v_fmac_f32_e32 v152, v194, v161
	v_fma_f32 v163, v191, v163, -v2
	v_fma_f32 v161, v193, v161, -v3
	ds_read2_b64 v[1:4], v140 offset0:101 offset1:102
	s_waitcnt vmcnt(33) lgkmcnt(3)
	v_mul_f32_e32 v191, v195, v162
	v_mul_f32_e32 v162, v196, v162
	s_waitcnt vmcnt(32)
	v_mul_f32_e32 v193, v197, v160
	v_mul_f32_e32 v160, v198, v160
	buffer_load_dword v192, off, s[0:3], 0 offset:388
	v_fmac_f32_e32 v191, v196, v158
	v_fma_f32 v158, v195, v158, -v162
	s_waitcnt vmcnt(32) lgkmcnt(2)
	v_mul_f32_e32 v162, v5, v159
	s_waitcnt vmcnt(28)
	v_fmac_f32_e32 v193, v198, v174
	v_fma_f32 v160, v197, v174, -v160
	s_waitcnt vmcnt(27)
	v_mul_f32_e32 v174, v7, v173
	v_mul_f32_e32 v159, v6, v159
	;; [unrolled: 1-line block ×3, first 2 shown]
	s_waitcnt vmcnt(26) lgkmcnt(1)
	v_mul_f32_e32 v194, v9, v172
	v_mul_f32_e32 v172, v10, v172
	v_fmac_f32_e32 v162, v6, v171
	v_fmac_f32_e32 v174, v8, v170
	v_fma_f32 v159, v5, v171, -v159
	v_fma_f32 v170, v7, v170, -v173
	s_clause 0x4
	buffer_load_dword v171, off, s[0:3], 0 offset:396
	buffer_load_dword v173, off, s[0:3], 0 offset:408
	;; [unrolled: 1-line block ×5, first 2 shown]
	s_waitcnt vmcnt(30)
	v_mul_f32_e32 v198, v11, v169
	v_mul_f32_e32 v169, v12, v169
	v_fmac_f32_e32 v194, v10, v166
	v_fma_f32 v166, v9, v166, -v172
	s_waitcnt vmcnt(25) lgkmcnt(0)
	v_mul_f32_e32 v172, v1, v184
	v_mul_f32_e32 v9, v2, v184
	ds_read2_b64 v[5:8], v140 offset0:103 offset1:104
	v_fmac_f32_e32 v198, v12, v185
	v_fma_f32 v169, v11, v185, -v169
	s_clause 0x1
	buffer_load_dword v184, off, s[0:3], 0 offset:404
	buffer_load_dword v185, off, s[0:3], 0 offset:412
	v_fmac_f32_e32 v172, v2, v180
	v_fma_f32 v180, v1, v180, -v9
	v_add_f32_e32 v1, 0, v200
	s_waitcnt vmcnt(26)
	v_mul_f32_e32 v204, v3, v182
	v_mul_f32_e32 v10, v4, v182
	s_clause 0x2
	buffer_load_dword v182, off, s[0:3], 0 offset:420
	buffer_load_dword v205, off, s[0:3], 0 offset:428
	;; [unrolled: 1-line block ×3, first 2 shown]
	v_add_f32_e32 v1, v1, v201
	s_clause 0x6
	buffer_load_dword v200, off, s[0:3], 0 offset:444
	buffer_load_dword v207, off, s[0:3], 0 offset:452
	;; [unrolled: 1-line block ×7, first 2 shown]
	v_add_f32_e32 v1, v1, v202
	s_clause 0x4
	buffer_load_dword v202, off, s[0:3], 0 offset:492
	buffer_load_dword v212, off, s[0:3], 0 offset:440
	;; [unrolled: 1-line block ×5, first 2 shown]
	v_add_f32_e32 v2, 0, v141
	v_fmac_f32_e32 v204, v4, v179
	v_add_f32_e32 v1, v1, v147
	v_fma_f32 v179, v3, v179, -v10
	s_waitcnt vmcnt(40) lgkmcnt(0)
	v_mul_f32_e32 v3, v6, v186
	v_add_f32_e32 v2, v2, v142
	v_add_f32_e32 v1, v1, v145
	;; [unrolled: 1-line block ×6, first 2 shown]
	s_clause 0x6
	buffer_load_dword v157, off, s[0:3], 0 offset:472
	buffer_load_dword v216, off, s[0:3], 0 offset:464
	buffer_load_dword v217, off, s[0:3], 0 offset:456
	buffer_load_dword v218, off, s[0:3], 0 offset:448
	buffer_load_dword v219, off, s[0:3], 0 offset:496
	buffer_load_dword v220, off, s[0:3], 0 offset:488
	buffer_load_dword v221, off, s[0:3], 0 offset:480
	v_add_f32_e32 v2, v2, v151
	v_add_f32_e32 v1, v1, v154
	s_waitcnt vmcnt(46)
	v_mul_f32_e32 v154, v7, v181
	v_add_f32_e32 v2, v2, v149
	v_mul_f32_e32 v149, v5, v186
	v_add_f32_e32 v1, v1, v155
	s_waitcnt vmcnt(39)
	v_fmac_f32_e32 v154, v8, v183
	v_add_f32_e32 v2, v2, v148
	v_fmac_f32_e32 v149, v6, v164
	v_add_f32_e32 v1, v1, v152
	v_add_f32_e32 v2, v2, v150
	v_fma_f32 v150, v5, v164, -v3
	v_add_f32_e32 v6, v1, v191
	v_add_f32_e32 v2, v2, v163
	buffer_load_dword v163, off, s[0:3], 0 offset:160
	v_add_f32_e32 v10, v6, v193
	v_add_f32_e32 v2, v2, v161
	v_add_f32_e32 v142, v10, v162
	v_add_f32_e32 v5, v2, v158
	ds_read2_b64 v[1:4], v140 offset0:105 offset1:106
	v_add_f32_e32 v142, v142, v174
	v_add_f32_e32 v9, v5, v160
	v_mul_f32_e32 v5, v8, v181
	v_add_f32_e32 v141, v9, v159
	v_fma_f32 v155, v7, v183, -v5
	ds_read2_b64 v[5:8], v140 offset0:107 offset1:108
	ds_read2_b64 v[9:12], v140 offset0:109 offset1:110
	v_add_f32_e32 v141, v141, v170
	v_add_f32_e32 v145, v141, v166
	s_waitcnt lgkmcnt(2)
	v_mul_f32_e32 v143, v2, v177
	v_mul_f32_e32 v158, v1, v177
	;; [unrolled: 1-line block ×3, first 2 shown]
	v_fma_f32 v159, v1, v178, -v143
	v_add_f32_e32 v1, v142, v194
	v_fmac_f32_e32 v158, v2, v178
	v_add_f32_e32 v2, v145, v169
	ds_read2_b64 v[141:144], v140 offset0:111 offset1:112
	v_mul_f32_e32 v145, v4, v176
	v_add_f32_e32 v1, v1, v198
	s_waitcnt lgkmcnt(2)
	v_mul_f32_e32 v161, v5, v175
	v_mul_f32_e32 v146, v6, v175
	v_add_f32_e32 v2, v2, v180
	v_fmac_f32_e32 v160, v4, v167
	v_add_f32_e32 v1, v1, v172
	v_fmac_f32_e32 v161, v6, v165
	v_fma_f32 v165, v5, v165, -v146
	v_add_f32_e32 v5, v2, v179
	v_add_f32_e32 v6, v1, v204
	s_waitcnt vmcnt(38)
	v_mul_f32_e32 v162, v7, v153
	v_mul_f32_e32 v151, v8, v153
	s_waitcnt vmcnt(36) lgkmcnt(1)
	v_mul_f32_e32 v164, v9, v168
	v_mul_f32_e32 v152, v10, v168
	v_fma_f32 v153, v3, v167, -v145
	s_waitcnt vmcnt(33) lgkmcnt(0)
	v_mul_f32_e32 v169, v141, v189
	ds_read2_b64 v[1:4], v140 offset0:113 offset1:114
	ds_read2_b64 v[145:148], v140 offset0:115 offset1:116
	v_fmac_f32_e32 v164, v10, v156
	v_add_f32_e32 v10, v5, v150
	v_fma_f32 v167, v9, v156, -v152
	v_add_f32_e32 v9, v6, v149
	s_waitcnt vmcnt(31)
	v_fma_f32 v166, v7, v203, -v151
	v_fmac_f32_e32 v162, v8, v203
	v_add_f32_e32 v10, v10, v155
	v_mul_f32_e32 v155, v12, v188
	v_add_f32_e32 v9, v9, v154
	v_mul_f32_e32 v154, v142, v189
	v_mul_f32_e32 v168, v11, v188
	v_add_f32_e32 v10, v10, v159
	v_fma_f32 v172, v11, v187, -v155
	s_waitcnt vmcnt(30)
	v_mul_f32_e32 v159, v143, v192
	v_fma_f32 v174, v141, v190, -v154
	v_add_f32_e32 v141, v9, v158
	v_add_f32_e32 v158, v10, v153
	v_fmac_f32_e32 v168, v12, v187
	v_mul_f32_e32 v170, v144, v192
	v_fmac_f32_e32 v169, v142, v190
	v_add_f32_e32 v160, v141, v160
	v_add_f32_e32 v158, v158, v165
	s_waitcnt vmcnt(29) lgkmcnt(1)
	v_mul_f32_e32 v165, v2, v171
	ds_read2_b64 v[5:8], v140 offset0:117 offset1:118
	ds_read2_b64 v[149:152], v140 offset0:119 offset1:120
	;; [unrolled: 1-line block ×4, first 2 shown]
	v_add_f32_e32 v160, v160, v161
	v_add_f32_e32 v158, v158, v166
	s_waitcnt vmcnt(25)
	v_fmac_f32_e32 v159, v144, v197
	v_fma_f32 v144, v143, v197, -v170
	v_mul_f32_e32 v170, v1, v171
	v_add_f32_e32 v160, v160, v162
	v_add_f32_e32 v158, v158, v167
	v_fma_f32 v1, v1, v196, -v165
	ds_read2_b64 v[140:143], v140 offset0:125 offset1:126
	s_waitcnt vmcnt(24)
	v_mul_f32_e32 v171, v4, v184
	v_add_f32_e32 v160, v160, v164
	v_add_f32_e32 v158, v158, v172
	v_mul_f32_e32 v161, v3, v184
	v_fmac_f32_e32 v170, v2, v196
	v_fma_f32 v3, v3, v195, -v171
	v_add_f32_e32 v160, v160, v168
	v_add_f32_e32 v158, v158, v174
	s_waitcnt vmcnt(23) lgkmcnt(5)
	v_mul_f32_e32 v166, v145, v185
	v_fmac_f32_e32 v161, v4, v195
	s_waitcnt vmcnt(22)
	v_mul_f32_e32 v162, v147, v182
	v_add_f32_e32 v160, v160, v169
	v_add_f32_e32 v144, v158, v144
	v_fmac_f32_e32 v166, v146, v173
	s_waitcnt vmcnt(21) lgkmcnt(4)
	v_mul_f32_e32 v175, v5, v205
	s_waitcnt vmcnt(20)
	v_mul_f32_e32 v167, v7, v206
	v_add_f32_e32 v158, v160, v159
	v_mul_f32_e32 v159, v146, v185
	v_add_f32_e32 v1, v144, v1
	v_mul_f32_e32 v144, v148, v182
	s_waitcnt vmcnt(8)
	v_fmac_f32_e32 v162, v148, v215
	v_add_f32_e32 v4, v158, v170
	v_fma_f32 v145, v145, v173, -v159
	v_add_f32_e32 v1, v1, v3
	v_fma_f32 v144, v147, v215, -v144
	v_fmac_f32_e32 v175, v6, v214
	v_add_f32_e32 v3, v4, v161
	v_mul_f32_e32 v4, v6, v205
	v_add_f32_e32 v1, v1, v145
	v_mul_f32_e32 v145, v8, v206
	s_waitcnt lgkmcnt(3)
	v_mul_f32_e32 v164, v149, v200
	v_add_f32_e32 v3, v3, v166
	v_fma_f32 v4, v5, v214, -v4
	v_add_f32_e32 v1, v1, v144
	v_mul_f32_e32 v5, v150, v200
	v_fma_f32 v6, v7, v213, -v145
	v_add_f32_e32 v3, v3, v162
	v_fmac_f32_e32 v167, v8, v213
	v_add_f32_e32 v1, v1, v4
	v_mul_f32_e32 v4, v152, v207
	v_fma_f32 v5, v149, v212, -v5
	v_add_f32_e32 v3, v3, v175
	v_mul_f32_e32 v176, v151, v207
	v_add_f32_e32 v1, v1, v6
	v_fmac_f32_e32 v164, v150, v212
	s_waitcnt lgkmcnt(2)
	v_mul_f32_e32 v6, v10, v208
	v_add_f32_e32 v3, v3, v167
	s_waitcnt vmcnt(4)
	v_fma_f32 v4, v151, v218, -v4
	v_add_f32_e32 v1, v1, v5
	v_mul_f32_e32 v172, v9, v208
	v_fmac_f32_e32 v176, v152, v218
	v_add_f32_e32 v3, v3, v164
	v_mul_f32_e32 v5, v12, v201
	v_fma_f32 v6, v9, v217, -v6
	v_add_f32_e32 v1, v1, v4
	v_mul_f32_e32 v168, v11, v201
	v_fmac_f32_e32 v172, v10, v217
	v_add_f32_e32 v3, v3, v176
	s_waitcnt lgkmcnt(1)
	v_mul_f32_e32 v4, v154, v209
	v_fma_f32 v5, v11, v216, -v5
	v_add_f32_e32 v1, v1, v6
	v_mul_f32_e32 v177, v153, v209
	v_fmac_f32_e32 v168, v12, v216
	v_add_f32_e32 v3, v3, v172
	v_mul_f32_e32 v6, v156, v210
	v_fma_f32 v4, v153, v157, -v4
	v_add_f32_e32 v1, v1, v5
	v_mul_f32_e32 v174, v155, v210
	v_fmac_f32_e32 v177, v154, v157
	v_add_f32_e32 v3, v3, v168
	s_waitcnt lgkmcnt(0)
	v_mul_f32_e32 v5, v141, v202
	s_waitcnt vmcnt(1)
	v_fma_f32 v6, v155, v221, -v6
	v_add_f32_e32 v1, v1, v4
	v_mul_f32_e32 v169, v140, v202
	v_fmac_f32_e32 v174, v156, v221
	v_add_f32_e32 v3, v3, v177
	v_mul_f32_e32 v4, v143, v211
	v_fma_f32 v5, v140, v220, -v5
	v_add_f32_e32 v1, v1, v6
	v_mul_f32_e32 v2, v142, v211
	v_fmac_f32_e32 v169, v141, v220
	v_add_f32_e32 v3, v3, v174
	v_fma_f32 v4, v142, v219, -v4
	v_add_f32_e32 v1, v1, v5
	v_fmac_f32_e32 v2, v143, v219
	v_add_f32_e32 v3, v3, v169
	v_add_f32_e32 v1, v1, v4
	;; [unrolled: 1-line block ×3, first 2 shown]
	s_waitcnt vmcnt(0)
	v_sub_f32_e32 v1, v163, v1
	v_sub_f32_e32 v2, v199, v2
	buffer_store_dword v1, off, s[0:3], 0 offset:160
	buffer_store_dword v2, off, s[0:3], 0 offset:164
	v_cmpx_lt_u32_e32 19, v0
	s_cbranch_execz .LBB62_353
; %bb.352:
	s_clause 0x1
	buffer_load_dword v1, off, s[0:3], 0 offset:152
	buffer_load_dword v2, off, s[0:3], 0 offset:156
	v_mov_b32_e32 v3, 0
	buffer_store_dword v3, off, s[0:3], 0 offset:152
	buffer_store_dword v3, off, s[0:3], 0 offset:156
	s_waitcnt vmcnt(0)
	ds_write_b64 v139, v[1:2]
.LBB62_353:
	s_or_b32 exec_lo, exec_lo, s4
	s_waitcnt lgkmcnt(0)
	s_waitcnt_vscnt null, 0x0
	s_barrier
	buffer_gl0_inv
	s_clause 0x25
	buffer_load_dword v142, off, s[0:3], 0 offset:164
	buffer_load_dword v143, off, s[0:3], 0 offset:172
	;; [unrolled: 1-line block ×38, first 2 shown]
	v_mov_b32_e32 v140, 0
	ds_read_b128 v[9:12], v140 offset:672
	ds_read_b128 v[1:4], v140 offset:688
	s_clause 0x7
	buffer_load_dword v183, off, s[0:3], 0 offset:316
	buffer_load_dword v180, off, s[0:3], 0 offset:324
	buffer_load_dword v177, off, s[0:3], 0 offset:332
	buffer_load_dword v176, off, s[0:3], 0 offset:340
	buffer_load_dword v167, off, s[0:3], 0 offset:336
	buffer_load_dword v169, off, s[0:3], 0 offset:328
	buffer_load_dword v181, off, s[0:3], 0 offset:320
	buffer_load_dword v185, off, s[0:3], 0 offset:312
	ds_read_b128 v[5:8], v140 offset:704
	s_clause 0x9
	buffer_load_dword v178, off, s[0:3], 0 offset:348
	buffer_load_dword v165, off, s[0:3], 0 offset:352
	;; [unrolled: 1-line block ×10, first 2 shown]
	ds_read_b128 v[190:193], v140 offset:720
	s_mov_b32 s4, exec_lo
	s_waitcnt vmcnt(55) lgkmcnt(3)
	v_mul_f32_e32 v201, v9, v142
	v_mul_f32_e32 v142, v10, v142
	s_waitcnt vmcnt(54)
	v_mul_f32_e32 v202, v11, v143
	v_mul_f32_e32 v143, v12, v143
	s_waitcnt vmcnt(51)
	v_fmac_f32_e32 v201, v10, v148
	v_fma_f32 v148, v9, v148, -v142
	s_waitcnt vmcnt(50) lgkmcnt(2)
	v_mul_f32_e32 v203, v1, v147
	v_mul_f32_e32 v142, v2, v147
	v_fmac_f32_e32 v202, v12, v145
	v_fma_f32 v145, v11, v145, -v143
	ds_read_b128 v[9:12], v140 offset:736
	s_waitcnt vmcnt(49)
	v_mul_f32_e32 v147, v3, v146
	v_mul_f32_e32 v143, v4, v146
	v_fmac_f32_e32 v203, v2, v141
	v_fma_f32 v146, v1, v141, -v142
	s_waitcnt vmcnt(48) lgkmcnt(2)
	v_mul_f32_e32 v204, v5, v144
	v_mul_f32_e32 v141, v6, v144
	s_waitcnt vmcnt(44)
	v_fmac_f32_e32 v147, v4, v156
	v_fma_f32 v156, v3, v156, -v143
	ds_read_b128 v[1:4], v140 offset:752
	s_waitcnt vmcnt(43)
	v_mul_f32_e32 v205, v7, v154
	v_mul_f32_e32 v142, v8, v154
	v_fmac_f32_e32 v204, v6, v152
	v_fma_f32 v152, v5, v152, -v141
	s_waitcnt vmcnt(42) lgkmcnt(2)
	v_mul_f32_e32 v154, v190, v153
	v_fmac_f32_e32 v205, v8, v150
	v_fma_f32 v150, v7, v150, -v142
	ds_read_b128 v[5:8], v140 offset:768
	v_mul_f32_e32 v141, v191, v153
	s_waitcnt vmcnt(41)
	v_mul_f32_e32 v153, v192, v151
	v_mul_f32_e32 v142, v193, v151
	s_waitcnt vmcnt(40) lgkmcnt(2)
	v_mul_f32_e32 v151, v9, v155
	v_mul_f32_e32 v155, v10, v155
	v_fmac_f32_e32 v154, v191, v149
	v_fma_f32 v149, v190, v149, -v141
	s_waitcnt vmcnt(36)
	v_fmac_f32_e32 v153, v193, v164
	v_fma_f32 v164, v192, v164, -v142
	ds_read_b128 v[141:144], v140 offset:784
	s_waitcnt vmcnt(35)
	v_mul_f32_e32 v190, v11, v163
	v_mul_f32_e32 v163, v12, v163
	v_fmac_f32_e32 v151, v10, v160
	v_fma_f32 v155, v9, v160, -v155
	s_waitcnt vmcnt(34) lgkmcnt(2)
	v_mul_f32_e32 v160, v1, v161
	v_mul_f32_e32 v161, v2, v161
	v_fmac_f32_e32 v190, v12, v158
	v_fma_f32 v158, v11, v158, -v163
	ds_read_b128 v[9:12], v140 offset:800
	v_fmac_f32_e32 v160, v2, v157
	v_fma_f32 v157, v1, v157, -v161
	s_waitcnt vmcnt(32) lgkmcnt(2)
	v_mul_f32_e32 v161, v5, v162
	v_mul_f32_e32 v1, v6, v162
	;; [unrolled: 1-line block ×4, first 2 shown]
	s_waitcnt vmcnt(27)
	v_mul_f32_e32 v2, v8, v174
	v_fmac_f32_e32 v161, v6, v171
	v_add_f32_e32 v6, 0, v201
	v_fmac_f32_e32 v163, v4, v175
	v_fma_f32 v159, v3, v175, -v159
	v_mul_f32_e32 v175, v7, v174
	s_waitcnt vmcnt(26) lgkmcnt(1)
	v_mul_f32_e32 v162, v141, v173
	v_add_f32_e32 v6, v6, v202
	v_mul_f32_e32 v3, v142, v173
	s_waitcnt vmcnt(25)
	v_mul_f32_e32 v173, v143, v172
	v_mul_f32_e32 v4, v144, v172
	s_clause 0x6
	buffer_load_dword v172, off, s[0:3], 0 offset:388
	buffer_load_dword v174, off, s[0:3], 0 offset:400
	;; [unrolled: 1-line block ×7, first 2 shown]
	v_add_f32_e32 v6, v6, v203
	v_fma_f32 v171, v5, v171, -v1
	v_fmac_f32_e32 v162, v142, v168
	v_fma_f32 v141, v141, v168, -v3
	s_waitcnt vmcnt(27) lgkmcnt(0)
	v_mul_f32_e32 v168, v9, v187
	v_mul_f32_e32 v5, v10, v187
	v_add_f32_e32 v6, v6, v147
	v_fmac_f32_e32 v175, v8, v170
	v_fma_f32 v170, v7, v170, -v2
	v_fmac_f32_e32 v173, v144, v188
	v_fma_f32 v142, v143, v188, -v4
	buffer_load_dword v187, off, s[0:3], 0 offset:412
	s_waitcnt vmcnt(27)
	v_mul_f32_e32 v188, v11, v182
	v_fmac_f32_e32 v168, v10, v184
	v_fma_f32 v184, v9, v184, -v5
	v_add_f32_e32 v5, 0, v148
	v_mul_f32_e32 v7, v12, v182
	v_add_f32_e32 v6, v6, v204
	ds_read_b128 v[1:4], v140 offset:816
	s_clause 0x1
	buffer_load_dword v201, off, s[0:3], 0 offset:420
	buffer_load_dword v202, off, s[0:3], 0 offset:428
	v_add_f32_e32 v5, v5, v145
	buffer_load_dword v182, off, s[0:3], 0 offset:436
	v_fmac_f32_e32 v188, v12, v179
	v_fma_f32 v145, v11, v179, -v7
	s_clause 0x7
	buffer_load_dword v179, off, s[0:3], 0 offset:444
	buffer_load_dword v203, off, s[0:3], 0 offset:452
	;; [unrolled: 1-line block ×8, first 2 shown]
	v_add_f32_e32 v6, v6, v205
	s_clause 0x3
	buffer_load_dword v205, off, s[0:3], 0 offset:432
	buffer_load_dword v213, off, s[0:3], 0 offset:424
	;; [unrolled: 1-line block ×4, first 2 shown]
	v_add_f32_e32 v5, v5, v146
	s_clause 0x3
	buffer_load_dword v216, off, s[0:3], 0 offset:464
	buffer_load_dword v217, off, s[0:3], 0 offset:456
	;; [unrolled: 1-line block ×4, first 2 shown]
	v_add_f32_e32 v6, v6, v154
	v_add_f32_e32 v5, v5, v156
	v_add_f32_e32 v6, v6, v153
	s_waitcnt vmcnt(45) lgkmcnt(0)
	v_mul_f32_e32 v146, v1, v186
	v_add_f32_e32 v5, v5, v152
	v_mul_f32_e32 v7, v2, v186
	v_add_f32_e32 v6, v6, v151
	v_fmac_f32_e32 v146, v2, v166
	v_add_f32_e32 v5, v5, v150
	v_fma_f32 v147, v1, v166, -v7
	v_add_f32_e32 v6, v6, v190
	v_add_f32_e32 v5, v5, v149
	s_waitcnt vmcnt(44)
	v_mul_f32_e32 v149, v3, v183
	v_add_f32_e32 v6, v6, v160
	v_add_f32_e32 v5, v5, v164
	s_clause 0x4
	buffer_load_dword v164, off, s[0:3], 0 offset:496
	buffer_load_dword v190, off, s[0:3], 0 offset:488
	;; [unrolled: 1-line block ×5, first 2 shown]
	v_add_f32_e32 v1, v6, v163
	s_waitcnt vmcnt(42)
	v_fmac_f32_e32 v149, v4, v185
	v_add_f32_e32 v5, v5, v155
	v_add_f32_e32 v9, v1, v161
	v_mul_f32_e32 v1, v4, v183
	v_add_f32_e32 v5, v5, v158
	v_add_f32_e32 v143, v9, v175
	v_fma_f32 v150, v3, v185, -v1
	v_add_f32_e32 v5, v5, v157
	v_add_f32_e32 v143, v143, v162
	;; [unrolled: 1-line block ×3, first 2 shown]
	ds_read_b128 v[5:8], v140 offset:832
	v_add_f32_e32 v151, v143, v173
	v_add_f32_e32 v10, v2, v171
	ds_read_b128 v[1:4], v140 offset:848
	v_add_f32_e32 v144, v10, v170
	ds_read_b128 v[9:12], v140 offset:864
	v_add_f32_e32 v141, v144, v141
	s_waitcnt lgkmcnt(2)
	v_mul_f32_e32 v148, v6, v180
	v_mul_f32_e32 v153, v5, v180
	;; [unrolled: 1-line block ×3, first 2 shown]
	v_fma_f32 v154, v5, v181, -v148
	v_add_f32_e32 v5, v141, v142
	ds_read_b128 v[141:144], v140 offset:880
	v_fmac_f32_e32 v153, v6, v181
	v_add_f32_e32 v6, v151, v168
	s_waitcnt lgkmcnt(2)
	v_mul_f32_e32 v156, v1, v176
	v_add_f32_e32 v5, v5, v184
	v_mul_f32_e32 v151, v2, v176
	s_waitcnt vmcnt(39) lgkmcnt(1)
	v_mul_f32_e32 v160, v9, v194
	v_add_f32_e32 v6, v6, v188
	v_fmac_f32_e32 v156, v2, v167
	v_add_f32_e32 v5, v5, v145
	v_fma_f32 v158, v1, v167, -v151
	v_mul_f32_e32 v151, v10, v194
	v_add_f32_e32 v1, v6, v146
	v_mul_f32_e32 v148, v8, v177
	v_add_f32_e32 v2, v5, v147
	v_fmac_f32_e32 v160, v10, v165
	v_fma_f32 v162, v9, v165, -v151
	v_add_f32_e32 v10, v1, v149
	v_fma_f32 v157, v7, v169, -v148
	v_add_f32_e32 v9, v2, v150
	v_fmac_f32_e32 v155, v8, v169
	v_mul_f32_e32 v152, v4, v178
	v_add_f32_e32 v10, v10, v153
	s_waitcnt vmcnt(36) lgkmcnt(0)
	v_mul_f32_e32 v165, v141, v197
	v_add_f32_e32 v9, v9, v154
	v_mul_f32_e32 v154, v142, v197
	v_mul_f32_e32 v159, v3, v178
	v_add_f32_e32 v10, v10, v155
	s_waitcnt vmcnt(34)
	v_fma_f32 v161, v3, v199, -v152
	ds_read_b128 v[5:8], v140 offset:896
	ds_read_b128 v[145:148], v140 offset:912
	v_fma_f32 v169, v141, v198, -v154
	v_add_f32_e32 v141, v9, v157
	v_fmac_f32_e32 v159, v4, v199
	v_add_f32_e32 v170, v10, v156
	v_mul_f32_e32 v153, v12, v196
	v_mul_f32_e32 v163, v11, v196
	v_add_f32_e32 v171, v141, v158
	s_waitcnt vmcnt(33)
	v_mul_f32_e32 v167, v144, v200
	v_add_f32_e32 v159, v170, v159
	v_fma_f32 v168, v11, v195, -v153
	v_fmac_f32_e32 v163, v12, v195
	v_add_f32_e32 v161, v171, v161
	v_mul_f32_e32 v166, v143, v200
	v_add_f32_e32 v159, v159, v160
	v_fmac_f32_e32 v165, v142, v198
	ds_read_b128 v[1:4], v140 offset:928
	ds_read_b128 v[149:152], v140 offset:944
	v_add_f32_e32 v161, v161, v162
	ds_read_b128 v[9:12], v140 offset:960
	ds_read_b128 v[153:156], v140 offset:976
	v_add_f32_e32 v159, v159, v163
	v_add_f32_e32 v161, v161, v168
	;; [unrolled: 1-line block ×4, first 2 shown]
	s_waitcnt vmcnt(31) lgkmcnt(5)
	v_mul_f32_e32 v170, v5, v172
	v_mul_f32_e32 v172, v6, v172
	s_waitcnt vmcnt(27)
	v_fma_f32 v167, v143, v193, -v167
	v_fmac_f32_e32 v166, v144, v193
	s_waitcnt vmcnt(26)
	v_mul_f32_e32 v173, v8, v206
	v_fma_f32 v5, v5, v192, -v172
	v_mul_f32_e32 v171, v7, v206
	v_add_f32_e32 v161, v161, v167
	v_fmac_f32_e32 v170, v6, v192
	v_add_f32_e32 v159, v159, v166
	s_waitcnt vmcnt(25) lgkmcnt(4)
	v_mul_f32_e32 v172, v146, v207
	v_fma_f32 v7, v7, v191, -v173
	v_add_f32_e32 v5, v161, v5
	v_mul_f32_e32 v160, v145, v207
	v_fmac_f32_e32 v171, v8, v191
	v_add_f32_e32 v159, v159, v170
	s_waitcnt vmcnt(24)
	v_mul_f32_e32 v166, v148, v187
	v_fma_f32 v145, v145, v174, -v172
	v_add_f32_e32 v5, v5, v7
	v_mul_f32_e32 v162, v147, v187
	v_fmac_f32_e32 v160, v146, v174
	v_add_f32_e32 v7, v159, v171
	ds_read_b128 v[141:144], v140 offset:992
	ds_read_b64 v[157:158], v140 offset:1008
	s_waitcnt vmcnt(23) lgkmcnt(5)
	v_mul_f32_e32 v6, v1, v201
	v_mul_f32_e32 v146, v2, v201
	v_add_f32_e32 v5, v5, v145
	v_add_f32_e32 v7, v7, v160
	s_waitcnt vmcnt(22)
	v_mul_f32_e32 v145, v4, v202
	v_mul_f32_e32 v163, v3, v202
	s_waitcnt vmcnt(21) lgkmcnt(4)
	v_mul_f32_e32 v168, v149, v182
	s_waitcnt vmcnt(20)
	v_mul_f32_e32 v8, v151, v179
	s_waitcnt vmcnt(19) lgkmcnt(3)
	v_mul_f32_e32 v173, v9, v203
	s_waitcnt vmcnt(10)
	v_fmac_f32_e32 v6, v2, v214
	s_waitcnt vmcnt(9)
	v_fma_f32 v147, v147, v215, -v166
	v_fmac_f32_e32 v162, v148, v215
	v_fma_f32 v1, v1, v214, -v146
	v_fma_f32 v3, v3, v213, -v145
	v_fmac_f32_e32 v163, v4, v213
	v_add_f32_e32 v2, v5, v147
	v_add_f32_e32 v5, v7, v162
	v_mul_f32_e32 v7, v150, v182
	v_mul_f32_e32 v4, v152, v179
	v_fmac_f32_e32 v168, v150, v205
	v_add_f32_e32 v1, v2, v1
	v_add_f32_e32 v2, v5, v6
	v_fma_f32 v5, v149, v205, -v7
	s_waitcnt vmcnt(5)
	v_fma_f32 v4, v151, v219, -v4
	v_fmac_f32_e32 v8, v152, v219
	v_add_f32_e32 v1, v1, v3
	v_add_f32_e32 v2, v2, v163
	v_mul_f32_e32 v3, v10, v203
	v_mul_f32_e32 v165, v11, v208
	v_fmac_f32_e32 v173, v10, v218
	v_add_f32_e32 v1, v1, v5
	v_add_f32_e32 v2, v2, v168
	v_mul_f32_e32 v5, v12, v208
	v_fma_f32 v3, v9, v218, -v3
	s_waitcnt lgkmcnt(2)
	v_mul_f32_e32 v169, v153, v209
	v_add_f32_e32 v1, v1, v4
	v_add_f32_e32 v2, v2, v8
	v_mul_f32_e32 v4, v154, v209
	v_fma_f32 v5, v11, v217, -v5
	v_fmac_f32_e32 v165, v12, v217
	v_add_f32_e32 v1, v1, v3
	v_add_f32_e32 v2, v2, v173
	v_mul_f32_e32 v3, v156, v210
	v_fma_f32 v4, v153, v216, -v4
	v_mul_f32_e32 v175, v155, v210
	v_add_f32_e32 v1, v1, v5
	v_fmac_f32_e32 v169, v154, v216
	v_add_f32_e32 v2, v2, v165
	s_waitcnt lgkmcnt(1)
	v_mul_f32_e32 v5, v142, v204
	s_waitcnt vmcnt(1)
	v_fma_f32 v3, v155, v221, -v3
	v_add_f32_e32 v1, v1, v4
	v_mul_f32_e32 v167, v141, v204
	v_fmac_f32_e32 v175, v156, v221
	v_add_f32_e32 v2, v2, v169
	v_mul_f32_e32 v4, v144, v211
	v_fma_f32 v5, v141, v220, -v5
	v_add_f32_e32 v1, v1, v3
	v_mul_f32_e32 v176, v143, v211
	v_fmac_f32_e32 v167, v142, v220
	v_add_f32_e32 v2, v2, v175
	s_waitcnt lgkmcnt(0)
	v_mul_f32_e32 v3, v158, v212
	v_fma_f32 v4, v143, v190, -v4
	v_add_f32_e32 v1, v1, v5
	v_mul_f32_e32 v161, v157, v212
	v_fmac_f32_e32 v176, v144, v190
	v_add_f32_e32 v2, v2, v167
	v_fma_f32 v3, v157, v164, -v3
	v_add_f32_e32 v1, v1, v4
	v_fmac_f32_e32 v161, v158, v164
	v_add_f32_e32 v2, v2, v176
	v_add_f32_e32 v1, v1, v3
	;; [unrolled: 1-line block ×3, first 2 shown]
	s_waitcnt vmcnt(0)
	v_sub_f32_e32 v1, v222, v1
	v_sub_f32_e32 v2, v189, v2
	buffer_store_dword v1, off, s[0:3], 0 offset:152
	buffer_store_dword v2, off, s[0:3], 0 offset:156
	v_cmpx_lt_u32_e32 18, v0
	s_cbranch_execz .LBB62_355
; %bb.354:
	s_clause 0x1
	buffer_load_dword v1, off, s[0:3], 0 offset:144
	buffer_load_dword v2, off, s[0:3], 0 offset:148
	buffer_store_dword v140, off, s[0:3], 0 offset:144
	buffer_store_dword v140, off, s[0:3], 0 offset:148
	s_waitcnt vmcnt(0)
	ds_write_b64 v139, v[1:2]
.LBB62_355:
	s_or_b32 exec_lo, exec_lo, s4
	s_waitcnt lgkmcnt(0)
	s_waitcnt_vscnt null, 0x0
	s_barrier
	buffer_gl0_inv
	s_clause 0x2b
	buffer_load_dword v161, off, s[0:3], 0 offset:156
	buffer_load_dword v162, off, s[0:3], 0 offset:164
	;; [unrolled: 1-line block ×44, first 2 shown]
	ds_read2_b64 v[9:12], v140 offset0:83 offset1:84
	s_clause 0x1
	buffer_load_dword v189, off, s[0:3], 0 offset:324
	buffer_load_dword v183, off, s[0:3], 0 offset:332
	ds_read2_b64 v[5:8], v140 offset0:85 offset1:86
	ds_read2_b64 v[1:4], v140 offset0:87 offset1:88
	s_clause 0x7
	buffer_load_dword v184, off, s[0:3], 0 offset:340
	buffer_load_dword v173, off, s[0:3], 0 offset:348
	;; [unrolled: 1-line block ×8, first 2 shown]
	ds_read2_b64 v[190:193], v140 offset0:89 offset1:90
	buffer_load_dword v201, off, s[0:3], 0 offset:148
	s_mov_b32 s4, exec_lo
	s_waitcnt vmcnt(54) lgkmcnt(3)
	v_mul_f32_e32 v199, v9, v161
	s_waitcnt vmcnt(53)
	v_mul_f32_e32 v200, v11, v162
	v_mul_f32_e32 v161, v10, v161
	;; [unrolled: 1-line block ×3, first 2 shown]
	s_waitcnt vmcnt(50)
	v_fmac_f32_e32 v199, v10, v147
	v_fmac_f32_e32 v200, v12, v146
	v_fma_f32 v147, v9, v147, -v161
	v_fma_f32 v146, v11, v146, -v162
	ds_read2_b64 v[9:12], v140 offset0:91 offset1:92
	s_waitcnt vmcnt(49) lgkmcnt(3)
	v_mul_f32_e32 v161, v5, v144
	v_mul_f32_e32 v144, v6, v144
	s_waitcnt vmcnt(48)
	v_mul_f32_e32 v162, v7, v143
	v_mul_f32_e32 v143, v8, v143
	s_waitcnt vmcnt(47) lgkmcnt(2)
	v_mul_f32_e32 v202, v1, v142
	v_fmac_f32_e32 v161, v6, v141
	v_fma_f32 v203, v5, v141, -v144
	s_waitcnt vmcnt(46)
	v_mul_f32_e32 v204, v3, v145
	v_mul_f32_e32 v141, v2, v142
	;; [unrolled: 1-line block ×3, first 2 shown]
	s_waitcnt vmcnt(42)
	v_fmac_f32_e32 v162, v8, v153
	v_fma_f32 v145, v7, v153, -v143
	ds_read2_b64 v[5:8], v140 offset0:93 offset1:94
	v_fmac_f32_e32 v202, v2, v152
	v_fmac_f32_e32 v204, v4, v150
	v_fma_f32 v152, v1, v152, -v141
	v_fma_f32 v150, v3, v150, -v142
	ds_read2_b64 v[1:4], v140 offset0:95 offset1:96
	s_waitcnt vmcnt(41) lgkmcnt(3)
	v_mul_f32_e32 v153, v190, v151
	v_mul_f32_e32 v141, v191, v151
	s_waitcnt vmcnt(40)
	v_mul_f32_e32 v151, v192, v149
	v_mul_f32_e32 v142, v193, v149
	s_waitcnt vmcnt(39) lgkmcnt(2)
	v_mul_f32_e32 v149, v9, v154
	v_fmac_f32_e32 v153, v191, v148
	v_fma_f32 v148, v190, v148, -v141
	s_waitcnt vmcnt(34)
	v_fmac_f32_e32 v151, v193, v163
	v_fma_f32 v163, v192, v163, -v142
	ds_read2_b64 v[141:144], v140 offset0:97 offset1:98
	v_mul_f32_e32 v190, v11, v155
	v_mul_f32_e32 v155, v12, v155
	v_mul_f32_e32 v154, v10, v154
	v_fmac_f32_e32 v149, v10, v160
	s_waitcnt vmcnt(32) lgkmcnt(2)
	v_mul_f32_e32 v191, v7, v157
	v_fmac_f32_e32 v190, v12, v158
	v_fma_f32 v155, v11, v158, -v155
	v_mul_f32_e32 v158, v5, v159
	v_mul_f32_e32 v159, v6, v159
	;; [unrolled: 1-line block ×3, first 2 shown]
	v_fma_f32 v154, v9, v160, -v154
	ds_read2_b64 v[9:12], v140 offset0:99 offset1:100
	v_fmac_f32_e32 v158, v6, v156
	v_fma_f32 v156, v5, v156, -v159
	s_waitcnt vmcnt(31) lgkmcnt(2)
	v_mul_f32_e32 v159, v1, v164
	v_mul_f32_e32 v5, v2, v164
	buffer_load_dword v160, off, s[0:3], 0 offset:372
	s_waitcnt vmcnt(28)
	v_fmac_f32_e32 v191, v8, v177
	v_fma_f32 v157, v7, v177, -v157
	s_clause 0x3
	buffer_load_dword v164, off, s[0:3], 0 offset:392
	buffer_load_dword v177, off, s[0:3], 0 offset:384
	;; [unrolled: 1-line block ×4, first 2 shown]
	s_waitcnt vmcnt(31)
	v_mul_f32_e32 v205, v3, v176
	v_mul_f32_e32 v6, v4, v176
	v_fmac_f32_e32 v159, v2, v171
	v_fma_f32 v171, v1, v171, -v5
	s_waitcnt vmcnt(30) lgkmcnt(1)
	v_mul_f32_e32 v176, v141, v168
	s_waitcnt vmcnt(29)
	v_mul_f32_e32 v206, v143, v169
	v_mul_f32_e32 v1, v142, v168
	;; [unrolled: 1-line block ×3, first 2 shown]
	s_clause 0x2
	buffer_load_dword v168, off, s[0:3], 0 offset:380
	buffer_load_dword v169, off, s[0:3], 0 offset:388
	;; [unrolled: 1-line block ×3, first 2 shown]
	v_fmac_f32_e32 v205, v4, v167
	v_fma_f32 v167, v3, v167, -v6
	v_fmac_f32_e32 v176, v142, v165
	v_fma_f32 v141, v141, v165, -v1
	s_waitcnt vmcnt(28)
	v_fma_f32 v142, v143, v188, -v2
	ds_read2_b64 v[1:4], v140 offset0:101 offset1:102
	s_waitcnt vmcnt(27) lgkmcnt(1)
	v_mul_f32_e32 v5, v10, v186
	v_add_f32_e32 v6, 0, v199
	v_fmac_f32_e32 v206, v144, v188
	v_add_f32_e32 v7, 0, v147
	v_mul_f32_e32 v143, v9, v186
	v_fma_f32 v144, v9, v182, -v5
	v_add_f32_e32 v5, v6, v200
	s_waitcnt vmcnt(26)
	v_mul_f32_e32 v165, v11, v185
	v_add_f32_e32 v6, v7, v146
	v_mul_f32_e32 v8, v12, v185
	v_fmac_f32_e32 v143, v10, v182
	v_add_f32_e32 v5, v5, v161
	s_clause 0x3
	buffer_load_dword v182, off, s[0:3], 0 offset:404
	buffer_load_dword v185, off, s[0:3], 0 offset:412
	;; [unrolled: 1-line block ×4, first 2 shown]
	v_add_f32_e32 v6, v6, v203
	v_fmac_f32_e32 v165, v12, v180
	v_fma_f32 v146, v11, v180, -v8
	v_add_f32_e32 v5, v5, v162
	s_clause 0x3
	buffer_load_dword v161, off, s[0:3], 0 offset:436
	buffer_load_dword v180, off, s[0:3], 0 offset:444
	;; [unrolled: 1-line block ×4, first 2 shown]
	v_add_f32_e32 v6, v6, v145
	s_waitcnt vmcnt(33) lgkmcnt(0)
	v_mul_f32_e32 v145, v1, v178
	v_mul_f32_e32 v7, v2, v178
	v_add_f32_e32 v5, v5, v202
	s_clause 0x3
	buffer_load_dword v162, off, s[0:3], 0 offset:468
	buffer_load_dword v203, off, s[0:3], 0 offset:476
	;; [unrolled: 1-line block ×4, first 2 shown]
	v_add_f32_e32 v6, v6, v152
	buffer_load_dword v178, off, s[0:3], 0 offset:500
	v_fmac_f32_e32 v145, v2, v174
	v_fma_f32 v147, v1, v174, -v7
	v_add_f32_e32 v5, v5, v204
	s_clause 0x3
	buffer_load_dword v174, off, s[0:3], 0 offset:424
	buffer_load_dword v202, off, s[0:3], 0 offset:416
	;; [unrolled: 1-line block ×4, first 2 shown]
	v_add_f32_e32 v1, v6, v150
	v_add_f32_e32 v5, v5, v153
	v_add_f32_e32 v6, v1, v148
	s_waitcnt vmcnt(41)
	v_mul_f32_e32 v148, v3, v172
	v_mul_f32_e32 v1, v4, v172
	v_add_f32_e32 v5, v5, v151
	v_add_f32_e32 v6, v6, v163
	s_waitcnt vmcnt(37)
	v_fmac_f32_e32 v148, v4, v187
	v_fma_f32 v150, v3, v187, -v1
	ds_read2_b64 v[1:4], v140 offset0:103 offset1:104
	s_clause 0x3
	buffer_load_dword v163, off, s[0:3], 0 offset:456
	buffer_load_dword v172, off, s[0:3], 0 offset:448
	;; [unrolled: 1-line block ×4, first 2 shown]
	v_add_f32_e32 v6, v6, v154
	v_add_f32_e32 v5, v5, v149
	;; [unrolled: 1-line block ×4, first 2 shown]
	ds_read2_b64 v[5:8], v140 offset0:105 offset1:106
	v_add_f32_e32 v9, v9, v156
	v_add_f32_e32 v10, v10, v158
	s_waitcnt vmcnt(40) lgkmcnt(1)
	v_mul_f32_e32 v149, v1, v181
	v_mul_f32_e32 v11, v2, v181
	s_waitcnt vmcnt(39)
	v_mul_f32_e32 v153, v3, v189
	v_fmac_f32_e32 v149, v2, v179
	v_fma_f32 v151, v1, v179, -v11
	v_add_f32_e32 v1, v9, v157
	s_clause 0x3
	buffer_load_dword v157, off, s[0:3], 0 offset:488
	buffer_load_dword v158, off, s[0:3], 0 offset:480
	;; [unrolled: 1-line block ×4, first 2 shown]
	v_add_f32_e32 v2, v10, v191
	v_mul_f32_e32 v9, v4, v189
	v_fmac_f32_e32 v153, v4, v175
	v_add_f32_e32 v1, v1, v171
	buffer_load_dword v171, off, s[0:3], 0 offset:496
	v_add_f32_e32 v2, v2, v159
	buffer_load_dword v159, off, s[0:3], 0 offset:144
	v_fma_f32 v154, v3, v175, -v9
	v_add_f32_e32 v1, v1, v167
	s_waitcnt vmcnt(44) lgkmcnt(0)
	v_mul_f32_e32 v155, v5, v183
	v_add_f32_e32 v10, v2, v205
	s_waitcnt vmcnt(43)
	v_mul_f32_e32 v156, v7, v184
	v_mul_f32_e32 v167, v8, v184
	v_add_f32_e32 v141, v1, v141
	ds_read2_b64 v[1:4], v140 offset0:107 offset1:108
	v_add_f32_e32 v152, v10, v176
	ds_read2_b64 v[9:12], v140 offset0:109 offset1:110
	v_fmac_f32_e32 v155, v6, v166
	v_add_f32_e32 v141, v141, v142
	v_mul_f32_e32 v142, v6, v183
	v_add_f32_e32 v152, v152, v206
	s_waitcnt vmcnt(36)
	v_fmac_f32_e32 v156, v8, v198
	v_fma_f32 v167, v7, v198, -v167
	v_add_f32_e32 v175, v141, v144
	v_fma_f32 v166, v5, v166, -v142
	v_add_f32_e32 v152, v152, v143
	ds_read2_b64 v[5:8], v140 offset0:111 offset1:112
	ds_read2_b64 v[141:144], v140 offset0:113 offset1:114
	v_add_f32_e32 v146, v175, v146
	v_add_f32_e32 v152, v152, v165
	;; [unrolled: 1-line block ×3, first 2 shown]
	s_waitcnt lgkmcnt(3)
	v_mul_f32_e32 v175, v1, v173
	v_add_f32_e32 v145, v152, v145
	v_mul_f32_e32 v173, v2, v173
	v_mul_f32_e32 v165, v3, v170
	v_add_f32_e32 v150, v146, v150
	v_mul_f32_e32 v170, v4, v170
	v_add_f32_e32 v184, v145, v148
	v_fma_f32 v173, v1, v197, -v173
	v_fmac_f32_e32 v175, v2, v197
	v_add_f32_e32 v190, v150, v151
	s_waitcnt lgkmcnt(2)
	v_mul_f32_e32 v152, v10, v194
	v_add_f32_e32 v184, v184, v149
	v_fma_f32 v170, v3, v196, -v170
	v_mul_f32_e32 v176, v9, v194
	v_add_f32_e32 v154, v190, v154
	v_fmac_f32_e32 v165, v4, v196
	v_add_f32_e32 v153, v184, v153
	v_fma_f32 v189, v9, v195, -v152
	v_fmac_f32_e32 v176, v10, v195
	ds_read2_b64 v[1:4], v140 offset0:115 offset1:116
	ds_read2_b64 v[145:148], v140 offset0:117 offset1:118
	v_add_f32_e32 v153, v153, v155
	s_waitcnt vmcnt(34)
	v_mul_f32_e32 v183, v11, v160
	v_mul_f32_e32 v160, v12, v160
	s_waitcnt vmcnt(30)
	v_fmac_f32_e32 v183, v12, v193
	v_fma_f32 v160, v11, v193, -v160
	ds_read2_b64 v[9:12], v140 offset0:119 offset1:120
	ds_read2_b64 v[149:152], v140 offset0:121 offset1:122
	s_waitcnt vmcnt(29) lgkmcnt(5)
	v_mul_f32_e32 v190, v5, v168
	v_mul_f32_e32 v168, v6, v168
	s_waitcnt vmcnt(28)
	v_mul_f32_e32 v184, v7, v169
	v_mul_f32_e32 v169, v8, v169
	v_fmac_f32_e32 v190, v6, v192
	v_add_f32_e32 v6, v154, v166
	v_fma_f32 v166, v5, v192, -v168
	v_fma_f32 v168, v7, v177, -v169
	v_add_f32_e32 v169, v153, v156
	v_fmac_f32_e32 v184, v8, v177
	v_add_f32_e32 v167, v6, v167
	ds_read2_b64 v[5:8], v140 offset0:123 offset1:124
	ds_read2_b64 v[153:156], v140 offset0:125 offset1:126
	s_waitcnt vmcnt(27) lgkmcnt(6)
	v_mul_f32_e32 v140, v141, v207
	v_add_f32_e32 v169, v169, v175
	v_add_f32_e32 v167, v167, v173
	v_mul_f32_e32 v173, v142, v207
	s_waitcnt vmcnt(26)
	v_mul_f32_e32 v177, v144, v182
	v_add_f32_e32 v165, v169, v165
	v_mul_f32_e32 v175, v143, v182
	v_add_f32_e32 v167, v167, v170
	v_fma_f32 v141, v141, v164, -v173
	v_fmac_f32_e32 v140, v142, v164
	v_add_f32_e32 v165, v165, v176
	s_waitcnt vmcnt(25) lgkmcnt(5)
	v_mul_f32_e32 v170, v1, v185
	v_add_f32_e32 v167, v167, v189
	s_waitcnt vmcnt(24)
	v_mul_f32_e32 v169, v3, v186
	s_waitcnt vmcnt(23) lgkmcnt(4)
	v_mul_f32_e32 v182, v145, v188
	v_add_f32_e32 v165, v165, v183
	s_waitcnt vmcnt(22)
	v_mul_f32_e32 v189, v147, v161
	v_add_f32_e32 v160, v167, v160
	s_waitcnt vmcnt(21) lgkmcnt(3)
	v_mul_f32_e32 v176, v9, v180
	s_waitcnt vmcnt(20)
	v_mul_f32_e32 v191, v11, v199
	v_add_f32_e32 v165, v165, v190
	s_waitcnt vmcnt(12)
	v_fmac_f32_e32 v169, v4, v202
	v_add_f32_e32 v160, v160, v166
	s_waitcnt vmcnt(10)
	v_fma_f32 v143, v143, v210, -v177
	v_fmac_f32_e32 v175, v144, v210
	v_add_f32_e32 v164, v165, v184
	v_mul_f32_e32 v165, v2, v185
	v_add_f32_e32 v160, v160, v168
	v_mul_f32_e32 v144, v4, v186
	v_fmac_f32_e32 v170, v2, v204
	v_add_f32_e32 v140, v164, v140
	v_fma_f32 v1, v1, v204, -v165
	v_add_f32_e32 v141, v160, v141
	v_fma_f32 v3, v3, v202, -v144
	v_mul_f32_e32 v4, v148, v161
	v_add_f32_e32 v140, v140, v175
	v_fmac_f32_e32 v182, v146, v174
	v_add_f32_e32 v2, v141, v143
	v_mul_f32_e32 v141, v146, v188
	s_waitcnt vmcnt(6)
	v_fma_f32 v4, v147, v211, -v4
	v_fmac_f32_e32 v189, v148, v211
	v_fmac_f32_e32 v176, v10, v187
	v_add_f32_e32 v1, v2, v1
	v_add_f32_e32 v2, v140, v170
	v_fma_f32 v140, v145, v174, -v141
	s_waitcnt lgkmcnt(2)
	v_mul_f32_e32 v167, v149, v200
	v_fmac_f32_e32 v191, v12, v172
	v_add_f32_e32 v1, v1, v3
	v_add_f32_e32 v2, v2, v169
	v_mul_f32_e32 v3, v10, v180
	v_mul_f32_e32 v183, v151, v162
	v_fmac_f32_e32 v167, v150, v163
	v_add_f32_e32 v1, v1, v140
	v_add_f32_e32 v2, v2, v182
	v_mul_f32_e32 v140, v12, v199
	v_fma_f32 v3, v9, v187, -v3
	s_waitcnt lgkmcnt(1)
	v_mul_f32_e32 v192, v5, v203
	v_add_f32_e32 v1, v1, v4
	v_add_f32_e32 v2, v2, v189
	v_mul_f32_e32 v4, v150, v200
	v_fma_f32 v9, v11, v172, -v140
	v_mul_f32_e32 v166, v7, v208
	v_add_f32_e32 v1, v1, v3
	v_add_f32_e32 v2, v2, v176
	v_mul_f32_e32 v3, v152, v162
	v_fma_f32 v4, v149, v163, -v4
	s_waitcnt vmcnt(2)
	v_fmac_f32_e32 v183, v152, v181
	v_add_f32_e32 v1, v1, v9
	v_add_f32_e32 v2, v2, v191
	v_mul_f32_e32 v9, v6, v203
	v_fma_f32 v3, v151, v181, -v3
	v_fmac_f32_e32 v192, v6, v179
	v_add_f32_e32 v1, v1, v4
	v_add_f32_e32 v2, v2, v167
	v_mul_f32_e32 v4, v8, v208
	v_fma_f32 v5, v5, v179, -v9
	s_waitcnt lgkmcnt(0)
	v_mul_f32_e32 v190, v153, v209
	v_add_f32_e32 v1, v1, v3
	v_add_f32_e32 v2, v2, v183
	v_mul_f32_e32 v3, v154, v209
	v_fma_f32 v4, v7, v158, -v4
	v_fmac_f32_e32 v166, v8, v158
	v_add_f32_e32 v1, v1, v5
	v_add_f32_e32 v2, v2, v192
	v_mul_f32_e32 v5, v156, v178
	v_fma_f32 v3, v153, v157, -v3
	v_mul_f32_e32 v142, v155, v178
	v_add_f32_e32 v1, v1, v4
	v_fmac_f32_e32 v190, v154, v157
	v_add_f32_e32 v2, v2, v166
	s_waitcnt vmcnt(1)
	v_fma_f32 v4, v155, v171, -v5
	v_fmac_f32_e32 v142, v156, v171
	v_add_f32_e32 v1, v1, v3
	v_add_f32_e32 v2, v2, v190
	;; [unrolled: 1-line block ×4, first 2 shown]
	s_waitcnt vmcnt(0)
	v_sub_f32_e32 v1, v159, v1
	v_sub_f32_e32 v2, v201, v2
	buffer_store_dword v1, off, s[0:3], 0 offset:144
	buffer_store_dword v2, off, s[0:3], 0 offset:148
	v_cmpx_lt_u32_e32 17, v0
	s_cbranch_execz .LBB62_357
; %bb.356:
	s_clause 0x1
	buffer_load_dword v1, off, s[0:3], 0 offset:136
	buffer_load_dword v2, off, s[0:3], 0 offset:140
	v_mov_b32_e32 v3, 0
	buffer_store_dword v3, off, s[0:3], 0 offset:136
	buffer_store_dword v3, off, s[0:3], 0 offset:140
	s_waitcnt vmcnt(0)
	ds_write_b64 v139, v[1:2]
.LBB62_357:
	s_or_b32 exec_lo, exec_lo, s4
	s_waitcnt lgkmcnt(0)
	s_waitcnt_vscnt null, 0x0
	s_barrier
	buffer_gl0_inv
	s_clause 0x2b
	buffer_load_dword v142, off, s[0:3], 0 offset:148
	buffer_load_dword v143, off, s[0:3], 0 offset:156
	;; [unrolled: 1-line block ×44, first 2 shown]
	v_mov_b32_e32 v140, 0
	ds_read_b128 v[9:12], v140 offset:656
	ds_read_b128 v[5:8], v140 offset:672
	s_clause 0x1
	buffer_load_dword v189, off, s[0:3], 0 offset:316
	buffer_load_dword v184, off, s[0:3], 0 offset:324
	ds_read_b128 v[1:4], v140 offset:688
	s_clause 0x9
	buffer_load_dword v183, off, s[0:3], 0 offset:332
	buffer_load_dword v171, off, s[0:3], 0 offset:340
	;; [unrolled: 1-line block ×10, first 2 shown]
	ds_read_b128 v[191:194], v140 offset:704
	s_mov_b32 s4, exec_lo
	s_waitcnt vmcnt(55) lgkmcnt(3)
	v_mul_f32_e32 v201, v9, v142
	v_mul_f32_e32 v142, v10, v142
	s_waitcnt vmcnt(54)
	v_mul_f32_e32 v202, v11, v143
	v_mul_f32_e32 v143, v12, v143
	s_waitcnt vmcnt(51)
	v_fmac_f32_e32 v201, v10, v148
	v_fma_f32 v148, v9, v148, -v142
	s_waitcnt vmcnt(50) lgkmcnt(2)
	v_mul_f32_e32 v203, v5, v147
	v_mul_f32_e32 v142, v6, v147
	v_fmac_f32_e32 v202, v12, v144
	v_fma_f32 v147, v11, v144, -v143
	ds_read_b128 v[9:12], v140 offset:720
	s_waitcnt vmcnt(49)
	v_mul_f32_e32 v204, v7, v145
	v_mul_f32_e32 v143, v8, v145
	v_fmac_f32_e32 v203, v6, v141
	v_fma_f32 v145, v5, v141, -v142
	s_waitcnt vmcnt(48) lgkmcnt(2)
	v_mul_f32_e32 v205, v1, v146
	v_mul_f32_e32 v141, v2, v146
	s_waitcnt vmcnt(44)
	v_fmac_f32_e32 v204, v8, v155
	v_fma_f32 v146, v7, v155, -v143
	ds_read_b128 v[5:8], v140 offset:736
	s_waitcnt vmcnt(43)
	v_mul_f32_e32 v155, v3, v154
	v_mul_f32_e32 v142, v4, v154
	v_fmac_f32_e32 v205, v2, v152
	v_fma_f32 v152, v1, v152, -v141
	s_waitcnt vmcnt(42) lgkmcnt(2)
	v_mul_f32_e32 v154, v191, v153
	v_mul_f32_e32 v141, v192, v153
	v_fmac_f32_e32 v155, v4, v150
	v_fma_f32 v150, v3, v150, -v142
	ds_read_b128 v[1:4], v140 offset:752
	s_waitcnt vmcnt(41)
	v_mul_f32_e32 v153, v193, v151
	v_mul_f32_e32 v142, v194, v151
	v_fmac_f32_e32 v154, v192, v149
	v_fma_f32 v149, v191, v149, -v141
	s_waitcnt vmcnt(40) lgkmcnt(2)
	v_mul_f32_e32 v151, v9, v156
	s_waitcnt vmcnt(36)
	v_fmac_f32_e32 v153, v194, v163
	v_fma_f32 v163, v193, v163, -v142
	ds_read_b128 v[141:144], v140 offset:768
	v_mul_f32_e32 v156, v10, v156
	s_waitcnt vmcnt(35)
	v_mul_f32_e32 v191, v11, v162
	v_mul_f32_e32 v162, v12, v162
	v_fmac_f32_e32 v151, v10, v160
	v_fma_f32 v156, v9, v160, -v156
	s_waitcnt vmcnt(34) lgkmcnt(2)
	v_mul_f32_e32 v160, v5, v161
	v_mul_f32_e32 v161, v6, v161
	v_fmac_f32_e32 v191, v12, v158
	v_fma_f32 v158, v11, v158, -v162
	s_waitcnt vmcnt(33)
	v_mul_f32_e32 v162, v7, v159
	v_mul_f32_e32 v159, v8, v159
	v_fmac_f32_e32 v160, v6, v157
	v_fma_f32 v157, v5, v157, -v161
	s_waitcnt vmcnt(32) lgkmcnt(1)
	v_mul_f32_e32 v161, v1, v164
	v_mul_f32_e32 v5, v2, v164
	ds_read_b128 v[9:12], v140 offset:784
	s_waitcnt vmcnt(28)
	v_fmac_f32_e32 v162, v8, v177
	v_fma_f32 v159, v7, v177, -v159
	s_clause 0x3
	buffer_load_dword v164, off, s[0:3], 0 offset:384
	buffer_load_dword v177, off, s[0:3], 0 offset:376
	buffer_load_dword v192, off, s[0:3], 0 offset:368
	buffer_load_dword v193, off, s[0:3], 0 offset:360
	s_waitcnt vmcnt(31)
	v_mul_f32_e32 v194, v3, v175
	v_mul_f32_e32 v6, v4, v175
	v_fmac_f32_e32 v161, v2, v173
	v_fma_f32 v173, v1, v173, -v5
	s_waitcnt vmcnt(30) lgkmcnt(1)
	v_mul_f32_e32 v175, v141, v169
	s_waitcnt vmcnt(29)
	v_mul_f32_e32 v206, v143, v170
	v_mul_f32_e32 v1, v142, v169
	v_mul_f32_e32 v2, v144, v170
	s_clause 0x2
	buffer_load_dword v169, off, s[0:3], 0 offset:372
	buffer_load_dword v170, off, s[0:3], 0 offset:380
	;; [unrolled: 1-line block ×3, first 2 shown]
	v_fmac_f32_e32 v194, v4, v167
	v_fma_f32 v167, v3, v167, -v6
	v_fmac_f32_e32 v175, v142, v166
	v_fma_f32 v141, v141, v166, -v1
	s_waitcnt vmcnt(28)
	v_fma_f32 v142, v143, v188, -v2
	ds_read_b128 v[1:4], v140 offset:800
	v_add_f32_e32 v5, 0, v201
	s_waitcnt vmcnt(27) lgkmcnt(1)
	v_mul_f32_e32 v6, v10, v185
	v_add_f32_e32 v8, 0, v148
	v_fmac_f32_e32 v206, v144, v188
	v_mul_f32_e32 v143, v9, v185
	v_add_f32_e32 v5, v5, v202
	v_fma_f32 v148, v9, v182, -v6
	v_add_f32_e32 v6, v8, v147
	s_waitcnt vmcnt(26)
	v_mul_f32_e32 v144, v11, v186
	v_mul_f32_e32 v7, v12, v186
	v_add_f32_e32 v5, v5, v203
	v_fmac_f32_e32 v143, v10, v182
	v_add_f32_e32 v6, v6, v145
	v_fmac_f32_e32 v144, v12, v181
	v_fma_f32 v166, v11, v181, -v7
	v_add_f32_e32 v5, v5, v204
	s_clause 0x7
	buffer_load_dword v181, off, s[0:3], 0 offset:396
	buffer_load_dword v182, off, s[0:3], 0 offset:404
	;; [unrolled: 1-line block ×8, first 2 shown]
	v_add_f32_e32 v6, v6, v146
	s_clause 0x1
	buffer_load_dword v204, off, s[0:3], 0 offset:428
	buffer_load_dword v208, off, s[0:3], 0 offset:436
	s_waitcnt vmcnt(35) lgkmcnt(0)
	v_mul_f32_e32 v145, v1, v178
	v_mul_f32_e32 v7, v2, v178
	v_add_f32_e32 v5, v5, v205
	s_waitcnt vmcnt(34)
	v_mul_f32_e32 v147, v3, v174
	s_clause 0x1
	buffer_load_dword v178, off, s[0:3], 0 offset:444
	buffer_load_dword v205, off, s[0:3], 0 offset:452
	v_fmac_f32_e32 v145, v2, v176
	v_fma_f32 v146, v1, v176, -v7
	v_add_f32_e32 v1, v6, v152
	v_add_f32_e32 v2, v5, v155
	s_clause 0x3
	buffer_load_dword v176, off, s[0:3], 0 offset:460
	buffer_load_dword v209, off, s[0:3], 0 offset:468
	;; [unrolled: 1-line block ×4, first 2 shown]
	s_waitcnt vmcnt(36)
	v_fmac_f32_e32 v147, v4, v187
	buffer_load_dword v212, off, s[0:3], 0 offset:492
	v_add_f32_e32 v1, v1, v150
	v_add_f32_e32 v5, v2, v154
	v_mul_f32_e32 v2, v4, v174
	buffer_load_dword v174, off, s[0:3], 0 offset:500
	v_add_f32_e32 v6, v1, v149
	v_add_f32_e32 v5, v5, v153
	v_fma_f32 v149, v3, v187, -v2
	ds_read_b128 v[1:4], v140 offset:816
	v_add_f32_e32 v6, v6, v163
	v_add_f32_e32 v5, v5, v151
	s_clause 0x3
	buffer_load_dword v163, off, s[0:3], 0 offset:448
	buffer_load_dword v187, off, s[0:3], 0 offset:440
	buffer_load_dword v213, off, s[0:3], 0 offset:432
	buffer_load_dword v214, off, s[0:3], 0 offset:424
	v_add_f32_e32 v6, v6, v156
	v_add_f32_e32 v5, v5, v191
	;; [unrolled: 1-line block ×4, first 2 shown]
	ds_read_b128 v[5:8], v140 offset:832
	v_add_f32_e32 v9, v9, v157
	v_add_f32_e32 v10, v10, v162
	s_waitcnt vmcnt(41) lgkmcnt(1)
	v_mul_f32_e32 v150, v1, v180
	v_mul_f32_e32 v11, v2, v180
	s_waitcnt vmcnt(40)
	v_mul_f32_e32 v152, v3, v189
	v_fmac_f32_e32 v150, v2, v179
	v_fma_f32 v151, v1, v179, -v11
	v_add_f32_e32 v1, v9, v159
	v_add_f32_e32 v2, v10, v161
	s_clause 0x3
	buffer_load_dword v159, off, s[0:3], 0 offset:480
	buffer_load_dword v160, off, s[0:3], 0 offset:472
	;; [unrolled: 1-line block ×4, first 2 shown]
	v_mul_f32_e32 v9, v4, v189
	v_fmac_f32_e32 v152, v4, v172
	v_add_f32_e32 v1, v1, v173
	s_clause 0x1
	buffer_load_dword v173, off, s[0:3], 0 offset:496
	buffer_load_dword v179, off, s[0:3], 0 offset:488
	v_add_f32_e32 v2, v2, v194
	s_waitcnt vmcnt(45) lgkmcnt(0)
	v_mul_f32_e32 v154, v5, v184
	s_waitcnt vmcnt(44)
	v_mul_f32_e32 v155, v7, v183
	v_add_f32_e32 v1, v1, v167
	buffer_load_dword v167, off, s[0:3], 0 offset:136
	v_add_f32_e32 v2, v2, v175
	v_fma_f32 v153, v3, v172, -v9
	v_fmac_f32_e32 v154, v6, v165
	v_add_f32_e32 v10, v1, v141
	s_waitcnt vmcnt(38)
	v_fmac_f32_e32 v155, v8, v199
	v_add_f32_e32 v141, v2, v206
	ds_read_b128 v[1:4], v140 offset:848
	v_add_f32_e32 v142, v10, v142
	ds_read_b128 v[9:12], v140 offset:864
	v_add_f32_e32 v141, v141, v143
	v_mul_f32_e32 v143, v6, v184
	v_add_f32_e32 v142, v142, v148
	v_mul_f32_e32 v148, v8, v183
	v_add_f32_e32 v157, v141, v144
	v_fma_f32 v156, v5, v165, -v143
	v_fma_f32 v158, v7, v199, -v148
	v_add_f32_e32 v148, v142, v166
	v_add_f32_e32 v145, v157, v145
	ds_read_b128 v[5:8], v140 offset:880
	ds_read_b128 v[141:144], v140 offset:896
	v_add_f32_e32 v146, v148, v146
	v_add_f32_e32 v145, v145, v147
	s_waitcnt lgkmcnt(3)
	v_mul_f32_e32 v165, v2, v171
	v_mul_f32_e32 v157, v1, v171
	v_mul_f32_e32 v148, v4, v168
	v_add_f32_e32 v146, v146, v149
	v_add_f32_e32 v150, v145, v150
	v_fma_f32 v165, v1, v198, -v165
	v_mul_f32_e32 v166, v3, v168
	v_fmac_f32_e32 v157, v2, v198
	v_add_f32_e32 v151, v146, v151
	v_add_f32_e32 v183, v150, v152
	s_waitcnt lgkmcnt(2)
	v_mul_f32_e32 v149, v10, v196
	v_fma_f32 v172, v3, v197, -v148
	v_mul_f32_e32 v168, v9, v196
	v_add_f32_e32 v153, v151, v153
	v_add_f32_e32 v154, v183, v154
	v_fmac_f32_e32 v166, v4, v197
	s_waitcnt vmcnt(37)
	v_mul_f32_e32 v175, v12, v200
	v_fma_f32 v180, v9, v195, -v149
	v_add_f32_e32 v153, v153, v156
	v_mul_f32_e32 v171, v11, v200
	v_fmac_f32_e32 v168, v10, v195
	ds_read_b128 v[1:4], v140 offset:912
	ds_read_b128 v[145:148], v140 offset:928
	v_add_f32_e32 v153, v153, v158
	v_add_f32_e32 v165, v153, v165
	;; [unrolled: 1-line block ×4, first 2 shown]
	s_waitcnt vmcnt(32)
	v_fma_f32 v175, v11, v193, -v175
	v_fmac_f32_e32 v171, v12, v193
	ds_read_b128 v[9:12], v140 offset:944
	ds_read_b128 v[149:152], v140 offset:960
	v_add_f32_e32 v165, v165, v175
	s_waitcnt vmcnt(31) lgkmcnt(5)
	v_mul_f32_e32 v183, v5, v169
	s_waitcnt vmcnt(30)
	v_mul_f32_e32 v184, v7, v170
	v_mul_f32_e32 v156, v6, v169
	;; [unrolled: 1-line block ×3, first 2 shown]
	s_waitcnt vmcnt(29) lgkmcnt(4)
	v_mul_f32_e32 v189, v142, v207
	v_fmac_f32_e32 v183, v6, v192
	v_add_f32_e32 v6, v154, v155
	v_fmac_f32_e32 v184, v8, v177
	v_fma_f32 v169, v7, v177, -v169
	v_fma_f32 v170, v5, v192, -v156
	v_add_f32_e32 v177, v6, v157
	ds_read_b128 v[5:8], v140 offset:976
	ds_read_b128 v[153:156], v140 offset:992
	ds_read_b64 v[157:158], v140 offset:1008
	v_add_f32_e32 v165, v165, v170
	v_add_f32_e32 v166, v177, v166
	v_mul_f32_e32 v177, v141, v207
	v_fma_f32 v141, v141, v164, -v189
	s_waitcnt vmcnt(28)
	v_mul_f32_e32 v172, v143, v181
	v_mul_f32_e32 v181, v144, v181
	v_add_f32_e32 v166, v166, v168
	v_fmac_f32_e32 v177, v142, v164
	v_add_f32_e32 v165, v165, v169
	s_waitcnt vmcnt(27) lgkmcnt(6)
	v_mul_f32_e32 v168, v1, v182
	v_mul_f32_e32 v175, v2, v182
	v_add_f32_e32 v164, v166, v171
	s_waitcnt vmcnt(21)
	v_fma_f32 v143, v143, v203, -v181
	v_add_f32_e32 v141, v165, v141
	v_fmac_f32_e32 v172, v144, v203
	v_mul_f32_e32 v169, v4, v185
	v_add_f32_e32 v164, v164, v183
	v_fmac_f32_e32 v168, v2, v202
	v_fma_f32 v1, v1, v202, -v175
	v_add_f32_e32 v2, v141, v143
	v_mul_f32_e32 v180, v3, v185
	v_add_f32_e32 v164, v164, v184
	s_waitcnt lgkmcnt(5)
	v_mul_f32_e32 v143, v146, v186
	v_fma_f32 v3, v3, v201, -v169
	v_add_f32_e32 v1, v2, v1
	v_mul_f32_e32 v142, v145, v186
	v_add_f32_e32 v164, v164, v177
	v_fmac_f32_e32 v180, v4, v201
	s_waitcnt vmcnt(20)
	v_mul_f32_e32 v4, v148, v204
	v_add_f32_e32 v1, v1, v3
	v_mul_f32_e32 v166, v147, v204
	v_add_f32_e32 v141, v164, v172
	v_fmac_f32_e32 v142, v146, v188
	s_waitcnt vmcnt(19) lgkmcnt(4)
	v_mul_f32_e32 v3, v10, v208
	v_mul_f32_e32 v171, v9, v208
	s_waitcnt vmcnt(18)
	v_mul_f32_e32 v144, v11, v178
	v_add_f32_e32 v2, v141, v168
	v_fma_f32 v141, v145, v188, -v143
	s_waitcnt vmcnt(7)
	v_fma_f32 v4, v147, v214, -v4
	v_fmac_f32_e32 v166, v148, v214
	v_fma_f32 v3, v9, v213, -v3
	v_add_f32_e32 v2, v2, v180
	v_add_f32_e32 v1, v1, v141
	v_mul_f32_e32 v141, v12, v178
	v_fmac_f32_e32 v171, v10, v213
	s_waitcnt lgkmcnt(3)
	v_mul_f32_e32 v181, v149, v205
	v_add_f32_e32 v2, v2, v142
	v_add_f32_e32 v1, v1, v4
	v_mul_f32_e32 v4, v150, v205
	v_fma_f32 v9, v11, v187, -v141
	v_fmac_f32_e32 v144, v12, v187
	v_add_f32_e32 v2, v2, v166
	v_add_f32_e32 v1, v1, v3
	v_mul_f32_e32 v3, v152, v176
	v_fma_f32 v4, v149, v163, -v4
	v_mul_f32_e32 v170, v151, v176
	v_add_f32_e32 v2, v2, v171
	v_add_f32_e32 v1, v1, v9
	v_fmac_f32_e32 v181, v150, v163
	s_waitcnt lgkmcnt(2)
	v_mul_f32_e32 v9, v6, v209
	v_mul_f32_e32 v182, v5, v209
	v_add_f32_e32 v2, v2, v144
	s_waitcnt vmcnt(3)
	v_fma_f32 v3, v151, v162, -v3
	v_add_f32_e32 v1, v1, v4
	v_fmac_f32_e32 v170, v152, v162
	v_mul_f32_e32 v4, v8, v210
	v_add_f32_e32 v2, v2, v181
	v_fma_f32 v5, v5, v161, -v9
	v_add_f32_e32 v1, v1, v3
	v_mul_f32_e32 v183, v7, v210
	v_fmac_f32_e32 v182, v6, v161
	v_add_f32_e32 v2, v2, v170
	s_waitcnt lgkmcnt(1)
	v_mul_f32_e32 v3, v154, v211
	v_fma_f32 v4, v7, v160, -v4
	v_add_f32_e32 v1, v1, v5
	v_mul_f32_e32 v184, v153, v211
	v_fmac_f32_e32 v183, v8, v160
	v_add_f32_e32 v2, v2, v182
	v_mul_f32_e32 v5, v156, v212
	v_fma_f32 v3, v153, v159, -v3
	v_add_f32_e32 v1, v1, v4
	v_mul_f32_e32 v185, v155, v212
	v_fmac_f32_e32 v184, v154, v159
	v_add_f32_e32 v2, v2, v183
	s_waitcnt lgkmcnt(0)
	v_mul_f32_e32 v4, v158, v174
	s_waitcnt vmcnt(1)
	v_fma_f32 v5, v155, v179, -v5
	v_add_f32_e32 v1, v1, v3
	v_mul_f32_e32 v165, v157, v174
	v_fmac_f32_e32 v185, v156, v179
	v_add_f32_e32 v2, v2, v184
	v_fma_f32 v3, v157, v173, -v4
	v_add_f32_e32 v1, v1, v5
	v_fmac_f32_e32 v165, v158, v173
	v_add_f32_e32 v2, v2, v185
	v_add_f32_e32 v1, v1, v3
	;; [unrolled: 1-line block ×3, first 2 shown]
	s_waitcnt vmcnt(0)
	v_sub_f32_e32 v1, v167, v1
	v_sub_f32_e32 v2, v190, v2
	buffer_store_dword v1, off, s[0:3], 0 offset:136
	buffer_store_dword v2, off, s[0:3], 0 offset:140
	v_cmpx_lt_u32_e32 16, v0
	s_cbranch_execz .LBB62_359
; %bb.358:
	s_clause 0x1
	buffer_load_dword v1, off, s[0:3], 0 offset:128
	buffer_load_dword v2, off, s[0:3], 0 offset:132
	buffer_store_dword v140, off, s[0:3], 0 offset:128
	buffer_store_dword v140, off, s[0:3], 0 offset:132
	s_waitcnt vmcnt(0)
	ds_write_b64 v139, v[1:2]
.LBB62_359:
	s_or_b32 exec_lo, exec_lo, s4
	s_waitcnt lgkmcnt(0)
	s_waitcnt_vscnt null, 0x0
	s_barrier
	buffer_gl0_inv
	s_clause 0x2c
	buffer_load_dword v181, off, s[0:3], 0 offset:140
	buffer_load_dword v182, off, s[0:3], 0 offset:148
	buffer_load_dword v9, off, s[0:3], 0 offset:152
	buffer_load_dword v142, off, s[0:3], 0 offset:144
	buffer_load_dword v143, off, s[0:3], 0 offset:136
	buffer_load_dword v12, off, s[0:3], 0 offset:156
	buffer_load_dword v11, off, s[0:3], 0 offset:164
	buffer_load_dword v10, off, s[0:3], 0 offset:172
	buffer_load_dword v141, off, s[0:3], 0 offset:180
	buffer_load_dword v144, off, s[0:3], 0 offset:184
	buffer_load_dword v146, off, s[0:3], 0 offset:176
	buffer_load_dword v148, off, s[0:3], 0 offset:168
	buffer_load_dword v149, off, s[0:3], 0 offset:160
	buffer_load_dword v147, off, s[0:3], 0 offset:188
	buffer_load_dword v145, off, s[0:3], 0 offset:196
	buffer_load_dword v150, off, s[0:3], 0 offset:204
	buffer_load_dword v151, off, s[0:3], 0 offset:212
	buffer_load_dword v152, off, s[0:3], 0 offset:216
	buffer_load_dword v154, off, s[0:3], 0 offset:208
	buffer_load_dword v156, off, s[0:3], 0 offset:200
	buffer_load_dword v157, off, s[0:3], 0 offset:192
	buffer_load_dword v155, off, s[0:3], 0 offset:220
	buffer_load_dword v153, off, s[0:3], 0 offset:228
	buffer_load_dword v158, off, s[0:3], 0 offset:236
	buffer_load_dword v159, off, s[0:3], 0 offset:244
	buffer_load_dword v160, off, s[0:3], 0 offset:248
	buffer_load_dword v163, off, s[0:3], 0 offset:240
	buffer_load_dword v165, off, s[0:3], 0 offset:232
	buffer_load_dword v166, off, s[0:3], 0 offset:224
	buffer_load_dword v161, off, s[0:3], 0 offset:252
	buffer_load_dword v162, off, s[0:3], 0 offset:260
	buffer_load_dword v167, off, s[0:3], 0 offset:268
	buffer_load_dword v168, off, s[0:3], 0 offset:280
	buffer_load_dword v169, off, s[0:3], 0 offset:272
	buffer_load_dword v172, off, s[0:3], 0 offset:264
	buffer_load_dword v174, off, s[0:3], 0 offset:256
	buffer_load_dword v173, off, s[0:3], 0 offset:276
	buffer_load_dword v170, off, s[0:3], 0 offset:284
	buffer_load_dword v171, off, s[0:3], 0 offset:292
	buffer_load_dword v164, off, s[0:3], 0 offset:312
	buffer_load_dword v176, off, s[0:3], 0 offset:304
	buffer_load_dword v177, off, s[0:3], 0 offset:296
	buffer_load_dword v180, off, s[0:3], 0 offset:288
	buffer_load_dword v178, off, s[0:3], 0 offset:300
	buffer_load_dword v179, off, s[0:3], 0 offset:308
	ds_read2_b64 v[5:8], v140 offset0:81 offset1:82
	buffer_load_dword v175, off, s[0:3], 0 offset:316
	ds_read2_b64 v[1:4], v140 offset0:83 offset1:84
	ds_read2_b64 v[191:194], v140 offset0:85 offset1:86
	s_clause 0x7
	buffer_load_dword v189, off, s[0:3], 0 offset:324
	buffer_load_dword v187, off, s[0:3], 0 offset:332
	;; [unrolled: 1-line block ×8, first 2 shown]
	ds_read2_b64 v[195:198], v140 offset0:87 offset1:88
	s_mov_b32 s4, exec_lo
	s_waitcnt vmcnt(53) lgkmcnt(3)
	v_mul_f32_e32 v199, v5, v181
	s_waitcnt vmcnt(52)
	v_mul_f32_e32 v200, v7, v182
	v_mul_f32_e32 v201, v6, v181
	;; [unrolled: 1-line block ×3, first 2 shown]
	buffer_load_dword v181, off, s[0:3], 0 offset:132
	s_waitcnt vmcnt(50)
	v_fmac_f32_e32 v199, v6, v143
	v_fmac_f32_e32 v200, v8, v142
	v_fma_f32 v201, v5, v143, -v201
	v_fma_f32 v182, v7, v142, -v182
	ds_read2_b64 v[5:8], v140 offset0:89 offset1:90
	s_waitcnt vmcnt(49) lgkmcnt(3)
	v_mul_f32_e32 v202, v1, v12
	v_mul_f32_e32 v12, v2, v12
	s_waitcnt vmcnt(48)
	v_mul_f32_e32 v203, v3, v11
	v_mul_f32_e32 v11, v4, v11
	s_waitcnt vmcnt(47) lgkmcnt(2)
	v_mul_f32_e32 v204, v191, v10
	v_fmac_f32_e32 v202, v2, v9
	v_fma_f32 v205, v1, v9, -v12
	s_waitcnt vmcnt(46)
	v_mul_f32_e32 v206, v193, v141
	v_mul_f32_e32 v9, v192, v10
	v_mul_f32_e32 v10, v194, v141
	s_waitcnt vmcnt(42)
	v_fmac_f32_e32 v203, v4, v149
	v_fma_f32 v149, v3, v149, -v11
	ds_read2_b64 v[1:4], v140 offset0:91 offset1:92
	v_fmac_f32_e32 v204, v192, v148
	v_fmac_f32_e32 v206, v194, v146
	v_fma_f32 v148, v191, v148, -v9
	v_fma_f32 v146, v193, v146, -v10
	ds_read2_b64 v[9:12], v140 offset0:93 offset1:94
	s_waitcnt vmcnt(41) lgkmcnt(3)
	v_mul_f32_e32 v191, v195, v147
	v_mul_f32_e32 v141, v196, v147
	s_waitcnt vmcnt(40)
	v_mul_f32_e32 v147, v197, v145
	v_mul_f32_e32 v142, v198, v145
	s_waitcnt vmcnt(39) lgkmcnt(2)
	v_mul_f32_e32 v145, v5, v150
	v_fmac_f32_e32 v191, v196, v144
	v_fma_f32 v192, v195, v144, -v141
	s_waitcnt vmcnt(34)
	v_fmac_f32_e32 v147, v198, v157
	v_fma_f32 v157, v197, v157, -v142
	ds_read2_b64 v[141:144], v140 offset0:95 offset1:96
	v_mul_f32_e32 v193, v7, v151
	v_mul_f32_e32 v150, v6, v150
	;; [unrolled: 1-line block ×3, first 2 shown]
	v_fmac_f32_e32 v145, v6, v156
	v_fmac_f32_e32 v193, v8, v154
	v_fma_f32 v150, v5, v156, -v150
	v_fma_f32 v151, v7, v154, -v151
	ds_read2_b64 v[5:8], v140 offset0:97 offset1:98
	s_waitcnt vmcnt(33) lgkmcnt(3)
	v_mul_f32_e32 v154, v1, v155
	v_mul_f32_e32 v155, v2, v155
	s_waitcnt vmcnt(32)
	v_mul_f32_e32 v156, v3, v153
	v_mul_f32_e32 v153, v4, v153
	s_waitcnt vmcnt(31) lgkmcnt(2)
	v_mul_f32_e32 v194, v9, v158
	v_fmac_f32_e32 v154, v2, v152
	v_fma_f32 v152, v1, v152, -v155
	s_waitcnt vmcnt(30)
	v_mul_f32_e32 v155, v11, v159
	v_mul_f32_e32 v159, v12, v159
	s_waitcnt vmcnt(26)
	v_fmac_f32_e32 v156, v4, v166
	v_fma_f32 v153, v3, v166, -v153
	ds_read2_b64 v[1:4], v140 offset0:99 offset1:100
	v_mul_f32_e32 v158, v10, v158
	v_fmac_f32_e32 v155, v12, v163
	v_fma_f32 v159, v11, v163, -v159
	s_waitcnt vmcnt(25) lgkmcnt(2)
	v_mul_f32_e32 v163, v141, v161
	v_mul_f32_e32 v161, v142, v161
	v_fmac_f32_e32 v194, v10, v165
	v_fma_f32 v158, v9, v165, -v158
	ds_read2_b64 v[9:12], v140 offset0:101 offset1:102
	v_fmac_f32_e32 v163, v142, v160
	v_fma_f32 v141, v141, v160, -v161
	s_clause 0x1
	buffer_load_dword v160, off, s[0:3], 0 offset:356
	buffer_load_dword v161, off, s[0:3], 0 offset:364
	s_waitcnt vmcnt(26)
	v_mul_f32_e32 v165, v143, v162
	v_mul_f32_e32 v162, v144, v162
	s_waitcnt vmcnt(25) lgkmcnt(2)
	v_mul_f32_e32 v166, v5, v167
	v_mul_f32_e32 v167, v6, v167
	s_waitcnt vmcnt(21)
	v_fmac_f32_e32 v165, v144, v174
	v_fma_f32 v142, v143, v174, -v162
	s_waitcnt vmcnt(20)
	v_mul_f32_e32 v143, v7, v173
	v_mul_f32_e32 v144, v8, v173
	v_fmac_f32_e32 v166, v6, v172
	v_fma_f32 v162, v5, v172, -v167
	s_clause 0x3
	buffer_load_dword v167, off, s[0:3], 0 offset:376
	buffer_load_dword v172, off, s[0:3], 0 offset:368
	;; [unrolled: 1-line block ×4, first 2 shown]
	v_fmac_f32_e32 v143, v8, v169
	v_fma_f32 v144, v7, v169, -v144
	s_waitcnt vmcnt(23) lgkmcnt(1)
	v_mul_f32_e32 v169, v1, v170
	s_waitcnt vmcnt(22)
	v_mul_f32_e32 v195, v3, v171
	v_mul_f32_e32 v5, v2, v170
	;; [unrolled: 1-line block ×3, first 2 shown]
	s_clause 0x1
	buffer_load_dword v170, off, s[0:3], 0 offset:372
	buffer_load_dword v171, off, s[0:3], 0 offset:380
	s_waitcnt vmcnt(18) lgkmcnt(0)
	v_mul_f32_e32 v198, v11, v179
	v_fmac_f32_e32 v195, v4, v180
	v_fmac_f32_e32 v169, v2, v168
	v_fma_f32 v180, v3, v180, -v6
	v_mul_f32_e32 v6, v12, v179
	v_fma_f32 v168, v1, v168, -v5
	v_mul_f32_e32 v197, v9, v178
	v_mul_f32_e32 v5, v10, v178
	v_fmac_f32_e32 v198, v12, v176
	v_fma_f32 v176, v11, v176, -v6
	v_add_f32_e32 v6, 0, v201
	v_fmac_f32_e32 v197, v10, v177
	v_fma_f32 v177, v9, v177, -v5
	v_add_f32_e32 v5, 0, v199
	buffer_load_dword v196, off, s[0:3], 0 offset:388
	v_add_f32_e32 v6, v6, v182
	ds_read2_b64 v[1:4], v140 offset0:103 offset1:104
	s_clause 0x3
	buffer_load_dword v178, off, s[0:3], 0 offset:408
	buffer_load_dword v179, off, s[0:3], 0 offset:400
	;; [unrolled: 1-line block ×4, first 2 shown]
	v_add_f32_e32 v5, v5, v200
	s_clause 0x2
	buffer_load_dword v200, off, s[0:3], 0 offset:396
	buffer_load_dword v182, off, s[0:3], 0 offset:404
	;; [unrolled: 1-line block ×3, first 2 shown]
	v_add_f32_e32 v6, v6, v205
	v_add_f32_e32 v5, v5, v202
	;; [unrolled: 1-line block ×4, first 2 shown]
	s_clause 0x2
	buffer_load_dword v202, off, s[0:3], 0 offset:420
	buffer_load_dword v203, off, s[0:3], 0 offset:428
	;; [unrolled: 1-line block ×3, first 2 shown]
	v_add_f32_e32 v6, v6, v148
	v_add_f32_e32 v5, v5, v204
	s_clause 0x2
	buffer_load_dword v204, off, s[0:3], 0 offset:444
	buffer_load_dword v208, off, s[0:3], 0 offset:452
	;; [unrolled: 1-line block ×3, first 2 shown]
	s_waitcnt vmcnt(31) lgkmcnt(0)
	v_mul_f32_e32 v149, v1, v175
	v_add_f32_e32 v6, v6, v146
	v_add_f32_e32 v5, v5, v206
	s_clause 0x2
	buffer_load_dword v206, off, s[0:3], 0 offset:468
	buffer_load_dword v210, off, s[0:3], 0 offset:476
	;; [unrolled: 1-line block ×3, first 2 shown]
	v_mul_f32_e32 v7, v2, v175
	v_add_f32_e32 v6, v6, v192
	v_add_f32_e32 v5, v5, v191
	s_clause 0x1
	buffer_load_dword v191, off, s[0:3], 0 offset:492
	buffer_load_dword v192, off, s[0:3], 0 offset:500
	v_fmac_f32_e32 v149, v2, v164
	v_add_f32_e32 v6, v6, v157
	s_clause 0x3
	buffer_load_dword v157, off, s[0:3], 0 offset:440
	buffer_load_dword v212, off, s[0:3], 0 offset:432
	;; [unrolled: 1-line block ×4, first 2 shown]
	v_add_f32_e32 v5, v5, v147
	v_add_f32_e32 v6, v6, v150
	v_fma_f32 v150, v1, v164, -v7
	v_add_f32_e32 v5, v5, v145
	v_add_f32_e32 v6, v6, v151
	;; [unrolled: 1-line block ×3, first 2 shown]
	s_clause 0x3
	buffer_load_dword v193, off, s[0:3], 0 offset:472
	buffer_load_dword v215, off, s[0:3], 0 offset:464
	;; [unrolled: 1-line block ×4, first 2 shown]
	v_add_f32_e32 v6, v6, v152
	v_add_f32_e32 v5, v5, v154
	;; [unrolled: 1-line block ×3, first 2 shown]
	s_waitcnt vmcnt(43)
	v_mul_f32_e32 v153, v3, v189
	v_add_f32_e32 v5, v5, v156
	v_add_f32_e32 v6, v6, v158
	s_waitcnt vmcnt(36)
	v_fmac_f32_e32 v153, v4, v190
	v_add_f32_e32 v5, v5, v194
	s_clause 0x3
	buffer_load_dword v194, off, s[0:3], 0 offset:496
	buffer_load_dword v218, off, s[0:3], 0 offset:488
	;; [unrolled: 1-line block ×4, first 2 shown]
	v_add_f32_e32 v6, v6, v159
	v_add_f32_e32 v5, v5, v155
	;; [unrolled: 1-line block ×4, first 2 shown]
	ds_read2_b64 v[5:8], v140 offset0:105 offset1:106
	v_add_f32_e32 v9, v1, v142
	v_mul_f32_e32 v1, v4, v189
	v_add_f32_e32 v10, v2, v165
	v_add_f32_e32 v141, v9, v162
	v_fma_f32 v154, v3, v190, -v1
	ds_read2_b64 v[1:4], v140 offset0:107 offset1:108
	v_add_f32_e32 v142, v10, v166
	ds_read2_b64 v[9:12], v140 offset0:109 offset1:110
	v_add_f32_e32 v141, v141, v144
	v_add_f32_e32 v142, v142, v143
	;; [unrolled: 1-line block ×3, first 2 shown]
	s_waitcnt lgkmcnt(2)
	v_mul_f32_e32 v144, v6, v187
	v_mul_f32_e32 v155, v5, v187
	v_mul_f32_e32 v159, v7, v186
	v_fma_f32 v156, v5, v188, -v144
	v_add_f32_e32 v5, v142, v169
	v_fmac_f32_e32 v155, v6, v188
	v_add_f32_e32 v6, v145, v180
	ds_read2_b64 v[141:144], v140 offset0:111 offset1:112
	s_waitcnt lgkmcnt(2)
	v_mul_f32_e32 v146, v2, v185
	v_add_f32_e32 v5, v5, v195
	v_mul_f32_e32 v162, v1, v185
	v_add_f32_e32 v6, v6, v177
	v_mul_f32_e32 v145, v8, v186
	v_fma_f32 v165, v1, v183, -v146
	v_add_f32_e32 v5, v5, v197
	v_fmac_f32_e32 v162, v2, v183
	v_add_f32_e32 v1, v6, v176
	v_fma_f32 v164, v7, v184, -v145
	v_fmac_f32_e32 v159, v8, v184
	v_add_f32_e32 v2, v5, v198
	ds_read2_b64 v[5:8], v140 offset0:113 offset1:114
	ds_read2_b64 v[145:148], v140 offset0:115 offset1:116
	s_waitcnt vmcnt(38)
	v_mul_f32_e32 v163, v3, v160
	v_mul_f32_e32 v151, v4, v160
	s_waitcnt vmcnt(37) lgkmcnt(3)
	v_mul_f32_e32 v160, v9, v161
	v_mul_f32_e32 v152, v10, v161
	s_waitcnt vmcnt(34)
	v_fmac_f32_e32 v160, v10, v173
	v_add_f32_e32 v10, v1, v150
	v_fma_f32 v166, v9, v173, -v152
	v_add_f32_e32 v9, v2, v149
	s_waitcnt vmcnt(33)
	v_fma_f32 v161, v3, v174, -v151
	v_fmac_f32_e32 v163, v4, v174
	v_add_f32_e32 v10, v10, v154
	s_waitcnt vmcnt(32)
	v_mul_f32_e32 v168, v11, v170
	v_add_f32_e32 v9, v9, v153
	s_waitcnt vmcnt(31) lgkmcnt(2)
	v_mul_f32_e32 v169, v141, v171
	v_mul_f32_e32 v153, v142, v171
	v_add_f32_e32 v10, v10, v156
	v_mul_f32_e32 v154, v12, v170
	v_fmac_f32_e32 v168, v12, v172
	v_fmac_f32_e32 v169, v142, v167
	v_fma_f32 v167, v141, v167, -v153
	v_add_f32_e32 v141, v9, v155
	v_add_f32_e32 v164, v10, v164
	v_fma_f32 v172, v11, v172, -v154
	ds_read2_b64 v[1:4], v140 offset0:117 offset1:118
	ds_read2_b64 v[149:152], v140 offset0:119 offset1:120
	;; [unrolled: 1-line block ×4, first 2 shown]
	v_add_f32_e32 v159, v141, v159
	v_add_f32_e32 v164, v164, v165
	s_waitcnt vmcnt(30)
	v_mul_f32_e32 v170, v143, v196
	v_mul_f32_e32 v171, v144, v196
	v_add_f32_e32 v159, v159, v162
	v_add_f32_e32 v161, v164, v161
	s_waitcnt vmcnt(26)
	v_fmac_f32_e32 v170, v144, v207
	v_fma_f32 v144, v143, v207, -v171
	s_waitcnt vmcnt(25) lgkmcnt(5)
	v_mul_f32_e32 v165, v6, v200
	v_add_f32_e32 v159, v159, v163
	v_add_f32_e32 v161, v161, v166
	v_mul_f32_e32 v171, v5, v200
	s_waitcnt vmcnt(24)
	v_mul_f32_e32 v173, v8, v182
	v_fma_f32 v5, v5, v199, -v165
	v_add_f32_e32 v159, v159, v160
	v_add_f32_e32 v161, v161, v172
	v_mul_f32_e32 v162, v7, v182
	v_fmac_f32_e32 v171, v6, v199
	v_fma_f32 v7, v7, v179, -v173
	v_add_f32_e32 v159, v159, v168
	v_add_f32_e32 v161, v161, v167
	s_waitcnt vmcnt(23) lgkmcnt(4)
	v_mul_f32_e32 v164, v145, v201
	v_fmac_f32_e32 v162, v8, v179
	s_waitcnt vmcnt(22)
	v_mul_f32_e32 v163, v147, v202
	v_add_f32_e32 v159, v159, v169
	v_add_f32_e32 v144, v161, v144
	v_mul_f32_e32 v161, v146, v201
	v_fmac_f32_e32 v164, v146, v178
	s_waitcnt vmcnt(21) lgkmcnt(3)
	v_mul_f32_e32 v174, v1, v203
	v_add_f32_e32 v159, v159, v170
	v_add_f32_e32 v5, v144, v5
	v_mul_f32_e32 v144, v148, v202
	v_fma_f32 v145, v145, v178, -v161
	s_waitcnt vmcnt(20)
	v_mul_f32_e32 v166, v3, v205
	v_add_f32_e32 v8, v159, v171
	v_add_f32_e32 v5, v5, v7
	s_waitcnt vmcnt(8)
	v_fma_f32 v144, v147, v214, -v144
	v_fmac_f32_e32 v163, v148, v214
	v_fmac_f32_e32 v174, v2, v213
	v_add_f32_e32 v7, v8, v162
	v_mul_f32_e32 v8, v2, v203
	v_add_f32_e32 v5, v5, v145
	v_mul_f32_e32 v145, v4, v205
	s_waitcnt lgkmcnt(2)
	v_mul_f32_e32 v160, v149, v204
	v_add_f32_e32 v7, v7, v164
	v_fma_f32 v1, v1, v213, -v8
	v_add_f32_e32 v2, v5, v144
	v_fma_f32 v3, v3, v212, -v145
	v_fmac_f32_e32 v166, v4, v212
	v_add_f32_e32 v5, v7, v163
	v_mul_f32_e32 v7, v150, v204
	v_add_f32_e32 v1, v2, v1
	v_mul_f32_e32 v4, v152, v208
	v_mul_f32_e32 v175, v151, v208
	v_add_f32_e32 v2, v5, v174
	v_fma_f32 v5, v149, v157, -v7
	v_add_f32_e32 v1, v1, v3
	v_fmac_f32_e32 v160, v150, v157
	ds_read2_b64 v[140:143], v140 offset0:125 offset1:126
	v_add_f32_e32 v2, v2, v166
	s_waitcnt lgkmcnt(2)
	v_mul_f32_e32 v3, v10, v209
	s_waitcnt vmcnt(4)
	v_fma_f32 v4, v151, v217, -v4
	v_add_f32_e32 v1, v1, v5
	v_mul_f32_e32 v172, v9, v209
	v_fmac_f32_e32 v175, v152, v217
	v_add_f32_e32 v2, v2, v160
	v_mul_f32_e32 v5, v12, v206
	v_fma_f32 v3, v9, v216, -v3
	v_add_f32_e32 v1, v1, v4
	v_mul_f32_e32 v168, v11, v206
	v_fmac_f32_e32 v172, v10, v216
	v_add_f32_e32 v2, v2, v175
	s_waitcnt lgkmcnt(1)
	v_mul_f32_e32 v4, v154, v210
	v_fma_f32 v5, v11, v215, -v5
	v_add_f32_e32 v1, v1, v3
	v_mul_f32_e32 v176, v153, v210
	v_fmac_f32_e32 v168, v12, v215
	v_add_f32_e32 v2, v2, v172
	v_mul_f32_e32 v3, v156, v211
	v_fma_f32 v4, v153, v193, -v4
	v_add_f32_e32 v1, v1, v5
	v_mul_f32_e32 v167, v155, v211
	v_fmac_f32_e32 v176, v154, v193
	v_add_f32_e32 v2, v2, v168
	s_waitcnt lgkmcnt(0)
	v_mul_f32_e32 v5, v141, v191
	s_waitcnt vmcnt(1)
	v_fma_f32 v3, v155, v219, -v3
	v_add_f32_e32 v1, v1, v4
	v_mul_f32_e32 v169, v140, v191
	v_fmac_f32_e32 v167, v156, v219
	v_add_f32_e32 v2, v2, v176
	v_mul_f32_e32 v4, v143, v192
	v_fma_f32 v5, v140, v218, -v5
	v_add_f32_e32 v1, v1, v3
	v_mul_f32_e32 v6, v142, v192
	v_fmac_f32_e32 v169, v141, v218
	v_add_f32_e32 v2, v2, v167
	v_fma_f32 v3, v142, v194, -v4
	v_add_f32_e32 v1, v1, v5
	v_fmac_f32_e32 v6, v143, v194
	v_add_f32_e32 v2, v2, v169
	v_add_f32_e32 v1, v1, v3
	;; [unrolled: 1-line block ×3, first 2 shown]
	s_waitcnt vmcnt(0)
	v_sub_f32_e32 v1, v158, v1
	v_sub_f32_e32 v2, v181, v2
	buffer_store_dword v1, off, s[0:3], 0 offset:128
	buffer_store_dword v2, off, s[0:3], 0 offset:132
	v_cmpx_lt_u32_e32 15, v0
	s_cbranch_execz .LBB62_361
; %bb.360:
	s_clause 0x1
	buffer_load_dword v1, off, s[0:3], 0 offset:120
	buffer_load_dword v2, off, s[0:3], 0 offset:124
	v_mov_b32_e32 v3, 0
	buffer_store_dword v3, off, s[0:3], 0 offset:120
	buffer_store_dword v3, off, s[0:3], 0 offset:124
	s_waitcnt vmcnt(0)
	ds_write_b64 v139, v[1:2]
.LBB62_361:
	s_or_b32 exec_lo, exec_lo, s4
	s_waitcnt lgkmcnt(0)
	s_waitcnt_vscnt null, 0x0
	s_barrier
	buffer_gl0_inv
	s_clause 0x2c
	buffer_load_dword v11, off, s[0:3], 0 offset:132
	buffer_load_dword v12, off, s[0:3], 0 offset:140
	;; [unrolled: 1-line block ×45, first 2 shown]
	v_mov_b32_e32 v9, 0
	ds_read_b128 v[5:8], v9 offset:640
	ds_read_b128 v[1:4], v9 offset:656
	s_clause 0x9
	buffer_load_dword v188, off, s[0:3], 0 offset:308
	buffer_load_dword v185, off, s[0:3], 0 offset:316
	;; [unrolled: 1-line block ×10, first 2 shown]
	ds_read_b128 v[192:195], v9 offset:672
	ds_read_b128 v[196:199], v9 offset:688
	s_mov_b32 s4, exec_lo
	s_waitcnt vmcnt(54) lgkmcnt(3)
	v_mul_f32_e32 v200, v5, v11
	v_mul_f32_e32 v11, v6, v11
	s_waitcnt vmcnt(53)
	v_mul_f32_e32 v201, v7, v12
	v_mul_f32_e32 v12, v8, v12
	s_waitcnt vmcnt(52) lgkmcnt(2)
	v_mul_f32_e32 v202, v1, v140
	s_waitcnt vmcnt(49)
	v_fmac_f32_e32 v200, v6, v143
	v_fma_f32 v11, v5, v143, -v11
	s_waitcnt vmcnt(48)
	v_mul_f32_e32 v203, v3, v142
	v_mul_f32_e32 v5, v2, v140
	;; [unrolled: 1-line block ×3, first 2 shown]
	v_fmac_f32_e32 v201, v8, v141
	s_waitcnt vmcnt(43) lgkmcnt(1)
	v_mul_f32_e32 v204, v192, v150
	v_mul_f32_e32 v140, v193, v150
	v_fma_f32 v12, v7, v141, -v12
	v_fmac_f32_e32 v202, v2, v10
	v_fmac_f32_e32 v203, v4, v151
	v_fma_f32 v10, v1, v10, -v5
	v_fma_f32 v151, v3, v151, -v6
	ds_read_b128 v[1:4], v9 offset:704
	ds_read_b128 v[5:8], v9 offset:720
	s_waitcnt vmcnt(42)
	v_mul_f32_e32 v150, v194, v149
	v_mul_f32_e32 v141, v195, v149
	s_waitcnt vmcnt(41) lgkmcnt(2)
	v_mul_f32_e32 v149, v196, v147
	v_fmac_f32_e32 v204, v193, v146
	v_fma_f32 v192, v192, v146, -v140
	s_waitcnt vmcnt(40)
	v_mul_f32_e32 v193, v198, v148
	v_mul_f32_e32 v140, v197, v147
	;; [unrolled: 1-line block ×3, first 2 shown]
	v_fmac_f32_e32 v150, v195, v145
	v_fma_f32 v148, v194, v145, -v141
	v_fmac_f32_e32 v149, v197, v144
	s_waitcnt vmcnt(36)
	v_fmac_f32_e32 v193, v199, v159
	v_fma_f32 v194, v196, v144, -v140
	v_fma_f32 v159, v198, v159, -v142
	ds_read_b128 v[140:143], v9 offset:736
	ds_read_b128 v[144:147], v9 offset:752
	s_waitcnt vmcnt(35) lgkmcnt(3)
	v_mul_f32_e32 v195, v1, v157
	s_waitcnt vmcnt(34)
	v_mul_f32_e32 v196, v3, v158
	v_mul_f32_e32 v157, v2, v157
	;; [unrolled: 1-line block ×3, first 2 shown]
	s_waitcnt vmcnt(33) lgkmcnt(2)
	v_mul_f32_e32 v197, v5, v156
	v_mul_f32_e32 v156, v6, v156
	v_fmac_f32_e32 v195, v2, v154
	v_fmac_f32_e32 v196, v4, v153
	v_fma_f32 v154, v1, v154, -v157
	v_fma_f32 v153, v3, v153, -v158
	s_clause 0x1
	buffer_load_dword v157, off, s[0:3], 0 offset:348
	buffer_load_dword v158, off, s[0:3], 0 offset:356
	s_waitcnt vmcnt(34)
	v_mul_f32_e32 v198, v7, v155
	v_mul_f32_e32 v155, v8, v155
	v_fmac_f32_e32 v197, v6, v152
	v_fma_f32 v152, v5, v152, -v156
	ds_read_b128 v[1:4], v9 offset:768
	s_waitcnt vmcnt(29) lgkmcnt(2)
	v_mul_f32_e32 v156, v140, v167
	v_mul_f32_e32 v5, v141, v167
	s_waitcnt vmcnt(28)
	v_mul_f32_e32 v6, v143, v168
	v_fmac_f32_e32 v198, v8, v170
	v_fma_f32 v155, v7, v170, -v155
	v_fmac_f32_e32 v156, v141, v162
	v_fma_f32 v140, v140, v162, -v5
	v_fma_f32 v141, v142, v161, -v6
	ds_read_b128 v[5:8], v9 offset:784
	v_mul_f32_e32 v170, v142, v168
	s_waitcnt vmcnt(27) lgkmcnt(2)
	v_mul_f32_e32 v167, v144, v164
	s_waitcnt vmcnt(26)
	v_mul_f32_e32 v168, v146, v165
	v_mul_f32_e32 v164, v145, v164
	;; [unrolled: 1-line block ×3, first 2 shown]
	v_fmac_f32_e32 v170, v143, v161
	v_fmac_f32_e32 v167, v145, v160
	s_waitcnt vmcnt(22)
	v_fmac_f32_e32 v168, v147, v183
	v_fma_f32 v142, v144, v160, -v164
	v_fma_f32 v143, v146, v183, -v165
	s_clause 0x5
	buffer_load_dword v160, off, s[0:3], 0 offset:364
	buffer_load_dword v161, off, s[0:3], 0 offset:372
	buffer_load_dword v162, off, s[0:3], 0 offset:368
	buffer_load_dword v164, off, s[0:3], 0 offset:360
	buffer_load_dword v165, off, s[0:3], 0 offset:352
	buffer_load_dword v183, off, s[0:3], 0 offset:344
	s_waitcnt vmcnt(27) lgkmcnt(1)
	v_mul_f32_e32 v144, v1, v178
	s_waitcnt vmcnt(26)
	v_mul_f32_e32 v145, v3, v179
	v_mul_f32_e32 v146, v2, v178
	;; [unrolled: 1-line block ×3, first 2 shown]
	v_add_f32_e32 v179, 0, v200
	v_fmac_f32_e32 v144, v2, v176
	v_fmac_f32_e32 v145, v4, v172
	v_fma_f32 v146, v1, v176, -v146
	v_fma_f32 v147, v3, v172, -v147
	ds_read_b128 v[1:4], v9 offset:800
	s_waitcnt vmcnt(25) lgkmcnt(1)
	v_mul_f32_e32 v172, v5, v173
	v_mul_f32_e32 v173, v6, v173
	buffer_load_dword v178, off, s[0:3], 0 offset:380
	s_waitcnt vmcnt(25)
	v_mul_f32_e32 v176, v7, v174
	v_mul_f32_e32 v174, v8, v174
	v_fmac_f32_e32 v172, v6, v171
	v_add_f32_e32 v6, 0, v11
	v_add_f32_e32 v11, v179, v201
	v_fma_f32 v171, v5, v171, -v173
	s_waitcnt vmcnt(21)
	v_fmac_f32_e32 v176, v8, v190
	v_fma_f32 v173, v7, v190, -v174
	v_add_f32_e32 v5, v6, v12
	v_add_f32_e32 v11, v11, v202
	s_clause 0x4
	buffer_load_dword v12, off, s[0:3], 0 offset:400
	buffer_load_dword v174, off, s[0:3], 0 offset:392
	;; [unrolled: 1-line block ×5, first 2 shown]
	v_add_f32_e32 v10, v5, v10
	v_add_f32_e32 v11, v11, v203
	ds_read_b128 v[5:8], v9 offset:816
	s_waitcnt vmcnt(25) lgkmcnt(1)
	v_mul_f32_e32 v200, v1, v189
	v_mul_f32_e32 v189, v2, v189
	v_add_f32_e32 v10, v10, v151
	v_add_f32_e32 v11, v11, v204
	s_clause 0x1
	buffer_load_dword v201, off, s[0:3], 0 offset:396
	buffer_load_dword v202, off, s[0:3], 0 offset:404
	v_fmac_f32_e32 v200, v2, v186
	v_fma_f32 v151, v1, v186, -v189
	v_add_f32_e32 v1, v10, v192
	v_add_f32_e32 v2, v11, v150
	buffer_load_dword v203, off, s[0:3], 0 offset:412
	s_waitcnt vmcnt(27)
	v_mul_f32_e32 v186, v3, v184
	v_mul_f32_e32 v10, v4, v184
	v_add_f32_e32 v1, v1, v148
	v_add_f32_e32 v2, v2, v149
	s_clause 0x2
	buffer_load_dword v189, off, s[0:3], 0 offset:420
	buffer_load_dword v192, off, s[0:3], 0 offset:428
	;; [unrolled: 1-line block ×3, first 2 shown]
	v_fmac_f32_e32 v186, v4, v180
	v_fma_f32 v10, v3, v180, -v10
	v_add_f32_e32 v2, v2, v193
	s_clause 0x1
	buffer_load_dword v180, off, s[0:3], 0 offset:444
	buffer_load_dword v204, off, s[0:3], 0 offset:452
	v_add_f32_e32 v1, v1, v194
	s_clause 0x2
	buffer_load_dword v193, off, s[0:3], 0 offset:460
	buffer_load_dword v194, off, s[0:3], 0 offset:468
	;; [unrolled: 1-line block ×3, first 2 shown]
	s_waitcnt vmcnt(34) lgkmcnt(0)
	v_mul_f32_e32 v11, v5, v188
	v_add_f32_e32 v2, v2, v195
	s_clause 0x2
	buffer_load_dword v195, off, s[0:3], 0 offset:484
	buffer_load_dword v206, off, s[0:3], 0 offset:492
	;; [unrolled: 1-line block ×3, first 2 shown]
	v_add_f32_e32 v1, v1, v159
	v_mul_f32_e32 v3, v6, v188
	v_fmac_f32_e32 v11, v6, v163
	v_add_f32_e32 v2, v2, v196
	s_clause 0x3
	buffer_load_dword v196, off, s[0:3], 0 offset:432
	buffer_load_dword v208, off, s[0:3], 0 offset:424
	;; [unrolled: 1-line block ×4, first 2 shown]
	v_add_f32_e32 v1, v1, v154
	v_fma_f32 v148, v5, v163, -v3
	v_add_f32_e32 v2, v2, v197
	v_add_f32_e32 v1, v1, v153
	;; [unrolled: 1-line block ×3, first 2 shown]
	s_clause 0x3
	buffer_load_dword v197, off, s[0:3], 0 offset:464
	buffer_load_dword v198, off, s[0:3], 0 offset:456
	;; [unrolled: 1-line block ×4, first 2 shown]
	v_add_f32_e32 v1, v1, v152
	s_waitcnt vmcnt(44)
	v_mul_f32_e32 v152, v7, v185
	v_add_f32_e32 v2, v2, v156
	v_add_f32_e32 v1, v1, v155
	s_waitcnt vmcnt(37)
	v_fmac_f32_e32 v152, v8, v187
	v_add_f32_e32 v2, v2, v170
	s_clause 0x4
	buffer_load_dword v170, off, s[0:3], 0 offset:496
	buffer_load_dword v213, off, s[0:3], 0 offset:488
	;; [unrolled: 1-line block ×5, first 2 shown]
	v_add_f32_e32 v1, v1, v140
	v_add_f32_e32 v2, v2, v167
	;; [unrolled: 1-line block ×6, first 2 shown]
	v_mul_f32_e32 v5, v8, v185
	v_add_f32_e32 v6, v1, v143
	ds_read_b128 v[1:4], v9 offset:832
	v_add_f32_e32 v144, v140, v145
	v_fma_f32 v153, v7, v187, -v5
	v_add_f32_e32 v141, v6, v146
	ds_read_b128 v[5:8], v9 offset:848
	v_add_f32_e32 v144, v144, v172
	v_add_f32_e32 v145, v141, v147
	ds_read_b128 v[140:143], v9 offset:864
	v_add_f32_e32 v149, v144, v176
	v_add_f32_e32 v145, v145, v171
	s_waitcnt lgkmcnt(2)
	v_mul_f32_e32 v146, v2, v181
	v_mul_f32_e32 v156, v1, v181
	;; [unrolled: 1-line block ×3, first 2 shown]
	v_fma_f32 v159, v1, v182, -v146
	v_add_f32_e32 v1, v145, v173
	v_fmac_f32_e32 v156, v2, v182
	v_add_f32_e32 v2, v149, v200
	s_waitcnt lgkmcnt(1)
	v_mul_f32_e32 v167, v5, v175
	v_mul_f32_e32 v150, v6, v175
	v_add_f32_e32 v1, v1, v151
	ds_read_b128 v[144:147], v9 offset:880
	v_add_f32_e32 v2, v2, v186
	v_fmac_f32_e32 v167, v6, v166
	v_fma_f32 v166, v5, v166, -v150
	v_add_f32_e32 v1, v1, v10
	v_mul_f32_e32 v149, v4, v177
	v_add_f32_e32 v5, v2, v11
	v_fmac_f32_e32 v163, v4, v169
	v_add_f32_e32 v6, v1, v148
	v_fma_f32 v10, v3, v169, -v149
	ds_read_b128 v[1:4], v9 offset:896
	ds_read_b128 v[148:151], v9 offset:912
	s_waitcnt vmcnt(40)
	v_mul_f32_e32 v154, v8, v157
	s_waitcnt vmcnt(39) lgkmcnt(3)
	v_mul_f32_e32 v171, v140, v158
	v_mul_f32_e32 v11, v141, v158
	v_mul_f32_e32 v168, v7, v157
	s_waitcnt vmcnt(38)
	v_mul_f32_e32 v172, v142, v160
	s_waitcnt vmcnt(34)
	v_fmac_f32_e32 v171, v141, v165
	v_fma_f32 v165, v140, v165, -v11
	v_add_f32_e32 v11, v6, v153
	v_add_f32_e32 v141, v5, v152
	s_waitcnt vmcnt(33)
	v_fma_f32 v169, v7, v183, -v154
	v_fmac_f32_e32 v168, v8, v183
	v_fmac_f32_e32 v172, v143, v164
	v_add_f32_e32 v11, v11, v159
	v_add_f32_e32 v140, v141, v156
	v_mul_f32_e32 v141, v143, v160
	s_waitcnt lgkmcnt(2)
	v_mul_f32_e32 v160, v144, v161
	v_mul_f32_e32 v156, v145, v161
	v_add_f32_e32 v10, v11, v10
	v_add_f32_e32 v140, v140, v163
	v_fma_f32 v164, v142, v164, -v141
	s_waitcnt vmcnt(32)
	v_mul_f32_e32 v161, v147, v178
	v_fmac_f32_e32 v160, v145, v162
	v_add_f32_e32 v166, v10, v166
	v_add_f32_e32 v167, v140, v167
	v_fma_f32 v162, v144, v162, -v156
	v_mul_f32_e32 v163, v146, v178
	ds_read_b128 v[5:8], v9 offset:928
	ds_read_b128 v[152:155], v9 offset:944
	v_add_f32_e32 v166, v166, v169
	v_add_f32_e32 v167, v167, v168
	s_waitcnt vmcnt(28)
	v_fma_f32 v161, v146, v190, -v161
	s_waitcnt vmcnt(27) lgkmcnt(3)
	v_mul_f32_e32 v173, v2, v199
	v_fmac_f32_e32 v163, v147, v190
	v_add_f32_e32 v165, v166, v165
	v_add_f32_e32 v167, v167, v171
	v_mul_f32_e32 v168, v1, v199
	v_fma_f32 v1, v1, v179, -v173
	ds_read_b128 v[140:143], v9 offset:960
	ds_read_b128 v[156:159], v9 offset:976
	v_add_f32_e32 v164, v165, v164
	v_add_f32_e32 v167, v167, v172
	s_waitcnt vmcnt(26)
	v_mul_f32_e32 v175, v4, v201
	v_mul_f32_e32 v169, v3, v201
	v_fmac_f32_e32 v168, v2, v179
	v_add_f32_e32 v162, v164, v162
	v_add_f32_e32 v160, v167, v160
	s_waitcnt vmcnt(25) lgkmcnt(4)
	v_mul_f32_e32 v171, v148, v202
	v_mul_f32_e32 v173, v149, v202
	v_fma_f32 v3, v3, v174, -v175
	v_add_f32_e32 v161, v162, v161
	v_add_f32_e32 v160, v160, v163
	v_fmac_f32_e32 v169, v4, v174
	s_waitcnt vmcnt(24)
	v_mul_f32_e32 v162, v151, v203
	v_fmac_f32_e32 v171, v149, v12
	v_add_f32_e32 v1, v161, v1
	v_add_f32_e32 v160, v160, v168
	v_fma_f32 v12, v148, v12, -v173
	v_mul_f32_e32 v166, v150, v203
	s_waitcnt vmcnt(23) lgkmcnt(3)
	v_mul_f32_e32 v148, v6, v189
	v_add_f32_e32 v1, v1, v3
	v_add_f32_e32 v3, v160, v169
	v_mul_f32_e32 v2, v5, v189
	s_waitcnt vmcnt(22)
	v_mul_f32_e32 v172, v7, v192
	s_waitcnt vmcnt(21) lgkmcnt(2)
	v_mul_f32_e32 v165, v152, v184
	v_add_f32_e32 v1, v1, v12
	v_add_f32_e32 v3, v3, v171
	v_mul_f32_e32 v12, v8, v192
	s_waitcnt vmcnt(9)
	v_fma_f32 v149, v150, v210, -v162
	v_fmac_f32_e32 v166, v151, v210
	v_fma_f32 v5, v5, v209, -v148
	v_fmac_f32_e32 v2, v6, v209
	v_mul_f32_e32 v6, v153, v184
	v_add_f32_e32 v1, v1, v149
	v_add_f32_e32 v3, v3, v166
	v_fma_f32 v7, v7, v208, -v12
	v_fmac_f32_e32 v172, v8, v208
	v_mul_f32_e32 v4, v154, v180
	v_add_f32_e32 v1, v1, v5
	v_add_f32_e32 v2, v3, v2
	v_mul_f32_e32 v3, v155, v180
	v_fma_f32 v5, v152, v196, -v6
	v_fmac_f32_e32 v165, v153, v196
	v_add_f32_e32 v1, v1, v7
	v_add_f32_e32 v2, v2, v172
	s_waitcnt lgkmcnt(1)
	v_mul_f32_e32 v6, v141, v204
	s_waitcnt vmcnt(5)
	v_fma_f32 v3, v154, v212, -v3
	ds_read_b128 v[144:147], v9 offset:992
	ds_read_b64 v[10:11], v9 offset:1008
	v_add_f32_e32 v1, v1, v5
	v_mul_f32_e32 v174, v140, v204
	v_fmac_f32_e32 v4, v155, v212
	v_add_f32_e32 v2, v2, v165
	v_mul_f32_e32 v5, v143, v193
	v_fma_f32 v6, v140, v211, -v6
	v_add_f32_e32 v1, v1, v3
	v_mul_f32_e32 v164, v142, v193
	v_fmac_f32_e32 v174, v141, v211
	v_add_f32_e32 v2, v2, v4
	s_waitcnt lgkmcnt(2)
	v_mul_f32_e32 v3, v157, v194
	v_fma_f32 v4, v142, v198, -v5
	v_add_f32_e32 v1, v1, v6
	v_mul_f32_e32 v167, v156, v194
	v_fmac_f32_e32 v164, v143, v198
	v_add_f32_e32 v2, v2, v174
	v_mul_f32_e32 v5, v159, v205
	v_fma_f32 v3, v156, v197, -v3
	v_add_f32_e32 v1, v1, v4
	v_mul_f32_e32 v175, v158, v205
	v_fmac_f32_e32 v167, v157, v197
	v_add_f32_e32 v2, v2, v164
	s_waitcnt lgkmcnt(1)
	v_mul_f32_e32 v4, v145, v195
	s_waitcnt vmcnt(1)
	v_fma_f32 v5, v158, v215, -v5
	v_add_f32_e32 v1, v1, v3
	v_mul_f32_e32 v163, v144, v195
	v_fmac_f32_e32 v175, v159, v215
	v_add_f32_e32 v2, v2, v167
	v_mul_f32_e32 v3, v147, v206
	v_fma_f32 v4, v144, v214, -v4
	v_add_f32_e32 v1, v1, v5
	v_mul_f32_e32 v176, v146, v206
	v_fmac_f32_e32 v163, v145, v214
	v_add_f32_e32 v2, v2, v175
	s_waitcnt lgkmcnt(0)
	v_mul_f32_e32 v5, v11, v207
	v_fma_f32 v3, v146, v213, -v3
	v_add_f32_e32 v1, v1, v4
	v_mul_f32_e32 v161, v10, v207
	v_fmac_f32_e32 v176, v147, v213
	v_add_f32_e32 v2, v2, v163
	v_fma_f32 v4, v10, v170, -v5
	v_add_f32_e32 v1, v1, v3
	v_fmac_f32_e32 v161, v11, v170
	v_add_f32_e32 v2, v2, v176
	v_add_f32_e32 v1, v1, v4
	;; [unrolled: 1-line block ×3, first 2 shown]
	s_waitcnt vmcnt(0)
	v_sub_f32_e32 v1, v216, v1
	v_sub_f32_e32 v2, v191, v2
	buffer_store_dword v1, off, s[0:3], 0 offset:120
	buffer_store_dword v2, off, s[0:3], 0 offset:124
	v_cmpx_lt_u32_e32 14, v0
	s_cbranch_execz .LBB62_363
; %bb.362:
	s_clause 0x1
	buffer_load_dword v1, off, s[0:3], 0 offset:112
	buffer_load_dword v2, off, s[0:3], 0 offset:116
	buffer_store_dword v9, off, s[0:3], 0 offset:112
	buffer_store_dword v9, off, s[0:3], 0 offset:116
	s_waitcnt vmcnt(0)
	ds_write_b64 v139, v[1:2]
.LBB62_363:
	s_or_b32 exec_lo, exec_lo, s4
	s_waitcnt lgkmcnt(0)
	s_waitcnt_vscnt null, 0x0
	s_barrier
	buffer_gl0_inv
	s_clause 0x33
	buffer_load_dword v174, off, s[0:3], 0 offset:124
	buffer_load_dword v175, off, s[0:3], 0 offset:132
	;; [unrolled: 1-line block ×52, first 2 shown]
	ds_read2_b64 v[183:186], v9 offset0:79 offset1:80
	ds_read2_b64 v[187:190], v9 offset0:81 offset1:82
	ds_read2_b64 v[191:194], v9 offset0:83 offset1:84
	s_clause 0x1
	buffer_load_dword v180, off, s[0:3], 0 offset:316
	buffer_load_dword v181, off, s[0:3], 0 offset:324
	ds_read2_b64 v[195:198], v9 offset0:85 offset1:86
	s_mov_b32 s4, exec_lo
	s_waitcnt vmcnt(53) lgkmcnt(3)
	v_mul_f32_e32 v199, v183, v174
	v_mul_f32_e32 v200, v184, v174
	s_waitcnt vmcnt(52)
	v_mul_f32_e32 v201, v185, v175
	v_mul_f32_e32 v175, v186, v175
	buffer_load_dword v174, off, s[0:3], 0 offset:116
	s_waitcnt vmcnt(50)
	v_fmac_f32_e32 v199, v184, v7
	v_fma_f32 v200, v183, v7, -v200
	v_fmac_f32_e32 v201, v186, v5
	v_fma_f32 v175, v185, v5, -v175
	ds_read2_b64 v[183:186], v9 offset0:87 offset1:88
	s_waitcnt vmcnt(49) lgkmcnt(3)
	v_mul_f32_e32 v202, v187, v2
	s_waitcnt vmcnt(48)
	v_mul_f32_e32 v203, v189, v3
	v_mul_f32_e32 v2, v188, v2
	;; [unrolled: 1-line block ×3, first 2 shown]
	s_waitcnt vmcnt(47) lgkmcnt(2)
	v_mul_f32_e32 v204, v191, v6
	v_mul_f32_e32 v5, v192, v6
	v_fmac_f32_e32 v202, v188, v1
	v_fma_f32 v205, v187, v1, -v2
	s_waitcnt vmcnt(46)
	v_mul_f32_e32 v206, v193, v4
	v_mul_f32_e32 v6, v194, v4
	s_waitcnt vmcnt(42)
	v_fma_f32 v207, v189, v141, -v3
	ds_read2_b64 v[1:4], v9 offset0:89 offset1:90
	v_fmac_f32_e32 v203, v190, v141
	v_fmac_f32_e32 v204, v192, v140
	v_fma_f32 v191, v191, v140, -v5
	v_fmac_f32_e32 v206, v194, v11
	v_fma_f32 v11, v193, v11, -v6
	ds_read2_b64 v[187:190], v9 offset0:91 offset1:92
	s_waitcnt vmcnt(41) lgkmcnt(3)
	v_mul_f32_e32 v192, v195, v12
	v_mul_f32_e32 v5, v196, v12
	s_waitcnt vmcnt(40)
	v_mul_f32_e32 v12, v197, v10
	v_mul_f32_e32 v6, v198, v10
	s_waitcnt vmcnt(39) lgkmcnt(2)
	v_mul_f32_e32 v10, v183, v142
	v_fmac_f32_e32 v192, v196, v8
	v_fma_f32 v193, v195, v8, -v5
	v_mul_f32_e32 v140, v184, v142
	s_waitcnt vmcnt(38)
	v_mul_f32_e32 v141, v186, v143
	s_waitcnt vmcnt(34)
	v_fmac_f32_e32 v12, v198, v149
	v_fma_f32 v149, v197, v149, -v6
	ds_read2_b64 v[5:8], v9 offset0:93 offset1:94
	v_mul_f32_e32 v194, v185, v143
	v_fmac_f32_e32 v10, v184, v148
	v_fma_f32 v148, v183, v148, -v140
	v_fma_f32 v183, v185, v146, -v141
	ds_read2_b64 v[140:143], v9 offset0:95 offset1:96
	v_fmac_f32_e32 v194, v186, v146
	s_waitcnt vmcnt(33) lgkmcnt(3)
	v_mul_f32_e32 v184, v1, v147
	v_mul_f32_e32 v146, v2, v147
	s_waitcnt vmcnt(32)
	v_mul_f32_e32 v185, v3, v145
	v_mul_f32_e32 v145, v4, v145
	s_waitcnt vmcnt(31) lgkmcnt(2)
	v_mul_f32_e32 v186, v187, v150
	v_fmac_f32_e32 v184, v2, v144
	v_fma_f32 v195, v1, v144, -v146
	v_mul_f32_e32 v144, v188, v150
	s_waitcnt vmcnt(30)
	v_mul_f32_e32 v196, v189, v151
	v_mul_f32_e32 v146, v190, v151
	s_waitcnt vmcnt(26)
	v_fmac_f32_e32 v185, v4, v157
	v_fma_f32 v150, v3, v157, -v145
	ds_read2_b64 v[1:4], v9 offset0:97 offset1:98
	v_fmac_f32_e32 v186, v188, v156
	v_fma_f32 v151, v187, v156, -v144
	s_waitcnt vmcnt(25) lgkmcnt(2)
	v_mul_f32_e32 v156, v5, v155
	v_fmac_f32_e32 v196, v190, v154
	v_fma_f32 v154, v189, v154, -v146
	ds_read2_b64 v[144:147], v9 offset0:99 offset1:100
	v_mul_f32_e32 v155, v6, v155
	s_waitcnt vmcnt(24)
	v_mul_f32_e32 v157, v7, v153
	v_mul_f32_e32 v153, v8, v153
	s_waitcnt vmcnt(23) lgkmcnt(2)
	v_mul_f32_e32 v187, v140, v158
	v_fmac_f32_e32 v156, v6, v152
	v_mul_f32_e32 v6, v141, v158
	v_fma_f32 v5, v5, v152, -v155
	s_waitcnt vmcnt(22)
	v_mul_f32_e32 v152, v142, v159
	v_mul_f32_e32 v155, v143, v159
	s_waitcnt vmcnt(18)
	v_fmac_f32_e32 v157, v8, v166
	v_fma_f32 v7, v7, v166, -v153
	v_fmac_f32_e32 v187, v141, v165
	v_fma_f32 v6, v140, v165, -v6
	s_clause 0x5
	buffer_load_dword v153, off, s[0:3], 0 offset:340
	buffer_load_dword v158, off, s[0:3], 0 offset:344
	;; [unrolled: 1-line block ×6, first 2 shown]
	v_fma_f32 v140, v142, v161, -v155
	s_waitcnt vmcnt(23) lgkmcnt(1)
	v_mul_f32_e32 v141, v1, v162
	s_waitcnt vmcnt(22)
	v_mul_f32_e32 v155, v3, v163
	v_mul_f32_e32 v8, v2, v162
	;; [unrolled: 1-line block ×3, first 2 shown]
	v_fmac_f32_e32 v152, v143, v161
	v_fmac_f32_e32 v141, v2, v160
	s_waitcnt vmcnt(18)
	v_fmac_f32_e32 v155, v4, v173
	v_fma_f32 v143, v1, v160, -v8
	v_fma_f32 v160, v3, v173, -v142
	s_waitcnt vmcnt(17) lgkmcnt(0)
	v_mul_f32_e32 v173, v144, v171
	v_mul_f32_e32 v8, v145, v171
	s_clause 0x1
	buffer_load_dword v161, off, s[0:3], 0 offset:356
	buffer_load_dword v162, off, s[0:3], 0 offset:364
	ds_read2_b64 v[1:4], v9 offset0:101 offset1:102
	buffer_load_dword v163, off, s[0:3], 0 offset:372
	s_waitcnt vmcnt(19)
	v_mul_f32_e32 v189, v146, v172
	v_mul_f32_e32 v142, v147, v172
	v_fmac_f32_e32 v173, v145, v170
	v_fma_f32 v144, v144, v170, -v8
	s_clause 0x5
	buffer_load_dword v170, off, s[0:3], 0 offset:392
	buffer_load_dword v171, off, s[0:3], 0 offset:384
	buffer_load_dword v172, off, s[0:3], 0 offset:376
	buffer_load_dword v190, off, s[0:3], 0 offset:368
	buffer_load_dword v197, off, s[0:3], 0 offset:380
	buffer_load_dword v198, off, s[0:3], 0 offset:388
	v_fmac_f32_e32 v189, v147, v169
	v_fma_f32 v169, v146, v169, -v142
	v_add_f32_e32 v8, 0, v199
	v_add_f32_e32 v142, 0, v200
	;; [unrolled: 1-line block ×4, first 2 shown]
	buffer_load_dword v175, off, s[0:3], 0 offset:396
	s_waitcnt vmcnt(25) lgkmcnt(0)
	v_mul_f32_e32 v145, v2, v168
	v_add_f32_e32 v8, v8, v202
	v_add_f32_e32 v142, v142, v205
	s_waitcnt vmcnt(24)
	v_mul_f32_e32 v146, v4, v167
	s_clause 0x3
	buffer_load_dword v199, off, s[0:3], 0 offset:404
	buffer_load_dword v200, off, s[0:3], 0 offset:412
	;; [unrolled: 1-line block ×4, first 2 shown]
	v_add_f32_e32 v8, v8, v203
	v_add_f32_e32 v142, v142, v207
	v_mul_f32_e32 v203, v1, v168
	v_mul_f32_e32 v168, v3, v167
	v_add_f32_e32 v8, v8, v204
	v_add_f32_e32 v142, v142, v191
	v_fmac_f32_e32 v203, v2, v164
	v_fma_f32 v164, v1, v164, -v145
	s_clause 0x3
	buffer_load_dword v167, off, s[0:3], 0 offset:436
	buffer_load_dword v191, off, s[0:3], 0 offset:444
	;; [unrolled: 1-line block ×4, first 2 shown]
	v_add_f32_e32 v1, v8, v206
	v_add_f32_e32 v2, v142, v11
	s_waitcnt vmcnt(27)
	v_fmac_f32_e32 v168, v4, v182
	v_fma_f32 v11, v3, v182, -v146
	s_clause 0x1
	buffer_load_dword v182, off, s[0:3], 0 offset:468
	buffer_load_dword v206, off, s[0:3], 0 offset:476
	v_add_f32_e32 v1, v1, v192
	v_add_f32_e32 v2, v2, v193
	s_clause 0x6
	buffer_load_dword v192, off, s[0:3], 0 offset:484
	buffer_load_dword v193, off, s[0:3], 0 offset:492
	;; [unrolled: 1-line block ×7, first 2 shown]
	v_add_f32_e32 v1, v1, v12
	v_add_f32_e32 v2, v2, v149
	;; [unrolled: 1-line block ×6, first 2 shown]
	s_clause 0x3
	buffer_load_dword v183, off, s[0:3], 0 offset:456
	buffer_load_dword v194, off, s[0:3], 0 offset:448
	;; [unrolled: 1-line block ×4, first 2 shown]
	v_add_f32_e32 v1, v1, v184
	v_add_f32_e32 v2, v2, v195
	;; [unrolled: 1-line block ×3, first 2 shown]
	s_clause 0x4
	buffer_load_dword v184, off, s[0:3], 0 offset:488
	buffer_load_dword v185, off, s[0:3], 0 offset:480
	;; [unrolled: 1-line block ×5, first 2 shown]
	v_add_f32_e32 v2, v2, v150
	v_add_f32_e32 v1, v1, v186
	buffer_load_dword v186, off, s[0:3], 0 offset:496
	v_add_f32_e32 v2, v2, v151
	v_add_f32_e32 v1, v1, v196
	;; [unrolled: 1-line block ×5, first 2 shown]
	ds_read2_b64 v[1:4], v9 offset0:103 offset1:104
	v_add_f32_e32 v5, v5, v7
	v_add_f32_e32 v7, v8, v157
	;; [unrolled: 1-line block ×4, first 2 shown]
	ds_read2_b64 v[5:8], v9 offset0:105 offset1:106
	v_add_f32_e32 v10, v10, v140
	v_add_f32_e32 v12, v12, v152
	;; [unrolled: 1-line block ×4, first 2 shown]
	s_waitcnt vmcnt(44) lgkmcnt(1)
	v_mul_f32_e32 v156, v3, v181
	v_mul_f32_e32 v142, v4, v181
	v_mul_f32_e32 v154, v1, v180
	v_add_f32_e32 v10, v10, v160
	v_add_f32_e32 v12, v12, v155
	v_mul_f32_e32 v140, v2, v180
	v_fmac_f32_e32 v156, v4, v178
	v_fma_f32 v157, v3, v178, -v142
	v_add_f32_e32 v10, v10, v144
	v_add_f32_e32 v12, v12, v173
	s_waitcnt lgkmcnt(0)
	v_mul_f32_e32 v160, v5, v177
	v_mul_f32_e32 v145, v6, v177
	v_fmac_f32_e32 v154, v2, v179
	v_fma_f32 v152, v1, v179, -v140
	ds_read2_b64 v[1:4], v9 offset0:107 offset1:108
	ds_read2_b64 v[140:143], v9 offset0:109 offset1:110
	v_add_f32_e32 v10, v10, v169
	v_fmac_f32_e32 v160, v6, v176
	v_fma_f32 v176, v5, v176, -v145
	v_add_f32_e32 v12, v12, v189
	v_add_f32_e32 v10, v10, v164
	;; [unrolled: 1-line block ×9, first 2 shown]
	s_waitcnt vmcnt(42)
	v_mul_f32_e32 v178, v7, v153
	v_mul_f32_e32 v146, v8, v153
	s_waitcnt vmcnt(40) lgkmcnt(1)
	v_mul_f32_e32 v169, v1, v159
	v_mul_f32_e32 v148, v2, v159
	s_waitcnt vmcnt(37)
	v_fmac_f32_e32 v178, v8, v188
	v_fma_f32 v177, v7, v188, -v146
	ds_read2_b64 v[5:8], v9 offset0:111 offset1:112
	ds_read2_b64 v[144:147], v9 offset0:113 offset1:114
	v_fmac_f32_e32 v169, v2, v158
	v_fma_f32 v158, v1, v158, -v148
	s_waitcnt vmcnt(36)
	v_mul_f32_e32 v159, v3, v161
	v_mul_f32_e32 v149, v4, v161
	s_waitcnt vmcnt(35) lgkmcnt(2)
	v_mul_f32_e32 v161, v140, v162
	v_mul_f32_e32 v153, v141, v162
	s_waitcnt vmcnt(34)
	v_mul_f32_e32 v12, v143, v163
	v_mul_f32_e32 v164, v142, v163
	v_fmac_f32_e32 v159, v4, v166
	v_fmac_f32_e32 v161, v141, v165
	v_fma_f32 v163, v140, v165, -v153
	s_waitcnt vmcnt(29) lgkmcnt(1)
	v_mul_f32_e32 v157, v5, v197
	v_fma_f32 v165, v142, v190, -v12
	v_mul_f32_e32 v12, v6, v197
	v_fma_f32 v162, v3, v166, -v149
	s_waitcnt vmcnt(28)
	v_mul_f32_e32 v156, v7, v198
	v_fmac_f32_e32 v157, v6, v172
	v_add_f32_e32 v6, v10, v176
	v_mul_f32_e32 v166, v8, v198
	v_add_f32_e32 v10, v11, v160
	v_fmac_f32_e32 v156, v8, v171
	ds_read2_b64 v[1:4], v9 offset0:115 offset1:116
	ds_read2_b64 v[148:151], v9 offset0:117 offset1:118
	v_add_f32_e32 v168, v6, v177
	v_fma_f32 v166, v7, v171, -v166
	v_add_f32_e32 v171, v10, v178
	v_fmac_f32_e32 v164, v143, v190
	v_fma_f32 v160, v5, v172, -v12
	v_add_f32_e32 v158, v168, v158
	s_waitcnt vmcnt(27) lgkmcnt(2)
	v_mul_f32_e32 v168, v145, v175
	v_add_f32_e32 v169, v171, v169
	v_mul_f32_e32 v172, v144, v175
	s_waitcnt vmcnt(26)
	v_mul_f32_e32 v173, v147, v199
	v_add_f32_e32 v158, v158, v162
	v_fma_f32 v144, v144, v170, -v168
	v_add_f32_e32 v159, v169, v159
	v_mul_f32_e32 v171, v146, v199
	v_fmac_f32_e32 v172, v145, v170
	v_add_f32_e32 v158, v158, v163
	ds_read2_b64 v[140:143], v9 offset0:119 offset1:120
	ds_read2_b64 v[152:155], v9 offset0:121 offset1:122
	v_add_f32_e32 v159, v159, v161
	s_waitcnt vmcnt(25) lgkmcnt(3)
	v_mul_f32_e32 v162, v1, v200
	s_waitcnt vmcnt(24)
	v_mul_f32_e32 v169, v3, v201
	v_add_f32_e32 v158, v158, v165
	s_waitcnt vmcnt(23) lgkmcnt(2)
	v_mul_f32_e32 v175, v148, v202
	v_add_f32_e32 v159, v159, v164
	s_waitcnt vmcnt(22)
	v_mul_f32_e32 v163, v150, v167
	s_waitcnt vmcnt(12)
	v_fmac_f32_e32 v169, v4, v209
	v_add_f32_e32 v158, v158, v160
	s_waitcnt vmcnt(10)
	v_fma_f32 v146, v146, v211, -v173
	v_add_f32_e32 v157, v159, v157
	v_fmac_f32_e32 v171, v147, v211
	v_fmac_f32_e32 v162, v2, v210
	v_add_f32_e32 v158, v158, v166
	v_fmac_f32_e32 v175, v149, v208
	v_add_f32_e32 v156, v157, v156
	v_mul_f32_e32 v157, v2, v200
	ds_read2_b64 v[5:8], v9 offset0:123 offset1:124
	ds_read2_b64 v[9:12], v9 offset0:125 offset1:126
	v_add_f32_e32 v144, v158, v144
	s_waitcnt lgkmcnt(3)
	v_mul_f32_e32 v161, v140, v191
	v_add_f32_e32 v147, v156, v172
	v_mul_f32_e32 v156, v4, v201
	v_fma_f32 v1, v1, v210, -v157
	v_add_f32_e32 v2, v144, v146
	v_mul_f32_e32 v146, v149, v202
	v_add_f32_e32 v144, v147, v171
	v_fma_f32 v3, v3, v209, -v156
	v_mul_f32_e32 v4, v151, v167
	v_add_f32_e32 v1, v2, v1
	s_waitcnt vmcnt(6)
	v_fmac_f32_e32 v163, v151, v213
	v_add_f32_e32 v2, v144, v162
	v_fma_f32 v144, v148, v208, -v146
	v_fma_f32 v4, v150, v213, -v4
	v_add_f32_e32 v1, v1, v3
	v_mul_f32_e32 v3, v141, v191
	v_add_f32_e32 v2, v2, v169
	v_mul_f32_e32 v176, v142, v204
	v_fmac_f32_e32 v161, v141, v212
	v_add_f32_e32 v1, v1, v144
	v_mul_f32_e32 v144, v143, v204
	v_add_f32_e32 v2, v2, v175
	v_fma_f32 v3, v140, v212, -v3
	s_waitcnt lgkmcnt(2)
	v_mul_f32_e32 v165, v152, v205
	v_add_f32_e32 v1, v1, v4
	v_mul_f32_e32 v4, v153, v205
	v_add_f32_e32 v2, v2, v163
	v_fma_f32 v140, v142, v194, -v144
	v_fmac_f32_e32 v176, v143, v194
	v_add_f32_e32 v1, v1, v3
	v_mul_f32_e32 v3, v155, v182
	v_add_f32_e32 v2, v2, v161
	v_fma_f32 v4, v152, v183, -v4
	v_mul_f32_e32 v164, v154, v182
	v_add_f32_e32 v1, v1, v140
	v_fmac_f32_e32 v165, v153, v183
	v_add_f32_e32 v2, v2, v176
	s_waitcnt lgkmcnt(1)
	v_mul_f32_e32 v140, v6, v206
	s_waitcnt vmcnt(2)
	v_fma_f32 v3, v154, v214, -v3
	v_add_f32_e32 v1, v1, v4
	v_mul_f32_e32 v177, v5, v206
	v_fmac_f32_e32 v164, v155, v214
	v_add_f32_e32 v2, v2, v165
	v_mul_f32_e32 v4, v8, v192
	v_fma_f32 v5, v5, v195, -v140
	v_add_f32_e32 v1, v1, v3
	v_mul_f32_e32 v160, v7, v192
	v_fmac_f32_e32 v177, v6, v195
	v_add_f32_e32 v2, v2, v164
	s_waitcnt lgkmcnt(0)
	v_mul_f32_e32 v3, v10, v193
	v_fma_f32 v4, v7, v185, -v4
	v_add_f32_e32 v1, v1, v5
	v_mul_f32_e32 v159, v9, v193
	v_fmac_f32_e32 v160, v8, v185
	v_add_f32_e32 v2, v2, v177
	v_mul_f32_e32 v5, v12, v207
	v_fma_f32 v3, v9, v184, -v3
	v_add_f32_e32 v1, v1, v4
	v_mul_f32_e32 v145, v11, v207
	v_fmac_f32_e32 v159, v10, v184
	v_add_f32_e32 v2, v2, v160
	s_waitcnt vmcnt(0)
	v_fma_f32 v4, v11, v186, -v5
	v_add_f32_e32 v1, v1, v3
	v_fmac_f32_e32 v145, v12, v186
	v_add_f32_e32 v2, v2, v159
	v_add_f32_e32 v1, v1, v4
	;; [unrolled: 1-line block ×3, first 2 shown]
	v_sub_f32_e32 v1, v215, v1
	v_sub_f32_e32 v2, v174, v2
	buffer_store_dword v1, off, s[0:3], 0 offset:112
	buffer_store_dword v2, off, s[0:3], 0 offset:116
	v_cmpx_lt_u32_e32 13, v0
	s_cbranch_execz .LBB62_365
; %bb.364:
	s_clause 0x1
	buffer_load_dword v1, off, s[0:3], 0 offset:104
	buffer_load_dword v2, off, s[0:3], 0 offset:108
	v_mov_b32_e32 v3, 0
	buffer_store_dword v3, off, s[0:3], 0 offset:104
	buffer_store_dword v3, off, s[0:3], 0 offset:108
	s_waitcnt vmcnt(0)
	ds_write_b64 v139, v[1:2]
.LBB62_365:
	s_or_b32 exec_lo, exec_lo, s4
	s_waitcnt lgkmcnt(0)
	s_waitcnt_vscnt null, 0x0
	s_barrier
	buffer_gl0_inv
	s_clause 0x33
	buffer_load_dword v11, off, s[0:3], 0 offset:116
	buffer_load_dword v12, off, s[0:3], 0 offset:124
	;; [unrolled: 1-line block ×52, first 2 shown]
	v_mov_b32_e32 v9, 0
	ds_read_b128 v[5:8], v9 offset:624
	ds_read_b128 v[1:4], v9 offset:640
	;; [unrolled: 1-line block ×3, first 2 shown]
	s_clause 0x2
	buffer_load_dword v189, off, s[0:3], 0 offset:308
	buffer_load_dword v190, off, s[0:3], 0 offset:316
	;; [unrolled: 1-line block ×3, first 2 shown]
	ds_read_b128 v[196:199], v9 offset:672
	s_mov_b32 s4, exec_lo
	s_waitcnt vmcnt(54) lgkmcnt(3)
	v_mul_f32_e32 v200, v5, v11
	s_waitcnt vmcnt(53)
	v_mul_f32_e32 v201, v7, v12
	v_mul_f32_e32 v11, v6, v11
	;; [unrolled: 1-line block ×3, first 2 shown]
	s_waitcnt vmcnt(50)
	v_fmac_f32_e32 v200, v6, v145
	v_fmac_f32_e32 v201, v8, v143
	v_fma_f32 v11, v5, v145, -v11
	v_fma_f32 v12, v7, v143, -v12
	ds_read_b128 v[5:8], v9 offset:688
	s_waitcnt vmcnt(49) lgkmcnt(3)
	v_mul_f32_e32 v202, v1, v140
	s_waitcnt vmcnt(48)
	v_mul_f32_e32 v203, v3, v141
	v_mul_f32_e32 v140, v2, v140
	;; [unrolled: 1-line block ×3, first 2 shown]
	s_waitcnt vmcnt(47) lgkmcnt(2)
	v_mul_f32_e32 v204, v192, v144
	v_mul_f32_e32 v143, v193, v144
	v_fmac_f32_e32 v202, v2, v10
	v_fma_f32 v10, v1, v10, -v140
	s_waitcnt vmcnt(46)
	v_mul_f32_e32 v205, v194, v142
	v_mul_f32_e32 v140, v195, v142
	s_waitcnt vmcnt(42)
	v_fmac_f32_e32 v203, v4, v151
	v_fma_f32 v151, v3, v151, -v141
	ds_read_b128 v[1:4], v9 offset:704
	v_fmac_f32_e32 v204, v193, v150
	v_fma_f32 v150, v192, v150, -v143
	v_fmac_f32_e32 v205, v195, v148
	v_fma_f32 v148, v194, v148, -v140
	ds_read_b128 v[140:143], v9 offset:720
	s_waitcnt vmcnt(41) lgkmcnt(3)
	v_mul_f32_e32 v192, v196, v149
	v_mul_f32_e32 v144, v197, v149
	s_waitcnt vmcnt(40)
	v_mul_f32_e32 v149, v198, v147
	v_mul_f32_e32 v145, v199, v147
	s_waitcnt vmcnt(39) lgkmcnt(2)
	v_mul_f32_e32 v193, v5, v152
	v_fmac_f32_e32 v192, v197, v146
	v_fma_f32 v194, v196, v146, -v144
	s_waitcnt vmcnt(38)
	v_mul_f32_e32 v195, v7, v153
	v_mul_f32_e32 v152, v6, v152
	;; [unrolled: 1-line block ×3, first 2 shown]
	s_waitcnt vmcnt(34)
	v_fmac_f32_e32 v149, v199, v159
	v_fma_f32 v159, v198, v159, -v145
	ds_read_b128 v[144:147], v9 offset:736
	v_fmac_f32_e32 v193, v6, v158
	v_fmac_f32_e32 v195, v8, v156
	v_fma_f32 v152, v5, v158, -v152
	v_fma_f32 v153, v7, v156, -v153
	ds_read_b128 v[5:8], v9 offset:752
	s_waitcnt vmcnt(33) lgkmcnt(3)
	v_mul_f32_e32 v156, v1, v157
	v_mul_f32_e32 v157, v2, v157
	s_waitcnt vmcnt(32)
	v_mul_f32_e32 v158, v3, v155
	v_mul_f32_e32 v155, v4, v155
	s_waitcnt vmcnt(31) lgkmcnt(2)
	v_mul_f32_e32 v196, v140, v160
	v_fmac_f32_e32 v156, v2, v154
	v_fma_f32 v154, v1, v154, -v157
	s_waitcnt vmcnt(30)
	v_mul_f32_e32 v157, v142, v161
	v_mul_f32_e32 v161, v143, v161
	;; [unrolled: 1-line block ×3, first 2 shown]
	s_waitcnt vmcnt(26)
	v_fmac_f32_e32 v158, v4, v168
	v_fma_f32 v155, v3, v168, -v155
	v_fmac_f32_e32 v157, v143, v165
	v_fma_f32 v161, v142, v165, -v161
	s_waitcnt vmcnt(25) lgkmcnt(1)
	v_mul_f32_e32 v165, v144, v166
	v_mul_f32_e32 v166, v145, v166
	ds_read_b128 v[1:4], v9 offset:768
	v_fmac_f32_e32 v196, v141, v167
	v_fma_f32 v160, v140, v167, -v160
	s_waitcnt vmcnt(24)
	v_mul_f32_e32 v167, v146, v164
	v_mul_f32_e32 v164, v147, v164
	s_waitcnt vmcnt(23) lgkmcnt(1)
	v_mul_f32_e32 v168, v5, v169
	v_fmac_f32_e32 v165, v145, v162
	v_fma_f32 v144, v144, v162, -v166
	v_mul_f32_e32 v162, v6, v169
	ds_read_b128 v[140:143], v9 offset:784
	s_waitcnt vmcnt(22)
	v_mul_f32_e32 v145, v7, v171
	v_mul_f32_e32 v166, v8, v171
	s_waitcnt vmcnt(18)
	v_fmac_f32_e32 v167, v147, v179
	v_fma_f32 v146, v146, v179, -v164
	v_fmac_f32_e32 v168, v6, v178
	v_fma_f32 v5, v5, v178, -v162
	s_clause 0x5
	buffer_load_dword v147, off, s[0:3], 0 offset:332
	buffer_load_dword v162, off, s[0:3], 0 offset:336
	;; [unrolled: 1-line block ×6, first 2 shown]
	v_fmac_f32_e32 v145, v8, v177
	v_fma_f32 v6, v7, v177, -v166
	s_clause 0x1
	buffer_load_dword v166, off, s[0:3], 0 offset:348
	buffer_load_dword v177, off, s[0:3], 0 offset:356
	s_waitcnt vmcnt(25) lgkmcnt(1)
	v_mul_f32_e32 v179, v1, v175
	s_waitcnt vmcnt(24)
	v_mul_f32_e32 v197, v3, v176
	v_mul_f32_e32 v7, v2, v175
	;; [unrolled: 1-line block ×3, first 2 shown]
	buffer_load_dword v175, off, s[0:3], 0 offset:364
	v_fmac_f32_e32 v179, v2, v173
	s_waitcnt vmcnt(21)
	v_fmac_f32_e32 v197, v4, v187
	v_fma_f32 v173, v1, v173, -v7
	v_fma_f32 v176, v3, v187, -v8
	ds_read_b128 v[1:4], v9 offset:800
	s_waitcnt vmcnt(20) lgkmcnt(1)
	v_mul_f32_e32 v187, v140, v185
	s_waitcnt vmcnt(19)
	v_mul_f32_e32 v198, v142, v186
	v_mul_f32_e32 v7, v141, v185
	;; [unrolled: 1-line block ×3, first 2 shown]
	s_clause 0x4
	buffer_load_dword v185, off, s[0:3], 0 offset:384
	buffer_load_dword v186, off, s[0:3], 0 offset:376
	buffer_load_dword v199, off, s[0:3], 0 offset:368
	buffer_load_dword v206, off, s[0:3], 0 offset:360
	buffer_load_dword v207, off, s[0:3], 0 offset:372
	v_fmac_f32_e32 v187, v141, v184
	v_fmac_f32_e32 v198, v143, v183
	v_fma_f32 v184, v140, v184, -v7
	v_add_f32_e32 v7, 0, v200
	v_fma_f32 v183, v142, v183, -v8
	buffer_load_dword v200, off, s[0:3], 0 offset:380
	v_add_f32_e32 v8, 0, v11
	v_add_f32_e32 v7, v7, v201
	buffer_load_dword v201, off, s[0:3], 0 offset:388
	v_add_f32_e32 v8, v8, v12
	v_add_f32_e32 v7, v7, v202
	s_waitcnt vmcnt(25) lgkmcnt(0)
	v_mul_f32_e32 v11, v1, v182
	v_mul_f32_e32 v12, v2, v182
	s_waitcnt vmcnt(24)
	v_mul_f32_e32 v182, v3, v181
	v_mul_f32_e32 v140, v4, v181
	v_fmac_f32_e32 v11, v2, v180
	v_add_f32_e32 v2, v7, v203
	v_fma_f32 v12, v1, v180, -v12
	s_clause 0x2
	buffer_load_dword v180, off, s[0:3], 0 offset:396
	buffer_load_dword v181, off, s[0:3], 0 offset:404
	;; [unrolled: 1-line block ×3, first 2 shown]
	v_add_f32_e32 v1, v8, v10
	buffer_load_dword v203, off, s[0:3], 0 offset:428
	v_add_f32_e32 v2, v2, v204
	s_waitcnt vmcnt(23)
	v_fmac_f32_e32 v182, v4, v188
	v_fma_f32 v10, v3, v188, -v140
	s_clause 0x5
	buffer_load_dword v188, off, s[0:3], 0 offset:420
	buffer_load_dword v204, off, s[0:3], 0 offset:416
	;; [unrolled: 1-line block ×6, first 2 shown]
	v_add_f32_e32 v1, v1, v151
	v_add_f32_e32 v2, v2, v205
	s_clause 0x1
	buffer_load_dword v205, off, s[0:3], 0 offset:444
	buffer_load_dword v212, off, s[0:3], 0 offset:452
	v_add_f32_e32 v1, v1, v150
	v_add_f32_e32 v2, v2, v192
	;; [unrolled: 1-line block ×6, first 2 shown]
	s_clause 0x5
	buffer_load_dword v192, off, s[0:3], 0 offset:460
	buffer_load_dword v194, off, s[0:3], 0 offset:468
	;; [unrolled: 1-line block ×6, first 2 shown]
	v_add_f32_e32 v2, v2, v195
	s_clause 0x3
	buffer_load_dword v195, off, s[0:3], 0 offset:448
	buffer_load_dword v216, off, s[0:3], 0 offset:440
	;; [unrolled: 1-line block ×4, first 2 shown]
	v_add_f32_e32 v1, v1, v159
	v_add_f32_e32 v2, v2, v156
	;; [unrolled: 1-line block ×6, first 2 shown]
	s_clause 0x3
	buffer_load_dword v196, off, s[0:3], 0 offset:480
	buffer_load_dword v219, off, s[0:3], 0 offset:472
	;; [unrolled: 1-line block ×4, first 2 shown]
	v_add_f32_e32 v1, v1, v154
	v_add_f32_e32 v2, v2, v157
	;; [unrolled: 1-line block ×5, first 2 shown]
	s_clause 0x1
	buffer_load_dword v160, off, s[0:3], 0 offset:496
	buffer_load_dword v222, off, s[0:3], 0 offset:488
	v_add_f32_e32 v7, v2, v167
	v_add_f32_e32 v1, v1, v161
	buffer_load_dword v161, off, s[0:3], 0 offset:104
	v_add_f32_e32 v7, v7, v168
	v_add_f32_e32 v1, v1, v144
	;; [unrolled: 1-line block ×4, first 2 shown]
	ds_read_b128 v[1:4], v9 offset:816
	v_add_f32_e32 v140, v140, v179
	v_add_f32_e32 v5, v8, v5
	;; [unrolled: 1-line block ×4, first 2 shown]
	ds_read_b128 v[5:8], v9 offset:832
	v_add_f32_e32 v144, v144, v187
	v_add_f32_e32 v141, v141, v173
	;; [unrolled: 1-line block ×4, first 2 shown]
	s_waitcnt vmcnt(47) lgkmcnt(1)
	v_mul_f32_e32 v148, v1, v189
	s_waitcnt vmcnt(46)
	v_mul_f32_e32 v152, v3, v190
	v_mul_f32_e32 v142, v2, v189
	;; [unrolled: 1-line block ×3, first 2 shown]
	v_add_f32_e32 v145, v145, v184
	v_fmac_f32_e32 v148, v2, v174
	v_fmac_f32_e32 v152, v4, v172
	v_fma_f32 v149, v1, v174, -v142
	v_fma_f32 v153, v3, v172, -v143
	v_add_f32_e32 v151, v145, v183
	ds_read_b128 v[1:4], v9 offset:848
	ds_read_b128 v[140:143], v9 offset:864
	s_waitcnt lgkmcnt(2)
	v_mul_f32_e32 v156, v5, v170
	v_mul_f32_e32 v146, v6, v170
	v_add_f32_e32 v12, v151, v12
	v_add_f32_e32 v11, v150, v11
	v_fmac_f32_e32 v156, v6, v163
	v_fma_f32 v158, v5, v163, -v146
	v_add_f32_e32 v10, v12, v10
	v_add_f32_e32 v11, v11, v182
	;; [unrolled: 1-line block ×8, first 2 shown]
	s_waitcnt vmcnt(44)
	v_mul_f32_e32 v157, v7, v147
	v_mul_f32_e32 v147, v8, v147
	s_waitcnt vmcnt(42) lgkmcnt(1)
	v_mul_f32_e32 v163, v1, v164
	v_mul_f32_e32 v150, v2, v164
	s_waitcnt vmcnt(39)
	v_fmac_f32_e32 v157, v8, v178
	v_fma_f32 v159, v7, v178, -v147
	ds_read_b128 v[5:8], v9 offset:880
	ds_read_b128 v[144:147], v9 offset:896
	s_waitcnt vmcnt(37) lgkmcnt(2)
	v_mul_f32_e32 v165, v140, v177
	v_mul_f32_e32 v154, v141, v177
	;; [unrolled: 1-line block ×3, first 2 shown]
	v_fmac_f32_e32 v163, v2, v162
	v_fma_f32 v162, v1, v162, -v150
	v_fmac_f32_e32 v165, v141, v169
	v_fma_f32 v167, v140, v169, -v154
	v_add_f32_e32 v10, v10, v159
	v_mul_f32_e32 v164, v3, v166
	v_fma_f32 v166, v3, v171, -v151
	s_waitcnt vmcnt(36)
	v_mul_f32_e32 v155, v143, v175
	v_mul_f32_e32 v12, v142, v175
	v_add_f32_e32 v162, v10, v162
	v_fmac_f32_e32 v164, v4, v171
	ds_read_b128 v[1:4], v9 offset:912
	ds_read_b128 v[148:151], v9 offset:928
	s_waitcnt vmcnt(32)
	v_fma_f32 v168, v142, v206, -v155
	v_fmac_f32_e32 v12, v143, v206
	v_add_f32_e32 v162, v162, v166
	s_waitcnt vmcnt(31) lgkmcnt(3)
	v_mul_f32_e32 v169, v5, v207
	v_mul_f32_e32 v156, v6, v207
	ds_read_b128 v[140:143], v9 offset:944
	ds_read_b128 v[152:155], v9 offset:960
	s_waitcnt vmcnt(30)
	v_mul_f32_e32 v158, v8, v200
	v_add_f32_e32 v162, v162, v167
	v_fmac_f32_e32 v169, v6, v199
	v_add_f32_e32 v6, v11, v157
	v_fma_f32 v171, v5, v199, -v156
	v_mul_f32_e32 v170, v7, v200
	v_add_f32_e32 v162, v162, v168
	v_fma_f32 v172, v7, v186, -v158
	v_add_f32_e32 v163, v6, v163
	s_waitcnt vmcnt(29) lgkmcnt(4)
	v_mul_f32_e32 v173, v145, v201
	v_fmac_f32_e32 v170, v8, v186
	v_add_f32_e32 v162, v162, v171
	ds_read_b128 v[5:8], v9 offset:976
	ds_read_b128 v[156:159], v9 offset:992
	ds_read_b64 v[10:11], v9 offset:1008
	v_add_f32_e32 v163, v163, v164
	v_mul_f32_e32 v164, v144, v201
	s_waitcnt vmcnt(28)
	v_mul_f32_e32 v174, v147, v180
	v_fma_f32 v144, v144, v185, -v173
	v_add_f32_e32 v162, v162, v172
	v_add_f32_e32 v163, v163, v165
	v_mul_f32_e32 v166, v146, v180
	v_fmac_f32_e32 v164, v145, v185
	s_waitcnt vmcnt(27) lgkmcnt(6)
	v_mul_f32_e32 v165, v1, v181
	v_mul_f32_e32 v173, v2, v181
	v_add_f32_e32 v12, v163, v12
	s_waitcnt vmcnt(20)
	v_fma_f32 v146, v146, v210, -v174
	v_add_f32_e32 v144, v162, v144
	v_fmac_f32_e32 v166, v147, v210
	v_fmac_f32_e32 v165, v2, v209
	v_add_f32_e32 v12, v12, v169
	v_fma_f32 v1, v1, v209, -v173
	v_add_f32_e32 v2, v144, v146
	v_mul_f32_e32 v167, v3, v202
	s_waitcnt lgkmcnt(5)
	v_mul_f32_e32 v144, v149, v188
	v_add_f32_e32 v12, v12, v170
	v_mul_f32_e32 v170, v4, v202
	v_add_f32_e32 v1, v2, v1
	v_mul_f32_e32 v145, v148, v188
	v_fmac_f32_e32 v167, v4, v208
	v_add_f32_e32 v12, v12, v164
	v_fma_f32 v3, v3, v208, -v170
	v_mul_f32_e32 v4, v151, v203
	v_mul_f32_e32 v163, v150, v203
	v_fmac_f32_e32 v145, v149, v204
	v_add_f32_e32 v12, v12, v166
	v_add_f32_e32 v1, v1, v3
	s_waitcnt vmcnt(19) lgkmcnt(4)
	v_mul_f32_e32 v3, v141, v211
	s_waitcnt vmcnt(7)
	v_fma_f32 v4, v150, v218, -v4
	v_mul_f32_e32 v168, v140, v211
	v_add_f32_e32 v2, v12, v165
	v_fma_f32 v12, v148, v204, -v144
	v_fmac_f32_e32 v163, v151, v218
	v_fma_f32 v3, v140, v217, -v3
	v_mul_f32_e32 v147, v142, v205
	v_add_f32_e32 v2, v2, v167
	v_add_f32_e32 v1, v1, v12
	v_mul_f32_e32 v12, v143, v205
	v_fmac_f32_e32 v168, v141, v217
	s_waitcnt lgkmcnt(3)
	v_mul_f32_e32 v174, v152, v212
	v_add_f32_e32 v2, v2, v145
	v_add_f32_e32 v1, v1, v4
	v_mul_f32_e32 v4, v153, v212
	v_fma_f32 v12, v142, v216, -v12
	v_fmac_f32_e32 v147, v143, v216
	v_add_f32_e32 v2, v2, v163
	v_add_f32_e32 v1, v1, v3
	v_mul_f32_e32 v3, v155, v192
	v_fma_f32 v4, v152, v195, -v4
	v_mul_f32_e32 v169, v154, v192
	v_add_f32_e32 v2, v2, v168
	v_add_f32_e32 v1, v1, v12
	v_fmac_f32_e32 v174, v153, v195
	s_waitcnt lgkmcnt(2)
	v_mul_f32_e32 v12, v6, v194
	s_waitcnt vmcnt(3)
	v_fma_f32 v3, v154, v221, -v3
	v_add_f32_e32 v2, v2, v147
	v_add_f32_e32 v1, v1, v4
	v_mul_f32_e32 v171, v5, v194
	v_fmac_f32_e32 v169, v155, v221
	v_mul_f32_e32 v4, v8, v213
	v_add_f32_e32 v2, v2, v174
	v_fma_f32 v5, v5, v220, -v12
	v_add_f32_e32 v1, v1, v3
	v_mul_f32_e32 v175, v7, v213
	v_fmac_f32_e32 v171, v6, v220
	v_add_f32_e32 v2, v2, v169
	s_waitcnt lgkmcnt(1)
	v_mul_f32_e32 v3, v157, v214
	v_fma_f32 v4, v7, v219, -v4
	v_add_f32_e32 v1, v1, v5
	v_mul_f32_e32 v172, v156, v214
	v_fmac_f32_e32 v175, v8, v219
	v_add_f32_e32 v2, v2, v171
	v_mul_f32_e32 v5, v159, v215
	v_fma_f32 v3, v156, v196, -v3
	v_add_f32_e32 v1, v1, v4
	v_mul_f32_e32 v176, v158, v215
	v_fmac_f32_e32 v172, v157, v196
	v_add_f32_e32 v2, v2, v175
	s_waitcnt lgkmcnt(0)
	v_mul_f32_e32 v4, v11, v193
	s_waitcnt vmcnt(1)
	v_fma_f32 v5, v158, v222, -v5
	v_add_f32_e32 v1, v1, v3
	v_mul_f32_e32 v162, v10, v193
	v_fmac_f32_e32 v176, v159, v222
	v_add_f32_e32 v2, v2, v172
	v_fma_f32 v3, v10, v160, -v4
	v_add_f32_e32 v1, v1, v5
	v_fmac_f32_e32 v162, v11, v160
	v_add_f32_e32 v2, v2, v176
	v_add_f32_e32 v1, v1, v3
	;; [unrolled: 1-line block ×3, first 2 shown]
	s_waitcnt vmcnt(0)
	v_sub_f32_e32 v1, v161, v1
	v_sub_f32_e32 v2, v191, v2
	buffer_store_dword v1, off, s[0:3], 0 offset:104
	buffer_store_dword v2, off, s[0:3], 0 offset:108
	v_cmpx_lt_u32_e32 12, v0
	s_cbranch_execz .LBB62_367
; %bb.366:
	s_clause 0x1
	buffer_load_dword v1, off, s[0:3], 0 offset:96
	buffer_load_dword v2, off, s[0:3], 0 offset:100
	buffer_store_dword v9, off, s[0:3], 0 offset:96
	buffer_store_dword v9, off, s[0:3], 0 offset:100
	s_waitcnt vmcnt(0)
	ds_write_b64 v139, v[1:2]
.LBB62_367:
	s_or_b32 exec_lo, exec_lo, s4
	s_waitcnt lgkmcnt(0)
	s_waitcnt_vscnt null, 0x0
	s_barrier
	buffer_gl0_inv
	s_clause 0x35
	buffer_load_dword v1, off, s[0:3], 0 offset:108
	buffer_load_dword v3, off, s[0:3], 0 offset:116
	;; [unrolled: 1-line block ×54, first 2 shown]
	ds_read2_b64 v[184:187], v9 offset0:77 offset1:78
	ds_read2_b64 v[188:191], v9 offset0:79 offset1:80
	ds_read2_b64 v[192:195], v9 offset0:81 offset1:82
	ds_read2_b64 v[196:199], v9 offset0:83 offset1:84
	buffer_load_dword v178, off, s[0:3], 0 offset:100
	s_mov_b32 s4, exec_lo
	s_waitcnt vmcnt(54) lgkmcnt(3)
	v_mul_f32_e32 v200, v184, v1
	v_mul_f32_e32 v1, v185, v1
	s_waitcnt vmcnt(53)
	v_mul_f32_e32 v201, v186, v3
	v_mul_f32_e32 v3, v187, v3
	s_waitcnt vmcnt(52) lgkmcnt(2)
	v_mul_f32_e32 v202, v188, v5
	v_mul_f32_e32 v5, v189, v5
	s_waitcnt vmcnt(49)
	v_fma_f32 v203, v184, v7, -v1
	s_waitcnt vmcnt(48)
	v_mul_f32_e32 v1, v191, v6
	v_fmac_f32_e32 v200, v185, v7
	v_fmac_f32_e32 v201, v187, v4
	v_fma_f32 v205, v186, v4, -v3
	v_fmac_f32_e32 v202, v189, v2
	v_fma_f32 v188, v188, v2, -v5
	s_waitcnt vmcnt(44)
	v_fma_f32 v189, v190, v143, -v1
	ds_read2_b64 v[1:4], v9 offset0:85 offset1:86
	ds_read2_b64 v[184:187], v9 offset0:87 offset1:88
	v_mul_f32_e32 v204, v190, v6
	s_waitcnt vmcnt(43) lgkmcnt(3)
	v_mul_f32_e32 v190, v192, v142
	v_mul_f32_e32 v5, v193, v142
	s_waitcnt vmcnt(42)
	v_mul_f32_e32 v6, v195, v141
	s_waitcnt vmcnt(41) lgkmcnt(2)
	v_mul_f32_e32 v206, v196, v12
	v_fmac_f32_e32 v204, v191, v143
	v_mul_f32_e32 v191, v194, v141
	v_fmac_f32_e32 v190, v193, v11
	v_fma_f32 v11, v192, v11, -v5
	s_waitcnt vmcnt(40)
	v_mul_f32_e32 v192, v198, v140
	v_mul_f32_e32 v5, v197, v12
	;; [unrolled: 1-line block ×3, first 2 shown]
	v_fmac_f32_e32 v191, v195, v10
	v_fma_f32 v10, v194, v10, -v6
	v_fmac_f32_e32 v206, v197, v8
	s_waitcnt vmcnt(36)
	v_fmac_f32_e32 v192, v199, v151
	v_fma_f32 v12, v196, v8, -v5
	v_fma_f32 v151, v198, v151, -v7
	ds_read2_b64 v[5:8], v9 offset0:89 offset1:90
	ds_read2_b64 v[140:143], v9 offset0:91 offset1:92
	s_waitcnt vmcnt(35) lgkmcnt(3)
	v_mul_f32_e32 v193, v1, v150
	v_mul_f32_e32 v150, v2, v150
	s_waitcnt vmcnt(34)
	v_mul_f32_e32 v194, v3, v149
	v_mul_f32_e32 v149, v4, v149
	s_waitcnt vmcnt(33) lgkmcnt(2)
	v_mul_f32_e32 v195, v184, v147
	v_fmac_f32_e32 v193, v2, v146
	v_fma_f32 v150, v1, v146, -v150
	s_waitcnt vmcnt(32)
	v_mul_f32_e32 v196, v186, v148
	v_mul_f32_e32 v1, v185, v147
	v_mul_f32_e32 v2, v187, v148
	v_fmac_f32_e32 v194, v4, v145
	v_fma_f32 v148, v3, v145, -v149
	v_fmac_f32_e32 v195, v185, v144
	s_waitcnt vmcnt(28)
	v_fmac_f32_e32 v196, v187, v158
	v_fma_f32 v149, v184, v144, -v1
	v_fma_f32 v158, v186, v158, -v2
	ds_read2_b64 v[1:4], v9 offset0:93 offset1:94
	ds_read2_b64 v[144:147], v9 offset0:95 offset1:96
	s_waitcnt vmcnt(27) lgkmcnt(3)
	v_mul_f32_e32 v184, v5, v157
	v_mul_f32_e32 v157, v6, v157
	s_waitcnt vmcnt(26)
	v_mul_f32_e32 v185, v7, v156
	v_mul_f32_e32 v156, v8, v156
	s_waitcnt vmcnt(25) lgkmcnt(2)
	v_mul_f32_e32 v186, v140, v155
	v_mul_f32_e32 v155, v141, v155
	v_fmac_f32_e32 v184, v6, v154
	v_fma_f32 v154, v5, v154, -v157
	s_waitcnt vmcnt(24)
	v_mul_f32_e32 v157, v142, v159
	v_mul_f32_e32 v5, v143, v159
	v_fmac_f32_e32 v185, v8, v153
	v_fma_f32 v153, v7, v153, -v156
	v_fmac_f32_e32 v186, v141, v152
	v_fma_f32 v152, v140, v152, -v155
	s_waitcnt vmcnt(20)
	v_fmac_f32_e32 v157, v143, v166
	v_fma_f32 v155, v142, v166, -v5
	ds_read2_b64 v[5:8], v9 offset0:97 offset1:98
	ds_read2_b64 v[140:143], v9 offset0:99 offset1:100
	s_waitcnt vmcnt(19) lgkmcnt(3)
	v_mul_f32_e32 v159, v2, v165
	v_mul_f32_e32 v156, v1, v165
	s_waitcnt vmcnt(18)
	v_mul_f32_e32 v165, v3, v164
	v_mul_f32_e32 v164, v4, v164
	s_waitcnt vmcnt(17) lgkmcnt(2)
	v_mul_f32_e32 v166, v144, v163
	v_fma_f32 v159, v1, v162, -v159
	s_waitcnt vmcnt(16)
	v_mul_f32_e32 v1, v147, v167
	v_mul_f32_e32 v163, v145, v163
	v_fmac_f32_e32 v156, v2, v162
	v_mul_f32_e32 v162, v146, v167
	v_fmac_f32_e32 v165, v4, v161
	v_fma_f32 v161, v3, v161, -v164
	s_clause 0x4
	buffer_load_dword v164, off, s[0:3], 0 offset:324
	buffer_load_dword v167, off, s[0:3], 0 offset:344
	;; [unrolled: 1-line block ×5, first 2 shown]
	v_fmac_f32_e32 v166, v145, v160
	s_waitcnt vmcnt(17)
	v_fma_f32 v145, v146, v175, -v1
	ds_read2_b64 v[1:4], v9 offset0:101 offset1:102
	v_fmac_f32_e32 v162, v147, v175
	v_fma_f32 v144, v144, v160, -v163
	s_waitcnt vmcnt(16) lgkmcnt(2)
	v_mul_f32_e32 v146, v5, v173
	v_mul_f32_e32 v147, v6, v173
	s_waitcnt vmcnt(15)
	v_mul_f32_e32 v160, v7, v172
	v_mul_f32_e32 v163, v8, v172
	buffer_load_dword v172, off, s[0:3], 0 offset:340
	v_fmac_f32_e32 v146, v6, v171
	v_fma_f32 v147, v5, v171, -v147
	buffer_load_dword v171, off, s[0:3], 0 offset:332
	v_fmac_f32_e32 v160, v8, v169
	v_fma_f32 v163, v7, v169, -v163
	s_waitcnt vmcnt(16) lgkmcnt(1)
	v_mul_f32_e32 v169, v140, v170
	v_mul_f32_e32 v5, v141, v170
	s_waitcnt vmcnt(15)
	v_mul_f32_e32 v6, v143, v174
	v_mul_f32_e32 v170, v142, v174
	v_fmac_f32_e32 v169, v141, v168
	v_fma_f32 v168, v140, v168, -v5
	s_waitcnt vmcnt(10)
	v_fma_f32 v173, v142, v183, -v6
	ds_read2_b64 v[5:8], v9 offset0:103 offset1:104
	s_waitcnt vmcnt(9) lgkmcnt(1)
	v_mul_f32_e32 v174, v1, v182
	v_mul_f32_e32 v140, v2, v182
	s_waitcnt vmcnt(8)
	v_mul_f32_e32 v199, v3, v181
	v_fmac_f32_e32 v170, v143, v183
	s_clause 0x2
	buffer_load_dword v175, off, s[0:3], 0 offset:348
	buffer_load_dword v182, off, s[0:3], 0 offset:356
	;; [unrolled: 1-line block ×3, first 2 shown]
	v_fmac_f32_e32 v174, v2, v180
	v_fma_f32 v180, v1, v180, -v140
	v_mul_f32_e32 v1, v4, v181
	v_fmac_f32_e32 v199, v4, v179
	v_add_f32_e32 v2, 0, v203
	s_clause 0x3
	buffer_load_dword v181, off, s[0:3], 0 offset:376
	buffer_load_dword v207, off, s[0:3], 0 offset:368
	;; [unrolled: 1-line block ×4, first 2 shown]
	v_fma_f32 v179, v3, v179, -v1
	v_add_f32_e32 v1, 0, v200
	v_add_f32_e32 v2, v2, v205
	buffer_load_dword v200, off, s[0:3], 0 offset:372
	v_add_f32_e32 v1, v1, v201
	v_add_f32_e32 v2, v2, v188
	s_waitcnt lgkmcnt(0)
	v_mul_f32_e32 v3, v6, v177
	v_add_f32_e32 v1, v1, v202
	s_clause 0x1
	buffer_load_dword v201, off, s[0:3], 0 offset:380
	buffer_load_dword v202, off, s[0:3], 0 offset:388
	v_add_f32_e32 v2, v2, v189
	v_add_f32_e32 v1, v1, v204
	;; [unrolled: 1-line block ×3, first 2 shown]
	v_fma_f32 v11, v5, v176, -v3
	v_add_f32_e32 v1, v1, v190
	s_clause 0x5
	buffer_load_dword v188, off, s[0:3], 0 offset:408
	buffer_load_dword v189, off, s[0:3], 0 offset:400
	;; [unrolled: 1-line block ×6, first 2 shown]
	v_add_f32_e32 v2, v2, v10
	v_add_f32_e32 v1, v1, v191
	buffer_load_dword v191, off, s[0:3], 0 offset:396
	v_mul_f32_e32 v10, v5, v177
	v_add_f32_e32 v2, v2, v12
	v_add_f32_e32 v1, v1, v206
	v_fmac_f32_e32 v10, v6, v176
	v_add_f32_e32 v2, v2, v151
	v_add_f32_e32 v1, v1, v192
	s_clause 0x2
	buffer_load_dword v192, off, s[0:3], 0 offset:420
	buffer_load_dword v206, off, s[0:3], 0 offset:428
	buffer_load_dword v210, off, s[0:3], 0 offset:436
	v_add_f32_e32 v2, v2, v150
	v_add_f32_e32 v1, v1, v193
	s_clause 0x2
	buffer_load_dword v193, off, s[0:3], 0 offset:444
	buffer_load_dword v211, off, s[0:3], 0 offset:452
	buffer_load_dword v212, off, s[0:3], 0 offset:460
	;; [unrolled: 6-line block ×3, first 2 shown]
	buffer_load_dword v215, off, s[0:3], 0 offset:500
	v_add_f32_e32 v2, v2, v149
	v_add_f32_e32 v1, v1, v195
	buffer_load_dword v195, off, s[0:3], 0 offset:492
	v_add_f32_e32 v2, v2, v158
	v_add_f32_e32 v1, v1, v196
	;; [unrolled: 1-line block ×4, first 2 shown]
	s_clause 0x3
	buffer_load_dword v184, off, s[0:3], 0 offset:440
	buffer_load_dword v196, off, s[0:3], 0 offset:432
	buffer_load_dword v216, off, s[0:3], 0 offset:424
	buffer_load_dword v217, off, s[0:3], 0 offset:416
	v_add_f32_e32 v2, v2, v153
	v_add_f32_e32 v1, v1, v185
	;; [unrolled: 1-line block ×4, first 2 shown]
	s_clause 0x7
	buffer_load_dword v185, off, s[0:3], 0 offset:472
	buffer_load_dword v186, off, s[0:3], 0 offset:464
	;; [unrolled: 1-line block ×8, first 2 shown]
	v_add_f32_e32 v2, v2, v155
	v_add_f32_e32 v1, v1, v157
	;; [unrolled: 1-line block ×8, first 2 shown]
	ds_read2_b64 v[1:4], v9 offset0:105 offset1:106
	v_add_f32_e32 v12, v5, v145
	v_add_f32_e32 v140, v6, v162
	;; [unrolled: 1-line block ×4, first 2 shown]
	ds_read2_b64 v[140:143], v9 offset0:109 offset1:110
	v_add_f32_e32 v12, v12, v163
	v_add_f32_e32 v144, v144, v160
	;; [unrolled: 1-line block ×3, first 2 shown]
	s_waitcnt vmcnt(46)
	v_mul_f32_e32 v156, v7, v164
	v_mul_f32_e32 v5, v8, v164
	s_waitcnt vmcnt(42)
	v_fmac_f32_e32 v156, v8, v198
	v_fma_f32 v157, v7, v198, -v5
	ds_read2_b64 v[5:8], v9 offset0:107 offset1:108
	s_waitcnt vmcnt(41) lgkmcnt(2)
	v_mul_f32_e32 v148, v4, v172
	s_waitcnt vmcnt(40)
	v_mul_f32_e32 v145, v2, v171
	v_mul_f32_e32 v158, v1, v171
	v_fma_f32 v163, v3, v187, -v148
	v_fma_f32 v159, v1, v197, -v145
	v_add_f32_e32 v1, v144, v169
	v_fmac_f32_e32 v158, v2, v197
	v_add_f32_e32 v2, v12, v173
	ds_read2_b64 v[144:147], v9 offset0:111 offset1:112
	v_mul_f32_e32 v12, v3, v172
	v_add_f32_e32 v1, v1, v170
	v_add_f32_e32 v2, v2, v180
	s_waitcnt vmcnt(39) lgkmcnt(1)
	v_mul_f32_e32 v149, v6, v175
	v_mul_f32_e32 v160, v5, v175
	v_add_f32_e32 v1, v1, v174
	s_waitcnt vmcnt(37)
	v_mul_f32_e32 v162, v140, v183
	v_fmac_f32_e32 v12, v4, v187
	v_fma_f32 v164, v5, v167, -v149
	v_add_f32_e32 v5, v2, v179
	v_fmac_f32_e32 v160, v6, v167
	v_add_f32_e32 v6, v1, v199
	v_mul_f32_e32 v152, v8, v182
	v_mul_f32_e32 v153, v141, v183
	v_add_f32_e32 v11, v5, v11
	s_waitcnt vmcnt(34)
	v_fmac_f32_e32 v162, v141, v208
	v_add_f32_e32 v10, v6, v10
	v_mul_f32_e32 v161, v7, v182
	s_waitcnt vmcnt(33)
	v_fma_f32 v165, v7, v209, -v152
	v_add_f32_e32 v11, v11, v157
	ds_read2_b64 v[1:4], v9 offset0:113 offset1:114
	ds_read2_b64 v[148:151], v9 offset0:115 offset1:116
	v_add_f32_e32 v10, v10, v156
	v_fmac_f32_e32 v161, v8, v209
	v_fma_f32 v166, v140, v208, -v153
	s_waitcnt vmcnt(31) lgkmcnt(2)
	v_mul_f32_e32 v168, v144, v201
	v_add_f32_e32 v11, v11, v159
	s_waitcnt vmcnt(30)
	v_mul_f32_e32 v169, v146, v202
	v_add_f32_e32 v10, v10, v158
	v_mul_f32_e32 v141, v145, v201
	v_fmac_f32_e32 v168, v145, v181
	v_add_f32_e32 v145, v11, v163
	v_mul_f32_e32 v170, v147, v202
	v_mul_f32_e32 v140, v143, v200
	;; [unrolled: 1-line block ×3, first 2 shown]
	v_fma_f32 v144, v144, v181, -v141
	s_waitcnt vmcnt(26)
	v_fmac_f32_e32 v169, v147, v203
	v_add_f32_e32 v147, v10, v12
	v_add_f32_e32 v145, v145, v164
	v_fma_f32 v171, v142, v207, -v140
	v_fmac_f32_e32 v167, v143, v207
	v_fma_f32 v146, v146, v203, -v170
	v_add_f32_e32 v147, v147, v160
	v_add_f32_e32 v145, v145, v165
	s_waitcnt vmcnt(23) lgkmcnt(1)
	v_mul_f32_e32 v164, v2, v191
	ds_read2_b64 v[5:8], v9 offset0:117 offset1:118
	ds_read2_b64 v[152:155], v9 offset0:119 offset1:120
	v_mul_f32_e32 v163, v1, v191
	v_add_f32_e32 v147, v147, v161
	v_add_f32_e32 v145, v145, v166
	v_mul_f32_e32 v170, v4, v204
	v_fma_f32 v1, v1, v190, -v164
	v_mul_f32_e32 v160, v3, v204
	v_add_f32_e32 v147, v147, v162
	v_add_f32_e32 v145, v145, v171
	v_fmac_f32_e32 v163, v2, v190
	v_fma_f32 v3, v3, v189, -v170
	s_waitcnt lgkmcnt(2)
	v_mul_f32_e32 v165, v148, v205
	v_add_f32_e32 v147, v147, v167
	v_add_f32_e32 v144, v145, v144
	v_fmac_f32_e32 v160, v4, v189
	s_waitcnt vmcnt(22)
	v_mul_f32_e32 v161, v150, v192
	v_fmac_f32_e32 v165, v149, v188
	v_add_f32_e32 v147, v147, v168
	v_add_f32_e32 v144, v144, v146
	ds_read2_b64 v[140:143], v9 offset0:121 offset1:122
	ds_read2_b64 v[156:159], v9 offset0:123 offset1:124
	s_waitcnt vmcnt(21) lgkmcnt(3)
	v_mul_f32_e32 v172, v5, v206
	s_waitcnt vmcnt(20)
	v_mul_f32_e32 v166, v7, v210
	v_add_f32_e32 v146, v147, v169
	v_mul_f32_e32 v147, v149, v205
	v_add_f32_e32 v1, v144, v1
	v_mul_f32_e32 v144, v151, v192
	s_waitcnt vmcnt(19) lgkmcnt(2)
	v_mul_f32_e32 v162, v152, v193
	v_add_f32_e32 v4, v146, v163
	v_fma_f32 v146, v148, v188, -v147
	v_add_f32_e32 v1, v1, v3
	s_waitcnt vmcnt(9)
	v_fmac_f32_e32 v172, v6, v216
	s_waitcnt vmcnt(8)
	v_fma_f32 v144, v150, v217, -v144
	v_add_f32_e32 v3, v4, v160
	v_mul_f32_e32 v4, v6, v206
	v_add_f32_e32 v1, v1, v146
	v_fmac_f32_e32 v161, v151, v217
	v_mul_f32_e32 v146, v8, v210
	v_add_f32_e32 v3, v3, v165
	v_fma_f32 v4, v5, v216, -v4
	v_add_f32_e32 v1, v1, v144
	v_mul_f32_e32 v5, v153, v193
	v_fma_f32 v6, v7, v196, -v146
	v_add_f32_e32 v3, v3, v161
	v_fmac_f32_e32 v166, v8, v196
	v_add_f32_e32 v1, v1, v4
	v_mul_f32_e32 v4, v155, v211
	v_fma_f32 v5, v152, v184, -v5
	v_add_f32_e32 v3, v3, v172
	v_mul_f32_e32 v173, v154, v211
	v_add_f32_e32 v1, v1, v6
	v_fmac_f32_e32 v162, v153, v184
	ds_read2_b64 v[9:12], v9 offset0:125 offset1:126
	v_add_f32_e32 v3, v3, v166
	s_waitcnt lgkmcnt(2)
	v_mul_f32_e32 v6, v141, v212
	s_waitcnt vmcnt(4)
	v_fma_f32 v4, v154, v219, -v4
	v_add_f32_e32 v1, v1, v5
	v_mul_f32_e32 v171, v140, v212
	v_fmac_f32_e32 v173, v155, v219
	v_add_f32_e32 v3, v3, v162
	v_mul_f32_e32 v5, v143, v194
	v_fma_f32 v6, v140, v218, -v6
	v_add_f32_e32 v1, v1, v4
	v_mul_f32_e32 v167, v142, v194
	v_fmac_f32_e32 v171, v141, v218
	v_add_f32_e32 v3, v3, v173
	s_waitcnt lgkmcnt(1)
	v_mul_f32_e32 v4, v157, v213
	v_fma_f32 v5, v142, v186, -v5
	v_add_f32_e32 v1, v1, v6
	v_mul_f32_e32 v174, v156, v213
	v_fmac_f32_e32 v167, v143, v186
	v_add_f32_e32 v3, v3, v171
	v_mul_f32_e32 v6, v159, v214
	v_fma_f32 v4, v156, v185, -v4
	v_add_f32_e32 v1, v1, v5
	v_mul_f32_e32 v145, v158, v214
	v_fmac_f32_e32 v174, v157, v185
	v_add_f32_e32 v3, v3, v167
	s_waitcnt lgkmcnt(0)
	v_mul_f32_e32 v5, v10, v195
	s_waitcnt vmcnt(1)
	v_fma_f32 v6, v158, v222, -v6
	v_add_f32_e32 v1, v1, v4
	v_mul_f32_e32 v168, v9, v195
	v_fmac_f32_e32 v145, v159, v222
	v_add_f32_e32 v3, v3, v174
	v_mul_f32_e32 v4, v12, v215
	v_fma_f32 v5, v9, v221, -v5
	v_add_f32_e32 v1, v1, v6
	v_mul_f32_e32 v2, v11, v215
	v_fmac_f32_e32 v168, v10, v221
	v_add_f32_e32 v3, v3, v145
	v_fma_f32 v4, v11, v220, -v4
	v_add_f32_e32 v1, v1, v5
	v_fmac_f32_e32 v2, v12, v220
	v_add_f32_e32 v3, v3, v168
	v_add_f32_e32 v1, v1, v4
	;; [unrolled: 1-line block ×3, first 2 shown]
	s_waitcnt vmcnt(0)
	v_sub_f32_e32 v1, v223, v1
	v_sub_f32_e32 v2, v178, v2
	buffer_store_dword v1, off, s[0:3], 0 offset:96
	buffer_store_dword v2, off, s[0:3], 0 offset:100
	v_cmpx_lt_u32_e32 11, v0
	s_cbranch_execz .LBB62_369
; %bb.368:
	s_clause 0x1
	buffer_load_dword v1, off, s[0:3], 0 offset:88
	buffer_load_dword v2, off, s[0:3], 0 offset:92
	v_mov_b32_e32 v3, 0
	buffer_store_dword v3, off, s[0:3], 0 offset:88
	buffer_store_dword v3, off, s[0:3], 0 offset:92
	s_waitcnt vmcnt(0)
	ds_write_b64 v139, v[1:2]
.LBB62_369:
	s_or_b32 exec_lo, exec_lo, s4
	s_waitcnt lgkmcnt(0)
	s_waitcnt_vscnt null, 0x0
	s_barrier
	buffer_gl0_inv
	s_clause 0x34
	buffer_load_dword v2, off, s[0:3], 0 offset:100
	buffer_load_dword v3, off, s[0:3], 0 offset:108
	;; [unrolled: 1-line block ×53, first 2 shown]
	v_mov_b32_e32 v1, 0
	ds_read_b128 v[178:181], v1 offset:608
	ds_read_b128 v[182:185], v1 offset:624
	s_clause 0x1
	buffer_load_dword v177, off, s[0:3], 0 offset:308
	buffer_load_dword v199, off, s[0:3], 0 offset:92
	ds_read_b128 v[186:189], v1 offset:640
	ds_read_b128 v[190:193], v1 offset:656
	s_mov_b32 s4, exec_lo
	s_waitcnt vmcnt(54) lgkmcnt(3)
	v_mul_f32_e32 v200, v178, v2
	v_mul_f32_e32 v2, v179, v2
	s_waitcnt vmcnt(53)
	v_mul_f32_e32 v201, v180, v3
	v_mul_f32_e32 v3, v181, v3
	s_waitcnt vmcnt(52) lgkmcnt(2)
	v_mul_f32_e32 v202, v182, v5
	v_mul_f32_e32 v5, v183, v5
	s_waitcnt vmcnt(49)
	v_fmac_f32_e32 v200, v179, v161
	v_fma_f32 v2, v178, v161, -v2
	s_waitcnt vmcnt(48)
	v_mul_f32_e32 v161, v184, v159
	v_mul_f32_e32 v159, v185, v159
	v_fmac_f32_e32 v201, v181, v156
	v_fma_f32 v3, v180, v156, -v3
	v_fmac_f32_e32 v202, v183, v151
	v_fma_f32 v5, v182, v151, -v5
	s_waitcnt vmcnt(44)
	v_fmac_f32_e32 v161, v185, v175
	v_fma_f32 v175, v184, v175, -v159
	ds_read_b128 v[178:181], v1 offset:672
	ds_read_b128 v[182:185], v1 offset:688
	s_waitcnt vmcnt(43) lgkmcnt(3)
	v_mul_f32_e32 v203, v186, v173
	v_mul_f32_e32 v151, v187, v173
	s_waitcnt vmcnt(41) lgkmcnt(2)
	v_mul_f32_e32 v205, v190, v171
	v_mul_f32_e32 v204, v188, v172
	;; [unrolled: 1-line block ×3, first 2 shown]
	v_fmac_f32_e32 v203, v187, v162
	v_fma_f32 v162, v186, v162, -v151
	s_waitcnt vmcnt(40)
	v_mul_f32_e32 v151, v193, v166
	v_mul_f32_e32 v206, v192, v166
	;; [unrolled: 1-line block ×3, first 2 shown]
	v_fmac_f32_e32 v205, v191, v152
	v_fmac_f32_e32 v204, v189, v157
	s_waitcnt vmcnt(36)
	v_fma_f32 v191, v192, v174, -v151
	v_fma_f32 v207, v188, v157, -v156
	v_fmac_f32_e32 v206, v193, v174
	ds_read_b128 v[171:174], v1 offset:704
	ds_read_b128 v[186:189], v1 offset:720
	v_fma_f32 v190, v190, v152, -v159
	v_add_f32_e32 v2, 0, v2
	s_waitcnt vmcnt(35) lgkmcnt(3)
	v_mul_f32_e32 v192, v178, v170
	v_mul_f32_e32 v151, v179, v170
	s_waitcnt vmcnt(34)
	v_mul_f32_e32 v170, v180, v168
	v_mul_f32_e32 v152, v181, v168
	s_waitcnt vmcnt(33) lgkmcnt(2)
	v_mul_f32_e32 v156, v183, v167
	v_fmac_f32_e32 v192, v179, v158
	v_fma_f32 v178, v178, v158, -v151
	s_waitcnt vmcnt(32)
	v_mul_f32_e32 v179, v184, v163
	v_mul_f32_e32 v151, v185, v163
	;; [unrolled: 1-line block ×3, first 2 shown]
	v_fmac_f32_e32 v170, v181, v153
	v_fma_f32 v163, v180, v153, -v152
	v_fma_f32 v180, v182, v147, -v156
	s_waitcnt vmcnt(28)
	v_fmac_f32_e32 v179, v185, v169
	v_fma_f32 v181, v184, v169, -v151
	ds_read_b128 v[156:159], v1 offset:736
	ds_read_b128 v[166:169], v1 offset:752
	v_fmac_f32_e32 v193, v183, v147
	s_waitcnt vmcnt(27) lgkmcnt(3)
	v_mul_f32_e32 v182, v171, v165
	v_mul_f32_e32 v147, v172, v165
	s_waitcnt vmcnt(26)
	v_mul_f32_e32 v165, v173, v164
	v_mul_f32_e32 v151, v174, v164
	s_waitcnt vmcnt(25) lgkmcnt(2)
	v_mul_f32_e32 v164, v186, v160
	v_mul_f32_e32 v152, v187, v160
	v_fmac_f32_e32 v182, v172, v154
	v_fma_f32 v154, v171, v154, -v147
	v_fmac_f32_e32 v165, v174, v149
	v_fma_f32 v160, v173, v149, -v151
	s_clause 0x4
	buffer_load_dword v171, off, s[0:3], 0 offset:316
	buffer_load_dword v172, off, s[0:3], 0 offset:336
	;; [unrolled: 1-line block ×5, first 2 shown]
	s_waitcnt vmcnt(29)
	v_mul_f32_e32 v184, v188, v148
	v_mul_f32_e32 v147, v189, v148
	v_fmac_f32_e32 v164, v187, v11
	v_fma_f32 v185, v186, v11, -v152
	v_add_f32_e32 v2, v2, v3
	s_waitcnt vmcnt(24)
	v_fmac_f32_e32 v184, v189, v155
	s_waitcnt lgkmcnt(1)
	v_mul_f32_e32 v186, v156, v146
	v_mul_f32_e32 v11, v157, v146
	v_fma_f32 v155, v188, v155, -v147
	ds_read_b128 v[146:149], v1 offset:768
	s_waitcnt vmcnt(23)
	v_mul_f32_e32 v187, v158, v150
	v_fmac_f32_e32 v186, v157, v145
	v_fma_f32 v145, v156, v145, -v11
	buffer_load_dword v156, off, s[0:3], 0 offset:324
	v_mul_f32_e32 v150, v159, v150
	v_fmac_f32_e32 v187, v159, v141
	s_waitcnt vmcnt(23) lgkmcnt(1)
	v_mul_f32_e32 v157, v166, v143
	v_mul_f32_e32 v11, v167, v143
	s_waitcnt vmcnt(22)
	v_mul_f32_e32 v143, v168, v140
	v_fma_f32 v141, v158, v141, -v150
	s_clause 0x1
	buffer_load_dword v158, off, s[0:3], 0 offset:332
	buffer_load_dword v159, off, s[0:3], 0 offset:340
	v_mul_f32_e32 v140, v169, v140
	v_fmac_f32_e32 v157, v167, v9
	v_fma_f32 v166, v166, v9, -v11
	s_clause 0x1
	buffer_load_dword v167, off, s[0:3], 0 offset:348
	buffer_load_dword v188, off, s[0:3], 0 offset:356
	ds_read_b128 v[150:153], v1 offset:784
	v_add_f32_e32 v11, 0, v200
	s_waitcnt vmcnt(22)
	v_fmac_f32_e32 v143, v169, v144
	v_fma_f32 v140, v168, v144, -v140
	s_waitcnt vmcnt(21) lgkmcnt(1)
	v_mul_f32_e32 v9, v147, v142
	s_waitcnt vmcnt(20)
	v_mul_f32_e32 v3, v149, v12
	v_mul_f32_e32 v144, v146, v142
	;; [unrolled: 1-line block ×3, first 2 shown]
	v_add_f32_e32 v2, v2, v5
	v_fma_f32 v12, v146, v10, -v9
	v_fma_f32 v146, v148, v8, -v3
	v_add_f32_e32 v3, v11, v201
	s_clause 0x3
	buffer_load_dword v168, off, s[0:3], 0 offset:368
	buffer_load_dword v169, off, s[0:3], 0 offset:360
	buffer_load_dword v189, off, s[0:3], 0 offset:352
	buffer_load_dword v200, off, s[0:3], 0 offset:344
	v_add_f32_e32 v2, v2, v175
	v_fmac_f32_e32 v144, v147, v10
	v_fmac_f32_e32 v142, v149, v8
	v_add_f32_e32 v3, v3, v202
	s_clause 0x2
	buffer_load_dword v175, off, s[0:3], 0 offset:364
	buffer_load_dword v201, off, s[0:3], 0 offset:372
	;; [unrolled: 1-line block ×3, first 2 shown]
	v_add_f32_e32 v2, v2, v162
	ds_read_b128 v[8:11], v1 offset:800
	s_waitcnt vmcnt(26) lgkmcnt(1)
	v_mul_f32_e32 v5, v151, v7
	v_add_f32_e32 v3, v3, v161
	s_waitcnt vmcnt(25)
	v_mul_f32_e32 v148, v152, v6
	v_mul_f32_e32 v6, v153, v6
	v_add_f32_e32 v2, v2, v207
	v_mul_f32_e32 v147, v150, v7
	v_add_f32_e32 v3, v3, v203
	v_fma_f32 v149, v150, v4, -v5
	s_waitcnt vmcnt(21)
	v_fma_f32 v150, v152, v196, -v6
	v_add_f32_e32 v6, v2, v190
	v_fmac_f32_e32 v148, v153, v196
	v_add_f32_e32 v3, v3, v204
	s_clause 0x4
	buffer_load_dword v161, off, s[0:3], 0 offset:400
	buffer_load_dword v162, off, s[0:3], 0 offset:392
	;; [unrolled: 1-line block ×5, first 2 shown]
	v_fmac_f32_e32 v147, v151, v4
	v_add_f32_e32 v6, v6, v191
	v_add_f32_e32 v7, v3, v205
	ds_read_b128 v[2:5], v1 offset:816
	v_add_f32_e32 v6, v6, v178
	s_waitcnt vmcnt(25) lgkmcnt(1)
	v_mul_f32_e32 v151, v8, v197
	v_add_f32_e32 v7, v7, v206
	v_mul_f32_e32 v152, v9, v197
	s_clause 0x1
	buffer_load_dword v191, off, s[0:3], 0 offset:396
	buffer_load_dword v197, off, s[0:3], 0 offset:404
	v_add_f32_e32 v6, v6, v163
	buffer_load_dword v178, off, s[0:3], 0 offset:412
	v_add_f32_e32 v7, v7, v192
	v_fma_f32 v152, v8, v195, -v152
	s_waitcnt vmcnt(27)
	v_mul_f32_e32 v153, v10, v198
	v_add_f32_e32 v6, v6, v180
	v_mul_f32_e32 v8, v11, v198
	v_add_f32_e32 v7, v7, v170
	v_fmac_f32_e32 v151, v9, v195
	s_clause 0x1
	buffer_load_dword v163, off, s[0:3], 0 offset:420
	buffer_load_dword v192, off, s[0:3], 0 offset:428
	v_add_f32_e32 v6, v6, v181
	buffer_load_dword v170, off, s[0:3], 0 offset:436
	v_add_f32_e32 v7, v7, v193
	v_fmac_f32_e32 v153, v11, v194
	v_fma_f32 v10, v10, v194, -v8
	v_add_f32_e32 v6, v6, v154
	s_clause 0x1
	buffer_load_dword v180, off, s[0:3], 0 offset:444
	buffer_load_dword v194, off, s[0:3], 0 offset:452
	v_add_f32_e32 v7, v7, v179
	s_clause 0x5
	buffer_load_dword v181, off, s[0:3], 0 offset:460
	buffer_load_dword v193, off, s[0:3], 0 offset:468
	;; [unrolled: 1-line block ×6, first 2 shown]
	v_add_f32_e32 v6, v6, v160
	s_waitcnt vmcnt(37) lgkmcnt(0)
	v_mul_f32_e32 v11, v2, v177
	v_add_f32_e32 v7, v7, v182
	s_clause 0x3
	buffer_load_dword v160, off, s[0:3], 0 offset:432
	buffer_load_dword v182, off, s[0:3], 0 offset:424
	;; [unrolled: 1-line block ×4, first 2 shown]
	v_mul_f32_e32 v8, v3, v177
	v_add_f32_e32 v6, v6, v185
	v_fmac_f32_e32 v11, v3, v176
	v_add_f32_e32 v7, v7, v165
	v_fma_f32 v154, v2, v176, -v8
	v_add_f32_e32 v6, v6, v155
	v_add_f32_e32 v7, v7, v164
	s_clause 0x3
	buffer_load_dword v164, off, s[0:3], 0 offset:464
	buffer_load_dword v165, off, s[0:3], 0 offset:456
	;; [unrolled: 1-line block ×4, first 2 shown]
	v_add_f32_e32 v6, v6, v145
	v_add_f32_e32 v7, v7, v184
	;; [unrolled: 1-line block ×4, first 2 shown]
	s_clause 0x3
	buffer_load_dword v184, off, s[0:3], 0 offset:496
	buffer_load_dword v186, off, s[0:3], 0 offset:488
	;; [unrolled: 1-line block ×4, first 2 shown]
	v_add_f32_e32 v6, v6, v166
	v_add_f32_e32 v7, v7, v187
	buffer_load_dword v187, off, s[0:3], 0 offset:88
	v_add_f32_e32 v2, v6, v140
	v_add_f32_e32 v7, v7, v157
	;; [unrolled: 1-line block ×4, first 2 shown]
	ds_read_b128 v[6:9], v1 offset:832
	v_add_f32_e32 v12, v12, v146
	v_add_f32_e32 v140, v3, v144
	;; [unrolled: 1-line block ×4, first 2 shown]
	ds_read_b128 v[140:143], v1 offset:864
	v_add_f32_e32 v12, v12, v150
	v_add_f32_e32 v144, v144, v147
	s_waitcnt vmcnt(48)
	v_mul_f32_e32 v155, v4, v171
	v_mul_f32_e32 v2, v5, v171
	s_waitcnt vmcnt(44)
	v_fmac_f32_e32 v155, v5, v183
	v_fma_f32 v157, v4, v183, -v2
	ds_read_b128 v[2:5], v1 offset:848
	s_waitcnt vmcnt(43) lgkmcnt(2)
	v_mul_f32_e32 v145, v7, v156
	v_mul_f32_e32 v166, v6, v156
	v_fma_f32 v156, v6, v174, -v145
	v_add_f32_e32 v6, v144, v148
	v_fmac_f32_e32 v166, v7, v174
	v_add_f32_e32 v7, v12, v152
	s_waitcnt vmcnt(41) lgkmcnt(0)
	v_mul_f32_e32 v149, v3, v159
	v_mul_f32_e32 v171, v2, v159
	v_add_f32_e32 v6, v6, v151
	ds_read_b128 v[144:147], v1 offset:880
	v_add_f32_e32 v7, v7, v10
	s_waitcnt vmcnt(40)
	v_mul_f32_e32 v10, v5, v167
	v_fma_f32 v159, v2, v172, -v149
	v_add_f32_e32 v6, v6, v153
	v_mul_f32_e32 v12, v8, v158
	v_add_f32_e32 v2, v7, v154
	v_mul_f32_e32 v148, v9, v158
	v_fmac_f32_e32 v171, v3, v172
	v_add_f32_e32 v3, v6, v11
	s_waitcnt vmcnt(39)
	v_mul_f32_e32 v11, v141, v188
	v_fmac_f32_e32 v12, v9, v173
	s_waitcnt vmcnt(35)
	v_fma_f32 v172, v4, v200, -v10
	v_add_f32_e32 v10, v2, v157
	v_fma_f32 v158, v8, v173, -v148
	v_fma_f32 v173, v140, v189, -v11
	v_add_f32_e32 v11, v3, v155
	v_mul_f32_e32 v174, v4, v167
	v_add_f32_e32 v10, v10, v156
	v_mul_f32_e32 v167, v140, v188
	ds_read_b128 v[6:9], v1 offset:896
	ds_read_b128 v[148:151], v1 offset:912
	v_add_f32_e32 v11, v11, v166
	v_fmac_f32_e32 v174, v5, v200
	v_add_f32_e32 v10, v10, v158
	s_waitcnt vmcnt(34)
	v_mul_f32_e32 v176, v142, v175
	v_mul_f32_e32 v140, v143, v175
	v_add_f32_e32 v11, v11, v12
	v_fmac_f32_e32 v167, v141, v189
	v_add_f32_e32 v12, v10, v159
	s_waitcnt vmcnt(33) lgkmcnt(2)
	v_mul_f32_e32 v166, v144, v201
	v_mul_f32_e32 v141, v145, v201
	v_add_f32_e32 v171, v11, v171
	v_fmac_f32_e32 v176, v143, v169
	v_add_f32_e32 v12, v12, v172
	v_fma_f32 v169, v142, v169, -v140
	s_waitcnt vmcnt(32)
	v_mul_f32_e32 v177, v147, v202
	v_add_f32_e32 v171, v171, v174
	v_fmac_f32_e32 v166, v145, v168
	v_add_f32_e32 v12, v12, v173
	v_fma_f32 v168, v144, v168, -v141
	v_mul_f32_e32 v175, v146, v202
	v_add_f32_e32 v167, v171, v167
	s_waitcnt vmcnt(28)
	v_fma_f32 v177, v146, v196, -v177
	v_add_f32_e32 v12, v12, v169
	s_waitcnt vmcnt(27) lgkmcnt(1)
	v_mul_f32_e32 v183, v7, v203
	ds_read_b128 v[2:5], v1 offset:928
	ds_read_b128 v[152:155], v1 offset:944
	v_add_f32_e32 v167, v167, v176
	v_fmac_f32_e32 v175, v147, v196
	v_add_f32_e32 v12, v12, v168
	v_mul_f32_e32 v172, v6, v203
	s_waitcnt vmcnt(26)
	v_mul_f32_e32 v188, v9, v191
	v_add_f32_e32 v166, v167, v166
	v_fma_f32 v6, v6, v190, -v183
	v_add_f32_e32 v12, v12, v177
	v_mul_f32_e32 v174, v8, v191
	v_fmac_f32_e32 v172, v7, v190
	v_add_f32_e32 v166, v166, v175
	s_waitcnt vmcnt(25) lgkmcnt(2)
	v_mul_f32_e32 v183, v149, v197
	v_fma_f32 v8, v8, v162, -v188
	v_add_f32_e32 v6, v12, v6
	v_mul_f32_e32 v173, v148, v197
	v_fmac_f32_e32 v174, v9, v162
	v_add_f32_e32 v12, v166, v172
	s_waitcnt vmcnt(24)
	v_mul_f32_e32 v175, v151, v178
	v_fma_f32 v148, v148, v161, -v183
	v_add_f32_e32 v6, v6, v8
	v_mul_f32_e32 v171, v150, v178
	v_fmac_f32_e32 v173, v149, v161
	v_add_f32_e32 v8, v12, v174
	s_waitcnt vmcnt(23) lgkmcnt(1)
	v_mul_f32_e32 v7, v2, v163
	v_mul_f32_e32 v12, v3, v163
	s_waitcnt vmcnt(9)
	v_fma_f32 v149, v150, v206, -v175
	v_add_f32_e32 v6, v6, v148
	ds_read_b128 v[140:143], v1 offset:960
	ds_read_b128 v[156:159], v1 offset:976
	v_fmac_f32_e32 v171, v151, v206
	v_add_f32_e32 v8, v8, v173
	v_mul_f32_e32 v148, v5, v192
	v_fmac_f32_e32 v7, v3, v205
	v_fma_f32 v2, v2, v205, -v12
	v_add_f32_e32 v3, v6, v149
	v_mul_f32_e32 v169, v4, v192
	v_add_f32_e32 v6, v8, v171
	s_waitcnt lgkmcnt(2)
	v_mul_f32_e32 v8, v153, v170
	v_fma_f32 v4, v4, v182, -v148
	v_add_f32_e32 v2, v3, v2
	v_mul_f32_e32 v176, v152, v170
	v_fmac_f32_e32 v169, v5, v182
	v_add_f32_e32 v3, v6, v7
	v_mul_f32_e32 v5, v155, v180
	v_fma_f32 v6, v152, v160, -v8
	v_add_f32_e32 v2, v2, v4
	v_mul_f32_e32 v9, v154, v180
	v_fmac_f32_e32 v176, v153, v160
	v_add_f32_e32 v3, v3, v169
	s_waitcnt lgkmcnt(1)
	v_mul_f32_e32 v4, v141, v194
	s_waitcnt vmcnt(5)
	v_fma_f32 v5, v154, v207, -v5
	v_add_f32_e32 v2, v2, v6
	ds_read_b128 v[144:147], v1 offset:992
	ds_read_b64 v[10:11], v1 offset:1008
	v_mul_f32_e32 v162, v140, v194
	v_fmac_f32_e32 v9, v155, v207
	v_add_f32_e32 v3, v3, v176
	v_mul_f32_e32 v6, v143, v181
	v_fma_f32 v4, v140, v185, -v4
	v_add_f32_e32 v2, v2, v5
	v_mul_f32_e32 v167, v142, v181
	v_fmac_f32_e32 v162, v141, v185
	v_add_f32_e32 v3, v3, v9
	s_waitcnt lgkmcnt(2)
	v_mul_f32_e32 v5, v157, v193
	v_fma_f32 v6, v142, v165, -v6
	v_add_f32_e32 v2, v2, v4
	v_mul_f32_e32 v168, v156, v193
	v_fmac_f32_e32 v167, v143, v165
	v_add_f32_e32 v3, v3, v162
	v_mul_f32_e32 v4, v159, v195
	v_fma_f32 v5, v156, v164, -v5
	v_add_f32_e32 v2, v2, v6
	v_mul_f32_e32 v188, v158, v195
	v_fmac_f32_e32 v168, v157, v164
	v_add_f32_e32 v3, v3, v167
	s_waitcnt lgkmcnt(1)
	v_mul_f32_e32 v6, v145, v179
	s_waitcnt vmcnt(1)
	v_fma_f32 v4, v158, v209, -v4
	v_add_f32_e32 v2, v2, v5
	v_mul_f32_e32 v177, v144, v179
	v_fmac_f32_e32 v188, v159, v209
	v_add_f32_e32 v3, v3, v168
	v_mul_f32_e32 v5, v147, v198
	v_fma_f32 v6, v144, v208, -v6
	v_add_f32_e32 v2, v2, v4
	v_mul_f32_e32 v178, v146, v198
	v_fmac_f32_e32 v177, v145, v208
	v_add_f32_e32 v3, v3, v188
	s_waitcnt lgkmcnt(0)
	v_mul_f32_e32 v4, v11, v204
	v_fma_f32 v5, v146, v186, -v5
	v_add_f32_e32 v2, v2, v6
	v_mul_f32_e32 v166, v10, v204
	v_fmac_f32_e32 v178, v147, v186
	v_add_f32_e32 v3, v3, v177
	v_fma_f32 v4, v10, v184, -v4
	v_add_f32_e32 v2, v2, v5
	v_fmac_f32_e32 v166, v11, v184
	v_add_f32_e32 v3, v3, v178
	v_add_f32_e32 v2, v2, v4
	;; [unrolled: 1-line block ×3, first 2 shown]
	s_waitcnt vmcnt(0)
	v_sub_f32_e32 v2, v187, v2
	v_sub_f32_e32 v3, v199, v3
	buffer_store_dword v2, off, s[0:3], 0 offset:88
	buffer_store_dword v3, off, s[0:3], 0 offset:92
	v_cmpx_lt_u32_e32 10, v0
	s_cbranch_execz .LBB62_371
; %bb.370:
	s_clause 0x1
	buffer_load_dword v2, off, s[0:3], 0 offset:80
	buffer_load_dword v3, off, s[0:3], 0 offset:84
	buffer_store_dword v1, off, s[0:3], 0 offset:80
	buffer_store_dword v1, off, s[0:3], 0 offset:84
	s_waitcnt vmcnt(0)
	ds_write_b64 v139, v[2:3]
.LBB62_371:
	s_or_b32 exec_lo, exec_lo, s4
	s_waitcnt lgkmcnt(0)
	s_waitcnt_vscnt null, 0x0
	s_barrier
	buffer_gl0_inv
	s_clause 0x3b
	buffer_load_dword v4, off, s[0:3], 0 offset:92
	buffer_load_dword v3, off, s[0:3], 0 offset:104
	;; [unrolled: 1-line block ×60, first 2 shown]
	ds_read2_b64 v[185:188], v1 offset0:75 offset1:76
	ds_read2_b64 v[189:192], v1 offset0:77 offset1:78
	;; [unrolled: 1-line block ×3, first 2 shown]
	buffer_load_dword v202, off, s[0:3], 0 offset:84
	s_mov_b32 s4, exec_lo
	s_waitcnt vmcnt(60) lgkmcnt(2)
	v_mul_f32_e32 v201, v185, v4
	v_mul_f32_e32 v4, v186, v4
	s_waitcnt vmcnt(56)
	v_mul_f32_e32 v203, v187, v10
	v_mul_f32_e32 v10, v188, v10
	v_fmac_f32_e32 v201, v186, v11
	v_fma_f32 v4, v185, v11, -v4
	s_waitcnt vmcnt(55) lgkmcnt(1)
	v_mul_f32_e32 v204, v189, v9
	v_fmac_f32_e32 v203, v188, v7
	v_fma_f32 v7, v187, v7, -v10
	ds_read2_b64 v[185:188], v1 offset0:81 offset1:82
	v_mul_f32_e32 v9, v190, v9
	s_waitcnt vmcnt(54)
	v_mul_f32_e32 v205, v191, v5
	v_mul_f32_e32 v5, v192, v5
	v_fmac_f32_e32 v204, v190, v3
	s_waitcnt vmcnt(48) lgkmcnt(1)
	v_mul_f32_e32 v206, v195, v171
	v_fma_f32 v3, v189, v3, -v9
	v_fmac_f32_e32 v205, v192, v175
	v_fma_f32 v5, v191, v175, -v5
	v_mul_f32_e32 v9, v194, v174
	ds_read2_b64 v[189:192], v1 offset0:83 offset1:84
	v_mul_f32_e32 v175, v193, v174
	v_fmac_f32_e32 v206, v196, v162
	v_add_f32_e32 v4, 0, v4
	v_fma_f32 v174, v193, v170, -v9
	v_mul_f32_e32 v9, v196, v171
	v_fmac_f32_e32 v175, v194, v170
	v_add_f32_e32 v4, v4, v7
	v_fma_f32 v207, v195, v162, -v9
	s_waitcnt vmcnt(47) lgkmcnt(1)
	v_mul_f32_e32 v208, v185, v166
	v_mul_f32_e32 v9, v186, v166
	ds_read2_b64 v[193:196], v1 offset0:85 offset1:86
	s_waitcnt vmcnt(46)
	v_mul_f32_e32 v209, v187, v159
	v_add_f32_e32 v3, v4, v3
	v_fmac_f32_e32 v208, v186, v150
	v_fma_f32 v150, v185, v150, -v9
	v_mul_f32_e32 v9, v188, v159
	s_waitcnt vmcnt(42)
	v_fmac_f32_e32 v209, v188, v173
	s_waitcnt vmcnt(41) lgkmcnt(1)
	v_mul_f32_e32 v211, v189, v172
	v_fma_f32 v210, v187, v173, -v9
	v_mul_f32_e32 v9, v190, v172
	ds_read2_b64 v[170:173], v1 offset0:87 offset1:88
	ds_read2_b64 v[185:188], v1 offset0:89 offset1:90
	v_fmac_f32_e32 v211, v190, v165
	s_waitcnt vmcnt(40)
	v_mul_f32_e32 v190, v191, v167
	v_fma_f32 v189, v189, v165, -v9
	v_mul_f32_e32 v9, v192, v167
	v_fmac_f32_e32 v190, v192, v157
	s_waitcnt vmcnt(39) lgkmcnt(2)
	v_mul_f32_e32 v192, v193, v163
	v_fma_f32 v191, v191, v157, -v9
	v_mul_f32_e32 v9, v194, v163
	s_waitcnt vmcnt(38)
	v_mul_f32_e32 v163, v195, v155
	v_fmac_f32_e32 v192, v194, v145
	v_fma_f32 v145, v193, v145, -v9
	v_mul_f32_e32 v9, v196, v155
	s_waitcnt vmcnt(34)
	v_fmac_f32_e32 v163, v196, v169
	s_waitcnt vmcnt(33) lgkmcnt(1)
	v_mul_f32_e32 v193, v170, v168
	s_waitcnt vmcnt(30) lgkmcnt(0)
	v_mul_f32_e32 v10, v188, v152
	v_fma_f32 v169, v195, v169, -v9
	v_mul_f32_e32 v9, v171, v168
	ds_read2_b64 v[165:168], v1 offset0:91 offset1:92
	v_fmac_f32_e32 v193, v171, v158
	v_mul_f32_e32 v171, v172, v160
	v_fma_f32 v170, v170, v158, -v9
	v_mul_f32_e32 v9, v173, v160
	v_fmac_f32_e32 v171, v173, v148
	v_mul_f32_e32 v173, v187, v152
	s_waitcnt vmcnt(26)
	v_fma_f32 v152, v187, v164, -v10
	v_fma_f32 v148, v172, v148, -v9
	v_mul_f32_e32 v172, v185, v156
	v_mul_f32_e32 v9, v186, v156
	ds_read2_b64 v[155:158], v1 offset0:93 offset1:94
	v_fmac_f32_e32 v173, v188, v164
	v_fmac_f32_e32 v172, v186, v141
	v_fma_f32 v141, v185, v141, -v9
	s_waitcnt vmcnt(25) lgkmcnt(1)
	v_mul_f32_e32 v164, v165, v161
	v_mul_f32_e32 v9, v166, v161
	ds_read2_b64 v[159:162], v1 offset0:95 offset1:96
	v_fmac_f32_e32 v164, v166, v151
	v_fma_f32 v151, v165, v151, -v9
	s_waitcnt vmcnt(24)
	v_mul_f32_e32 v165, v167, v153
	v_mul_f32_e32 v9, v168, v153
	buffer_load_dword v153, off, s[0:3], 0 offset:324
	v_fmac_f32_e32 v165, v168, v143
	v_fma_f32 v143, v167, v143, -v9
	s_waitcnt vmcnt(24) lgkmcnt(1)
	v_mul_f32_e32 v166, v155, v146
	v_mul_f32_e32 v9, v156, v146
	s_waitcnt vmcnt(23)
	v_mul_f32_e32 v146, v157, v144
	v_mul_f32_e32 v10, v158, v144
	buffer_load_dword v144, off, s[0:3], 0 offset:332
	v_fmac_f32_e32 v166, v156, v12
	v_fma_f32 v155, v155, v12, -v9
	s_waitcnt vmcnt(20)
	v_fmac_f32_e32 v146, v158, v154
	v_fma_f32 v154, v157, v154, -v10
	ds_read2_b64 v[9:12], v1 offset0:97 offset1:98
	s_waitcnt vmcnt(18) lgkmcnt(1)
	v_mul_f32_e32 v157, v161, v147
	v_mul_f32_e32 v147, v162, v147
	;; [unrolled: 1-line block ×4, first 2 shown]
	buffer_load_dword v158, off, s[0:3], 0 offset:340
	v_fmac_f32_e32 v157, v162, v140
	v_fma_f32 v140, v161, v140, -v147
	v_add_f32_e32 v161, 0, v201
	v_fmac_f32_e32 v156, v160, v142
	v_fma_f32 v142, v159, v142, -v149
	s_clause 0x6
	buffer_load_dword v159, off, s[0:3], 0 offset:360
	buffer_load_dword v149, off, s[0:3], 0 offset:352
	;; [unrolled: 1-line block ×7, first 2 shown]
	v_add_f32_e32 v7, v161, v203
	buffer_load_dword v161, off, s[0:3], 0 offset:372
	v_add_f32_e32 v7, v7, v204
	s_waitcnt vmcnt(26) lgkmcnt(0)
	v_mul_f32_e32 v185, v9, v8
	v_mul_f32_e32 v4, v10, v8
	s_waitcnt vmcnt(25)
	v_mul_f32_e32 v186, v11, v6
	v_mul_f32_e32 v6, v12, v6
	v_add_f32_e32 v8, v3, v5
	v_add_f32_e32 v7, v7, v205
	v_fmac_f32_e32 v185, v10, v2
	v_fma_f32 v10, v9, v2, -v4
	s_waitcnt vmcnt(21)
	v_fma_f32 v11, v11, v197, -v6
	ds_read2_b64 v[2:5], v1 offset0:99 offset1:100
	v_add_f32_e32 v6, v8, v174
	v_add_f32_e32 v7, v7, v175
	v_fmac_f32_e32 v186, v12, v197
	s_clause 0x6
	buffer_load_dword v12, off, s[0:3], 0 offset:392
	buffer_load_dword v174, off, s[0:3], 0 offset:384
	;; [unrolled: 1-line block ×7, first 2 shown]
	v_add_f32_e32 v6, v6, v207
	v_add_f32_e32 v7, v7, v206
	;; [unrolled: 1-line block ×6, first 2 shown]
	ds_read2_b64 v[6:9], v1 offset0:101 offset1:102
	s_waitcnt vmcnt(27) lgkmcnt(1)
	v_mul_f32_e32 v197, v2, v184
	v_mul_f32_e32 v184, v3, v184
	v_add_f32_e32 v150, v150, v211
	v_add_f32_e32 v189, v196, v189
	s_waitcnt vmcnt(26)
	v_mul_f32_e32 v196, v4, v183
	v_fmac_f32_e32 v197, v3, v181
	v_fma_f32 v181, v2, v181, -v184
	v_add_f32_e32 v3, v150, v190
	v_add_f32_e32 v2, v189, v191
	v_mul_f32_e32 v183, v5, v183
	s_clause 0x3
	buffer_load_dword v184, off, s[0:3], 0 offset:404
	buffer_load_dword v189, off, s[0:3], 0 offset:412
	;; [unrolled: 1-line block ×4, first 2 shown]
	v_fmac_f32_e32 v196, v5, v180
	v_add_f32_e32 v3, v3, v192
	v_add_f32_e32 v2, v2, v145
	v_fma_f32 v150, v4, v180, -v183
	s_clause 0x3
	buffer_load_dword v180, off, s[0:3], 0 offset:436
	buffer_load_dword v183, off, s[0:3], 0 offset:444
	buffer_load_dword v192, off, s[0:3], 0 offset:452
	buffer_load_dword v201, off, s[0:3], 0 offset:460
	v_add_f32_e32 v3, v3, v163
	v_add_f32_e32 v2, v2, v169
	s_waitcnt vmcnt(33) lgkmcnt(0)
	v_mul_f32_e32 v205, v6, v178
	v_mul_f32_e32 v4, v7, v178
	s_clause 0x3
	buffer_load_dword v163, off, s[0:3], 0 offset:468
	buffer_load_dword v169, off, s[0:3], 0 offset:476
	;; [unrolled: 1-line block ×4, first 2 shown]
	v_add_f32_e32 v3, v3, v193
	v_add_f32_e32 v2, v2, v170
	buffer_load_dword v170, off, s[0:3], 0 offset:500
	v_fmac_f32_e32 v205, v7, v177
	v_fma_f32 v177, v6, v177, -v4
	v_add_f32_e32 v6, v3, v171
	s_clause 0x3
	buffer_load_dword v171, off, s[0:3], 0 offset:424
	buffer_load_dword v178, off, s[0:3], 0 offset:416
	buffer_load_dword v193, off, s[0:3], 0 offset:408
	buffer_load_dword v206, off, s[0:3], 0 offset:400
	v_add_f32_e32 v2, v2, v148
	s_waitcnt vmcnt(41)
	v_mul_f32_e32 v148, v8, v176
	v_add_f32_e32 v6, v6, v172
	v_add_f32_e32 v7, v2, v141
	v_mul_f32_e32 v2, v9, v176
	s_waitcnt vmcnt(37)
	v_fmac_f32_e32 v148, v9, v199
	v_add_f32_e32 v6, v6, v173
	v_add_f32_e32 v7, v7, v152
	v_fma_f32 v176, v8, v199, -v2
	ds_read2_b64 v[2:5], v1 offset0:103 offset1:104
	s_clause 0x3
	buffer_load_dword v172, off, s[0:3], 0 offset:456
	buffer_load_dword v173, off, s[0:3], 0 offset:448
	;; [unrolled: 1-line block ×4, first 2 shown]
	v_add_f32_e32 v6, v6, v164
	v_add_f32_e32 v7, v7, v151
	;; [unrolled: 1-line block ×4, first 2 shown]
	ds_read2_b64 v[6:9], v1 offset0:105 offset1:106
	v_add_f32_e32 v141, v141, v155
	v_add_f32_e32 v143, v143, v166
	s_waitcnt vmcnt(40) lgkmcnt(1)
	v_mul_f32_e32 v152, v2, v200
	v_mul_f32_e32 v145, v3, v200
	v_fmac_f32_e32 v152, v3, v198
	v_fma_f32 v155, v2, v198, -v145
	s_clause 0x5
	buffer_load_dword v164, off, s[0:3], 0 offset:488
	buffer_load_dword v165, off, s[0:3], 0 offset:480
	;; [unrolled: 1-line block ×6, first 2 shown]
	v_add_f32_e32 v2, v141, v154
	v_add_f32_e32 v3, v143, v146
	;; [unrolled: 1-line block ×18, first 2 shown]
	s_waitcnt vmcnt(44)
	v_mul_f32_e32 v156, v4, v153
	v_mul_f32_e32 v140, v5, v153
	v_fmac_f32_e32 v156, v5, v182
	v_fma_f32 v157, v4, v182, -v140
	ds_read2_b64 v[2:5], v1 offset0:107 offset1:108
	ds_read2_b64 v[140:143], v1 offset0:109 offset1:110
	s_waitcnt vmcnt(43) lgkmcnt(2)
	v_mul_f32_e32 v11, v6, v144
	v_mul_f32_e32 v144, v7, v144
	v_add_f32_e32 v10, v10, v157
	v_fmac_f32_e32 v11, v7, v179
	s_waitcnt vmcnt(42)
	v_mul_f32_e32 v182, v8, v158
	v_mul_f32_e32 v146, v9, v158
	v_fma_f32 v158, v6, v179, -v144
	s_waitcnt vmcnt(38)
	v_fmac_f32_e32 v182, v9, v147
	v_fma_f32 v179, v8, v147, -v146
	ds_read2_b64 v[6:9], v1 offset0:111 offset1:112
	ds_read2_b64 v[144:147], v1 offset0:113 offset1:114
	s_waitcnt vmcnt(36) lgkmcnt(3)
	v_mul_f32_e32 v153, v5, v167
	v_mul_f32_e32 v181, v2, v162
	v_mul_f32_e32 v150, v3, v162
	v_mul_f32_e32 v162, v4, v167
	s_waitcnt vmcnt(35) lgkmcnt(2)
	v_mul_f32_e32 v167, v140, v168
	v_mul_f32_e32 v154, v141, v168
	v_fma_f32 v177, v4, v149, -v153
	v_add_f32_e32 v153, v151, v148
	v_fmac_f32_e32 v181, v3, v160
	v_fmac_f32_e32 v167, v141, v159
	v_fma_f32 v176, v140, v159, -v154
	v_fma_f32 v160, v2, v160, -v150
	v_add_f32_e32 v159, v153, v152
	v_fmac_f32_e32 v162, v5, v149
	s_waitcnt vmcnt(34)
	v_mul_f32_e32 v168, v142, v161
	v_mul_f32_e32 v161, v143, v161
	ds_read2_b64 v[2:5], v1 offset0:115 offset1:116
	ds_read2_b64 v[148:151], v1 offset0:117 offset1:118
	v_add_f32_e32 v156, v159, v156
	s_waitcnt vmcnt(29) lgkmcnt(3)
	v_mul_f32_e32 v185, v6, v188
	v_mul_f32_e32 v157, v7, v188
	v_fma_f32 v161, v142, v187, -v161
	v_fmac_f32_e32 v168, v143, v187
	s_waitcnt vmcnt(28)
	v_mul_f32_e32 v186, v8, v194
	v_fmac_f32_e32 v185, v7, v175
	v_add_f32_e32 v7, v10, v158
	v_add_f32_e32 v10, v156, v11
	v_fma_f32 v11, v6, v175, -v157
	v_mul_f32_e32 v159, v9, v194
	ds_read2_b64 v[140:143], v1 offset0:119 offset1:120
	ds_read2_b64 v[152:155], v1 offset0:121 offset1:122
	v_add_f32_e32 v175, v7, v179
	v_add_f32_e32 v10, v10, v182
	v_fmac_f32_e32 v186, v9, v174
	v_fma_f32 v174, v8, v174, -v159
	ds_read2_b64 v[6:9], v1 offset0:123 offset1:124
	ds_read2_b64 v[156:159], v1 offset0:125 offset1:126
	v_add_f32_e32 v160, v175, v160
	v_add_f32_e32 v10, v10, v181
	s_waitcnt vmcnt(27) lgkmcnt(6)
	v_mul_f32_e32 v1, v144, v195
	v_mul_f32_e32 v175, v145, v195
	v_add_f32_e32 v160, v160, v177
	v_add_f32_e32 v10, v10, v162
	v_fmac_f32_e32 v1, v145, v12
	s_waitcnt vmcnt(26)
	v_mul_f32_e32 v181, v147, v184
	v_fma_f32 v12, v144, v12, -v175
	v_add_f32_e32 v160, v160, v176
	v_add_f32_e32 v10, v10, v167
	v_mul_f32_e32 v179, v146, v184
	s_waitcnt vmcnt(25) lgkmcnt(5)
	v_mul_f32_e32 v177, v2, v189
	v_mul_f32_e32 v145, v3, v189
	v_add_f32_e32 v160, v160, v161
	v_add_f32_e32 v10, v10, v168
	s_waitcnt vmcnt(24)
	v_mul_f32_e32 v162, v4, v190
	s_waitcnt vmcnt(23) lgkmcnt(4)
	v_mul_f32_e32 v182, v148, v191
	s_waitcnt vmcnt(22)
	v_mul_f32_e32 v176, v150, v180
	v_add_f32_e32 v11, v160, v11
	v_add_f32_e32 v10, v10, v185
	s_waitcnt vmcnt(21) lgkmcnt(3)
	v_mul_f32_e32 v167, v140, v183
	s_waitcnt vmcnt(20)
	v_mul_f32_e32 v184, v142, v192
	s_waitcnt vmcnt(19) lgkmcnt(2)
	v_mul_f32_e32 v161, v152, v201
	v_add_f32_e32 v11, v11, v174
	v_add_f32_e32 v10, v10, v186
	s_waitcnt vmcnt(12)
	v_fmac_f32_e32 v162, v5, v178
	s_waitcnt vmcnt(11)
	v_fmac_f32_e32 v177, v3, v193
	s_waitcnt vmcnt(10)
	v_fma_f32 v146, v146, v206, -v181
	v_add_f32_e32 v11, v11, v12
	v_fmac_f32_e32 v179, v147, v206
	v_add_f32_e32 v1, v10, v1
	v_mul_f32_e32 v10, v5, v190
	v_fma_f32 v2, v2, v193, -v145
	v_add_f32_e32 v3, v11, v146
	v_mul_f32_e32 v11, v149, v191
	v_add_f32_e32 v1, v1, v179
	v_fma_f32 v4, v4, v178, -v10
	v_fmac_f32_e32 v182, v149, v171
	v_add_f32_e32 v2, v3, v2
	v_mul_f32_e32 v3, v151, v180
	v_add_f32_e32 v1, v1, v177
	v_fma_f32 v5, v148, v171, -v11
	s_waitcnt vmcnt(6)
	v_fmac_f32_e32 v176, v151, v207
	v_add_f32_e32 v2, v2, v4
	v_mul_f32_e32 v4, v141, v183
	v_add_f32_e32 v1, v1, v162
	v_fma_f32 v3, v150, v207, -v3
	v_fmac_f32_e32 v167, v141, v199
	v_add_f32_e32 v2, v2, v5
	v_mul_f32_e32 v5, v143, v192
	v_add_f32_e32 v1, v1, v182
	v_fma_f32 v4, v140, v199, -v4
	;; [unrolled: 5-line block ×3, first 2 shown]
	v_mul_f32_e32 v168, v154, v163
	v_add_f32_e32 v2, v2, v4
	v_mul_f32_e32 v4, v155, v163
	v_add_f32_e32 v1, v1, v167
	v_fma_f32 v3, v152, v172, -v3
	v_fmac_f32_e32 v161, v153, v172
	v_add_f32_e32 v2, v2, v5
	s_waitcnt lgkmcnt(1)
	v_mul_f32_e32 v5, v7, v169
	v_add_f32_e32 v1, v1, v184
	v_mul_f32_e32 v187, v6, v169
	s_waitcnt vmcnt(2)
	v_fma_f32 v4, v154, v198, -v4
	v_add_f32_e32 v2, v2, v3
	v_fmac_f32_e32 v168, v155, v198
	v_add_f32_e32 v1, v1, v161
	v_mul_f32_e32 v3, v9, v203
	v_fma_f32 v5, v6, v166, -v5
	v_add_f32_e32 v2, v2, v4
	v_mul_f32_e32 v160, v8, v203
	v_fmac_f32_e32 v187, v7, v166
	v_add_f32_e32 v1, v1, v168
	s_waitcnt lgkmcnt(0)
	v_mul_f32_e32 v4, v157, v204
	v_fma_f32 v3, v8, v165, -v3
	v_add_f32_e32 v2, v2, v5
	v_mul_f32_e32 v185, v156, v204
	v_fmac_f32_e32 v160, v9, v165
	v_add_f32_e32 v1, v1, v187
	v_mul_f32_e32 v5, v159, v170
	v_fma_f32 v4, v156, v164, -v4
	v_add_f32_e32 v2, v2, v3
	v_mul_f32_e32 v144, v158, v170
	v_fmac_f32_e32 v185, v157, v164
	v_add_f32_e32 v1, v1, v160
	s_waitcnt vmcnt(1)
	v_fma_f32 v3, v158, v200, -v5
	v_add_f32_e32 v2, v2, v4
	v_fmac_f32_e32 v144, v159, v200
	v_add_f32_e32 v1, v1, v185
	v_add_f32_e32 v2, v2, v3
	;; [unrolled: 1-line block ×3, first 2 shown]
	s_waitcnt vmcnt(0)
	v_sub_f32_e32 v2, v208, v2
	v_sub_f32_e32 v1, v202, v1
	buffer_store_dword v2, off, s[0:3], 0 offset:80
	buffer_store_dword v1, off, s[0:3], 0 offset:84
	v_cmpx_lt_u32_e32 9, v0
	s_cbranch_execz .LBB62_373
; %bb.372:
	s_clause 0x1
	buffer_load_dword v1, off, s[0:3], 0 offset:72
	buffer_load_dword v2, off, s[0:3], 0 offset:76
	v_mov_b32_e32 v3, 0
	buffer_store_dword v3, off, s[0:3], 0 offset:72
	buffer_store_dword v3, off, s[0:3], 0 offset:76
	s_waitcnt vmcnt(0)
	ds_write_b64 v139, v[1:2]
.LBB62_373:
	s_or_b32 exec_lo, exec_lo, s4
	s_waitcnt lgkmcnt(0)
	s_waitcnt_vscnt null, 0x0
	s_barrier
	buffer_gl0_inv
	s_clause 0x3b
	buffer_load_dword v9, off, s[0:3], 0 offset:84
	buffer_load_dword v2, off, s[0:3], 0 offset:96
	;; [unrolled: 1-line block ×60, first 2 shown]
	v_mov_b32_e32 v1, 0
	ds_read_b128 v[185:188], v1 offset:592
	ds_read_b128 v[189:192], v1 offset:608
	;; [unrolled: 1-line block ×3, first 2 shown]
	buffer_load_dword v202, off, s[0:3], 0 offset:76
	s_mov_b32 s4, exec_lo
	s_waitcnt vmcnt(60) lgkmcnt(2)
	v_mul_f32_e32 v201, v185, v9
	v_mul_f32_e32 v9, v186, v9
	s_waitcnt vmcnt(56)
	v_mul_f32_e32 v203, v187, v6
	v_mul_f32_e32 v6, v188, v6
	v_fmac_f32_e32 v201, v186, v7
	v_fma_f32 v9, v185, v7, -v9
	s_waitcnt vmcnt(55) lgkmcnt(1)
	v_mul_f32_e32 v205, v189, v5
	v_fmac_f32_e32 v203, v188, v4
	v_fma_f32 v204, v187, v4, -v6
	v_mul_f32_e32 v185, v190, v5
	ds_read_b128 v[4:7], v1 offset:640
	v_fmac_f32_e32 v205, v190, v2
	s_waitcnt vmcnt(54)
	v_mul_f32_e32 v207, v191, v3
	s_waitcnt vmcnt(49) lgkmcnt(1)
	v_mul_f32_e32 v208, v193, v174
	v_fma_f32 v206, v189, v2, -v185
	v_mul_f32_e32 v2, v192, v3
	ds_read_b128 v[185:188], v1 offset:656
	v_fmac_f32_e32 v207, v192, v175
	v_fmac_f32_e32 v208, v194, v170
	v_add_f32_e32 v9, 0, v9
	v_fma_f32 v175, v191, v175, -v2
	v_mul_f32_e32 v2, v194, v174
	ds_read_b128 v[189:192], v1 offset:672
	v_add_f32_e32 v9, v9, v204
	v_fma_f32 v174, v193, v170, -v2
	s_waitcnt vmcnt(48)
	v_mul_f32_e32 v193, v195, v171
	v_mul_f32_e32 v2, v196, v171
	v_add_f32_e32 v9, v9, v206
	s_waitcnt vmcnt(47) lgkmcnt(2)
	v_mul_f32_e32 v194, v4, v166
	v_fmac_f32_e32 v193, v196, v162
	v_fma_f32 v162, v195, v162, -v2
	v_mul_f32_e32 v2, v5, v166
	v_fmac_f32_e32 v194, v5, v150
	s_waitcnt vmcnt(46)
	v_mul_f32_e32 v195, v6, v159
	v_fma_f32 v150, v4, v150, -v2
	v_mul_f32_e32 v2, v7, v159
	s_waitcnt vmcnt(42)
	v_fmac_f32_e32 v195, v7, v173
	s_waitcnt vmcnt(41) lgkmcnt(1)
	v_mul_f32_e32 v159, v185, v172
	v_mul_f32_e32 v7, v186, v172
	v_fma_f32 v6, v6, v173, -v2
	ds_read_b128 v[2:5], v1 offset:688
	ds_read_b128 v[170:173], v1 offset:704
	v_fmac_f32_e32 v159, v186, v165
	v_fma_f32 v185, v185, v165, -v7
	s_waitcnt vmcnt(40)
	v_mul_f32_e32 v186, v187, v167
	v_mul_f32_e32 v7, v188, v167
	v_fmac_f32_e32 v186, v188, v157
	v_fma_f32 v187, v187, v157, -v7
	s_waitcnt vmcnt(39) lgkmcnt(2)
	v_mul_f32_e32 v188, v189, v163
	v_mul_f32_e32 v7, v190, v163
	s_waitcnt vmcnt(38)
	v_mul_f32_e32 v163, v191, v155
	v_fmac_f32_e32 v188, v190, v145
	v_fma_f32 v145, v189, v145, -v7
	v_mul_f32_e32 v7, v192, v155
	s_waitcnt vmcnt(34)
	v_fmac_f32_e32 v163, v192, v169
	s_waitcnt vmcnt(33) lgkmcnt(1)
	v_mul_f32_e32 v189, v2, v168
	s_waitcnt vmcnt(30) lgkmcnt(0)
	v_mul_f32_e32 v192, v172, v152
	v_fma_f32 v169, v191, v169, -v7
	v_mul_f32_e32 v7, v3, v168
	ds_read_b128 v[165:168], v1 offset:720
	v_mul_f32_e32 v191, v4, v160
	v_fmac_f32_e32 v189, v3, v158
	s_waitcnt vmcnt(26)
	v_fmac_f32_e32 v192, v173, v164
	v_fma_f32 v190, v2, v158, -v7
	v_mul_f32_e32 v2, v5, v160
	v_fmac_f32_e32 v191, v5, v148
	v_mul_f32_e32 v160, v170, v156
	v_mul_f32_e32 v7, v173, v152
	v_fma_f32 v148, v4, v148, -v2
	v_mul_f32_e32 v2, v171, v156
	v_fmac_f32_e32 v160, v171, v141
	v_fma_f32 v152, v172, v164, -v7
	ds_read_b128 v[155:158], v1 offset:752
	v_fma_f32 v141, v170, v141, -v2
	ds_read_b128 v[2:5], v1 offset:736
	s_waitcnt vmcnt(25) lgkmcnt(2)
	v_mul_f32_e32 v164, v165, v161
	v_mul_f32_e32 v7, v166, v161
	s_waitcnt vmcnt(24)
	v_mul_f32_e32 v161, v167, v153
	v_fmac_f32_e32 v164, v166, v151
	v_fma_f32 v151, v165, v151, -v7
	v_mul_f32_e32 v7, v168, v153
	v_fmac_f32_e32 v161, v168, v143
	s_clause 0x1
	buffer_load_dword v153, off, s[0:3], 0 offset:316
	buffer_load_dword v166, off, s[0:3], 0 offset:324
	v_fma_f32 v143, v167, v143, -v7
	buffer_load_dword v167, off, s[0:3], 0 offset:332
	s_waitcnt vmcnt(26) lgkmcnt(0)
	v_mul_f32_e32 v165, v2, v146
	v_mul_f32_e32 v7, v3, v146
	s_waitcnt vmcnt(25)
	v_mul_f32_e32 v146, v4, v144
	v_mul_f32_e32 v144, v5, v144
	v_fmac_f32_e32 v165, v3, v12
	v_fma_f32 v12, v2, v12, -v7
	s_waitcnt vmcnt(21)
	v_fmac_f32_e32 v146, v5, v154
	v_fma_f32 v144, v4, v154, -v144
	ds_read_b128 v[2:5], v1 offset:768
	s_waitcnt vmcnt(20)
	v_mul_f32_e32 v154, v155, v149
	v_mul_f32_e32 v7, v156, v149
	s_waitcnt vmcnt(19)
	v_mul_f32_e32 v149, v157, v147
	v_mul_f32_e32 v147, v158, v147
	v_fmac_f32_e32 v154, v156, v142
	v_fma_f32 v142, v155, v142, -v7
	v_add_f32_e32 v7, 0, v201
	v_fmac_f32_e32 v149, v158, v140
	v_fma_f32 v140, v157, v140, -v147
	s_clause 0x6
	buffer_load_dword v155, off, s[0:3], 0 offset:352
	buffer_load_dword v156, off, s[0:3], 0 offset:344
	buffer_load_dword v157, off, s[0:3], 0 offset:336
	buffer_load_dword v147, off, s[0:3], 0 offset:328
	buffer_load_dword v158, off, s[0:3], 0 offset:340
	buffer_load_dword v168, off, s[0:3], 0 offset:348
	buffer_load_dword v170, off, s[0:3], 0 offset:356
	v_add_f32_e32 v7, v7, v203
	buffer_load_dword v171, off, s[0:3], 0 offset:364
	v_add_f32_e32 v7, v7, v205
	s_waitcnt vmcnt(26) lgkmcnt(0)
	v_mul_f32_e32 v172, v2, v11
	v_mul_f32_e32 v11, v3, v11
	s_waitcnt vmcnt(25)
	v_mul_f32_e32 v173, v4, v10
	v_add_f32_e32 v7, v7, v207
	v_mul_f32_e32 v10, v5, v10
	v_fmac_f32_e32 v172, v3, v8
	v_fma_f32 v11, v2, v8, -v11
	v_add_f32_e32 v8, v9, v175
	v_add_f32_e32 v7, v7, v208
	s_waitcnt vmcnt(21)
	v_fmac_f32_e32 v173, v5, v197
	v_fma_f32 v10, v4, v197, -v10
	ds_read_b128 v[2:5], v1 offset:784
	v_add_f32_e32 v8, v8, v174
	v_add_f32_e32 v7, v7, v193
	s_clause 0x3
	buffer_load_dword v174, off, s[0:3], 0 offset:384
	buffer_load_dword v175, off, s[0:3], 0 offset:376
	;; [unrolled: 1-line block ×4, first 2 shown]
	v_add_f32_e32 v8, v8, v162
	v_add_f32_e32 v8, v8, v150
	;; [unrolled: 1-line block ×3, first 2 shown]
	s_clause 0x2
	buffer_load_dword v162, off, s[0:3], 0 offset:372
	buffer_load_dword v193, off, s[0:3], 0 offset:380
	;; [unrolled: 1-line block ×3, first 2 shown]
	v_add_f32_e32 v201, v8, v6
	v_add_f32_e32 v150, v150, v195
	ds_read_b128 v[6:9], v1 offset:800
	s_waitcnt vmcnt(27) lgkmcnt(1)
	v_mul_f32_e32 v195, v2, v184
	v_mul_f32_e32 v184, v3, v184
	v_add_f32_e32 v185, v201, v185
	s_waitcnt vmcnt(26)
	v_mul_f32_e32 v201, v4, v183
	v_mul_f32_e32 v183, v5, v183
	v_fmac_f32_e32 v195, v3, v182
	v_add_f32_e32 v3, v150, v159
	v_add_f32_e32 v150, v185, v187
	v_fma_f32 v159, v2, v182, -v184
	v_fmac_f32_e32 v201, v5, v180
	v_fma_f32 v180, v4, v180, -v183
	v_add_f32_e32 v2, v3, v186
	v_add_f32_e32 v3, v150, v145
	s_clause 0x7
	buffer_load_dword v182, off, s[0:3], 0 offset:396
	buffer_load_dword v183, off, s[0:3], 0 offset:404
	;; [unrolled: 1-line block ×8, first 2 shown]
	v_add_f32_e32 v2, v2, v188
	v_add_f32_e32 v3, v3, v169
	s_waitcnt vmcnt(33) lgkmcnt(0)
	v_mul_f32_e32 v150, v6, v179
	v_mul_f32_e32 v4, v7, v179
	s_clause 0x1
	buffer_load_dword v169, off, s[0:3], 0 offset:428
	buffer_load_dword v188, off, s[0:3], 0 offset:436
	v_add_f32_e32 v2, v2, v163
	v_add_f32_e32 v3, v3, v190
	v_fmac_f32_e32 v150, v7, v177
	v_fma_f32 v177, v6, v177, -v4
	s_clause 0x1
	buffer_load_dword v163, off, s[0:3], 0 offset:444
	buffer_load_dword v179, off, s[0:3], 0 offset:452
	v_add_f32_e32 v2, v2, v189
	v_add_f32_e32 v3, v3, v148
	s_clause 0x3
	buffer_load_dword v189, off, s[0:3], 0 offset:460
	buffer_load_dword v190, off, s[0:3], 0 offset:468
	;; [unrolled: 1-line block ×4, first 2 shown]
	s_waitcnt vmcnt(40)
	v_mul_f32_e32 v148, v8, v176
	v_add_f32_e32 v2, v2, v191
	v_add_f32_e32 v6, v3, v141
	v_mul_f32_e32 v3, v9, v176
	buffer_load_dword v191, off, s[0:3], 0 offset:492
	s_waitcnt vmcnt(37)
	v_fmac_f32_e32 v148, v9, v199
	v_add_f32_e32 v7, v2, v160
	v_add_f32_e32 v6, v6, v152
	v_fma_f32 v176, v8, v199, -v3
	ds_read_b128 v[2:5], v1 offset:816
	buffer_load_dword v160, off, s[0:3], 0 offset:500
	v_add_f32_e32 v7, v7, v192
	v_add_f32_e32 v6, v6, v151
	;; [unrolled: 1-line block ×3, first 2 shown]
	s_clause 0x3
	buffer_load_dword v164, off, s[0:3], 0 offset:448
	buffer_load_dword v192, off, s[0:3], 0 offset:440
	;; [unrolled: 1-line block ×4, first 2 shown]
	v_add_f32_e32 v6, v6, v143
	v_add_f32_e32 v141, v7, v161
	;; [unrolled: 1-line block ×3, first 2 shown]
	ds_read_b128 v[6:9], v1 offset:832
	v_add_f32_e32 v141, v141, v165
	v_add_f32_e32 v12, v12, v144
	s_waitcnt vmcnt(41) lgkmcnt(1)
	v_mul_f32_e32 v151, v2, v200
	v_mul_f32_e32 v143, v3, v200
	v_fmac_f32_e32 v151, v3, v198
	v_fma_f32 v152, v2, v198, -v143
	v_add_f32_e32 v3, v12, v142
	s_clause 0x6
	buffer_load_dword v12, off, s[0:3], 0 offset:480
	buffer_load_dword v161, off, s[0:3], 0 offset:472
	;; [unrolled: 1-line block ×7, first 2 shown]
	v_add_f32_e32 v2, v141, v146
	v_add_f32_e32 v3, v3, v140
	;; [unrolled: 1-line block ×18, first 2 shown]
	s_waitcnt vmcnt(46)
	v_mul_f32_e32 v11, v4, v153
	v_mul_f32_e32 v140, v5, v153
	s_waitcnt vmcnt(45) lgkmcnt(0)
	v_mul_f32_e32 v159, v6, v166
	v_mul_f32_e32 v145, v7, v166
	s_waitcnt vmcnt(44)
	v_mul_f32_e32 v166, v8, v167
	v_mul_f32_e32 v146, v9, v167
	v_fmac_f32_e32 v11, v5, v181
	v_fma_f32 v153, v4, v181, -v140
	ds_read_b128 v[2:5], v1 offset:848
	ds_read_b128 v[140:143], v1 offset:864
	v_fmac_f32_e32 v159, v7, v178
	v_fma_f32 v167, v6, v178, -v145
	v_add_f32_e32 v10, v10, v153
	v_add_f32_e32 v11, v152, v11
	;; [unrolled: 1-line block ×4, first 2 shown]
	s_waitcnt vmcnt(40)
	v_fmac_f32_e32 v166, v9, v147
	v_fma_f32 v172, v8, v147, -v146
	ds_read_b128 v[6:9], v1 offset:880
	ds_read_b128 v[144:147], v1 offset:896
	s_waitcnt vmcnt(39) lgkmcnt(3)
	v_mul_f32_e32 v173, v2, v158
	v_mul_f32_e32 v154, v3, v158
	s_waitcnt vmcnt(38)
	v_mul_f32_e32 v177, v4, v168
	v_mul_f32_e32 v150, v5, v168
	s_waitcnt vmcnt(37) lgkmcnt(2)
	v_mul_f32_e32 v168, v140, v170
	v_mul_f32_e32 v158, v141, v170
	v_fmac_f32_e32 v173, v3, v157
	v_fma_f32 v157, v2, v157, -v154
	v_fmac_f32_e32 v177, v5, v156
	v_fma_f32 v170, v4, v156, -v150
	s_waitcnt vmcnt(36)
	v_mul_f32_e32 v176, v142, v171
	v_mul_f32_e32 v154, v143, v171
	v_fma_f32 v171, v140, v155, -v158
	v_fmac_f32_e32 v168, v141, v155
	ds_read_b128 v[2:5], v1 offset:912
	ds_read_b128 v[148:151], v1 offset:928
	s_waitcnt vmcnt(32)
	v_fma_f32 v178, v142, v197, -v154
	v_fmac_f32_e32 v176, v143, v197
	ds_read_b128 v[140:143], v1 offset:944
	ds_read_b128 v[152:155], v1 offset:960
	s_waitcnt vmcnt(31) lgkmcnt(5)
	v_mul_f32_e32 v167, v6, v162
	v_mul_f32_e32 v156, v7, v162
	s_waitcnt vmcnt(30)
	v_mul_f32_e32 v158, v9, v193
	v_mul_f32_e32 v180, v8, v193
	v_fmac_f32_e32 v167, v7, v196
	v_add_f32_e32 v7, v10, v172
	v_add_f32_e32 v10, v11, v166
	v_fma_f32 v162, v6, v196, -v156
	v_fma_f32 v166, v8, v175, -v158
	v_fmac_f32_e32 v180, v9, v175
	v_add_f32_e32 v172, v7, v157
	v_add_f32_e32 v173, v10, v173
	ds_read_b128 v[6:9], v1 offset:976
	ds_read_b128 v[156:159], v1 offset:992
	ds_read_b64 v[10:11], v1 offset:1008
	s_waitcnt vmcnt(28) lgkmcnt(7)
	v_mul_f32_e32 v181, v147, v182
	v_add_f32_e32 v170, v172, v170
	v_add_f32_e32 v173, v173, v177
	v_mul_f32_e32 v177, v145, v194
	v_mul_f32_e32 v172, v144, v194
	;; [unrolled: 1-line block ×3, first 2 shown]
	v_add_f32_e32 v170, v170, v171
	v_add_f32_e32 v168, v173, v168
	v_fma_f32 v144, v144, v174, -v177
	v_fmac_f32_e32 v172, v145, v174
	s_waitcnt vmcnt(27) lgkmcnt(6)
	v_mul_f32_e32 v171, v2, v183
	v_add_f32_e32 v170, v170, v178
	v_add_f32_e32 v168, v168, v176
	v_mul_f32_e32 v177, v3, v183
	s_waitcnt vmcnt(21)
	v_fma_f32 v146, v146, v204, -v181
	v_fmac_f32_e32 v175, v147, v204
	v_add_f32_e32 v162, v170, v162
	v_add_f32_e32 v167, v168, v167
	v_fmac_f32_e32 v171, v3, v203
	v_fma_f32 v2, v2, v203, -v177
	v_mul_f32_e32 v173, v4, v184
	v_add_f32_e32 v162, v162, v166
	v_add_f32_e32 v166, v167, v180
	v_mul_f32_e32 v167, v5, v184
	s_waitcnt lgkmcnt(5)
	v_mul_f32_e32 v145, v148, v185
	v_fmac_f32_e32 v173, v5, v187
	v_add_f32_e32 v144, v162, v144
	v_add_f32_e32 v162, v166, v172
	v_fma_f32 v4, v4, v187, -v167
	s_waitcnt vmcnt(20)
	v_mul_f32_e32 v5, v151, v169
	v_mul_f32_e32 v174, v150, v169
	v_add_f32_e32 v3, v144, v146
	v_add_f32_e32 v144, v162, v175
	v_mul_f32_e32 v146, v149, v185
	v_fmac_f32_e32 v145, v149, v186
	s_waitcnt vmcnt(19) lgkmcnt(4)
	v_mul_f32_e32 v176, v140, v188
	v_add_f32_e32 v2, v3, v2
	v_add_f32_e32 v3, v144, v171
	v_fma_f32 v144, v148, v186, -v146
	s_waitcnt vmcnt(18)
	v_mul_f32_e32 v147, v142, v163
	s_waitcnt vmcnt(8)
	v_fmac_f32_e32 v176, v141, v199
	v_add_f32_e32 v2, v2, v4
	v_add_f32_e32 v3, v3, v173
	v_mul_f32_e32 v4, v141, v188
	s_waitcnt vmcnt(7)
	v_fma_f32 v5, v150, v207, -v5
	v_fmac_f32_e32 v174, v151, v207
	v_add_f32_e32 v2, v2, v144
	v_add_f32_e32 v3, v3, v145
	v_mul_f32_e32 v144, v143, v163
	v_fma_f32 v4, v140, v199, -v4
	s_waitcnt lgkmcnt(3)
	v_mul_f32_e32 v178, v152, v179
	v_add_f32_e32 v2, v2, v5
	v_add_f32_e32 v3, v3, v174
	v_mul_f32_e32 v5, v153, v179
	v_fma_f32 v140, v142, v192, -v144
	v_fmac_f32_e32 v147, v143, v192
	v_add_f32_e32 v2, v2, v4
	v_add_f32_e32 v3, v3, v176
	v_mul_f32_e32 v4, v155, v189
	v_fma_f32 v5, v152, v164, -v5
	v_mul_f32_e32 v168, v154, v189
	v_add_f32_e32 v2, v2, v140
	v_fmac_f32_e32 v178, v153, v164
	v_add_f32_e32 v3, v3, v147
	s_waitcnt lgkmcnt(2)
	v_mul_f32_e32 v140, v7, v190
	s_waitcnt vmcnt(3)
	v_fma_f32 v4, v154, v198, -v4
	v_add_f32_e32 v2, v2, v5
	v_mul_f32_e32 v170, v6, v190
	v_fmac_f32_e32 v168, v155, v198
	v_add_f32_e32 v3, v3, v178
	v_mul_f32_e32 v5, v9, v205
	v_fma_f32 v6, v6, v165, -v140
	v_add_f32_e32 v2, v2, v4
	v_mul_f32_e32 v181, v8, v205
	v_fmac_f32_e32 v170, v7, v165
	v_add_f32_e32 v3, v3, v168
	s_waitcnt lgkmcnt(1)
	v_mul_f32_e32 v4, v157, v206
	v_fma_f32 v5, v8, v161, -v5
	v_add_f32_e32 v2, v2, v6
	v_mul_f32_e32 v180, v156, v206
	v_fmac_f32_e32 v181, v9, v161
	v_add_f32_e32 v3, v3, v170
	v_mul_f32_e32 v6, v159, v191
	v_fma_f32 v4, v156, v12, -v4
	v_add_f32_e32 v2, v2, v5
	v_mul_f32_e32 v182, v158, v191
	v_fmac_f32_e32 v180, v157, v12
	v_add_f32_e32 v3, v3, v181
	s_waitcnt lgkmcnt(0)
	v_mul_f32_e32 v5, v11, v160
	s_waitcnt vmcnt(1)
	v_fma_f32 v6, v158, v208, -v6
	v_add_f32_e32 v2, v2, v4
	v_mul_f32_e32 v166, v10, v160
	v_fmac_f32_e32 v182, v159, v208
	v_add_f32_e32 v3, v3, v180
	v_fma_f32 v4, v10, v200, -v5
	v_add_f32_e32 v2, v2, v6
	v_fmac_f32_e32 v166, v11, v200
	v_add_f32_e32 v3, v3, v182
	v_add_f32_e32 v2, v2, v4
	;; [unrolled: 1-line block ×3, first 2 shown]
	s_waitcnt vmcnt(0)
	v_sub_f32_e32 v2, v209, v2
	v_sub_f32_e32 v3, v202, v3
	buffer_store_dword v2, off, s[0:3], 0 offset:72
	buffer_store_dword v3, off, s[0:3], 0 offset:76
	v_cmpx_lt_u32_e32 8, v0
	s_cbranch_execz .LBB62_375
; %bb.374:
	s_clause 0x1
	buffer_load_dword v2, off, s[0:3], 0 offset:64
	buffer_load_dword v3, off, s[0:3], 0 offset:68
	buffer_store_dword v1, off, s[0:3], 0 offset:64
	buffer_store_dword v1, off, s[0:3], 0 offset:68
	s_waitcnt vmcnt(0)
	ds_write_b64 v139, v[2:3]
.LBB62_375:
	s_or_b32 exec_lo, exec_lo, s4
	s_waitcnt lgkmcnt(0)
	s_waitcnt_vscnt null, 0x0
	s_barrier
	buffer_gl0_inv
	s_clause 0x3c
	buffer_load_dword v9, off, s[0:3], 0 offset:76
	buffer_load_dword v10, off, s[0:3], 0 offset:84
	;; [unrolled: 1-line block ×61, first 2 shown]
	ds_read2_b64 v[185:188], v1 offset0:73 offset1:74
	ds_read2_b64 v[189:192], v1 offset0:75 offset1:76
	buffer_load_dword v200, off, s[0:3], 0 offset:68
	s_mov_b32 s4, exec_lo
	s_waitcnt vmcnt(61) lgkmcnt(1)
	v_mul_f32_e32 v198, v185, v9
	v_mul_f32_e32 v9, v186, v9
	s_waitcnt vmcnt(60)
	v_mul_f32_e32 v199, v187, v10
	v_mul_f32_e32 v10, v188, v10
	s_waitcnt vmcnt(57)
	v_fmac_f32_e32 v198, v186, v6
	v_fma_f32 v201, v185, v6, -v9
	v_fmac_f32_e32 v199, v188, v5
	v_fma_f32 v202, v187, v5, -v10
	ds_read2_b64 v[185:188], v1 offset0:77 offset1:78
	s_waitcnt vmcnt(56) lgkmcnt(1)
	v_mul_f32_e32 v203, v189, v4
	v_mul_f32_e32 v4, v190, v4
	s_waitcnt vmcnt(55)
	v_mul_f32_e32 v204, v191, v3
	v_mul_f32_e32 v3, v192, v3
	v_fmac_f32_e32 v203, v190, v2
	v_fma_f32 v189, v189, v2, -v4
	s_waitcnt vmcnt(51)
	v_fmac_f32_e32 v204, v192, v175
	v_fma_f32 v175, v191, v175, -v3
	ds_read2_b64 v[2:5], v1 offset0:79 offset1:80
	s_waitcnt vmcnt(50) lgkmcnt(1)
	v_mul_f32_e32 v190, v185, v174
	v_mul_f32_e32 v6, v186, v174
	s_waitcnt vmcnt(49)
	v_mul_f32_e32 v174, v187, v172
	v_mul_f32_e32 v9, v188, v172
	v_fmac_f32_e32 v190, v186, v168
	v_fma_f32 v168, v185, v168, -v6
	v_fmac_f32_e32 v174, v188, v161
	v_fma_f32 v161, v187, v161, -v9
	ds_read2_b64 v[185:188], v1 offset0:81 offset1:82
	s_waitcnt vmcnt(48) lgkmcnt(1)
	v_mul_f32_e32 v191, v2, v166
	v_mul_f32_e32 v6, v3, v166
	s_waitcnt vmcnt(47)
	v_mul_f32_e32 v192, v4, v164
	v_mul_f32_e32 v9, v5, v164
	v_fmac_f32_e32 v191, v3, v147
	v_fma_f32 v147, v2, v147, -v6
	s_waitcnt vmcnt(43)
	v_fmac_f32_e32 v192, v5, v173
	v_fma_f32 v205, v4, v173, -v9
	ds_read2_b64 v[2:5], v1 offset0:83 offset1:84
	s_waitcnt vmcnt(42) lgkmcnt(1)
	v_mul_f32_e32 v206, v185, v171
	v_mul_f32_e32 v6, v186, v171
	s_waitcnt vmcnt(41)
	v_mul_f32_e32 v207, v187, v170
	v_mul_f32_e32 v9, v188, v170
	ds_read2_b64 v[170:173], v1 offset0:85 offset1:86
	v_fmac_f32_e32 v206, v186, v162
	v_fma_f32 v162, v185, v162, -v6
	v_fmac_f32_e32 v207, v188, v156
	v_fma_f32 v185, v187, v156, -v9
	s_waitcnt vmcnt(40) lgkmcnt(1)
	v_mul_f32_e32 v186, v2, v160
	v_mul_f32_e32 v6, v3, v160
	s_waitcnt vmcnt(39)
	v_mul_f32_e32 v160, v4, v158
	v_mul_f32_e32 v9, v5, v158
	v_fmac_f32_e32 v186, v3, v143
	v_fma_f32 v143, v2, v143, -v6
	s_waitcnt vmcnt(35)
	v_fmac_f32_e32 v160, v5, v169
	v_fma_f32 v169, v4, v169, -v9
	ds_read2_b64 v[2:5], v1 offset0:87 offset1:88
	s_waitcnt vmcnt(34) lgkmcnt(1)
	v_mul_f32_e32 v187, v170, v167
	v_mul_f32_e32 v6, v171, v167
	s_waitcnt vmcnt(33)
	v_mul_f32_e32 v188, v172, v165
	v_mul_f32_e32 v9, v173, v165
	ds_read2_b64 v[164:167], v1 offset0:89 offset1:90
	v_fmac_f32_e32 v187, v171, v154
	v_fma_f32 v154, v170, v154, -v6
	v_fmac_f32_e32 v188, v173, v149
	v_fma_f32 v149, v172, v149, -v9
	;; [unrolled: 23-line block ×3, first 2 shown]
	s_waitcnt vmcnt(24) lgkmcnt(1)
	v_mul_f32_e32 v164, v2, v146
	v_mul_f32_e32 v6, v3, v146
	s_waitcnt vmcnt(23)
	v_mul_f32_e32 v146, v4, v145
	v_mul_f32_e32 v9, v5, v145
	v_fmac_f32_e32 v164, v3, v8
	v_fma_f32 v145, v2, v8, -v6
	s_waitcnt vmcnt(19)
	v_fmac_f32_e32 v146, v5, v155
	v_fma_f32 v155, v4, v155, -v9
	ds_read2_b64 v[2:5], v1 offset0:95 offset1:96
	s_waitcnt vmcnt(18) lgkmcnt(1)
	v_mul_f32_e32 v165, v156, v152
	v_mul_f32_e32 v6, v157, v152
	s_waitcnt vmcnt(17)
	v_mul_f32_e32 v152, v158, v150
	v_mul_f32_e32 v8, v159, v150
	v_fmac_f32_e32 v165, v157, v142
	v_fma_f32 v142, v156, v142, -v6
	v_fmac_f32_e32 v152, v159, v12
	v_fma_f32 v12, v158, v12, -v8
	ds_read2_b64 v[8:11], v1 offset0:97 offset1:98
	s_waitcnt vmcnt(16) lgkmcnt(1)
	v_mul_f32_e32 v150, v2, v141
	v_mul_f32_e32 v6, v3, v141
	s_waitcnt vmcnt(15)
	v_mul_f32_e32 v141, v4, v140
	v_mul_f32_e32 v140, v5, v140
	v_fmac_f32_e32 v150, v3, v7
	v_fma_f32 v156, v2, v7, -v6
	s_waitcnt vmcnt(11)
	v_fmac_f32_e32 v141, v5, v184
	v_fma_f32 v140, v4, v184, -v140
	ds_read2_b64 v[2:5], v1 offset0:99 offset1:100
	s_waitcnt vmcnt(10) lgkmcnt(1)
	v_mul_f32_e32 v157, v8, v183
	v_mul_f32_e32 v6, v9, v183
	s_waitcnt vmcnt(9)
	v_mul_f32_e32 v7, v11, v182
	v_mul_f32_e32 v158, v10, v182
	buffer_load_dword v182, off, s[0:3], 0 offset:324
	v_fmac_f32_e32 v157, v9, v181
	v_fma_f32 v159, v8, v181, -v6
	v_fma_f32 v10, v10, v178, -v7
	ds_read2_b64 v[6:9], v1 offset0:101 offset1:102
	v_fmac_f32_e32 v158, v11, v178
	buffer_load_dword v11, off, s[0:3], 0 offset:316
	s_waitcnt vmcnt(10) lgkmcnt(1)
	v_mul_f32_e32 v166, v2, v180
	v_mul_f32_e32 v167, v3, v180
	s_waitcnt vmcnt(9)
	v_mul_f32_e32 v173, v4, v179
	v_mul_f32_e32 v178, v5, v179
	v_fmac_f32_e32 v166, v3, v177
	v_fma_f32 v167, v2, v177, -v167
	s_waitcnt vmcnt(5)
	v_fmac_f32_e32 v173, v5, v195
	v_fma_f32 v177, v4, v195, -v178
	ds_read2_b64 v[2:5], v1 offset0:103 offset1:104
	s_waitcnt vmcnt(4) lgkmcnt(1)
	v_mul_f32_e32 v178, v6, v196
	v_mul_f32_e32 v179, v7, v196
	s_waitcnt vmcnt(3)
	v_mul_f32_e32 v180, v8, v197
	v_mul_f32_e32 v181, v9, v197
	v_fmac_f32_e32 v178, v7, v194
	v_fma_f32 v179, v6, v194, -v179
	v_fmac_f32_e32 v180, v9, v193
	v_fma_f32 v181, v8, v193, -v181
	s_clause 0x4
	buffer_load_dword v183, off, s[0:3], 0 offset:344
	buffer_load_dword v184, off, s[0:3], 0 offset:336
	;; [unrolled: 1-line block ×5, first 2 shown]
	v_add_f32_e32 v7, 0, v198
	v_add_f32_e32 v6, 0, v201
	s_clause 0x1
	buffer_load_dword v196, off, s[0:3], 0 offset:340
	buffer_load_dword v197, off, s[0:3], 0 offset:348
	v_add_f32_e32 v7, v7, v199
	v_add_f32_e32 v6, v6, v202
	;; [unrolled: 1-line block ×4, first 2 shown]
	s_clause 0x1
	buffer_load_dword v189, off, s[0:3], 0 offset:356
	buffer_load_dword v198, off, s[0:3], 0 offset:364
	v_add_f32_e32 v7, v7, v204
	v_add_f32_e32 v6, v6, v175
	;; [unrolled: 1-line block ×4, first 2 shown]
	s_clause 0x3
	buffer_load_dword v168, off, s[0:3], 0 offset:376
	buffer_load_dword v175, off, s[0:3], 0 offset:368
	;; [unrolled: 1-line block ×4, first 2 shown]
	v_add_f32_e32 v7, v7, v174
	v_add_f32_e32 v6, v6, v161
	s_clause 0x2
	buffer_load_dword v161, off, s[0:3], 0 offset:372
	buffer_load_dword v174, off, s[0:3], 0 offset:380
	;; [unrolled: 1-line block ×3, first 2 shown]
	v_add_f32_e32 v7, v7, v191
	v_add_f32_e32 v6, v6, v147
	v_add_f32_e32 v7, v7, v192
	v_add_f32_e32 v6, v6, v205
	v_add_f32_e32 v7, v7, v206
	v_add_f32_e32 v6, v6, v162
	s_clause 0x4
	buffer_load_dword v162, off, s[0:3], 0 offset:408
	buffer_load_dword v191, off, s[0:3], 0 offset:400
	;; [unrolled: 1-line block ×5, first 2 shown]
	v_add_f32_e32 v7, v7, v207
	v_add_f32_e32 v6, v6, v185
	buffer_load_dword v185, off, s[0:3], 0 offset:396
	v_add_f32_e32 v7, v7, v186
	v_add_f32_e32 v6, v6, v143
	buffer_load_dword v186, off, s[0:3], 0 offset:412
	v_add_f32_e32 v7, v7, v160
	v_add_f32_e32 v6, v6, v169
	s_clause 0x4
	buffer_load_dword v169, off, s[0:3], 0 offset:420
	buffer_load_dword v204, off, s[0:3], 0 offset:428
	;; [unrolled: 1-line block ×5, first 2 shown]
	v_add_f32_e32 v7, v7, v187
	v_add_f32_e32 v6, v6, v154
	s_clause 0x3
	buffer_load_dword v187, off, s[0:3], 0 offset:460
	buffer_load_dword v207, off, s[0:3], 0 offset:468
	;; [unrolled: 1-line block ×4, first 2 shown]
	v_add_f32_e32 v7, v7, v188
	v_add_f32_e32 v6, v6, v149
	buffer_load_dword v188, off, s[0:3], 0 offset:484
	v_add_f32_e32 v7, v7, v170
	v_add_f32_e32 v6, v6, v151
	buffer_load_dword v170, off, s[0:3], 0 offset:500
	v_add_f32_e32 v7, v7, v153
	v_add_f32_e32 v6, v6, v163
	;; [unrolled: 1-line block ×3, first 2 shown]
	s_clause 0x3
	buffer_load_dword v163, off, s[0:3], 0 offset:440
	buffer_load_dword v171, off, s[0:3], 0 offset:432
	;; [unrolled: 1-line block ×4, first 2 shown]
	v_add_f32_e32 v6, v6, v148
	v_add_f32_e32 v7, v7, v172
	;; [unrolled: 1-line block ×4, first 2 shown]
	s_clause 0x6
	buffer_load_dword v164, off, s[0:3], 0 offset:472
	buffer_load_dword v172, off, s[0:3], 0 offset:464
	buffer_load_dword v212, off, s[0:3], 0 offset:456
	buffer_load_dword v213, off, s[0:3], 0 offset:448
	buffer_load_dword v214, off, s[0:3], 0 offset:496
	buffer_load_dword v215, off, s[0:3], 0 offset:488
	buffer_load_dword v216, off, s[0:3], 0 offset:480
	v_add_f32_e32 v6, v6, v145
	v_add_f32_e32 v7, v7, v146
	;; [unrolled: 1-line block ×4, first 2 shown]
	buffer_load_dword v165, off, s[0:3], 0 offset:64
	v_add_f32_e32 v6, v6, v142
	v_add_f32_e32 v7, v7, v152
	;; [unrolled: 1-line block ×3, first 2 shown]
	s_waitcnt vmcnt(46) lgkmcnt(0)
	v_mul_f32_e32 v12, v2, v11
	v_mul_f32_e32 v8, v3, v11
	v_fmac_f32_e32 v12, v3, v176
	v_fma_f32 v11, v2, v176, -v8
	v_add_f32_e32 v2, v6, v156
	v_add_f32_e32 v3, v7, v150
	ds_read2_b64 v[6:9], v1 offset0:105 offset1:106
	v_mul_f32_e32 v156, v4, v182
	v_add_f32_e32 v140, v2, v140
	v_mul_f32_e32 v2, v5, v182
	v_add_f32_e32 v141, v3, v141
	v_add_f32_e32 v144, v140, v159
	v_add_f32_e32 v145, v141, v157
	ds_read2_b64 v[140:143], v1 offset0:109 offset1:110
	v_add_f32_e32 v10, v144, v10
	v_add_f32_e32 v145, v145, v158
	s_waitcnt vmcnt(42)
	v_fmac_f32_e32 v156, v5, v194
	v_fma_f32 v176, v4, v194, -v2
	ds_read2_b64 v[2:5], v1 offset0:107 offset1:108
	s_waitcnt vmcnt(41) lgkmcnt(2)
	v_mul_f32_e32 v144, v7, v195
	v_mul_f32_e32 v157, v6, v195
	v_add_f32_e32 v10, v10, v167
	s_waitcnt vmcnt(40)
	v_mul_f32_e32 v148, v9, v196
	v_fma_f32 v158, v6, v193, -v144
	v_add_f32_e32 v6, v145, v166
	v_fmac_f32_e32 v157, v7, v193
	v_add_f32_e32 v7, v10, v177
	v_mul_f32_e32 v10, v8, v196
	ds_read2_b64 v[144:147], v1 offset0:111 offset1:112
	v_add_f32_e32 v6, v6, v173
	v_fma_f32 v159, v8, v184, -v148
	v_add_f32_e32 v7, v7, v179
	v_fmac_f32_e32 v10, v9, v184
	s_waitcnt vmcnt(37) lgkmcnt(2)
	v_mul_f32_e32 v153, v141, v198
	v_add_f32_e32 v6, v6, v178
	v_mul_f32_e32 v173, v140, v198
	s_waitcnt lgkmcnt(1)
	v_mul_f32_e32 v149, v3, v197
	v_mul_f32_e32 v166, v2, v197
	;; [unrolled: 1-line block ×4, first 2 shown]
	s_waitcnt vmcnt(34)
	v_fma_f32 v179, v140, v199, -v153
	v_fma_f32 v177, v2, v183, -v149
	v_add_f32_e32 v2, v7, v181
	v_fmac_f32_e32 v166, v3, v183
	v_add_f32_e32 v3, v6, v180
	s_waitcnt vmcnt(33)
	v_fma_f32 v178, v4, v201, -v152
	ds_read2_b64 v[6:9], v1 offset0:113 offset1:114
	ds_read2_b64 v[148:151], v1 offset0:115 offset1:116
	v_add_f32_e32 v11, v2, v11
	v_fmac_f32_e32 v167, v5, v201
	v_add_f32_e32 v12, v3, v12
	s_waitcnt vmcnt(32)
	v_mul_f32_e32 v140, v143, v161
	v_fmac_f32_e32 v173, v141, v199
	v_add_f32_e32 v11, v11, v176
	v_mul_f32_e32 v176, v142, v161
	v_add_f32_e32 v12, v12, v156
	s_waitcnt vmcnt(31) lgkmcnt(2)
	v_mul_f32_e32 v161, v144, v174
	v_mul_f32_e32 v141, v145, v174
	v_add_f32_e32 v11, v11, v158
	v_fmac_f32_e32 v176, v143, v175
	v_add_f32_e32 v12, v12, v157
	v_fma_f32 v175, v142, v175, -v140
	s_waitcnt vmcnt(30)
	v_mul_f32_e32 v174, v147, v190
	v_add_f32_e32 v11, v11, v159
	v_fmac_f32_e32 v161, v145, v168
	v_add_f32_e32 v10, v12, v10
	v_fma_f32 v168, v144, v168, -v141
	v_mul_f32_e32 v180, v146, v190
	v_add_f32_e32 v11, v11, v177
	s_waitcnt vmcnt(26)
	v_fma_f32 v174, v146, v202, -v174
	v_add_f32_e32 v10, v10, v166
	s_waitcnt vmcnt(24) lgkmcnt(1)
	v_mul_f32_e32 v12, v7, v185
	ds_read2_b64 v[2:5], v1 offset0:117 offset1:118
	ds_read2_b64 v[152:155], v1 offset0:119 offset1:120
	v_add_f32_e32 v11, v11, v178
	ds_read2_b64 v[140:143], v1 offset0:121 offset1:122
	ds_read2_b64 v[156:159], v1 offset0:123 offset1:124
	v_add_f32_e32 v10, v10, v167
	v_fmac_f32_e32 v180, v147, v202
	ds_read2_b64 v[144:147], v1 offset0:125 offset1:126
	v_add_f32_e32 v11, v11, v179
	v_mul_f32_e32 v1, v6, v185
	v_add_f32_e32 v10, v10, v173
	v_mul_f32_e32 v177, v9, v203
	v_fma_f32 v6, v6, v192, -v12
	v_add_f32_e32 v11, v11, v175
	v_mul_f32_e32 v166, v8, v203
	v_add_f32_e32 v10, v10, v176
	v_fmac_f32_e32 v1, v7, v192
	s_waitcnt vmcnt(23) lgkmcnt(5)
	v_mul_f32_e32 v12, v149, v186
	v_add_f32_e32 v11, v11, v168
	v_fma_f32 v8, v8, v191, -v177
	v_add_f32_e32 v10, v10, v161
	v_mul_f32_e32 v178, v148, v186
	v_fmac_f32_e32 v166, v9, v191
	v_add_f32_e32 v11, v11, v174
	s_waitcnt vmcnt(22)
	v_mul_f32_e32 v9, v151, v169
	v_add_f32_e32 v10, v10, v180
	v_mul_f32_e32 v167, v150, v169
	v_fmac_f32_e32 v178, v149, v162
	v_add_f32_e32 v6, v11, v6
	s_waitcnt vmcnt(21) lgkmcnt(4)
	v_mul_f32_e32 v181, v2, v204
	v_add_f32_e32 v1, v10, v1
	v_fma_f32 v10, v148, v162, -v12
	s_waitcnt vmcnt(8)
	v_fma_f32 v9, v150, v211, -v9
	v_add_f32_e32 v6, v6, v8
	v_mul_f32_e32 v8, v3, v204
	v_add_f32_e32 v1, v1, v166
	v_fmac_f32_e32 v167, v151, v211
	v_fmac_f32_e32 v181, v3, v210
	v_add_f32_e32 v6, v6, v10
	v_mul_f32_e32 v10, v5, v160
	v_add_f32_e32 v1, v1, v178
	v_fma_f32 v2, v2, v210, -v8
	v_mul_f32_e32 v179, v4, v160
	v_add_f32_e32 v3, v6, v9
	s_waitcnt lgkmcnt(3)
	v_mul_f32_e32 v6, v153, v205
	v_add_f32_e32 v1, v1, v167
	v_fma_f32 v4, v4, v171, -v10
	v_mul_f32_e32 v173, v152, v205
	v_add_f32_e32 v2, v3, v2
	v_fmac_f32_e32 v179, v5, v171
	v_add_f32_e32 v1, v1, v181
	v_mul_f32_e32 v3, v155, v206
	v_fma_f32 v5, v152, v163, -v6
	v_add_f32_e32 v2, v2, v4
	v_mul_f32_e32 v182, v154, v206
	v_fmac_f32_e32 v173, v153, v163
	v_add_f32_e32 v1, v1, v179
	s_waitcnt lgkmcnt(2)
	v_mul_f32_e32 v4, v141, v187
	s_waitcnt vmcnt(4)
	v_fma_f32 v3, v154, v213, -v3
	v_add_f32_e32 v2, v2, v5
	v_mul_f32_e32 v175, v140, v187
	v_fmac_f32_e32 v182, v155, v213
	v_add_f32_e32 v1, v1, v173
	v_mul_f32_e32 v5, v143, v207
	v_fma_f32 v4, v140, v212, -v4
	v_add_f32_e32 v2, v2, v3
	v_mul_f32_e32 v176, v142, v207
	v_fmac_f32_e32 v175, v141, v212
	v_add_f32_e32 v1, v1, v182
	s_waitcnt lgkmcnt(1)
	v_mul_f32_e32 v3, v157, v208
	v_fma_f32 v5, v142, v172, -v5
	v_add_f32_e32 v2, v2, v4
	v_mul_f32_e32 v183, v156, v208
	v_fmac_f32_e32 v176, v143, v172
	v_add_f32_e32 v1, v1, v175
	v_mul_f32_e32 v4, v159, v188
	v_fma_f32 v3, v156, v164, -v3
	v_add_f32_e32 v2, v2, v5
	v_mul_f32_e32 v168, v158, v188
	v_fmac_f32_e32 v183, v157, v164
	v_add_f32_e32 v1, v1, v176
	s_waitcnt lgkmcnt(0)
	v_mul_f32_e32 v5, v145, v209
	s_waitcnt vmcnt(1)
	v_fma_f32 v4, v158, v216, -v4
	v_add_f32_e32 v2, v2, v3
	v_mul_f32_e32 v161, v144, v209
	v_fmac_f32_e32 v168, v159, v216
	v_add_f32_e32 v1, v1, v183
	v_mul_f32_e32 v3, v147, v170
	v_fma_f32 v5, v144, v215, -v5
	v_add_f32_e32 v2, v2, v4
	v_mul_f32_e32 v7, v146, v170
	v_fmac_f32_e32 v161, v145, v215
	v_add_f32_e32 v1, v1, v168
	v_fma_f32 v3, v146, v214, -v3
	v_add_f32_e32 v2, v2, v5
	v_fmac_f32_e32 v7, v147, v214
	v_add_f32_e32 v1, v1, v161
	v_add_f32_e32 v2, v2, v3
	;; [unrolled: 1-line block ×3, first 2 shown]
	s_waitcnt vmcnt(0)
	v_sub_f32_e32 v2, v165, v2
	v_sub_f32_e32 v1, v200, v1
	buffer_store_dword v2, off, s[0:3], 0 offset:64
	buffer_store_dword v1, off, s[0:3], 0 offset:68
	v_cmpx_lt_u32_e32 7, v0
	s_cbranch_execz .LBB62_377
; %bb.376:
	s_clause 0x1
	buffer_load_dword v1, off, s[0:3], 0 offset:56
	buffer_load_dword v2, off, s[0:3], 0 offset:60
	v_mov_b32_e32 v3, 0
	buffer_store_dword v3, off, s[0:3], 0 offset:56
	buffer_store_dword v3, off, s[0:3], 0 offset:60
	s_waitcnt vmcnt(0)
	ds_write_b64 v139, v[1:2]
.LBB62_377:
	s_or_b32 exec_lo, exec_lo, s4
	s_waitcnt lgkmcnt(0)
	s_waitcnt_vscnt null, 0x0
	s_barrier
	buffer_gl0_inv
	s_clause 0x3c
	buffer_load_dword v2, off, s[0:3], 0 offset:68
	buffer_load_dword v3, off, s[0:3], 0 offset:76
	;; [unrolled: 1-line block ×61, first 2 shown]
	v_mov_b32_e32 v1, 0
	ds_read_b128 v[188:191], v1 offset:576
	ds_read_b128 v[192:195], v1 offset:592
	buffer_load_dword v186, off, s[0:3], 0 offset:60
	s_mov_b32 s4, exec_lo
	s_waitcnt vmcnt(61) lgkmcnt(1)
	v_mul_f32_e32 v199, v188, v2
	v_mul_f32_e32 v2, v189, v2
	s_waitcnt vmcnt(60)
	v_mul_f32_e32 v200, v190, v3
	v_mul_f32_e32 v3, v191, v3
	s_waitcnt vmcnt(59) lgkmcnt(0)
	v_mul_f32_e32 v201, v192, v4
	v_mul_f32_e32 v202, v193, v4
	s_waitcnt vmcnt(58)
	v_mul_f32_e32 v203, v194, v5
	v_mul_f32_e32 v204, v195, v5
	s_waitcnt vmcnt(55)
	v_fmac_f32_e32 v199, v189, v8
	v_fma_f32 v8, v188, v8, -v2
	v_fmac_f32_e32 v200, v191, v7
	v_fma_f32 v7, v190, v7, -v3
	ds_read_b128 v[2:5], v1 offset:608
	ds_read_b128 v[188:191], v1 offset:624
	v_fmac_f32_e32 v201, v193, v6
	v_fma_f32 v6, v192, v6, -v202
	s_waitcnt vmcnt(51)
	v_fma_f32 v192, v194, v170, -v204
	v_fmac_f32_e32 v203, v195, v170
	v_add_f32_e32 v8, 0, v8
	v_add_f32_e32 v7, v8, v7
	;; [unrolled: 1-line block ×3, first 2 shown]
	s_waitcnt vmcnt(50) lgkmcnt(1)
	v_mul_f32_e32 v193, v2, v167
	v_mul_f32_e32 v167, v3, v167
	s_waitcnt vmcnt(49)
	v_mul_f32_e32 v194, v4, v165
	v_mul_f32_e32 v165, v5, v165
	s_waitcnt vmcnt(48) lgkmcnt(0)
	v_mul_f32_e32 v195, v188, v162
	v_fmac_f32_e32 v193, v3, v149
	v_fma_f32 v149, v2, v149, -v167
	v_fmac_f32_e32 v194, v5, v145
	v_fma_f32 v165, v4, v145, -v165
	ds_read_b128 v[2:5], v1 offset:640
	v_mul_f32_e32 v162, v189, v162
	s_waitcnt vmcnt(47)
	v_mul_f32_e32 v202, v190, v160
	v_mul_f32_e32 v160, v191, v160
	v_fmac_f32_e32 v195, v189, v140
	v_fma_f32 v140, v188, v140, -v162
	s_waitcnt vmcnt(43)
	v_fmac_f32_e32 v202, v191, v175
	v_fma_f32 v167, v190, v175, -v160
	ds_read_b128 v[188:191], v1 offset:656
	s_waitcnt vmcnt(42) lgkmcnt(1)
	v_mul_f32_e32 v175, v2, v174
	v_mul_f32_e32 v145, v3, v174
	s_waitcnt vmcnt(41)
	v_mul_f32_e32 v174, v4, v173
	v_mul_f32_e32 v160, v5, v173
	v_fmac_f32_e32 v175, v3, v155
	v_fma_f32 v155, v2, v155, -v145
	v_fmac_f32_e32 v174, v5, v152
	v_fma_f32 v152, v4, v152, -v160
	ds_read_b128 v[2:5], v1 offset:672
	s_waitcnt vmcnt(40) lgkmcnt(1)
	v_mul_f32_e32 v173, v188, v171
	s_waitcnt vmcnt(39)
	v_mul_f32_e32 v204, v190, v169
	v_mul_f32_e32 v169, v191, v169
	;; [unrolled: 1-line block ×3, first 2 shown]
	v_fmac_f32_e32 v173, v189, v146
	s_waitcnt vmcnt(35)
	v_fmac_f32_e32 v204, v191, v172
	v_fma_f32 v189, v190, v172, -v169
	ds_read_b128 v[169:172], v1 offset:688
	v_fma_f32 v188, v188, v146, -v162
	s_waitcnt vmcnt(34) lgkmcnt(1)
	v_mul_f32_e32 v190, v2, v168
	v_mul_f32_e32 v145, v3, v168
	s_waitcnt vmcnt(33)
	v_mul_f32_e32 v168, v4, v166
	v_mul_f32_e32 v146, v5, v166
	v_fmac_f32_e32 v190, v3, v150
	v_fma_f32 v150, v2, v150, -v145
	v_fmac_f32_e32 v168, v5, v147
	v_fma_f32 v205, v4, v147, -v146
	ds_read_b128 v[2:5], v1 offset:704
	s_waitcnt vmcnt(32) lgkmcnt(1)
	v_mul_f32_e32 v166, v169, v163
	v_mul_f32_e32 v160, v170, v163
	s_waitcnt vmcnt(31)
	v_mul_f32_e32 v191, v171, v161
	v_mul_f32_e32 v161, v172, v161
	v_fmac_f32_e32 v166, v170, v141
	v_fma_f32 v141, v169, v141, -v160
	s_waitcnt vmcnt(27)
	v_fmac_f32_e32 v191, v172, v164
	v_fma_f32 v164, v171, v164, -v161
	ds_read_b128 v[160:163], v1 offset:720
	s_waitcnt vmcnt(26) lgkmcnt(1)
	v_mul_f32_e32 v169, v2, v159
	v_mul_f32_e32 v145, v3, v159
	s_waitcnt vmcnt(25)
	v_mul_f32_e32 v159, v4, v158
	v_mul_f32_e32 v146, v5, v158
	v_fmac_f32_e32 v169, v3, v144
	v_fma_f32 v170, v2, v144, -v145
	v_fmac_f32_e32 v159, v5, v142
	v_fma_f32 v142, v4, v142, -v146
	ds_read_b128 v[2:5], v1 offset:736
	s_waitcnt vmcnt(24) lgkmcnt(1)
	v_mul_f32_e32 v158, v160, v156
	v_mul_f32_e32 v147, v161, v156
	s_waitcnt vmcnt(23)
	v_mul_f32_e32 v156, v162, v154
	v_mul_f32_e32 v154, v163, v154
	v_fmac_f32_e32 v158, v161, v10
	v_fma_f32 v10, v160, v10, -v147
	ds_read_b128 v[144:147], v1 offset:752
	s_waitcnt vmcnt(19)
	v_fmac_f32_e32 v156, v163, v157
	v_fma_f32 v154, v162, v157, -v154
	buffer_load_dword v157, off, s[0:3], 0 offset:308
	s_waitcnt vmcnt(18) lgkmcnt(1)
	v_mul_f32_e32 v161, v4, v151
	v_mul_f32_e32 v151, v5, v151
	;; [unrolled: 1-line block ×4, first 2 shown]
	v_fmac_f32_e32 v161, v5, v11
	v_fma_f32 v11, v4, v11, -v151
	s_clause 0x4
	buffer_load_dword v151, off, s[0:3], 0 offset:316
	buffer_load_dword v163, off, s[0:3], 0 offset:336
	;; [unrolled: 1-line block ×5, first 2 shown]
	s_waitcnt vmcnt(22) lgkmcnt(0)
	v_mul_f32_e32 v162, v144, v148
	v_mul_f32_e32 v148, v145, v148
	v_fmac_f32_e32 v160, v3, v143
	v_fma_f32 v143, v2, v143, -v153
	s_waitcnt vmcnt(21)
	v_mul_f32_e32 v2, v147, v12
	v_mul_f32_e32 v153, v146, v12
	v_fmac_f32_e32 v162, v145, v9
	v_fma_f32 v12, v144, v9, -v148
	v_add_f32_e32 v9, 0, v199
	s_waitcnt vmcnt(17)
	v_fma_f32 v144, v146, v184, -v2
	ds_read_b128 v[2:5], v1 offset:768
	buffer_load_dword v145, off, s[0:3], 0 offset:324
	v_add_f32_e32 v146, v6, v192
	v_add_f32_e32 v8, v9, v200
	v_fmac_f32_e32 v153, v147, v184
	s_clause 0x2
	buffer_load_dword v148, off, s[0:3], 0 offset:332
	buffer_load_dword v184, off, s[0:3], 0 offset:340
	;; [unrolled: 1-line block ×3, first 2 shown]
	v_add_f32_e32 v146, v146, v149
	v_add_f32_e32 v7, v8, v201
	;; [unrolled: 1-line block ×4, first 2 shown]
	ds_read_b128 v[6:9], v1 offset:784
	buffer_load_dword v165, off, s[0:3], 0 offset:356
	v_add_f32_e32 v147, v147, v193
	s_waitcnt vmcnt(21) lgkmcnt(1)
	v_mul_f32_e32 v149, v2, v183
	v_mul_f32_e32 v183, v3, v183
	s_waitcnt vmcnt(20)
	v_mul_f32_e32 v193, v4, v182
	v_mul_f32_e32 v182, v5, v182
	v_fmac_f32_e32 v149, v3, v181
	v_fma_f32 v181, v2, v181, -v183
	v_add_f32_e32 v2, v147, v194
	v_fmac_f32_e32 v193, v5, v180
	v_fma_f32 v180, v4, v180, -v182
	s_clause 0x3
	buffer_load_dword v182, off, s[0:3], 0 offset:368
	buffer_load_dword v183, off, s[0:3], 0 offset:360
	;; [unrolled: 1-line block ×4, first 2 shown]
	v_add_f32_e32 v3, v146, v140
	v_add_f32_e32 v2, v2, v195
	s_waitcnt vmcnt(23) lgkmcnt(0)
	v_mul_f32_e32 v147, v6, v178
	v_add_f32_e32 v140, v3, v167
	s_clause 0x2
	buffer_load_dword v167, off, s[0:3], 0 offset:364
	buffer_load_dword v195, off, s[0:3], 0 offset:372
	;; [unrolled: 1-line block ×3, first 2 shown]
	v_add_f32_e32 v146, v2, v202
	ds_read_b128 v[2:5], v1 offset:800
	v_fmac_f32_e32 v147, v7, v176
	v_add_f32_e32 v140, v140, v155
	v_mul_f32_e32 v155, v7, v178
	v_add_f32_e32 v146, v146, v175
	s_waitcnt vmcnt(25)
	v_mul_f32_e32 v175, v8, v177
	v_mul_f32_e32 v177, v9, v177
	v_add_f32_e32 v7, v140, v152
	v_fma_f32 v152, v6, v176, -v155
	v_add_f32_e32 v6, v146, v174
	s_waitcnt vmcnt(21)
	v_fmac_f32_e32 v175, v9, v197
	v_fma_f32 v155, v8, v197, -v177
	v_add_f32_e32 v140, v7, v188
	s_clause 0x4
	buffer_load_dword v174, off, s[0:3], 0 offset:400
	buffer_load_dword v176, off, s[0:3], 0 offset:392
	;; [unrolled: 1-line block ×5, first 2 shown]
	v_add_f32_e32 v146, v6, v173
	ds_read_b128 v[6:9], v1 offset:816
	v_add_f32_e32 v140, v140, v189
	v_add_f32_e32 v146, v146, v204
	s_waitcnt vmcnt(25) lgkmcnt(1)
	v_mul_f32_e32 v189, v3, v198
	v_mul_f32_e32 v173, v2, v198
	v_add_f32_e32 v140, v140, v150
	s_clause 0x2
	buffer_load_dword v197, off, s[0:3], 0 offset:396
	buffer_load_dword v198, off, s[0:3], 0 offset:404
	;; [unrolled: 1-line block ×3, first 2 shown]
	v_fma_f32 v150, v2, v196, -v189
	v_add_f32_e32 v2, v146, v190
	v_fmac_f32_e32 v173, v3, v196
	v_add_f32_e32 v3, v140, v205
	s_waitcnt vmcnt(27)
	v_mul_f32_e32 v189, v4, v187
	s_clause 0x1
	buffer_load_dword v190, off, s[0:3], 0 offset:420
	buffer_load_dword v196, off, s[0:3], 0 offset:428
	v_add_f32_e32 v2, v2, v168
	v_mul_f32_e32 v140, v5, v187
	v_add_f32_e32 v3, v3, v141
	s_clause 0x2
	buffer_load_dword v168, off, s[0:3], 0 offset:436
	buffer_load_dword v187, off, s[0:3], 0 offset:444
	;; [unrolled: 1-line block ×3, first 2 shown]
	v_add_f32_e32 v2, v2, v166
	v_fmac_f32_e32 v189, v5, v185
	v_add_f32_e32 v3, v3, v164
	s_clause 0x2
	buffer_load_dword v164, off, s[0:3], 0 offset:460
	buffer_load_dword v166, off, s[0:3], 0 offset:468
	;; [unrolled: 1-line block ×3, first 2 shown]
	v_fma_f32 v185, v4, v185, -v140
	v_add_f32_e32 v2, v2, v191
	v_add_f32_e32 v3, v3, v170
	s_clause 0x2
	buffer_load_dword v170, off, s[0:3], 0 offset:484
	buffer_load_dword v191, off, s[0:3], 0 offset:492
	;; [unrolled: 1-line block ×3, first 2 shown]
	v_add_f32_e32 v2, v2, v169
	s_clause 0x7
	buffer_load_dword v169, off, s[0:3], 0 offset:432
	buffer_load_dword v205, off, s[0:3], 0 offset:424
	buffer_load_dword v207, off, s[0:3], 0 offset:416
	buffer_load_dword v208, off, s[0:3], 0 offset:408
	buffer_load_dword v209, off, s[0:3], 0 offset:464
	buffer_load_dword v210, off, s[0:3], 0 offset:456
	buffer_load_dword v211, off, s[0:3], 0 offset:448
	buffer_load_dword v212, off, s[0:3], 0 offset:440
	v_add_f32_e32 v3, v3, v142
	v_add_f32_e32 v2, v2, v159
	;; [unrolled: 1-line block ×8, first 2 shown]
	s_clause 0x3
	buffer_load_dword v160, off, s[0:3], 0 offset:496
	buffer_load_dword v213, off, s[0:3], 0 offset:488
	;; [unrolled: 1-line block ×4, first 2 shown]
	v_add_f32_e32 v3, v3, v11
	v_add_f32_e32 v2, v2, v161
	buffer_load_dword v161, off, s[0:3], 0 offset:56
	v_add_f32_e32 v3, v3, v12
	v_add_f32_e32 v2, v2, v162
	s_waitcnt vmcnt(49) lgkmcnt(0)
	v_mul_f32_e32 v10, v6, v157
	v_mul_f32_e32 v4, v7, v157
	v_fmac_f32_e32 v10, v7, v179
	v_fma_f32 v11, v6, v179, -v4
	v_add_f32_e32 v6, v3, v144
	v_add_f32_e32 v7, v2, v153
	ds_read_b128 v[2:5], v1 offset:832
	v_add_f32_e32 v12, v6, v181
	s_waitcnt vmcnt(48)
	v_mul_f32_e32 v153, v8, v151
	v_mul_f32_e32 v6, v9, v151
	v_add_f32_e32 v140, v7, v149
	v_add_f32_e32 v12, v12, v180
	s_waitcnt vmcnt(44)
	v_fmac_f32_e32 v153, v9, v206
	v_fma_f32 v154, v8, v206, -v6
	ds_read_b128 v[6:9], v1 offset:848
	v_add_f32_e32 v144, v140, v193
	v_add_f32_e32 v12, v12, v152
	ds_read_b128 v[140:143], v1 offset:864
	v_add_f32_e32 v144, v144, v147
	v_add_f32_e32 v12, v12, v155
	s_waitcnt vmcnt(43) lgkmcnt(2)
	v_mul_f32_e32 v156, v2, v145
	v_mul_f32_e32 v145, v3, v145
	v_fmac_f32_e32 v156, v3, v172
	v_fma_f32 v157, v2, v172, -v145
	v_add_f32_e32 v2, v144, v175
	v_add_f32_e32 v3, v12, v150
	ds_read_b128 v[144:147], v1 offset:880
	s_waitcnt vmcnt(42)
	v_mul_f32_e32 v12, v4, v148
	s_waitcnt vmcnt(41) lgkmcnt(2)
	v_mul_f32_e32 v149, v7, v184
	v_add_f32_e32 v2, v2, v173
	v_add_f32_e32 v3, v3, v185
	v_mul_f32_e32 v162, v6, v184
	v_mul_f32_e32 v148, v5, v148
	v_fma_f32 v159, v6, v163, -v149
	v_add_f32_e32 v2, v2, v189
	v_add_f32_e32 v6, v3, v11
	v_fmac_f32_e32 v162, v7, v163
	s_waitcnt vmcnt(39) lgkmcnt(1)
	v_mul_f32_e32 v173, v140, v165
	v_fma_f32 v158, v4, v171, -v148
	v_add_f32_e32 v7, v2, v10
	v_mul_f32_e32 v10, v141, v165
	v_add_f32_e32 v11, v6, v154
	v_fmac_f32_e32 v12, v5, v171
	v_mul_f32_e32 v152, v9, v192
	v_mul_f32_e32 v172, v8, v192
	s_waitcnt vmcnt(36)
	v_fma_f32 v165, v140, v194, -v10
	v_add_f32_e32 v10, v7, v153
	v_add_f32_e32 v11, v11, v157
	s_waitcnt vmcnt(35)
	v_fma_f32 v163, v8, v199, -v152
	ds_read_b128 v[2:5], v1 offset:896
	ds_read_b128 v[148:151], v1 offset:912
	v_fmac_f32_e32 v172, v9, v199
	v_add_f32_e32 v10, v10, v156
	v_add_f32_e32 v11, v11, v158
	s_waitcnt vmcnt(34)
	v_mul_f32_e32 v140, v143, v167
	v_fmac_f32_e32 v173, v141, v194
	v_mul_f32_e32 v171, v142, v167
	v_add_f32_e32 v10, v10, v12
	v_add_f32_e32 v12, v11, v159
	s_waitcnt vmcnt(33) lgkmcnt(2)
	v_mul_f32_e32 v141, v145, v195
	v_fma_f32 v180, v142, v183, -v140
	v_mul_f32_e32 v167, v144, v195
	v_add_f32_e32 v162, v10, v162
	v_add_f32_e32 v12, v12, v163
	v_fmac_f32_e32 v171, v143, v183
	s_waitcnt vmcnt(32)
	v_mul_f32_e32 v175, v146, v200
	v_mul_f32_e32 v179, v147, v200
	v_add_f32_e32 v162, v162, v172
	v_add_f32_e32 v12, v12, v165
	v_fma_f32 v181, v144, v182, -v141
	v_fmac_f32_e32 v167, v145, v182
	s_waitcnt vmcnt(28)
	v_fmac_f32_e32 v175, v147, v178
	v_add_f32_e32 v162, v162, v173
	v_add_f32_e32 v12, v12, v180
	v_fma_f32 v178, v146, v178, -v179
	s_waitcnt vmcnt(27) lgkmcnt(1)
	v_mul_f32_e32 v179, v3, v188
	ds_read_b128 v[6:9], v1 offset:928
	ds_read_b128 v[152:155], v1 offset:944
	v_add_f32_e32 v162, v162, v171
	v_add_f32_e32 v12, v12, v181
	v_mul_f32_e32 v163, v2, v188
	s_waitcnt vmcnt(26)
	v_mul_f32_e32 v182, v5, v197
	v_fma_f32 v2, v2, v177, -v179
	v_add_f32_e32 v162, v162, v167
	v_add_f32_e32 v12, v12, v178
	v_mul_f32_e32 v172, v4, v197
	v_fmac_f32_e32 v163, v3, v177
	s_waitcnt vmcnt(25) lgkmcnt(2)
	v_mul_f32_e32 v179, v149, v198
	v_add_f32_e32 v162, v162, v175
	v_fma_f32 v4, v4, v176, -v182
	v_add_f32_e32 v2, v12, v2
	v_mul_f32_e32 v165, v148, v198
	v_fmac_f32_e32 v172, v5, v176
	v_add_f32_e32 v12, v162, v163
	s_waitcnt vmcnt(24)
	v_mul_f32_e32 v175, v151, v201
	v_fma_f32 v148, v148, v174, -v179
	v_add_f32_e32 v2, v2, v4
	v_mul_f32_e32 v173, v150, v201
	v_fmac_f32_e32 v165, v149, v174
	v_add_f32_e32 v4, v12, v172
	s_waitcnt vmcnt(23) lgkmcnt(1)
	v_mul_f32_e32 v12, v7, v190
	v_add_f32_e32 v2, v2, v148
	ds_read_b128 v[140:143], v1 offset:960
	ds_read_b128 v[156:159], v1 offset:976
	s_waitcnt vmcnt(9)
	v_fma_f32 v149, v150, v208, -v175
	v_mul_f32_e32 v3, v6, v190
	v_fmac_f32_e32 v173, v151, v208
	v_add_f32_e32 v4, v4, v165
	v_mul_f32_e32 v148, v9, v196
	v_fma_f32 v6, v6, v207, -v12
	v_add_f32_e32 v2, v2, v149
	v_mul_f32_e32 v177, v8, v196
	v_fmac_f32_e32 v3, v7, v207
	v_add_f32_e32 v4, v4, v173
	s_waitcnt lgkmcnt(2)
	v_mul_f32_e32 v7, v153, v168
	v_fma_f32 v8, v8, v205, -v148
	v_add_f32_e32 v2, v2, v6
	v_mul_f32_e32 v171, v152, v168
	v_fmac_f32_e32 v177, v9, v205
	v_add_f32_e32 v3, v4, v3
	v_mul_f32_e32 v4, v155, v187
	v_fma_f32 v6, v152, v169, -v7
	v_add_f32_e32 v2, v2, v8
	v_mul_f32_e32 v5, v154, v187
	v_fmac_f32_e32 v171, v153, v169
	v_add_f32_e32 v3, v3, v177
	s_waitcnt lgkmcnt(1)
	v_mul_f32_e32 v7, v141, v202
	s_waitcnt vmcnt(5)
	v_fma_f32 v4, v154, v212, -v4
	v_add_f32_e32 v2, v2, v6
	ds_read_b128 v[144:147], v1 offset:992
	ds_read_b64 v[10:11], v1 offset:1008
	v_mul_f32_e32 v176, v140, v202
	v_fmac_f32_e32 v5, v155, v212
	v_add_f32_e32 v3, v3, v171
	v_mul_f32_e32 v6, v143, v164
	v_fma_f32 v7, v140, v211, -v7
	v_add_f32_e32 v2, v2, v4
	v_mul_f32_e32 v167, v142, v164
	v_fmac_f32_e32 v176, v141, v211
	v_add_f32_e32 v3, v3, v5
	s_waitcnt lgkmcnt(2)
	v_mul_f32_e32 v4, v157, v166
	v_fma_f32 v5, v142, v210, -v6
	v_add_f32_e32 v2, v2, v7
	v_mul_f32_e32 v180, v156, v166
	v_fmac_f32_e32 v167, v143, v210
	v_add_f32_e32 v3, v3, v176
	v_mul_f32_e32 v6, v159, v203
	v_fma_f32 v4, v156, v209, -v4
	v_add_f32_e32 v2, v2, v5
	v_mul_f32_e32 v181, v158, v203
	v_fmac_f32_e32 v180, v157, v209
	v_add_f32_e32 v3, v3, v167
	s_waitcnt lgkmcnt(1)
	v_mul_f32_e32 v5, v145, v170
	s_waitcnt vmcnt(1)
	v_fma_f32 v6, v158, v215, -v6
	v_add_f32_e32 v2, v2, v4
	v_mul_f32_e32 v178, v144, v170
	v_fmac_f32_e32 v181, v159, v215
	v_add_f32_e32 v3, v3, v180
	v_mul_f32_e32 v4, v147, v191
	v_fma_f32 v5, v144, v214, -v5
	v_add_f32_e32 v2, v2, v6
	v_mul_f32_e32 v182, v146, v191
	v_fmac_f32_e32 v178, v145, v214
	v_add_f32_e32 v3, v3, v181
	s_waitcnt lgkmcnt(0)
	v_mul_f32_e32 v6, v11, v204
	v_fma_f32 v4, v146, v213, -v4
	v_add_f32_e32 v2, v2, v5
	v_mul_f32_e32 v162, v10, v204
	v_fmac_f32_e32 v182, v147, v213
	v_add_f32_e32 v3, v3, v178
	v_fma_f32 v5, v10, v160, -v6
	v_add_f32_e32 v2, v2, v4
	v_fmac_f32_e32 v162, v11, v160
	v_add_f32_e32 v3, v3, v182
	v_add_f32_e32 v2, v2, v5
	;; [unrolled: 1-line block ×3, first 2 shown]
	s_waitcnt vmcnt(0)
	v_sub_f32_e32 v2, v161, v2
	v_sub_f32_e32 v3, v186, v3
	buffer_store_dword v2, off, s[0:3], 0 offset:56
	buffer_store_dword v3, off, s[0:3], 0 offset:60
	v_cmpx_lt_u32_e32 6, v0
	s_cbranch_execz .LBB62_379
; %bb.378:
	s_clause 0x1
	buffer_load_dword v2, off, s[0:3], 0 offset:48
	buffer_load_dword v3, off, s[0:3], 0 offset:52
	buffer_store_dword v1, off, s[0:3], 0 offset:48
	buffer_store_dword v1, off, s[0:3], 0 offset:52
	s_waitcnt vmcnt(0)
	ds_write_b64 v139, v[2:3]
.LBB62_379:
	s_or_b32 exec_lo, exec_lo, s4
	s_waitcnt lgkmcnt(0)
	s_waitcnt_vscnt null, 0x0
	s_barrier
	buffer_gl0_inv
	s_clause 0x34
	buffer_load_dword v175, off, s[0:3], 0 offset:60
	buffer_load_dword v176, off, s[0:3], 0 offset:68
	;; [unrolled: 1-line block ×53, first 2 shown]
	ds_read2_b64 v[183:186], v1 offset0:71 offset1:72
	ds_read2_b64 v[187:190], v1 offset0:73 offset1:74
	;; [unrolled: 1-line block ×4, first 2 shown]
	s_mov_b32 s4, exec_lo
	s_waitcnt vmcnt(52) lgkmcnt(3)
	v_mul_f32_e32 v178, v183, v175
	v_mul_f32_e32 v199, v184, v175
	s_waitcnt vmcnt(51)
	v_mul_f32_e32 v175, v185, v176
	v_mul_f32_e32 v200, v186, v176
	buffer_load_dword v176, off, s[0:3], 0 offset:52
	s_waitcnt vmcnt(49)
	v_fmac_f32_e32 v178, v184, v6
	v_fma_f32 v199, v183, v6, -v199
	v_fmac_f32_e32 v175, v186, v5
	v_fma_f32 v200, v185, v5, -v200
	ds_read2_b64 v[183:186], v1 offset0:79 offset1:80
	s_waitcnt vmcnt(48) lgkmcnt(3)
	v_mul_f32_e32 v201, v187, v4
	v_mul_f32_e32 v4, v188, v4
	s_waitcnt vmcnt(47)
	v_mul_f32_e32 v202, v189, v3
	v_mul_f32_e32 v3, v190, v3
	s_waitcnt vmcnt(46) lgkmcnt(2)
	v_mul_f32_e32 v203, v191, v8
	v_fmac_f32_e32 v201, v188, v2
	v_fma_f32 v205, v187, v2, -v4
	s_waitcnt vmcnt(41)
	v_fmac_f32_e32 v202, v190, v141
	v_fma_f32 v141, v189, v141, -v3
	ds_read2_b64 v[2:5], v1 offset0:81 offset1:82
	ds_read2_b64 v[187:190], v1 offset0:83 offset1:84
	v_mul_f32_e32 v6, v192, v8
	v_mul_f32_e32 v204, v193, v7
	;; [unrolled: 1-line block ×3, first 2 shown]
	v_fmac_f32_e32 v203, v192, v140
	v_fma_f32 v140, v191, v140, -v6
	v_fmac_f32_e32 v204, v194, v11
	v_fma_f32 v11, v193, v11, -v7
	s_waitcnt vmcnt(40) lgkmcnt(3)
	v_mul_f32_e32 v191, v195, v12
	v_mul_f32_e32 v6, v196, v12
	s_waitcnt vmcnt(39)
	v_mul_f32_e32 v12, v197, v10
	v_mul_f32_e32 v7, v198, v10
	s_waitcnt vmcnt(34) lgkmcnt(2)
	v_mul_f32_e32 v193, v183, v172
	v_fmac_f32_e32 v191, v196, v9
	v_fma_f32 v192, v195, v9, -v6
	v_fmac_f32_e32 v12, v198, v173
	v_fma_f32 v173, v197, v173, -v7
	ds_read2_b64 v[6:9], v1 offset0:85 offset1:86
	v_mul_f32_e32 v172, v184, v172
	s_waitcnt vmcnt(33)
	v_mul_f32_e32 v194, v185, v171
	v_mul_f32_e32 v171, v186, v171
	s_waitcnt vmcnt(32) lgkmcnt(2)
	v_mul_f32_e32 v195, v2, v170
	v_mul_f32_e32 v170, v3, v170
	v_fmac_f32_e32 v193, v184, v165
	v_fma_f32 v172, v183, v165, -v172
	s_waitcnt vmcnt(31)
	v_mul_f32_e32 v183, v4, v169
	v_mul_f32_e32 v165, v5, v169
	v_fmac_f32_e32 v194, v186, v161
	v_fma_f32 v161, v185, v161, -v171
	s_waitcnt vmcnt(30) lgkmcnt(1)
	v_mul_f32_e32 v169, v187, v166
	v_mul_f32_e32 v171, v188, v166
	s_waitcnt vmcnt(29)
	v_mul_f32_e32 v184, v189, v167
	v_mul_f32_e32 v185, v190, v167
	buffer_load_dword v10, off, s[0:3], 0 offset:268
	v_fmac_f32_e32 v195, v3, v151
	v_fma_f32 v151, v2, v151, -v170
	s_waitcnt vmcnt(26)
	v_fmac_f32_e32 v183, v5, v168
	v_fma_f32 v170, v4, v168, -v165
	ds_read2_b64 v[2:5], v1 offset0:87 offset1:88
	ds_read2_b64 v[165:168], v1 offset0:89 offset1:90
	v_fmac_f32_e32 v169, v188, v164
	v_fma_f32 v164, v187, v164, -v171
	v_fmac_f32_e32 v184, v190, v162
	v_fma_f32 v162, v189, v162, -v185
	s_clause 0x4
	buffer_load_dword v171, off, s[0:3], 0 offset:276
	buffer_load_dword v185, off, s[0:3], 0 offset:296
	buffer_load_dword v186, off, s[0:3], 0 offset:288
	buffer_load_dword v187, off, s[0:3], 0 offset:280
	buffer_load_dword v188, off, s[0:3], 0 offset:272
	s_waitcnt vmcnt(30) lgkmcnt(2)
	v_mul_f32_e32 v189, v6, v157
	v_mul_f32_e32 v157, v7, v157
	s_waitcnt vmcnt(29)
	v_mul_f32_e32 v190, v8, v155
	v_mul_f32_e32 v155, v9, v155
	v_fmac_f32_e32 v189, v7, v147
	v_fma_f32 v147, v6, v147, -v157
	s_waitcnt vmcnt(25)
	v_fmac_f32_e32 v190, v9, v163
	v_fma_f32 v155, v8, v163, -v155
	ds_read2_b64 v[6:9], v1 offset0:91 offset1:92
	s_waitcnt vmcnt(24) lgkmcnt(2)
	v_mul_f32_e32 v157, v2, v160
	v_mul_f32_e32 v160, v3, v160
	s_waitcnt vmcnt(23)
	v_mul_f32_e32 v163, v4, v159
	v_mul_f32_e32 v159, v5, v159
	v_fmac_f32_e32 v157, v3, v152
	v_fma_f32 v152, v2, v152, -v160
	s_waitcnt vmcnt(22) lgkmcnt(1)
	v_mul_f32_e32 v160, v165, v156
	v_mul_f32_e32 v2, v166, v156
	v_fmac_f32_e32 v163, v5, v148
	v_fma_f32 v148, v4, v148, -v159
	s_waitcnt vmcnt(21)
	v_mul_f32_e32 v156, v167, v150
	v_mul_f32_e32 v3, v168, v150
	s_clause 0x1
	buffer_load_dword v150, off, s[0:3], 0 offset:284
	buffer_load_dword v159, off, s[0:3], 0 offset:292
	v_fmac_f32_e32 v160, v166, v143
	v_fma_f32 v143, v165, v143, -v2
	s_waitcnt vmcnt(19)
	v_fmac_f32_e32 v156, v168, v158
	v_fma_f32 v158, v167, v158, -v3
	ds_read2_b64 v[2:5], v1 offset0:93 offset1:94
	s_waitcnt vmcnt(18) lgkmcnt(1)
	v_mul_f32_e32 v165, v6, v154
	v_mul_f32_e32 v154, v7, v154
	s_waitcnt vmcnt(17)
	v_mul_f32_e32 v166, v8, v153
	v_mul_f32_e32 v153, v9, v153
	v_fmac_f32_e32 v165, v7, v149
	v_fma_f32 v149, v6, v149, -v154
	v_fmac_f32_e32 v166, v9, v144
	v_fma_f32 v144, v8, v144, -v153
	ds_read2_b64 v[6:9], v1 offset0:95 offset1:96
	buffer_load_dword v153, off, s[0:3], 0 offset:300
	s_waitcnt vmcnt(16) lgkmcnt(1)
	v_mul_f32_e32 v167, v4, v145
	v_mul_f32_e32 v145, v5, v145
	;; [unrolled: 1-line block ×4, first 2 shown]
	s_waitcnt vmcnt(12)
	v_fmac_f32_e32 v167, v5, v182
	v_fma_f32 v145, v4, v182, -v145
	buffer_load_dword v182, off, s[0:3], 0 offset:308
	v_fmac_f32_e32 v154, v3, v142
	v_fma_f32 v142, v2, v142, -v146
	s_waitcnt vmcnt(12) lgkmcnt(0)
	v_mul_f32_e32 v146, v6, v181
	v_mul_f32_e32 v168, v7, v181
	s_waitcnt vmcnt(11)
	v_mul_f32_e32 v181, v8, v180
	v_mul_f32_e32 v180, v9, v180
	ds_read2_b64 v[2:5], v1 offset0:97 offset1:98
	v_fmac_f32_e32 v146, v7, v179
	v_fma_f32 v168, v6, v179, -v168
	v_fmac_f32_e32 v181, v9, v177
	v_fma_f32 v177, v8, v177, -v180
	s_clause 0x4
	buffer_load_dword v179, off, s[0:3], 0 offset:328
	buffer_load_dword v180, off, s[0:3], 0 offset:320
	;; [unrolled: 1-line block ×5, first 2 shown]
	v_add_f32_e32 v6, 0, v199
	v_add_f32_e32 v7, 0, v178
	buffer_load_dword v199, off, s[0:3], 0 offset:324
	v_add_f32_e32 v6, v6, v200
	v_add_f32_e32 v7, v7, v175
	s_clause 0x1
	buffer_load_dword v175, off, s[0:3], 0 offset:332
	buffer_load_dword v178, off, s[0:3], 0 offset:340
	v_add_f32_e32 v6, v6, v205
	v_add_f32_e32 v7, v7, v201
	;; [unrolled: 1-line block ×4, first 2 shown]
	s_clause 0x3
	buffer_load_dword v200, off, s[0:3], 0 offset:360
	buffer_load_dword v201, off, s[0:3], 0 offset:352
	;; [unrolled: 1-line block ×4, first 2 shown]
	v_add_f32_e32 v6, v6, v140
	v_add_f32_e32 v7, v7, v203
	;; [unrolled: 1-line block ×4, first 2 shown]
	s_clause 0x3
	buffer_load_dword v11, off, s[0:3], 0 offset:348
	buffer_load_dword v203, off, s[0:3], 0 offset:356
	;; [unrolled: 1-line block ×4, first 2 shown]
	v_add_f32_e32 v6, v6, v192
	v_add_f32_e32 v7, v7, v191
	;; [unrolled: 1-line block ×14, first 2 shown]
	s_waitcnt vmcnt(25) lgkmcnt(0)
	v_mul_f32_e32 v140, v2, v10
	v_mul_f32_e32 v8, v3, v10
	v_fmac_f32_e32 v140, v3, v174
	s_waitcnt vmcnt(24)
	v_mul_f32_e32 v10, v4, v171
	v_mul_f32_e32 v9, v5, v171
	v_fma_f32 v141, v2, v174, -v8
	s_waitcnt vmcnt(20)
	v_fmac_f32_e32 v10, v5, v188
	v_fma_f32 v12, v4, v188, -v9
	ds_read2_b64 v[2:5], v1 offset0:99 offset1:100
	s_clause 0x6
	buffer_load_dword v171, off, s[0:3], 0 offset:392
	buffer_load_dword v172, off, s[0:3], 0 offset:384
	;; [unrolled: 1-line block ×7, first 2 shown]
	ds_read2_b64 v[6:9], v1 offset0:101 offset1:102
	s_waitcnt vmcnt(26) lgkmcnt(1)
	v_mul_f32_e32 v183, v2, v150
	v_mul_f32_e32 v150, v3, v150
	s_waitcnt vmcnt(25)
	v_mul_f32_e32 v170, v4, v159
	v_mul_f32_e32 v159, v5, v159
	v_fmac_f32_e32 v183, v3, v187
	v_add_f32_e32 v3, v151, v184
	v_fma_f32 v150, v2, v187, -v150
	v_add_f32_e32 v2, v164, v162
	v_fma_f32 v151, v4, v186, -v159
	s_clause 0x3
	buffer_load_dword v162, off, s[0:3], 0 offset:404
	buffer_load_dword v164, off, s[0:3], 0 offset:412
	;; [unrolled: 1-line block ×4, first 2 shown]
	v_add_f32_e32 v3, v3, v189
	v_fmac_f32_e32 v170, v5, v186
	v_add_f32_e32 v2, v2, v147
	s_clause 0x3
	buffer_load_dword v186, off, s[0:3], 0 offset:436
	buffer_load_dword v187, off, s[0:3], 0 offset:444
	;; [unrolled: 1-line block ×4, first 2 shown]
	v_add_f32_e32 v3, v3, v190
	s_waitcnt vmcnt(32) lgkmcnt(0)
	v_mul_f32_e32 v4, v7, v153
	v_add_f32_e32 v2, v2, v155
	v_mul_f32_e32 v155, v6, v153
	s_clause 0x3
	buffer_load_dword v190, off, s[0:3], 0 offset:468
	buffer_load_dword v193, off, s[0:3], 0 offset:476
	buffer_load_dword v194, off, s[0:3], 0 offset:484
	buffer_load_dword v195, off, s[0:3], 0 offset:492
	v_add_f32_e32 v3, v3, v157
	buffer_load_dword v207, off, s[0:3], 0 offset:500
	v_add_f32_e32 v2, v2, v152
	v_fmac_f32_e32 v155, v7, v185
	v_fma_f32 v152, v6, v185, -v4
	v_add_f32_e32 v6, v3, v163
	s_clause 0x3
	buffer_load_dword v163, off, s[0:3], 0 offset:424
	buffer_load_dword v185, off, s[0:3], 0 offset:416
	;; [unrolled: 1-line block ×4, first 2 shown]
	v_add_f32_e32 v2, v2, v148
	v_add_f32_e32 v6, v6, v160
	;; [unrolled: 1-line block ×3, first 2 shown]
	s_waitcnt vmcnt(40)
	v_mul_f32_e32 v2, v9, v182
	v_mul_f32_e32 v148, v8, v182
	v_add_f32_e32 v6, v6, v156
	v_add_f32_e32 v7, v7, v158
	;; [unrolled: 1-line block ×4, first 2 shown]
	s_waitcnt vmcnt(36)
	v_fma_f32 v153, v8, v197, -v2
	ds_read2_b64 v[2:5], v1 offset0:103 offset1:104
	v_fmac_f32_e32 v148, v9, v197
	s_clause 0x3
	buffer_load_dword v160, off, s[0:3], 0 offset:456
	buffer_load_dword v182, off, s[0:3], 0 offset:448
	;; [unrolled: 1-line block ×4, first 2 shown]
	v_add_f32_e32 v143, v7, v144
	v_add_f32_e32 v144, v6, v166
	ds_read2_b64 v[6:9], v1 offset0:105 offset1:106
	v_add_f32_e32 v142, v143, v142
	v_add_f32_e32 v144, v144, v154
	s_waitcnt vmcnt(39) lgkmcnt(1)
	v_mul_f32_e32 v156, v2, v198
	v_mul_f32_e32 v143, v3, v198
	s_waitcnt vmcnt(38)
	v_mul_f32_e32 v157, v4, v199
	v_fmac_f32_e32 v156, v3, v196
	v_fma_f32 v154, v2, v196, -v143
	v_add_f32_e32 v3, v144, v167
	s_clause 0x3
	buffer_load_dword v165, off, s[0:3], 0 offset:488
	buffer_load_dword v166, off, s[0:3], 0 offset:480
	;; [unrolled: 1-line block ×4, first 2 shown]
	v_add_f32_e32 v2, v142, v145
	buffer_load_dword v198, off, s[0:3], 0 offset:48
	v_mul_f32_e32 v142, v5, v199
	v_add_f32_e32 v3, v3, v146
	v_fmac_f32_e32 v157, v5, v180
	v_add_f32_e32 v2, v2, v168
	buffer_load_dword v168, off, s[0:3], 0 offset:496
	v_fma_f32 v158, v4, v180, -v142
	v_add_f32_e32 v143, v3, v181
	s_waitcnt vmcnt(43) lgkmcnt(0)
	v_mul_f32_e32 v159, v6, v175
	v_add_f32_e32 v2, v2, v177
	v_add_f32_e32 v145, v143, v140
	v_fmac_f32_e32 v159, v7, v179
	v_add_f32_e32 v144, v2, v141
	ds_read2_b64 v[2:5], v1 offset0:107 offset1:108
	ds_read2_b64 v[140:143], v1 offset0:109 offset1:110
	v_add_f32_e32 v10, v145, v10
	s_waitcnt vmcnt(42)
	v_mul_f32_e32 v145, v9, v178
	v_add_f32_e32 v12, v144, v12
	v_mul_f32_e32 v144, v7, v175
	v_mul_f32_e32 v175, v8, v178
	v_add_f32_e32 v10, v10, v183
	s_waitcnt vmcnt(38)
	v_fma_f32 v178, v8, v205, -v145
	v_add_f32_e32 v12, v12, v150
	v_fma_f32 v177, v6, v179, -v144
	v_fmac_f32_e32 v175, v9, v205
	ds_read2_b64 v[6:9], v1 offset0:111 offset1:112
	ds_read2_b64 v[144:147], v1 offset0:113 offset1:114
	v_add_f32_e32 v10, v10, v170
	v_add_f32_e32 v12, v12, v151
	;; [unrolled: 1-line block ×4, first 2 shown]
	s_waitcnt vmcnt(36) lgkmcnt(3)
	v_mul_f32_e32 v170, v4, v203
	s_waitcnt vmcnt(35) lgkmcnt(2)
	v_mul_f32_e32 v180, v140, v206
	v_mul_f32_e32 v152, v141, v206
	v_add_f32_e32 v10, v10, v148
	v_add_f32_e32 v12, v12, v153
	v_mul_f32_e32 v149, v5, v203
	v_fmac_f32_e32 v180, v141, v200
	v_fma_f32 v199, v140, v200, -v152
	v_add_f32_e32 v10, v10, v156
	v_add_f32_e32 v12, v12, v154
	v_mul_f32_e32 v179, v2, v11
	v_mul_f32_e32 v11, v3, v11
	v_fmac_f32_e32 v170, v5, v201
	v_add_f32_e32 v10, v10, v157
	v_add_f32_e32 v12, v12, v158
	v_fma_f32 v183, v4, v201, -v149
	v_fma_f32 v11, v2, v202, -v11
	v_fmac_f32_e32 v179, v3, v202
	v_add_f32_e32 v10, v10, v159
	s_waitcnt vmcnt(34)
	v_mul_f32_e32 v181, v142, v204
	v_mul_f32_e32 v153, v143, v204
	ds_read2_b64 v[2:5], v1 offset0:115 offset1:116
	ds_read2_b64 v[148:151], v1 offset0:117 offset1:118
	v_add_f32_e32 v10, v10, v175
	v_add_f32_e32 v10, v10, v179
	;; [unrolled: 1-line block ×4, first 2 shown]
	s_waitcnt vmcnt(29) lgkmcnt(3)
	v_mul_f32_e32 v200, v6, v161
	s_waitcnt vmcnt(28)
	v_mul_f32_e32 v201, v8, v188
	v_mul_f32_e32 v156, v7, v161
	;; [unrolled: 1-line block ×3, first 2 shown]
	v_fmac_f32_e32 v181, v143, v174
	v_fmac_f32_e32 v200, v7, v173
	v_add_f32_e32 v7, v12, v177
	v_fmac_f32_e32 v201, v9, v172
	v_fma_f32 v161, v8, v172, -v157
	v_fma_f32 v174, v142, v174, -v153
	v_fma_f32 v12, v6, v173, -v156
	v_add_f32_e32 v172, v7, v178
	v_add_f32_e32 v10, v10, v181
	ds_read2_b64 v[140:143], v1 offset0:119 offset1:120
	ds_read2_b64 v[152:155], v1 offset0:121 offset1:122
	;; [unrolled: 1-line block ×4, first 2 shown]
	s_waitcnt vmcnt(27) lgkmcnt(6)
	v_mul_f32_e32 v1, v144, v191
	v_add_f32_e32 v11, v172, v11
	v_mul_f32_e32 v172, v145, v191
	v_add_f32_e32 v10, v10, v200
	v_fmac_f32_e32 v1, v145, v171
	v_add_f32_e32 v11, v11, v183
	v_fma_f32 v144, v144, v171, -v172
	v_add_f32_e32 v10, v10, v201
	v_add_f32_e32 v11, v11, v199
	v_add_f32_e32 v1, v10, v1
	s_waitcnt vmcnt(26)
	v_mul_f32_e32 v173, v146, v162
	v_add_f32_e32 v11, v11, v174
	v_mul_f32_e32 v162, v147, v162
	s_waitcnt vmcnt(25) lgkmcnt(5)
	v_mul_f32_e32 v175, v2, v164
	s_waitcnt vmcnt(24)
	v_mul_f32_e32 v10, v5, v169
	v_mul_f32_e32 v170, v4, v169
	v_add_f32_e32 v11, v11, v12
	s_waitcnt vmcnt(23) lgkmcnt(4)
	v_mul_f32_e32 v177, v148, v184
	s_waitcnt vmcnt(22)
	v_mul_f32_e32 v178, v150, v186
	s_waitcnt vmcnt(21) lgkmcnt(3)
	v_mul_f32_e32 v179, v140, v187
	s_waitcnt vmcnt(20)
	v_mul_f32_e32 v180, v142, v189
	v_add_f32_e32 v11, v11, v161
	v_mul_f32_e32 v161, v3, v164
	s_waitcnt vmcnt(19) lgkmcnt(2)
	v_mul_f32_e32 v174, v152, v192
	s_waitcnt vmcnt(18)
	v_mul_f32_e32 v181, v154, v190
	s_waitcnt vmcnt(17) lgkmcnt(1)
	v_mul_f32_e32 v183, v6, v193
	v_add_f32_e32 v11, v11, v144
	s_waitcnt vmcnt(13)
	v_fmac_f32_e32 v177, v149, v163
	s_waitcnt vmcnt(12)
	v_fma_f32 v4, v4, v185, -v10
	s_waitcnt vmcnt(11)
	v_fmac_f32_e32 v175, v3, v208
	s_waitcnt vmcnt(10)
	v_fma_f32 v146, v146, v209, -v162
	v_fmac_f32_e32 v173, v147, v209
	v_fma_f32 v2, v2, v208, -v161
	v_fmac_f32_e32 v170, v5, v185
	v_mul_f32_e32 v12, v8, v194
	v_add_f32_e32 v3, v11, v146
	v_add_f32_e32 v1, v1, v173
	v_mul_f32_e32 v11, v149, v184
	s_waitcnt lgkmcnt(0)
	v_mul_f32_e32 v188, v156, v195
	v_mul_f32_e32 v145, v158, v207
	v_add_f32_e32 v2, v3, v2
	v_add_f32_e32 v1, v1, v175
	v_mul_f32_e32 v3, v151, v186
	v_fma_f32 v5, v148, v163, -v11
	v_add_f32_e32 v2, v2, v4
	v_add_f32_e32 v1, v1, v170
	v_mul_f32_e32 v4, v141, v187
	s_waitcnt vmcnt(8)
	v_fmac_f32_e32 v180, v143, v182
	s_waitcnt vmcnt(7)
	v_fmac_f32_e32 v179, v141, v197
	s_waitcnt vmcnt(6)
	v_fma_f32 v3, v150, v210, -v3
	v_add_f32_e32 v2, v2, v5
	v_fmac_f32_e32 v178, v151, v210
	v_add_f32_e32 v1, v1, v177
	v_mul_f32_e32 v5, v143, v189
	v_fma_f32 v4, v140, v197, -v4
	v_add_f32_e32 v2, v2, v3
	v_mul_f32_e32 v3, v153, v192
	v_add_f32_e32 v1, v1, v178
	v_fma_f32 v5, v142, v182, -v5
	v_fmac_f32_e32 v174, v153, v160
	v_add_f32_e32 v2, v2, v4
	v_mul_f32_e32 v4, v155, v190
	v_add_f32_e32 v1, v1, v179
	v_fma_f32 v3, v152, v160, -v3
	v_add_f32_e32 v2, v2, v5
	v_mul_f32_e32 v5, v7, v193
	v_add_f32_e32 v1, v1, v180
	v_add_f32_e32 v2, v2, v3
	v_mul_f32_e32 v3, v9, v194
	v_add_f32_e32 v1, v1, v174
	s_waitcnt vmcnt(4)
	v_fmac_f32_e32 v12, v9, v166
	s_waitcnt vmcnt(3)
	v_fma_f32 v5, v6, v167, -v5
	s_waitcnt vmcnt(2)
	v_fma_f32 v4, v154, v196, -v4
	v_fmac_f32_e32 v181, v155, v196
	v_fmac_f32_e32 v183, v7, v167
	v_fma_f32 v3, v8, v166, -v3
	v_fmac_f32_e32 v188, v157, v165
	v_add_f32_e32 v2, v2, v4
	v_add_f32_e32 v1, v1, v181
	v_mul_f32_e32 v4, v157, v195
	s_waitcnt vmcnt(0)
	v_fmac_f32_e32 v145, v159, v168
	v_add_f32_e32 v2, v2, v5
	v_add_f32_e32 v1, v1, v183
	v_mul_f32_e32 v5, v159, v207
	v_fma_f32 v4, v156, v165, -v4
	v_add_f32_e32 v2, v2, v3
	v_add_f32_e32 v1, v1, v12
	v_fma_f32 v3, v158, v168, -v5
	v_add_f32_e32 v2, v2, v4
	v_add_f32_e32 v1, v1, v188
	;; [unrolled: 1-line block ×4, first 2 shown]
	v_sub_f32_e32 v2, v198, v2
	v_sub_f32_e32 v1, v176, v1
	buffer_store_dword v2, off, s[0:3], 0 offset:48
	buffer_store_dword v1, off, s[0:3], 0 offset:52
	v_cmpx_lt_u32_e32 5, v0
	s_cbranch_execz .LBB62_381
; %bb.380:
	s_clause 0x1
	buffer_load_dword v1, off, s[0:3], 0 offset:40
	buffer_load_dword v2, off, s[0:3], 0 offset:44
	v_mov_b32_e32 v3, 0
	buffer_store_dword v3, off, s[0:3], 0 offset:40
	buffer_store_dword v3, off, s[0:3], 0 offset:44
	s_waitcnt vmcnt(0)
	ds_write_b64 v139, v[1:2]
.LBB62_381:
	s_or_b32 exec_lo, exec_lo, s4
	s_waitcnt lgkmcnt(0)
	s_waitcnt_vscnt null, 0x0
	s_barrier
	buffer_gl0_inv
	s_clause 0x34
	buffer_load_dword v2, off, s[0:3], 0 offset:52
	buffer_load_dword v3, off, s[0:3], 0 offset:60
	;; [unrolled: 1-line block ×53, first 2 shown]
	v_mov_b32_e32 v1, 0
	ds_read_b128 v[183:186], v1 offset:560
	ds_read_b128 v[187:190], v1 offset:576
	;; [unrolled: 1-line block ×4, first 2 shown]
	buffer_load_dword v182, off, s[0:3], 0 offset:44
	s_mov_b32 s4, exec_lo
	s_waitcnt vmcnt(53) lgkmcnt(3)
	v_mul_f32_e32 v199, v183, v2
	v_mul_f32_e32 v2, v184, v2
	s_waitcnt vmcnt(52)
	v_mul_f32_e32 v200, v185, v3
	v_mul_f32_e32 v3, v186, v3
	s_waitcnt vmcnt(49)
	v_fmac_f32_e32 v199, v184, v8
	v_fma_f32 v201, v183, v8, -v2
	v_fmac_f32_e32 v200, v186, v7
	v_fma_f32 v202, v185, v7, -v3
	ds_read_b128 v[183:186], v1 offset:624
	s_waitcnt vmcnt(48) lgkmcnt(3)
	v_mul_f32_e32 v203, v187, v6
	v_mul_f32_e32 v2, v188, v6
	s_waitcnt vmcnt(47)
	v_mul_f32_e32 v3, v190, v5
	v_mul_f32_e32 v204, v189, v5
	s_waitcnt vmcnt(46) lgkmcnt(2)
	v_mul_f32_e32 v6, v192, v10
	s_waitcnt vmcnt(45)
	v_mul_f32_e32 v7, v194, v9
	v_fmac_f32_e32 v203, v188, v4
	v_fma_f32 v187, v187, v4, -v2
	s_waitcnt vmcnt(41)
	v_fma_f32 v188, v189, v143, -v3
	ds_read_b128 v[2:5], v1 offset:640
	v_mul_f32_e32 v205, v191, v10
	v_mul_f32_e32 v10, v193, v9
	v_fmac_f32_e32 v204, v190, v143
	v_fma_f32 v189, v191, v142, -v6
	v_fma_f32 v190, v193, v140, -v7
	ds_read_b128 v[6:9], v1 offset:656
	v_fmac_f32_e32 v10, v194, v140
	s_waitcnt vmcnt(40) lgkmcnt(3)
	v_mul_f32_e32 v191, v195, v141
	v_mul_f32_e32 v140, v196, v141
	v_fmac_f32_e32 v205, v192, v142
	s_waitcnt vmcnt(39)
	v_mul_f32_e32 v192, v197, v12
	v_mul_f32_e32 v12, v198, v12
	v_fmac_f32_e32 v191, v196, v11
	v_fma_f32 v11, v195, v11, -v140
	ds_read_b128 v[140:143], v1 offset:672
	s_waitcnt vmcnt(35)
	v_fmac_f32_e32 v192, v198, v175
	v_fma_f32 v12, v197, v175, -v12
	s_waitcnt vmcnt(34) lgkmcnt(3)
	v_mul_f32_e32 v175, v183, v174
	v_mul_f32_e32 v174, v184, v174
	s_waitcnt vmcnt(33)
	v_mul_f32_e32 v194, v185, v173
	v_mul_f32_e32 v173, v186, v173
	s_waitcnt vmcnt(32) lgkmcnt(2)
	v_mul_f32_e32 v195, v2, v172
	v_mul_f32_e32 v172, v3, v172
	v_fmac_f32_e32 v175, v184, v167
	v_fma_f32 v174, v183, v167, -v174
	s_waitcnt vmcnt(31)
	v_mul_f32_e32 v183, v4, v171
	v_mul_f32_e32 v167, v5, v171
	v_fmac_f32_e32 v194, v186, v163
	v_fma_f32 v163, v185, v163, -v173
	s_waitcnt vmcnt(30) lgkmcnt(1)
	v_mul_f32_e32 v171, v6, v168
	v_mul_f32_e32 v173, v7, v168
	s_waitcnt vmcnt(29)
	v_mul_f32_e32 v184, v8, v169
	v_mul_f32_e32 v185, v9, v169
	buffer_load_dword v193, off, s[0:3], 0 offset:260
	v_fmac_f32_e32 v195, v3, v153
	v_fma_f32 v153, v2, v153, -v172
	s_waitcnt vmcnt(26)
	v_fmac_f32_e32 v183, v5, v170
	v_fma_f32 v172, v4, v170, -v167
	ds_read_b128 v[2:5], v1 offset:688
	ds_read_b128 v[167:170], v1 offset:704
	v_fmac_f32_e32 v171, v7, v166
	v_fma_f32 v166, v6, v166, -v173
	v_fmac_f32_e32 v184, v9, v164
	v_fma_f32 v164, v8, v164, -v185
	s_clause 0x4
	buffer_load_dword v173, off, s[0:3], 0 offset:268
	buffer_load_dword v185, off, s[0:3], 0 offset:288
	;; [unrolled: 1-line block ×5, first 2 shown]
	s_waitcnt vmcnt(30) lgkmcnt(2)
	v_mul_f32_e32 v198, v140, v159
	v_mul_f32_e32 v6, v141, v159
	s_waitcnt vmcnt(29)
	v_mul_f32_e32 v7, v143, v157
	v_mul_f32_e32 v159, v142, v157
	v_fmac_f32_e32 v198, v141, v149
	v_fma_f32 v140, v140, v149, -v6
	s_waitcnt vmcnt(25)
	v_fma_f32 v141, v142, v165, -v7
	ds_read_b128 v[6:9], v1 offset:720
	v_fmac_f32_e32 v159, v143, v165
	s_waitcnt vmcnt(24) lgkmcnt(2)
	v_mul_f32_e32 v142, v2, v162
	v_mul_f32_e32 v143, v3, v162
	s_waitcnt vmcnt(23)
	v_mul_f32_e32 v149, v4, v161
	v_mul_f32_e32 v157, v5, v161
	v_fmac_f32_e32 v142, v3, v154
	v_fma_f32 v143, v2, v154, -v143
	s_waitcnt vmcnt(22) lgkmcnt(1)
	v_mul_f32_e32 v154, v167, v158
	v_mul_f32_e32 v2, v168, v158
	v_fmac_f32_e32 v149, v5, v150
	v_fma_f32 v150, v4, v150, -v157
	s_waitcnt vmcnt(21)
	v_mul_f32_e32 v157, v169, v152
	v_mul_f32_e32 v3, v170, v152
	s_clause 0x1
	buffer_load_dword v152, off, s[0:3], 0 offset:276
	buffer_load_dword v158, off, s[0:3], 0 offset:284
	v_fmac_f32_e32 v154, v168, v145
	v_fma_f32 v145, v167, v145, -v2
	s_waitcnt vmcnt(19)
	v_fmac_f32_e32 v157, v170, v160
	v_fma_f32 v160, v169, v160, -v3
	ds_read_b128 v[2:5], v1 offset:736
	s_waitcnt vmcnt(18) lgkmcnt(1)
	v_mul_f32_e32 v161, v6, v156
	v_mul_f32_e32 v156, v7, v156
	s_waitcnt vmcnt(17)
	v_mul_f32_e32 v162, v8, v155
	v_mul_f32_e32 v155, v9, v155
	buffer_load_dword v170, off, s[0:3], 0 offset:300
	v_fmac_f32_e32 v161, v7, v151
	v_fma_f32 v151, v6, v151, -v156
	v_fmac_f32_e32 v162, v9, v146
	v_fma_f32 v146, v8, v146, -v155
	ds_read_b128 v[6:9], v1 offset:752
	buffer_load_dword v155, off, s[0:3], 0 offset:292
	s_waitcnt vmcnt(18) lgkmcnt(1)
	v_mul_f32_e32 v156, v2, v148
	v_mul_f32_e32 v148, v3, v148
	s_waitcnt vmcnt(17)
	v_mul_f32_e32 v165, v4, v147
	v_mul_f32_e32 v147, v5, v147
	v_fmac_f32_e32 v156, v3, v144
	v_fma_f32 v144, v2, v144, -v148
	s_waitcnt vmcnt(13)
	v_fmac_f32_e32 v165, v5, v181
	v_fma_f32 v147, v4, v181, -v147
	ds_read_b128 v[2:5], v1 offset:768
	s_waitcnt vmcnt(12) lgkmcnt(1)
	v_mul_f32_e32 v148, v6, v180
	v_mul_f32_e32 v167, v7, v180
	s_waitcnt vmcnt(11)
	v_mul_f32_e32 v168, v8, v179
	v_mul_f32_e32 v169, v9, v179
	v_fmac_f32_e32 v148, v7, v178
	v_fma_f32 v167, v6, v178, -v167
	v_fmac_f32_e32 v168, v9, v177
	v_fma_f32 v169, v8, v177, -v169
	s_clause 0x4
	buffer_load_dword v177, off, s[0:3], 0 offset:320
	buffer_load_dword v178, off, s[0:3], 0 offset:312
	;; [unrolled: 1-line block ×5, first 2 shown]
	v_add_f32_e32 v6, 0, v199
	v_add_f32_e32 v7, 0, v201
	buffer_load_dword v199, off, s[0:3], 0 offset:316
	v_add_f32_e32 v6, v6, v200
	v_add_f32_e32 v7, v7, v202
	;; [unrolled: 1-line block ×4, first 2 shown]
	s_clause 0x1
	buffer_load_dword v187, off, s[0:3], 0 offset:324
	buffer_load_dword v200, off, s[0:3], 0 offset:332
	v_add_f32_e32 v6, v6, v204
	v_add_f32_e32 v7, v7, v188
	s_clause 0x3
	buffer_load_dword v188, off, s[0:3], 0 offset:352
	buffer_load_dword v201, off, s[0:3], 0 offset:344
	;; [unrolled: 1-line block ×4, first 2 shown]
	v_add_f32_e32 v6, v6, v205
	v_add_f32_e32 v7, v7, v189
	;; [unrolled: 1-line block ×4, first 2 shown]
	s_clause 0x3
	buffer_load_dword v10, off, s[0:3], 0 offset:340
	buffer_load_dword v189, off, s[0:3], 0 offset:348
	buffer_load_dword v204, off, s[0:3], 0 offset:356
	buffer_load_dword v190, off, s[0:3], 0 offset:364
	v_add_f32_e32 v6, v6, v191
	v_add_f32_e32 v7, v7, v11
	v_add_f32_e32 v6, v6, v192
	v_add_f32_e32 v7, v7, v12
	v_add_f32_e32 v6, v6, v175
	v_add_f32_e32 v7, v7, v174
	v_add_f32_e32 v6, v6, v194
	v_add_f32_e32 v7, v7, v163
	v_add_f32_e32 v7, v7, v153
	v_add_f32_e32 v153, v6, v195
	v_add_f32_e32 v172, v7, v172
	v_add_f32_e32 v153, v153, v183
	v_add_f32_e32 v166, v172, v166
	s_waitcnt vmcnt(25) lgkmcnt(0)
	v_mul_f32_e32 v191, v2, v193
	v_mul_f32_e32 v8, v3, v193
	v_fmac_f32_e32 v191, v3, v176
	s_waitcnt vmcnt(24)
	v_mul_f32_e32 v11, v4, v173
	v_mul_f32_e32 v9, v5, v173
	v_fma_f32 v173, v2, v176, -v8
	s_waitcnt vmcnt(20)
	v_fmac_f32_e32 v11, v5, v197
	v_fma_f32 v12, v4, v197, -v9
	ds_read_b128 v[2:5], v1 offset:784
	s_clause 0x6
	buffer_load_dword v174, off, s[0:3], 0 offset:384
	buffer_load_dword v175, off, s[0:3], 0 offset:376
	;; [unrolled: 1-line block ×7, first 2 shown]
	ds_read_b128 v[6:9], v1 offset:800
	s_waitcnt vmcnt(26) lgkmcnt(1)
	v_mul_f32_e32 v183, v2, v152
	v_mul_f32_e32 v152, v3, v152
	s_waitcnt vmcnt(25)
	v_mul_f32_e32 v172, v4, v158
	v_mul_f32_e32 v158, v5, v158
	v_fmac_f32_e32 v183, v3, v196
	v_add_f32_e32 v3, v153, v171
	v_add_f32_e32 v153, v166, v164
	v_fma_f32 v152, v2, v196, -v152
	v_fmac_f32_e32 v172, v5, v186
	v_fma_f32 v158, v4, v186, -v158
	v_add_f32_e32 v2, v3, v184
	v_add_f32_e32 v3, v153, v140
	s_clause 0x7
	buffer_load_dword v164, off, s[0:3], 0 offset:396
	buffer_load_dword v166, off, s[0:3], 0 offset:404
	buffer_load_dword v171, off, s[0:3], 0 offset:412
	buffer_load_dword v184, off, s[0:3], 0 offset:420
	buffer_load_dword v186, off, s[0:3], 0 offset:416
	buffer_load_dword v195, off, s[0:3], 0 offset:408
	buffer_load_dword v196, off, s[0:3], 0 offset:400
	buffer_load_dword v197, off, s[0:3], 0 offset:392
	v_add_f32_e32 v2, v2, v198
	v_add_f32_e32 v3, v3, v141
	s_waitcnt vmcnt(31) lgkmcnt(0)
	v_mul_f32_e32 v153, v6, v155
	v_mul_f32_e32 v4, v7, v155
	s_clause 0x1
	buffer_load_dword v198, off, s[0:3], 0 offset:428
	buffer_load_dword v205, off, s[0:3], 0 offset:436
	v_add_f32_e32 v2, v2, v159
	v_add_f32_e32 v3, v3, v143
	v_fmac_f32_e32 v153, v7, v185
	v_fma_f32 v155, v6, v185, -v4
	s_clause 0x1
	buffer_load_dword v206, off, s[0:3], 0 offset:444
	buffer_load_dword v207, off, s[0:3], 0 offset:452
	v_add_f32_e32 v2, v2, v142
	v_add_f32_e32 v3, v3, v150
	s_clause 0x4
	buffer_load_dword v185, off, s[0:3], 0 offset:460
	buffer_load_dword v208, off, s[0:3], 0 offset:468
	;; [unrolled: 1-line block ×5, first 2 shown]
	v_add_f32_e32 v2, v2, v149
	v_add_f32_e32 v6, v3, v145
	v_mul_f32_e32 v3, v9, v170
	v_mul_f32_e32 v149, v8, v170
	buffer_load_dword v170, off, s[0:3], 0 offset:500
	v_add_f32_e32 v7, v2, v154
	v_add_f32_e32 v6, v6, v160
	;; [unrolled: 1-line block ×4, first 2 shown]
	s_waitcnt vmcnt(37)
	v_fma_f32 v150, v8, v180, -v3
	ds_read_b128 v[2:5], v1 offset:816
	v_fmac_f32_e32 v149, v9, v180
	v_add_f32_e32 v7, v7, v161
	s_clause 0x3
	buffer_load_dword v160, off, s[0:3], 0 offset:448
	buffer_load_dword v161, off, s[0:3], 0 offset:440
	;; [unrolled: 1-line block ×4, first 2 shown]
	v_add_f32_e32 v6, v6, v146
	v_add_f32_e32 v140, v7, v162
	;; [unrolled: 1-line block ×3, first 2 shown]
	ds_read_b128 v[6:9], v1 offset:832
	v_add_f32_e32 v140, v140, v156
	v_add_f32_e32 v141, v141, v147
	s_waitcnt vmcnt(40) lgkmcnt(1)
	v_mul_f32_e32 v151, v2, v181
	v_mul_f32_e32 v142, v3, v181
	s_waitcnt vmcnt(39)
	v_mul_f32_e32 v156, v4, v199
	v_fmac_f32_e32 v151, v3, v179
	v_fma_f32 v154, v2, v179, -v142
	v_add_f32_e32 v2, v140, v165
	v_add_f32_e32 v3, v141, v167
	s_clause 0x3
	buffer_load_dword v162, off, s[0:3], 0 offset:480
	buffer_load_dword v165, off, s[0:3], 0 offset:472
	;; [unrolled: 1-line block ×4, first 2 shown]
	v_mul_f32_e32 v140, v5, v199
	s_waitcnt vmcnt(42) lgkmcnt(0)
	v_mul_f32_e32 v159, v6, v187
	v_add_f32_e32 v2, v2, v148
	v_add_f32_e32 v3, v3, v169
	s_clause 0x1
	buffer_load_dword v169, off, s[0:3], 0 offset:496
	buffer_load_dword v181, off, s[0:3], 0 offset:488
	v_mul_f32_e32 v144, v7, v187
	s_waitcnt vmcnt(43)
	v_mul_f32_e32 v145, v9, v200
	v_add_f32_e32 v2, v2, v168
	buffer_load_dword v168, off, s[0:3], 0 offset:40
	v_add_f32_e32 v3, v3, v173
	v_mul_f32_e32 v173, v8, v200
	v_fmac_f32_e32 v156, v5, v178
	v_add_f32_e32 v141, v2, v191
	v_fma_f32 v157, v4, v178, -v140
	v_add_f32_e32 v12, v3, v12
	ds_read_b128 v[2:5], v1 offset:848
	v_fmac_f32_e32 v159, v7, v177
	v_add_f32_e32 v11, v141, v11
	ds_read_b128 v[140:143], v1 offset:864
	v_add_f32_e32 v12, v12, v152
	v_fma_f32 v177, v6, v177, -v144
	s_waitcnt vmcnt(40)
	v_fmac_f32_e32 v173, v9, v203
	v_add_f32_e32 v11, v11, v183
	v_add_f32_e32 v12, v12, v158
	v_fma_f32 v158, v8, v203, -v145
	ds_read_b128 v[6:9], v1 offset:880
	ds_read_b128 v[144:147], v1 offset:896
	v_add_f32_e32 v11, v11, v172
	v_add_f32_e32 v12, v12, v155
	;; [unrolled: 1-line block ×4, first 2 shown]
	s_waitcnt vmcnt(39) lgkmcnt(3)
	v_mul_f32_e32 v172, v2, v10
	v_mul_f32_e32 v10, v3, v10
	v_add_f32_e32 v11, v11, v149
	s_waitcnt vmcnt(38)
	v_mul_f32_e32 v148, v5, v189
	v_add_f32_e32 v12, v12, v154
	v_mul_f32_e32 v178, v4, v189
	v_fma_f32 v10, v2, v202, -v10
	v_add_f32_e32 v11, v11, v151
	v_fmac_f32_e32 v172, v3, v202
	v_add_f32_e32 v12, v12, v157
	s_waitcnt vmcnt(37) lgkmcnt(2)
	v_mul_f32_e32 v183, v140, v204
	v_mul_f32_e32 v152, v141, v204
	v_add_f32_e32 v11, v11, v156
	v_fma_f32 v189, v4, v201, -v148
	v_add_f32_e32 v12, v12, v177
	v_fmac_f32_e32 v178, v5, v201
	s_waitcnt vmcnt(36)
	v_mul_f32_e32 v153, v143, v190
	v_add_f32_e32 v11, v11, v159
	v_fmac_f32_e32 v183, v141, v188
	v_fma_f32 v188, v140, v188, -v152
	v_mul_f32_e32 v187, v142, v190
	ds_read_b128 v[2:5], v1 offset:912
	ds_read_b128 v[148:151], v1 offset:928
	v_add_f32_e32 v11, v11, v173
	v_add_f32_e32 v172, v11, v172
	;; [unrolled: 1-line block ×4, first 2 shown]
	s_waitcnt vmcnt(31) lgkmcnt(3)
	v_mul_f32_e32 v177, v6, v163
	v_mul_f32_e32 v156, v7, v163
	v_fma_f32 v190, v142, v192, -v153
	v_fmac_f32_e32 v187, v143, v192
	s_waitcnt vmcnt(30)
	v_mul_f32_e32 v157, v9, v193
	v_fmac_f32_e32 v177, v7, v176
	v_add_f32_e32 v7, v12, v158
	v_fma_f32 v12, v6, v176, -v156
	v_mul_f32_e32 v191, v8, v193
	v_add_f32_e32 v172, v172, v187
	v_fma_f32 v163, v8, v175, -v157
	v_add_f32_e32 v173, v7, v10
	s_waitcnt vmcnt(29) lgkmcnt(2)
	v_mul_f32_e32 v178, v145, v194
	v_fmac_f32_e32 v191, v9, v175
	v_mul_f32_e32 v175, v144, v194
	v_add_f32_e32 v172, v172, v177
	v_add_f32_e32 v173, v173, v189
	v_fma_f32 v144, v144, v174, -v178
	ds_read_b128 v[140:143], v1 offset:944
	ds_read_b128 v[152:155], v1 offset:960
	v_fmac_f32_e32 v175, v145, v174
	ds_read_b128 v[6:9], v1 offset:976
	ds_read_b128 v[156:159], v1 offset:992
	ds_read_b64 v[10:11], v1 offset:1008
	v_add_f32_e32 v173, v173, v188
	v_add_f32_e32 v173, v173, v190
	s_waitcnt vmcnt(28)
	v_mul_f32_e32 v176, v146, v164
	v_mul_f32_e32 v164, v147, v164
	v_add_f32_e32 v12, v173, v12
	s_waitcnt vmcnt(27) lgkmcnt(6)
	v_mul_f32_e32 v188, v2, v166
	v_mul_f32_e32 v166, v3, v166
	s_waitcnt vmcnt(26)
	v_mul_f32_e32 v183, v4, v171
	v_mul_f32_e32 v171, v5, v171
	v_add_f32_e32 v12, v12, v163
	v_add_f32_e32 v163, v172, v191
	s_waitcnt vmcnt(21)
	v_fma_f32 v146, v146, v197, -v164
	v_fmac_f32_e32 v176, v147, v197
	v_fmac_f32_e32 v188, v3, v196
	v_add_f32_e32 v12, v12, v144
	v_add_f32_e32 v144, v163, v175
	v_fma_f32 v2, v2, v196, -v166
	v_fma_f32 v4, v4, v195, -v171
	s_waitcnt lgkmcnt(5)
	v_mul_f32_e32 v145, v148, v184
	v_add_f32_e32 v3, v12, v146
	v_add_f32_e32 v12, v144, v176
	v_mul_f32_e32 v144, v149, v184
	v_fmac_f32_e32 v183, v5, v195
	s_waitcnt vmcnt(20)
	v_mul_f32_e32 v5, v151, v198
	v_add_f32_e32 v2, v3, v2
	v_add_f32_e32 v3, v12, v188
	v_fma_f32 v12, v148, v186, -v144
	v_mul_f32_e32 v174, v150, v198
	v_fmac_f32_e32 v145, v149, v186
	v_add_f32_e32 v2, v2, v4
	v_add_f32_e32 v3, v3, v183
	s_waitcnt vmcnt(19) lgkmcnt(4)
	v_mul_f32_e32 v4, v141, v205
	v_mul_f32_e32 v178, v140, v205
	s_waitcnt vmcnt(18)
	v_mul_f32_e32 v147, v142, v206
	v_add_f32_e32 v2, v2, v12
	v_add_f32_e32 v3, v3, v145
	v_mul_f32_e32 v12, v143, v206
	s_waitcnt vmcnt(17) lgkmcnt(3)
	v_mul_f32_e32 v164, v152, v207
	s_waitcnt vmcnt(16)
	v_mul_f32_e32 v173, v154, v185
	s_waitcnt vmcnt(15) lgkmcnt(2)
	v_mul_f32_e32 v177, v6, v208
	s_waitcnt vmcnt(14)
	v_mul_f32_e32 v187, v8, v209
	s_waitcnt vmcnt(13) lgkmcnt(1)
	v_mul_f32_e32 v172, v156, v210
	s_waitcnt vmcnt(9)
	v_fma_f32 v12, v142, v161, -v12
	s_waitcnt vmcnt(8)
	v_fma_f32 v4, v140, v180, -v4
	s_waitcnt vmcnt(7)
	v_fma_f32 v5, v150, v212, -v5
	v_fmac_f32_e32 v174, v151, v212
	v_fmac_f32_e32 v178, v141, v180
	;; [unrolled: 1-line block ×4, first 2 shown]
	v_add_f32_e32 v2, v2, v5
	v_add_f32_e32 v3, v3, v174
	v_mul_f32_e32 v5, v153, v207
	v_mul_f32_e32 v189, v158, v211
	s_waitcnt lgkmcnt(0)
	v_mul_f32_e32 v163, v10, v170
	v_add_f32_e32 v2, v2, v4
	v_add_f32_e32 v3, v3, v178
	v_mul_f32_e32 v4, v155, v185
	v_fma_f32 v5, v152, v160, -v5
	v_add_f32_e32 v2, v2, v12
	v_add_f32_e32 v3, v3, v147
	v_mul_f32_e32 v12, v7, v208
	v_add_f32_e32 v2, v2, v5
	v_add_f32_e32 v3, v3, v164
	v_mul_f32_e32 v5, v9, v209
	s_waitcnt vmcnt(6)
	v_fmac_f32_e32 v172, v157, v162
	s_waitcnt vmcnt(5)
	v_fmac_f32_e32 v187, v9, v165
	s_waitcnt vmcnt(4)
	v_fma_f32 v6, v6, v167, -v12
	s_waitcnt vmcnt(3)
	v_fma_f32 v4, v154, v179, -v4
	v_fmac_f32_e32 v173, v155, v179
	v_fmac_f32_e32 v177, v7, v167
	v_fma_f32 v5, v8, v165, -v5
	s_waitcnt vmcnt(2)
	v_fmac_f32_e32 v163, v11, v169
	v_add_f32_e32 v2, v2, v4
	v_add_f32_e32 v3, v3, v173
	v_mul_f32_e32 v4, v157, v210
	s_waitcnt vmcnt(1)
	v_fmac_f32_e32 v189, v159, v181
	v_add_f32_e32 v2, v2, v6
	v_add_f32_e32 v3, v3, v177
	v_mul_f32_e32 v6, v159, v211
	v_fma_f32 v4, v156, v162, -v4
	v_add_f32_e32 v2, v2, v5
	v_add_f32_e32 v3, v3, v187
	v_mul_f32_e32 v5, v11, v170
	v_fma_f32 v6, v158, v181, -v6
	v_add_f32_e32 v2, v2, v4
	v_add_f32_e32 v3, v3, v172
	v_fma_f32 v4, v10, v169, -v5
	v_add_f32_e32 v2, v2, v6
	v_add_f32_e32 v3, v3, v189
	v_add_f32_e32 v2, v2, v4
	v_add_f32_e32 v3, v3, v163
	s_waitcnt vmcnt(0)
	v_sub_f32_e32 v2, v168, v2
	v_sub_f32_e32 v3, v182, v3
	buffer_store_dword v2, off, s[0:3], 0 offset:40
	buffer_store_dword v3, off, s[0:3], 0 offset:44
	v_cmpx_lt_u32_e32 4, v0
	s_cbranch_execz .LBB62_383
; %bb.382:
	s_clause 0x1
	buffer_load_dword v2, off, s[0:3], 0 offset:32
	buffer_load_dword v3, off, s[0:3], 0 offset:36
	buffer_store_dword v1, off, s[0:3], 0 offset:32
	buffer_store_dword v1, off, s[0:3], 0 offset:36
	s_waitcnt vmcnt(0)
	ds_write_b64 v139, v[2:3]
.LBB62_383:
	s_or_b32 exec_lo, exec_lo, s4
	s_waitcnt lgkmcnt(0)
	s_waitcnt_vscnt null, 0x0
	s_barrier
	buffer_gl0_inv
	s_clause 0x3c
	buffer_load_dword v174, off, s[0:3], 0 offset:44
	buffer_load_dword v175, off, s[0:3], 0 offset:52
	;; [unrolled: 1-line block ×61, first 2 shown]
	ds_read2_b64 v[188:191], v1 offset0:69 offset1:70
	ds_read2_b64 v[192:195], v1 offset0:71 offset1:72
	s_mov_b32 s4, exec_lo
	s_waitcnt vmcnt(60) lgkmcnt(1)
	v_mul_f32_e32 v184, v188, v174
	v_mul_f32_e32 v199, v189, v174
	s_waitcnt vmcnt(59)
	v_mul_f32_e32 v174, v190, v175
	v_mul_f32_e32 v200, v191, v175
	buffer_load_dword v175, off, s[0:3], 0 offset:36
	s_waitcnt vmcnt(57)
	v_fmac_f32_e32 v184, v189, v6
	v_fma_f32 v199, v188, v6, -v199
	v_fmac_f32_e32 v174, v191, v5
	v_fma_f32 v200, v190, v5, -v200
	ds_read2_b64 v[188:191], v1 offset0:73 offset1:74
	s_waitcnt vmcnt(56) lgkmcnt(1)
	v_mul_f32_e32 v201, v192, v4
	v_mul_f32_e32 v4, v193, v4
	s_waitcnt vmcnt(55)
	v_mul_f32_e32 v202, v194, v3
	v_mul_f32_e32 v3, v195, v3
	v_fmac_f32_e32 v201, v193, v2
	v_fma_f32 v192, v192, v2, -v4
	s_waitcnt vmcnt(51)
	v_fmac_f32_e32 v202, v195, v141
	v_fma_f32 v141, v194, v141, -v3
	ds_read2_b64 v[2:5], v1 offset0:75 offset1:76
	s_waitcnt vmcnt(50) lgkmcnt(1)
	v_mul_f32_e32 v193, v188, v140
	v_mul_f32_e32 v6, v189, v140
	s_waitcnt vmcnt(49)
	v_mul_f32_e32 v140, v190, v12
	v_mul_f32_e32 v12, v191, v12
	v_fmac_f32_e32 v193, v189, v11
	v_fma_f32 v11, v188, v11, -v6
	v_fmac_f32_e32 v140, v191, v8
	v_fma_f32 v12, v190, v8, -v12
	ds_read2_b64 v[188:191], v1 offset0:77 offset1:78
	s_waitcnt vmcnt(48) lgkmcnt(1)
	v_mul_f32_e32 v194, v2, v10
	v_mul_f32_e32 v6, v3, v10
	s_waitcnt vmcnt(47)
	v_mul_f32_e32 v10, v4, v9
	v_mul_f32_e32 v8, v5, v9
	v_fmac_f32_e32 v194, v3, v7
	v_fma_f32 v195, v2, v7, -v6
	s_waitcnt vmcnt(43)
	v_fmac_f32_e32 v10, v5, v173
	v_fma_f32 v173, v4, v173, -v8
	ds_read2_b64 v[2:5], v1 offset0:79 offset1:80
	s_waitcnt vmcnt(42) lgkmcnt(1)
	v_mul_f32_e32 v203, v188, v172
	v_mul_f32_e32 v6, v189, v172
	s_waitcnt vmcnt(41)
	v_mul_f32_e32 v172, v190, v171
	v_mul_f32_e32 v7, v191, v171
	v_fmac_f32_e32 v203, v189, v166
	v_fma_f32 v166, v188, v166, -v6
	v_fmac_f32_e32 v172, v191, v161
	v_fma_f32 v161, v190, v161, -v7
	ds_read2_b64 v[6:9], v1 offset0:81 offset1:82
	s_waitcnt vmcnt(40) lgkmcnt(1)
	v_mul_f32_e32 v171, v2, v165
	v_mul_f32_e32 v165, v3, v165
	s_waitcnt vmcnt(39)
	v_mul_f32_e32 v188, v4, v163
	v_mul_f32_e32 v163, v5, v163
	buffer_load_dword v189, off, s[0:3], 0 offset:284
	v_fmac_f32_e32 v171, v3, v149
	v_fma_f32 v149, v2, v149, -v165
	s_waitcnt vmcnt(36)
	v_fmac_f32_e32 v188, v5, v170
	v_fma_f32 v163, v4, v170, -v163
	ds_read2_b64 v[2:5], v1 offset0:83 offset1:84
	s_waitcnt vmcnt(35) lgkmcnt(1)
	v_mul_f32_e32 v165, v6, v169
	v_mul_f32_e32 v169, v7, v169
	s_waitcnt vmcnt(34)
	v_mul_f32_e32 v170, v8, v168
	v_mul_f32_e32 v168, v9, v168
	v_fmac_f32_e32 v165, v7, v159
	v_fma_f32 v159, v6, v159, -v169
	v_fmac_f32_e32 v170, v9, v154
	v_fma_f32 v154, v8, v154, -v168
	ds_read2_b64 v[6:9], v1 offset0:85 offset1:86
	s_waitcnt vmcnt(33) lgkmcnt(1)
	v_mul_f32_e32 v168, v2, v158
	v_mul_f32_e32 v158, v3, v158
	s_waitcnt vmcnt(32)
	v_mul_f32_e32 v169, v4, v156
	v_mul_f32_e32 v156, v5, v156
	v_fmac_f32_e32 v168, v3, v144
	v_fma_f32 v144, v2, v144, -v158
	s_waitcnt vmcnt(28)
	v_fmac_f32_e32 v169, v5, v167
	v_fma_f32 v156, v4, v167, -v156
	ds_read2_b64 v[2:5], v1 offset0:87 offset1:88
	s_waitcnt vmcnt(27) lgkmcnt(1)
	v_mul_f32_e32 v158, v6, v164
	v_mul_f32_e32 v164, v7, v164
	s_waitcnt vmcnt(26)
	v_mul_f32_e32 v167, v8, v162
	v_mul_f32_e32 v162, v9, v162
	v_fmac_f32_e32 v158, v7, v153
	v_fma_f32 v153, v6, v153, -v164
	v_fmac_f32_e32 v167, v9, v150
	v_fma_f32 v150, v8, v150, -v162
	ds_read2_b64 v[6:9], v1 offset0:89 offset1:90
	s_waitcnt vmcnt(25) lgkmcnt(1)
	v_mul_f32_e32 v162, v2, v152
	v_mul_f32_e32 v152, v3, v152
	s_waitcnt vmcnt(24)
	v_mul_f32_e32 v164, v4, v151
	v_mul_f32_e32 v151, v5, v151
	;; [unrolled: 23-line block ×4, first 2 shown]
	v_fmac_f32_e32 v181, v3, v176
	v_fma_f32 v176, v2, v176, -v179
	s_waitcnt vmcnt(4)
	v_fmac_f32_e32 v182, v5, v196
	v_fma_f32 v178, v4, v196, -v178
	ds_read2_b64 v[2:5], v1 offset0:99 offset1:100
	s_waitcnt vmcnt(3) lgkmcnt(1)
	v_mul_f32_e32 v179, v6, v197
	v_mul_f32_e32 v190, v7, v197
	buffer_load_dword v197, off, s[0:3], 0 offset:292
	s_waitcnt vmcnt(3)
	v_mul_f32_e32 v191, v8, v198
	v_mul_f32_e32 v196, v9, v198
	v_fmac_f32_e32 v179, v7, v187
	v_fma_f32 v187, v6, v187, -v190
	v_fmac_f32_e32 v191, v9, v186
	v_fma_f32 v186, v8, v186, -v196
	s_clause 0x4
	buffer_load_dword v190, off, s[0:3], 0 offset:312
	buffer_load_dword v196, off, s[0:3], 0 offset:304
	;; [unrolled: 1-line block ×5, first 2 shown]
	s_waitcnt vmcnt(6) lgkmcnt(0)
	v_mul_f32_e32 v205, v2, v189
	v_mul_f32_e32 v7, v3, v189
	v_fmac_f32_e32 v205, v3, v185
	v_fma_f32 v185, v2, v185, -v7
	s_waitcnt vmcnt(5)
	v_mul_f32_e32 v189, v4, v197
	v_mul_f32_e32 v2, v5, v197
	s_waitcnt vmcnt(1)
	v_fmac_f32_e32 v189, v5, v6
	v_fma_f32 v197, v4, v6, -v2
	ds_read2_b64 v[2:5], v1 offset0:101 offset1:102
	ds_read2_b64 v[6:9], v1 offset0:103 offset1:104
	s_waitcnt vmcnt(0) lgkmcnt(1)
	v_mul_f32_e32 v206, v2, v204
	v_mul_f32_e32 v204, v3, v204
	v_fmac_f32_e32 v206, v3, v198
	v_fma_f32 v198, v2, v198, -v204
	s_clause 0x1
	buffer_load_dword v2, off, s[0:3], 0 offset:308
	buffer_load_dword v3, off, s[0:3], 0 offset:316
	s_waitcnt vmcnt(1)
	v_mul_f32_e32 v204, v4, v2
	v_mul_f32_e32 v2, v5, v2
	v_fmac_f32_e32 v204, v5, v196
	v_fma_f32 v196, v4, v196, -v2
	v_add_f32_e32 v2, 0, v199
	v_add_f32_e32 v4, 0, v184
	;; [unrolled: 1-line block ×4, first 2 shown]
	buffer_load_dword v174, off, s[0:3], 0 offset:324
	v_add_f32_e32 v2, v2, v192
	v_add_f32_e32 v4, v4, v201
	;; [unrolled: 1-line block ×3, first 2 shown]
	s_clause 0x3
	buffer_load_dword v184, off, s[0:3], 0 offset:344
	buffer_load_dword v192, off, s[0:3], 0 offset:336
	;; [unrolled: 1-line block ×4, first 2 shown]
	v_add_f32_e32 v4, v4, v202
	v_add_f32_e32 v2, v2, v11
	buffer_load_dword v11, off, s[0:3], 0 offset:332
	v_add_f32_e32 v4, v4, v193
	v_add_f32_e32 v2, v2, v12
	s_clause 0x1
	buffer_load_dword v12, off, s[0:3], 0 offset:340
	buffer_load_dword v193, off, s[0:3], 0 offset:348
	v_add_f32_e32 v4, v4, v140
	v_add_f32_e32 v2, v2, v195
	s_clause 0x1
	buffer_load_dword v195, off, s[0:3], 0 offset:356
	buffer_load_dword v200, off, s[0:3], 0 offset:364
	v_add_f32_e32 v4, v4, v194
	v_add_f32_e32 v2, v2, v173
	;; [unrolled: 1-line block ×4, first 2 shown]
	s_clause 0x3
	buffer_load_dword v10, off, s[0:3], 0 offset:376
	buffer_load_dword v166, off, s[0:3], 0 offset:368
	;; [unrolled: 1-line block ×4, first 2 shown]
	v_add_f32_e32 v4, v4, v203
	v_add_f32_e32 v2, v2, v161
	buffer_load_dword v161, off, s[0:3], 0 offset:372
	v_add_f32_e32 v4, v4, v172
	s_clause 0x1
	buffer_load_dword v172, off, s[0:3], 0 offset:380
	buffer_load_dword v201, off, s[0:3], 0 offset:388
	v_add_f32_e32 v2, v2, v149
	v_add_f32_e32 v4, v4, v171
	;; [unrolled: 1-line block ×4, first 2 shown]
	s_clause 0x3
	buffer_load_dword v163, off, s[0:3], 0 offset:408
	buffer_load_dword v171, off, s[0:3], 0 offset:400
	;; [unrolled: 1-line block ×4, first 2 shown]
	v_add_f32_e32 v2, v2, v159
	v_add_f32_e32 v4, v4, v165
	buffer_load_dword v165, off, s[0:3], 0 offset:396
	v_add_f32_e32 v2, v2, v154
	v_add_f32_e32 v4, v4, v170
	buffer_load_dword v170, off, s[0:3], 0 offset:404
	v_add_f32_e32 v2, v2, v144
	v_add_f32_e32 v4, v4, v168
	s_clause 0x2
	buffer_load_dword v168, off, s[0:3], 0 offset:412
	buffer_load_dword v203, off, s[0:3], 0 offset:420
	;; [unrolled: 1-line block ×3, first 2 shown]
	v_add_f32_e32 v2, v2, v156
	v_add_f32_e32 v4, v4, v169
	s_clause 0x2
	buffer_load_dword v169, off, s[0:3], 0 offset:436
	buffer_load_dword v208, off, s[0:3], 0 offset:444
	;; [unrolled: 1-line block ×3, first 2 shown]
	v_add_f32_e32 v2, v2, v153
	buffer_load_dword v210, off, s[0:3], 0 offset:460
	v_add_f32_e32 v4, v4, v158
	s_clause 0x2
	buffer_load_dword v211, off, s[0:3], 0 offset:468
	buffer_load_dword v212, off, s[0:3], 0 offset:476
	;; [unrolled: 1-line block ×3, first 2 shown]
	v_add_f32_e32 v2, v2, v150
	v_add_f32_e32 v4, v4, v167
	buffer_load_dword v167, off, s[0:3], 0 offset:484
	v_add_f32_e32 v2, v2, v143
	v_add_f32_e32 v4, v4, v162
	buffer_load_dword v162, off, s[0:3], 0 offset:500
	v_add_f32_e32 v2, v2, v151
	v_add_f32_e32 v4, v4, v164
	s_clause 0x3
	buffer_load_dword v164, off, s[0:3], 0 offset:440
	buffer_load_dword v214, off, s[0:3], 0 offset:432
	;; [unrolled: 1-line block ×4, first 2 shown]
	v_add_f32_e32 v2, v2, v148
	v_add_f32_e32 v4, v4, v152
	s_waitcnt vmcnt(39) lgkmcnt(0)
	v_mul_f32_e32 v152, v6, v3
	v_mul_f32_e32 v3, v7, v3
	v_add_f32_e32 v2, v2, v145
	v_add_f32_e32 v4, v4, v160
	s_clause 0x3
	buffer_load_dword v160, off, s[0:3], 0 offset:472
	buffer_load_dword v217, off, s[0:3], 0 offset:464
	;; [unrolled: 1-line block ×4, first 2 shown]
	v_fmac_f32_e32 v152, v7, v190
	v_add_f32_e32 v2, v2, v142
	v_fma_f32 v153, v6, v190, -v3
	v_add_f32_e32 v4, v4, v155
	v_add_f32_e32 v2, v2, v146
	;; [unrolled: 1-line block ×4, first 2 shown]
	s_clause 0x3
	buffer_load_dword v180, off, s[0:3], 0 offset:496
	buffer_load_dword v220, off, s[0:3], 0 offset:488
	;; [unrolled: 1-line block ×4, first 2 shown]
	v_add_f32_e32 v4, v4, v147
	v_add_f32_e32 v2, v2, v177
	;; [unrolled: 1-line block ×5, first 2 shown]
	ds_read2_b64 v[2:5], v1 offset0:105 offset1:106
	v_add_f32_e32 v140, v6, v178
	v_add_f32_e32 v144, v140, v187
	;; [unrolled: 1-line block ×4, first 2 shown]
	s_waitcnt vmcnt(46)
	v_mul_f32_e32 v156, v8, v174
	v_mul_f32_e32 v6, v9, v174
	s_waitcnt vmcnt(42)
	v_fmac_f32_e32 v156, v9, v141
	v_fma_f32 v157, v8, v141, -v6
	v_add_f32_e32 v141, v7, v182
	ds_read2_b64 v[6:9], v1 offset0:107 offset1:108
	s_waitcnt vmcnt(41) lgkmcnt(1)
	v_mul_f32_e32 v158, v2, v11
	v_mul_f32_e32 v11, v3, v11
	v_add_f32_e32 v145, v141, v179
	ds_read2_b64 v[140:143], v1 offset0:109 offset1:110
	s_waitcnt vmcnt(40)
	v_mul_f32_e32 v174, v4, v12
	v_fmac_f32_e32 v158, v3, v199
	v_fma_f32 v11, v2, v199, -v11
	v_add_f32_e32 v145, v145, v191
	v_add_f32_e32 v3, v148, v197
	v_mul_f32_e32 v12, v5, v12
	v_fmac_f32_e32 v174, v5, v192
	v_add_f32_e32 v2, v145, v205
	ds_read2_b64 v[144:147], v1 offset0:111 offset1:112
	v_add_f32_e32 v3, v3, v198
	v_fma_f32 v12, v4, v192, -v12
	v_add_f32_e32 v2, v2, v189
	s_waitcnt vmcnt(39) lgkmcnt(2)
	v_mul_f32_e32 v148, v7, v193
	v_mul_f32_e32 v176, v6, v193
	s_waitcnt vmcnt(38)
	v_mul_f32_e32 v154, v9, v195
	v_mul_f32_e32 v177, v8, v195
	v_add_f32_e32 v2, v2, v206
	s_waitcnt vmcnt(37) lgkmcnt(1)
	v_mul_f32_e32 v178, v140, v200
	v_fma_f32 v179, v6, v184, -v148
	v_add_f32_e32 v6, v3, v196
	v_fmac_f32_e32 v176, v7, v184
	v_add_f32_e32 v7, v2, v204
	v_mul_f32_e32 v155, v141, v200
	s_waitcnt vmcnt(34)
	v_fmac_f32_e32 v178, v141, v173
	v_add_f32_e32 v141, v6, v153
	s_waitcnt vmcnt(32)
	v_mul_f32_e32 v182, v142, v161
	v_fma_f32 v181, v8, v194, -v154
	v_fma_f32 v173, v140, v173, -v155
	v_add_f32_e32 v140, v7, v152
	v_add_f32_e32 v141, v141, v157
	v_mul_f32_e32 v157, v143, v161
	s_waitcnt vmcnt(31) lgkmcnt(0)
	v_mul_f32_e32 v161, v144, v172
	ds_read2_b64 v[2:5], v1 offset0:113 offset1:114
	ds_read2_b64 v[148:151], v1 offset0:115 offset1:116
	v_add_f32_e32 v140, v140, v156
	v_add_f32_e32 v11, v141, v11
	v_mul_f32_e32 v141, v145, v172
	s_waitcnt vmcnt(30)
	v_mul_f32_e32 v172, v147, v201
	v_fmac_f32_e32 v161, v145, v10
	v_fmac_f32_e32 v177, v9, v194
	v_add_f32_e32 v11, v11, v12
	v_fma_f32 v10, v144, v10, -v141
	v_add_f32_e32 v144, v140, v158
	s_waitcnt vmcnt(26)
	v_fma_f32 v12, v146, v202, -v172
	v_fmac_f32_e32 v182, v143, v166
	v_add_f32_e32 v11, v11, v179
	v_fma_f32 v166, v142, v166, -v157
	v_add_f32_e32 v172, v144, v174
	v_mul_f32_e32 v183, v146, v201
	ds_read2_b64 v[6:9], v1 offset0:117 offset1:118
	ds_read2_b64 v[152:155], v1 offset0:119 offset1:120
	v_add_f32_e32 v11, v11, v181
	ds_read2_b64 v[140:143], v1 offset0:121 offset1:122
	ds_read2_b64 v[156:159], v1 offset0:123 offset1:124
	v_add_f32_e32 v172, v172, v176
	v_fmac_f32_e32 v183, v147, v202
	ds_read2_b64 v[144:147], v1 offset0:125 offset1:126
	v_add_f32_e32 v11, v11, v173
	s_waitcnt vmcnt(25) lgkmcnt(6)
	v_mul_f32_e32 v1, v2, v165
	v_add_f32_e32 v172, v172, v177
	v_mul_f32_e32 v165, v3, v165
	s_waitcnt vmcnt(24)
	v_mul_f32_e32 v174, v4, v170
	v_add_f32_e32 v11, v11, v166
	v_mul_f32_e32 v170, v5, v170
	v_add_f32_e32 v172, v172, v178
	v_fma_f32 v2, v2, v188, -v165
	v_fmac_f32_e32 v1, v3, v188
	v_add_f32_e32 v10, v11, v10
	v_fma_f32 v4, v4, v171, -v170
	v_add_f32_e32 v172, v172, v182
	s_waitcnt vmcnt(23) lgkmcnt(5)
	v_mul_f32_e32 v176, v148, v168
	v_fmac_f32_e32 v174, v5, v171
	v_add_f32_e32 v10, v10, v12
	s_waitcnt vmcnt(22)
	v_mul_f32_e32 v5, v151, v203
	v_add_f32_e32 v161, v172, v161
	v_mul_f32_e32 v177, v150, v203
	v_fmac_f32_e32 v176, v149, v163
	v_add_f32_e32 v2, v10, v2
	s_waitcnt vmcnt(8)
	v_fma_f32 v5, v150, v216, -v5
	v_add_f32_e32 v12, v161, v183
	v_mul_f32_e32 v161, v149, v168
	s_waitcnt lgkmcnt(4)
	v_mul_f32_e32 v179, v6, v207
	v_add_f32_e32 v2, v2, v4
	v_mul_f32_e32 v4, v7, v207
	v_add_f32_e32 v1, v12, v1
	v_fma_f32 v10, v148, v163, -v161
	v_fmac_f32_e32 v177, v151, v216
	v_mul_f32_e32 v173, v8, v169
	v_fma_f32 v4, v6, v215, -v4
	v_add_f32_e32 v1, v1, v174
	v_add_f32_e32 v2, v2, v10
	v_mul_f32_e32 v10, v9, v169
	v_fmac_f32_e32 v179, v7, v215
	s_waitcnt lgkmcnt(3)
	v_mul_f32_e32 v178, v152, v208
	v_add_f32_e32 v1, v1, v176
	v_add_f32_e32 v2, v2, v5
	v_mul_f32_e32 v5, v153, v208
	v_fma_f32 v6, v8, v214, -v10
	v_fmac_f32_e32 v173, v9, v214
	v_add_f32_e32 v1, v1, v177
	v_add_f32_e32 v2, v2, v4
	v_mul_f32_e32 v4, v155, v209
	v_fma_f32 v5, v152, v164, -v5
	v_mul_f32_e32 v181, v154, v209
	v_add_f32_e32 v1, v1, v179
	v_add_f32_e32 v2, v2, v6
	v_fmac_f32_e32 v178, v153, v164
	s_waitcnt lgkmcnt(2)
	v_mul_f32_e32 v6, v141, v210
	s_waitcnt vmcnt(4)
	v_fma_f32 v4, v154, v219, -v4
	v_add_f32_e32 v1, v1, v173
	v_add_f32_e32 v2, v2, v5
	v_mul_f32_e32 v166, v140, v210
	v_fmac_f32_e32 v181, v155, v219
	v_mul_f32_e32 v5, v143, v211
	v_add_f32_e32 v1, v1, v178
	v_fma_f32 v6, v140, v218, -v6
	v_add_f32_e32 v2, v2, v4
	v_mul_f32_e32 v182, v142, v211
	v_fmac_f32_e32 v166, v141, v218
	v_add_f32_e32 v1, v1, v181
	s_waitcnt lgkmcnt(1)
	v_mul_f32_e32 v4, v157, v212
	v_fma_f32 v5, v142, v217, -v5
	v_add_f32_e32 v2, v2, v6
	v_mul_f32_e32 v184, v156, v212
	v_fmac_f32_e32 v182, v143, v217
	v_add_f32_e32 v1, v1, v166
	v_mul_f32_e32 v6, v159, v167
	v_fma_f32 v4, v156, v160, -v4
	v_add_f32_e32 v2, v2, v5
	v_mul_f32_e32 v11, v158, v167
	v_fmac_f32_e32 v184, v157, v160
	v_add_f32_e32 v1, v1, v182
	s_waitcnt lgkmcnt(0)
	v_mul_f32_e32 v5, v145, v213
	s_waitcnt vmcnt(1)
	v_fma_f32 v6, v158, v221, -v6
	v_add_f32_e32 v2, v2, v4
	v_mul_f32_e32 v172, v144, v213
	v_fmac_f32_e32 v11, v159, v221
	v_add_f32_e32 v1, v1, v184
	v_mul_f32_e32 v4, v147, v162
	v_fma_f32 v5, v144, v220, -v5
	v_add_f32_e32 v2, v2, v6
	v_mul_f32_e32 v3, v146, v162
	v_fmac_f32_e32 v172, v145, v220
	v_add_f32_e32 v1, v1, v11
	v_fma_f32 v4, v146, v180, -v4
	v_add_f32_e32 v2, v2, v5
	v_fmac_f32_e32 v3, v147, v180
	v_add_f32_e32 v1, v1, v172
	v_add_f32_e32 v2, v2, v4
	;; [unrolled: 1-line block ×3, first 2 shown]
	s_waitcnt vmcnt(0)
	v_sub_f32_e32 v2, v222, v2
	v_sub_f32_e32 v1, v175, v1
	buffer_store_dword v2, off, s[0:3], 0 offset:32
	buffer_store_dword v1, off, s[0:3], 0 offset:36
	v_cmpx_lt_u32_e32 3, v0
	s_cbranch_execz .LBB62_385
; %bb.384:
	s_clause 0x1
	buffer_load_dword v1, off, s[0:3], 0 offset:24
	buffer_load_dword v2, off, s[0:3], 0 offset:28
	v_mov_b32_e32 v3, 0
	buffer_store_dword v3, off, s[0:3], 0 offset:24
	buffer_store_dword v3, off, s[0:3], 0 offset:28
	s_waitcnt vmcnt(0)
	ds_write_b64 v139, v[1:2]
.LBB62_385:
	s_or_b32 exec_lo, exec_lo, s4
	s_waitcnt lgkmcnt(0)
	s_waitcnt_vscnt null, 0x0
	s_barrier
	buffer_gl0_inv
	s_clause 0x34
	buffer_load_dword v11, off, s[0:3], 0 offset:36
	buffer_load_dword v10, off, s[0:3], 0 offset:44
	buffer_load_dword v12, off, s[0:3], 0 offset:48
	buffer_load_dword v140, off, s[0:3], 0 offset:40
	buffer_load_dword v143, off, s[0:3], 0 offset:32
	buffer_load_dword v142, off, s[0:3], 0 offset:52
	buffer_load_dword v141, off, s[0:3], 0 offset:60
	buffer_load_dword v144, off, s[0:3], 0 offset:68
	buffer_load_dword v145, off, s[0:3], 0 offset:80
	buffer_load_dword v147, off, s[0:3], 0 offset:72
	buffer_load_dword v149, off, s[0:3], 0 offset:64
	buffer_load_dword v152, off, s[0:3], 0 offset:56
	buffer_load_dword v151, off, s[0:3], 0 offset:76
	buffer_load_dword v150, off, s[0:3], 0 offset:84
	buffer_load_dword v148, off, s[0:3], 0 offset:92
	buffer_load_dword v146, off, s[0:3], 0 offset:100
	buffer_load_dword v158, off, s[0:3], 0 offset:112
	buffer_load_dword v166, off, s[0:3], 0 offset:104
	buffer_load_dword v174, off, s[0:3], 0 offset:96
	buffer_load_dword v181, off, s[0:3], 0 offset:88
	buffer_load_dword v180, off, s[0:3], 0 offset:108
	buffer_load_dword v175, off, s[0:3], 0 offset:116
	buffer_load_dword v169, off, s[0:3], 0 offset:124
	buffer_load_dword v177, off, s[0:3], 0 offset:132
	buffer_load_dword v162, off, s[0:3], 0 offset:144
	buffer_load_dword v170, off, s[0:3], 0 offset:136
	buffer_load_dword v176, off, s[0:3], 0 offset:128
	buffer_load_dword v183, off, s[0:3], 0 offset:120
	buffer_load_dword v182, off, s[0:3], 0 offset:140
	buffer_load_dword v178, off, s[0:3], 0 offset:148
	buffer_load_dword v173, off, s[0:3], 0 offset:156
	buffer_load_dword v171, off, s[0:3], 0 offset:164
	buffer_load_dword v154, off, s[0:3], 0 offset:176
	buffer_load_dword v159, off, s[0:3], 0 offset:168
	buffer_load_dword v165, off, s[0:3], 0 offset:160
	buffer_load_dword v179, off, s[0:3], 0 offset:152
	buffer_load_dword v172, off, s[0:3], 0 offset:172
	buffer_load_dword v167, off, s[0:3], 0 offset:180
	buffer_load_dword v163, off, s[0:3], 0 offset:188
	buffer_load_dword v161, off, s[0:3], 0 offset:196
	buffer_load_dword v153, off, s[0:3], 0 offset:208
	buffer_load_dword v155, off, s[0:3], 0 offset:200
	buffer_load_dword v160, off, s[0:3], 0 offset:192
	buffer_load_dword v168, off, s[0:3], 0 offset:184
	buffer_load_dword v164, off, s[0:3], 0 offset:204
	buffer_load_dword v157, off, s[0:3], 0 offset:212
	buffer_load_dword v156, off, s[0:3], 0 offset:220
	buffer_load_dword v184, off, s[0:3], 0 offset:240
	buffer_load_dword v187, off, s[0:3], 0 offset:232
	buffer_load_dword v188, off, s[0:3], 0 offset:224
	buffer_load_dword v191, off, s[0:3], 0 offset:216
	buffer_load_dword v190, off, s[0:3], 0 offset:228
	buffer_load_dword v189, off, s[0:3], 0 offset:236
	v_mov_b32_e32 v9, 0
	ds_read_b128 v[193:196], v9 offset:544
	ds_read_b128 v[5:8], v9 offset:560
	;; [unrolled: 1-line block ×3, first 2 shown]
	s_clause 0x2
	buffer_load_dword v186, off, s[0:3], 0 offset:244
	buffer_load_dword v185, off, s[0:3], 0 offset:252
	;; [unrolled: 1-line block ×3, first 2 shown]
	ds_read_b128 v[197:200], v9 offset:592
	s_mov_b32 s4, exec_lo
	s_waitcnt vmcnt(55) lgkmcnt(3)
	v_mul_f32_e32 v201, v193, v11
	v_mul_f32_e32 v11, v194, v11
	s_waitcnt vmcnt(54)
	v_mul_f32_e32 v202, v195, v10
	v_mul_f32_e32 v10, v196, v10
	s_waitcnt vmcnt(51)
	v_fmac_f32_e32 v201, v194, v143
	v_fma_f32 v11, v193, v143, -v11
	v_fmac_f32_e32 v202, v196, v140
	v_fma_f32 v10, v195, v140, -v10
	ds_read_b128 v[193:196], v9 offset:608
	s_waitcnt vmcnt(50) lgkmcnt(3)
	v_mul_f32_e32 v203, v5, v142
	v_mul_f32_e32 v142, v6, v142
	s_waitcnt vmcnt(49)
	v_mul_f32_e32 v204, v7, v141
	v_mul_f32_e32 v140, v8, v141
	s_waitcnt vmcnt(48) lgkmcnt(2)
	v_mul_f32_e32 v205, v1, v144
	v_fmac_f32_e32 v203, v6, v12
	v_fma_f32 v12, v5, v12, -v142
	v_mul_f32_e32 v141, v2, v144
	s_waitcnt vmcnt(44)
	v_fmac_f32_e32 v204, v8, v152
	v_fma_f32 v152, v7, v152, -v140
	ds_read_b128 v[5:8], v9 offset:624
	s_waitcnt vmcnt(43)
	v_mul_f32_e32 v206, v3, v151
	v_mul_f32_e32 v140, v4, v151
	v_fmac_f32_e32 v205, v2, v149
	v_fma_f32 v149, v1, v149, -v141
	s_waitcnt vmcnt(42) lgkmcnt(2)
	v_mul_f32_e32 v151, v197, v150
	v_mul_f32_e32 v141, v198, v150
	v_fmac_f32_e32 v206, v4, v147
	v_fma_f32 v150, v3, v147, -v140
	ds_read_b128 v[1:4], v9 offset:640
	s_waitcnt vmcnt(41)
	v_mul_f32_e32 v207, v199, v148
	v_mul_f32_e32 v140, v200, v148
	v_fmac_f32_e32 v151, v198, v145
	v_fma_f32 v148, v197, v145, -v141
	s_waitcnt vmcnt(40) lgkmcnt(2)
	v_mul_f32_e32 v197, v193, v146
	v_mul_f32_e32 v144, v194, v146
	s_waitcnt vmcnt(36)
	v_fmac_f32_e32 v207, v200, v181
	v_fma_f32 v181, v199, v181, -v140
	ds_read_b128 v[140:143], v9 offset:656
	s_waitcnt vmcnt(35)
	v_mul_f32_e32 v198, v195, v180
	v_mul_f32_e32 v145, v196, v180
	v_fmac_f32_e32 v197, v194, v174
	v_fma_f32 v174, v193, v174, -v144
	s_waitcnt vmcnt(34) lgkmcnt(2)
	v_mul_f32_e32 v180, v5, v175
	v_fmac_f32_e32 v198, v196, v166
	v_fma_f32 v166, v195, v166, -v145
	ds_read_b128 v[144:147], v9 offset:672
	v_mul_f32_e32 v175, v6, v175
	s_waitcnt vmcnt(33)
	v_mul_f32_e32 v193, v7, v169
	v_mul_f32_e32 v169, v8, v169
	v_fmac_f32_e32 v180, v6, v158
	v_fma_f32 v158, v5, v158, -v175
	s_waitcnt vmcnt(32) lgkmcnt(2)
	v_mul_f32_e32 v175, v1, v177
	v_mul_f32_e32 v177, v2, v177
	s_waitcnt vmcnt(28)
	v_fmac_f32_e32 v193, v8, v183
	v_fma_f32 v169, v7, v183, -v169
	s_waitcnt vmcnt(27)
	v_mul_f32_e32 v183, v3, v182
	v_mul_f32_e32 v182, v4, v182
	ds_read_b128 v[5:8], v9 offset:688
	v_fmac_f32_e32 v175, v2, v176
	v_fma_f32 v176, v1, v176, -v177
	s_waitcnt vmcnt(26) lgkmcnt(2)
	v_mul_f32_e32 v177, v140, v178
	v_mul_f32_e32 v178, v141, v178
	v_fmac_f32_e32 v183, v4, v170
	v_fma_f32 v170, v3, v170, -v182
	s_waitcnt vmcnt(25)
	v_mul_f32_e32 v182, v142, v173
	v_mul_f32_e32 v173, v143, v173
	ds_read_b128 v[1:4], v9 offset:704
	v_fmac_f32_e32 v177, v141, v162
	v_fma_f32 v162, v140, v162, -v178
	s_waitcnt vmcnt(24) lgkmcnt(2)
	v_mul_f32_e32 v178, v144, v171
	v_mul_f32_e32 v140, v145, v171
	s_waitcnt vmcnt(20)
	v_fmac_f32_e32 v182, v143, v179
	v_fma_f32 v171, v142, v179, -v173
	s_clause 0x3
	buffer_load_dword v173, off, s[0:3], 0 offset:272
	buffer_load_dword v179, off, s[0:3], 0 offset:264
	;; [unrolled: 1-line block ×4, first 2 shown]
	v_fmac_f32_e32 v178, v145, v165
	v_fma_f32 v144, v144, v165, -v140
	s_waitcnt vmcnt(23)
	v_mul_f32_e32 v196, v146, v172
	s_waitcnt vmcnt(22) lgkmcnt(1)
	v_mul_f32_e32 v145, v5, v167
	v_mul_f32_e32 v165, v6, v167
	;; [unrolled: 1-line block ×3, first 2 shown]
	buffer_load_dword v172, off, s[0:3], 0 offset:284
	v_fmac_f32_e32 v196, v147, v159
	v_fmac_f32_e32 v145, v6, v154
	v_fma_f32 v154, v5, v154, -v165
	v_fma_f32 v146, v146, v159, -v141
	ds_read_b128 v[140:143], v9 offset:720
	s_waitcnt vmcnt(16) lgkmcnt(1)
	v_mul_f32_e32 v165, v3, v164
	v_mul_f32_e32 v164, v4, v164
	v_mul_f32_e32 v147, v7, v163
	v_mul_f32_e32 v159, v8, v163
	v_mul_f32_e32 v163, v1, v161
	v_mul_f32_e32 v5, v2, v161
	buffer_load_dword v161, off, s[0:3], 0 offset:260
	v_fmac_f32_e32 v165, v4, v155
	v_fma_f32 v155, v3, v155, -v164
	buffer_load_dword v164, off, s[0:3], 0 offset:268
	v_fmac_f32_e32 v147, v8, v168
	v_fma_f32 v159, v7, v168, -v159
	v_fmac_f32_e32 v163, v2, v160
	v_fma_f32 v160, v1, v160, -v5
	ds_read_b128 v[5:8], v9 offset:736
	s_waitcnt vmcnt(17) lgkmcnt(1)
	v_mul_f32_e32 v167, v140, v157
	v_mul_f32_e32 v1, v141, v157
	s_waitcnt vmcnt(16)
	v_mul_f32_e32 v157, v142, v156
	v_mul_f32_e32 v2, v143, v156
	buffer_load_dword v156, off, s[0:3], 0 offset:276
	v_fmac_f32_e32 v167, v141, v153
	v_fma_f32 v140, v140, v153, -v1
	s_waitcnt vmcnt(13)
	v_fmac_f32_e32 v157, v143, v191
	v_fma_f32 v141, v142, v191, -v2
	ds_read_b128 v[1:4], v9 offset:752
	s_waitcnt vmcnt(12) lgkmcnt(1)
	v_mul_f32_e32 v142, v5, v190
	v_mul_f32_e32 v143, v6, v190
	s_waitcnt vmcnt(11)
	v_mul_f32_e32 v153, v7, v189
	v_mul_f32_e32 v168, v8, v189
	v_fmac_f32_e32 v142, v6, v188
	v_fma_f32 v143, v5, v188, -v143
	v_fmac_f32_e32 v153, v8, v187
	v_fma_f32 v168, v7, v187, -v168
	s_clause 0x5
	buffer_load_dword v187, off, s[0:3], 0 offset:304
	buffer_load_dword v188, off, s[0:3], 0 offset:296
	;; [unrolled: 1-line block ×6, first 2 shown]
	v_add_f32_e32 v5, 0, v11
	v_add_f32_e32 v6, 0, v201
	buffer_load_dword v11, off, s[0:3], 0 offset:316
	s_waitcnt vmcnt(17) lgkmcnt(0)
	v_mul_f32_e32 v7, v2, v186
	v_add_f32_e32 v5, v5, v10
	buffer_load_dword v10, off, s[0:3], 0 offset:308
	v_add_f32_e32 v6, v6, v202
	s_waitcnt vmcnt(17)
	v_mul_f32_e32 v8, v4, v185
	v_add_f32_e32 v5, v5, v12
	v_mul_f32_e32 v12, v1, v186
	v_add_f32_e32 v6, v6, v203
	v_mul_f32_e32 v186, v3, v185
	v_add_f32_e32 v5, v5, v152
	v_fmac_f32_e32 v12, v2, v184
	v_fma_f32 v152, v1, v184, -v7
	v_add_f32_e32 v6, v6, v204
	v_add_f32_e32 v5, v5, v149
	s_clause 0x3
	buffer_load_dword v149, off, s[0:3], 0 offset:336
	buffer_load_dword v184, off, s[0:3], 0 offset:328
	;; [unrolled: 1-line block ×4, first 2 shown]
	v_add_f32_e32 v6, v6, v205
	v_add_f32_e32 v5, v5, v150
	buffer_load_dword v150, off, s[0:3], 0 offset:324
	v_add_f32_e32 v6, v6, v206
	v_add_f32_e32 v5, v5, v148
	;; [unrolled: 1-line block ×8, first 2 shown]
	s_waitcnt vmcnt(17)
	v_fmac_f32_e32 v186, v4, v195
	v_fma_f32 v195, v3, v195, -v8
	ds_read_b128 v[1:4], v9 offset:768
	s_clause 0x2
	buffer_load_dword v151, off, s[0:3], 0 offset:332
	buffer_load_dword v181, off, s[0:3], 0 offset:340
	;; [unrolled: 1-line block ×3, first 2 shown]
	ds_read_b128 v[5:8], v9 offset:784
	buffer_load_dword v166, off, s[0:3], 0 offset:356
	s_waitcnt vmcnt(19) lgkmcnt(1)
	v_mul_f32_e32 v174, v1, v161
	v_mul_f32_e32 v161, v2, v161
	s_waitcnt vmcnt(18)
	v_mul_f32_e32 v202, v3, v164
	v_mul_f32_e32 v164, v4, v164
	v_fmac_f32_e32 v174, v2, v194
	v_fma_f32 v161, v1, v194, -v161
	v_add_f32_e32 v1, v197, v198
	v_fmac_f32_e32 v202, v4, v179
	v_fma_f32 v164, v3, v179, -v164
	v_add_f32_e32 v2, v148, v158
	s_clause 0x3
	buffer_load_dword v158, off, s[0:3], 0 offset:368
	buffer_load_dword v179, off, s[0:3], 0 offset:360
	;; [unrolled: 1-line block ×4, first 2 shown]
	v_add_f32_e32 v1, v1, v180
	v_add_f32_e32 v148, v2, v169
	s_clause 0x2
	buffer_load_dword v169, off, s[0:3], 0 offset:364
	buffer_load_dword v180, off, s[0:3], 0 offset:372
	buffer_load_dword v198, off, s[0:3], 0 offset:380
	v_add_f32_e32 v193, v1, v193
	ds_read_b128 v[1:4], v9 offset:800
	v_add_f32_e32 v148, v148, v176
	s_waitcnt vmcnt(24) lgkmcnt(1)
	v_mul_f32_e32 v176, v5, v156
	v_mul_f32_e32 v156, v6, v156
	v_add_f32_e32 v175, v193, v175
	v_mul_f32_e32 v193, v7, v172
	v_mul_f32_e32 v172, v8, v172
	v_fmac_f32_e32 v176, v6, v173
	v_add_f32_e32 v6, v148, v170
	v_fma_f32 v148, v5, v173, -v156
	v_add_f32_e32 v5, v175, v183
	v_add_f32_e32 v162, v6, v162
	s_waitcnt vmcnt(20)
	v_fmac_f32_e32 v193, v8, v190
	v_add_f32_e32 v177, v5, v177
	v_fma_f32 v156, v7, v190, -v172
	s_clause 0x4
	buffer_load_dword v170, off, s[0:3], 0 offset:400
	buffer_load_dword v172, off, s[0:3], 0 offset:392
	;; [unrolled: 1-line block ×5, first 2 shown]
	v_add_f32_e32 v162, v162, v171
	s_waitcnt vmcnt(24) lgkmcnt(0)
	v_mul_f32_e32 v171, v2, v191
	v_add_f32_e32 v177, v177, v182
	v_mul_f32_e32 v190, v1, v191
	ds_read_b128 v[5:8], v9 offset:816
	v_add_f32_e32 v144, v162, v144
	v_fma_f32 v171, v1, v189, -v171
	v_add_f32_e32 v1, v177, v178
	v_fmac_f32_e32 v190, v2, v189
	s_clause 0x1
	buffer_load_dword v182, off, s[0:3], 0 offset:396
	buffer_load_dword v191, off, s[0:3], 0 offset:404
	v_add_f32_e32 v2, v144, v146
	buffer_load_dword v162, off, s[0:3], 0 offset:412
	v_add_f32_e32 v1, v1, v196
	s_waitcnt vmcnt(26)
	v_mul_f32_e32 v189, v3, v199
	v_mul_f32_e32 v144, v4, v199
	v_add_f32_e32 v2, v2, v154
	s_clause 0x1
	buffer_load_dword v177, off, s[0:3], 0 offset:420
	buffer_load_dword v178, off, s[0:3], 0 offset:428
	v_add_f32_e32 v1, v1, v145
	buffer_load_dword v196, off, s[0:3], 0 offset:436
	v_fmac_f32_e32 v189, v4, v188
	v_add_f32_e32 v2, v2, v159
	v_fma_f32 v154, v3, v188, -v144
	v_add_f32_e32 v1, v1, v147
	s_clause 0x4
	buffer_load_dword v188, off, s[0:3], 0 offset:444
	buffer_load_dword v199, off, s[0:3], 0 offset:452
	;; [unrolled: 1-line block ×5, first 2 shown]
	v_add_f32_e32 v2, v2, v160
	s_clause 0x2
	buffer_load_dword v160, off, s[0:3], 0 offset:484
	buffer_load_dword v206, off, s[0:3], 0 offset:492
	;; [unrolled: 1-line block ×3, first 2 shown]
	v_add_f32_e32 v1, v1, v163
	s_clause 0x3
	buffer_load_dword v163, off, s[0:3], 0 offset:432
	buffer_load_dword v208, off, s[0:3], 0 offset:424
	;; [unrolled: 1-line block ×4, first 2 shown]
	s_waitcnt vmcnt(39) lgkmcnt(0)
	v_mul_f32_e32 v3, v6, v10
	v_add_f32_e32 v2, v2, v155
	v_add_f32_e32 v1, v1, v165
	;; [unrolled: 1-line block ×4, first 2 shown]
	s_clause 0x3
	buffer_load_dword v165, off, s[0:3], 0 offset:464
	buffer_load_dword v167, off, s[0:3], 0 offset:456
	;; [unrolled: 1-line block ×4, first 2 shown]
	v_add_f32_e32 v2, v2, v141
	v_add_f32_e32 v1, v1, v157
	v_add_f32_e32 v2, v2, v143
	v_add_f32_e32 v1, v1, v142
	v_add_f32_e32 v2, v2, v168
	s_clause 0x4
	buffer_load_dword v168, off, s[0:3], 0 offset:496
	buffer_load_dword v213, off, s[0:3], 0 offset:488
	;; [unrolled: 1-line block ×5, first 2 shown]
	v_add_f32_e32 v1, v1, v153
	v_mul_f32_e32 v153, v7, v11
	v_add_f32_e32 v2, v2, v152
	v_mul_f32_e32 v152, v5, v10
	v_fma_f32 v10, v5, v187, -v3
	v_add_f32_e32 v1, v1, v12
	s_waitcnt vmcnt(44)
	v_fmac_f32_e32 v153, v8, v200
	v_add_f32_e32 v5, v2, v195
	v_fmac_f32_e32 v152, v6, v187
	v_add_f32_e32 v6, v1, v186
	ds_read_b128 v[1:4], v9 offset:832
	v_add_f32_e32 v12, v5, v161
	v_mul_f32_e32 v5, v8, v11
	v_add_f32_e32 v140, v6, v174
	v_add_f32_e32 v12, v12, v164
	v_fma_f32 v11, v7, v200, -v5
	ds_read_b128 v[5:8], v9 offset:848
	v_add_f32_e32 v144, v140, v202
	ds_read_b128 v[140:143], v9 offset:864
	v_add_f32_e32 v12, v12, v148
	v_add_f32_e32 v144, v144, v176
	;; [unrolled: 1-line block ×3, first 2 shown]
	s_waitcnt vmcnt(43) lgkmcnt(2)
	v_mul_f32_e32 v145, v2, v150
	v_mul_f32_e32 v157, v1, v150
	v_fma_f32 v156, v1, v185, -v145
	v_add_f32_e32 v1, v144, v193
	v_fmac_f32_e32 v157, v2, v185
	v_add_f32_e32 v2, v12, v171
	ds_read_b128 v[144:147], v9 offset:880
	v_add_f32_e32 v1, v1, v190
	v_add_f32_e32 v2, v2, v154
	;; [unrolled: 1-line block ×3, first 2 shown]
	s_waitcnt vmcnt(42)
	v_mul_f32_e32 v148, v4, v151
	s_waitcnt vmcnt(41) lgkmcnt(2)
	v_mul_f32_e32 v150, v6, v181
	v_mul_f32_e32 v161, v5, v181
	;; [unrolled: 1-line block ×3, first 2 shown]
	s_waitcnt vmcnt(40)
	v_mul_f32_e32 v154, v8, v201
	v_fma_f32 v159, v3, v184, -v148
	v_fma_f32 v174, v5, v149, -v150
	v_add_f32_e32 v5, v2, v10
	v_fmac_f32_e32 v161, v6, v149
	v_add_f32_e32 v6, v1, v152
	s_waitcnt vmcnt(39) lgkmcnt(1)
	v_mul_f32_e32 v10, v141, v166
	v_fmac_f32_e32 v12, v4, v184
	v_add_f32_e32 v11, v5, v11
	v_mul_f32_e32 v164, v7, v201
	v_mul_f32_e32 v171, v140, v166
	ds_read_b128 v[1:4], v9 offset:896
	ds_read_b128 v[148:151], v9 offset:912
	v_add_f32_e32 v11, v11, v156
	v_add_f32_e32 v11, v11, v159
	s_waitcnt vmcnt(36)
	v_fma_f32 v176, v140, v194, -v10
	v_add_f32_e32 v10, v6, v153
	s_waitcnt vmcnt(35)
	v_fma_f32 v166, v7, v197, -v154
	v_fmac_f32_e32 v164, v8, v197
	s_waitcnt vmcnt(34)
	v_mul_f32_e32 v181, v142, v169
	v_mul_f32_e32 v140, v143, v169
	v_add_f32_e32 v10, v10, v157
	v_fmac_f32_e32 v171, v141, v194
	s_waitcnt vmcnt(33) lgkmcnt(2)
	v_mul_f32_e32 v141, v145, v180
	v_fmac_f32_e32 v181, v143, v179
	v_fma_f32 v179, v142, v179, -v140
	v_add_f32_e32 v10, v10, v12
	v_add_f32_e32 v12, v11, v174
	v_mul_f32_e32 v169, v144, v180
	s_waitcnt vmcnt(32)
	v_mul_f32_e32 v184, v146, v198
	v_mul_f32_e32 v180, v147, v198
	v_add_f32_e32 v161, v10, v161
	v_add_f32_e32 v12, v12, v166
	v_fma_f32 v185, v144, v158, -v141
	v_fmac_f32_e32 v169, v145, v158
	ds_read_b128 v[5:8], v9 offset:928
	ds_read_b128 v[152:155], v9 offset:944
	v_add_f32_e32 v161, v161, v164
	v_add_f32_e32 v12, v12, v176
	ds_read_b128 v[140:143], v9 offset:960
	ds_read_b128 v[156:159], v9 offset:976
	s_waitcnt vmcnt(28)
	v_fmac_f32_e32 v184, v147, v175
	v_add_f32_e32 v161, v161, v171
	v_add_f32_e32 v12, v12, v179
	v_fma_f32 v174, v146, v175, -v180
	s_waitcnt vmcnt(27) lgkmcnt(5)
	v_mul_f32_e32 v175, v2, v183
	v_mul_f32_e32 v166, v1, v183
	v_add_f32_e32 v161, v161, v181
	v_add_f32_e32 v12, v12, v185
	ds_read_b128 v[144:147], v9 offset:992
	ds_read_b64 v[10:11], v9 offset:1008
	v_fma_f32 v1, v1, v173, -v175
	s_waitcnt vmcnt(26)
	v_mul_f32_e32 v180, v4, v182
	v_add_f32_e32 v161, v161, v169
	v_add_f32_e32 v12, v12, v174
	v_mul_f32_e32 v164, v3, v182
	v_fmac_f32_e32 v166, v2, v173
	s_waitcnt vmcnt(25) lgkmcnt(6)
	v_mul_f32_e32 v179, v149, v191
	v_add_f32_e32 v161, v161, v184
	v_fma_f32 v3, v3, v172, -v180
	v_add_f32_e32 v1, v12, v1
	v_mul_f32_e32 v176, v148, v191
	v_fmac_f32_e32 v164, v4, v172
	v_add_f32_e32 v12, v161, v166
	s_waitcnt vmcnt(24)
	v_mul_f32_e32 v171, v150, v162
	v_mul_f32_e32 v162, v151, v162
	v_fma_f32 v148, v148, v170, -v179
	v_add_f32_e32 v1, v1, v3
	v_fmac_f32_e32 v176, v149, v170
	v_add_f32_e32 v3, v12, v164
	s_waitcnt vmcnt(23) lgkmcnt(5)
	v_mul_f32_e32 v12, v6, v177
	v_mul_f32_e32 v2, v5, v177
	s_waitcnt vmcnt(9)
	v_fma_f32 v149, v150, v210, -v162
	v_add_f32_e32 v1, v1, v148
	v_fmac_f32_e32 v171, v151, v210
	v_add_f32_e32 v3, v3, v176
	v_mul_f32_e32 v148, v8, v178
	v_fma_f32 v5, v5, v209, -v12
	v_add_f32_e32 v1, v1, v149
	v_mul_f32_e32 v173, v7, v178
	v_fmac_f32_e32 v2, v6, v209
	v_add_f32_e32 v3, v3, v171
	s_waitcnt lgkmcnt(4)
	v_mul_f32_e32 v6, v153, v196
	v_fma_f32 v7, v7, v208, -v148
	v_add_f32_e32 v1, v1, v5
	v_mul_f32_e32 v175, v152, v196
	v_fmac_f32_e32 v173, v8, v208
	v_add_f32_e32 v2, v3, v2
	v_mul_f32_e32 v3, v155, v188
	v_fma_f32 v5, v152, v163, -v6
	v_add_f32_e32 v1, v1, v7
	v_mul_f32_e32 v4, v154, v188
	v_fmac_f32_e32 v175, v153, v163
	v_add_f32_e32 v2, v2, v173
	s_waitcnt lgkmcnt(3)
	v_mul_f32_e32 v6, v141, v199
	s_waitcnt vmcnt(5)
	v_fma_f32 v3, v154, v212, -v3
	v_add_f32_e32 v1, v1, v5
	v_mul_f32_e32 v172, v140, v199
	v_fmac_f32_e32 v4, v155, v212
	v_add_f32_e32 v2, v2, v175
	v_mul_f32_e32 v5, v143, v203
	v_fma_f32 v6, v140, v211, -v6
	v_add_f32_e32 v1, v1, v3
	v_mul_f32_e32 v169, v142, v203
	v_fmac_f32_e32 v172, v141, v211
	v_add_f32_e32 v2, v2, v4
	s_waitcnt lgkmcnt(2)
	v_mul_f32_e32 v3, v157, v204
	v_fma_f32 v4, v142, v167, -v5
	v_add_f32_e32 v1, v1, v6
	v_mul_f32_e32 v180, v156, v204
	v_fmac_f32_e32 v169, v143, v167
	v_add_f32_e32 v2, v2, v172
	v_mul_f32_e32 v5, v159, v205
	v_fma_f32 v3, v156, v165, -v3
	v_add_f32_e32 v1, v1, v4
	v_mul_f32_e32 v181, v158, v205
	v_fmac_f32_e32 v180, v157, v165
	v_add_f32_e32 v2, v2, v169
	s_waitcnt lgkmcnt(1)
	v_mul_f32_e32 v4, v145, v160
	s_waitcnt vmcnt(1)
	v_fma_f32 v5, v158, v215, -v5
	v_add_f32_e32 v1, v1, v3
	v_mul_f32_e32 v174, v144, v160
	v_fmac_f32_e32 v181, v159, v215
	v_add_f32_e32 v2, v2, v180
	v_mul_f32_e32 v3, v147, v206
	v_fma_f32 v4, v144, v214, -v4
	v_add_f32_e32 v1, v1, v5
	v_mul_f32_e32 v182, v146, v206
	v_fmac_f32_e32 v174, v145, v214
	v_add_f32_e32 v2, v2, v181
	s_waitcnt lgkmcnt(0)
	v_mul_f32_e32 v5, v11, v207
	v_fma_f32 v3, v146, v213, -v3
	v_add_f32_e32 v1, v1, v4
	v_mul_f32_e32 v161, v10, v207
	v_fmac_f32_e32 v182, v147, v213
	v_add_f32_e32 v2, v2, v174
	v_fma_f32 v4, v10, v168, -v5
	v_add_f32_e32 v1, v1, v3
	v_fmac_f32_e32 v161, v11, v168
	v_add_f32_e32 v2, v2, v182
	v_add_f32_e32 v1, v1, v4
	;; [unrolled: 1-line block ×3, first 2 shown]
	s_waitcnt vmcnt(0)
	v_sub_f32_e32 v1, v216, v1
	v_sub_f32_e32 v2, v192, v2
	buffer_store_dword v1, off, s[0:3], 0 offset:24
	buffer_store_dword v2, off, s[0:3], 0 offset:28
	v_cmpx_lt_u32_e32 2, v0
	s_cbranch_execz .LBB62_387
; %bb.386:
	s_clause 0x1
	buffer_load_dword v1, off, s[0:3], 0 offset:16
	buffer_load_dword v2, off, s[0:3], 0 offset:20
	buffer_store_dword v9, off, s[0:3], 0 offset:16
	buffer_store_dword v9, off, s[0:3], 0 offset:20
	s_waitcnt vmcnt(0)
	ds_write_b64 v139, v[1:2]
.LBB62_387:
	s_or_b32 exec_lo, exec_lo, s4
	s_waitcnt lgkmcnt(0)
	s_waitcnt_vscnt null, 0x0
	s_barrier
	buffer_gl0_inv
	s_clause 0x3c
	buffer_load_dword v174, off, s[0:3], 0 offset:28
	buffer_load_dword v175, off, s[0:3], 0 offset:36
	;; [unrolled: 1-line block ×61, first 2 shown]
	ds_read2_b64 v[191:194], v9 offset0:67 offset1:68
	ds_read2_b64 v[195:198], v9 offset0:69 offset1:70
	s_mov_b32 s4, exec_lo
	s_waitcnt vmcnt(60) lgkmcnt(1)
	v_mul_f32_e32 v185, v191, v174
	v_mul_f32_e32 v199, v192, v174
	s_waitcnt vmcnt(59)
	v_mul_f32_e32 v174, v193, v175
	v_mul_f32_e32 v200, v194, v175
	buffer_load_dword v175, off, s[0:3], 0 offset:20
	s_waitcnt vmcnt(57)
	v_fmac_f32_e32 v185, v192, v5
	v_fma_f32 v199, v191, v5, -v199
	v_fmac_f32_e32 v174, v194, v4
	v_fma_f32 v200, v193, v4, -v200
	ds_read2_b64 v[191:194], v9 offset0:71 offset1:72
	s_waitcnt vmcnt(56) lgkmcnt(1)
	v_mul_f32_e32 v201, v195, v3
	v_mul_f32_e32 v3, v196, v3
	s_waitcnt vmcnt(55)
	v_mul_f32_e32 v202, v197, v2
	v_mul_f32_e32 v2, v198, v2
	v_fmac_f32_e32 v201, v196, v1
	v_fma_f32 v195, v195, v1, -v3
	s_waitcnt vmcnt(51)
	v_fmac_f32_e32 v202, v198, v141
	v_fma_f32 v141, v197, v141, -v2
	ds_read2_b64 v[1:4], v9 offset0:73 offset1:74
	s_waitcnt vmcnt(50) lgkmcnt(1)
	v_mul_f32_e32 v196, v191, v140
	v_mul_f32_e32 v5, v192, v140
	s_waitcnt vmcnt(49)
	v_mul_f32_e32 v140, v193, v12
	v_mul_f32_e32 v12, v194, v12
	v_fmac_f32_e32 v196, v192, v11
	v_fma_f32 v11, v191, v11, -v5
	v_fmac_f32_e32 v140, v194, v7
	v_fma_f32 v12, v193, v7, -v12
	ds_read2_b64 v[191:194], v9 offset0:75 offset1:76
	s_waitcnt vmcnt(48) lgkmcnt(1)
	v_mul_f32_e32 v197, v1, v10
	v_mul_f32_e32 v5, v2, v10
	s_waitcnt vmcnt(47)
	v_mul_f32_e32 v10, v3, v8
	v_mul_f32_e32 v7, v4, v8
	v_fmac_f32_e32 v197, v2, v6
	v_fma_f32 v198, v1, v6, -v5
	s_waitcnt vmcnt(43)
	v_fmac_f32_e32 v10, v4, v149
	v_fma_f32 v149, v3, v149, -v7
	ds_read2_b64 v[1:4], v9 offset0:77 offset1:78
	s_waitcnt vmcnt(42) lgkmcnt(1)
	v_mul_f32_e32 v203, v191, v148
	v_mul_f32_e32 v5, v192, v148
	s_waitcnt vmcnt(41)
	v_mul_f32_e32 v148, v193, v147
	v_mul_f32_e32 v6, v194, v147
	v_fmac_f32_e32 v203, v192, v146
	v_fma_f32 v146, v191, v146, -v5
	v_fmac_f32_e32 v148, v194, v143
	v_fma_f32 v143, v193, v143, -v6
	ds_read2_b64 v[5:8], v9 offset0:79 offset1:80
	s_waitcnt vmcnt(40) lgkmcnt(1)
	v_mul_f32_e32 v147, v1, v145
	v_mul_f32_e32 v145, v2, v145
	s_waitcnt vmcnt(39)
	v_mul_f32_e32 v191, v3, v144
	v_mul_f32_e32 v144, v4, v144
	s_clause 0x1
	buffer_load_dword v192, off, s[0:3], 0 offset:268
	buffer_load_dword v193, off, s[0:3], 0 offset:276
	v_fmac_f32_e32 v147, v2, v142
	v_fma_f32 v142, v1, v142, -v145
	s_waitcnt vmcnt(37)
	v_fmac_f32_e32 v191, v4, v173
	v_fma_f32 v144, v3, v173, -v144
	ds_read2_b64 v[1:4], v9 offset0:81 offset1:82
	s_waitcnt vmcnt(36) lgkmcnt(1)
	v_mul_f32_e32 v145, v5, v172
	v_mul_f32_e32 v172, v6, v172
	s_waitcnt vmcnt(35)
	v_mul_f32_e32 v173, v7, v171
	v_mul_f32_e32 v171, v8, v171
	v_fmac_f32_e32 v145, v6, v166
	v_fma_f32 v166, v5, v166, -v172
	v_fmac_f32_e32 v173, v8, v161
	v_fma_f32 v161, v7, v161, -v171
	ds_read2_b64 v[5:8], v9 offset0:83 offset1:84
	s_waitcnt vmcnt(34) lgkmcnt(1)
	v_mul_f32_e32 v171, v1, v165
	v_mul_f32_e32 v165, v2, v165
	s_waitcnt vmcnt(33)
	v_mul_f32_e32 v172, v3, v163
	v_mul_f32_e32 v163, v4, v163
	v_fmac_f32_e32 v171, v2, v152
	v_fma_f32 v152, v1, v152, -v165
	s_waitcnt vmcnt(29)
	v_fmac_f32_e32 v172, v4, v170
	v_fma_f32 v163, v3, v170, -v163
	ds_read2_b64 v[1:4], v9 offset0:85 offset1:86
	s_waitcnt vmcnt(28) lgkmcnt(1)
	v_mul_f32_e32 v165, v5, v169
	v_mul_f32_e32 v169, v6, v169
	s_waitcnt vmcnt(27)
	v_mul_f32_e32 v170, v7, v168
	v_mul_f32_e32 v168, v8, v168
	v_fmac_f32_e32 v165, v6, v160
	v_fma_f32 v160, v5, v160, -v169
	v_fmac_f32_e32 v170, v8, v157
	v_fma_f32 v157, v7, v157, -v168
	ds_read2_b64 v[5:8], v9 offset0:87 offset1:88
	s_waitcnt vmcnt(26) lgkmcnt(1)
	v_mul_f32_e32 v168, v1, v159
	v_mul_f32_e32 v159, v2, v159
	s_waitcnt vmcnt(25)
	v_mul_f32_e32 v169, v3, v158
	v_mul_f32_e32 v158, v4, v158
	;; [unrolled: 23-line block ×4, first 2 shown]
	v_fmac_f32_e32 v181, v2, v176
	v_fma_f32 v176, v1, v176, -v179
	s_waitcnt vmcnt(5)
	v_fmac_f32_e32 v182, v4, v190
	v_fma_f32 v178, v3, v190, -v178
	ds_read2_b64 v[1:4], v9 offset0:97 offset1:98
	s_waitcnt vmcnt(4) lgkmcnt(1)
	v_mul_f32_e32 v179, v5, v189
	v_mul_f32_e32 v189, v6, v189
	s_waitcnt vmcnt(3)
	v_mul_f32_e32 v190, v7, v188
	v_mul_f32_e32 v188, v8, v188
	v_fmac_f32_e32 v179, v6, v187
	v_fma_f32 v187, v5, v187, -v189
	v_fmac_f32_e32 v190, v8, v186
	v_fma_f32 v186, v7, v186, -v188
	s_clause 0x5
	buffer_load_dword v188, off, s[0:3], 0 offset:296
	buffer_load_dword v189, off, s[0:3], 0 offset:288
	;; [unrolled: 1-line block ×6, first 2 shown]
	v_add_f32_e32 v6, 0, v199
	buffer_load_dword v199, off, s[0:3], 0 offset:300
	v_add_f32_e32 v7, 0, v185
	v_add_f32_e32 v6, v6, v200
	;; [unrolled: 1-line block ×3, first 2 shown]
	buffer_load_dword v174, off, s[0:3], 0 offset:308
	v_add_f32_e32 v6, v6, v195
	v_add_f32_e32 v7, v7, v201
	;; [unrolled: 1-line block ×3, first 2 shown]
	s_clause 0x3
	buffer_load_dword v185, off, s[0:3], 0 offset:328
	buffer_load_dword v141, off, s[0:3], 0 offset:320
	;; [unrolled: 1-line block ×4, first 2 shown]
	v_add_f32_e32 v7, v7, v202
	v_add_f32_e32 v6, v6, v11
	buffer_load_dword v11, off, s[0:3], 0 offset:316
	v_add_f32_e32 v7, v7, v196
	buffer_load_dword v196, off, s[0:3], 0 offset:324
	v_add_f32_e32 v6, v6, v12
	v_add_f32_e32 v7, v7, v140
	;; [unrolled: 1-line block ×5, first 2 shown]
	s_clause 0x1
	buffer_load_dword v12, off, s[0:3], 0 offset:332
	buffer_load_dword v149, off, s[0:3], 0 offset:340
	v_add_f32_e32 v7, v7, v10
	v_add_f32_e32 v6, v6, v146
	s_clause 0x3
	buffer_load_dword v10, off, s[0:3], 0 offset:360
	buffer_load_dword v197, off, s[0:3], 0 offset:352
	;; [unrolled: 1-line block ×4, first 2 shown]
	v_add_f32_e32 v7, v7, v203
	s_clause 0x3
	buffer_load_dword v201, off, s[0:3], 0 offset:348
	buffer_load_dword v202, off, s[0:3], 0 offset:356
	;; [unrolled: 1-line block ×4, first 2 shown]
	v_add_f32_e32 v6, v6, v143
	v_add_f32_e32 v7, v7, v148
	;; [unrolled: 1-line block ×6, first 2 shown]
	s_waitcnt vmcnt(25) lgkmcnt(0)
	v_mul_f32_e32 v140, v1, v192
	s_waitcnt vmcnt(24)
	v_mul_f32_e32 v147, v3, v193
	v_mul_f32_e32 v142, v4, v193
	;; [unrolled: 1-line block ×3, first 2 shown]
	v_fmac_f32_e32 v140, v2, v184
	v_fma_f32 v143, v1, v184, -v8
	s_waitcnt vmcnt(20)
	v_fmac_f32_e32 v147, v4, v5
	v_fma_f32 v144, v3, v5, -v142
	v_add_f32_e32 v5, v6, v166
	v_add_f32_e32 v6, v7, v145
	ds_read2_b64 v[1:4], v9 offset0:99 offset1:100
	s_clause 0x3
	buffer_load_dword v166, off, s[0:3], 0 offset:392
	buffer_load_dword v184, off, s[0:3], 0 offset:384
	;; [unrolled: 1-line block ×4, first 2 shown]
	v_add_f32_e32 v5, v5, v161
	v_add_f32_e32 v6, v6, v173
	;; [unrolled: 1-line block ×4, first 2 shown]
	s_clause 0x2
	buffer_load_dword v161, off, s[0:3], 0 offset:380
	buffer_load_dword v171, off, s[0:3], 0 offset:388
	;; [unrolled: 1-line block ×3, first 2 shown]
	v_add_f32_e32 v145, v5, v163
	v_add_f32_e32 v142, v142, v172
	ds_read2_b64 v[5:8], v9 offset0:101 offset1:102
	v_add_f32_e32 v145, v145, v160
	v_add_f32_e32 v142, v142, v165
	s_waitcnt vmcnt(26) lgkmcnt(1)
	v_mul_f32_e32 v148, v1, v204
	v_mul_f32_e32 v152, v2, v204
	s_waitcnt vmcnt(25)
	v_mul_f32_e32 v163, v4, v205
	v_mul_f32_e32 v160, v3, v205
	v_fmac_f32_e32 v148, v2, v194
	v_add_f32_e32 v2, v142, v170
	v_fma_f32 v152, v1, v194, -v152
	v_add_f32_e32 v1, v145, v157
	v_fma_f32 v163, v3, v189, -v163
	s_clause 0x3
	buffer_load_dword v157, off, s[0:3], 0 offset:404
	buffer_load_dword v165, off, s[0:3], 0 offset:412
	;; [unrolled: 1-line block ×4, first 2 shown]
	v_add_f32_e32 v2, v2, v168
	v_fmac_f32_e32 v160, v4, v189
	v_add_f32_e32 v1, v1, v151
	s_clause 0x3
	buffer_load_dword v168, off, s[0:3], 0 offset:436
	buffer_load_dword v189, off, s[0:3], 0 offset:444
	;; [unrolled: 1-line block ×4, first 2 shown]
	s_waitcnt vmcnt(32) lgkmcnt(0)
	v_mul_f32_e32 v151, v5, v199
	v_add_f32_e32 v2, v2, v169
	v_mul_f32_e32 v3, v6, v199
	v_add_f32_e32 v1, v1, v158
	s_clause 0x3
	buffer_load_dword v158, off, s[0:3], 0 offset:468
	buffer_load_dword v169, off, s[0:3], 0 offset:476
	;; [unrolled: 1-line block ×4, first 2 shown]
	v_fmac_f32_e32 v151, v6, v188
	v_add_f32_e32 v2, v2, v159
	v_fma_f32 v159, v5, v188, -v3
	v_add_f32_e32 v1, v1, v156
	buffer_load_dword v156, off, s[0:3], 0 offset:500
	v_add_f32_e32 v5, v2, v167
	s_clause 0x3
	buffer_load_dword v167, off, s[0:3], 0 offset:424
	buffer_load_dword v188, off, s[0:3], 0 offset:416
	;; [unrolled: 1-line block ×4, first 2 shown]
	v_add_f32_e32 v1, v1, v153
	v_add_f32_e32 v5, v5, v162
	;; [unrolled: 1-line block ×3, first 2 shown]
	s_waitcnt vmcnt(40)
	v_mul_f32_e32 v1, v8, v174
	v_mul_f32_e32 v150, v7, v174
	v_add_f32_e32 v5, v5, v164
	v_add_f32_e32 v6, v6, v154
	s_waitcnt vmcnt(36)
	v_fma_f32 v153, v7, v200, -v1
	ds_read2_b64 v[1:4], v9 offset0:103 offset1:104
	v_add_f32_e32 v5, v5, v155
	v_fmac_f32_e32 v150, v8, v200
	v_add_f32_e32 v6, v6, v180
	s_clause 0x3
	buffer_load_dword v162, off, s[0:3], 0 offset:456
	buffer_load_dword v164, off, s[0:3], 0 offset:448
	;; [unrolled: 1-line block ×4, first 2 shown]
	v_add_f32_e32 v145, v5, v183
	v_add_f32_e32 v142, v6, v177
	ds_read2_b64 v[5:8], v9 offset0:105 offset1:106
	v_add_f32_e32 v145, v145, v181
	v_add_f32_e32 v142, v142, v176
	s_waitcnt vmcnt(39) lgkmcnt(1)
	v_mul_f32_e32 v154, v1, v11
	v_mul_f32_e32 v11, v2, v11
	s_waitcnt vmcnt(38)
	v_mul_f32_e32 v183, v3, v196
	v_fmac_f32_e32 v154, v2, v195
	v_fma_f32 v11, v1, v195, -v11
	v_add_f32_e32 v1, v142, v178
	s_clause 0x3
	buffer_load_dword v176, off, s[0:3], 0 offset:488
	buffer_load_dword v177, off, s[0:3], 0 offset:480
	buffer_load_dword v178, off, s[0:3], 0 offset:472
	buffer_load_dword v181, off, s[0:3], 0 offset:464
	v_add_f32_e32 v2, v145, v182
	buffer_load_dword v182, off, s[0:3], 0 offset:496
	v_mul_f32_e32 v142, v4, v196
	v_add_f32_e32 v1, v1, v187
	v_fmac_f32_e32 v183, v4, v141
	v_add_f32_e32 v2, v2, v179
	buffer_load_dword v179, off, s[0:3], 0 offset:16
	s_waitcnt vmcnt(43) lgkmcnt(0)
	v_mul_f32_e32 v187, v5, v12
	v_add_f32_e32 v1, v1, v186
	v_fma_f32 v186, v3, v141, -v142
	v_add_f32_e32 v145, v2, v190
	s_waitcnt vmcnt(42)
	v_mul_f32_e32 v190, v7, v149
	v_mul_f32_e32 v12, v6, v12
	v_add_f32_e32 v155, v1, v143
	ds_read2_b64 v[1:4], v9 offset0:107 offset1:108
	v_add_f32_e32 v145, v145, v140
	ds_read2_b64 v[140:143], v9 offset0:109 offset1:110
	v_fmac_f32_e32 v187, v6, v185
	v_add_f32_e32 v144, v155, v144
	v_fma_f32 v12, v5, v185, -v12
	v_add_f32_e32 v145, v145, v147
	v_mul_f32_e32 v147, v8, v149
	s_waitcnt vmcnt(38)
	v_fmac_f32_e32 v190, v8, v146
	v_add_f32_e32 v149, v144, v152
	v_add_f32_e32 v148, v145, v148
	v_fma_f32 v185, v7, v146, -v147
	ds_read2_b64 v[5:8], v9 offset0:111 offset1:112
	ds_read2_b64 v[144:147], v9 offset0:113 offset1:114
	v_add_f32_e32 v149, v149, v163
	v_add_f32_e32 v148, v148, v160
	;; [unrolled: 1-line block ×3, first 2 shown]
	s_waitcnt vmcnt(37) lgkmcnt(3)
	v_mul_f32_e32 v163, v1, v201
	v_mul_f32_e32 v152, v2, v201
	v_add_f32_e32 v148, v148, v151
	s_waitcnt vmcnt(35) lgkmcnt(2)
	v_mul_f32_e32 v159, v140, v203
	v_mul_f32_e32 v195, v141, v203
	v_fmac_f32_e32 v163, v2, v198
	v_fma_f32 v198, v1, v198, -v152
	v_add_f32_e32 v152, v149, v153
	v_add_f32_e32 v153, v148, v150
	v_fmac_f32_e32 v159, v141, v10
	v_fma_f32 v195, v140, v10, -v195
	v_mul_f32_e32 v160, v3, v202
	v_add_f32_e32 v10, v152, v11
	v_add_f32_e32 v11, v153, v154
	v_mul_f32_e32 v155, v4, v202
	s_waitcnt vmcnt(34)
	v_mul_f32_e32 v196, v142, v206
	v_fmac_f32_e32 v160, v4, v197
	v_add_f32_e32 v10, v10, v186
	v_add_f32_e32 v11, v11, v183
	v_fma_f32 v197, v3, v197, -v155
	v_mul_f32_e32 v155, v143, v206
	ds_read2_b64 v[1:4], v9 offset0:115 offset1:116
	ds_read2_b64 v[148:151], v9 offset0:117 offset1:118
	s_waitcnt vmcnt(30)
	v_fmac_f32_e32 v196, v143, v192
	v_fma_f32 v192, v142, v192, -v155
	ds_read2_b64 v[140:143], v9 offset0:119 offset1:120
	ds_read2_b64 v[152:155], v9 offset0:121 offset1:122
	s_waitcnt vmcnt(29) lgkmcnt(5)
	v_mul_f32_e32 v186, v5, v161
	s_waitcnt vmcnt(28)
	v_mul_f32_e32 v183, v7, v171
	v_mul_f32_e32 v161, v6, v161
	;; [unrolled: 1-line block ×3, first 2 shown]
	v_fmac_f32_e32 v186, v6, v191
	v_add_f32_e32 v6, v10, v12
	v_add_f32_e32 v10, v11, v187
	v_fmac_f32_e32 v183, v8, v184
	v_fma_f32 v171, v7, v184, -v171
	v_fma_f32 v161, v5, v191, -v161
	v_add_f32_e32 v184, v6, v185
	v_add_f32_e32 v185, v10, v190
	s_waitcnt vmcnt(27) lgkmcnt(4)
	v_mul_f32_e32 v187, v144, v173
	v_mul_f32_e32 v173, v145, v173
	ds_read2_b64 v[5:8], v9 offset0:123 offset1:124
	ds_read2_b64 v[9:12], v9 offset0:125 offset1:126
	v_add_f32_e32 v184, v184, v198
	v_add_f32_e32 v163, v185, v163
	v_fmac_f32_e32 v187, v145, v166
	s_waitcnt vmcnt(26)
	v_mul_f32_e32 v185, v146, v157
	v_mul_f32_e32 v157, v147, v157
	v_add_f32_e32 v184, v184, v197
	v_add_f32_e32 v160, v163, v160
	v_fma_f32 v144, v144, v166, -v173
	s_waitcnt vmcnt(25) lgkmcnt(5)
	v_mul_f32_e32 v190, v1, v165
	v_mul_f32_e32 v165, v2, v165
	v_add_f32_e32 v184, v184, v195
	v_add_f32_e32 v159, v160, v159
	s_waitcnt vmcnt(24)
	v_mul_f32_e32 v163, v3, v170
	s_waitcnt vmcnt(23) lgkmcnt(4)
	v_mul_f32_e32 v191, v148, v172
	s_waitcnt vmcnt(22)
	v_mul_f32_e32 v195, v150, v168
	v_add_f32_e32 v184, v184, v192
	v_add_f32_e32 v159, v159, v196
	s_waitcnt vmcnt(21) lgkmcnt(3)
	v_mul_f32_e32 v160, v140, v189
	s_waitcnt vmcnt(20)
	v_mul_f32_e32 v197, v142, v193
	s_waitcnt vmcnt(19) lgkmcnt(2)
	v_mul_f32_e32 v192, v152, v194
	v_add_f32_e32 v161, v184, v161
	v_add_f32_e32 v159, v159, v186
	s_waitcnt vmcnt(11)
	v_fmac_f32_e32 v190, v2, v199
	s_waitcnt vmcnt(10)
	v_fma_f32 v146, v146, v207, -v157
	v_fmac_f32_e32 v185, v147, v207
	v_add_f32_e32 v161, v161, v171
	v_add_f32_e32 v159, v159, v183
	v_mul_f32_e32 v157, v4, v170
	v_fma_f32 v1, v1, v199, -v165
	v_fmac_f32_e32 v163, v4, v188
	v_add_f32_e32 v144, v161, v144
	v_add_f32_e32 v147, v159, v187
	v_fma_f32 v3, v3, v188, -v157
	v_mul_f32_e32 v4, v151, v168
	v_fmac_f32_e32 v191, v149, v167
	v_add_f32_e32 v2, v144, v146
	v_add_f32_e32 v144, v147, v185
	v_mul_f32_e32 v146, v149, v172
	s_waitcnt vmcnt(8)
	v_fmac_f32_e32 v197, v143, v164
	s_waitcnt vmcnt(7)
	v_fmac_f32_e32 v160, v141, v174
	v_add_f32_e32 v1, v2, v1
	v_add_f32_e32 v2, v144, v190
	v_fma_f32 v144, v148, v167, -v146
	s_waitcnt vmcnt(6)
	v_fma_f32 v4, v150, v180, -v4
	v_fmac_f32_e32 v195, v151, v180
	v_add_f32_e32 v1, v1, v3
	v_add_f32_e32 v2, v2, v163
	v_mul_f32_e32 v3, v141, v189
	v_mul_f32_e32 v196, v154, v158
	v_fmac_f32_e32 v192, v153, v162
	v_add_f32_e32 v1, v1, v144
	v_add_f32_e32 v2, v2, v191
	v_mul_f32_e32 v144, v143, v193
	v_fma_f32 v3, v140, v174, -v3
	s_waitcnt lgkmcnt(1)
	v_mul_f32_e32 v198, v5, v169
	v_add_f32_e32 v1, v1, v4
	v_add_f32_e32 v2, v2, v195
	v_mul_f32_e32 v4, v153, v194
	v_fma_f32 v140, v142, v164, -v144
	v_mul_f32_e32 v184, v7, v204
	v_add_f32_e32 v1, v1, v3
	v_add_f32_e32 v2, v2, v160
	v_mul_f32_e32 v3, v155, v158
	v_fma_f32 v4, v152, v162, -v4
	s_waitcnt vmcnt(2)
	v_fmac_f32_e32 v196, v155, v181
	v_add_f32_e32 v1, v1, v140
	v_add_f32_e32 v2, v2, v197
	v_mul_f32_e32 v140, v6, v169
	v_fma_f32 v3, v154, v181, -v3
	v_fmac_f32_e32 v198, v6, v178
	v_add_f32_e32 v1, v1, v4
	v_add_f32_e32 v2, v2, v192
	v_mul_f32_e32 v4, v8, v204
	v_fma_f32 v5, v5, v178, -v140
	s_waitcnt lgkmcnt(0)
	v_mul_f32_e32 v186, v9, v205
	v_add_f32_e32 v1, v1, v3
	v_add_f32_e32 v2, v2, v196
	v_mul_f32_e32 v3, v10, v205
	v_fma_f32 v4, v7, v177, -v4
	v_fmac_f32_e32 v184, v8, v177
	v_add_f32_e32 v1, v1, v5
	v_add_f32_e32 v2, v2, v198
	v_mul_f32_e32 v5, v12, v156
	v_fma_f32 v3, v9, v176, -v3
	v_mul_f32_e32 v145, v11, v156
	v_add_f32_e32 v1, v1, v4
	v_fmac_f32_e32 v186, v10, v176
	v_add_f32_e32 v2, v2, v184
	s_waitcnt vmcnt(1)
	v_fma_f32 v4, v11, v182, -v5
	v_fmac_f32_e32 v145, v12, v182
	v_add_f32_e32 v1, v1, v3
	v_add_f32_e32 v2, v2, v186
	;; [unrolled: 1-line block ×4, first 2 shown]
	s_waitcnt vmcnt(0)
	v_sub_f32_e32 v1, v179, v1
	v_sub_f32_e32 v2, v175, v2
	buffer_store_dword v1, off, s[0:3], 0 offset:16
	buffer_store_dword v2, off, s[0:3], 0 offset:20
	v_cmpx_lt_u32_e32 1, v0
	s_cbranch_execz .LBB62_389
; %bb.388:
	s_clause 0x1
	buffer_load_dword v1, off, s[0:3], 0 offset:8
	buffer_load_dword v2, off, s[0:3], 0 offset:12
	v_mov_b32_e32 v3, 0
	buffer_store_dword v3, off, s[0:3], 0 offset:8
	buffer_store_dword v3, off, s[0:3], 0 offset:12
	s_waitcnt vmcnt(0)
	ds_write_b64 v139, v[1:2]
.LBB62_389:
	s_or_b32 exec_lo, exec_lo, s4
	s_waitcnt lgkmcnt(0)
	s_waitcnt_vscnt null, 0x0
	s_barrier
	buffer_gl0_inv
	s_clause 0x3c
	buffer_load_dword v174, off, s[0:3], 0 offset:20
	buffer_load_dword v175, off, s[0:3], 0 offset:28
	;; [unrolled: 1-line block ×61, first 2 shown]
	v_mov_b32_e32 v1, 0
	ds_read_b128 v[191:194], v1 offset:528
	ds_read_b128 v[195:198], v1 offset:544
	s_mov_b32 s4, exec_lo
	s_waitcnt vmcnt(60) lgkmcnt(1)
	v_mul_f32_e32 v186, v191, v174
	v_mul_f32_e32 v199, v192, v174
	s_waitcnt vmcnt(59)
	v_mul_f32_e32 v174, v193, v175
	v_mul_f32_e32 v200, v194, v175
	buffer_load_dword v175, off, s[0:3], 0 offset:12
	s_waitcnt vmcnt(57)
	v_fmac_f32_e32 v186, v192, v6
	v_fma_f32 v199, v191, v6, -v199
	v_fmac_f32_e32 v174, v194, v5
	v_fma_f32 v200, v193, v5, -v200
	ds_read_b128 v[191:194], v1 offset:560
	s_waitcnt vmcnt(56) lgkmcnt(1)
	v_mul_f32_e32 v201, v195, v4
	v_mul_f32_e32 v4, v196, v4
	s_waitcnt vmcnt(55)
	v_mul_f32_e32 v202, v197, v3
	v_mul_f32_e32 v3, v198, v3
	v_fmac_f32_e32 v201, v196, v2
	v_fma_f32 v195, v195, v2, -v4
	s_waitcnt vmcnt(51)
	v_fmac_f32_e32 v202, v198, v141
	v_fma_f32 v141, v197, v141, -v3
	ds_read_b128 v[2:5], v1 offset:576
	s_waitcnt vmcnt(50) lgkmcnt(1)
	v_mul_f32_e32 v196, v191, v140
	v_mul_f32_e32 v6, v192, v140
	s_waitcnt vmcnt(49)
	v_mul_f32_e32 v140, v193, v12
	v_mul_f32_e32 v12, v194, v12
	v_fmac_f32_e32 v196, v192, v11
	v_fma_f32 v11, v191, v11, -v6
	v_fmac_f32_e32 v140, v194, v8
	v_fma_f32 v12, v193, v8, -v12
	ds_read_b128 v[191:194], v1 offset:592
	s_waitcnt vmcnt(48) lgkmcnt(1)
	v_mul_f32_e32 v197, v2, v10
	v_mul_f32_e32 v6, v3, v10
	s_waitcnt vmcnt(47)
	v_mul_f32_e32 v10, v4, v9
	v_mul_f32_e32 v8, v5, v9
	v_fmac_f32_e32 v197, v3, v7
	v_fma_f32 v198, v2, v7, -v6
	s_waitcnt vmcnt(43)
	v_fmac_f32_e32 v10, v5, v149
	v_fma_f32 v149, v4, v149, -v8
	ds_read_b128 v[2:5], v1 offset:608
	s_waitcnt vmcnt(42) lgkmcnt(1)
	v_mul_f32_e32 v203, v191, v148
	v_mul_f32_e32 v6, v192, v148
	s_waitcnt vmcnt(41)
	v_mul_f32_e32 v148, v193, v147
	v_mul_f32_e32 v7, v194, v147
	v_fmac_f32_e32 v203, v192, v146
	v_fma_f32 v146, v191, v146, -v6
	v_fmac_f32_e32 v148, v194, v143
	v_fma_f32 v143, v193, v143, -v7
	ds_read_b128 v[6:9], v1 offset:624
	s_waitcnt vmcnt(40) lgkmcnt(1)
	v_mul_f32_e32 v147, v2, v145
	v_mul_f32_e32 v145, v3, v145
	s_waitcnt vmcnt(39)
	v_mul_f32_e32 v191, v4, v144
	v_mul_f32_e32 v144, v5, v144
	s_clause 0x1
	buffer_load_dword v192, off, s[0:3], 0 offset:260
	buffer_load_dword v193, off, s[0:3], 0 offset:268
	v_fmac_f32_e32 v147, v3, v142
	v_fma_f32 v142, v2, v142, -v145
	s_waitcnt vmcnt(37)
	v_fmac_f32_e32 v191, v5, v173
	v_fma_f32 v144, v4, v173, -v144
	ds_read_b128 v[2:5], v1 offset:640
	s_waitcnt vmcnt(36) lgkmcnt(1)
	v_mul_f32_e32 v145, v6, v172
	v_mul_f32_e32 v172, v7, v172
	s_waitcnt vmcnt(35)
	v_mul_f32_e32 v173, v8, v171
	v_mul_f32_e32 v171, v9, v171
	v_fmac_f32_e32 v145, v7, v166
	v_fma_f32 v166, v6, v166, -v172
	v_fmac_f32_e32 v173, v9, v161
	v_fma_f32 v161, v8, v161, -v171
	ds_read_b128 v[6:9], v1 offset:656
	s_waitcnt vmcnt(34) lgkmcnt(1)
	v_mul_f32_e32 v171, v2, v165
	v_mul_f32_e32 v165, v3, v165
	s_waitcnt vmcnt(33)
	v_mul_f32_e32 v172, v4, v163
	v_mul_f32_e32 v163, v5, v163
	v_fmac_f32_e32 v171, v3, v152
	v_fma_f32 v152, v2, v152, -v165
	s_waitcnt vmcnt(29)
	v_fmac_f32_e32 v172, v5, v170
	v_fma_f32 v163, v4, v170, -v163
	ds_read_b128 v[2:5], v1 offset:672
	s_waitcnt vmcnt(28) lgkmcnt(1)
	v_mul_f32_e32 v165, v6, v169
	v_mul_f32_e32 v169, v7, v169
	s_waitcnt vmcnt(27)
	v_mul_f32_e32 v170, v8, v168
	v_mul_f32_e32 v168, v9, v168
	v_fmac_f32_e32 v165, v7, v160
	v_fma_f32 v160, v6, v160, -v169
	v_fmac_f32_e32 v170, v9, v157
	v_fma_f32 v157, v8, v157, -v168
	ds_read_b128 v[6:9], v1 offset:688
	s_waitcnt vmcnt(26) lgkmcnt(1)
	v_mul_f32_e32 v168, v2, v159
	v_mul_f32_e32 v159, v3, v159
	s_waitcnt vmcnt(25)
	v_mul_f32_e32 v169, v4, v158
	v_mul_f32_e32 v158, v5, v158
	;; [unrolled: 23-line block ×4, first 2 shown]
	v_fmac_f32_e32 v181, v3, v176
	v_fma_f32 v176, v2, v176, -v179
	s_waitcnt vmcnt(5)
	v_fmac_f32_e32 v182, v5, v190
	v_fma_f32 v178, v4, v190, -v178
	ds_read_b128 v[2:5], v1 offset:768
	s_waitcnt vmcnt(4) lgkmcnt(1)
	v_mul_f32_e32 v179, v6, v189
	v_mul_f32_e32 v189, v7, v189
	s_waitcnt vmcnt(3)
	v_mul_f32_e32 v190, v8, v188
	v_mul_f32_e32 v188, v9, v188
	v_fmac_f32_e32 v179, v7, v187
	v_fma_f32 v187, v6, v187, -v189
	v_fmac_f32_e32 v190, v9, v185
	v_fma_f32 v185, v8, v185, -v188
	s_clause 0x5
	buffer_load_dword v188, off, s[0:3], 0 offset:288
	buffer_load_dword v189, off, s[0:3], 0 offset:280
	;; [unrolled: 1-line block ×6, first 2 shown]
	v_add_f32_e32 v7, 0, v186
	v_add_f32_e32 v8, 0, v199
	buffer_load_dword v186, off, s[0:3], 0 offset:300
	v_add_f32_e32 v7, v7, v174
	buffer_load_dword v174, off, s[0:3], 0 offset:292
	v_add_f32_e32 v8, v8, v200
	v_add_f32_e32 v7, v7, v201
	;; [unrolled: 1-line block ×5, first 2 shown]
	s_clause 0x3
	buffer_load_dword v195, off, s[0:3], 0 offset:320
	buffer_load_dword v141, off, s[0:3], 0 offset:312
	;; [unrolled: 1-line block ×4, first 2 shown]
	v_add_f32_e32 v7, v7, v196
	buffer_load_dword v196, off, s[0:3], 0 offset:308
	v_add_f32_e32 v8, v8, v11
	buffer_load_dword v11, off, s[0:3], 0 offset:316
	v_add_f32_e32 v7, v7, v140
	v_add_f32_e32 v8, v8, v12
	;; [unrolled: 1-line block ×5, first 2 shown]
	s_clause 0x1
	buffer_load_dword v10, off, s[0:3], 0 offset:324
	buffer_load_dword v12, off, s[0:3], 0 offset:332
	v_add_f32_e32 v8, v8, v149
	s_clause 0x3
	buffer_load_dword v197, off, s[0:3], 0 offset:352
	buffer_load_dword v149, off, s[0:3], 0 offset:344
	;; [unrolled: 1-line block ×4, first 2 shown]
	v_add_f32_e32 v7, v7, v203
	v_add_f32_e32 v8, v8, v146
	;; [unrolled: 1-line block ×3, first 2 shown]
	s_clause 0x2
	buffer_load_dword v148, off, s[0:3], 0 offset:340
	buffer_load_dword v202, off, s[0:3], 0 offset:348
	;; [unrolled: 1-line block ×3, first 2 shown]
	v_add_f32_e32 v8, v8, v143
	buffer_load_dword v206, off, s[0:3], 0 offset:364
	v_add_f32_e32 v7, v7, v147
	v_add_f32_e32 v8, v8, v142
	;; [unrolled: 1-line block ×8, first 2 shown]
	s_waitcnt vmcnt(25) lgkmcnt(0)
	v_mul_f32_e32 v140, v2, v192
	v_mul_f32_e32 v9, v3, v192
	s_waitcnt vmcnt(24)
	v_mul_f32_e32 v142, v4, v193
	v_mul_f32_e32 v143, v5, v193
	v_fmac_f32_e32 v140, v3, v184
	v_fma_f32 v146, v2, v184, -v9
	s_waitcnt vmcnt(20)
	v_fmac_f32_e32 v142, v5, v6
	v_fma_f32 v143, v4, v6, -v143
	ds_read_b128 v[2:5], v1 offset:784
	v_add_f32_e32 v6, v8, v166
	s_clause 0x3
	buffer_load_dword v166, off, s[0:3], 0 offset:384
	buffer_load_dword v184, off, s[0:3], 0 offset:376
	buffer_load_dword v191, off, s[0:3], 0 offset:368
	buffer_load_dword v192, off, s[0:3], 0 offset:360
	v_add_f32_e32 v6, v6, v161
	s_clause 0x2
	buffer_load_dword v161, off, s[0:3], 0 offset:372
	buffer_load_dword v171, off, s[0:3], 0 offset:380
	;; [unrolled: 1-line block ×3, first 2 shown]
	v_add_f32_e32 v6, v6, v152
	v_add_f32_e32 v145, v6, v163
	ds_read_b128 v[6:9], v1 offset:800
	s_waitcnt vmcnt(26) lgkmcnt(1)
	v_mul_f32_e32 v147, v2, v204
	v_add_f32_e32 v145, v145, v160
	v_mul_f32_e32 v152, v3, v204
	s_waitcnt vmcnt(25)
	v_mul_f32_e32 v160, v4, v205
	v_mul_f32_e32 v163, v5, v205
	v_fmac_f32_e32 v147, v3, v194
	v_add_f32_e32 v3, v144, v165
	v_add_f32_e32 v144, v145, v157
	v_fma_f32 v145, v2, v194, -v152
	v_fmac_f32_e32 v160, v5, v189
	v_fma_f32 v152, v4, v189, -v163
	v_add_f32_e32 v2, v3, v170
	v_add_f32_e32 v3, v144, v151
	s_clause 0x7
	buffer_load_dword v163, off, s[0:3], 0 offset:396
	buffer_load_dword v165, off, s[0:3], 0 offset:404
	;; [unrolled: 1-line block ×8, first 2 shown]
	v_add_f32_e32 v2, v2, v168
	v_add_f32_e32 v3, v3, v158
	s_waitcnt vmcnt(31) lgkmcnt(0)
	v_mul_f32_e32 v4, v7, v174
	v_mul_f32_e32 v151, v6, v174
	s_clause 0x1
	buffer_load_dword v168, off, s[0:3], 0 offset:428
	buffer_load_dword v205, off, s[0:3], 0 offset:436
	v_add_f32_e32 v2, v2, v169
	v_add_f32_e32 v3, v3, v156
	v_fma_f32 v156, v6, v188, -v4
	v_fmac_f32_e32 v151, v7, v188
	s_clause 0x1
	buffer_load_dword v169, off, s[0:3], 0 offset:444
	buffer_load_dword v174, off, s[0:3], 0 offset:452
	v_add_f32_e32 v2, v2, v159
	v_add_f32_e32 v3, v3, v153
	s_clause 0x3
	buffer_load_dword v188, off, s[0:3], 0 offset:460
	buffer_load_dword v207, off, s[0:3], 0 offset:468
	buffer_load_dword v208, off, s[0:3], 0 offset:476
	buffer_load_dword v209, off, s[0:3], 0 offset:484
	v_add_f32_e32 v2, v2, v167
	v_add_f32_e32 v6, v3, v150
	v_mul_f32_e32 v150, v8, v186
	v_mul_f32_e32 v3, v9, v186
	buffer_load_dword v167, off, s[0:3], 0 offset:492
	v_add_f32_e32 v7, v2, v162
	v_add_f32_e32 v6, v6, v154
	buffer_load_dword v162, off, s[0:3], 0 offset:500
	s_waitcnt vmcnt(37)
	v_fmac_f32_e32 v150, v9, v200
	v_fma_f32 v153, v8, v200, -v3
	ds_read_b128 v[2:5], v1 offset:816
	v_add_f32_e32 v7, v7, v164
	v_add_f32_e32 v6, v6, v180
	s_clause 0x3
	buffer_load_dword v164, off, s[0:3], 0 offset:448
	buffer_load_dword v180, off, s[0:3], 0 offset:440
	;; [unrolled: 1-line block ×4, first 2 shown]
	v_add_f32_e32 v7, v7, v155
	v_add_f32_e32 v6, v6, v177
	;; [unrolled: 1-line block ×4, first 2 shown]
	ds_read_b128 v[6:9], v1 offset:832
	v_add_f32_e32 v144, v144, v181
	v_add_f32_e32 v154, v154, v178
	s_clause 0x3
	buffer_load_dword v176, off, s[0:3], 0 offset:480
	buffer_load_dword v177, off, s[0:3], 0 offset:472
	;; [unrolled: 1-line block ×4, first 2 shown]
	s_waitcnt vmcnt(44) lgkmcnt(1)
	v_mul_f32_e32 v157, v3, v196
	v_mul_f32_e32 v155, v2, v196
	v_fma_f32 v157, v2, v199, -v157
	v_add_f32_e32 v2, v144, v182
	v_fmac_f32_e32 v155, v3, v199
	v_add_f32_e32 v3, v154, v187
	s_waitcnt vmcnt(43)
	v_mul_f32_e32 v154, v4, v11
	v_mul_f32_e32 v11, v5, v11
	v_add_f32_e32 v2, v2, v179
	s_clause 0x2
	buffer_load_dword v179, off, s[0:3], 0 offset:496
	buffer_load_dword v182, off, s[0:3], 0 offset:488
	buffer_load_dword v183, off, s[0:3], 0 offset:8
	v_add_f32_e32 v3, v3, v185
	v_fmac_f32_e32 v154, v5, v141
	v_add_f32_e32 v2, v2, v190
	v_fma_f32 v11, v4, v141, -v11
	s_waitcnt vmcnt(45) lgkmcnt(0)
	v_mul_f32_e32 v158, v6, v10
	v_add_f32_e32 v3, v3, v146
	v_mul_f32_e32 v10, v7, v10
	v_add_f32_e32 v140, v2, v140
	s_waitcnt vmcnt(44)
	v_mul_f32_e32 v159, v8, v12
	v_mul_f32_e32 v12, v9, v12
	v_add_f32_e32 v144, v3, v143
	ds_read_b128 v[2:5], v1 offset:848
	v_add_f32_e32 v146, v140, v142
	ds_read_b128 v[140:143], v1 offset:864
	v_fmac_f32_e32 v158, v7, v195
	v_add_f32_e32 v144, v144, v145
	v_fma_f32 v10, v6, v195, -v10
	v_add_f32_e32 v145, v146, v147
	s_waitcnt vmcnt(40)
	v_fmac_f32_e32 v159, v9, v201
	v_fma_f32 v12, v8, v201, -v12
	v_add_f32_e32 v152, v144, v152
	v_add_f32_e32 v160, v145, v160
	ds_read_b128 v[6:9], v1 offset:880
	ds_read_b128 v[144:147], v1 offset:896
	v_add_f32_e32 v152, v152, v156
	v_add_f32_e32 v151, v160, v151
	;; [unrolled: 1-line block ×3, first 2 shown]
	s_waitcnt vmcnt(39) lgkmcnt(3)
	v_mul_f32_e32 v156, v2, v148
	v_add_f32_e32 v150, v151, v150
	s_waitcnt vmcnt(36) lgkmcnt(2)
	v_mul_f32_e32 v190, v142, v206
	v_mul_f32_e32 v187, v140, v203
	v_add_f32_e32 v152, v152, v157
	v_mul_f32_e32 v157, v143, v206
	v_add_f32_e32 v155, v150, v155
	v_mul_f32_e32 v153, v141, v203
	v_mul_f32_e32 v148, v3, v148
	v_add_f32_e32 v11, v152, v11
	v_fmac_f32_e32 v187, v141, v197
	v_mul_f32_e32 v185, v5, v202
	v_fma_f32 v196, v140, v197, -v153
	v_fma_f32 v195, v2, v198, -v148
	v_add_f32_e32 v10, v11, v10
	v_mul_f32_e32 v160, v4, v202
	v_fmac_f32_e32 v156, v3, v198
	v_fma_f32 v185, v4, v149, -v185
	v_fmac_f32_e32 v160, v5, v149
	ds_read_b128 v[2:5], v1 offset:912
	ds_read_b128 v[148:151], v1 offset:928
	s_waitcnt vmcnt(32)
	v_fmac_f32_e32 v190, v143, v192
	v_fma_f32 v192, v142, v192, -v157
	v_add_f32_e32 v157, v155, v154
	s_waitcnt vmcnt(31) lgkmcnt(3)
	v_mul_f32_e32 v197, v6, v161
	s_waitcnt vmcnt(30)
	v_mul_f32_e32 v198, v8, v171
	ds_read_b128 v[140:143], v1 offset:944
	ds_read_b128 v[152:155], v1 offset:960
	v_add_f32_e32 v11, v157, v158
	v_mul_f32_e32 v157, v7, v161
	v_fmac_f32_e32 v197, v7, v191
	v_add_f32_e32 v7, v10, v12
	v_mul_f32_e32 v158, v9, v171
	v_add_f32_e32 v10, v11, v159
	v_fmac_f32_e32 v198, v9, v184
	v_fma_f32 v12, v6, v191, -v157
	v_add_f32_e32 v171, v7, v195
	v_fma_f32 v161, v8, v184, -v158
	v_add_f32_e32 v184, v10, v156
	ds_read_b128 v[6:9], v1 offset:976
	ds_read_b128 v[156:159], v1 offset:992
	ds_read_b64 v[10:11], v1 offset:1008
	v_add_f32_e32 v171, v171, v185
	s_waitcnt vmcnt(29) lgkmcnt(7)
	v_mul_f32_e32 v185, v144, v173
	v_add_f32_e32 v160, v184, v160
	v_mul_f32_e32 v173, v145, v173
	s_waitcnt vmcnt(28)
	v_mul_f32_e32 v184, v146, v163
	v_add_f32_e32 v171, v171, v196
	v_fmac_f32_e32 v185, v145, v166
	v_add_f32_e32 v160, v160, v187
	v_fma_f32 v144, v144, v166, -v173
	v_mul_f32_e32 v163, v147, v163
	v_add_f32_e32 v166, v171, v192
	s_waitcnt vmcnt(27) lgkmcnt(6)
	v_mul_f32_e32 v191, v2, v165
	v_add_f32_e32 v160, v160, v190
	v_mul_f32_e32 v165, v3, v165
	s_waitcnt vmcnt(21)
	v_fma_f32 v146, v146, v204, -v163
	v_add_f32_e32 v12, v166, v12
	v_fmac_f32_e32 v184, v147, v204
	v_add_f32_e32 v160, v160, v197
	v_fmac_f32_e32 v191, v3, v194
	v_fma_f32 v2, v2, v194, -v165
	v_add_f32_e32 v12, v12, v161
	v_mul_f32_e32 v161, v5, v170
	v_add_f32_e32 v160, v160, v198
	v_mul_f32_e32 v187, v4, v170
	s_waitcnt lgkmcnt(5)
	v_mul_f32_e32 v145, v148, v172
	v_add_f32_e32 v12, v12, v144
	v_fma_f32 v4, v4, v193, -v161
	v_add_f32_e32 v144, v160, v185
	v_fmac_f32_e32 v187, v5, v193
	s_waitcnt vmcnt(20)
	v_mul_f32_e32 v5, v151, v168
	v_add_f32_e32 v3, v12, v146
	v_mul_f32_e32 v171, v150, v168
	v_add_f32_e32 v12, v144, v184
	v_mul_f32_e32 v144, v149, v172
	v_fmac_f32_e32 v145, v149, v189
	v_add_f32_e32 v2, v3, v2
	s_waitcnt vmcnt(19) lgkmcnt(4)
	v_mul_f32_e32 v173, v140, v205
	v_add_f32_e32 v3, v12, v191
	v_fma_f32 v12, v148, v189, -v144
	s_waitcnt vmcnt(18)
	v_mul_f32_e32 v147, v142, v169
	v_add_f32_e32 v2, v2, v4
	v_mul_f32_e32 v4, v141, v205
	v_add_f32_e32 v3, v3, v187
	s_waitcnt vmcnt(7)
	v_fma_f32 v5, v150, v200, -v5
	v_fmac_f32_e32 v171, v151, v200
	v_add_f32_e32 v2, v2, v12
	v_mul_f32_e32 v12, v143, v169
	v_add_f32_e32 v3, v3, v145
	v_fma_f32 v4, v140, v186, -v4
	v_fmac_f32_e32 v173, v141, v186
	v_add_f32_e32 v2, v2, v5
	s_waitcnt lgkmcnt(3)
	v_mul_f32_e32 v5, v153, v174
	v_add_f32_e32 v3, v3, v171
	v_fma_f32 v12, v142, v180, -v12
	v_mul_f32_e32 v163, v152, v174
	v_add_f32_e32 v2, v2, v4
	v_fmac_f32_e32 v147, v143, v180
	v_add_f32_e32 v3, v3, v173
	v_mul_f32_e32 v4, v155, v188
	v_fma_f32 v5, v152, v164, -v5
	v_add_f32_e32 v2, v2, v12
	v_mul_f32_e32 v166, v154, v188
	v_fmac_f32_e32 v163, v153, v164
	v_add_f32_e32 v3, v3, v147
	s_waitcnt lgkmcnt(2)
	v_mul_f32_e32 v12, v7, v207
	s_waitcnt vmcnt(3)
	v_fma_f32 v4, v154, v181, -v4
	v_add_f32_e32 v2, v2, v5
	v_mul_f32_e32 v190, v6, v207
	v_fmac_f32_e32 v166, v155, v181
	v_add_f32_e32 v3, v3, v163
	v_mul_f32_e32 v5, v9, v208
	v_fma_f32 v6, v6, v178, -v12
	v_add_f32_e32 v2, v2, v4
	v_mul_f32_e32 v192, v8, v208
	v_fmac_f32_e32 v190, v7, v178
	v_add_f32_e32 v3, v3, v166
	s_waitcnt lgkmcnt(1)
	v_mul_f32_e32 v4, v157, v209
	v_fma_f32 v5, v8, v177, -v5
	v_add_f32_e32 v2, v2, v6
	v_mul_f32_e32 v170, v156, v209
	v_fmac_f32_e32 v192, v9, v177
	v_add_f32_e32 v3, v3, v190
	v_mul_f32_e32 v6, v159, v167
	v_fma_f32 v4, v156, v176, -v4
	v_add_f32_e32 v2, v2, v5
	v_mul_f32_e32 v195, v158, v167
	v_fmac_f32_e32 v170, v157, v176
	v_add_f32_e32 v3, v3, v192
	s_waitcnt lgkmcnt(0)
	v_mul_f32_e32 v5, v11, v162
	s_waitcnt vmcnt(1)
	v_fma_f32 v6, v158, v182, -v6
	v_add_f32_e32 v2, v2, v4
	v_mul_f32_e32 v160, v10, v162
	v_fmac_f32_e32 v195, v159, v182
	v_add_f32_e32 v3, v3, v170
	v_fma_f32 v4, v10, v179, -v5
	v_add_f32_e32 v2, v2, v6
	v_fmac_f32_e32 v160, v11, v179
	v_add_f32_e32 v3, v3, v195
	v_add_f32_e32 v2, v2, v4
	;; [unrolled: 1-line block ×3, first 2 shown]
	s_waitcnt vmcnt(0)
	v_sub_f32_e32 v2, v183, v2
	v_sub_f32_e32 v3, v175, v3
	buffer_store_dword v2, off, s[0:3], 0 offset:8
	buffer_store_dword v3, off, s[0:3], 0 offset:12
	v_cmpx_ne_u32_e32 0, v0
	s_cbranch_execz .LBB62_391
; %bb.390:
	s_clause 0x1
	buffer_load_dword v2, off, s[0:3], 0
	buffer_load_dword v3, off, s[0:3], 0 offset:4
	buffer_store_dword v1, off, s[0:3], 0
	buffer_store_dword v1, off, s[0:3], 0 offset:4
	s_waitcnt vmcnt(0)
	ds_write_b64 v139, v[2:3]
.LBB62_391:
	s_or_b32 exec_lo, exec_lo, s4
	s_waitcnt lgkmcnt(0)
	s_waitcnt_vscnt null, 0x0
	s_barrier
	buffer_gl0_inv
	s_clause 0x3c
	buffer_load_dword v173, off, s[0:3], 0 offset:12
	buffer_load_dword v0, off, s[0:3], 0 offset:24
	buffer_load_dword v3, off, s[0:3], 0 offset:16
	buffer_load_dword v6, off, s[0:3], 0 offset:8
	buffer_load_dword v5, off, s[0:3], 0 offset:20
	buffer_load_dword v4, off, s[0:3], 0 offset:28
	buffer_load_dword v2, off, s[0:3], 0 offset:36
	buffer_load_dword v7, off, s[0:3], 0 offset:56
	buffer_load_dword v9, off, s[0:3], 0 offset:48
	buffer_load_dword v11, off, s[0:3], 0 offset:40
	buffer_load_dword v140, off, s[0:3], 0 offset:32
	buffer_load_dword v139, off, s[0:3], 0 offset:44
	buffer_load_dword v12, off, s[0:3], 0 offset:52
	buffer_load_dword v10, off, s[0:3], 0 offset:60
	buffer_load_dword v8, off, s[0:3], 0 offset:68
	buffer_load_dword v141, off, s[0:3], 0 offset:88
	buffer_load_dword v143, off, s[0:3], 0 offset:80
	buffer_load_dword v145, off, s[0:3], 0 offset:72
	buffer_load_dword v148, off, s[0:3], 0 offset:64
	buffer_load_dword v147, off, s[0:3], 0 offset:76
	buffer_load_dword v146, off, s[0:3], 0 offset:84
	buffer_load_dword v144, off, s[0:3], 0 offset:92
	buffer_load_dword v142, off, s[0:3], 0 offset:100
	buffer_load_dword v153, off, s[0:3], 0 offset:120
	buffer_load_dword v161, off, s[0:3], 0 offset:112
	buffer_load_dword v167, off, s[0:3], 0 offset:104
	buffer_load_dword v172, off, s[0:3], 0 offset:96
	buffer_load_dword v171, off, s[0:3], 0 offset:108
	buffer_load_dword v168, off, s[0:3], 0 offset:116
	buffer_load_dword v165, off, s[0:3], 0 offset:124
	buffer_load_dword v159, off, s[0:3], 0 offset:132
	buffer_load_dword v150, off, s[0:3], 0 offset:152
	buffer_load_dword v156, off, s[0:3], 0 offset:144
	buffer_load_dword v162, off, s[0:3], 0 offset:136
	buffer_load_dword v170, off, s[0:3], 0 offset:128
	buffer_load_dword v169, off, s[0:3], 0 offset:140
	buffer_load_dword v163, off, s[0:3], 0 offset:148
	buffer_load_dword v160, off, s[0:3], 0 offset:156
	buffer_load_dword v154, off, s[0:3], 0 offset:164
	buffer_load_dword v149, off, s[0:3], 0 offset:184
	buffer_load_dword v152, off, s[0:3], 0 offset:176
	buffer_load_dword v157, off, s[0:3], 0 offset:168
	buffer_load_dword v166, off, s[0:3], 0 offset:160
	buffer_load_dword v164, off, s[0:3], 0 offset:172
	buffer_load_dword v158, off, s[0:3], 0 offset:180
	buffer_load_dword v155, off, s[0:3], 0 offset:188
	buffer_load_dword v151, off, s[0:3], 0 offset:196
	buffer_load_dword v174, off, s[0:3], 0 offset:216
	buffer_load_dword v175, off, s[0:3], 0 offset:208
	buffer_load_dword v178, off, s[0:3], 0 offset:200
	buffer_load_dword v181, off, s[0:3], 0 offset:192
	buffer_load_dword v180, off, s[0:3], 0 offset:204
	buffer_load_dword v179, off, s[0:3], 0 offset:212
	buffer_load_dword v177, off, s[0:3], 0 offset:220
	buffer_load_dword v176, off, s[0:3], 0 offset:228
	buffer_load_dword v183, off, s[0:3], 0 offset:248
	buffer_load_dword v184, off, s[0:3], 0 offset:240
	buffer_load_dword v185, off, s[0:3], 0 offset:232
	buffer_load_dword v188, off, s[0:3], 0 offset:224
	buffer_load_dword v187, off, s[0:3], 0 offset:236
	buffer_load_dword v186, off, s[0:3], 0 offset:244
	ds_read2_b64 v[189:192], v1 offset0:65 offset1:66
	ds_read2_b64 v[193:196], v1 offset0:67 offset1:68
	;; [unrolled: 1-line block ×3, first 2 shown]
	s_and_b32 vcc_lo, exec_lo, s22
	s_waitcnt vmcnt(60) lgkmcnt(2)
	v_mul_f32_e32 v182, v189, v173
	v_mul_f32_e32 v201, v190, v173
	buffer_load_dword v173, off, s[0:3], 0 offset:4
	s_waitcnt vmcnt(57)
	v_mul_f32_e32 v202, v191, v5
	v_mul_f32_e32 v5, v192, v5
	v_fmac_f32_e32 v182, v190, v6
	v_fma_f32 v201, v189, v6, -v201
	s_waitcnt vmcnt(56) lgkmcnt(1)
	v_mul_f32_e32 v204, v193, v4
	v_fmac_f32_e32 v202, v192, v3
	v_fma_f32 v203, v191, v3, -v5
	v_mul_f32_e32 v189, v194, v4
	ds_read2_b64 v[3:6], v1 offset0:71 offset1:72
	v_fmac_f32_e32 v204, v194, v0
	v_fma_f32 v0, v193, v0, -v189
	s_waitcnt vmcnt(55)
	v_mul_f32_e32 v193, v195, v2
	v_mul_f32_e32 v2, v196, v2
	ds_read2_b64 v[189:192], v1 offset0:73 offset1:74
	s_waitcnt vmcnt(51)
	v_fmac_f32_e32 v193, v196, v140
	v_fma_f32 v194, v195, v140, -v2
	s_waitcnt vmcnt(50) lgkmcnt(2)
	v_mul_f32_e32 v2, v198, v139
	v_mul_f32_e32 v195, v197, v139
	v_fma_f32 v196, v197, v11, -v2
	s_waitcnt vmcnt(49)
	v_mul_f32_e32 v197, v199, v12
	v_mul_f32_e32 v2, v200, v12
	v_fmac_f32_e32 v195, v198, v11
	s_waitcnt vmcnt(47) lgkmcnt(1)
	v_mul_f32_e32 v205, v5, v8
	v_fmac_f32_e32 v197, v200, v9
	v_fma_f32 v198, v199, v9, -v2
	v_mul_f32_e32 v199, v3, v10
	v_mul_f32_e32 v2, v4, v10
	ds_read2_b64 v[9:12], v1 offset0:75 offset1:76
	s_waitcnt vmcnt(43)
	v_fmac_f32_e32 v205, v6, v148
	s_waitcnt vmcnt(42) lgkmcnt(1)
	v_mul_f32_e32 v206, v189, v147
	v_fmac_f32_e32 v199, v4, v7
	v_fma_f32 v200, v3, v7, -v2
	v_mul_f32_e32 v2, v6, v8
	v_mul_f32_e32 v6, v190, v147
	v_fmac_f32_e32 v206, v190, v145
	v_fma_f32 v148, v5, v148, -v2
	ds_read2_b64 v[2:5], v1 offset0:77 offset1:78
	v_fma_f32 v147, v189, v145, -v6
	s_waitcnt vmcnt(41)
	v_mul_f32_e32 v6, v192, v146
	v_mul_f32_e32 v189, v191, v146
	v_fma_f32 v190, v191, v143, -v6
	v_fmac_f32_e32 v189, v192, v143
	s_waitcnt vmcnt(40) lgkmcnt(1)
	v_mul_f32_e32 v191, v9, v144
	v_mul_f32_e32 v6, v10, v144
	ds_read2_b64 v[143:146], v1 offset0:79 offset1:80
	s_waitcnt vmcnt(39)
	v_mul_f32_e32 v192, v11, v142
	v_fmac_f32_e32 v191, v10, v141
	v_fma_f32 v10, v9, v141, -v6
	v_mul_f32_e32 v6, v12, v142
	s_waitcnt vmcnt(35)
	v_fmac_f32_e32 v192, v12, v172
	s_waitcnt vmcnt(34) lgkmcnt(1)
	v_mul_f32_e32 v12, v2, v171
	v_fma_f32 v11, v11, v172, -v6
	ds_read2_b64 v[6:9], v1 offset0:81 offset1:82
	v_mul_f32_e32 v139, v3, v171
	s_waitcnt vmcnt(33)
	v_mul_f32_e32 v171, v4, v168
	v_fmac_f32_e32 v12, v3, v167
	v_fma_f32 v167, v2, v167, -v139
	v_mul_f32_e32 v2, v5, v168
	v_fmac_f32_e32 v171, v5, v161
	s_waitcnt vmcnt(32) lgkmcnt(1)
	v_mul_f32_e32 v168, v143, v165
	v_mul_f32_e32 v139, v144, v165
	v_fma_f32 v161, v4, v161, -v2
	ds_read2_b64 v[2:5], v1 offset0:83 offset1:84
	v_fmac_f32_e32 v168, v144, v153
	v_fma_f32 v143, v143, v153, -v139
	s_waitcnt vmcnt(31)
	v_mul_f32_e32 v144, v145, v159
	v_mul_f32_e32 v139, v146, v159
	s_waitcnt vmcnt(26) lgkmcnt(1)
	v_mul_f32_e32 v153, v7, v169
	v_fmac_f32_e32 v144, v146, v170
	v_fma_f32 v145, v145, v170, -v139
	v_mul_f32_e32 v146, v6, v169
	ds_read2_b64 v[139:142], v1 offset0:85 offset1:86
	v_fma_f32 v153, v6, v162, -v153
	s_waitcnt vmcnt(25)
	v_mul_f32_e32 v159, v8, v163
	v_mul_f32_e32 v6, v9, v163
	v_fmac_f32_e32 v146, v7, v162
	v_fmac_f32_e32 v159, v9, v156
	v_fma_f32 v156, v8, v156, -v6
	ds_read2_b64 v[6:9], v1 offset0:87 offset1:88
	s_waitcnt vmcnt(24) lgkmcnt(2)
	v_mul_f32_e32 v162, v2, v160
	v_mul_f32_e32 v160, v3, v160
	v_fmac_f32_e32 v162, v3, v150
	v_fma_f32 v150, v2, v150, -v160
	s_waitcnt vmcnt(23)
	v_mul_f32_e32 v160, v4, v154
	v_mul_f32_e32 v2, v5, v154
	s_waitcnt vmcnt(18) lgkmcnt(1)
	v_mul_f32_e32 v163, v139, v164
	v_mul_f32_e32 v164, v140, v164
	v_fmac_f32_e32 v160, v5, v166
	v_fma_f32 v154, v4, v166, -v2
	ds_read2_b64 v[2:5], v1 offset0:89 offset1:90
	v_fmac_f32_e32 v163, v140, v157
	v_fma_f32 v157, v139, v157, -v164
	s_waitcnt vmcnt(17)
	v_mul_f32_e32 v164, v141, v158
	v_mul_f32_e32 v139, v142, v158
	s_waitcnt vmcnt(16) lgkmcnt(1)
	v_mul_f32_e32 v158, v6, v155
	v_mul_f32_e32 v155, v7, v155
	v_fmac_f32_e32 v164, v142, v152
	v_fma_f32 v152, v141, v152, -v139
	ds_read2_b64 v[139:142], v1 offset0:91 offset1:92
	v_fmac_f32_e32 v158, v7, v149
	v_fma_f32 v149, v6, v149, -v155
	s_waitcnt vmcnt(15)
	v_mul_f32_e32 v155, v8, v151
	v_mul_f32_e32 v6, v9, v151
	s_waitcnt vmcnt(11)
	v_fmac_f32_e32 v155, v9, v181
	v_fma_f32 v151, v8, v181, -v6
	ds_read2_b64 v[6:9], v1 offset0:93 offset1:94
	s_waitcnt vmcnt(10) lgkmcnt(2)
	v_mul_f32_e32 v166, v3, v180
	v_mul_f32_e32 v165, v2, v180
	s_waitcnt vmcnt(9)
	v_mul_f32_e32 v169, v4, v179
	v_fma_f32 v166, v2, v178, -v166
	v_mul_f32_e32 v2, v5, v179
	v_fmac_f32_e32 v165, v3, v178
	v_fmac_f32_e32 v169, v5, v175
	s_waitcnt vmcnt(8) lgkmcnt(1)
	v_mul_f32_e32 v172, v139, v177
	s_waitcnt vmcnt(7)
	v_mul_f32_e32 v3, v142, v176
	v_fma_f32 v170, v4, v175, -v2
	v_mul_f32_e32 v2, v140, v177
	v_mul_f32_e32 v175, v141, v176
	s_clause 0x1
	buffer_load_dword v176, off, s[0:3], 0 offset:252
	buffer_load_dword v178, off, s[0:3], 0 offset:260
	v_fmac_f32_e32 v172, v140, v174
	v_fma_f32 v139, v139, v174, -v2
	s_waitcnt vmcnt(5)
	v_fmac_f32_e32 v175, v142, v188
	v_fma_f32 v140, v141, v188, -v3
	ds_read2_b64 v[2:5], v1 offset0:95 offset1:96
	s_waitcnt vmcnt(4) lgkmcnt(1)
	v_mul_f32_e32 v142, v7, v187
	s_waitcnt vmcnt(3)
	v_mul_f32_e32 v174, v8, v186
	v_mul_f32_e32 v177, v9, v186
	;; [unrolled: 1-line block ×3, first 2 shown]
	v_fma_f32 v142, v6, v185, -v142
	v_fmac_f32_e32 v174, v9, v184
	v_fma_f32 v177, v8, v184, -v177
	s_clause 0x4
	buffer_load_dword v179, off, s[0:3], 0 offset:280
	buffer_load_dword v180, off, s[0:3], 0 offset:272
	;; [unrolled: 1-line block ×5, first 2 shown]
	v_fmac_f32_e32 v141, v7, v185
	s_waitcnt vmcnt(6) lgkmcnt(0)
	v_mul_f32_e32 v185, v2, v176
	v_mul_f32_e32 v7, v3, v176
	s_waitcnt vmcnt(5)
	v_mul_f32_e32 v176, v4, v178
	v_mul_f32_e32 v8, v5, v178
	v_fmac_f32_e32 v185, v3, v183
	v_fma_f32 v178, v2, v183, -v7
	s_waitcnt vmcnt(1)
	v_fmac_f32_e32 v176, v5, v6
	v_fma_f32 v183, v4, v6, -v8
	ds_read2_b64 v[2:5], v1 offset0:97 offset1:98
	ds_read2_b64 v[6:9], v1 offset0:99 offset1:100
	s_waitcnt vmcnt(0) lgkmcnt(1)
	v_mul_f32_e32 v186, v2, v184
	v_mul_f32_e32 v184, v3, v184
	v_fmac_f32_e32 v186, v3, v181
	v_fma_f32 v181, v2, v181, -v184
	buffer_load_dword v2, off, s[0:3], 0 offset:276
	s_waitcnt vmcnt(0)
	v_mul_f32_e32 v184, v4, v2
	v_mul_f32_e32 v2, v5, v2
	v_fmac_f32_e32 v184, v5, v180
	v_fma_f32 v180, v4, v180, -v2
	buffer_load_dword v2, off, s[0:3], 0 offset:284
	s_waitcnt vmcnt(0) lgkmcnt(0)
	v_mul_f32_e32 v187, v6, v2
	v_mul_f32_e32 v2, v7, v2
	v_fmac_f32_e32 v187, v7, v179
	v_fma_f32 v179, v6, v179, -v2
	s_clause 0x5
	buffer_load_dword v2, off, s[0:3], 0 offset:292
	buffer_load_dword v188, off, s[0:3], 0 offset:312
	;; [unrolled: 1-line block ×6, first 2 shown]
	s_waitcnt vmcnt(5)
	v_mul_f32_e32 v209, v8, v2
	v_mul_f32_e32 v2, v9, v2
	s_waitcnt vmcnt(1)
	v_fmac_f32_e32 v209, v9, v3
	v_fma_f32 v210, v8, v3, -v2
	ds_read2_b64 v[2:5], v1 offset0:101 offset1:102
	ds_read2_b64 v[6:9], v1 offset0:103 offset1:104
	s_waitcnt vmcnt(0) lgkmcnt(1)
	v_mul_f32_e32 v212, v2, v211
	v_mul_f32_e32 v211, v3, v211
	v_fmac_f32_e32 v212, v3, v208
	v_fma_f32 v208, v2, v208, -v211
	buffer_load_dword v2, off, s[0:3], 0 offset:308
	v_add_f32_e32 v3, 0, v201
	v_add_f32_e32 v3, v3, v203
	;; [unrolled: 1-line block ×3, first 2 shown]
	buffer_load_dword v3, off, s[0:3], 0 offset:316
	v_add_f32_e32 v0, v0, v194
	v_add_f32_e32 v0, v0, v196
	;; [unrolled: 1-line block ×34, first 2 shown]
	s_waitcnt vmcnt(1)
	v_mul_f32_e32 v211, v4, v2
	v_mul_f32_e32 v2, v5, v2
	v_fmac_f32_e32 v211, v5, v207
	v_fma_f32 v207, v4, v207, -v2
	v_add_f32_e32 v2, 0, v182
	buffer_load_dword v182, off, s[0:3], 0 offset:324
	v_add_f32_e32 v0, v0, v207
	v_add_f32_e32 v2, v2, v202
	;; [unrolled: 1-line block ×5, first 2 shown]
	s_clause 0x4
	buffer_load_dword v193, off, s[0:3], 0 offset:344
	buffer_load_dword v194, off, s[0:3], 0 offset:336
	;; [unrolled: 1-line block ×5, first 2 shown]
	v_add_f32_e32 v2, v2, v197
	s_clause 0x1
	buffer_load_dword v147, off, s[0:3], 0 offset:340
	buffer_load_dword v197, off, s[0:3], 0 offset:348
	v_add_f32_e32 v2, v2, v199
	v_add_f32_e32 v2, v2, v205
	;; [unrolled: 1-line block ×4, first 2 shown]
	s_clause 0x1
	buffer_load_dword v189, off, s[0:3], 0 offset:356
	buffer_load_dword v190, off, s[0:3], 0 offset:364
	v_add_f32_e32 v2, v2, v191
	v_add_f32_e32 v2, v2, v192
	s_clause 0x3
	buffer_load_dword v10, off, s[0:3], 0 offset:376
	buffer_load_dword v11, off, s[0:3], 0 offset:368
	;; [unrolled: 1-line block ×4, first 2 shown]
	v_add_f32_e32 v2, v2, v12
	s_clause 0x2
	buffer_load_dword v12, off, s[0:3], 0 offset:372
	buffer_load_dword v161, off, s[0:3], 0 offset:380
	;; [unrolled: 1-line block ×3, first 2 shown]
	v_add_f32_e32 v2, v2, v171
	v_add_f32_e32 v2, v2, v168
	s_clause 0x5
	buffer_load_dword v168, off, s[0:3], 0 offset:408
	buffer_load_dword v171, off, s[0:3], 0 offset:400
	;; [unrolled: 1-line block ×6, first 2 shown]
	v_add_f32_e32 v2, v2, v144
	v_add_f32_e32 v2, v2, v146
	;; [unrolled: 1-line block ×3, first 2 shown]
	buffer_load_dword v159, off, s[0:3], 0 offset:404
	v_add_f32_e32 v2, v2, v162
	s_clause 0x2
	buffer_load_dword v162, off, s[0:3], 0 offset:420
	buffer_load_dword v202, off, s[0:3], 0 offset:428
	buffer_load_dword v203, off, s[0:3], 0 offset:436
	v_add_f32_e32 v2, v2, v160
	s_clause 0x2
	buffer_load_dword v160, off, s[0:3], 0 offset:444
	buffer_load_dword v204, off, s[0:3], 0 offset:452
	;; [unrolled: 5-line block ×3, first 2 shown]
	buffer_load_dword v213, off, s[0:3], 0 offset:484
	buffer_load_dword v214, off, s[0:3], 0 offset:500
	v_add_f32_e32 v2, v2, v164
	s_clause 0x4
	buffer_load_dword v164, off, s[0:3], 0 offset:492
	buffer_load_dword v166, off, s[0:3], 0 offset:440
	;; [unrolled: 1-line block ×5, first 2 shown]
	v_add_f32_e32 v2, v2, v158
	v_add_f32_e32 v2, v2, v155
	s_waitcnt vmcnt(39) lgkmcnt(0)
	v_mul_f32_e32 v155, v6, v3
	v_mul_f32_e32 v3, v7, v3
	v_add_f32_e32 v2, v2, v165
	v_fmac_f32_e32 v155, v7, v188
	v_fma_f32 v151, v6, v188, -v3
	v_add_f32_e32 v2, v2, v169
	s_clause 0x3
	buffer_load_dword v165, off, s[0:3], 0 offset:472
	buffer_load_dword v169, off, s[0:3], 0 offset:464
	;; [unrolled: 1-line block ×4, first 2 shown]
	v_add_f32_e32 v0, v0, v151
	v_add_f32_e32 v2, v2, v172
	;; [unrolled: 1-line block ×3, first 2 shown]
	s_clause 0x3
	buffer_load_dword v172, off, s[0:3], 0 offset:496
	buffer_load_dword v175, off, s[0:3], 0 offset:488
	;; [unrolled: 1-line block ×3, first 2 shown]
	buffer_load_dword v220, off, s[0:3], 0
	v_add_f32_e32 v2, v2, v141
	v_add_f32_e32 v6, v2, v174
	ds_read2_b64 v[2:5], v1 offset0:105 offset1:106
	v_add_f32_e32 v139, v6, v185
	v_add_f32_e32 v143, v139, v176
	ds_read2_b64 v[139:142], v1 offset0:109 offset1:110
	v_add_f32_e32 v143, v143, v186
	s_waitcnt vmcnt(46)
	v_mul_f32_e32 v156, v8, v182
	v_mul_f32_e32 v6, v9, v182
	s_waitcnt vmcnt(42)
	v_fmac_f32_e32 v156, v9, v196
	v_fma_f32 v157, v8, v196, -v6
	ds_read2_b64 v[6:9], v1 offset0:107 offset1:108
	s_waitcnt vmcnt(41) lgkmcnt(2)
	v_mul_f32_e32 v158, v2, v148
	v_mul_f32_e32 v144, v3, v148
	v_add_f32_e32 v148, v143, v184
	s_waitcnt vmcnt(40)
	v_mul_f32_e32 v176, v4, v147
	v_add_f32_e32 v0, v0, v157
	v_fmac_f32_e32 v158, v3, v195
	v_fma_f32 v174, v2, v195, -v144
	v_add_f32_e32 v2, v148, v187
	v_mul_f32_e32 v3, v5, v147
	ds_read2_b64 v[143:146], v1 offset0:111 offset1:112
	v_fmac_f32_e32 v176, v5, v194
	v_add_f32_e32 v0, v0, v174
	v_add_f32_e32 v2, v2, v209
	v_fma_f32 v180, v4, v194, -v3
	v_add_f32_e32 v0, v0, v180
	s_waitcnt vmcnt(39) lgkmcnt(1)
	v_mul_f32_e32 v147, v7, v197
	v_mul_f32_e32 v177, v6, v197
	s_waitcnt vmcnt(38)
	v_mul_f32_e32 v178, v8, v189
	s_waitcnt vmcnt(37)
	v_mul_f32_e32 v179, v139, v190
	v_mul_f32_e32 v152, v9, v189
	v_fma_f32 v181, v6, v193, -v147
	v_add_f32_e32 v6, v2, v212
	v_fmac_f32_e32 v177, v7, v193
	v_mul_f32_e32 v7, v140, v190
	ds_read2_b64 v[2:5], v1 offset0:113 offset1:114
	ds_read2_b64 v[147:150], v1 offset0:115 offset1:116
	v_add_f32_e32 v0, v0, v181
	s_waitcnt vmcnt(34)
	v_fmac_f32_e32 v179, v140, v191
	v_add_f32_e32 v140, v6, v211
	v_fma_f32 v183, v139, v191, -v7
	s_waitcnt vmcnt(33)
	v_fmac_f32_e32 v178, v9, v192
	v_fma_f32 v182, v8, v192, -v152
	ds_read2_b64 v[6:9], v1 offset0:117 offset1:118
	ds_read2_b64 v[151:154], v1 offset0:119 offset1:120
	v_add_f32_e32 v139, v140, v155
	s_waitcnt vmcnt(32)
	v_mul_f32_e32 v184, v141, v12
	v_mul_f32_e32 v12, v142, v12
	s_waitcnt vmcnt(31) lgkmcnt(4)
	v_mul_f32_e32 v185, v143, v161
	s_waitcnt vmcnt(30)
	v_mul_f32_e32 v186, v145, v167
	v_add_f32_e32 v139, v139, v156
	v_mul_f32_e32 v140, v144, v161
	v_mul_f32_e32 v161, v146, v167
	v_fmac_f32_e32 v184, v142, v11
	v_fma_f32 v11, v141, v11, -v12
	v_add_f32_e32 v12, v139, v158
	v_fmac_f32_e32 v185, v144, v10
	v_fma_f32 v10, v143, v10, -v140
	ds_read2_b64 v[139:142], v1 offset0:121 offset1:122
	ds_read2_b64 v[155:158], v1 offset0:123 offset1:124
	s_waitcnt vmcnt(26)
	v_fmac_f32_e32 v186, v146, v199
	v_fma_f32 v161, v145, v199, -v161
	ds_read2_b64 v[143:146], v1 offset0:125 offset1:126
	v_add_f32_e32 v1, v12, v176
	v_add_f32_e32 v0, v0, v182
	s_waitcnt vmcnt(25) lgkmcnt(6)
	v_mul_f32_e32 v167, v3, v200
	v_mul_f32_e32 v12, v2, v200
	s_waitcnt vmcnt(24) lgkmcnt(5)
	v_mul_f32_e32 v176, v147, v201
	v_add_f32_e32 v1, v1, v177
	v_add_f32_e32 v0, v0, v183
	v_fma_f32 v2, v2, v198, -v167
	s_waitcnt vmcnt(23)
	v_mul_f32_e32 v174, v4, v159
	v_mul_f32_e32 v159, v5, v159
	v_add_f32_e32 v1, v1, v178
	v_add_f32_e32 v0, v0, v11
	v_fmac_f32_e32 v12, v3, v198
	v_mul_f32_e32 v3, v148, v201
	v_fma_f32 v4, v4, v171, -v159
	v_add_f32_e32 v1, v1, v179
	v_add_f32_e32 v0, v0, v10
	v_fmac_f32_e32 v174, v5, v171
	v_fma_f32 v3, v147, v168, -v3
	s_waitcnt vmcnt(22)
	v_mul_f32_e32 v177, v149, v162
	v_add_f32_e32 v1, v1, v184
	v_add_f32_e32 v0, v0, v161
	v_fmac_f32_e32 v176, v148, v168
	s_waitcnt vmcnt(21) lgkmcnt(4)
	v_mul_f32_e32 v178, v6, v202
	s_waitcnt vmcnt(20)
	v_mul_f32_e32 v180, v8, v203
	v_add_f32_e32 v1, v1, v185
	v_add_f32_e32 v0, v0, v2
	v_mul_f32_e32 v2, v150, v162
	s_waitcnt vmcnt(9)
	v_fmac_f32_e32 v178, v7, v216
	s_waitcnt vmcnt(8)
	v_fmac_f32_e32 v177, v150, v217
	v_add_f32_e32 v1, v1, v186
	v_add_f32_e32 v0, v0, v4
	v_mul_f32_e32 v4, v7, v202
	v_fma_f32 v2, v149, v217, -v2
	s_waitcnt lgkmcnt(3)
	v_mul_f32_e32 v181, v151, v160
	v_add_f32_e32 v1, v1, v12
	v_add_f32_e32 v0, v0, v3
	v_mul_f32_e32 v3, v9, v203
	v_fma_f32 v4, v6, v216, -v4
	v_fmac_f32_e32 v180, v9, v215
	v_add_f32_e32 v1, v1, v174
	v_add_f32_e32 v0, v0, v2
	v_mul_f32_e32 v2, v152, v160
	v_fma_f32 v3, v8, v215, -v3
	v_mul_f32_e32 v179, v153, v204
	v_add_f32_e32 v1, v1, v176
	v_add_f32_e32 v0, v0, v4
	v_mul_f32_e32 v4, v154, v204
	v_fma_f32 v2, v151, v166, -v2
	v_fmac_f32_e32 v181, v152, v166
	v_add_f32_e32 v1, v1, v177
	v_add_f32_e32 v0, v0, v3
	s_waitcnt lgkmcnt(2)
	v_mul_f32_e32 v3, v140, v205
	s_waitcnt vmcnt(4)
	v_fma_f32 v4, v153, v218, -v4
	v_mul_f32_e32 v182, v139, v205
	v_add_f32_e32 v1, v1, v178
	v_add_f32_e32 v0, v0, v2
	v_fmac_f32_e32 v179, v154, v218
	v_mul_f32_e32 v2, v142, v163
	v_fma_f32 v3, v139, v170, -v3
	v_add_f32_e32 v1, v1, v180
	v_add_f32_e32 v0, v0, v4
	v_mul_f32_e32 v11, v141, v163
	v_fmac_f32_e32 v182, v140, v170
	s_waitcnt lgkmcnt(1)
	v_mul_f32_e32 v4, v156, v206
	v_add_f32_e32 v1, v1, v181
	v_fma_f32 v2, v141, v169, -v2
	v_add_f32_e32 v0, v0, v3
	v_mul_f32_e32 v183, v155, v206
	v_fmac_f32_e32 v11, v142, v169
	v_add_f32_e32 v1, v1, v179
	v_mul_f32_e32 v3, v158, v213
	v_fma_f32 v4, v155, v165, -v4
	v_add_f32_e32 v0, v0, v2
	v_mul_f32_e32 v184, v157, v213
	v_add_f32_e32 v1, v1, v182
	v_fmac_f32_e32 v183, v156, v165
	s_waitcnt lgkmcnt(0)
	v_mul_f32_e32 v2, v144, v164
	s_waitcnt vmcnt(1)
	v_fma_f32 v3, v157, v219, -v3
	v_add_f32_e32 v0, v0, v4
	v_add_f32_e32 v1, v1, v11
	v_mul_f32_e32 v10, v143, v164
	v_fmac_f32_e32 v184, v158, v219
	v_mul_f32_e32 v4, v146, v214
	v_fma_f32 v2, v143, v175, -v2
	v_add_f32_e32 v1, v1, v183
	v_add_f32_e32 v0, v0, v3
	v_mul_f32_e32 v185, v145, v214
	v_fmac_f32_e32 v10, v144, v175
	v_fma_f32 v3, v145, v172, -v4
	v_add_f32_e32 v1, v1, v184
	v_add_f32_e32 v0, v0, v2
	v_fmac_f32_e32 v185, v146, v172
	v_add_f32_e32 v1, v1, v10
	v_add_f32_e32 v0, v0, v3
	;; [unrolled: 1-line block ×3, first 2 shown]
	s_waitcnt vmcnt(0)
	v_sub_f32_e32 v0, v220, v0
	v_sub_f32_e32 v1, v173, v1
	buffer_store_dword v0, off, s[0:3], 0
	buffer_store_dword v1, off, s[0:3], 0 offset:4
	s_cbranch_vccz .LBB62_516
; %bb.392:
	v_mov_b32_e32 v0, 0
	global_load_dword v1, v0, s[20:21] offset:244
	s_waitcnt vmcnt(0)
	v_add_nc_u32_e32 v1, -1, v1
	v_cmp_ne_u32_e32 vcc_lo, 61, v1
	s_cbranch_vccz .LBB62_394
; %bb.393:
	v_lshlrev_b32_e32 v1, 3, v1
	s_clause 0x3
	buffer_load_dword v2, v1, s[0:3], 0 offen
	buffer_load_dword v3, v1, s[0:3], 0 offen offset:4
	buffer_load_dword v4, off, s[0:3], 0 offset:488
	buffer_load_dword v5, off, s[0:3], 0 offset:492
	s_waitcnt vmcnt(3)
	buffer_store_dword v2, off, s[0:3], 0 offset:488
	s_waitcnt vmcnt(2)
	buffer_store_dword v3, off, s[0:3], 0 offset:492
	s_waitcnt vmcnt(1)
	buffer_store_dword v4, v1, s[0:3], 0 offen
	s_waitcnt vmcnt(0)
	buffer_store_dword v5, v1, s[0:3], 0 offen offset:4
.LBB62_394:
	global_load_dword v0, v0, s[20:21] offset:240
	s_waitcnt vmcnt(0)
	v_add_nc_u32_e32 v0, -1, v0
	v_cmp_eq_u32_e32 vcc_lo, 60, v0
	s_cbranch_vccnz .LBB62_396
; %bb.395:
	v_lshlrev_b32_e32 v0, 3, v0
	s_clause 0x3
	buffer_load_dword v1, v0, s[0:3], 0 offen
	buffer_load_dword v2, v0, s[0:3], 0 offen offset:4
	buffer_load_dword v3, off, s[0:3], 0 offset:484
	buffer_load_dword v4, off, s[0:3], 0 offset:480
	s_waitcnt vmcnt(3)
	buffer_store_dword v1, off, s[0:3], 0 offset:480
	s_waitcnt vmcnt(2)
	buffer_store_dword v2, off, s[0:3], 0 offset:484
	s_waitcnt vmcnt(1)
	buffer_store_dword v3, v0, s[0:3], 0 offen offset:4
	s_waitcnt vmcnt(0)
	buffer_store_dword v4, v0, s[0:3], 0 offen
.LBB62_396:
	v_mov_b32_e32 v0, 0
	global_load_dword v1, v0, s[20:21] offset:236
	s_waitcnt vmcnt(0)
	v_add_nc_u32_e32 v1, -1, v1
	v_cmp_eq_u32_e32 vcc_lo, 59, v1
	s_cbranch_vccnz .LBB62_398
; %bb.397:
	v_lshlrev_b32_e32 v1, 3, v1
	s_clause 0x3
	buffer_load_dword v2, v1, s[0:3], 0 offen
	buffer_load_dword v3, v1, s[0:3], 0 offen offset:4
	buffer_load_dword v4, off, s[0:3], 0 offset:472
	buffer_load_dword v5, off, s[0:3], 0 offset:476
	s_waitcnt vmcnt(3)
	buffer_store_dword v2, off, s[0:3], 0 offset:472
	s_waitcnt vmcnt(2)
	buffer_store_dword v3, off, s[0:3], 0 offset:476
	s_waitcnt vmcnt(1)
	buffer_store_dword v4, v1, s[0:3], 0 offen
	s_waitcnt vmcnt(0)
	buffer_store_dword v5, v1, s[0:3], 0 offen offset:4
.LBB62_398:
	global_load_dword v0, v0, s[20:21] offset:232
	s_waitcnt vmcnt(0)
	v_add_nc_u32_e32 v0, -1, v0
	v_cmp_eq_u32_e32 vcc_lo, 58, v0
	s_cbranch_vccnz .LBB62_400
; %bb.399:
	v_lshlrev_b32_e32 v0, 3, v0
	s_clause 0x3
	buffer_load_dword v1, v0, s[0:3], 0 offen
	buffer_load_dword v2, v0, s[0:3], 0 offen offset:4
	buffer_load_dword v3, off, s[0:3], 0 offset:468
	buffer_load_dword v4, off, s[0:3], 0 offset:464
	s_waitcnt vmcnt(3)
	buffer_store_dword v1, off, s[0:3], 0 offset:464
	s_waitcnt vmcnt(2)
	buffer_store_dword v2, off, s[0:3], 0 offset:468
	s_waitcnt vmcnt(1)
	buffer_store_dword v3, v0, s[0:3], 0 offen offset:4
	s_waitcnt vmcnt(0)
	buffer_store_dword v4, v0, s[0:3], 0 offen
.LBB62_400:
	v_mov_b32_e32 v0, 0
	global_load_dword v1, v0, s[20:21] offset:228
	s_waitcnt vmcnt(0)
	v_add_nc_u32_e32 v1, -1, v1
	v_cmp_eq_u32_e32 vcc_lo, 57, v1
	s_cbranch_vccnz .LBB62_402
; %bb.401:
	v_lshlrev_b32_e32 v1, 3, v1
	s_clause 0x3
	buffer_load_dword v2, v1, s[0:3], 0 offen
	buffer_load_dword v3, v1, s[0:3], 0 offen offset:4
	buffer_load_dword v4, off, s[0:3], 0 offset:456
	buffer_load_dword v5, off, s[0:3], 0 offset:460
	s_waitcnt vmcnt(3)
	buffer_store_dword v2, off, s[0:3], 0 offset:456
	s_waitcnt vmcnt(2)
	buffer_store_dword v3, off, s[0:3], 0 offset:460
	s_waitcnt vmcnt(1)
	buffer_store_dword v4, v1, s[0:3], 0 offen
	s_waitcnt vmcnt(0)
	buffer_store_dword v5, v1, s[0:3], 0 offen offset:4
.LBB62_402:
	;; [unrolled: 43-line block ×30, first 2 shown]
	global_load_dword v0, v0, s[20:21]
	s_waitcnt vmcnt(0)
	v_add_nc_u32_e32 v0, -1, v0
	v_cmp_eq_u32_e32 vcc_lo, 0, v0
	s_cbranch_vccnz .LBB62_516
; %bb.515:
	v_lshlrev_b32_e32 v0, 3, v0
	s_clause 0x3
	buffer_load_dword v1, v0, s[0:3], 0 offen
	buffer_load_dword v2, v0, s[0:3], 0 offen offset:4
	buffer_load_dword v3, off, s[0:3], 0 offset:4
	buffer_load_dword v4, off, s[0:3], 0
	s_waitcnt vmcnt(3)
	buffer_store_dword v1, off, s[0:3], 0
	s_waitcnt vmcnt(2)
	buffer_store_dword v2, off, s[0:3], 0 offset:4
	s_waitcnt vmcnt(1)
	buffer_store_dword v3, v0, s[0:3], 0 offen offset:4
	s_waitcnt vmcnt(0)
	buffer_store_dword v4, v0, s[0:3], 0 offen
.LBB62_516:
	s_clause 0x3e
	buffer_load_dword v0, off, s[0:3], 0
	buffer_load_dword v1, off, s[0:3], 0 offset:4
	buffer_load_dword v2, off, s[0:3], 0 offset:8
	;; [unrolled: 1-line block ×62, first 2 shown]
	s_clause 0x3e
	buffer_load_dword v190, off, s[0:3], 0 offset:252
	buffer_load_dword v191, off, s[0:3], 0 offset:256
	;; [unrolled: 1-line block ×63, first 2 shown]
	s_waitcnt vmcnt(62)
	global_store_dwordx2 v[107:108], v[0:1], off
	global_store_dwordx2 v[111:112], v[2:3], off
	;; [unrolled: 1-line block ×32, first 2 shown]
	s_waitcnt vmcnt(60)
	global_store_dwordx2 v[73:74], v[191:192], off
	s_waitcnt vmcnt(58)
	global_store_dwordx2 v[75:76], v[193:194], off
	;; [unrolled: 2-line block ×31, first 2 shown]
	s_endpgm
	.section	.rodata,"a",@progbits
	.p2align	6, 0x0
	.amdhsa_kernel _ZN9rocsolver6v33100L18getri_kernel_smallILi63E19rocblas_complex_numIfEPS3_EEvT1_iilPiilS6_bb
		.amdhsa_group_segment_fixed_size 1016
		.amdhsa_private_segment_fixed_size 512
		.amdhsa_kernarg_size 60
		.amdhsa_user_sgpr_count 6
		.amdhsa_user_sgpr_private_segment_buffer 1
		.amdhsa_user_sgpr_dispatch_ptr 0
		.amdhsa_user_sgpr_queue_ptr 0
		.amdhsa_user_sgpr_kernarg_segment_ptr 1
		.amdhsa_user_sgpr_dispatch_id 0
		.amdhsa_user_sgpr_flat_scratch_init 0
		.amdhsa_user_sgpr_private_segment_size 0
		.amdhsa_wavefront_size32 1
		.amdhsa_uses_dynamic_stack 0
		.amdhsa_system_sgpr_private_segment_wavefront_offset 1
		.amdhsa_system_sgpr_workgroup_id_x 1
		.amdhsa_system_sgpr_workgroup_id_y 0
		.amdhsa_system_sgpr_workgroup_id_z 0
		.amdhsa_system_sgpr_workgroup_info 0
		.amdhsa_system_vgpr_workitem_id 0
		.amdhsa_next_free_vgpr 253
		.amdhsa_next_free_sgpr 23
		.amdhsa_reserve_vcc 1
		.amdhsa_reserve_flat_scratch 0
		.amdhsa_float_round_mode_32 0
		.amdhsa_float_round_mode_16_64 0
		.amdhsa_float_denorm_mode_32 3
		.amdhsa_float_denorm_mode_16_64 3
		.amdhsa_dx10_clamp 1
		.amdhsa_ieee_mode 1
		.amdhsa_fp16_overflow 0
		.amdhsa_workgroup_processor_mode 1
		.amdhsa_memory_ordered 1
		.amdhsa_forward_progress 1
		.amdhsa_shared_vgpr_count 0
		.amdhsa_exception_fp_ieee_invalid_op 0
		.amdhsa_exception_fp_denorm_src 0
		.amdhsa_exception_fp_ieee_div_zero 0
		.amdhsa_exception_fp_ieee_overflow 0
		.amdhsa_exception_fp_ieee_underflow 0
		.amdhsa_exception_fp_ieee_inexact 0
		.amdhsa_exception_int_div_zero 0
	.end_amdhsa_kernel
	.section	.text._ZN9rocsolver6v33100L18getri_kernel_smallILi63E19rocblas_complex_numIfEPS3_EEvT1_iilPiilS6_bb,"axG",@progbits,_ZN9rocsolver6v33100L18getri_kernel_smallILi63E19rocblas_complex_numIfEPS3_EEvT1_iilPiilS6_bb,comdat
.Lfunc_end62:
	.size	_ZN9rocsolver6v33100L18getri_kernel_smallILi63E19rocblas_complex_numIfEPS3_EEvT1_iilPiilS6_bb, .Lfunc_end62-_ZN9rocsolver6v33100L18getri_kernel_smallILi63E19rocblas_complex_numIfEPS3_EEvT1_iilPiilS6_bb
                                        ; -- End function
	.set _ZN9rocsolver6v33100L18getri_kernel_smallILi63E19rocblas_complex_numIfEPS3_EEvT1_iilPiilS6_bb.num_vgpr, 253
	.set _ZN9rocsolver6v33100L18getri_kernel_smallILi63E19rocblas_complex_numIfEPS3_EEvT1_iilPiilS6_bb.num_agpr, 0
	.set _ZN9rocsolver6v33100L18getri_kernel_smallILi63E19rocblas_complex_numIfEPS3_EEvT1_iilPiilS6_bb.numbered_sgpr, 23
	.set _ZN9rocsolver6v33100L18getri_kernel_smallILi63E19rocblas_complex_numIfEPS3_EEvT1_iilPiilS6_bb.num_named_barrier, 0
	.set _ZN9rocsolver6v33100L18getri_kernel_smallILi63E19rocblas_complex_numIfEPS3_EEvT1_iilPiilS6_bb.private_seg_size, 512
	.set _ZN9rocsolver6v33100L18getri_kernel_smallILi63E19rocblas_complex_numIfEPS3_EEvT1_iilPiilS6_bb.uses_vcc, 1
	.set _ZN9rocsolver6v33100L18getri_kernel_smallILi63E19rocblas_complex_numIfEPS3_EEvT1_iilPiilS6_bb.uses_flat_scratch, 0
	.set _ZN9rocsolver6v33100L18getri_kernel_smallILi63E19rocblas_complex_numIfEPS3_EEvT1_iilPiilS6_bb.has_dyn_sized_stack, 0
	.set _ZN9rocsolver6v33100L18getri_kernel_smallILi63E19rocblas_complex_numIfEPS3_EEvT1_iilPiilS6_bb.has_recursion, 0
	.set _ZN9rocsolver6v33100L18getri_kernel_smallILi63E19rocblas_complex_numIfEPS3_EEvT1_iilPiilS6_bb.has_indirect_call, 0
	.section	.AMDGPU.csdata,"",@progbits
; Kernel info:
; codeLenInByte = 142968
; TotalNumSgprs: 25
; NumVgprs: 253
; ScratchSize: 512
; MemoryBound: 0
; FloatMode: 240
; IeeeMode: 1
; LDSByteSize: 1016 bytes/workgroup (compile time only)
; SGPRBlocks: 0
; VGPRBlocks: 31
; NumSGPRsForWavesPerEU: 25
; NumVGPRsForWavesPerEU: 253
; Occupancy: 4
; WaveLimiterHint : 1
; COMPUTE_PGM_RSRC2:SCRATCH_EN: 1
; COMPUTE_PGM_RSRC2:USER_SGPR: 6
; COMPUTE_PGM_RSRC2:TRAP_HANDLER: 0
; COMPUTE_PGM_RSRC2:TGID_X_EN: 1
; COMPUTE_PGM_RSRC2:TGID_Y_EN: 0
; COMPUTE_PGM_RSRC2:TGID_Z_EN: 0
; COMPUTE_PGM_RSRC2:TIDIG_COMP_CNT: 0
	.section	.text._ZN9rocsolver6v33100L18getri_kernel_smallILi64E19rocblas_complex_numIfEPS3_EEvT1_iilPiilS6_bb,"axG",@progbits,_ZN9rocsolver6v33100L18getri_kernel_smallILi64E19rocblas_complex_numIfEPS3_EEvT1_iilPiilS6_bb,comdat
	.globl	_ZN9rocsolver6v33100L18getri_kernel_smallILi64E19rocblas_complex_numIfEPS3_EEvT1_iilPiilS6_bb ; -- Begin function _ZN9rocsolver6v33100L18getri_kernel_smallILi64E19rocblas_complex_numIfEPS3_EEvT1_iilPiilS6_bb
	.p2align	8
	.type	_ZN9rocsolver6v33100L18getri_kernel_smallILi64E19rocblas_complex_numIfEPS3_EEvT1_iilPiilS6_bb,@function
_ZN9rocsolver6v33100L18getri_kernel_smallILi64E19rocblas_complex_numIfEPS3_EEvT1_iilPiilS6_bb: ; @_ZN9rocsolver6v33100L18getri_kernel_smallILi64E19rocblas_complex_numIfEPS3_EEvT1_iilPiilS6_bb
; %bb.0:
	s_add_u32 s0, s0, s7
	s_addc_u32 s1, s1, 0
	s_mov_b32 s7, exec_lo
	v_cmpx_gt_u32_e32 64, v0
	s_cbranch_execz .LBB63_270
; %bb.1:
	s_clause 0x2
	s_load_dword s7, s[4:5], 0x38
	s_load_dwordx4 s[16:19], s[4:5], 0x10
	s_load_dwordx4 s[8:11], s[4:5], 0x28
                                        ; implicit-def: $sgpr20_sgpr21
	s_waitcnt lgkmcnt(0)
	s_bitcmp1_b32 s7, 8
	s_cselect_b32 s22, -1, 0
	s_bfe_u32 s12, s7, 0x10008
	s_ashr_i32 s7, s6, 31
	s_cmp_eq_u32 s12, 0
	s_cbranch_scc1 .LBB63_3
; %bb.2:
	s_load_dword s12, s[4:5], 0x20
	s_mul_i32 s13, s8, s7
	s_mul_hi_u32 s14, s8, s6
	s_mul_i32 s9, s9, s6
	s_add_i32 s13, s14, s13
	s_mul_i32 s8, s8, s6
	s_add_i32 s9, s13, s9
	s_lshl_b64 s[8:9], s[8:9], 2
	s_waitcnt lgkmcnt(0)
	s_ashr_i32 s13, s12, 31
	s_add_u32 s14, s18, s8
	s_addc_u32 s15, s19, s9
	s_lshl_b64 s[8:9], s[12:13], 2
	s_add_u32 s20, s14, s8
	s_addc_u32 s21, s15, s9
.LBB63_3:
	s_clause 0x1
	s_load_dwordx4 s[12:15], s[4:5], 0x0
	s_load_dword s8, s[4:5], 0x38
	s_mul_i32 s4, s16, s7
	s_mul_hi_u32 s5, s16, s6
	s_mul_i32 s9, s17, s6
	s_add_i32 s5, s5, s4
	s_mul_i32 s4, s16, s6
	s_add_i32 s5, s5, s9
	v_lshlrev_b32_e32 v3, 3, v0
	s_lshl_b64 s[4:5], s[4:5], 3
	s_waitcnt lgkmcnt(0)
	s_ashr_i32 s17, s14, 31
	s_mov_b32 s16, s14
	s_add_u32 s9, s12, s4
	s_addc_u32 s13, s13, s5
	s_lshl_b64 s[4:5], s[16:17], 3
	s_mov_b32 s12, s15
	s_add_u32 s4, s9, s4
	s_addc_u32 s5, s13, s5
	v_add_co_u32 v21, s9, s4, v3
	s_ashr_i32 s13, s15, 31
	v_add_co_ci_u32_e64 v22, null, s5, 0, s9
	s_lshl_b64 s[12:13], s[12:13], 3
	global_load_dwordx2 v[6:7], v3, s[4:5]
	v_add_co_u32 v13, vcc_lo, v21, s12
	v_add_co_ci_u32_e64 v14, null, s13, v22, vcc_lo
	v_add3_u32 v1, s15, s15, v0
	s_bitcmp0_b32 s8, 0
	global_load_dwordx2 v[111:112], v[13:14], off
	v_add_nc_u32_e32 v4, s15, v1
	v_ashrrev_i32_e32 v2, 31, v1
	v_add_nc_u32_e32 v8, s15, v4
	v_ashrrev_i32_e32 v5, 31, v4
	v_lshlrev_b64 v[1:2], 3, v[1:2]
	v_ashrrev_i32_e32 v9, 31, v8
	v_add_nc_u32_e32 v10, s15, v8
	v_lshlrev_b64 v[4:5], 3, v[4:5]
	v_add_co_u32 v15, vcc_lo, s4, v1
	v_add_co_ci_u32_e64 v16, null, s5, v2, vcc_lo
	v_lshlrev_b64 v[1:2], 3, v[8:9]
	v_ashrrev_i32_e32 v11, 31, v10
	v_add_nc_u32_e32 v8, s15, v10
	v_add_co_u32 v17, vcc_lo, s4, v4
	v_add_co_ci_u32_e64 v18, null, s5, v5, vcc_lo
	v_lshlrev_b64 v[4:5], 3, v[10:11]
	v_ashrrev_i32_e32 v9, 31, v8
	v_add_nc_u32_e32 v10, s15, v8
	;; [unrolled: 5-line block ×21, first 2 shown]
	v_add_co_u32 v59, vcc_lo, s4, v4
	v_add_co_ci_u32_e64 v60, null, s5, v5, vcc_lo
	v_lshlrev_b64 v[4:5], 3, v[10:11]
	v_add_nc_u32_e32 v10, s15, v8
	v_ashrrev_i32_e32 v9, 31, v8
	v_add_co_u32 v61, vcc_lo, s4, v1
	v_add_co_ci_u32_e64 v62, null, s5, v2, vcc_lo
	v_ashrrev_i32_e32 v11, 31, v10
	v_add_nc_u32_e32 v67, s15, v10
	v_add_co_u32 v63, vcc_lo, s4, v4
	v_lshlrev_b64 v[8:9], 3, v[8:9]
	v_add_co_ci_u32_e64 v64, null, s5, v5, vcc_lo
	v_lshlrev_b64 v[4:5], 3, v[10:11]
	v_add_nc_u32_e32 v10, s15, v67
	v_ashrrev_i32_e32 v68, 31, v67
	v_add_co_u32 v65, vcc_lo, s4, v8
	v_add_co_ci_u32_e64 v66, null, s5, v9, vcc_lo
	v_ashrrev_i32_e32 v11, 31, v10
	v_add_nc_u32_e32 v71, s15, v10
	v_lshlrev_b64 v[8:9], 3, v[67:68]
	v_add_co_u32 v67, vcc_lo, s4, v4
	v_add_co_ci_u32_e64 v68, null, s5, v5, vcc_lo
	v_lshlrev_b64 v[4:5], 3, v[10:11]
	v_add_nc_u32_e32 v10, s15, v71
	v_ashrrev_i32_e32 v72, 31, v71
	v_add_co_u32 v69, vcc_lo, s4, v8
	global_load_dwordx2 v[1:2], v[15:16], off
	v_ashrrev_i32_e32 v11, 31, v10
	v_add_nc_u32_e32 v75, s15, v10
	v_add_co_ci_u32_e64 v70, null, s5, v9, vcc_lo
	v_lshlrev_b64 v[8:9], 3, v[71:72]
	v_add_co_u32 v71, vcc_lo, s4, v4
	v_add_co_ci_u32_e64 v72, null, s5, v5, vcc_lo
	v_lshlrev_b64 v[4:5], 3, v[10:11]
	v_add_nc_u32_e32 v10, s15, v75
	v_ashrrev_i32_e32 v76, 31, v75
	v_add_co_u32 v73, vcc_lo, s4, v8
	v_add_co_ci_u32_e64 v74, null, s5, v9, vcc_lo
	v_ashrrev_i32_e32 v11, 31, v10
	v_add_nc_u32_e32 v79, s15, v10
	v_lshlrev_b64 v[8:9], 3, v[75:76]
	v_add_co_u32 v75, vcc_lo, s4, v4
	v_add_co_ci_u32_e64 v76, null, s5, v5, vcc_lo
	v_lshlrev_b64 v[4:5], 3, v[10:11]
	v_add_nc_u32_e32 v10, s15, v79
	v_ashrrev_i32_e32 v80, 31, v79
	v_add_co_u32 v77, vcc_lo, s4, v8
	v_add_co_ci_u32_e64 v78, null, s5, v9, vcc_lo
	v_ashrrev_i32_e32 v11, 31, v10
	v_add_nc_u32_e32 v83, s15, v10
	;; [unrolled: 10-line block ×8, first 2 shown]
	v_lshlrev_b64 v[8:9], 3, v[103:104]
	v_add_co_u32 v103, vcc_lo, s4, v4
	v_add_co_ci_u32_e64 v104, null, s5, v5, vcc_lo
	v_lshlrev_b64 v[4:5], 3, v[10:11]
	v_add_nc_u32_e32 v10, s15, v107
	v_ashrrev_i32_e32 v108, 31, v107
	v_add_co_u32 v105, vcc_lo, s4, v8
	v_add_co_ci_u32_e64 v106, null, s5, v9, vcc_lo
	v_ashrrev_i32_e32 v11, 31, v10
	v_lshlrev_b64 v[8:9], 3, v[107:108]
	v_add_co_u32 v107, vcc_lo, s4, v4
	s_waitcnt vmcnt(2)
	buffer_store_dword v7, off, s[0:3], 0 offset:4
	buffer_store_dword v6, off, s[0:3], 0
	v_add_nc_u32_e32 v6, s15, v10
	v_add_co_ci_u32_e64 v108, null, s5, v5, vcc_lo
	v_lshlrev_b64 v[4:5], 3, v[10:11]
	v_add_co_u32 v109, vcc_lo, s4, v8
	v_ashrrev_i32_e32 v7, 31, v6
	v_add_co_ci_u32_e64 v110, null, s5, v9, vcc_lo
	s_clause 0x1
	global_load_dwordx2 v[8:9], v[17:18], off
	global_load_dwordx2 v[10:11], v[19:20], off
	s_waitcnt vmcnt(3)
	buffer_store_dword v112, off, s[0:3], 0 offset:12
	buffer_store_dword v111, off, s[0:3], 0 offset:8
	v_add_co_u32 v111, vcc_lo, s4, v4
	v_add_co_ci_u32_e64 v112, null, s5, v5, vcc_lo
	v_lshlrev_b64 v[4:5], 3, v[6:7]
	v_add_nc_u32_e32 v6, s15, v6
	s_clause 0xf
	global_load_dwordx2 v[141:142], v[23:24], off
	global_load_dwordx2 v[143:144], v[25:26], off
	;; [unrolled: 1-line block ×16, first 2 shown]
	v_ashrrev_i32_e32 v7, 31, v6
	v_add_co_u32 v113, vcc_lo, s4, v4
	v_add_co_ci_u32_e64 v114, null, s5, v5, vcc_lo
	v_lshlrev_b64 v[4:5], 3, v[6:7]
	v_add_nc_u32_e32 v6, s15, v6
	s_clause 0x3
	global_load_dwordx2 v[173:174], v[55:56], off
	global_load_dwordx2 v[175:176], v[57:58], off
	;; [unrolled: 1-line block ×4, first 2 shown]
	v_ashrrev_i32_e32 v7, 31, v6
	v_add_co_u32 v115, vcc_lo, s4, v4
	v_add_co_ci_u32_e64 v116, null, s5, v5, vcc_lo
	v_lshlrev_b64 v[4:5], 3, v[6:7]
	v_add_nc_u32_e32 v6, s15, v6
	v_ashrrev_i32_e32 v7, 31, v6
	v_add_co_u32 v117, vcc_lo, s4, v4
	v_add_co_ci_u32_e64 v118, null, s5, v5, vcc_lo
	v_lshlrev_b64 v[4:5], 3, v[6:7]
	v_add_nc_u32_e32 v6, s15, v6
	;; [unrolled: 5-line block ×3, first 2 shown]
	v_add_nc_u32_e32 v123, s15, v6
	v_ashrrev_i32_e32 v7, 31, v6
	v_add_co_u32 v121, vcc_lo, s4, v4
	v_add_co_ci_u32_e64 v122, null, s5, v5, vcc_lo
	v_add_nc_u32_e32 v127, s15, v123
	v_lshlrev_b64 v[4:5], 3, v[6:7]
	v_ashrrev_i32_e32 v124, 31, v123
	s_clause 0x7
	global_load_dwordx2 v[6:7], v[63:64], off
	global_load_dwordx2 v[181:182], v[65:66], off
	;; [unrolled: 1-line block ×8, first 2 shown]
	v_ashrrev_i32_e32 v128, 31, v127
	v_add_nc_u32_e32 v129, s15, v127
	v_lshlrev_b64 v[125:126], 3, v[123:124]
	v_add_co_u32 v123, vcc_lo, s4, v4
	v_add_co_ci_u32_e64 v124, null, s5, v5, vcc_lo
	v_lshlrev_b64 v[4:5], 3, v[127:128]
	v_ashrrev_i32_e32 v130, 31, v129
	v_add_co_u32 v125, vcc_lo, s4, v125
	v_add_co_ci_u32_e64 v126, null, s5, v126, vcc_lo
	v_add_co_u32 v127, vcc_lo, s4, v4
	v_add_nc_u32_e32 v131, s15, v129
	v_add_co_ci_u32_e64 v128, null, s5, v5, vcc_lo
	v_lshlrev_b64 v[4:5], 3, v[129:130]
	s_clause 0x3
	global_load_dwordx2 v[195:196], v[79:80], off
	global_load_dwordx2 v[197:198], v[81:82], off
	;; [unrolled: 1-line block ×4, first 2 shown]
	v_ashrrev_i32_e32 v132, 31, v131
	v_add_nc_u32_e32 v133, s15, v131
	s_clause 0x7
	global_load_dwordx2 v[203:204], v[87:88], off
	global_load_dwordx2 v[205:206], v[89:90], off
	;; [unrolled: 1-line block ×8, first 2 shown]
	v_add_co_u32 v129, vcc_lo, s4, v4
	v_add_co_ci_u32_e64 v130, null, s5, v5, vcc_lo
	v_lshlrev_b64 v[4:5], 3, v[131:132]
	v_ashrrev_i32_e32 v134, 31, v133
	v_add_nc_u32_e32 v135, s15, v133
	s_clause 0x3
	global_load_dwordx2 v[219:220], v[103:104], off
	global_load_dwordx2 v[221:222], v[105:106], off
	;; [unrolled: 1-line block ×4, first 2 shown]
	v_add_co_u32 v131, vcc_lo, s4, v4
	v_add_co_ci_u32_e64 v132, null, s5, v5, vcc_lo
	v_lshlrev_b64 v[4:5], 3, v[133:134]
	v_ashrrev_i32_e32 v136, 31, v135
	v_add_nc_u32_e32 v137, s15, v135
	v_add_co_u32 v133, vcc_lo, s4, v4
	v_add_co_ci_u32_e64 v134, null, s5, v5, vcc_lo
	v_lshlrev_b64 v[4:5], 3, v[135:136]
	v_add_nc_u32_e32 v139, s15, v137
	v_ashrrev_i32_e32 v138, 31, v137
	v_add_co_u32 v135, vcc_lo, s4, v4
	v_add_co_ci_u32_e64 v136, null, s5, v5, vcc_lo
	s_clause 0xb
	global_load_dwordx2 v[4:5], v[111:112], off
	global_load_dwordx2 v[227:228], v[113:114], off
	;; [unrolled: 1-line block ×12, first 2 shown]
	v_ashrrev_i32_e32 v140, 31, v139
	v_lshlrev_b64 v[137:138], 3, v[137:138]
	global_load_dwordx2 v[249:250], v[135:136], off
	v_lshlrev_b64 v[139:140], 3, v[139:140]
	v_add_co_u32 v137, vcc_lo, s4, v137
	v_add_co_ci_u32_e64 v138, null, s5, v138, vcc_lo
	v_add_co_u32 v139, vcc_lo, s4, v139
	v_add_co_ci_u32_e64 v140, null, s5, v140, vcc_lo
	global_load_dwordx2 v[251:252], v[137:138], off
	s_mov_b32 s5, -1
	s_waitcnt vmcnt(60)
	buffer_store_dword v2, off, s[0:3], 0 offset:20
	buffer_store_dword v1, off, s[0:3], 0 offset:16
	global_load_dwordx2 v[1:2], v[139:140], off
	s_waitcnt vmcnt(60)
	buffer_store_dword v9, off, s[0:3], 0 offset:28
	buffer_store_dword v8, off, s[0:3], 0 offset:24
	s_waitcnt vmcnt(59)
	buffer_store_dword v11, off, s[0:3], 0 offset:36
	buffer_store_dword v10, off, s[0:3], 0 offset:32
	s_waitcnt vmcnt(58)
	buffer_store_dword v142, off, s[0:3], 0 offset:44
	buffer_store_dword v141, off, s[0:3], 0 offset:40
	s_waitcnt vmcnt(57)
	buffer_store_dword v144, off, s[0:3], 0 offset:52
	buffer_store_dword v143, off, s[0:3], 0 offset:48
	s_waitcnt vmcnt(56)
	buffer_store_dword v146, off, s[0:3], 0 offset:60
	buffer_store_dword v145, off, s[0:3], 0 offset:56
	s_waitcnt vmcnt(55)
	buffer_store_dword v148, off, s[0:3], 0 offset:68
	buffer_store_dword v147, off, s[0:3], 0 offset:64
	s_waitcnt vmcnt(54)
	buffer_store_dword v149, off, s[0:3], 0 offset:72
	buffer_store_dword v150, off, s[0:3], 0 offset:76
	s_waitcnt vmcnt(53)
	buffer_store_dword v151, off, s[0:3], 0 offset:80
	buffer_store_dword v152, off, s[0:3], 0 offset:84
	s_waitcnt vmcnt(52)
	buffer_store_dword v153, off, s[0:3], 0 offset:88
	buffer_store_dword v154, off, s[0:3], 0 offset:92
	s_waitcnt vmcnt(51)
	buffer_store_dword v155, off, s[0:3], 0 offset:96
	buffer_store_dword v156, off, s[0:3], 0 offset:100
	s_waitcnt vmcnt(50)
	buffer_store_dword v157, off, s[0:3], 0 offset:104
	buffer_store_dword v158, off, s[0:3], 0 offset:108
	s_waitcnt vmcnt(49)
	buffer_store_dword v160, off, s[0:3], 0 offset:116
	buffer_store_dword v159, off, s[0:3], 0 offset:112
	s_waitcnt vmcnt(48)
	buffer_store_dword v161, off, s[0:3], 0 offset:120
	buffer_store_dword v162, off, s[0:3], 0 offset:124
	s_waitcnt vmcnt(47)
	buffer_store_dword v163, off, s[0:3], 0 offset:128
	buffer_store_dword v164, off, s[0:3], 0 offset:132
	s_waitcnt vmcnt(46)
	buffer_store_dword v165, off, s[0:3], 0 offset:136
	buffer_store_dword v166, off, s[0:3], 0 offset:140
	s_waitcnt vmcnt(45)
	buffer_store_dword v167, off, s[0:3], 0 offset:144
	buffer_store_dword v168, off, s[0:3], 0 offset:148
	s_waitcnt vmcnt(44)
	buffer_store_dword v170, off, s[0:3], 0 offset:156
	buffer_store_dword v169, off, s[0:3], 0 offset:152
	s_waitcnt vmcnt(43)
	buffer_store_dword v172, off, s[0:3], 0 offset:164
	buffer_store_dword v171, off, s[0:3], 0 offset:160
	s_waitcnt vmcnt(42)
	buffer_store_dword v173, off, s[0:3], 0 offset:168
	buffer_store_dword v174, off, s[0:3], 0 offset:172
	s_waitcnt vmcnt(41)
	buffer_store_dword v175, off, s[0:3], 0 offset:176
	buffer_store_dword v176, off, s[0:3], 0 offset:180
	s_waitcnt vmcnt(40)
	buffer_store_dword v177, off, s[0:3], 0 offset:184
	buffer_store_dword v178, off, s[0:3], 0 offset:188
	s_waitcnt vmcnt(39)
	buffer_store_dword v179, off, s[0:3], 0 offset:192
	buffer_store_dword v180, off, s[0:3], 0 offset:196
	s_waitcnt vmcnt(38)
	buffer_store_dword v7, off, s[0:3], 0 offset:204
	buffer_store_dword v6, off, s[0:3], 0 offset:200
	s_waitcnt vmcnt(37)
	buffer_store_dword v182, off, s[0:3], 0 offset:212
	buffer_store_dword v181, off, s[0:3], 0 offset:208
	s_waitcnt vmcnt(36)
	buffer_store_dword v183, off, s[0:3], 0 offset:216
	buffer_store_dword v184, off, s[0:3], 0 offset:220
	s_waitcnt vmcnt(35)
	buffer_store_dword v185, off, s[0:3], 0 offset:224
	buffer_store_dword v186, off, s[0:3], 0 offset:228
	s_waitcnt vmcnt(34)
	buffer_store_dword v187, off, s[0:3], 0 offset:232
	buffer_store_dword v188, off, s[0:3], 0 offset:236
	s_waitcnt vmcnt(33)
	buffer_store_dword v189, off, s[0:3], 0 offset:240
	buffer_store_dword v190, off, s[0:3], 0 offset:244
	s_waitcnt vmcnt(32)
	buffer_store_dword v192, off, s[0:3], 0 offset:252
	buffer_store_dword v191, off, s[0:3], 0 offset:248
	s_waitcnt vmcnt(31)
	buffer_store_dword v194, off, s[0:3], 0 offset:260
	buffer_store_dword v193, off, s[0:3], 0 offset:256
	s_waitcnt vmcnt(30)
	buffer_store_dword v195, off, s[0:3], 0 offset:264
	buffer_store_dword v196, off, s[0:3], 0 offset:268
	s_waitcnt vmcnt(29)
	buffer_store_dword v197, off, s[0:3], 0 offset:272
	buffer_store_dword v198, off, s[0:3], 0 offset:276
	s_waitcnt vmcnt(28)
	buffer_store_dword v199, off, s[0:3], 0 offset:280
	buffer_store_dword v200, off, s[0:3], 0 offset:284
	s_waitcnt vmcnt(27)
	buffer_store_dword v201, off, s[0:3], 0 offset:288
	buffer_store_dword v202, off, s[0:3], 0 offset:292
	s_waitcnt vmcnt(26)
	buffer_store_dword v204, off, s[0:3], 0 offset:300
	buffer_store_dword v203, off, s[0:3], 0 offset:296
	s_waitcnt vmcnt(25)
	buffer_store_dword v206, off, s[0:3], 0 offset:308
	buffer_store_dword v205, off, s[0:3], 0 offset:304
	s_waitcnt vmcnt(24)
	buffer_store_dword v207, off, s[0:3], 0 offset:312
	buffer_store_dword v208, off, s[0:3], 0 offset:316
	s_waitcnt vmcnt(23)
	buffer_store_dword v209, off, s[0:3], 0 offset:320
	buffer_store_dword v210, off, s[0:3], 0 offset:324
	s_waitcnt vmcnt(22)
	buffer_store_dword v211, off, s[0:3], 0 offset:328
	buffer_store_dword v212, off, s[0:3], 0 offset:332
	s_waitcnt vmcnt(21)
	buffer_store_dword v213, off, s[0:3], 0 offset:336
	buffer_store_dword v214, off, s[0:3], 0 offset:340
	s_waitcnt vmcnt(20)
	buffer_store_dword v216, off, s[0:3], 0 offset:348
	buffer_store_dword v215, off, s[0:3], 0 offset:344
	s_waitcnt vmcnt(19)
	buffer_store_dword v218, off, s[0:3], 0 offset:356
	buffer_store_dword v217, off, s[0:3], 0 offset:352
	s_waitcnt vmcnt(18)
	buffer_store_dword v219, off, s[0:3], 0 offset:360
	buffer_store_dword v220, off, s[0:3], 0 offset:364
	s_waitcnt vmcnt(17)
	buffer_store_dword v221, off, s[0:3], 0 offset:368
	buffer_store_dword v222, off, s[0:3], 0 offset:372
	s_waitcnt vmcnt(16)
	buffer_store_dword v223, off, s[0:3], 0 offset:376
	buffer_store_dword v224, off, s[0:3], 0 offset:380
	s_waitcnt vmcnt(15)
	buffer_store_dword v225, off, s[0:3], 0 offset:384
	buffer_store_dword v226, off, s[0:3], 0 offset:388
	s_waitcnt vmcnt(14)
	buffer_store_dword v5, off, s[0:3], 0 offset:396
	buffer_store_dword v4, off, s[0:3], 0 offset:392
	s_waitcnt vmcnt(13)
	buffer_store_dword v228, off, s[0:3], 0 offset:404
	buffer_store_dword v227, off, s[0:3], 0 offset:400
	s_waitcnt vmcnt(12)
	buffer_store_dword v229, off, s[0:3], 0 offset:408
	buffer_store_dword v230, off, s[0:3], 0 offset:412
	s_waitcnt vmcnt(11)
	buffer_store_dword v231, off, s[0:3], 0 offset:416
	buffer_store_dword v232, off, s[0:3], 0 offset:420
	s_waitcnt vmcnt(10)
	buffer_store_dword v233, off, s[0:3], 0 offset:424
	buffer_store_dword v234, off, s[0:3], 0 offset:428
	s_waitcnt vmcnt(9)
	buffer_store_dword v235, off, s[0:3], 0 offset:432
	buffer_store_dword v236, off, s[0:3], 0 offset:436
	s_waitcnt vmcnt(8)
	buffer_store_dword v238, off, s[0:3], 0 offset:444
	buffer_store_dword v237, off, s[0:3], 0 offset:440
	s_waitcnt vmcnt(7)
	buffer_store_dword v240, off, s[0:3], 0 offset:452
	buffer_store_dword v239, off, s[0:3], 0 offset:448
	s_waitcnt vmcnt(6)
	buffer_store_dword v241, off, s[0:3], 0 offset:456
	buffer_store_dword v242, off, s[0:3], 0 offset:460
	s_waitcnt vmcnt(5)
	buffer_store_dword v243, off, s[0:3], 0 offset:464
	buffer_store_dword v244, off, s[0:3], 0 offset:468
	s_waitcnt vmcnt(4)
	buffer_store_dword v245, off, s[0:3], 0 offset:472
	buffer_store_dword v246, off, s[0:3], 0 offset:476
	s_waitcnt vmcnt(3)
	buffer_store_dword v247, off, s[0:3], 0 offset:480
	buffer_store_dword v248, off, s[0:3], 0 offset:484
	s_waitcnt vmcnt(2)
	buffer_store_dword v250, off, s[0:3], 0 offset:492
	buffer_store_dword v249, off, s[0:3], 0 offset:488
	s_waitcnt vmcnt(1)
	buffer_store_dword v252, off, s[0:3], 0 offset:500
	buffer_store_dword v251, off, s[0:3], 0 offset:496
	s_waitcnt vmcnt(0)
	buffer_store_dword v1, off, s[0:3], 0 offset:504
	buffer_store_dword v2, off, s[0:3], 0 offset:508
	s_cbranch_scc1 .LBB63_268
; %bb.4:
	v_cmp_eq_u32_e64 s4, 0, v0
	s_and_saveexec_b32 s5, s4
; %bb.5:
	v_mov_b32_e32 v1, 0
	ds_write_b32 v1, v1 offset:1024
; %bb.6:
	s_or_b32 exec_lo, exec_lo, s5
	v_lshl_add_u32 v5, v0, 3, 0
	s_waitcnt lgkmcnt(0)
	s_waitcnt_vscnt null, 0x0
	s_barrier
	buffer_gl0_inv
	s_clause 0x1
	buffer_load_dword v1, v5, s[0:3], 0 offen
	buffer_load_dword v2, v5, s[0:3], 0 offen offset:4
	s_waitcnt vmcnt(1)
	v_cmp_eq_f32_e32 vcc_lo, 0, v1
	s_waitcnt vmcnt(0)
	v_cmp_eq_f32_e64 s5, 0, v2
	s_and_b32 s5, vcc_lo, s5
	s_and_saveexec_b32 s8, s5
	s_cbranch_execz .LBB63_10
; %bb.7:
	v_mov_b32_e32 v1, 0
	s_mov_b32 s9, 0
	ds_read_b32 v2, v1 offset:1024
	s_waitcnt lgkmcnt(0)
	v_readfirstlane_b32 s5, v2
	v_add_nc_u32_e32 v2, 1, v0
	s_cmp_eq_u32 s5, 0
	v_cmp_gt_i32_e32 vcc_lo, s5, v2
	s_cselect_b32 s12, -1, 0
	s_or_b32 s12, s12, vcc_lo
	s_and_b32 exec_lo, exec_lo, s12
	s_cbranch_execz .LBB63_10
; %bb.8:
	v_mov_b32_e32 v4, s5
.LBB63_9:                               ; =>This Inner Loop Header: Depth=1
	ds_cmpst_rtn_b32 v4, v1, v4, v2 offset:1024
	s_waitcnt lgkmcnt(0)
	v_cmp_ne_u32_e32 vcc_lo, 0, v4
	v_cmp_le_i32_e64 s5, v4, v2
	s_and_b32 s5, vcc_lo, s5
	s_and_b32 s5, exec_lo, s5
	s_or_b32 s9, s5, s9
	s_andn2_b32 exec_lo, exec_lo, s9
	s_cbranch_execnz .LBB63_9
.LBB63_10:
	s_or_b32 exec_lo, exec_lo, s8
	v_mov_b32_e32 v1, 0
	s_barrier
	buffer_gl0_inv
	ds_read_b32 v2, v1 offset:1024
	s_and_saveexec_b32 s5, s4
	s_cbranch_execz .LBB63_12
; %bb.11:
	s_lshl_b64 s[8:9], s[6:7], 2
	s_add_u32 s8, s10, s8
	s_addc_u32 s9, s11, s9
	s_waitcnt lgkmcnt(0)
	global_store_dword v1, v2, s[8:9]
.LBB63_12:
	s_or_b32 exec_lo, exec_lo, s5
	s_waitcnt lgkmcnt(0)
	v_cmp_ne_u32_e32 vcc_lo, 0, v2
	s_mov_b32 s5, 0
	s_cbranch_vccnz .LBB63_268
; %bb.13:
	s_clause 0x1
	buffer_load_dword v2, v5, s[0:3], 0 offen
	buffer_load_dword v4, v5, s[0:3], 0 offen offset:4
                                        ; implicit-def: $vgpr7
                                        ; implicit-def: $vgpr6
                                        ; implicit-def: $vgpr1
	s_waitcnt vmcnt(0)
	v_cmp_ngt_f32_e64 s5, |v2|, |v4|
	s_and_saveexec_b32 s8, s5
	s_xor_b32 s5, exec_lo, s8
	s_cbranch_execz .LBB63_15
; %bb.14:
	v_div_scale_f32 v1, null, v4, v4, v2
	v_div_scale_f32 v8, vcc_lo, v2, v4, v2
	v_rcp_f32_e32 v6, v1
	v_fma_f32 v7, -v1, v6, 1.0
	v_fmac_f32_e32 v6, v7, v6
	v_mul_f32_e32 v7, v8, v6
	v_fma_f32 v9, -v1, v7, v8
	v_fmac_f32_e32 v7, v9, v6
	v_fma_f32 v1, -v1, v7, v8
	v_div_fmas_f32 v1, v1, v6, v7
	v_div_fixup_f32 v1, v1, v4, v2
	v_fmac_f32_e32 v4, v2, v1
	v_div_scale_f32 v2, null, v4, v4, 1.0
	v_rcp_f32_e32 v6, v2
	v_fma_f32 v7, -v2, v6, 1.0
	v_fmac_f32_e32 v6, v7, v6
	v_div_scale_f32 v7, vcc_lo, 1.0, v4, 1.0
	v_mul_f32_e32 v8, v7, v6
	v_fma_f32 v9, -v2, v8, v7
	v_fmac_f32_e32 v8, v9, v6
	v_fma_f32 v2, -v2, v8, v7
	v_div_fmas_f32 v2, v2, v6, v8
	v_div_fixup_f32 v2, v2, v4, 1.0
                                        ; implicit-def: $vgpr4
	v_mul_f32_e32 v7, v1, v2
	v_xor_b32_e32 v6, 0x80000000, v2
                                        ; implicit-def: $vgpr2
	v_xor_b32_e32 v1, 0x80000000, v7
.LBB63_15:
	s_andn2_saveexec_b32 s5, s5
	s_cbranch_execz .LBB63_17
; %bb.16:
	v_div_scale_f32 v1, null, v2, v2, v4
	v_div_scale_f32 v8, vcc_lo, v4, v2, v4
	v_rcp_f32_e32 v6, v1
	v_fma_f32 v7, -v1, v6, 1.0
	v_fmac_f32_e32 v6, v7, v6
	v_mul_f32_e32 v7, v8, v6
	v_fma_f32 v9, -v1, v7, v8
	v_fmac_f32_e32 v7, v9, v6
	v_fma_f32 v1, -v1, v7, v8
	v_div_fmas_f32 v1, v1, v6, v7
	v_div_fixup_f32 v6, v1, v2, v4
	v_fmac_f32_e32 v2, v4, v6
	v_div_scale_f32 v1, null, v2, v2, 1.0
	v_div_scale_f32 v8, vcc_lo, 1.0, v2, 1.0
	v_rcp_f32_e32 v4, v1
	v_fma_f32 v7, -v1, v4, 1.0
	v_fmac_f32_e32 v4, v7, v4
	v_mul_f32_e32 v7, v8, v4
	v_fma_f32 v9, -v1, v7, v8
	v_fmac_f32_e32 v7, v9, v4
	v_fma_f32 v1, -v1, v7, v8
	v_div_fmas_f32 v1, v1, v4, v7
	v_div_fixup_f32 v7, v1, v2, 1.0
	v_xor_b32_e32 v1, 0x80000000, v7
	v_mul_f32_e64 v6, v6, -v7
.LBB63_17:
	s_or_b32 exec_lo, exec_lo, s5
	buffer_store_dword v7, v5, s[0:3], 0 offen
	buffer_store_dword v6, v5, s[0:3], 0 offen offset:4
	s_clause 0x1
	buffer_load_dword v8, off, s[0:3], 0 offset:12
	buffer_load_dword v7, off, s[0:3], 0 offset:8
	v_xor_b32_e32 v2, 0x80000000, v6
	v_or_b32_e32 v4, 0x200, v3
	s_waitcnt vmcnt(0)
	ds_write2st64_b64 v3, v[1:2], v[7:8] offset1:1
	s_waitcnt lgkmcnt(0)
	s_waitcnt_vscnt null, 0x0
	s_barrier
	buffer_gl0_inv
	s_and_saveexec_b32 s5, s4
	s_cbranch_execz .LBB63_19
; %bb.18:
	s_clause 0x1
	buffer_load_dword v8, v5, s[0:3], 0 offen offset:4
	buffer_load_dword v9, v5, s[0:3], 0 offen
	ds_read_b64 v[1:2], v4
	v_mov_b32_e32 v6, 0
	ds_read_b64 v[6:7], v6 offset:8
	s_waitcnt vmcnt(1) lgkmcnt(1)
	v_mul_f32_e32 v10, v1, v8
	v_mul_f32_e32 v8, v2, v8
	s_waitcnt vmcnt(0)
	v_fmac_f32_e32 v10, v2, v9
	v_fma_f32 v1, v1, v9, -v8
	v_add_f32_e32 v2, 0, v10
	v_add_f32_e32 v1, 0, v1
	s_waitcnt lgkmcnt(0)
	v_mul_f32_e32 v8, v2, v7
	v_mul_f32_e32 v7, v1, v7
	v_fma_f32 v1, v1, v6, -v8
	v_fmac_f32_e32 v7, v2, v6
	buffer_store_dword v1, off, s[0:3], 0 offset:8
	buffer_store_dword v7, off, s[0:3], 0 offset:12
.LBB63_19:
	s_or_b32 exec_lo, exec_lo, s5
	s_waitcnt_vscnt null, 0x0
	s_barrier
	buffer_gl0_inv
	s_clause 0x1
	buffer_load_dword v1, off, s[0:3], 0 offset:16
	buffer_load_dword v2, off, s[0:3], 0 offset:20
	s_mov_b32 s5, exec_lo
	s_waitcnt vmcnt(0)
	ds_write_b64 v4, v[1:2]
	s_waitcnt lgkmcnt(0)
	s_barrier
	buffer_gl0_inv
	v_cmpx_gt_u32_e32 2, v0
	s_cbranch_execz .LBB63_23
; %bb.20:
	s_clause 0x1
	buffer_load_dword v6, v5, s[0:3], 0 offen offset:4
	buffer_load_dword v5, v5, s[0:3], 0 offen
	ds_read_b64 v[1:2], v4
	s_waitcnt vmcnt(1) lgkmcnt(0)
	v_mul_f32_e32 v7, v2, v6
	v_mul_f32_e32 v6, v1, v6
	s_waitcnt vmcnt(0)
	v_fma_f32 v1, v1, v5, -v7
	v_fmac_f32_e32 v6, v2, v5
	v_add_f32_e32 v2, 0, v1
	v_add_f32_e32 v1, 0, v6
	s_and_saveexec_b32 s8, s4
	s_cbranch_execz .LBB63_22
; %bb.21:
	s_clause 0x1
	buffer_load_dword v7, off, s[0:3], 0 offset:12
	buffer_load_dword v8, off, s[0:3], 0 offset:8
	v_mov_b32_e32 v5, 0
	ds_read_b64 v[5:6], v5 offset:520
	s_waitcnt vmcnt(1) lgkmcnt(0)
	v_mul_f32_e32 v9, v5, v7
	v_mul_f32_e32 v7, v6, v7
	s_waitcnt vmcnt(0)
	v_fmac_f32_e32 v9, v6, v8
	v_fma_f32 v5, v5, v8, -v7
	v_add_f32_e32 v1, v1, v9
	v_add_f32_e32 v2, v2, v5
.LBB63_22:
	s_or_b32 exec_lo, exec_lo, s8
	v_mov_b32_e32 v5, 0
	ds_read_b64 v[5:6], v5 offset:16
	s_waitcnt lgkmcnt(0)
	v_mul_f32_e32 v7, v1, v6
	v_mul_f32_e32 v6, v2, v6
	v_fma_f32 v2, v2, v5, -v7
	v_fmac_f32_e32 v6, v1, v5
	buffer_store_dword v2, off, s[0:3], 0 offset:16
	buffer_store_dword v6, off, s[0:3], 0 offset:20
.LBB63_23:
	s_or_b32 exec_lo, exec_lo, s5
	s_waitcnt_vscnt null, 0x0
	s_barrier
	buffer_gl0_inv
	s_clause 0x1
	buffer_load_dword v5, off, s[0:3], 0 offset:24
	buffer_load_dword v6, off, s[0:3], 0 offset:28
	v_add_nc_u32_e32 v1, -1, v0
	s_mov_b32 s4, exec_lo
	s_waitcnt vmcnt(0)
	ds_write_b64 v4, v[5:6]
	s_waitcnt lgkmcnt(0)
	s_barrier
	buffer_gl0_inv
	v_cmpx_gt_u32_e32 3, v0
	s_cbranch_execz .LBB63_27
; %bb.24:
	v_add_nc_u32_e32 v5, -1, v0
	v_or_b32_e32 v6, 0x200, v3
	v_mov_b32_e32 v7, v3
	v_mov_b32_e32 v2, 0
	;; [unrolled: 1-line block ×3, first 2 shown]
	s_mov_b32 s5, 0
	.p2align	6
.LBB63_25:                              ; =>This Inner Loop Header: Depth=1
	s_clause 0x1
	buffer_load_dword v11, v7, s[0:3], 0 offen offset:4
	buffer_load_dword v12, v7, s[0:3], 0 offen
	ds_read_b64 v[9:10], v6
	v_add_nc_u32_e32 v5, 1, v5
	v_add_nc_u32_e32 v6, 8, v6
	;; [unrolled: 1-line block ×3, first 2 shown]
	v_cmp_lt_u32_e32 vcc_lo, 1, v5
	s_or_b32 s5, vcc_lo, s5
	s_waitcnt vmcnt(1) lgkmcnt(0)
	v_mul_f32_e32 v141, v10, v11
	v_mul_f32_e32 v11, v9, v11
	s_waitcnt vmcnt(0)
	v_fma_f32 v9, v9, v12, -v141
	v_fmac_f32_e32 v11, v10, v12
	v_add_f32_e32 v8, v8, v9
	v_add_f32_e32 v2, v2, v11
	s_andn2_b32 exec_lo, exec_lo, s5
	s_cbranch_execnz .LBB63_25
; %bb.26:
	s_or_b32 exec_lo, exec_lo, s5
	v_mov_b32_e32 v5, 0
	ds_read_b64 v[5:6], v5 offset:24
	s_waitcnt lgkmcnt(0)
	v_mul_f32_e32 v7, v2, v6
	v_mul_f32_e32 v6, v8, v6
	v_fma_f32 v7, v8, v5, -v7
	v_fmac_f32_e32 v6, v2, v5
	buffer_store_dword v7, off, s[0:3], 0 offset:24
	buffer_store_dword v6, off, s[0:3], 0 offset:28
.LBB63_27:
	s_or_b32 exec_lo, exec_lo, s4
	s_waitcnt_vscnt null, 0x0
	s_barrier
	buffer_gl0_inv
	s_clause 0x1
	buffer_load_dword v5, off, s[0:3], 0 offset:32
	buffer_load_dword v6, off, s[0:3], 0 offset:36
	s_mov_b32 s4, exec_lo
	s_waitcnt vmcnt(0)
	ds_write_b64 v4, v[5:6]
	s_waitcnt lgkmcnt(0)
	s_barrier
	buffer_gl0_inv
	v_cmpx_gt_u32_e32 4, v0
	s_cbranch_execz .LBB63_31
; %bb.28:
	v_add_nc_u32_e32 v5, -1, v0
	v_or_b32_e32 v6, 0x200, v3
	v_mov_b32_e32 v7, v3
	v_mov_b32_e32 v2, 0
	;; [unrolled: 1-line block ×3, first 2 shown]
	s_mov_b32 s5, 0
	.p2align	6
.LBB63_29:                              ; =>This Inner Loop Header: Depth=1
	s_clause 0x1
	buffer_load_dword v11, v7, s[0:3], 0 offen offset:4
	buffer_load_dword v12, v7, s[0:3], 0 offen
	ds_read_b64 v[9:10], v6
	v_add_nc_u32_e32 v5, 1, v5
	v_add_nc_u32_e32 v6, 8, v6
	;; [unrolled: 1-line block ×3, first 2 shown]
	v_cmp_lt_u32_e32 vcc_lo, 2, v5
	s_or_b32 s5, vcc_lo, s5
	s_waitcnt vmcnt(1) lgkmcnt(0)
	v_mul_f32_e32 v141, v10, v11
	v_mul_f32_e32 v11, v9, v11
	s_waitcnt vmcnt(0)
	v_fma_f32 v9, v9, v12, -v141
	v_fmac_f32_e32 v11, v10, v12
	v_add_f32_e32 v8, v8, v9
	v_add_f32_e32 v2, v2, v11
	s_andn2_b32 exec_lo, exec_lo, s5
	s_cbranch_execnz .LBB63_29
; %bb.30:
	s_or_b32 exec_lo, exec_lo, s5
	v_mov_b32_e32 v5, 0
	ds_read_b64 v[5:6], v5 offset:32
	s_waitcnt lgkmcnt(0)
	v_mul_f32_e32 v7, v2, v6
	v_mul_f32_e32 v6, v8, v6
	v_fma_f32 v7, v8, v5, -v7
	v_fmac_f32_e32 v6, v2, v5
	buffer_store_dword v7, off, s[0:3], 0 offset:32
	buffer_store_dword v6, off, s[0:3], 0 offset:36
.LBB63_31:
	s_or_b32 exec_lo, exec_lo, s4
	s_waitcnt_vscnt null, 0x0
	s_barrier
	buffer_gl0_inv
	s_clause 0x1
	buffer_load_dword v5, off, s[0:3], 0 offset:40
	buffer_load_dword v6, off, s[0:3], 0 offset:44
	s_mov_b32 s4, exec_lo
	s_waitcnt vmcnt(0)
	ds_write_b64 v4, v[5:6]
	s_waitcnt lgkmcnt(0)
	s_barrier
	buffer_gl0_inv
	v_cmpx_gt_u32_e32 5, v0
	s_cbranch_execz .LBB63_35
; %bb.32:
	v_add_nc_u32_e32 v5, -1, v0
	v_or_b32_e32 v6, 0x200, v3
	v_mov_b32_e32 v7, v3
	v_mov_b32_e32 v2, 0
	;; [unrolled: 1-line block ×3, first 2 shown]
	s_mov_b32 s5, 0
	.p2align	6
.LBB63_33:                              ; =>This Inner Loop Header: Depth=1
	s_clause 0x1
	buffer_load_dword v11, v7, s[0:3], 0 offen offset:4
	buffer_load_dword v12, v7, s[0:3], 0 offen
	ds_read_b64 v[9:10], v6
	v_add_nc_u32_e32 v5, 1, v5
	v_add_nc_u32_e32 v6, 8, v6
	;; [unrolled: 1-line block ×3, first 2 shown]
	v_cmp_lt_u32_e32 vcc_lo, 3, v5
	s_or_b32 s5, vcc_lo, s5
	s_waitcnt vmcnt(1) lgkmcnt(0)
	v_mul_f32_e32 v141, v10, v11
	v_mul_f32_e32 v11, v9, v11
	s_waitcnt vmcnt(0)
	v_fma_f32 v9, v9, v12, -v141
	v_fmac_f32_e32 v11, v10, v12
	v_add_f32_e32 v8, v8, v9
	v_add_f32_e32 v2, v2, v11
	s_andn2_b32 exec_lo, exec_lo, s5
	s_cbranch_execnz .LBB63_33
; %bb.34:
	s_or_b32 exec_lo, exec_lo, s5
	v_mov_b32_e32 v5, 0
	ds_read_b64 v[5:6], v5 offset:40
	s_waitcnt lgkmcnt(0)
	v_mul_f32_e32 v7, v2, v6
	v_mul_f32_e32 v6, v8, v6
	v_fma_f32 v7, v8, v5, -v7
	v_fmac_f32_e32 v6, v2, v5
	buffer_store_dword v7, off, s[0:3], 0 offset:40
	buffer_store_dword v6, off, s[0:3], 0 offset:44
.LBB63_35:
	s_or_b32 exec_lo, exec_lo, s4
	s_waitcnt_vscnt null, 0x0
	s_barrier
	buffer_gl0_inv
	s_clause 0x1
	buffer_load_dword v5, off, s[0:3], 0 offset:48
	buffer_load_dword v6, off, s[0:3], 0 offset:52
	s_mov_b32 s4, exec_lo
	s_waitcnt vmcnt(0)
	ds_write_b64 v4, v[5:6]
	s_waitcnt lgkmcnt(0)
	s_barrier
	buffer_gl0_inv
	v_cmpx_gt_u32_e32 6, v0
	s_cbranch_execz .LBB63_39
; %bb.36:
	v_add_nc_u32_e32 v5, -1, v0
	v_or_b32_e32 v6, 0x200, v3
	v_mov_b32_e32 v7, v3
	v_mov_b32_e32 v2, 0
	;; [unrolled: 1-line block ×3, first 2 shown]
	s_mov_b32 s5, 0
	.p2align	6
.LBB63_37:                              ; =>This Inner Loop Header: Depth=1
	s_clause 0x1
	buffer_load_dword v11, v7, s[0:3], 0 offen offset:4
	buffer_load_dword v12, v7, s[0:3], 0 offen
	ds_read_b64 v[9:10], v6
	v_add_nc_u32_e32 v5, 1, v5
	v_add_nc_u32_e32 v6, 8, v6
	;; [unrolled: 1-line block ×3, first 2 shown]
	v_cmp_lt_u32_e32 vcc_lo, 4, v5
	s_or_b32 s5, vcc_lo, s5
	s_waitcnt vmcnt(1) lgkmcnt(0)
	v_mul_f32_e32 v141, v10, v11
	v_mul_f32_e32 v11, v9, v11
	s_waitcnt vmcnt(0)
	v_fma_f32 v9, v9, v12, -v141
	v_fmac_f32_e32 v11, v10, v12
	v_add_f32_e32 v8, v8, v9
	v_add_f32_e32 v2, v2, v11
	s_andn2_b32 exec_lo, exec_lo, s5
	s_cbranch_execnz .LBB63_37
; %bb.38:
	s_or_b32 exec_lo, exec_lo, s5
	v_mov_b32_e32 v5, 0
	ds_read_b64 v[5:6], v5 offset:48
	s_waitcnt lgkmcnt(0)
	v_mul_f32_e32 v7, v2, v6
	v_mul_f32_e32 v6, v8, v6
	v_fma_f32 v7, v8, v5, -v7
	v_fmac_f32_e32 v6, v2, v5
	buffer_store_dword v7, off, s[0:3], 0 offset:48
	buffer_store_dword v6, off, s[0:3], 0 offset:52
.LBB63_39:
	s_or_b32 exec_lo, exec_lo, s4
	s_waitcnt_vscnt null, 0x0
	s_barrier
	buffer_gl0_inv
	s_clause 0x1
	buffer_load_dword v5, off, s[0:3], 0 offset:56
	buffer_load_dword v6, off, s[0:3], 0 offset:60
	s_mov_b32 s4, exec_lo
	s_waitcnt vmcnt(0)
	ds_write_b64 v4, v[5:6]
	s_waitcnt lgkmcnt(0)
	s_barrier
	buffer_gl0_inv
	v_cmpx_gt_u32_e32 7, v0
	s_cbranch_execz .LBB63_43
; %bb.40:
	v_add_nc_u32_e32 v5, -1, v0
	v_or_b32_e32 v6, 0x200, v3
	v_mov_b32_e32 v7, v3
	v_mov_b32_e32 v2, 0
	;; [unrolled: 1-line block ×3, first 2 shown]
	s_mov_b32 s5, 0
	.p2align	6
.LBB63_41:                              ; =>This Inner Loop Header: Depth=1
	s_clause 0x1
	buffer_load_dword v11, v7, s[0:3], 0 offen offset:4
	buffer_load_dword v12, v7, s[0:3], 0 offen
	ds_read_b64 v[9:10], v6
	v_add_nc_u32_e32 v5, 1, v5
	v_add_nc_u32_e32 v6, 8, v6
	;; [unrolled: 1-line block ×3, first 2 shown]
	v_cmp_lt_u32_e32 vcc_lo, 5, v5
	s_or_b32 s5, vcc_lo, s5
	s_waitcnt vmcnt(1) lgkmcnt(0)
	v_mul_f32_e32 v141, v10, v11
	v_mul_f32_e32 v11, v9, v11
	s_waitcnt vmcnt(0)
	v_fma_f32 v9, v9, v12, -v141
	v_fmac_f32_e32 v11, v10, v12
	v_add_f32_e32 v8, v8, v9
	v_add_f32_e32 v2, v2, v11
	s_andn2_b32 exec_lo, exec_lo, s5
	s_cbranch_execnz .LBB63_41
; %bb.42:
	s_or_b32 exec_lo, exec_lo, s5
	v_mov_b32_e32 v5, 0
	ds_read_b64 v[5:6], v5 offset:56
	s_waitcnt lgkmcnt(0)
	v_mul_f32_e32 v7, v2, v6
	v_mul_f32_e32 v6, v8, v6
	v_fma_f32 v7, v8, v5, -v7
	v_fmac_f32_e32 v6, v2, v5
	buffer_store_dword v7, off, s[0:3], 0 offset:56
	buffer_store_dword v6, off, s[0:3], 0 offset:60
.LBB63_43:
	s_or_b32 exec_lo, exec_lo, s4
	s_waitcnt_vscnt null, 0x0
	s_barrier
	buffer_gl0_inv
	s_clause 0x1
	buffer_load_dword v5, off, s[0:3], 0 offset:64
	buffer_load_dword v6, off, s[0:3], 0 offset:68
	s_mov_b32 s4, exec_lo
	s_waitcnt vmcnt(0)
	ds_write_b64 v4, v[5:6]
	s_waitcnt lgkmcnt(0)
	s_barrier
	buffer_gl0_inv
	v_cmpx_gt_u32_e32 8, v0
	s_cbranch_execz .LBB63_47
; %bb.44:
	v_add_nc_u32_e32 v5, -1, v0
	v_or_b32_e32 v6, 0x200, v3
	v_mov_b32_e32 v7, v3
	v_mov_b32_e32 v2, 0
	;; [unrolled: 1-line block ×3, first 2 shown]
	s_mov_b32 s5, 0
	.p2align	6
.LBB63_45:                              ; =>This Inner Loop Header: Depth=1
	s_clause 0x1
	buffer_load_dword v11, v7, s[0:3], 0 offen offset:4
	buffer_load_dword v12, v7, s[0:3], 0 offen
	ds_read_b64 v[9:10], v6
	v_add_nc_u32_e32 v5, 1, v5
	v_add_nc_u32_e32 v6, 8, v6
	;; [unrolled: 1-line block ×3, first 2 shown]
	v_cmp_lt_u32_e32 vcc_lo, 6, v5
	s_or_b32 s5, vcc_lo, s5
	s_waitcnt vmcnt(1) lgkmcnt(0)
	v_mul_f32_e32 v141, v10, v11
	v_mul_f32_e32 v11, v9, v11
	s_waitcnt vmcnt(0)
	v_fma_f32 v9, v9, v12, -v141
	v_fmac_f32_e32 v11, v10, v12
	v_add_f32_e32 v8, v8, v9
	v_add_f32_e32 v2, v2, v11
	s_andn2_b32 exec_lo, exec_lo, s5
	s_cbranch_execnz .LBB63_45
; %bb.46:
	s_or_b32 exec_lo, exec_lo, s5
	v_mov_b32_e32 v5, 0
	ds_read_b64 v[5:6], v5 offset:64
	s_waitcnt lgkmcnt(0)
	v_mul_f32_e32 v7, v2, v6
	v_mul_f32_e32 v6, v8, v6
	v_fma_f32 v7, v8, v5, -v7
	v_fmac_f32_e32 v6, v2, v5
	buffer_store_dword v7, off, s[0:3], 0 offset:64
	buffer_store_dword v6, off, s[0:3], 0 offset:68
.LBB63_47:
	s_or_b32 exec_lo, exec_lo, s4
	s_waitcnt_vscnt null, 0x0
	s_barrier
	buffer_gl0_inv
	s_clause 0x1
	buffer_load_dword v5, off, s[0:3], 0 offset:72
	buffer_load_dword v6, off, s[0:3], 0 offset:76
	s_mov_b32 s4, exec_lo
	s_waitcnt vmcnt(0)
	ds_write_b64 v4, v[5:6]
	s_waitcnt lgkmcnt(0)
	s_barrier
	buffer_gl0_inv
	v_cmpx_gt_u32_e32 9, v0
	s_cbranch_execz .LBB63_51
; %bb.48:
	v_add_nc_u32_e32 v5, -1, v0
	v_or_b32_e32 v6, 0x200, v3
	v_mov_b32_e32 v7, v3
	v_mov_b32_e32 v2, 0
	;; [unrolled: 1-line block ×3, first 2 shown]
	s_mov_b32 s5, 0
	.p2align	6
.LBB63_49:                              ; =>This Inner Loop Header: Depth=1
	s_clause 0x1
	buffer_load_dword v11, v7, s[0:3], 0 offen offset:4
	buffer_load_dword v12, v7, s[0:3], 0 offen
	ds_read_b64 v[9:10], v6
	v_add_nc_u32_e32 v5, 1, v5
	v_add_nc_u32_e32 v6, 8, v6
	;; [unrolled: 1-line block ×3, first 2 shown]
	v_cmp_lt_u32_e32 vcc_lo, 7, v5
	s_or_b32 s5, vcc_lo, s5
	s_waitcnt vmcnt(1) lgkmcnt(0)
	v_mul_f32_e32 v141, v10, v11
	v_mul_f32_e32 v11, v9, v11
	s_waitcnt vmcnt(0)
	v_fma_f32 v9, v9, v12, -v141
	v_fmac_f32_e32 v11, v10, v12
	v_add_f32_e32 v8, v8, v9
	v_add_f32_e32 v2, v2, v11
	s_andn2_b32 exec_lo, exec_lo, s5
	s_cbranch_execnz .LBB63_49
; %bb.50:
	s_or_b32 exec_lo, exec_lo, s5
	v_mov_b32_e32 v5, 0
	ds_read_b64 v[5:6], v5 offset:72
	s_waitcnt lgkmcnt(0)
	v_mul_f32_e32 v7, v2, v6
	v_mul_f32_e32 v6, v8, v6
	v_fma_f32 v7, v8, v5, -v7
	v_fmac_f32_e32 v6, v2, v5
	buffer_store_dword v7, off, s[0:3], 0 offset:72
	buffer_store_dword v6, off, s[0:3], 0 offset:76
.LBB63_51:
	s_or_b32 exec_lo, exec_lo, s4
	s_waitcnt_vscnt null, 0x0
	s_barrier
	buffer_gl0_inv
	s_clause 0x1
	buffer_load_dword v5, off, s[0:3], 0 offset:80
	buffer_load_dword v6, off, s[0:3], 0 offset:84
	s_mov_b32 s4, exec_lo
	s_waitcnt vmcnt(0)
	ds_write_b64 v4, v[5:6]
	s_waitcnt lgkmcnt(0)
	s_barrier
	buffer_gl0_inv
	v_cmpx_gt_u32_e32 10, v0
	s_cbranch_execz .LBB63_55
; %bb.52:
	v_add_nc_u32_e32 v5, -1, v0
	v_or_b32_e32 v6, 0x200, v3
	v_mov_b32_e32 v7, v3
	v_mov_b32_e32 v2, 0
	;; [unrolled: 1-line block ×3, first 2 shown]
	s_mov_b32 s5, 0
	.p2align	6
.LBB63_53:                              ; =>This Inner Loop Header: Depth=1
	s_clause 0x1
	buffer_load_dword v11, v7, s[0:3], 0 offen offset:4
	buffer_load_dword v12, v7, s[0:3], 0 offen
	ds_read_b64 v[9:10], v6
	v_add_nc_u32_e32 v5, 1, v5
	v_add_nc_u32_e32 v6, 8, v6
	;; [unrolled: 1-line block ×3, first 2 shown]
	v_cmp_lt_u32_e32 vcc_lo, 8, v5
	s_or_b32 s5, vcc_lo, s5
	s_waitcnt vmcnt(1) lgkmcnt(0)
	v_mul_f32_e32 v141, v10, v11
	v_mul_f32_e32 v11, v9, v11
	s_waitcnt vmcnt(0)
	v_fma_f32 v9, v9, v12, -v141
	v_fmac_f32_e32 v11, v10, v12
	v_add_f32_e32 v8, v8, v9
	v_add_f32_e32 v2, v2, v11
	s_andn2_b32 exec_lo, exec_lo, s5
	s_cbranch_execnz .LBB63_53
; %bb.54:
	s_or_b32 exec_lo, exec_lo, s5
	v_mov_b32_e32 v5, 0
	ds_read_b64 v[5:6], v5 offset:80
	s_waitcnt lgkmcnt(0)
	v_mul_f32_e32 v7, v2, v6
	v_mul_f32_e32 v6, v8, v6
	v_fma_f32 v7, v8, v5, -v7
	v_fmac_f32_e32 v6, v2, v5
	buffer_store_dword v7, off, s[0:3], 0 offset:80
	buffer_store_dword v6, off, s[0:3], 0 offset:84
.LBB63_55:
	s_or_b32 exec_lo, exec_lo, s4
	s_waitcnt_vscnt null, 0x0
	s_barrier
	buffer_gl0_inv
	s_clause 0x1
	buffer_load_dword v5, off, s[0:3], 0 offset:88
	buffer_load_dword v6, off, s[0:3], 0 offset:92
	s_mov_b32 s4, exec_lo
	s_waitcnt vmcnt(0)
	ds_write_b64 v4, v[5:6]
	s_waitcnt lgkmcnt(0)
	s_barrier
	buffer_gl0_inv
	v_cmpx_gt_u32_e32 11, v0
	s_cbranch_execz .LBB63_59
; %bb.56:
	v_add_nc_u32_e32 v5, -1, v0
	v_or_b32_e32 v6, 0x200, v3
	v_mov_b32_e32 v7, v3
	v_mov_b32_e32 v2, 0
	;; [unrolled: 1-line block ×3, first 2 shown]
	s_mov_b32 s5, 0
	.p2align	6
.LBB63_57:                              ; =>This Inner Loop Header: Depth=1
	s_clause 0x1
	buffer_load_dword v11, v7, s[0:3], 0 offen offset:4
	buffer_load_dword v12, v7, s[0:3], 0 offen
	ds_read_b64 v[9:10], v6
	v_add_nc_u32_e32 v5, 1, v5
	v_add_nc_u32_e32 v6, 8, v6
	;; [unrolled: 1-line block ×3, first 2 shown]
	v_cmp_lt_u32_e32 vcc_lo, 9, v5
	s_or_b32 s5, vcc_lo, s5
	s_waitcnt vmcnt(1) lgkmcnt(0)
	v_mul_f32_e32 v141, v10, v11
	v_mul_f32_e32 v11, v9, v11
	s_waitcnt vmcnt(0)
	v_fma_f32 v9, v9, v12, -v141
	v_fmac_f32_e32 v11, v10, v12
	v_add_f32_e32 v8, v8, v9
	v_add_f32_e32 v2, v2, v11
	s_andn2_b32 exec_lo, exec_lo, s5
	s_cbranch_execnz .LBB63_57
; %bb.58:
	s_or_b32 exec_lo, exec_lo, s5
	v_mov_b32_e32 v5, 0
	ds_read_b64 v[5:6], v5 offset:88
	s_waitcnt lgkmcnt(0)
	v_mul_f32_e32 v7, v2, v6
	v_mul_f32_e32 v6, v8, v6
	v_fma_f32 v7, v8, v5, -v7
	v_fmac_f32_e32 v6, v2, v5
	buffer_store_dword v7, off, s[0:3], 0 offset:88
	buffer_store_dword v6, off, s[0:3], 0 offset:92
.LBB63_59:
	s_or_b32 exec_lo, exec_lo, s4
	s_waitcnt_vscnt null, 0x0
	s_barrier
	buffer_gl0_inv
	s_clause 0x1
	buffer_load_dword v5, off, s[0:3], 0 offset:96
	buffer_load_dword v6, off, s[0:3], 0 offset:100
	s_mov_b32 s4, exec_lo
	s_waitcnt vmcnt(0)
	ds_write_b64 v4, v[5:6]
	s_waitcnt lgkmcnt(0)
	s_barrier
	buffer_gl0_inv
	v_cmpx_gt_u32_e32 12, v0
	s_cbranch_execz .LBB63_63
; %bb.60:
	v_add_nc_u32_e32 v5, -1, v0
	v_or_b32_e32 v6, 0x200, v3
	v_mov_b32_e32 v7, v3
	v_mov_b32_e32 v2, 0
	;; [unrolled: 1-line block ×3, first 2 shown]
	s_mov_b32 s5, 0
	.p2align	6
.LBB63_61:                              ; =>This Inner Loop Header: Depth=1
	s_clause 0x1
	buffer_load_dword v11, v7, s[0:3], 0 offen offset:4
	buffer_load_dword v12, v7, s[0:3], 0 offen
	ds_read_b64 v[9:10], v6
	v_add_nc_u32_e32 v5, 1, v5
	v_add_nc_u32_e32 v6, 8, v6
	v_add_nc_u32_e32 v7, 8, v7
	v_cmp_lt_u32_e32 vcc_lo, 10, v5
	s_or_b32 s5, vcc_lo, s5
	s_waitcnt vmcnt(1) lgkmcnt(0)
	v_mul_f32_e32 v141, v10, v11
	v_mul_f32_e32 v11, v9, v11
	s_waitcnt vmcnt(0)
	v_fma_f32 v9, v9, v12, -v141
	v_fmac_f32_e32 v11, v10, v12
	v_add_f32_e32 v8, v8, v9
	v_add_f32_e32 v2, v2, v11
	s_andn2_b32 exec_lo, exec_lo, s5
	s_cbranch_execnz .LBB63_61
; %bb.62:
	s_or_b32 exec_lo, exec_lo, s5
	v_mov_b32_e32 v5, 0
	ds_read_b64 v[5:6], v5 offset:96
	s_waitcnt lgkmcnt(0)
	v_mul_f32_e32 v7, v2, v6
	v_mul_f32_e32 v6, v8, v6
	v_fma_f32 v7, v8, v5, -v7
	v_fmac_f32_e32 v6, v2, v5
	buffer_store_dword v7, off, s[0:3], 0 offset:96
	buffer_store_dword v6, off, s[0:3], 0 offset:100
.LBB63_63:
	s_or_b32 exec_lo, exec_lo, s4
	s_waitcnt_vscnt null, 0x0
	s_barrier
	buffer_gl0_inv
	s_clause 0x1
	buffer_load_dword v5, off, s[0:3], 0 offset:104
	buffer_load_dword v6, off, s[0:3], 0 offset:108
	s_mov_b32 s4, exec_lo
	s_waitcnt vmcnt(0)
	ds_write_b64 v4, v[5:6]
	s_waitcnt lgkmcnt(0)
	s_barrier
	buffer_gl0_inv
	v_cmpx_gt_u32_e32 13, v0
	s_cbranch_execz .LBB63_67
; %bb.64:
	v_add_nc_u32_e32 v5, -1, v0
	v_or_b32_e32 v6, 0x200, v3
	v_mov_b32_e32 v7, v3
	v_mov_b32_e32 v2, 0
	;; [unrolled: 1-line block ×3, first 2 shown]
	s_mov_b32 s5, 0
	.p2align	6
.LBB63_65:                              ; =>This Inner Loop Header: Depth=1
	s_clause 0x1
	buffer_load_dword v11, v7, s[0:3], 0 offen offset:4
	buffer_load_dword v12, v7, s[0:3], 0 offen
	ds_read_b64 v[9:10], v6
	v_add_nc_u32_e32 v5, 1, v5
	v_add_nc_u32_e32 v6, 8, v6
	;; [unrolled: 1-line block ×3, first 2 shown]
	v_cmp_lt_u32_e32 vcc_lo, 11, v5
	s_or_b32 s5, vcc_lo, s5
	s_waitcnt vmcnt(1) lgkmcnt(0)
	v_mul_f32_e32 v141, v10, v11
	v_mul_f32_e32 v11, v9, v11
	s_waitcnt vmcnt(0)
	v_fma_f32 v9, v9, v12, -v141
	v_fmac_f32_e32 v11, v10, v12
	v_add_f32_e32 v8, v8, v9
	v_add_f32_e32 v2, v2, v11
	s_andn2_b32 exec_lo, exec_lo, s5
	s_cbranch_execnz .LBB63_65
; %bb.66:
	s_or_b32 exec_lo, exec_lo, s5
	v_mov_b32_e32 v5, 0
	ds_read_b64 v[5:6], v5 offset:104
	s_waitcnt lgkmcnt(0)
	v_mul_f32_e32 v7, v2, v6
	v_mul_f32_e32 v6, v8, v6
	v_fma_f32 v7, v8, v5, -v7
	v_fmac_f32_e32 v6, v2, v5
	buffer_store_dword v7, off, s[0:3], 0 offset:104
	buffer_store_dword v6, off, s[0:3], 0 offset:108
.LBB63_67:
	s_or_b32 exec_lo, exec_lo, s4
	s_waitcnt_vscnt null, 0x0
	s_barrier
	buffer_gl0_inv
	s_clause 0x1
	buffer_load_dword v5, off, s[0:3], 0 offset:112
	buffer_load_dword v6, off, s[0:3], 0 offset:116
	s_mov_b32 s4, exec_lo
	s_waitcnt vmcnt(0)
	ds_write_b64 v4, v[5:6]
	s_waitcnt lgkmcnt(0)
	s_barrier
	buffer_gl0_inv
	v_cmpx_gt_u32_e32 14, v0
	s_cbranch_execz .LBB63_71
; %bb.68:
	v_add_nc_u32_e32 v5, -1, v0
	v_or_b32_e32 v6, 0x200, v3
	v_mov_b32_e32 v7, v3
	v_mov_b32_e32 v2, 0
	;; [unrolled: 1-line block ×3, first 2 shown]
	s_mov_b32 s5, 0
	.p2align	6
.LBB63_69:                              ; =>This Inner Loop Header: Depth=1
	s_clause 0x1
	buffer_load_dword v11, v7, s[0:3], 0 offen offset:4
	buffer_load_dword v12, v7, s[0:3], 0 offen
	ds_read_b64 v[9:10], v6
	v_add_nc_u32_e32 v5, 1, v5
	v_add_nc_u32_e32 v6, 8, v6
	;; [unrolled: 1-line block ×3, first 2 shown]
	v_cmp_lt_u32_e32 vcc_lo, 12, v5
	s_or_b32 s5, vcc_lo, s5
	s_waitcnt vmcnt(1) lgkmcnt(0)
	v_mul_f32_e32 v141, v10, v11
	v_mul_f32_e32 v11, v9, v11
	s_waitcnt vmcnt(0)
	v_fma_f32 v9, v9, v12, -v141
	v_fmac_f32_e32 v11, v10, v12
	v_add_f32_e32 v8, v8, v9
	v_add_f32_e32 v2, v2, v11
	s_andn2_b32 exec_lo, exec_lo, s5
	s_cbranch_execnz .LBB63_69
; %bb.70:
	s_or_b32 exec_lo, exec_lo, s5
	v_mov_b32_e32 v5, 0
	ds_read_b64 v[5:6], v5 offset:112
	s_waitcnt lgkmcnt(0)
	v_mul_f32_e32 v7, v2, v6
	v_mul_f32_e32 v6, v8, v6
	v_fma_f32 v7, v8, v5, -v7
	v_fmac_f32_e32 v6, v2, v5
	buffer_store_dword v7, off, s[0:3], 0 offset:112
	buffer_store_dword v6, off, s[0:3], 0 offset:116
.LBB63_71:
	s_or_b32 exec_lo, exec_lo, s4
	s_waitcnt_vscnt null, 0x0
	s_barrier
	buffer_gl0_inv
	s_clause 0x1
	buffer_load_dword v5, off, s[0:3], 0 offset:120
	buffer_load_dword v6, off, s[0:3], 0 offset:124
	s_mov_b32 s4, exec_lo
	s_waitcnt vmcnt(0)
	ds_write_b64 v4, v[5:6]
	s_waitcnt lgkmcnt(0)
	s_barrier
	buffer_gl0_inv
	v_cmpx_gt_u32_e32 15, v0
	s_cbranch_execz .LBB63_75
; %bb.72:
	v_add_nc_u32_e32 v5, -1, v0
	v_or_b32_e32 v6, 0x200, v3
	v_mov_b32_e32 v7, v3
	v_mov_b32_e32 v2, 0
	;; [unrolled: 1-line block ×3, first 2 shown]
	s_mov_b32 s5, 0
	.p2align	6
.LBB63_73:                              ; =>This Inner Loop Header: Depth=1
	s_clause 0x1
	buffer_load_dword v11, v7, s[0:3], 0 offen offset:4
	buffer_load_dword v12, v7, s[0:3], 0 offen
	ds_read_b64 v[9:10], v6
	v_add_nc_u32_e32 v5, 1, v5
	v_add_nc_u32_e32 v6, 8, v6
	;; [unrolled: 1-line block ×3, first 2 shown]
	v_cmp_lt_u32_e32 vcc_lo, 13, v5
	s_or_b32 s5, vcc_lo, s5
	s_waitcnt vmcnt(1) lgkmcnt(0)
	v_mul_f32_e32 v141, v10, v11
	v_mul_f32_e32 v11, v9, v11
	s_waitcnt vmcnt(0)
	v_fma_f32 v9, v9, v12, -v141
	v_fmac_f32_e32 v11, v10, v12
	v_add_f32_e32 v8, v8, v9
	v_add_f32_e32 v2, v2, v11
	s_andn2_b32 exec_lo, exec_lo, s5
	s_cbranch_execnz .LBB63_73
; %bb.74:
	s_or_b32 exec_lo, exec_lo, s5
	v_mov_b32_e32 v5, 0
	ds_read_b64 v[5:6], v5 offset:120
	s_waitcnt lgkmcnt(0)
	v_mul_f32_e32 v7, v2, v6
	v_mul_f32_e32 v6, v8, v6
	v_fma_f32 v7, v8, v5, -v7
	v_fmac_f32_e32 v6, v2, v5
	buffer_store_dword v7, off, s[0:3], 0 offset:120
	buffer_store_dword v6, off, s[0:3], 0 offset:124
.LBB63_75:
	s_or_b32 exec_lo, exec_lo, s4
	s_waitcnt_vscnt null, 0x0
	s_barrier
	buffer_gl0_inv
	s_clause 0x1
	buffer_load_dword v5, off, s[0:3], 0 offset:128
	buffer_load_dword v6, off, s[0:3], 0 offset:132
	s_mov_b32 s4, exec_lo
	s_waitcnt vmcnt(0)
	ds_write_b64 v4, v[5:6]
	s_waitcnt lgkmcnt(0)
	s_barrier
	buffer_gl0_inv
	v_cmpx_gt_u32_e32 16, v0
	s_cbranch_execz .LBB63_79
; %bb.76:
	v_add_nc_u32_e32 v5, -1, v0
	v_or_b32_e32 v6, 0x200, v3
	v_mov_b32_e32 v7, v3
	v_mov_b32_e32 v2, 0
	;; [unrolled: 1-line block ×3, first 2 shown]
	s_mov_b32 s5, 0
	.p2align	6
.LBB63_77:                              ; =>This Inner Loop Header: Depth=1
	s_clause 0x1
	buffer_load_dword v11, v7, s[0:3], 0 offen offset:4
	buffer_load_dword v12, v7, s[0:3], 0 offen
	ds_read_b64 v[9:10], v6
	v_add_nc_u32_e32 v5, 1, v5
	v_add_nc_u32_e32 v6, 8, v6
	;; [unrolled: 1-line block ×3, first 2 shown]
	v_cmp_lt_u32_e32 vcc_lo, 14, v5
	s_or_b32 s5, vcc_lo, s5
	s_waitcnt vmcnt(1) lgkmcnt(0)
	v_mul_f32_e32 v141, v10, v11
	v_mul_f32_e32 v11, v9, v11
	s_waitcnt vmcnt(0)
	v_fma_f32 v9, v9, v12, -v141
	v_fmac_f32_e32 v11, v10, v12
	v_add_f32_e32 v8, v8, v9
	v_add_f32_e32 v2, v2, v11
	s_andn2_b32 exec_lo, exec_lo, s5
	s_cbranch_execnz .LBB63_77
; %bb.78:
	s_or_b32 exec_lo, exec_lo, s5
	v_mov_b32_e32 v5, 0
	ds_read_b64 v[5:6], v5 offset:128
	s_waitcnt lgkmcnt(0)
	v_mul_f32_e32 v7, v2, v6
	v_mul_f32_e32 v6, v8, v6
	v_fma_f32 v7, v8, v5, -v7
	v_fmac_f32_e32 v6, v2, v5
	buffer_store_dword v7, off, s[0:3], 0 offset:128
	buffer_store_dword v6, off, s[0:3], 0 offset:132
.LBB63_79:
	s_or_b32 exec_lo, exec_lo, s4
	s_waitcnt_vscnt null, 0x0
	s_barrier
	buffer_gl0_inv
	s_clause 0x1
	buffer_load_dword v5, off, s[0:3], 0 offset:136
	buffer_load_dword v6, off, s[0:3], 0 offset:140
	s_mov_b32 s4, exec_lo
	s_waitcnt vmcnt(0)
	ds_write_b64 v4, v[5:6]
	s_waitcnt lgkmcnt(0)
	s_barrier
	buffer_gl0_inv
	v_cmpx_gt_u32_e32 17, v0
	s_cbranch_execz .LBB63_83
; %bb.80:
	v_add_nc_u32_e32 v5, -1, v0
	v_or_b32_e32 v6, 0x200, v3
	v_mov_b32_e32 v7, v3
	v_mov_b32_e32 v2, 0
	;; [unrolled: 1-line block ×3, first 2 shown]
	s_mov_b32 s5, 0
	.p2align	6
.LBB63_81:                              ; =>This Inner Loop Header: Depth=1
	s_clause 0x1
	buffer_load_dword v11, v7, s[0:3], 0 offen offset:4
	buffer_load_dword v12, v7, s[0:3], 0 offen
	ds_read_b64 v[9:10], v6
	v_add_nc_u32_e32 v5, 1, v5
	v_add_nc_u32_e32 v6, 8, v6
	;; [unrolled: 1-line block ×3, first 2 shown]
	v_cmp_lt_u32_e32 vcc_lo, 15, v5
	s_or_b32 s5, vcc_lo, s5
	s_waitcnt vmcnt(1) lgkmcnt(0)
	v_mul_f32_e32 v141, v10, v11
	v_mul_f32_e32 v11, v9, v11
	s_waitcnt vmcnt(0)
	v_fma_f32 v9, v9, v12, -v141
	v_fmac_f32_e32 v11, v10, v12
	v_add_f32_e32 v8, v8, v9
	v_add_f32_e32 v2, v2, v11
	s_andn2_b32 exec_lo, exec_lo, s5
	s_cbranch_execnz .LBB63_81
; %bb.82:
	s_or_b32 exec_lo, exec_lo, s5
	v_mov_b32_e32 v5, 0
	ds_read_b64 v[5:6], v5 offset:136
	s_waitcnt lgkmcnt(0)
	v_mul_f32_e32 v7, v2, v6
	v_mul_f32_e32 v6, v8, v6
	v_fma_f32 v7, v8, v5, -v7
	v_fmac_f32_e32 v6, v2, v5
	buffer_store_dword v7, off, s[0:3], 0 offset:136
	buffer_store_dword v6, off, s[0:3], 0 offset:140
.LBB63_83:
	s_or_b32 exec_lo, exec_lo, s4
	s_waitcnt_vscnt null, 0x0
	s_barrier
	buffer_gl0_inv
	s_clause 0x1
	buffer_load_dword v5, off, s[0:3], 0 offset:144
	buffer_load_dword v6, off, s[0:3], 0 offset:148
	s_mov_b32 s4, exec_lo
	s_waitcnt vmcnt(0)
	ds_write_b64 v4, v[5:6]
	s_waitcnt lgkmcnt(0)
	s_barrier
	buffer_gl0_inv
	v_cmpx_gt_u32_e32 18, v0
	s_cbranch_execz .LBB63_87
; %bb.84:
	v_add_nc_u32_e32 v5, -1, v0
	v_or_b32_e32 v6, 0x200, v3
	v_mov_b32_e32 v7, v3
	v_mov_b32_e32 v2, 0
	v_mov_b32_e32 v8, 0
	s_mov_b32 s5, 0
	.p2align	6
.LBB63_85:                              ; =>This Inner Loop Header: Depth=1
	s_clause 0x1
	buffer_load_dword v11, v7, s[0:3], 0 offen offset:4
	buffer_load_dword v12, v7, s[0:3], 0 offen
	ds_read_b64 v[9:10], v6
	v_add_nc_u32_e32 v5, 1, v5
	v_add_nc_u32_e32 v6, 8, v6
	;; [unrolled: 1-line block ×3, first 2 shown]
	v_cmp_lt_u32_e32 vcc_lo, 16, v5
	s_or_b32 s5, vcc_lo, s5
	s_waitcnt vmcnt(1) lgkmcnt(0)
	v_mul_f32_e32 v141, v10, v11
	v_mul_f32_e32 v11, v9, v11
	s_waitcnt vmcnt(0)
	v_fma_f32 v9, v9, v12, -v141
	v_fmac_f32_e32 v11, v10, v12
	v_add_f32_e32 v8, v8, v9
	v_add_f32_e32 v2, v2, v11
	s_andn2_b32 exec_lo, exec_lo, s5
	s_cbranch_execnz .LBB63_85
; %bb.86:
	s_or_b32 exec_lo, exec_lo, s5
	v_mov_b32_e32 v5, 0
	ds_read_b64 v[5:6], v5 offset:144
	s_waitcnt lgkmcnt(0)
	v_mul_f32_e32 v7, v2, v6
	v_mul_f32_e32 v6, v8, v6
	v_fma_f32 v7, v8, v5, -v7
	v_fmac_f32_e32 v6, v2, v5
	buffer_store_dword v7, off, s[0:3], 0 offset:144
	buffer_store_dword v6, off, s[0:3], 0 offset:148
.LBB63_87:
	s_or_b32 exec_lo, exec_lo, s4
	s_waitcnt_vscnt null, 0x0
	s_barrier
	buffer_gl0_inv
	s_clause 0x1
	buffer_load_dword v5, off, s[0:3], 0 offset:152
	buffer_load_dword v6, off, s[0:3], 0 offset:156
	s_mov_b32 s4, exec_lo
	s_waitcnt vmcnt(0)
	ds_write_b64 v4, v[5:6]
	s_waitcnt lgkmcnt(0)
	s_barrier
	buffer_gl0_inv
	v_cmpx_gt_u32_e32 19, v0
	s_cbranch_execz .LBB63_91
; %bb.88:
	v_add_nc_u32_e32 v5, -1, v0
	v_or_b32_e32 v6, 0x200, v3
	v_mov_b32_e32 v7, v3
	v_mov_b32_e32 v2, 0
	v_mov_b32_e32 v8, 0
	s_mov_b32 s5, 0
	.p2align	6
.LBB63_89:                              ; =>This Inner Loop Header: Depth=1
	s_clause 0x1
	buffer_load_dword v11, v7, s[0:3], 0 offen offset:4
	buffer_load_dword v12, v7, s[0:3], 0 offen
	ds_read_b64 v[9:10], v6
	v_add_nc_u32_e32 v5, 1, v5
	v_add_nc_u32_e32 v6, 8, v6
	;; [unrolled: 1-line block ×3, first 2 shown]
	v_cmp_lt_u32_e32 vcc_lo, 17, v5
	s_or_b32 s5, vcc_lo, s5
	s_waitcnt vmcnt(1) lgkmcnt(0)
	v_mul_f32_e32 v141, v10, v11
	v_mul_f32_e32 v11, v9, v11
	s_waitcnt vmcnt(0)
	v_fma_f32 v9, v9, v12, -v141
	v_fmac_f32_e32 v11, v10, v12
	v_add_f32_e32 v8, v8, v9
	v_add_f32_e32 v2, v2, v11
	s_andn2_b32 exec_lo, exec_lo, s5
	s_cbranch_execnz .LBB63_89
; %bb.90:
	s_or_b32 exec_lo, exec_lo, s5
	v_mov_b32_e32 v5, 0
	ds_read_b64 v[5:6], v5 offset:152
	s_waitcnt lgkmcnt(0)
	v_mul_f32_e32 v7, v2, v6
	v_mul_f32_e32 v6, v8, v6
	v_fma_f32 v7, v8, v5, -v7
	v_fmac_f32_e32 v6, v2, v5
	buffer_store_dword v7, off, s[0:3], 0 offset:152
	buffer_store_dword v6, off, s[0:3], 0 offset:156
.LBB63_91:
	s_or_b32 exec_lo, exec_lo, s4
	s_waitcnt_vscnt null, 0x0
	s_barrier
	buffer_gl0_inv
	s_clause 0x1
	buffer_load_dword v5, off, s[0:3], 0 offset:160
	buffer_load_dword v6, off, s[0:3], 0 offset:164
	s_mov_b32 s4, exec_lo
	s_waitcnt vmcnt(0)
	ds_write_b64 v4, v[5:6]
	s_waitcnt lgkmcnt(0)
	s_barrier
	buffer_gl0_inv
	v_cmpx_gt_u32_e32 20, v0
	s_cbranch_execz .LBB63_95
; %bb.92:
	v_add_nc_u32_e32 v5, -1, v0
	v_or_b32_e32 v6, 0x200, v3
	v_mov_b32_e32 v7, v3
	v_mov_b32_e32 v2, 0
	;; [unrolled: 1-line block ×3, first 2 shown]
	s_mov_b32 s5, 0
	.p2align	6
.LBB63_93:                              ; =>This Inner Loop Header: Depth=1
	s_clause 0x1
	buffer_load_dword v11, v7, s[0:3], 0 offen offset:4
	buffer_load_dword v12, v7, s[0:3], 0 offen
	ds_read_b64 v[9:10], v6
	v_add_nc_u32_e32 v5, 1, v5
	v_add_nc_u32_e32 v6, 8, v6
	;; [unrolled: 1-line block ×3, first 2 shown]
	v_cmp_lt_u32_e32 vcc_lo, 18, v5
	s_or_b32 s5, vcc_lo, s5
	s_waitcnt vmcnt(1) lgkmcnt(0)
	v_mul_f32_e32 v141, v10, v11
	v_mul_f32_e32 v11, v9, v11
	s_waitcnt vmcnt(0)
	v_fma_f32 v9, v9, v12, -v141
	v_fmac_f32_e32 v11, v10, v12
	v_add_f32_e32 v8, v8, v9
	v_add_f32_e32 v2, v2, v11
	s_andn2_b32 exec_lo, exec_lo, s5
	s_cbranch_execnz .LBB63_93
; %bb.94:
	s_or_b32 exec_lo, exec_lo, s5
	v_mov_b32_e32 v5, 0
	ds_read_b64 v[5:6], v5 offset:160
	s_waitcnt lgkmcnt(0)
	v_mul_f32_e32 v7, v2, v6
	v_mul_f32_e32 v6, v8, v6
	v_fma_f32 v7, v8, v5, -v7
	v_fmac_f32_e32 v6, v2, v5
	buffer_store_dword v7, off, s[0:3], 0 offset:160
	buffer_store_dword v6, off, s[0:3], 0 offset:164
.LBB63_95:
	s_or_b32 exec_lo, exec_lo, s4
	s_waitcnt_vscnt null, 0x0
	s_barrier
	buffer_gl0_inv
	s_clause 0x1
	buffer_load_dword v5, off, s[0:3], 0 offset:168
	buffer_load_dword v6, off, s[0:3], 0 offset:172
	s_mov_b32 s4, exec_lo
	s_waitcnt vmcnt(0)
	ds_write_b64 v4, v[5:6]
	s_waitcnt lgkmcnt(0)
	s_barrier
	buffer_gl0_inv
	v_cmpx_gt_u32_e32 21, v0
	s_cbranch_execz .LBB63_99
; %bb.96:
	v_add_nc_u32_e32 v5, -1, v0
	v_or_b32_e32 v6, 0x200, v3
	v_mov_b32_e32 v7, v3
	v_mov_b32_e32 v2, 0
	;; [unrolled: 1-line block ×3, first 2 shown]
	s_mov_b32 s5, 0
	.p2align	6
.LBB63_97:                              ; =>This Inner Loop Header: Depth=1
	s_clause 0x1
	buffer_load_dword v11, v7, s[0:3], 0 offen offset:4
	buffer_load_dword v12, v7, s[0:3], 0 offen
	ds_read_b64 v[9:10], v6
	v_add_nc_u32_e32 v5, 1, v5
	v_add_nc_u32_e32 v6, 8, v6
	;; [unrolled: 1-line block ×3, first 2 shown]
	v_cmp_lt_u32_e32 vcc_lo, 19, v5
	s_or_b32 s5, vcc_lo, s5
	s_waitcnt vmcnt(1) lgkmcnt(0)
	v_mul_f32_e32 v141, v10, v11
	v_mul_f32_e32 v11, v9, v11
	s_waitcnt vmcnt(0)
	v_fma_f32 v9, v9, v12, -v141
	v_fmac_f32_e32 v11, v10, v12
	v_add_f32_e32 v8, v8, v9
	v_add_f32_e32 v2, v2, v11
	s_andn2_b32 exec_lo, exec_lo, s5
	s_cbranch_execnz .LBB63_97
; %bb.98:
	s_or_b32 exec_lo, exec_lo, s5
	v_mov_b32_e32 v5, 0
	ds_read_b64 v[5:6], v5 offset:168
	s_waitcnt lgkmcnt(0)
	v_mul_f32_e32 v7, v2, v6
	v_mul_f32_e32 v6, v8, v6
	v_fma_f32 v7, v8, v5, -v7
	v_fmac_f32_e32 v6, v2, v5
	buffer_store_dword v7, off, s[0:3], 0 offset:168
	buffer_store_dword v6, off, s[0:3], 0 offset:172
.LBB63_99:
	s_or_b32 exec_lo, exec_lo, s4
	s_waitcnt_vscnt null, 0x0
	s_barrier
	buffer_gl0_inv
	s_clause 0x1
	buffer_load_dword v5, off, s[0:3], 0 offset:176
	buffer_load_dword v6, off, s[0:3], 0 offset:180
	s_mov_b32 s4, exec_lo
	s_waitcnt vmcnt(0)
	ds_write_b64 v4, v[5:6]
	s_waitcnt lgkmcnt(0)
	s_barrier
	buffer_gl0_inv
	v_cmpx_gt_u32_e32 22, v0
	s_cbranch_execz .LBB63_103
; %bb.100:
	v_add_nc_u32_e32 v5, -1, v0
	v_or_b32_e32 v6, 0x200, v3
	v_mov_b32_e32 v7, v3
	v_mov_b32_e32 v2, 0
	;; [unrolled: 1-line block ×3, first 2 shown]
	s_mov_b32 s5, 0
	.p2align	6
.LBB63_101:                             ; =>This Inner Loop Header: Depth=1
	s_clause 0x1
	buffer_load_dword v11, v7, s[0:3], 0 offen offset:4
	buffer_load_dword v12, v7, s[0:3], 0 offen
	ds_read_b64 v[9:10], v6
	v_add_nc_u32_e32 v5, 1, v5
	v_add_nc_u32_e32 v6, 8, v6
	;; [unrolled: 1-line block ×3, first 2 shown]
	v_cmp_lt_u32_e32 vcc_lo, 20, v5
	s_or_b32 s5, vcc_lo, s5
	s_waitcnt vmcnt(1) lgkmcnt(0)
	v_mul_f32_e32 v141, v10, v11
	v_mul_f32_e32 v11, v9, v11
	s_waitcnt vmcnt(0)
	v_fma_f32 v9, v9, v12, -v141
	v_fmac_f32_e32 v11, v10, v12
	v_add_f32_e32 v8, v8, v9
	v_add_f32_e32 v2, v2, v11
	s_andn2_b32 exec_lo, exec_lo, s5
	s_cbranch_execnz .LBB63_101
; %bb.102:
	s_or_b32 exec_lo, exec_lo, s5
	v_mov_b32_e32 v5, 0
	ds_read_b64 v[5:6], v5 offset:176
	s_waitcnt lgkmcnt(0)
	v_mul_f32_e32 v7, v2, v6
	v_mul_f32_e32 v6, v8, v6
	v_fma_f32 v7, v8, v5, -v7
	v_fmac_f32_e32 v6, v2, v5
	buffer_store_dword v7, off, s[0:3], 0 offset:176
	buffer_store_dword v6, off, s[0:3], 0 offset:180
.LBB63_103:
	s_or_b32 exec_lo, exec_lo, s4
	s_waitcnt_vscnt null, 0x0
	s_barrier
	buffer_gl0_inv
	s_clause 0x1
	buffer_load_dword v5, off, s[0:3], 0 offset:184
	buffer_load_dword v6, off, s[0:3], 0 offset:188
	s_mov_b32 s4, exec_lo
	s_waitcnt vmcnt(0)
	ds_write_b64 v4, v[5:6]
	s_waitcnt lgkmcnt(0)
	s_barrier
	buffer_gl0_inv
	v_cmpx_gt_u32_e32 23, v0
	s_cbranch_execz .LBB63_107
; %bb.104:
	v_add_nc_u32_e32 v5, -1, v0
	v_or_b32_e32 v6, 0x200, v3
	v_mov_b32_e32 v7, v3
	v_mov_b32_e32 v2, 0
	;; [unrolled: 1-line block ×3, first 2 shown]
	s_mov_b32 s5, 0
	.p2align	6
.LBB63_105:                             ; =>This Inner Loop Header: Depth=1
	s_clause 0x1
	buffer_load_dword v11, v7, s[0:3], 0 offen offset:4
	buffer_load_dword v12, v7, s[0:3], 0 offen
	ds_read_b64 v[9:10], v6
	v_add_nc_u32_e32 v5, 1, v5
	v_add_nc_u32_e32 v6, 8, v6
	;; [unrolled: 1-line block ×3, first 2 shown]
	v_cmp_lt_u32_e32 vcc_lo, 21, v5
	s_or_b32 s5, vcc_lo, s5
	s_waitcnt vmcnt(1) lgkmcnt(0)
	v_mul_f32_e32 v141, v10, v11
	v_mul_f32_e32 v11, v9, v11
	s_waitcnt vmcnt(0)
	v_fma_f32 v9, v9, v12, -v141
	v_fmac_f32_e32 v11, v10, v12
	v_add_f32_e32 v8, v8, v9
	v_add_f32_e32 v2, v2, v11
	s_andn2_b32 exec_lo, exec_lo, s5
	s_cbranch_execnz .LBB63_105
; %bb.106:
	s_or_b32 exec_lo, exec_lo, s5
	v_mov_b32_e32 v5, 0
	ds_read_b64 v[5:6], v5 offset:184
	s_waitcnt lgkmcnt(0)
	v_mul_f32_e32 v7, v2, v6
	v_mul_f32_e32 v6, v8, v6
	v_fma_f32 v7, v8, v5, -v7
	v_fmac_f32_e32 v6, v2, v5
	buffer_store_dword v7, off, s[0:3], 0 offset:184
	buffer_store_dword v6, off, s[0:3], 0 offset:188
.LBB63_107:
	s_or_b32 exec_lo, exec_lo, s4
	s_waitcnt_vscnt null, 0x0
	s_barrier
	buffer_gl0_inv
	s_clause 0x1
	buffer_load_dword v5, off, s[0:3], 0 offset:192
	buffer_load_dword v6, off, s[0:3], 0 offset:196
	s_mov_b32 s4, exec_lo
	s_waitcnt vmcnt(0)
	ds_write_b64 v4, v[5:6]
	s_waitcnt lgkmcnt(0)
	s_barrier
	buffer_gl0_inv
	v_cmpx_gt_u32_e32 24, v0
	s_cbranch_execz .LBB63_111
; %bb.108:
	v_add_nc_u32_e32 v5, -1, v0
	v_or_b32_e32 v6, 0x200, v3
	v_mov_b32_e32 v7, v3
	v_mov_b32_e32 v2, 0
	;; [unrolled: 1-line block ×3, first 2 shown]
	s_mov_b32 s5, 0
	.p2align	6
.LBB63_109:                             ; =>This Inner Loop Header: Depth=1
	s_clause 0x1
	buffer_load_dword v11, v7, s[0:3], 0 offen offset:4
	buffer_load_dword v12, v7, s[0:3], 0 offen
	ds_read_b64 v[9:10], v6
	v_add_nc_u32_e32 v5, 1, v5
	v_add_nc_u32_e32 v6, 8, v6
	;; [unrolled: 1-line block ×3, first 2 shown]
	v_cmp_lt_u32_e32 vcc_lo, 22, v5
	s_or_b32 s5, vcc_lo, s5
	s_waitcnt vmcnt(1) lgkmcnt(0)
	v_mul_f32_e32 v141, v10, v11
	v_mul_f32_e32 v11, v9, v11
	s_waitcnt vmcnt(0)
	v_fma_f32 v9, v9, v12, -v141
	v_fmac_f32_e32 v11, v10, v12
	v_add_f32_e32 v8, v8, v9
	v_add_f32_e32 v2, v2, v11
	s_andn2_b32 exec_lo, exec_lo, s5
	s_cbranch_execnz .LBB63_109
; %bb.110:
	s_or_b32 exec_lo, exec_lo, s5
	v_mov_b32_e32 v5, 0
	ds_read_b64 v[5:6], v5 offset:192
	s_waitcnt lgkmcnt(0)
	v_mul_f32_e32 v7, v2, v6
	v_mul_f32_e32 v6, v8, v6
	v_fma_f32 v7, v8, v5, -v7
	v_fmac_f32_e32 v6, v2, v5
	buffer_store_dword v7, off, s[0:3], 0 offset:192
	buffer_store_dword v6, off, s[0:3], 0 offset:196
.LBB63_111:
	s_or_b32 exec_lo, exec_lo, s4
	s_waitcnt_vscnt null, 0x0
	s_barrier
	buffer_gl0_inv
	s_clause 0x1
	buffer_load_dword v5, off, s[0:3], 0 offset:200
	buffer_load_dword v6, off, s[0:3], 0 offset:204
	s_mov_b32 s4, exec_lo
	s_waitcnt vmcnt(0)
	ds_write_b64 v4, v[5:6]
	s_waitcnt lgkmcnt(0)
	s_barrier
	buffer_gl0_inv
	v_cmpx_gt_u32_e32 25, v0
	s_cbranch_execz .LBB63_115
; %bb.112:
	v_add_nc_u32_e32 v5, -1, v0
	v_or_b32_e32 v6, 0x200, v3
	v_mov_b32_e32 v7, v3
	v_mov_b32_e32 v2, 0
	;; [unrolled: 1-line block ×3, first 2 shown]
	s_mov_b32 s5, 0
	.p2align	6
.LBB63_113:                             ; =>This Inner Loop Header: Depth=1
	s_clause 0x1
	buffer_load_dword v11, v7, s[0:3], 0 offen offset:4
	buffer_load_dword v12, v7, s[0:3], 0 offen
	ds_read_b64 v[9:10], v6
	v_add_nc_u32_e32 v5, 1, v5
	v_add_nc_u32_e32 v6, 8, v6
	;; [unrolled: 1-line block ×3, first 2 shown]
	v_cmp_lt_u32_e32 vcc_lo, 23, v5
	s_or_b32 s5, vcc_lo, s5
	s_waitcnt vmcnt(1) lgkmcnt(0)
	v_mul_f32_e32 v141, v10, v11
	v_mul_f32_e32 v11, v9, v11
	s_waitcnt vmcnt(0)
	v_fma_f32 v9, v9, v12, -v141
	v_fmac_f32_e32 v11, v10, v12
	v_add_f32_e32 v8, v8, v9
	v_add_f32_e32 v2, v2, v11
	s_andn2_b32 exec_lo, exec_lo, s5
	s_cbranch_execnz .LBB63_113
; %bb.114:
	s_or_b32 exec_lo, exec_lo, s5
	v_mov_b32_e32 v5, 0
	ds_read_b64 v[5:6], v5 offset:200
	s_waitcnt lgkmcnt(0)
	v_mul_f32_e32 v7, v2, v6
	v_mul_f32_e32 v6, v8, v6
	v_fma_f32 v7, v8, v5, -v7
	v_fmac_f32_e32 v6, v2, v5
	buffer_store_dword v7, off, s[0:3], 0 offset:200
	buffer_store_dword v6, off, s[0:3], 0 offset:204
.LBB63_115:
	s_or_b32 exec_lo, exec_lo, s4
	s_waitcnt_vscnt null, 0x0
	s_barrier
	buffer_gl0_inv
	s_clause 0x1
	buffer_load_dword v5, off, s[0:3], 0 offset:208
	buffer_load_dword v6, off, s[0:3], 0 offset:212
	s_mov_b32 s4, exec_lo
	s_waitcnt vmcnt(0)
	ds_write_b64 v4, v[5:6]
	s_waitcnt lgkmcnt(0)
	s_barrier
	buffer_gl0_inv
	v_cmpx_gt_u32_e32 26, v0
	s_cbranch_execz .LBB63_119
; %bb.116:
	v_add_nc_u32_e32 v5, -1, v0
	v_or_b32_e32 v6, 0x200, v3
	v_mov_b32_e32 v7, v3
	v_mov_b32_e32 v2, 0
	;; [unrolled: 1-line block ×3, first 2 shown]
	s_mov_b32 s5, 0
	.p2align	6
.LBB63_117:                             ; =>This Inner Loop Header: Depth=1
	s_clause 0x1
	buffer_load_dword v11, v7, s[0:3], 0 offen offset:4
	buffer_load_dword v12, v7, s[0:3], 0 offen
	ds_read_b64 v[9:10], v6
	v_add_nc_u32_e32 v5, 1, v5
	v_add_nc_u32_e32 v6, 8, v6
	v_add_nc_u32_e32 v7, 8, v7
	v_cmp_lt_u32_e32 vcc_lo, 24, v5
	s_or_b32 s5, vcc_lo, s5
	s_waitcnt vmcnt(1) lgkmcnt(0)
	v_mul_f32_e32 v141, v10, v11
	v_mul_f32_e32 v11, v9, v11
	s_waitcnt vmcnt(0)
	v_fma_f32 v9, v9, v12, -v141
	v_fmac_f32_e32 v11, v10, v12
	v_add_f32_e32 v8, v8, v9
	v_add_f32_e32 v2, v2, v11
	s_andn2_b32 exec_lo, exec_lo, s5
	s_cbranch_execnz .LBB63_117
; %bb.118:
	s_or_b32 exec_lo, exec_lo, s5
	v_mov_b32_e32 v5, 0
	ds_read_b64 v[5:6], v5 offset:208
	s_waitcnt lgkmcnt(0)
	v_mul_f32_e32 v7, v2, v6
	v_mul_f32_e32 v6, v8, v6
	v_fma_f32 v7, v8, v5, -v7
	v_fmac_f32_e32 v6, v2, v5
	buffer_store_dword v7, off, s[0:3], 0 offset:208
	buffer_store_dword v6, off, s[0:3], 0 offset:212
.LBB63_119:
	s_or_b32 exec_lo, exec_lo, s4
	s_waitcnt_vscnt null, 0x0
	s_barrier
	buffer_gl0_inv
	s_clause 0x1
	buffer_load_dword v5, off, s[0:3], 0 offset:216
	buffer_load_dword v6, off, s[0:3], 0 offset:220
	s_mov_b32 s4, exec_lo
	s_waitcnt vmcnt(0)
	ds_write_b64 v4, v[5:6]
	s_waitcnt lgkmcnt(0)
	s_barrier
	buffer_gl0_inv
	v_cmpx_gt_u32_e32 27, v0
	s_cbranch_execz .LBB63_123
; %bb.120:
	v_add_nc_u32_e32 v5, -1, v0
	v_or_b32_e32 v6, 0x200, v3
	v_mov_b32_e32 v7, v3
	v_mov_b32_e32 v2, 0
	;; [unrolled: 1-line block ×3, first 2 shown]
	s_mov_b32 s5, 0
	.p2align	6
.LBB63_121:                             ; =>This Inner Loop Header: Depth=1
	s_clause 0x1
	buffer_load_dword v11, v7, s[0:3], 0 offen offset:4
	buffer_load_dword v12, v7, s[0:3], 0 offen
	ds_read_b64 v[9:10], v6
	v_add_nc_u32_e32 v5, 1, v5
	v_add_nc_u32_e32 v6, 8, v6
	;; [unrolled: 1-line block ×3, first 2 shown]
	v_cmp_lt_u32_e32 vcc_lo, 25, v5
	s_or_b32 s5, vcc_lo, s5
	s_waitcnt vmcnt(1) lgkmcnt(0)
	v_mul_f32_e32 v141, v10, v11
	v_mul_f32_e32 v11, v9, v11
	s_waitcnt vmcnt(0)
	v_fma_f32 v9, v9, v12, -v141
	v_fmac_f32_e32 v11, v10, v12
	v_add_f32_e32 v8, v8, v9
	v_add_f32_e32 v2, v2, v11
	s_andn2_b32 exec_lo, exec_lo, s5
	s_cbranch_execnz .LBB63_121
; %bb.122:
	s_or_b32 exec_lo, exec_lo, s5
	v_mov_b32_e32 v5, 0
	ds_read_b64 v[5:6], v5 offset:216
	s_waitcnt lgkmcnt(0)
	v_mul_f32_e32 v7, v2, v6
	v_mul_f32_e32 v6, v8, v6
	v_fma_f32 v7, v8, v5, -v7
	v_fmac_f32_e32 v6, v2, v5
	buffer_store_dword v7, off, s[0:3], 0 offset:216
	buffer_store_dword v6, off, s[0:3], 0 offset:220
.LBB63_123:
	s_or_b32 exec_lo, exec_lo, s4
	s_waitcnt_vscnt null, 0x0
	s_barrier
	buffer_gl0_inv
	s_clause 0x1
	buffer_load_dword v5, off, s[0:3], 0 offset:224
	buffer_load_dword v6, off, s[0:3], 0 offset:228
	s_mov_b32 s4, exec_lo
	s_waitcnt vmcnt(0)
	ds_write_b64 v4, v[5:6]
	s_waitcnt lgkmcnt(0)
	s_barrier
	buffer_gl0_inv
	v_cmpx_gt_u32_e32 28, v0
	s_cbranch_execz .LBB63_127
; %bb.124:
	v_add_nc_u32_e32 v5, -1, v0
	v_or_b32_e32 v6, 0x200, v3
	v_mov_b32_e32 v7, v3
	v_mov_b32_e32 v2, 0
	;; [unrolled: 1-line block ×3, first 2 shown]
	s_mov_b32 s5, 0
	.p2align	6
.LBB63_125:                             ; =>This Inner Loop Header: Depth=1
	s_clause 0x1
	buffer_load_dword v11, v7, s[0:3], 0 offen offset:4
	buffer_load_dword v12, v7, s[0:3], 0 offen
	ds_read_b64 v[9:10], v6
	v_add_nc_u32_e32 v5, 1, v5
	v_add_nc_u32_e32 v6, 8, v6
	v_add_nc_u32_e32 v7, 8, v7
	v_cmp_lt_u32_e32 vcc_lo, 26, v5
	s_or_b32 s5, vcc_lo, s5
	s_waitcnt vmcnt(1) lgkmcnt(0)
	v_mul_f32_e32 v141, v10, v11
	v_mul_f32_e32 v11, v9, v11
	s_waitcnt vmcnt(0)
	v_fma_f32 v9, v9, v12, -v141
	v_fmac_f32_e32 v11, v10, v12
	v_add_f32_e32 v8, v8, v9
	v_add_f32_e32 v2, v2, v11
	s_andn2_b32 exec_lo, exec_lo, s5
	s_cbranch_execnz .LBB63_125
; %bb.126:
	s_or_b32 exec_lo, exec_lo, s5
	v_mov_b32_e32 v5, 0
	ds_read_b64 v[5:6], v5 offset:224
	s_waitcnt lgkmcnt(0)
	v_mul_f32_e32 v7, v2, v6
	v_mul_f32_e32 v6, v8, v6
	v_fma_f32 v7, v8, v5, -v7
	v_fmac_f32_e32 v6, v2, v5
	buffer_store_dword v7, off, s[0:3], 0 offset:224
	buffer_store_dword v6, off, s[0:3], 0 offset:228
.LBB63_127:
	s_or_b32 exec_lo, exec_lo, s4
	s_waitcnt_vscnt null, 0x0
	s_barrier
	buffer_gl0_inv
	s_clause 0x1
	buffer_load_dword v5, off, s[0:3], 0 offset:232
	buffer_load_dword v6, off, s[0:3], 0 offset:236
	s_mov_b32 s4, exec_lo
	s_waitcnt vmcnt(0)
	ds_write_b64 v4, v[5:6]
	s_waitcnt lgkmcnt(0)
	s_barrier
	buffer_gl0_inv
	v_cmpx_gt_u32_e32 29, v0
	s_cbranch_execz .LBB63_131
; %bb.128:
	v_add_nc_u32_e32 v5, -1, v0
	v_or_b32_e32 v6, 0x200, v3
	v_mov_b32_e32 v7, v3
	v_mov_b32_e32 v2, 0
	;; [unrolled: 1-line block ×3, first 2 shown]
	s_mov_b32 s5, 0
	.p2align	6
.LBB63_129:                             ; =>This Inner Loop Header: Depth=1
	s_clause 0x1
	buffer_load_dword v11, v7, s[0:3], 0 offen offset:4
	buffer_load_dword v12, v7, s[0:3], 0 offen
	ds_read_b64 v[9:10], v6
	v_add_nc_u32_e32 v5, 1, v5
	v_add_nc_u32_e32 v6, 8, v6
	;; [unrolled: 1-line block ×3, first 2 shown]
	v_cmp_lt_u32_e32 vcc_lo, 27, v5
	s_or_b32 s5, vcc_lo, s5
	s_waitcnt vmcnt(1) lgkmcnt(0)
	v_mul_f32_e32 v141, v10, v11
	v_mul_f32_e32 v11, v9, v11
	s_waitcnt vmcnt(0)
	v_fma_f32 v9, v9, v12, -v141
	v_fmac_f32_e32 v11, v10, v12
	v_add_f32_e32 v8, v8, v9
	v_add_f32_e32 v2, v2, v11
	s_andn2_b32 exec_lo, exec_lo, s5
	s_cbranch_execnz .LBB63_129
; %bb.130:
	s_or_b32 exec_lo, exec_lo, s5
	v_mov_b32_e32 v5, 0
	ds_read_b64 v[5:6], v5 offset:232
	s_waitcnt lgkmcnt(0)
	v_mul_f32_e32 v7, v2, v6
	v_mul_f32_e32 v6, v8, v6
	v_fma_f32 v7, v8, v5, -v7
	v_fmac_f32_e32 v6, v2, v5
	buffer_store_dword v7, off, s[0:3], 0 offset:232
	buffer_store_dword v6, off, s[0:3], 0 offset:236
.LBB63_131:
	s_or_b32 exec_lo, exec_lo, s4
	s_waitcnt_vscnt null, 0x0
	s_barrier
	buffer_gl0_inv
	s_clause 0x1
	buffer_load_dword v5, off, s[0:3], 0 offset:240
	buffer_load_dword v6, off, s[0:3], 0 offset:244
	s_mov_b32 s4, exec_lo
	s_waitcnt vmcnt(0)
	ds_write_b64 v4, v[5:6]
	s_waitcnt lgkmcnt(0)
	s_barrier
	buffer_gl0_inv
	v_cmpx_gt_u32_e32 30, v0
	s_cbranch_execz .LBB63_135
; %bb.132:
	v_add_nc_u32_e32 v5, -1, v0
	v_or_b32_e32 v6, 0x200, v3
	v_mov_b32_e32 v7, v3
	v_mov_b32_e32 v2, 0
	;; [unrolled: 1-line block ×3, first 2 shown]
	s_mov_b32 s5, 0
	.p2align	6
.LBB63_133:                             ; =>This Inner Loop Header: Depth=1
	s_clause 0x1
	buffer_load_dword v11, v7, s[0:3], 0 offen offset:4
	buffer_load_dword v12, v7, s[0:3], 0 offen
	ds_read_b64 v[9:10], v6
	v_add_nc_u32_e32 v5, 1, v5
	v_add_nc_u32_e32 v6, 8, v6
	;; [unrolled: 1-line block ×3, first 2 shown]
	v_cmp_lt_u32_e32 vcc_lo, 28, v5
	s_or_b32 s5, vcc_lo, s5
	s_waitcnt vmcnt(1) lgkmcnt(0)
	v_mul_f32_e32 v141, v10, v11
	v_mul_f32_e32 v11, v9, v11
	s_waitcnt vmcnt(0)
	v_fma_f32 v9, v9, v12, -v141
	v_fmac_f32_e32 v11, v10, v12
	v_add_f32_e32 v8, v8, v9
	v_add_f32_e32 v2, v2, v11
	s_andn2_b32 exec_lo, exec_lo, s5
	s_cbranch_execnz .LBB63_133
; %bb.134:
	s_or_b32 exec_lo, exec_lo, s5
	v_mov_b32_e32 v5, 0
	ds_read_b64 v[5:6], v5 offset:240
	s_waitcnt lgkmcnt(0)
	v_mul_f32_e32 v7, v2, v6
	v_mul_f32_e32 v6, v8, v6
	v_fma_f32 v7, v8, v5, -v7
	v_fmac_f32_e32 v6, v2, v5
	buffer_store_dword v7, off, s[0:3], 0 offset:240
	buffer_store_dword v6, off, s[0:3], 0 offset:244
.LBB63_135:
	s_or_b32 exec_lo, exec_lo, s4
	s_waitcnt_vscnt null, 0x0
	s_barrier
	buffer_gl0_inv
	s_clause 0x1
	buffer_load_dword v5, off, s[0:3], 0 offset:248
	buffer_load_dword v6, off, s[0:3], 0 offset:252
	s_mov_b32 s4, exec_lo
	s_waitcnt vmcnt(0)
	ds_write_b64 v4, v[5:6]
	s_waitcnt lgkmcnt(0)
	s_barrier
	buffer_gl0_inv
	v_cmpx_gt_u32_e32 31, v0
	s_cbranch_execz .LBB63_139
; %bb.136:
	v_add_nc_u32_e32 v5, -1, v0
	v_or_b32_e32 v6, 0x200, v3
	v_mov_b32_e32 v7, v3
	v_mov_b32_e32 v2, 0
	;; [unrolled: 1-line block ×3, first 2 shown]
	s_mov_b32 s5, 0
	.p2align	6
.LBB63_137:                             ; =>This Inner Loop Header: Depth=1
	s_clause 0x1
	buffer_load_dword v11, v7, s[0:3], 0 offen offset:4
	buffer_load_dword v12, v7, s[0:3], 0 offen
	ds_read_b64 v[9:10], v6
	v_add_nc_u32_e32 v5, 1, v5
	v_add_nc_u32_e32 v6, 8, v6
	;; [unrolled: 1-line block ×3, first 2 shown]
	v_cmp_lt_u32_e32 vcc_lo, 29, v5
	s_or_b32 s5, vcc_lo, s5
	s_waitcnt vmcnt(1) lgkmcnt(0)
	v_mul_f32_e32 v141, v10, v11
	v_mul_f32_e32 v11, v9, v11
	s_waitcnt vmcnt(0)
	v_fma_f32 v9, v9, v12, -v141
	v_fmac_f32_e32 v11, v10, v12
	v_add_f32_e32 v8, v8, v9
	v_add_f32_e32 v2, v2, v11
	s_andn2_b32 exec_lo, exec_lo, s5
	s_cbranch_execnz .LBB63_137
; %bb.138:
	s_or_b32 exec_lo, exec_lo, s5
	v_mov_b32_e32 v5, 0
	ds_read_b64 v[5:6], v5 offset:248
	s_waitcnt lgkmcnt(0)
	v_mul_f32_e32 v7, v2, v6
	v_mul_f32_e32 v6, v8, v6
	v_fma_f32 v7, v8, v5, -v7
	v_fmac_f32_e32 v6, v2, v5
	buffer_store_dword v7, off, s[0:3], 0 offset:248
	buffer_store_dword v6, off, s[0:3], 0 offset:252
.LBB63_139:
	s_or_b32 exec_lo, exec_lo, s4
	s_waitcnt_vscnt null, 0x0
	s_barrier
	buffer_gl0_inv
	s_clause 0x1
	buffer_load_dword v5, off, s[0:3], 0 offset:256
	buffer_load_dword v6, off, s[0:3], 0 offset:260
	s_mov_b32 s4, exec_lo
	s_waitcnt vmcnt(0)
	ds_write_b64 v4, v[5:6]
	s_waitcnt lgkmcnt(0)
	s_barrier
	buffer_gl0_inv
	v_cmpx_gt_u32_e32 32, v0
	s_cbranch_execz .LBB63_143
; %bb.140:
	v_add_nc_u32_e32 v5, -1, v0
	v_or_b32_e32 v6, 0x200, v3
	v_mov_b32_e32 v7, v3
	v_mov_b32_e32 v2, 0
	;; [unrolled: 1-line block ×3, first 2 shown]
	s_mov_b32 s5, 0
	.p2align	6
.LBB63_141:                             ; =>This Inner Loop Header: Depth=1
	s_clause 0x1
	buffer_load_dword v11, v7, s[0:3], 0 offen offset:4
	buffer_load_dword v12, v7, s[0:3], 0 offen
	ds_read_b64 v[9:10], v6
	v_add_nc_u32_e32 v5, 1, v5
	v_add_nc_u32_e32 v6, 8, v6
	v_add_nc_u32_e32 v7, 8, v7
	v_cmp_lt_u32_e32 vcc_lo, 30, v5
	s_or_b32 s5, vcc_lo, s5
	s_waitcnt vmcnt(1) lgkmcnt(0)
	v_mul_f32_e32 v141, v10, v11
	v_mul_f32_e32 v11, v9, v11
	s_waitcnt vmcnt(0)
	v_fma_f32 v9, v9, v12, -v141
	v_fmac_f32_e32 v11, v10, v12
	v_add_f32_e32 v8, v8, v9
	v_add_f32_e32 v2, v2, v11
	s_andn2_b32 exec_lo, exec_lo, s5
	s_cbranch_execnz .LBB63_141
; %bb.142:
	s_or_b32 exec_lo, exec_lo, s5
	v_mov_b32_e32 v5, 0
	ds_read_b64 v[5:6], v5 offset:256
	s_waitcnt lgkmcnt(0)
	v_mul_f32_e32 v7, v2, v6
	v_mul_f32_e32 v6, v8, v6
	v_fma_f32 v7, v8, v5, -v7
	v_fmac_f32_e32 v6, v2, v5
	buffer_store_dword v7, off, s[0:3], 0 offset:256
	buffer_store_dword v6, off, s[0:3], 0 offset:260
.LBB63_143:
	s_or_b32 exec_lo, exec_lo, s4
	s_waitcnt_vscnt null, 0x0
	s_barrier
	buffer_gl0_inv
	s_clause 0x1
	buffer_load_dword v5, off, s[0:3], 0 offset:264
	buffer_load_dword v6, off, s[0:3], 0 offset:268
	s_mov_b32 s4, exec_lo
	s_waitcnt vmcnt(0)
	ds_write_b64 v4, v[5:6]
	s_waitcnt lgkmcnt(0)
	s_barrier
	buffer_gl0_inv
	v_cmpx_gt_u32_e32 33, v0
	s_cbranch_execz .LBB63_147
; %bb.144:
	v_add_nc_u32_e32 v5, -1, v0
	v_or_b32_e32 v6, 0x200, v3
	v_mov_b32_e32 v7, v3
	v_mov_b32_e32 v2, 0
	;; [unrolled: 1-line block ×3, first 2 shown]
	s_mov_b32 s5, 0
	.p2align	6
.LBB63_145:                             ; =>This Inner Loop Header: Depth=1
	s_clause 0x1
	buffer_load_dword v11, v7, s[0:3], 0 offen offset:4
	buffer_load_dword v12, v7, s[0:3], 0 offen
	ds_read_b64 v[9:10], v6
	v_add_nc_u32_e32 v5, 1, v5
	v_add_nc_u32_e32 v6, 8, v6
	;; [unrolled: 1-line block ×3, first 2 shown]
	v_cmp_lt_u32_e32 vcc_lo, 31, v5
	s_or_b32 s5, vcc_lo, s5
	s_waitcnt vmcnt(1) lgkmcnt(0)
	v_mul_f32_e32 v141, v10, v11
	v_mul_f32_e32 v11, v9, v11
	s_waitcnt vmcnt(0)
	v_fma_f32 v9, v9, v12, -v141
	v_fmac_f32_e32 v11, v10, v12
	v_add_f32_e32 v8, v8, v9
	v_add_f32_e32 v2, v2, v11
	s_andn2_b32 exec_lo, exec_lo, s5
	s_cbranch_execnz .LBB63_145
; %bb.146:
	s_or_b32 exec_lo, exec_lo, s5
	v_mov_b32_e32 v5, 0
	ds_read_b64 v[5:6], v5 offset:264
	s_waitcnt lgkmcnt(0)
	v_mul_f32_e32 v7, v2, v6
	v_mul_f32_e32 v6, v8, v6
	v_fma_f32 v7, v8, v5, -v7
	v_fmac_f32_e32 v6, v2, v5
	buffer_store_dword v7, off, s[0:3], 0 offset:264
	buffer_store_dword v6, off, s[0:3], 0 offset:268
.LBB63_147:
	s_or_b32 exec_lo, exec_lo, s4
	s_waitcnt_vscnt null, 0x0
	s_barrier
	buffer_gl0_inv
	s_clause 0x1
	buffer_load_dword v5, off, s[0:3], 0 offset:272
	buffer_load_dword v6, off, s[0:3], 0 offset:276
	s_mov_b32 s4, exec_lo
	s_waitcnt vmcnt(0)
	ds_write_b64 v4, v[5:6]
	s_waitcnt lgkmcnt(0)
	s_barrier
	buffer_gl0_inv
	v_cmpx_gt_u32_e32 34, v0
	s_cbranch_execz .LBB63_151
; %bb.148:
	v_add_nc_u32_e32 v5, -1, v0
	v_or_b32_e32 v6, 0x200, v3
	v_mov_b32_e32 v7, v3
	v_mov_b32_e32 v2, 0
	;; [unrolled: 1-line block ×3, first 2 shown]
	s_mov_b32 s5, 0
	.p2align	6
.LBB63_149:                             ; =>This Inner Loop Header: Depth=1
	s_clause 0x1
	buffer_load_dword v11, v7, s[0:3], 0 offen offset:4
	buffer_load_dword v12, v7, s[0:3], 0 offen
	ds_read_b64 v[9:10], v6
	v_add_nc_u32_e32 v5, 1, v5
	v_add_nc_u32_e32 v6, 8, v6
	;; [unrolled: 1-line block ×3, first 2 shown]
	v_cmp_lt_u32_e32 vcc_lo, 32, v5
	s_or_b32 s5, vcc_lo, s5
	s_waitcnt vmcnt(1) lgkmcnt(0)
	v_mul_f32_e32 v141, v10, v11
	v_mul_f32_e32 v11, v9, v11
	s_waitcnt vmcnt(0)
	v_fma_f32 v9, v9, v12, -v141
	v_fmac_f32_e32 v11, v10, v12
	v_add_f32_e32 v8, v8, v9
	v_add_f32_e32 v2, v2, v11
	s_andn2_b32 exec_lo, exec_lo, s5
	s_cbranch_execnz .LBB63_149
; %bb.150:
	s_or_b32 exec_lo, exec_lo, s5
	v_mov_b32_e32 v5, 0
	ds_read_b64 v[5:6], v5 offset:272
	s_waitcnt lgkmcnt(0)
	v_mul_f32_e32 v7, v2, v6
	v_mul_f32_e32 v6, v8, v6
	v_fma_f32 v7, v8, v5, -v7
	v_fmac_f32_e32 v6, v2, v5
	buffer_store_dword v7, off, s[0:3], 0 offset:272
	buffer_store_dword v6, off, s[0:3], 0 offset:276
.LBB63_151:
	s_or_b32 exec_lo, exec_lo, s4
	s_waitcnt_vscnt null, 0x0
	s_barrier
	buffer_gl0_inv
	s_clause 0x1
	buffer_load_dword v5, off, s[0:3], 0 offset:280
	buffer_load_dword v6, off, s[0:3], 0 offset:284
	s_mov_b32 s4, exec_lo
	s_waitcnt vmcnt(0)
	ds_write_b64 v4, v[5:6]
	s_waitcnt lgkmcnt(0)
	s_barrier
	buffer_gl0_inv
	v_cmpx_gt_u32_e32 35, v0
	s_cbranch_execz .LBB63_155
; %bb.152:
	v_add_nc_u32_e32 v5, -1, v0
	v_or_b32_e32 v6, 0x200, v3
	v_mov_b32_e32 v7, v3
	v_mov_b32_e32 v2, 0
	;; [unrolled: 1-line block ×3, first 2 shown]
	s_mov_b32 s5, 0
	.p2align	6
.LBB63_153:                             ; =>This Inner Loop Header: Depth=1
	s_clause 0x1
	buffer_load_dword v11, v7, s[0:3], 0 offen offset:4
	buffer_load_dword v12, v7, s[0:3], 0 offen
	ds_read_b64 v[9:10], v6
	v_add_nc_u32_e32 v5, 1, v5
	v_add_nc_u32_e32 v6, 8, v6
	;; [unrolled: 1-line block ×3, first 2 shown]
	v_cmp_lt_u32_e32 vcc_lo, 33, v5
	s_or_b32 s5, vcc_lo, s5
	s_waitcnt vmcnt(1) lgkmcnt(0)
	v_mul_f32_e32 v141, v10, v11
	v_mul_f32_e32 v11, v9, v11
	s_waitcnt vmcnt(0)
	v_fma_f32 v9, v9, v12, -v141
	v_fmac_f32_e32 v11, v10, v12
	v_add_f32_e32 v8, v8, v9
	v_add_f32_e32 v2, v2, v11
	s_andn2_b32 exec_lo, exec_lo, s5
	s_cbranch_execnz .LBB63_153
; %bb.154:
	s_or_b32 exec_lo, exec_lo, s5
	v_mov_b32_e32 v5, 0
	ds_read_b64 v[5:6], v5 offset:280
	s_waitcnt lgkmcnt(0)
	v_mul_f32_e32 v7, v2, v6
	v_mul_f32_e32 v6, v8, v6
	v_fma_f32 v7, v8, v5, -v7
	v_fmac_f32_e32 v6, v2, v5
	buffer_store_dword v7, off, s[0:3], 0 offset:280
	buffer_store_dword v6, off, s[0:3], 0 offset:284
.LBB63_155:
	s_or_b32 exec_lo, exec_lo, s4
	s_waitcnt_vscnt null, 0x0
	s_barrier
	buffer_gl0_inv
	s_clause 0x1
	buffer_load_dword v5, off, s[0:3], 0 offset:288
	buffer_load_dword v6, off, s[0:3], 0 offset:292
	s_mov_b32 s4, exec_lo
	s_waitcnt vmcnt(0)
	ds_write_b64 v4, v[5:6]
	s_waitcnt lgkmcnt(0)
	s_barrier
	buffer_gl0_inv
	v_cmpx_gt_u32_e32 36, v0
	s_cbranch_execz .LBB63_159
; %bb.156:
	v_add_nc_u32_e32 v5, -1, v0
	v_or_b32_e32 v6, 0x200, v3
	v_mov_b32_e32 v7, v3
	v_mov_b32_e32 v2, 0
	;; [unrolled: 1-line block ×3, first 2 shown]
	s_mov_b32 s5, 0
	.p2align	6
.LBB63_157:                             ; =>This Inner Loop Header: Depth=1
	s_clause 0x1
	buffer_load_dword v11, v7, s[0:3], 0 offen offset:4
	buffer_load_dword v12, v7, s[0:3], 0 offen
	ds_read_b64 v[9:10], v6
	v_add_nc_u32_e32 v5, 1, v5
	v_add_nc_u32_e32 v6, 8, v6
	;; [unrolled: 1-line block ×3, first 2 shown]
	v_cmp_lt_u32_e32 vcc_lo, 34, v5
	s_or_b32 s5, vcc_lo, s5
	s_waitcnt vmcnt(1) lgkmcnt(0)
	v_mul_f32_e32 v141, v10, v11
	v_mul_f32_e32 v11, v9, v11
	s_waitcnt vmcnt(0)
	v_fma_f32 v9, v9, v12, -v141
	v_fmac_f32_e32 v11, v10, v12
	v_add_f32_e32 v8, v8, v9
	v_add_f32_e32 v2, v2, v11
	s_andn2_b32 exec_lo, exec_lo, s5
	s_cbranch_execnz .LBB63_157
; %bb.158:
	s_or_b32 exec_lo, exec_lo, s5
	v_mov_b32_e32 v5, 0
	ds_read_b64 v[5:6], v5 offset:288
	s_waitcnt lgkmcnt(0)
	v_mul_f32_e32 v7, v2, v6
	v_mul_f32_e32 v6, v8, v6
	v_fma_f32 v7, v8, v5, -v7
	v_fmac_f32_e32 v6, v2, v5
	buffer_store_dword v7, off, s[0:3], 0 offset:288
	buffer_store_dword v6, off, s[0:3], 0 offset:292
.LBB63_159:
	s_or_b32 exec_lo, exec_lo, s4
	s_waitcnt_vscnt null, 0x0
	s_barrier
	buffer_gl0_inv
	s_clause 0x1
	buffer_load_dword v5, off, s[0:3], 0 offset:296
	buffer_load_dword v6, off, s[0:3], 0 offset:300
	s_mov_b32 s4, exec_lo
	s_waitcnt vmcnt(0)
	ds_write_b64 v4, v[5:6]
	s_waitcnt lgkmcnt(0)
	s_barrier
	buffer_gl0_inv
	v_cmpx_gt_u32_e32 37, v0
	s_cbranch_execz .LBB63_163
; %bb.160:
	v_add_nc_u32_e32 v5, -1, v0
	v_or_b32_e32 v6, 0x200, v3
	v_mov_b32_e32 v7, v3
	v_mov_b32_e32 v2, 0
	;; [unrolled: 1-line block ×3, first 2 shown]
	s_mov_b32 s5, 0
	.p2align	6
.LBB63_161:                             ; =>This Inner Loop Header: Depth=1
	s_clause 0x1
	buffer_load_dword v11, v7, s[0:3], 0 offen offset:4
	buffer_load_dword v12, v7, s[0:3], 0 offen
	ds_read_b64 v[9:10], v6
	v_add_nc_u32_e32 v5, 1, v5
	v_add_nc_u32_e32 v6, 8, v6
	;; [unrolled: 1-line block ×3, first 2 shown]
	v_cmp_lt_u32_e32 vcc_lo, 35, v5
	s_or_b32 s5, vcc_lo, s5
	s_waitcnt vmcnt(1) lgkmcnt(0)
	v_mul_f32_e32 v141, v10, v11
	v_mul_f32_e32 v11, v9, v11
	s_waitcnt vmcnt(0)
	v_fma_f32 v9, v9, v12, -v141
	v_fmac_f32_e32 v11, v10, v12
	v_add_f32_e32 v8, v8, v9
	v_add_f32_e32 v2, v2, v11
	s_andn2_b32 exec_lo, exec_lo, s5
	s_cbranch_execnz .LBB63_161
; %bb.162:
	s_or_b32 exec_lo, exec_lo, s5
	v_mov_b32_e32 v5, 0
	ds_read_b64 v[5:6], v5 offset:296
	s_waitcnt lgkmcnt(0)
	v_mul_f32_e32 v7, v2, v6
	v_mul_f32_e32 v6, v8, v6
	v_fma_f32 v7, v8, v5, -v7
	v_fmac_f32_e32 v6, v2, v5
	buffer_store_dword v7, off, s[0:3], 0 offset:296
	buffer_store_dword v6, off, s[0:3], 0 offset:300
.LBB63_163:
	s_or_b32 exec_lo, exec_lo, s4
	s_waitcnt_vscnt null, 0x0
	s_barrier
	buffer_gl0_inv
	s_clause 0x1
	buffer_load_dword v5, off, s[0:3], 0 offset:304
	buffer_load_dword v6, off, s[0:3], 0 offset:308
	s_mov_b32 s4, exec_lo
	s_waitcnt vmcnt(0)
	ds_write_b64 v4, v[5:6]
	s_waitcnt lgkmcnt(0)
	s_barrier
	buffer_gl0_inv
	v_cmpx_gt_u32_e32 38, v0
	s_cbranch_execz .LBB63_167
; %bb.164:
	v_add_nc_u32_e32 v5, -1, v0
	v_or_b32_e32 v6, 0x200, v3
	v_mov_b32_e32 v7, v3
	v_mov_b32_e32 v2, 0
	;; [unrolled: 1-line block ×3, first 2 shown]
	s_mov_b32 s5, 0
	.p2align	6
.LBB63_165:                             ; =>This Inner Loop Header: Depth=1
	s_clause 0x1
	buffer_load_dword v11, v7, s[0:3], 0 offen offset:4
	buffer_load_dword v12, v7, s[0:3], 0 offen
	ds_read_b64 v[9:10], v6
	v_add_nc_u32_e32 v5, 1, v5
	v_add_nc_u32_e32 v6, 8, v6
	;; [unrolled: 1-line block ×3, first 2 shown]
	v_cmp_lt_u32_e32 vcc_lo, 36, v5
	s_or_b32 s5, vcc_lo, s5
	s_waitcnt vmcnt(1) lgkmcnt(0)
	v_mul_f32_e32 v141, v10, v11
	v_mul_f32_e32 v11, v9, v11
	s_waitcnt vmcnt(0)
	v_fma_f32 v9, v9, v12, -v141
	v_fmac_f32_e32 v11, v10, v12
	v_add_f32_e32 v8, v8, v9
	v_add_f32_e32 v2, v2, v11
	s_andn2_b32 exec_lo, exec_lo, s5
	s_cbranch_execnz .LBB63_165
; %bb.166:
	s_or_b32 exec_lo, exec_lo, s5
	v_mov_b32_e32 v5, 0
	ds_read_b64 v[5:6], v5 offset:304
	s_waitcnt lgkmcnt(0)
	v_mul_f32_e32 v7, v2, v6
	v_mul_f32_e32 v6, v8, v6
	v_fma_f32 v7, v8, v5, -v7
	v_fmac_f32_e32 v6, v2, v5
	buffer_store_dword v7, off, s[0:3], 0 offset:304
	buffer_store_dword v6, off, s[0:3], 0 offset:308
.LBB63_167:
	s_or_b32 exec_lo, exec_lo, s4
	s_waitcnt_vscnt null, 0x0
	s_barrier
	buffer_gl0_inv
	s_clause 0x1
	buffer_load_dword v5, off, s[0:3], 0 offset:312
	buffer_load_dword v6, off, s[0:3], 0 offset:316
	s_mov_b32 s4, exec_lo
	s_waitcnt vmcnt(0)
	ds_write_b64 v4, v[5:6]
	s_waitcnt lgkmcnt(0)
	s_barrier
	buffer_gl0_inv
	v_cmpx_gt_u32_e32 39, v0
	s_cbranch_execz .LBB63_171
; %bb.168:
	v_add_nc_u32_e32 v5, -1, v0
	v_or_b32_e32 v6, 0x200, v3
	v_mov_b32_e32 v7, v3
	v_mov_b32_e32 v2, 0
	;; [unrolled: 1-line block ×3, first 2 shown]
	s_mov_b32 s5, 0
	.p2align	6
.LBB63_169:                             ; =>This Inner Loop Header: Depth=1
	s_clause 0x1
	buffer_load_dword v11, v7, s[0:3], 0 offen offset:4
	buffer_load_dword v12, v7, s[0:3], 0 offen
	ds_read_b64 v[9:10], v6
	v_add_nc_u32_e32 v5, 1, v5
	v_add_nc_u32_e32 v6, 8, v6
	;; [unrolled: 1-line block ×3, first 2 shown]
	v_cmp_lt_u32_e32 vcc_lo, 37, v5
	s_or_b32 s5, vcc_lo, s5
	s_waitcnt vmcnt(1) lgkmcnt(0)
	v_mul_f32_e32 v141, v10, v11
	v_mul_f32_e32 v11, v9, v11
	s_waitcnt vmcnt(0)
	v_fma_f32 v9, v9, v12, -v141
	v_fmac_f32_e32 v11, v10, v12
	v_add_f32_e32 v8, v8, v9
	v_add_f32_e32 v2, v2, v11
	s_andn2_b32 exec_lo, exec_lo, s5
	s_cbranch_execnz .LBB63_169
; %bb.170:
	s_or_b32 exec_lo, exec_lo, s5
	v_mov_b32_e32 v5, 0
	ds_read_b64 v[5:6], v5 offset:312
	s_waitcnt lgkmcnt(0)
	v_mul_f32_e32 v7, v2, v6
	v_mul_f32_e32 v6, v8, v6
	v_fma_f32 v7, v8, v5, -v7
	v_fmac_f32_e32 v6, v2, v5
	buffer_store_dword v7, off, s[0:3], 0 offset:312
	buffer_store_dword v6, off, s[0:3], 0 offset:316
.LBB63_171:
	s_or_b32 exec_lo, exec_lo, s4
	s_waitcnt_vscnt null, 0x0
	s_barrier
	buffer_gl0_inv
	s_clause 0x1
	buffer_load_dword v5, off, s[0:3], 0 offset:320
	buffer_load_dword v6, off, s[0:3], 0 offset:324
	s_mov_b32 s4, exec_lo
	s_waitcnt vmcnt(0)
	ds_write_b64 v4, v[5:6]
	s_waitcnt lgkmcnt(0)
	s_barrier
	buffer_gl0_inv
	v_cmpx_gt_u32_e32 40, v0
	s_cbranch_execz .LBB63_175
; %bb.172:
	v_add_nc_u32_e32 v5, -1, v0
	v_or_b32_e32 v6, 0x200, v3
	v_mov_b32_e32 v7, v3
	v_mov_b32_e32 v2, 0
	;; [unrolled: 1-line block ×3, first 2 shown]
	s_mov_b32 s5, 0
	.p2align	6
.LBB63_173:                             ; =>This Inner Loop Header: Depth=1
	s_clause 0x1
	buffer_load_dword v11, v7, s[0:3], 0 offen offset:4
	buffer_load_dword v12, v7, s[0:3], 0 offen
	ds_read_b64 v[9:10], v6
	v_add_nc_u32_e32 v5, 1, v5
	v_add_nc_u32_e32 v6, 8, v6
	;; [unrolled: 1-line block ×3, first 2 shown]
	v_cmp_lt_u32_e32 vcc_lo, 38, v5
	s_or_b32 s5, vcc_lo, s5
	s_waitcnt vmcnt(1) lgkmcnt(0)
	v_mul_f32_e32 v141, v10, v11
	v_mul_f32_e32 v11, v9, v11
	s_waitcnt vmcnt(0)
	v_fma_f32 v9, v9, v12, -v141
	v_fmac_f32_e32 v11, v10, v12
	v_add_f32_e32 v8, v8, v9
	v_add_f32_e32 v2, v2, v11
	s_andn2_b32 exec_lo, exec_lo, s5
	s_cbranch_execnz .LBB63_173
; %bb.174:
	s_or_b32 exec_lo, exec_lo, s5
	v_mov_b32_e32 v5, 0
	ds_read_b64 v[5:6], v5 offset:320
	s_waitcnt lgkmcnt(0)
	v_mul_f32_e32 v7, v2, v6
	v_mul_f32_e32 v6, v8, v6
	v_fma_f32 v7, v8, v5, -v7
	v_fmac_f32_e32 v6, v2, v5
	buffer_store_dword v7, off, s[0:3], 0 offset:320
	buffer_store_dword v6, off, s[0:3], 0 offset:324
.LBB63_175:
	s_or_b32 exec_lo, exec_lo, s4
	s_waitcnt_vscnt null, 0x0
	s_barrier
	buffer_gl0_inv
	s_clause 0x1
	buffer_load_dword v5, off, s[0:3], 0 offset:328
	buffer_load_dword v6, off, s[0:3], 0 offset:332
	s_mov_b32 s4, exec_lo
	s_waitcnt vmcnt(0)
	ds_write_b64 v4, v[5:6]
	s_waitcnt lgkmcnt(0)
	s_barrier
	buffer_gl0_inv
	v_cmpx_gt_u32_e32 41, v0
	s_cbranch_execz .LBB63_179
; %bb.176:
	v_add_nc_u32_e32 v5, -1, v0
	v_or_b32_e32 v6, 0x200, v3
	v_mov_b32_e32 v7, v3
	v_mov_b32_e32 v2, 0
	;; [unrolled: 1-line block ×3, first 2 shown]
	s_mov_b32 s5, 0
	.p2align	6
.LBB63_177:                             ; =>This Inner Loop Header: Depth=1
	s_clause 0x1
	buffer_load_dword v11, v7, s[0:3], 0 offen offset:4
	buffer_load_dword v12, v7, s[0:3], 0 offen
	ds_read_b64 v[9:10], v6
	v_add_nc_u32_e32 v5, 1, v5
	v_add_nc_u32_e32 v6, 8, v6
	;; [unrolled: 1-line block ×3, first 2 shown]
	v_cmp_lt_u32_e32 vcc_lo, 39, v5
	s_or_b32 s5, vcc_lo, s5
	s_waitcnt vmcnt(1) lgkmcnt(0)
	v_mul_f32_e32 v141, v10, v11
	v_mul_f32_e32 v11, v9, v11
	s_waitcnt vmcnt(0)
	v_fma_f32 v9, v9, v12, -v141
	v_fmac_f32_e32 v11, v10, v12
	v_add_f32_e32 v8, v8, v9
	v_add_f32_e32 v2, v2, v11
	s_andn2_b32 exec_lo, exec_lo, s5
	s_cbranch_execnz .LBB63_177
; %bb.178:
	s_or_b32 exec_lo, exec_lo, s5
	v_mov_b32_e32 v5, 0
	ds_read_b64 v[5:6], v5 offset:328
	s_waitcnt lgkmcnt(0)
	v_mul_f32_e32 v7, v2, v6
	v_mul_f32_e32 v6, v8, v6
	v_fma_f32 v7, v8, v5, -v7
	v_fmac_f32_e32 v6, v2, v5
	buffer_store_dword v7, off, s[0:3], 0 offset:328
	buffer_store_dword v6, off, s[0:3], 0 offset:332
.LBB63_179:
	s_or_b32 exec_lo, exec_lo, s4
	s_waitcnt_vscnt null, 0x0
	s_barrier
	buffer_gl0_inv
	s_clause 0x1
	buffer_load_dword v5, off, s[0:3], 0 offset:336
	buffer_load_dword v6, off, s[0:3], 0 offset:340
	s_mov_b32 s4, exec_lo
	s_waitcnt vmcnt(0)
	ds_write_b64 v4, v[5:6]
	s_waitcnt lgkmcnt(0)
	s_barrier
	buffer_gl0_inv
	v_cmpx_gt_u32_e32 42, v0
	s_cbranch_execz .LBB63_183
; %bb.180:
	v_add_nc_u32_e32 v5, -1, v0
	v_or_b32_e32 v6, 0x200, v3
	v_mov_b32_e32 v7, v3
	v_mov_b32_e32 v2, 0
	;; [unrolled: 1-line block ×3, first 2 shown]
	s_mov_b32 s5, 0
	.p2align	6
.LBB63_181:                             ; =>This Inner Loop Header: Depth=1
	s_clause 0x1
	buffer_load_dword v11, v7, s[0:3], 0 offen offset:4
	buffer_load_dword v12, v7, s[0:3], 0 offen
	ds_read_b64 v[9:10], v6
	v_add_nc_u32_e32 v5, 1, v5
	v_add_nc_u32_e32 v6, 8, v6
	v_add_nc_u32_e32 v7, 8, v7
	v_cmp_lt_u32_e32 vcc_lo, 40, v5
	s_or_b32 s5, vcc_lo, s5
	s_waitcnt vmcnt(1) lgkmcnt(0)
	v_mul_f32_e32 v141, v10, v11
	v_mul_f32_e32 v11, v9, v11
	s_waitcnt vmcnt(0)
	v_fma_f32 v9, v9, v12, -v141
	v_fmac_f32_e32 v11, v10, v12
	v_add_f32_e32 v8, v8, v9
	v_add_f32_e32 v2, v2, v11
	s_andn2_b32 exec_lo, exec_lo, s5
	s_cbranch_execnz .LBB63_181
; %bb.182:
	s_or_b32 exec_lo, exec_lo, s5
	v_mov_b32_e32 v5, 0
	ds_read_b64 v[5:6], v5 offset:336
	s_waitcnt lgkmcnt(0)
	v_mul_f32_e32 v7, v2, v6
	v_mul_f32_e32 v6, v8, v6
	v_fma_f32 v7, v8, v5, -v7
	v_fmac_f32_e32 v6, v2, v5
	buffer_store_dword v7, off, s[0:3], 0 offset:336
	buffer_store_dword v6, off, s[0:3], 0 offset:340
.LBB63_183:
	s_or_b32 exec_lo, exec_lo, s4
	s_waitcnt_vscnt null, 0x0
	s_barrier
	buffer_gl0_inv
	s_clause 0x1
	buffer_load_dword v5, off, s[0:3], 0 offset:344
	buffer_load_dword v6, off, s[0:3], 0 offset:348
	s_mov_b32 s4, exec_lo
	s_waitcnt vmcnt(0)
	ds_write_b64 v4, v[5:6]
	s_waitcnt lgkmcnt(0)
	s_barrier
	buffer_gl0_inv
	v_cmpx_gt_u32_e32 43, v0
	s_cbranch_execz .LBB63_187
; %bb.184:
	v_add_nc_u32_e32 v5, -1, v0
	v_or_b32_e32 v6, 0x200, v3
	v_mov_b32_e32 v7, v3
	v_mov_b32_e32 v2, 0
	;; [unrolled: 1-line block ×3, first 2 shown]
	s_mov_b32 s5, 0
	.p2align	6
.LBB63_185:                             ; =>This Inner Loop Header: Depth=1
	s_clause 0x1
	buffer_load_dword v11, v7, s[0:3], 0 offen offset:4
	buffer_load_dword v12, v7, s[0:3], 0 offen
	ds_read_b64 v[9:10], v6
	v_add_nc_u32_e32 v5, 1, v5
	v_add_nc_u32_e32 v6, 8, v6
	;; [unrolled: 1-line block ×3, first 2 shown]
	v_cmp_lt_u32_e32 vcc_lo, 41, v5
	s_or_b32 s5, vcc_lo, s5
	s_waitcnt vmcnt(1) lgkmcnt(0)
	v_mul_f32_e32 v141, v10, v11
	v_mul_f32_e32 v11, v9, v11
	s_waitcnt vmcnt(0)
	v_fma_f32 v9, v9, v12, -v141
	v_fmac_f32_e32 v11, v10, v12
	v_add_f32_e32 v8, v8, v9
	v_add_f32_e32 v2, v2, v11
	s_andn2_b32 exec_lo, exec_lo, s5
	s_cbranch_execnz .LBB63_185
; %bb.186:
	s_or_b32 exec_lo, exec_lo, s5
	v_mov_b32_e32 v5, 0
	ds_read_b64 v[5:6], v5 offset:344
	s_waitcnt lgkmcnt(0)
	v_mul_f32_e32 v7, v2, v6
	v_mul_f32_e32 v6, v8, v6
	v_fma_f32 v7, v8, v5, -v7
	v_fmac_f32_e32 v6, v2, v5
	buffer_store_dword v7, off, s[0:3], 0 offset:344
	buffer_store_dword v6, off, s[0:3], 0 offset:348
.LBB63_187:
	s_or_b32 exec_lo, exec_lo, s4
	s_waitcnt_vscnt null, 0x0
	s_barrier
	buffer_gl0_inv
	s_clause 0x1
	buffer_load_dword v5, off, s[0:3], 0 offset:352
	buffer_load_dword v6, off, s[0:3], 0 offset:356
	s_mov_b32 s4, exec_lo
	s_waitcnt vmcnt(0)
	ds_write_b64 v4, v[5:6]
	s_waitcnt lgkmcnt(0)
	s_barrier
	buffer_gl0_inv
	v_cmpx_gt_u32_e32 44, v0
	s_cbranch_execz .LBB63_191
; %bb.188:
	v_add_nc_u32_e32 v5, -1, v0
	v_or_b32_e32 v6, 0x200, v3
	v_mov_b32_e32 v7, v3
	v_mov_b32_e32 v2, 0
	;; [unrolled: 1-line block ×3, first 2 shown]
	s_mov_b32 s5, 0
	.p2align	6
.LBB63_189:                             ; =>This Inner Loop Header: Depth=1
	s_clause 0x1
	buffer_load_dword v11, v7, s[0:3], 0 offen offset:4
	buffer_load_dword v12, v7, s[0:3], 0 offen
	ds_read_b64 v[9:10], v6
	v_add_nc_u32_e32 v5, 1, v5
	v_add_nc_u32_e32 v6, 8, v6
	;; [unrolled: 1-line block ×3, first 2 shown]
	v_cmp_lt_u32_e32 vcc_lo, 42, v5
	s_or_b32 s5, vcc_lo, s5
	s_waitcnt vmcnt(1) lgkmcnt(0)
	v_mul_f32_e32 v141, v10, v11
	v_mul_f32_e32 v11, v9, v11
	s_waitcnt vmcnt(0)
	v_fma_f32 v9, v9, v12, -v141
	v_fmac_f32_e32 v11, v10, v12
	v_add_f32_e32 v8, v8, v9
	v_add_f32_e32 v2, v2, v11
	s_andn2_b32 exec_lo, exec_lo, s5
	s_cbranch_execnz .LBB63_189
; %bb.190:
	s_or_b32 exec_lo, exec_lo, s5
	v_mov_b32_e32 v5, 0
	ds_read_b64 v[5:6], v5 offset:352
	s_waitcnt lgkmcnt(0)
	v_mul_f32_e32 v7, v2, v6
	v_mul_f32_e32 v6, v8, v6
	v_fma_f32 v7, v8, v5, -v7
	v_fmac_f32_e32 v6, v2, v5
	buffer_store_dword v7, off, s[0:3], 0 offset:352
	buffer_store_dword v6, off, s[0:3], 0 offset:356
.LBB63_191:
	s_or_b32 exec_lo, exec_lo, s4
	s_waitcnt_vscnt null, 0x0
	s_barrier
	buffer_gl0_inv
	s_clause 0x1
	buffer_load_dword v5, off, s[0:3], 0 offset:360
	buffer_load_dword v6, off, s[0:3], 0 offset:364
	s_mov_b32 s4, exec_lo
	s_waitcnt vmcnt(0)
	ds_write_b64 v4, v[5:6]
	s_waitcnt lgkmcnt(0)
	s_barrier
	buffer_gl0_inv
	v_cmpx_gt_u32_e32 45, v0
	s_cbranch_execz .LBB63_195
; %bb.192:
	v_add_nc_u32_e32 v5, -1, v0
	v_or_b32_e32 v6, 0x200, v3
	v_mov_b32_e32 v7, v3
	v_mov_b32_e32 v2, 0
	;; [unrolled: 1-line block ×3, first 2 shown]
	s_mov_b32 s5, 0
	.p2align	6
.LBB63_193:                             ; =>This Inner Loop Header: Depth=1
	s_clause 0x1
	buffer_load_dword v11, v7, s[0:3], 0 offen offset:4
	buffer_load_dword v12, v7, s[0:3], 0 offen
	ds_read_b64 v[9:10], v6
	v_add_nc_u32_e32 v5, 1, v5
	v_add_nc_u32_e32 v6, 8, v6
	;; [unrolled: 1-line block ×3, first 2 shown]
	v_cmp_lt_u32_e32 vcc_lo, 43, v5
	s_or_b32 s5, vcc_lo, s5
	s_waitcnt vmcnt(1) lgkmcnt(0)
	v_mul_f32_e32 v141, v10, v11
	v_mul_f32_e32 v11, v9, v11
	s_waitcnt vmcnt(0)
	v_fma_f32 v9, v9, v12, -v141
	v_fmac_f32_e32 v11, v10, v12
	v_add_f32_e32 v8, v8, v9
	v_add_f32_e32 v2, v2, v11
	s_andn2_b32 exec_lo, exec_lo, s5
	s_cbranch_execnz .LBB63_193
; %bb.194:
	s_or_b32 exec_lo, exec_lo, s5
	v_mov_b32_e32 v5, 0
	ds_read_b64 v[5:6], v5 offset:360
	s_waitcnt lgkmcnt(0)
	v_mul_f32_e32 v7, v2, v6
	v_mul_f32_e32 v6, v8, v6
	v_fma_f32 v7, v8, v5, -v7
	v_fmac_f32_e32 v6, v2, v5
	buffer_store_dword v7, off, s[0:3], 0 offset:360
	buffer_store_dword v6, off, s[0:3], 0 offset:364
.LBB63_195:
	s_or_b32 exec_lo, exec_lo, s4
	s_waitcnt_vscnt null, 0x0
	s_barrier
	buffer_gl0_inv
	s_clause 0x1
	buffer_load_dword v5, off, s[0:3], 0 offset:368
	buffer_load_dword v6, off, s[0:3], 0 offset:372
	s_mov_b32 s4, exec_lo
	s_waitcnt vmcnt(0)
	ds_write_b64 v4, v[5:6]
	s_waitcnt lgkmcnt(0)
	s_barrier
	buffer_gl0_inv
	v_cmpx_gt_u32_e32 46, v0
	s_cbranch_execz .LBB63_199
; %bb.196:
	v_add_nc_u32_e32 v5, -1, v0
	v_or_b32_e32 v6, 0x200, v3
	v_mov_b32_e32 v7, v3
	v_mov_b32_e32 v2, 0
	;; [unrolled: 1-line block ×3, first 2 shown]
	s_mov_b32 s5, 0
	.p2align	6
.LBB63_197:                             ; =>This Inner Loop Header: Depth=1
	s_clause 0x1
	buffer_load_dword v11, v7, s[0:3], 0 offen offset:4
	buffer_load_dword v12, v7, s[0:3], 0 offen
	ds_read_b64 v[9:10], v6
	v_add_nc_u32_e32 v5, 1, v5
	v_add_nc_u32_e32 v6, 8, v6
	;; [unrolled: 1-line block ×3, first 2 shown]
	v_cmp_lt_u32_e32 vcc_lo, 44, v5
	s_or_b32 s5, vcc_lo, s5
	s_waitcnt vmcnt(1) lgkmcnt(0)
	v_mul_f32_e32 v141, v10, v11
	v_mul_f32_e32 v11, v9, v11
	s_waitcnt vmcnt(0)
	v_fma_f32 v9, v9, v12, -v141
	v_fmac_f32_e32 v11, v10, v12
	v_add_f32_e32 v8, v8, v9
	v_add_f32_e32 v2, v2, v11
	s_andn2_b32 exec_lo, exec_lo, s5
	s_cbranch_execnz .LBB63_197
; %bb.198:
	s_or_b32 exec_lo, exec_lo, s5
	v_mov_b32_e32 v5, 0
	ds_read_b64 v[5:6], v5 offset:368
	s_waitcnt lgkmcnt(0)
	v_mul_f32_e32 v7, v2, v6
	v_mul_f32_e32 v6, v8, v6
	v_fma_f32 v7, v8, v5, -v7
	v_fmac_f32_e32 v6, v2, v5
	buffer_store_dword v7, off, s[0:3], 0 offset:368
	buffer_store_dword v6, off, s[0:3], 0 offset:372
.LBB63_199:
	s_or_b32 exec_lo, exec_lo, s4
	s_waitcnt_vscnt null, 0x0
	s_barrier
	buffer_gl0_inv
	s_clause 0x1
	buffer_load_dword v5, off, s[0:3], 0 offset:376
	buffer_load_dword v6, off, s[0:3], 0 offset:380
	s_mov_b32 s4, exec_lo
	s_waitcnt vmcnt(0)
	ds_write_b64 v4, v[5:6]
	s_waitcnt lgkmcnt(0)
	s_barrier
	buffer_gl0_inv
	v_cmpx_gt_u32_e32 47, v0
	s_cbranch_execz .LBB63_203
; %bb.200:
	v_add_nc_u32_e32 v5, -1, v0
	v_or_b32_e32 v6, 0x200, v3
	v_mov_b32_e32 v7, v3
	v_mov_b32_e32 v2, 0
	;; [unrolled: 1-line block ×3, first 2 shown]
	s_mov_b32 s5, 0
	.p2align	6
.LBB63_201:                             ; =>This Inner Loop Header: Depth=1
	s_clause 0x1
	buffer_load_dword v11, v7, s[0:3], 0 offen offset:4
	buffer_load_dword v12, v7, s[0:3], 0 offen
	ds_read_b64 v[9:10], v6
	v_add_nc_u32_e32 v5, 1, v5
	v_add_nc_u32_e32 v6, 8, v6
	;; [unrolled: 1-line block ×3, first 2 shown]
	v_cmp_lt_u32_e32 vcc_lo, 45, v5
	s_or_b32 s5, vcc_lo, s5
	s_waitcnt vmcnt(1) lgkmcnt(0)
	v_mul_f32_e32 v141, v10, v11
	v_mul_f32_e32 v11, v9, v11
	s_waitcnt vmcnt(0)
	v_fma_f32 v9, v9, v12, -v141
	v_fmac_f32_e32 v11, v10, v12
	v_add_f32_e32 v8, v8, v9
	v_add_f32_e32 v2, v2, v11
	s_andn2_b32 exec_lo, exec_lo, s5
	s_cbranch_execnz .LBB63_201
; %bb.202:
	s_or_b32 exec_lo, exec_lo, s5
	v_mov_b32_e32 v5, 0
	ds_read_b64 v[5:6], v5 offset:376
	s_waitcnt lgkmcnt(0)
	v_mul_f32_e32 v7, v2, v6
	v_mul_f32_e32 v6, v8, v6
	v_fma_f32 v7, v8, v5, -v7
	v_fmac_f32_e32 v6, v2, v5
	buffer_store_dword v7, off, s[0:3], 0 offset:376
	buffer_store_dword v6, off, s[0:3], 0 offset:380
.LBB63_203:
	s_or_b32 exec_lo, exec_lo, s4
	s_waitcnt_vscnt null, 0x0
	s_barrier
	buffer_gl0_inv
	s_clause 0x1
	buffer_load_dword v5, off, s[0:3], 0 offset:384
	buffer_load_dword v6, off, s[0:3], 0 offset:388
	s_mov_b32 s4, exec_lo
	s_waitcnt vmcnt(0)
	ds_write_b64 v4, v[5:6]
	s_waitcnt lgkmcnt(0)
	s_barrier
	buffer_gl0_inv
	v_cmpx_gt_u32_e32 48, v0
	s_cbranch_execz .LBB63_207
; %bb.204:
	v_add_nc_u32_e32 v5, -1, v0
	v_or_b32_e32 v6, 0x200, v3
	v_mov_b32_e32 v7, v3
	v_mov_b32_e32 v2, 0
	;; [unrolled: 1-line block ×3, first 2 shown]
	s_mov_b32 s5, 0
	.p2align	6
.LBB63_205:                             ; =>This Inner Loop Header: Depth=1
	s_clause 0x1
	buffer_load_dword v11, v7, s[0:3], 0 offen offset:4
	buffer_load_dword v12, v7, s[0:3], 0 offen
	ds_read_b64 v[9:10], v6
	v_add_nc_u32_e32 v5, 1, v5
	v_add_nc_u32_e32 v6, 8, v6
	;; [unrolled: 1-line block ×3, first 2 shown]
	v_cmp_lt_u32_e32 vcc_lo, 46, v5
	s_or_b32 s5, vcc_lo, s5
	s_waitcnt vmcnt(1) lgkmcnt(0)
	v_mul_f32_e32 v141, v10, v11
	v_mul_f32_e32 v11, v9, v11
	s_waitcnt vmcnt(0)
	v_fma_f32 v9, v9, v12, -v141
	v_fmac_f32_e32 v11, v10, v12
	v_add_f32_e32 v8, v8, v9
	v_add_f32_e32 v2, v2, v11
	s_andn2_b32 exec_lo, exec_lo, s5
	s_cbranch_execnz .LBB63_205
; %bb.206:
	s_or_b32 exec_lo, exec_lo, s5
	v_mov_b32_e32 v5, 0
	ds_read_b64 v[5:6], v5 offset:384
	s_waitcnt lgkmcnt(0)
	v_mul_f32_e32 v7, v2, v6
	v_mul_f32_e32 v6, v8, v6
	v_fma_f32 v7, v8, v5, -v7
	v_fmac_f32_e32 v6, v2, v5
	buffer_store_dword v7, off, s[0:3], 0 offset:384
	buffer_store_dword v6, off, s[0:3], 0 offset:388
.LBB63_207:
	s_or_b32 exec_lo, exec_lo, s4
	s_waitcnt_vscnt null, 0x0
	s_barrier
	buffer_gl0_inv
	s_clause 0x1
	buffer_load_dword v5, off, s[0:3], 0 offset:392
	buffer_load_dword v6, off, s[0:3], 0 offset:396
	s_mov_b32 s4, exec_lo
	s_waitcnt vmcnt(0)
	ds_write_b64 v4, v[5:6]
	s_waitcnt lgkmcnt(0)
	s_barrier
	buffer_gl0_inv
	v_cmpx_gt_u32_e32 49, v0
	s_cbranch_execz .LBB63_211
; %bb.208:
	v_add_nc_u32_e32 v5, -1, v0
	v_or_b32_e32 v6, 0x200, v3
	v_mov_b32_e32 v7, v3
	v_mov_b32_e32 v2, 0
	;; [unrolled: 1-line block ×3, first 2 shown]
	s_mov_b32 s5, 0
	.p2align	6
.LBB63_209:                             ; =>This Inner Loop Header: Depth=1
	s_clause 0x1
	buffer_load_dword v11, v7, s[0:3], 0 offen offset:4
	buffer_load_dword v12, v7, s[0:3], 0 offen
	ds_read_b64 v[9:10], v6
	v_add_nc_u32_e32 v5, 1, v5
	v_add_nc_u32_e32 v6, 8, v6
	;; [unrolled: 1-line block ×3, first 2 shown]
	v_cmp_lt_u32_e32 vcc_lo, 47, v5
	s_or_b32 s5, vcc_lo, s5
	s_waitcnt vmcnt(1) lgkmcnt(0)
	v_mul_f32_e32 v141, v10, v11
	v_mul_f32_e32 v11, v9, v11
	s_waitcnt vmcnt(0)
	v_fma_f32 v9, v9, v12, -v141
	v_fmac_f32_e32 v11, v10, v12
	v_add_f32_e32 v8, v8, v9
	v_add_f32_e32 v2, v2, v11
	s_andn2_b32 exec_lo, exec_lo, s5
	s_cbranch_execnz .LBB63_209
; %bb.210:
	s_or_b32 exec_lo, exec_lo, s5
	v_mov_b32_e32 v5, 0
	ds_read_b64 v[5:6], v5 offset:392
	s_waitcnt lgkmcnt(0)
	v_mul_f32_e32 v7, v2, v6
	v_mul_f32_e32 v6, v8, v6
	v_fma_f32 v7, v8, v5, -v7
	v_fmac_f32_e32 v6, v2, v5
	buffer_store_dword v7, off, s[0:3], 0 offset:392
	buffer_store_dword v6, off, s[0:3], 0 offset:396
.LBB63_211:
	s_or_b32 exec_lo, exec_lo, s4
	s_waitcnt_vscnt null, 0x0
	s_barrier
	buffer_gl0_inv
	s_clause 0x1
	buffer_load_dword v5, off, s[0:3], 0 offset:400
	buffer_load_dword v6, off, s[0:3], 0 offset:404
	s_mov_b32 s4, exec_lo
	s_waitcnt vmcnt(0)
	ds_write_b64 v4, v[5:6]
	s_waitcnt lgkmcnt(0)
	s_barrier
	buffer_gl0_inv
	v_cmpx_gt_u32_e32 50, v0
	s_cbranch_execz .LBB63_215
; %bb.212:
	v_add_nc_u32_e32 v5, -1, v0
	v_or_b32_e32 v6, 0x200, v3
	v_mov_b32_e32 v7, v3
	v_mov_b32_e32 v2, 0
	v_mov_b32_e32 v8, 0
	s_mov_b32 s5, 0
	.p2align	6
.LBB63_213:                             ; =>This Inner Loop Header: Depth=1
	s_clause 0x1
	buffer_load_dword v11, v7, s[0:3], 0 offen offset:4
	buffer_load_dword v12, v7, s[0:3], 0 offen
	ds_read_b64 v[9:10], v6
	v_add_nc_u32_e32 v5, 1, v5
	v_add_nc_u32_e32 v6, 8, v6
	;; [unrolled: 1-line block ×3, first 2 shown]
	v_cmp_lt_u32_e32 vcc_lo, 48, v5
	s_or_b32 s5, vcc_lo, s5
	s_waitcnt vmcnt(1) lgkmcnt(0)
	v_mul_f32_e32 v141, v10, v11
	v_mul_f32_e32 v11, v9, v11
	s_waitcnt vmcnt(0)
	v_fma_f32 v9, v9, v12, -v141
	v_fmac_f32_e32 v11, v10, v12
	v_add_f32_e32 v8, v8, v9
	v_add_f32_e32 v2, v2, v11
	s_andn2_b32 exec_lo, exec_lo, s5
	s_cbranch_execnz .LBB63_213
; %bb.214:
	s_or_b32 exec_lo, exec_lo, s5
	v_mov_b32_e32 v5, 0
	ds_read_b64 v[5:6], v5 offset:400
	s_waitcnt lgkmcnt(0)
	v_mul_f32_e32 v7, v2, v6
	v_mul_f32_e32 v6, v8, v6
	v_fma_f32 v7, v8, v5, -v7
	v_fmac_f32_e32 v6, v2, v5
	buffer_store_dword v7, off, s[0:3], 0 offset:400
	buffer_store_dword v6, off, s[0:3], 0 offset:404
.LBB63_215:
	s_or_b32 exec_lo, exec_lo, s4
	s_waitcnt_vscnt null, 0x0
	s_barrier
	buffer_gl0_inv
	s_clause 0x1
	buffer_load_dword v5, off, s[0:3], 0 offset:408
	buffer_load_dword v6, off, s[0:3], 0 offset:412
	s_mov_b32 s4, exec_lo
	s_waitcnt vmcnt(0)
	ds_write_b64 v4, v[5:6]
	s_waitcnt lgkmcnt(0)
	s_barrier
	buffer_gl0_inv
	v_cmpx_gt_u32_e32 51, v0
	s_cbranch_execz .LBB63_219
; %bb.216:
	v_add_nc_u32_e32 v5, -1, v0
	v_or_b32_e32 v6, 0x200, v3
	v_mov_b32_e32 v7, v3
	v_mov_b32_e32 v2, 0
	;; [unrolled: 1-line block ×3, first 2 shown]
	s_mov_b32 s5, 0
	.p2align	6
.LBB63_217:                             ; =>This Inner Loop Header: Depth=1
	s_clause 0x1
	buffer_load_dword v11, v7, s[0:3], 0 offen offset:4
	buffer_load_dword v12, v7, s[0:3], 0 offen
	ds_read_b64 v[9:10], v6
	v_add_nc_u32_e32 v5, 1, v5
	v_add_nc_u32_e32 v6, 8, v6
	;; [unrolled: 1-line block ×3, first 2 shown]
	v_cmp_lt_u32_e32 vcc_lo, 49, v5
	s_or_b32 s5, vcc_lo, s5
	s_waitcnt vmcnt(1) lgkmcnt(0)
	v_mul_f32_e32 v141, v10, v11
	v_mul_f32_e32 v11, v9, v11
	s_waitcnt vmcnt(0)
	v_fma_f32 v9, v9, v12, -v141
	v_fmac_f32_e32 v11, v10, v12
	v_add_f32_e32 v8, v8, v9
	v_add_f32_e32 v2, v2, v11
	s_andn2_b32 exec_lo, exec_lo, s5
	s_cbranch_execnz .LBB63_217
; %bb.218:
	s_or_b32 exec_lo, exec_lo, s5
	v_mov_b32_e32 v5, 0
	ds_read_b64 v[5:6], v5 offset:408
	s_waitcnt lgkmcnt(0)
	v_mul_f32_e32 v7, v2, v6
	v_mul_f32_e32 v6, v8, v6
	v_fma_f32 v7, v8, v5, -v7
	v_fmac_f32_e32 v6, v2, v5
	buffer_store_dword v7, off, s[0:3], 0 offset:408
	buffer_store_dword v6, off, s[0:3], 0 offset:412
.LBB63_219:
	s_or_b32 exec_lo, exec_lo, s4
	s_waitcnt_vscnt null, 0x0
	s_barrier
	buffer_gl0_inv
	s_clause 0x1
	buffer_load_dword v5, off, s[0:3], 0 offset:416
	buffer_load_dword v6, off, s[0:3], 0 offset:420
	s_mov_b32 s4, exec_lo
	s_waitcnt vmcnt(0)
	ds_write_b64 v4, v[5:6]
	s_waitcnt lgkmcnt(0)
	s_barrier
	buffer_gl0_inv
	v_cmpx_gt_u32_e32 52, v0
	s_cbranch_execz .LBB63_223
; %bb.220:
	v_add_nc_u32_e32 v5, -1, v0
	v_or_b32_e32 v6, 0x200, v3
	v_mov_b32_e32 v7, v3
	v_mov_b32_e32 v2, 0
	;; [unrolled: 1-line block ×3, first 2 shown]
	s_mov_b32 s5, 0
	.p2align	6
.LBB63_221:                             ; =>This Inner Loop Header: Depth=1
	s_clause 0x1
	buffer_load_dword v11, v7, s[0:3], 0 offen offset:4
	buffer_load_dword v12, v7, s[0:3], 0 offen
	ds_read_b64 v[9:10], v6
	v_add_nc_u32_e32 v5, 1, v5
	v_add_nc_u32_e32 v6, 8, v6
	v_add_nc_u32_e32 v7, 8, v7
	v_cmp_lt_u32_e32 vcc_lo, 50, v5
	s_or_b32 s5, vcc_lo, s5
	s_waitcnt vmcnt(1) lgkmcnt(0)
	v_mul_f32_e32 v141, v10, v11
	v_mul_f32_e32 v11, v9, v11
	s_waitcnt vmcnt(0)
	v_fma_f32 v9, v9, v12, -v141
	v_fmac_f32_e32 v11, v10, v12
	v_add_f32_e32 v8, v8, v9
	v_add_f32_e32 v2, v2, v11
	s_andn2_b32 exec_lo, exec_lo, s5
	s_cbranch_execnz .LBB63_221
; %bb.222:
	s_or_b32 exec_lo, exec_lo, s5
	v_mov_b32_e32 v5, 0
	ds_read_b64 v[5:6], v5 offset:416
	s_waitcnt lgkmcnt(0)
	v_mul_f32_e32 v7, v2, v6
	v_mul_f32_e32 v6, v8, v6
	v_fma_f32 v7, v8, v5, -v7
	v_fmac_f32_e32 v6, v2, v5
	buffer_store_dword v7, off, s[0:3], 0 offset:416
	buffer_store_dword v6, off, s[0:3], 0 offset:420
.LBB63_223:
	s_or_b32 exec_lo, exec_lo, s4
	s_waitcnt_vscnt null, 0x0
	s_barrier
	buffer_gl0_inv
	s_clause 0x1
	buffer_load_dword v5, off, s[0:3], 0 offset:424
	buffer_load_dword v6, off, s[0:3], 0 offset:428
	s_mov_b32 s4, exec_lo
	s_waitcnt vmcnt(0)
	ds_write_b64 v4, v[5:6]
	s_waitcnt lgkmcnt(0)
	s_barrier
	buffer_gl0_inv
	v_cmpx_gt_u32_e32 53, v0
	s_cbranch_execz .LBB63_227
; %bb.224:
	v_add_nc_u32_e32 v5, -1, v0
	v_or_b32_e32 v6, 0x200, v3
	v_mov_b32_e32 v7, v3
	v_mov_b32_e32 v2, 0
	;; [unrolled: 1-line block ×3, first 2 shown]
	s_mov_b32 s5, 0
	.p2align	6
.LBB63_225:                             ; =>This Inner Loop Header: Depth=1
	s_clause 0x1
	buffer_load_dword v11, v7, s[0:3], 0 offen offset:4
	buffer_load_dword v12, v7, s[0:3], 0 offen
	ds_read_b64 v[9:10], v6
	v_add_nc_u32_e32 v5, 1, v5
	v_add_nc_u32_e32 v6, 8, v6
	;; [unrolled: 1-line block ×3, first 2 shown]
	v_cmp_lt_u32_e32 vcc_lo, 51, v5
	s_or_b32 s5, vcc_lo, s5
	s_waitcnt vmcnt(1) lgkmcnt(0)
	v_mul_f32_e32 v141, v10, v11
	v_mul_f32_e32 v11, v9, v11
	s_waitcnt vmcnt(0)
	v_fma_f32 v9, v9, v12, -v141
	v_fmac_f32_e32 v11, v10, v12
	v_add_f32_e32 v8, v8, v9
	v_add_f32_e32 v2, v2, v11
	s_andn2_b32 exec_lo, exec_lo, s5
	s_cbranch_execnz .LBB63_225
; %bb.226:
	s_or_b32 exec_lo, exec_lo, s5
	v_mov_b32_e32 v5, 0
	ds_read_b64 v[5:6], v5 offset:424
	s_waitcnt lgkmcnt(0)
	v_mul_f32_e32 v7, v2, v6
	v_mul_f32_e32 v6, v8, v6
	v_fma_f32 v7, v8, v5, -v7
	v_fmac_f32_e32 v6, v2, v5
	buffer_store_dword v7, off, s[0:3], 0 offset:424
	buffer_store_dword v6, off, s[0:3], 0 offset:428
.LBB63_227:
	s_or_b32 exec_lo, exec_lo, s4
	s_waitcnt_vscnt null, 0x0
	s_barrier
	buffer_gl0_inv
	s_clause 0x1
	buffer_load_dword v5, off, s[0:3], 0 offset:432
	buffer_load_dword v6, off, s[0:3], 0 offset:436
	s_mov_b32 s4, exec_lo
	s_waitcnt vmcnt(0)
	ds_write_b64 v4, v[5:6]
	s_waitcnt lgkmcnt(0)
	s_barrier
	buffer_gl0_inv
	v_cmpx_gt_u32_e32 54, v0
	s_cbranch_execz .LBB63_231
; %bb.228:
	v_add_nc_u32_e32 v5, -1, v0
	v_or_b32_e32 v6, 0x200, v3
	v_mov_b32_e32 v7, v3
	v_mov_b32_e32 v2, 0
	;; [unrolled: 1-line block ×3, first 2 shown]
	s_mov_b32 s5, 0
	.p2align	6
.LBB63_229:                             ; =>This Inner Loop Header: Depth=1
	s_clause 0x1
	buffer_load_dword v11, v7, s[0:3], 0 offen offset:4
	buffer_load_dword v12, v7, s[0:3], 0 offen
	ds_read_b64 v[9:10], v6
	v_add_nc_u32_e32 v5, 1, v5
	v_add_nc_u32_e32 v6, 8, v6
	;; [unrolled: 1-line block ×3, first 2 shown]
	v_cmp_lt_u32_e32 vcc_lo, 52, v5
	s_or_b32 s5, vcc_lo, s5
	s_waitcnt vmcnt(1) lgkmcnt(0)
	v_mul_f32_e32 v141, v10, v11
	v_mul_f32_e32 v11, v9, v11
	s_waitcnt vmcnt(0)
	v_fma_f32 v9, v9, v12, -v141
	v_fmac_f32_e32 v11, v10, v12
	v_add_f32_e32 v8, v8, v9
	v_add_f32_e32 v2, v2, v11
	s_andn2_b32 exec_lo, exec_lo, s5
	s_cbranch_execnz .LBB63_229
; %bb.230:
	s_or_b32 exec_lo, exec_lo, s5
	v_mov_b32_e32 v5, 0
	ds_read_b64 v[5:6], v5 offset:432
	s_waitcnt lgkmcnt(0)
	v_mul_f32_e32 v7, v2, v6
	v_mul_f32_e32 v6, v8, v6
	v_fma_f32 v7, v8, v5, -v7
	v_fmac_f32_e32 v6, v2, v5
	buffer_store_dword v7, off, s[0:3], 0 offset:432
	buffer_store_dword v6, off, s[0:3], 0 offset:436
.LBB63_231:
	s_or_b32 exec_lo, exec_lo, s4
	s_waitcnt_vscnt null, 0x0
	s_barrier
	buffer_gl0_inv
	s_clause 0x1
	buffer_load_dword v5, off, s[0:3], 0 offset:440
	buffer_load_dword v6, off, s[0:3], 0 offset:444
	s_mov_b32 s4, exec_lo
	s_waitcnt vmcnt(0)
	ds_write_b64 v4, v[5:6]
	s_waitcnt lgkmcnt(0)
	s_barrier
	buffer_gl0_inv
	v_cmpx_gt_u32_e32 55, v0
	s_cbranch_execz .LBB63_235
; %bb.232:
	v_add_nc_u32_e32 v5, -1, v0
	v_or_b32_e32 v6, 0x200, v3
	v_mov_b32_e32 v7, v3
	v_mov_b32_e32 v2, 0
	v_mov_b32_e32 v8, 0
	s_mov_b32 s5, 0
	.p2align	6
.LBB63_233:                             ; =>This Inner Loop Header: Depth=1
	s_clause 0x1
	buffer_load_dword v11, v7, s[0:3], 0 offen offset:4
	buffer_load_dword v12, v7, s[0:3], 0 offen
	ds_read_b64 v[9:10], v6
	v_add_nc_u32_e32 v5, 1, v5
	v_add_nc_u32_e32 v6, 8, v6
	;; [unrolled: 1-line block ×3, first 2 shown]
	v_cmp_lt_u32_e32 vcc_lo, 53, v5
	s_or_b32 s5, vcc_lo, s5
	s_waitcnt vmcnt(1) lgkmcnt(0)
	v_mul_f32_e32 v141, v10, v11
	v_mul_f32_e32 v11, v9, v11
	s_waitcnt vmcnt(0)
	v_fma_f32 v9, v9, v12, -v141
	v_fmac_f32_e32 v11, v10, v12
	v_add_f32_e32 v8, v8, v9
	v_add_f32_e32 v2, v2, v11
	s_andn2_b32 exec_lo, exec_lo, s5
	s_cbranch_execnz .LBB63_233
; %bb.234:
	s_or_b32 exec_lo, exec_lo, s5
	v_mov_b32_e32 v5, 0
	ds_read_b64 v[5:6], v5 offset:440
	s_waitcnt lgkmcnt(0)
	v_mul_f32_e32 v7, v2, v6
	v_mul_f32_e32 v6, v8, v6
	v_fma_f32 v7, v8, v5, -v7
	v_fmac_f32_e32 v6, v2, v5
	buffer_store_dword v7, off, s[0:3], 0 offset:440
	buffer_store_dword v6, off, s[0:3], 0 offset:444
.LBB63_235:
	s_or_b32 exec_lo, exec_lo, s4
	s_waitcnt_vscnt null, 0x0
	s_barrier
	buffer_gl0_inv
	s_clause 0x1
	buffer_load_dword v5, off, s[0:3], 0 offset:448
	buffer_load_dword v6, off, s[0:3], 0 offset:452
	s_mov_b32 s4, exec_lo
	s_waitcnt vmcnt(0)
	ds_write_b64 v4, v[5:6]
	s_waitcnt lgkmcnt(0)
	s_barrier
	buffer_gl0_inv
	v_cmpx_gt_u32_e32 56, v0
	s_cbranch_execz .LBB63_239
; %bb.236:
	v_add_nc_u32_e32 v5, -1, v0
	v_or_b32_e32 v6, 0x200, v3
	v_mov_b32_e32 v7, v3
	v_mov_b32_e32 v2, 0
	;; [unrolled: 1-line block ×3, first 2 shown]
	s_mov_b32 s5, 0
	.p2align	6
.LBB63_237:                             ; =>This Inner Loop Header: Depth=1
	s_clause 0x1
	buffer_load_dword v11, v7, s[0:3], 0 offen offset:4
	buffer_load_dword v12, v7, s[0:3], 0 offen
	ds_read_b64 v[9:10], v6
	v_add_nc_u32_e32 v5, 1, v5
	v_add_nc_u32_e32 v6, 8, v6
	;; [unrolled: 1-line block ×3, first 2 shown]
	v_cmp_lt_u32_e32 vcc_lo, 54, v5
	s_or_b32 s5, vcc_lo, s5
	s_waitcnt vmcnt(1) lgkmcnt(0)
	v_mul_f32_e32 v141, v10, v11
	v_mul_f32_e32 v11, v9, v11
	s_waitcnt vmcnt(0)
	v_fma_f32 v9, v9, v12, -v141
	v_fmac_f32_e32 v11, v10, v12
	v_add_f32_e32 v8, v8, v9
	v_add_f32_e32 v2, v2, v11
	s_andn2_b32 exec_lo, exec_lo, s5
	s_cbranch_execnz .LBB63_237
; %bb.238:
	s_or_b32 exec_lo, exec_lo, s5
	v_mov_b32_e32 v5, 0
	ds_read_b64 v[5:6], v5 offset:448
	s_waitcnt lgkmcnt(0)
	v_mul_f32_e32 v7, v2, v6
	v_mul_f32_e32 v6, v8, v6
	v_fma_f32 v7, v8, v5, -v7
	v_fmac_f32_e32 v6, v2, v5
	buffer_store_dword v7, off, s[0:3], 0 offset:448
	buffer_store_dword v6, off, s[0:3], 0 offset:452
.LBB63_239:
	s_or_b32 exec_lo, exec_lo, s4
	s_waitcnt_vscnt null, 0x0
	s_barrier
	buffer_gl0_inv
	s_clause 0x1
	buffer_load_dword v5, off, s[0:3], 0 offset:456
	buffer_load_dword v6, off, s[0:3], 0 offset:460
	s_mov_b32 s4, exec_lo
	s_waitcnt vmcnt(0)
	ds_write_b64 v4, v[5:6]
	s_waitcnt lgkmcnt(0)
	s_barrier
	buffer_gl0_inv
	v_cmpx_gt_u32_e32 57, v0
	s_cbranch_execz .LBB63_243
; %bb.240:
	v_add_nc_u32_e32 v5, -1, v0
	v_or_b32_e32 v6, 0x200, v3
	v_mov_b32_e32 v7, v3
	v_mov_b32_e32 v2, 0
	;; [unrolled: 1-line block ×3, first 2 shown]
	s_mov_b32 s5, 0
	.p2align	6
.LBB63_241:                             ; =>This Inner Loop Header: Depth=1
	s_clause 0x1
	buffer_load_dword v11, v7, s[0:3], 0 offen offset:4
	buffer_load_dword v12, v7, s[0:3], 0 offen
	ds_read_b64 v[9:10], v6
	v_add_nc_u32_e32 v5, 1, v5
	v_add_nc_u32_e32 v6, 8, v6
	;; [unrolled: 1-line block ×3, first 2 shown]
	v_cmp_lt_u32_e32 vcc_lo, 55, v5
	s_or_b32 s5, vcc_lo, s5
	s_waitcnt vmcnt(1) lgkmcnt(0)
	v_mul_f32_e32 v141, v10, v11
	v_mul_f32_e32 v11, v9, v11
	s_waitcnt vmcnt(0)
	v_fma_f32 v9, v9, v12, -v141
	v_fmac_f32_e32 v11, v10, v12
	v_add_f32_e32 v8, v8, v9
	v_add_f32_e32 v2, v2, v11
	s_andn2_b32 exec_lo, exec_lo, s5
	s_cbranch_execnz .LBB63_241
; %bb.242:
	s_or_b32 exec_lo, exec_lo, s5
	v_mov_b32_e32 v5, 0
	ds_read_b64 v[5:6], v5 offset:456
	s_waitcnt lgkmcnt(0)
	v_mul_f32_e32 v7, v2, v6
	v_mul_f32_e32 v6, v8, v6
	v_fma_f32 v7, v8, v5, -v7
	v_fmac_f32_e32 v6, v2, v5
	buffer_store_dword v7, off, s[0:3], 0 offset:456
	buffer_store_dword v6, off, s[0:3], 0 offset:460
.LBB63_243:
	s_or_b32 exec_lo, exec_lo, s4
	s_waitcnt_vscnt null, 0x0
	s_barrier
	buffer_gl0_inv
	s_clause 0x1
	buffer_load_dword v5, off, s[0:3], 0 offset:464
	buffer_load_dword v6, off, s[0:3], 0 offset:468
	s_mov_b32 s4, exec_lo
	s_waitcnt vmcnt(0)
	ds_write_b64 v4, v[5:6]
	s_waitcnt lgkmcnt(0)
	s_barrier
	buffer_gl0_inv
	v_cmpx_gt_u32_e32 58, v0
	s_cbranch_execz .LBB63_247
; %bb.244:
	v_add_nc_u32_e32 v5, -1, v0
	v_or_b32_e32 v6, 0x200, v3
	v_mov_b32_e32 v7, v3
	v_mov_b32_e32 v2, 0
	;; [unrolled: 1-line block ×3, first 2 shown]
	s_mov_b32 s5, 0
	.p2align	6
.LBB63_245:                             ; =>This Inner Loop Header: Depth=1
	s_clause 0x1
	buffer_load_dword v11, v7, s[0:3], 0 offen offset:4
	buffer_load_dword v12, v7, s[0:3], 0 offen
	ds_read_b64 v[9:10], v6
	v_add_nc_u32_e32 v5, 1, v5
	v_add_nc_u32_e32 v6, 8, v6
	v_add_nc_u32_e32 v7, 8, v7
	v_cmp_lt_u32_e32 vcc_lo, 56, v5
	s_or_b32 s5, vcc_lo, s5
	s_waitcnt vmcnt(1) lgkmcnt(0)
	v_mul_f32_e32 v141, v10, v11
	v_mul_f32_e32 v11, v9, v11
	s_waitcnt vmcnt(0)
	v_fma_f32 v9, v9, v12, -v141
	v_fmac_f32_e32 v11, v10, v12
	v_add_f32_e32 v8, v8, v9
	v_add_f32_e32 v2, v2, v11
	s_andn2_b32 exec_lo, exec_lo, s5
	s_cbranch_execnz .LBB63_245
; %bb.246:
	s_or_b32 exec_lo, exec_lo, s5
	v_mov_b32_e32 v5, 0
	ds_read_b64 v[5:6], v5 offset:464
	s_waitcnt lgkmcnt(0)
	v_mul_f32_e32 v7, v2, v6
	v_mul_f32_e32 v6, v8, v6
	v_fma_f32 v7, v8, v5, -v7
	v_fmac_f32_e32 v6, v2, v5
	buffer_store_dword v7, off, s[0:3], 0 offset:464
	buffer_store_dword v6, off, s[0:3], 0 offset:468
.LBB63_247:
	s_or_b32 exec_lo, exec_lo, s4
	s_waitcnt_vscnt null, 0x0
	s_barrier
	buffer_gl0_inv
	s_clause 0x1
	buffer_load_dword v5, off, s[0:3], 0 offset:472
	buffer_load_dword v6, off, s[0:3], 0 offset:476
	s_mov_b32 s4, exec_lo
	s_waitcnt vmcnt(0)
	ds_write_b64 v4, v[5:6]
	s_waitcnt lgkmcnt(0)
	s_barrier
	buffer_gl0_inv
	v_cmpx_gt_u32_e32 59, v0
	s_cbranch_execz .LBB63_251
; %bb.248:
	v_add_nc_u32_e32 v5, -1, v0
	v_or_b32_e32 v6, 0x200, v3
	v_mov_b32_e32 v7, v3
	v_mov_b32_e32 v2, 0
	;; [unrolled: 1-line block ×3, first 2 shown]
	s_mov_b32 s5, 0
	.p2align	6
.LBB63_249:                             ; =>This Inner Loop Header: Depth=1
	s_clause 0x1
	buffer_load_dword v11, v7, s[0:3], 0 offen offset:4
	buffer_load_dword v12, v7, s[0:3], 0 offen
	ds_read_b64 v[9:10], v6
	v_add_nc_u32_e32 v5, 1, v5
	v_add_nc_u32_e32 v6, 8, v6
	;; [unrolled: 1-line block ×3, first 2 shown]
	v_cmp_lt_u32_e32 vcc_lo, 57, v5
	s_or_b32 s5, vcc_lo, s5
	s_waitcnt vmcnt(1) lgkmcnt(0)
	v_mul_f32_e32 v141, v10, v11
	v_mul_f32_e32 v11, v9, v11
	s_waitcnt vmcnt(0)
	v_fma_f32 v9, v9, v12, -v141
	v_fmac_f32_e32 v11, v10, v12
	v_add_f32_e32 v8, v8, v9
	v_add_f32_e32 v2, v2, v11
	s_andn2_b32 exec_lo, exec_lo, s5
	s_cbranch_execnz .LBB63_249
; %bb.250:
	s_or_b32 exec_lo, exec_lo, s5
	v_mov_b32_e32 v5, 0
	ds_read_b64 v[5:6], v5 offset:472
	s_waitcnt lgkmcnt(0)
	v_mul_f32_e32 v7, v2, v6
	v_mul_f32_e32 v6, v8, v6
	v_fma_f32 v7, v8, v5, -v7
	v_fmac_f32_e32 v6, v2, v5
	buffer_store_dword v7, off, s[0:3], 0 offset:472
	buffer_store_dword v6, off, s[0:3], 0 offset:476
.LBB63_251:
	s_or_b32 exec_lo, exec_lo, s4
	s_waitcnt_vscnt null, 0x0
	s_barrier
	buffer_gl0_inv
	s_clause 0x1
	buffer_load_dword v5, off, s[0:3], 0 offset:480
	buffer_load_dword v6, off, s[0:3], 0 offset:484
	s_mov_b32 s4, exec_lo
	s_waitcnt vmcnt(0)
	ds_write_b64 v4, v[5:6]
	s_waitcnt lgkmcnt(0)
	s_barrier
	buffer_gl0_inv
	v_cmpx_gt_u32_e32 60, v0
	s_cbranch_execz .LBB63_255
; %bb.252:
	v_add_nc_u32_e32 v5, -1, v0
	v_or_b32_e32 v6, 0x200, v3
	v_mov_b32_e32 v7, v3
	v_mov_b32_e32 v2, 0
	;; [unrolled: 1-line block ×3, first 2 shown]
	s_mov_b32 s5, 0
	.p2align	6
.LBB63_253:                             ; =>This Inner Loop Header: Depth=1
	s_clause 0x1
	buffer_load_dword v11, v7, s[0:3], 0 offen offset:4
	buffer_load_dword v12, v7, s[0:3], 0 offen
	ds_read_b64 v[9:10], v6
	v_add_nc_u32_e32 v5, 1, v5
	v_add_nc_u32_e32 v6, 8, v6
	;; [unrolled: 1-line block ×3, first 2 shown]
	v_cmp_lt_u32_e32 vcc_lo, 58, v5
	s_or_b32 s5, vcc_lo, s5
	s_waitcnt vmcnt(1) lgkmcnt(0)
	v_mul_f32_e32 v141, v10, v11
	v_mul_f32_e32 v11, v9, v11
	s_waitcnt vmcnt(0)
	v_fma_f32 v9, v9, v12, -v141
	v_fmac_f32_e32 v11, v10, v12
	v_add_f32_e32 v8, v8, v9
	v_add_f32_e32 v2, v2, v11
	s_andn2_b32 exec_lo, exec_lo, s5
	s_cbranch_execnz .LBB63_253
; %bb.254:
	s_or_b32 exec_lo, exec_lo, s5
	v_mov_b32_e32 v5, 0
	ds_read_b64 v[5:6], v5 offset:480
	s_waitcnt lgkmcnt(0)
	v_mul_f32_e32 v7, v2, v6
	v_mul_f32_e32 v6, v8, v6
	v_fma_f32 v7, v8, v5, -v7
	v_fmac_f32_e32 v6, v2, v5
	buffer_store_dword v7, off, s[0:3], 0 offset:480
	buffer_store_dword v6, off, s[0:3], 0 offset:484
.LBB63_255:
	s_or_b32 exec_lo, exec_lo, s4
	s_waitcnt_vscnt null, 0x0
	s_barrier
	buffer_gl0_inv
	s_clause 0x1
	buffer_load_dword v5, off, s[0:3], 0 offset:488
	buffer_load_dword v6, off, s[0:3], 0 offset:492
	s_mov_b32 s4, exec_lo
	s_waitcnt vmcnt(0)
	ds_write_b64 v4, v[5:6]
	s_waitcnt lgkmcnt(0)
	s_barrier
	buffer_gl0_inv
	v_cmpx_gt_u32_e32 61, v0
	s_cbranch_execz .LBB63_259
; %bb.256:
	v_add_nc_u32_e32 v5, -1, v0
	v_or_b32_e32 v6, 0x200, v3
	v_mov_b32_e32 v7, v3
	v_mov_b32_e32 v2, 0
	;; [unrolled: 1-line block ×3, first 2 shown]
	s_mov_b32 s5, 0
	.p2align	6
.LBB63_257:                             ; =>This Inner Loop Header: Depth=1
	s_clause 0x1
	buffer_load_dword v11, v7, s[0:3], 0 offen offset:4
	buffer_load_dword v12, v7, s[0:3], 0 offen
	ds_read_b64 v[9:10], v6
	v_add_nc_u32_e32 v5, 1, v5
	v_add_nc_u32_e32 v6, 8, v6
	;; [unrolled: 1-line block ×3, first 2 shown]
	v_cmp_lt_u32_e32 vcc_lo, 59, v5
	s_or_b32 s5, vcc_lo, s5
	s_waitcnt vmcnt(1) lgkmcnt(0)
	v_mul_f32_e32 v141, v10, v11
	v_mul_f32_e32 v11, v9, v11
	s_waitcnt vmcnt(0)
	v_fma_f32 v9, v9, v12, -v141
	v_fmac_f32_e32 v11, v10, v12
	v_add_f32_e32 v8, v8, v9
	v_add_f32_e32 v2, v2, v11
	s_andn2_b32 exec_lo, exec_lo, s5
	s_cbranch_execnz .LBB63_257
; %bb.258:
	s_or_b32 exec_lo, exec_lo, s5
	v_mov_b32_e32 v5, 0
	ds_read_b64 v[5:6], v5 offset:488
	s_waitcnt lgkmcnt(0)
	v_mul_f32_e32 v7, v2, v6
	v_mul_f32_e32 v6, v8, v6
	v_fma_f32 v7, v8, v5, -v7
	v_fmac_f32_e32 v6, v2, v5
	buffer_store_dword v7, off, s[0:3], 0 offset:488
	buffer_store_dword v6, off, s[0:3], 0 offset:492
.LBB63_259:
	s_or_b32 exec_lo, exec_lo, s4
	s_waitcnt_vscnt null, 0x0
	s_barrier
	buffer_gl0_inv
	s_clause 0x1
	buffer_load_dword v5, off, s[0:3], 0 offset:496
	buffer_load_dword v6, off, s[0:3], 0 offset:500
	s_mov_b32 s4, exec_lo
	s_waitcnt vmcnt(0)
	ds_write_b64 v4, v[5:6]
	s_waitcnt lgkmcnt(0)
	s_barrier
	buffer_gl0_inv
	v_cmpx_gt_u32_e32 62, v0
	s_cbranch_execz .LBB63_263
; %bb.260:
	v_add_nc_u32_e32 v5, -1, v0
	v_or_b32_e32 v6, 0x200, v3
	v_mov_b32_e32 v7, v3
	v_mov_b32_e32 v2, 0
	;; [unrolled: 1-line block ×3, first 2 shown]
	s_mov_b32 s5, 0
	.p2align	6
.LBB63_261:                             ; =>This Inner Loop Header: Depth=1
	s_clause 0x1
	buffer_load_dword v11, v7, s[0:3], 0 offen offset:4
	buffer_load_dword v12, v7, s[0:3], 0 offen
	ds_read_b64 v[9:10], v6
	v_add_nc_u32_e32 v5, 1, v5
	v_add_nc_u32_e32 v6, 8, v6
	;; [unrolled: 1-line block ×3, first 2 shown]
	v_cmp_lt_u32_e32 vcc_lo, 60, v5
	s_or_b32 s5, vcc_lo, s5
	s_waitcnt vmcnt(1) lgkmcnt(0)
	v_mul_f32_e32 v141, v10, v11
	v_mul_f32_e32 v11, v9, v11
	s_waitcnt vmcnt(0)
	v_fma_f32 v9, v9, v12, -v141
	v_fmac_f32_e32 v11, v10, v12
	v_add_f32_e32 v8, v8, v9
	v_add_f32_e32 v2, v2, v11
	s_andn2_b32 exec_lo, exec_lo, s5
	s_cbranch_execnz .LBB63_261
; %bb.262:
	s_or_b32 exec_lo, exec_lo, s5
	v_mov_b32_e32 v5, 0
	ds_read_b64 v[5:6], v5 offset:496
	s_waitcnt lgkmcnt(0)
	v_mul_f32_e32 v7, v2, v6
	v_mul_f32_e32 v6, v8, v6
	v_fma_f32 v7, v8, v5, -v7
	v_fmac_f32_e32 v6, v2, v5
	buffer_store_dword v7, off, s[0:3], 0 offset:496
	buffer_store_dword v6, off, s[0:3], 0 offset:500
.LBB63_263:
	s_or_b32 exec_lo, exec_lo, s4
	s_waitcnt_vscnt null, 0x0
	s_barrier
	buffer_gl0_inv
	s_clause 0x1
	buffer_load_dword v5, off, s[0:3], 0 offset:504
	buffer_load_dword v6, off, s[0:3], 0 offset:508
	s_mov_b32 s4, exec_lo
	s_waitcnt vmcnt(0)
	ds_write_b64 v4, v[5:6]
	s_waitcnt lgkmcnt(0)
	s_barrier
	buffer_gl0_inv
	v_cmpx_ne_u32_e32 63, v0
	s_cbranch_execz .LBB63_267
; %bb.264:
	v_mov_b32_e32 v2, 0
	v_mov_b32_e32 v5, 0
	s_mov_b32 s5, 0
	.p2align	6
.LBB63_265:                             ; =>This Inner Loop Header: Depth=1
	s_clause 0x1
	buffer_load_dword v8, v3, s[0:3], 0 offen offset:4
	buffer_load_dword v9, v3, s[0:3], 0 offen
	ds_read_b64 v[6:7], v4
	v_add_nc_u32_e32 v1, 1, v1
	v_add_nc_u32_e32 v4, 8, v4
	;; [unrolled: 1-line block ×3, first 2 shown]
	v_cmp_lt_u32_e32 vcc_lo, 61, v1
	s_or_b32 s5, vcc_lo, s5
	s_waitcnt vmcnt(1) lgkmcnt(0)
	v_mul_f32_e32 v10, v7, v8
	v_mul_f32_e32 v8, v6, v8
	s_waitcnt vmcnt(0)
	v_fma_f32 v6, v6, v9, -v10
	v_fmac_f32_e32 v8, v7, v9
	v_add_f32_e32 v5, v5, v6
	v_add_f32_e32 v2, v2, v8
	s_andn2_b32 exec_lo, exec_lo, s5
	s_cbranch_execnz .LBB63_265
; %bb.266:
	s_or_b32 exec_lo, exec_lo, s5
	v_mov_b32_e32 v1, 0
	ds_read_b64 v[3:4], v1 offset:504
	s_waitcnt lgkmcnt(0)
	v_mul_f32_e32 v1, v2, v4
	v_mul_f32_e32 v4, v5, v4
	v_fma_f32 v1, v5, v3, -v1
	v_fmac_f32_e32 v4, v2, v3
	buffer_store_dword v1, off, s[0:3], 0 offset:504
	buffer_store_dword v4, off, s[0:3], 0 offset:508
.LBB63_267:
	s_or_b32 exec_lo, exec_lo, s4
	s_mov_b32 s5, -1
	s_waitcnt_vscnt null, 0x0
	s_barrier
	buffer_gl0_inv
.LBB63_268:
	s_and_b32 vcc_lo, exec_lo, s5
	s_cbranch_vccz .LBB63_270
; %bb.269:
	s_lshl_b64 s[4:5], s[6:7], 2
	v_mov_b32_e32 v1, 0
	s_add_u32 s4, s10, s4
	s_addc_u32 s5, s11, s5
	global_load_dword v1, v1, s[4:5]
	s_waitcnt vmcnt(0)
	v_cmp_ne_u32_e32 vcc_lo, 0, v1
	s_cbranch_vccz .LBB63_271
.LBB63_270:
	s_endpgm
.LBB63_271:
	v_lshl_or_b32 v141, v0, 3, 0x200
	s_mov_b32 s4, exec_lo
	v_cmpx_eq_u32_e32 63, v0
	s_cbranch_execz .LBB63_273
; %bb.272:
	s_clause 0x1
	buffer_load_dword v1, off, s[0:3], 0 offset:496
	buffer_load_dword v2, off, s[0:3], 0 offset:500
	v_mov_b32_e32 v3, 0
	buffer_store_dword v3, off, s[0:3], 0 offset:496
	buffer_store_dword v3, off, s[0:3], 0 offset:500
	s_waitcnt vmcnt(0)
	ds_write_b64 v141, v[1:2]
.LBB63_273:
	s_or_b32 exec_lo, exec_lo, s4
	s_waitcnt lgkmcnt(0)
	s_waitcnt_vscnt null, 0x0
	s_barrier
	buffer_gl0_inv
	s_clause 0x3
	buffer_load_dword v4, off, s[0:3], 0 offset:508
	buffer_load_dword v5, off, s[0:3], 0 offset:504
	;; [unrolled: 1-line block ×4, first 2 shown]
	v_mov_b32_e32 v1, 0
	s_mov_b32 s4, exec_lo
	ds_read_b64 v[2:3], v1 offset:1016
	s_waitcnt vmcnt(3) lgkmcnt(0)
	v_mul_f32_e32 v8, v3, v4
	v_mul_f32_e32 v4, v2, v4
	s_waitcnt vmcnt(2)
	v_fma_f32 v2, v2, v5, -v8
	v_fmac_f32_e32 v4, v3, v5
	v_add_f32_e32 v2, 0, v2
	v_add_f32_e32 v3, 0, v4
	s_waitcnt vmcnt(1)
	v_sub_f32_e32 v2, v6, v2
	s_waitcnt vmcnt(0)
	v_sub_f32_e32 v3, v7, v3
	buffer_store_dword v2, off, s[0:3], 0 offset:496
	buffer_store_dword v3, off, s[0:3], 0 offset:500
	v_cmpx_lt_u32_e32 61, v0
	s_cbranch_execz .LBB63_275
; %bb.274:
	s_clause 0x1
	buffer_load_dword v2, off, s[0:3], 0 offset:488
	buffer_load_dword v3, off, s[0:3], 0 offset:492
	buffer_store_dword v1, off, s[0:3], 0 offset:488
	buffer_store_dword v1, off, s[0:3], 0 offset:492
	s_waitcnt vmcnt(0)
	ds_write_b64 v141, v[2:3]
.LBB63_275:
	s_or_b32 exec_lo, exec_lo, s4
	s_waitcnt lgkmcnt(0)
	s_waitcnt_vscnt null, 0x0
	s_barrier
	buffer_gl0_inv
	s_clause 0x5
	buffer_load_dword v5, off, s[0:3], 0 offset:500
	buffer_load_dword v6, off, s[0:3], 0 offset:508
	;; [unrolled: 1-line block ×6, first 2 shown]
	ds_read_b128 v[1:4], v1 offset:1008
	s_mov_b32 s4, exec_lo
	s_waitcnt vmcnt(5) lgkmcnt(0)
	v_mul_f32_e32 v11, v2, v5
	v_mul_f32_e32 v5, v1, v5
	s_waitcnt vmcnt(4)
	v_mul_f32_e32 v12, v3, v6
	v_mul_f32_e32 v6, v4, v6
	s_waitcnt vmcnt(3)
	v_fma_f32 v1, v1, v7, -v11
	v_fmac_f32_e32 v5, v2, v7
	s_waitcnt vmcnt(2)
	v_fmac_f32_e32 v12, v4, v8
	v_fma_f32 v2, v3, v8, -v6
	v_add_f32_e32 v1, 0, v1
	v_add_f32_e32 v3, 0, v5
	;; [unrolled: 1-line block ×4, first 2 shown]
	s_waitcnt vmcnt(1)
	v_sub_f32_e32 v1, v9, v1
	s_waitcnt vmcnt(0)
	v_sub_f32_e32 v2, v10, v2
	buffer_store_dword v1, off, s[0:3], 0 offset:488
	buffer_store_dword v2, off, s[0:3], 0 offset:492
	v_cmpx_lt_u32_e32 60, v0
	s_cbranch_execz .LBB63_277
; %bb.276:
	s_clause 0x1
	buffer_load_dword v1, off, s[0:3], 0 offset:480
	buffer_load_dword v2, off, s[0:3], 0 offset:484
	v_mov_b32_e32 v3, 0
	buffer_store_dword v3, off, s[0:3], 0 offset:480
	buffer_store_dword v3, off, s[0:3], 0 offset:484
	s_waitcnt vmcnt(0)
	ds_write_b64 v141, v[1:2]
.LBB63_277:
	s_or_b32 exec_lo, exec_lo, s4
	s_waitcnt lgkmcnt(0)
	s_waitcnt_vscnt null, 0x0
	s_barrier
	buffer_gl0_inv
	s_clause 0x7
	buffer_load_dword v8, off, s[0:3], 0 offset:492
	buffer_load_dword v9, off, s[0:3], 0 offset:500
	;; [unrolled: 1-line block ×8, first 2 shown]
	v_mov_b32_e32 v1, 0
	ds_read2_b64 v[2:5], v1 offset0:125 offset1:126
	ds_read_b64 v[6:7], v1 offset:1016
	s_mov_b32 s4, exec_lo
	s_waitcnt vmcnt(7) lgkmcnt(1)
	v_mul_f32_e32 v145, v3, v8
	v_mul_f32_e32 v8, v2, v8
	s_waitcnt vmcnt(6)
	v_mul_f32_e32 v146, v4, v9
	v_mul_f32_e32 v9, v5, v9
	s_waitcnt vmcnt(5) lgkmcnt(0)
	v_mul_f32_e32 v147, v6, v10
	s_waitcnt vmcnt(4)
	v_fma_f32 v2, v2, v11, -v145
	v_fmac_f32_e32 v8, v3, v11
	v_mul_f32_e32 v3, v7, v10
	s_waitcnt vmcnt(3)
	v_fma_f32 v4, v4, v12, -v9
	v_fmac_f32_e32 v146, v5, v12
	v_add_f32_e32 v2, 0, v2
	v_add_f32_e32 v5, 0, v8
	s_waitcnt vmcnt(2)
	v_fma_f32 v3, v6, v142, -v3
	v_fmac_f32_e32 v147, v7, v142
	v_add_f32_e32 v2, v2, v4
	v_add_f32_e32 v4, v5, v146
	;; [unrolled: 1-line block ×4, first 2 shown]
	s_waitcnt vmcnt(1)
	v_sub_f32_e32 v2, v143, v2
	s_waitcnt vmcnt(0)
	v_sub_f32_e32 v3, v144, v3
	buffer_store_dword v2, off, s[0:3], 0 offset:480
	buffer_store_dword v3, off, s[0:3], 0 offset:484
	v_cmpx_lt_u32_e32 59, v0
	s_cbranch_execz .LBB63_279
; %bb.278:
	s_clause 0x1
	buffer_load_dword v2, off, s[0:3], 0 offset:472
	buffer_load_dword v3, off, s[0:3], 0 offset:476
	buffer_store_dword v1, off, s[0:3], 0 offset:472
	buffer_store_dword v1, off, s[0:3], 0 offset:476
	s_waitcnt vmcnt(0)
	ds_write_b64 v141, v[2:3]
.LBB63_279:
	s_or_b32 exec_lo, exec_lo, s4
	s_waitcnt lgkmcnt(0)
	s_waitcnt_vscnt null, 0x0
	s_barrier
	buffer_gl0_inv
	s_clause 0x9
	buffer_load_dword v10, off, s[0:3], 0 offset:484
	buffer_load_dword v11, off, s[0:3], 0 offset:492
	;; [unrolled: 1-line block ×10, first 2 shown]
	ds_read_b128 v[2:5], v1 offset:992
	ds_read_b128 v[6:9], v1 offset:1008
	s_mov_b32 s4, exec_lo
	s_waitcnt vmcnt(9) lgkmcnt(1)
	v_mul_f32_e32 v1, v2, v10
	v_mul_f32_e32 v10, v3, v10
	s_waitcnt vmcnt(8)
	v_mul_f32_e32 v149, v4, v11
	v_mul_f32_e32 v11, v5, v11
	s_waitcnt vmcnt(7) lgkmcnt(0)
	v_mul_f32_e32 v150, v6, v12
	s_waitcnt vmcnt(5)
	v_fmac_f32_e32 v1, v3, v143
	v_fma_f32 v2, v2, v143, -v10
	v_mul_f32_e32 v3, v7, v12
	s_waitcnt vmcnt(4)
	v_fma_f32 v4, v4, v144, -v11
	v_fmac_f32_e32 v149, v5, v144
	v_add_f32_e32 v1, 0, v1
	v_add_f32_e32 v2, 0, v2
	v_mul_f32_e32 v5, v9, v142
	s_waitcnt vmcnt(3)
	v_fma_f32 v3, v6, v145, -v3
	v_mul_f32_e32 v151, v8, v142
	v_fmac_f32_e32 v150, v7, v145
	v_add_f32_e32 v2, v2, v4
	v_add_f32_e32 v1, v1, v149
	s_waitcnt vmcnt(2)
	v_fma_f32 v4, v8, v146, -v5
	v_fmac_f32_e32 v151, v9, v146
	v_add_f32_e32 v2, v2, v3
	v_add_f32_e32 v1, v1, v150
	;; [unrolled: 1-line block ×4, first 2 shown]
	s_waitcnt vmcnt(1)
	v_sub_f32_e32 v2, v147, v2
	s_waitcnt vmcnt(0)
	v_sub_f32_e32 v1, v148, v1
	buffer_store_dword v2, off, s[0:3], 0 offset:472
	buffer_store_dword v1, off, s[0:3], 0 offset:476
	v_cmpx_lt_u32_e32 58, v0
	s_cbranch_execz .LBB63_281
; %bb.280:
	s_clause 0x1
	buffer_load_dword v1, off, s[0:3], 0 offset:464
	buffer_load_dword v2, off, s[0:3], 0 offset:468
	v_mov_b32_e32 v3, 0
	buffer_store_dword v3, off, s[0:3], 0 offset:464
	buffer_store_dword v3, off, s[0:3], 0 offset:468
	s_waitcnt vmcnt(0)
	ds_write_b64 v141, v[1:2]
.LBB63_281:
	s_or_b32 exec_lo, exec_lo, s4
	s_waitcnt lgkmcnt(0)
	s_waitcnt_vscnt null, 0x0
	s_barrier
	buffer_gl0_inv
	s_clause 0xb
	buffer_load_dword v12, off, s[0:3], 0 offset:476
	buffer_load_dword v142, off, s[0:3], 0 offset:484
	;; [unrolled: 1-line block ×12, first 2 shown]
	v_mov_b32_e32 v1, 0
	ds_read2_b64 v[2:5], v1 offset0:123 offset1:124
	ds_read2_b64 v[6:9], v1 offset0:125 offset1:126
	ds_read_b64 v[10:11], v1 offset:1016
	s_mov_b32 s4, exec_lo
	s_waitcnt vmcnt(11) lgkmcnt(2)
	v_mul_f32_e32 v153, v2, v12
	v_mul_f32_e32 v12, v3, v12
	s_waitcnt vmcnt(10)
	v_mul_f32_e32 v154, v4, v142
	v_mul_f32_e32 v142, v5, v142
	s_waitcnt vmcnt(9) lgkmcnt(1)
	v_mul_f32_e32 v155, v6, v143
	s_waitcnt vmcnt(6)
	v_fmac_f32_e32 v153, v3, v146
	v_fma_f32 v2, v2, v146, -v12
	v_mul_f32_e32 v3, v7, v143
	s_waitcnt vmcnt(5)
	v_fma_f32 v4, v4, v147, -v142
	v_fmac_f32_e32 v154, v5, v147
	v_add_f32_e32 v5, 0, v153
	v_add_f32_e32 v2, 0, v2
	v_mul_f32_e32 v12, v9, v144
	s_waitcnt vmcnt(4)
	v_fma_f32 v3, v6, v148, -v3
	v_mul_f32_e32 v156, v8, v144
	v_fmac_f32_e32 v155, v7, v148
	v_add_f32_e32 v2, v2, v4
	v_add_f32_e32 v4, v5, v154
	s_waitcnt lgkmcnt(0)
	v_mul_f32_e32 v5, v11, v145
	s_waitcnt vmcnt(3)
	v_fma_f32 v6, v8, v149, -v12
	v_mul_f32_e32 v157, v10, v145
	v_add_f32_e32 v2, v2, v3
	v_fmac_f32_e32 v156, v9, v149
	v_add_f32_e32 v3, v4, v155
	s_waitcnt vmcnt(2)
	v_fma_f32 v4, v10, v150, -v5
	v_fmac_f32_e32 v157, v11, v150
	v_add_f32_e32 v2, v2, v6
	v_add_f32_e32 v3, v3, v156
	;; [unrolled: 1-line block ×4, first 2 shown]
	s_waitcnt vmcnt(1)
	v_sub_f32_e32 v2, v151, v2
	s_waitcnt vmcnt(0)
	v_sub_f32_e32 v3, v152, v3
	buffer_store_dword v2, off, s[0:3], 0 offset:464
	buffer_store_dword v3, off, s[0:3], 0 offset:468
	v_cmpx_lt_u32_e32 57, v0
	s_cbranch_execz .LBB63_283
; %bb.282:
	s_clause 0x1
	buffer_load_dword v2, off, s[0:3], 0 offset:456
	buffer_load_dword v3, off, s[0:3], 0 offset:460
	buffer_store_dword v1, off, s[0:3], 0 offset:456
	buffer_store_dword v1, off, s[0:3], 0 offset:460
	s_waitcnt vmcnt(0)
	ds_write_b64 v141, v[2:3]
.LBB63_283:
	s_or_b32 exec_lo, exec_lo, s4
	s_waitcnt lgkmcnt(0)
	s_waitcnt_vscnt null, 0x0
	s_barrier
	buffer_gl0_inv
	s_clause 0xd
	buffer_load_dword v10, off, s[0:3], 0 offset:468
	buffer_load_dword v11, off, s[0:3], 0 offset:476
	;; [unrolled: 1-line block ×14, first 2 shown]
	ds_read_b128 v[2:5], v1 offset:976
	ds_read_b128 v[6:9], v1 offset:992
	;; [unrolled: 1-line block ×3, first 2 shown]
	s_mov_b32 s4, exec_lo
	s_waitcnt vmcnt(13) lgkmcnt(2)
	v_mul_f32_e32 v1, v2, v10
	v_mul_f32_e32 v10, v3, v10
	s_waitcnt vmcnt(12)
	v_mul_f32_e32 v157, v4, v11
	v_mul_f32_e32 v11, v5, v11
	s_waitcnt vmcnt(11) lgkmcnt(1)
	v_mul_f32_e32 v158, v6, v12
	s_waitcnt vmcnt(10)
	v_mul_f32_e32 v159, v8, v146
	s_waitcnt vmcnt(7)
	v_fma_f32 v2, v2, v149, -v10
	v_fmac_f32_e32 v1, v3, v149
	v_mul_f32_e32 v3, v7, v12
	s_waitcnt vmcnt(6)
	v_fma_f32 v4, v4, v150, -v11
	v_fmac_f32_e32 v157, v5, v150
	v_add_f32_e32 v2, 0, v2
	v_add_f32_e32 v1, 0, v1
	v_mul_f32_e32 v5, v9, v146
	s_waitcnt vmcnt(5)
	v_fma_f32 v3, v6, v151, -v3
	v_fmac_f32_e32 v158, v7, v151
	v_add_f32_e32 v2, v2, v4
	v_add_f32_e32 v1, v1, v157
	s_waitcnt lgkmcnt(0)
	v_mul_f32_e32 v4, v143, v147
	s_waitcnt vmcnt(4)
	v_fma_f32 v5, v8, v152, -v5
	v_mul_f32_e32 v160, v142, v147
	v_add_f32_e32 v2, v2, v3
	v_fmac_f32_e32 v159, v9, v152
	v_add_f32_e32 v1, v1, v158
	v_mul_f32_e32 v3, v145, v148
	s_waitcnt vmcnt(3)
	v_fma_f32 v4, v142, v153, -v4
	v_add_f32_e32 v2, v2, v5
	v_mul_f32_e32 v161, v144, v148
	v_fmac_f32_e32 v160, v143, v153
	v_add_f32_e32 v1, v1, v159
	s_waitcnt vmcnt(2)
	v_fma_f32 v3, v144, v154, -v3
	v_add_f32_e32 v2, v2, v4
	v_fmac_f32_e32 v161, v145, v154
	v_add_f32_e32 v1, v1, v160
	v_add_f32_e32 v2, v2, v3
	;; [unrolled: 1-line block ×3, first 2 shown]
	s_waitcnt vmcnt(1)
	v_sub_f32_e32 v2, v155, v2
	s_waitcnt vmcnt(0)
	v_sub_f32_e32 v1, v156, v1
	buffer_store_dword v2, off, s[0:3], 0 offset:456
	buffer_store_dword v1, off, s[0:3], 0 offset:460
	v_cmpx_lt_u32_e32 56, v0
	s_cbranch_execz .LBB63_285
; %bb.284:
	s_clause 0x1
	buffer_load_dword v1, off, s[0:3], 0 offset:448
	buffer_load_dword v2, off, s[0:3], 0 offset:452
	v_mov_b32_e32 v3, 0
	buffer_store_dword v3, off, s[0:3], 0 offset:448
	buffer_store_dword v3, off, s[0:3], 0 offset:452
	s_waitcnt vmcnt(0)
	ds_write_b64 v141, v[1:2]
.LBB63_285:
	s_or_b32 exec_lo, exec_lo, s4
	s_waitcnt lgkmcnt(0)
	s_waitcnt_vscnt null, 0x0
	s_barrier
	buffer_gl0_inv
	s_clause 0xf
	buffer_load_dword v12, off, s[0:3], 0 offset:460
	buffer_load_dword v146, off, s[0:3], 0 offset:468
	;; [unrolled: 1-line block ×16, first 2 shown]
	v_mov_b32_e32 v1, 0
	ds_read2_b64 v[2:5], v1 offset0:121 offset1:122
	ds_read2_b64 v[6:9], v1 offset0:123 offset1:124
	;; [unrolled: 1-line block ×3, first 2 shown]
	ds_read_b64 v[10:11], v1 offset:1016
	s_mov_b32 s4, exec_lo
	s_waitcnt vmcnt(15) lgkmcnt(3)
	v_mul_f32_e32 v161, v2, v12
	v_mul_f32_e32 v12, v3, v12
	s_waitcnt vmcnt(14)
	v_mul_f32_e32 v162, v4, v146
	v_mul_f32_e32 v146, v5, v146
	s_waitcnt vmcnt(13) lgkmcnt(2)
	v_mul_f32_e32 v163, v6, v147
	s_waitcnt vmcnt(12)
	v_mul_f32_e32 v164, v8, v148
	s_waitcnt vmcnt(11) lgkmcnt(1)
	v_mul_f32_e32 v165, v142, v149
	s_waitcnt vmcnt(8)
	v_fma_f32 v2, v2, v152, -v12
	v_fmac_f32_e32 v161, v3, v152
	v_mul_f32_e32 v3, v7, v147
	s_waitcnt vmcnt(7)
	v_fma_f32 v4, v4, v153, -v146
	v_fmac_f32_e32 v162, v5, v153
	v_add_f32_e32 v2, 0, v2
	v_add_f32_e32 v5, 0, v161
	v_mul_f32_e32 v12, v9, v148
	s_waitcnt vmcnt(6)
	v_fma_f32 v3, v6, v154, -v3
	v_fmac_f32_e32 v163, v7, v154
	v_add_f32_e32 v2, v2, v4
	v_add_f32_e32 v4, v5, v162
	v_mul_f32_e32 v5, v143, v149
	s_waitcnt vmcnt(5)
	v_fma_f32 v6, v8, v155, -v12
	v_fmac_f32_e32 v164, v9, v155
	v_add_f32_e32 v2, v2, v3
	v_add_f32_e32 v3, v4, v163
	v_mul_f32_e32 v4, v145, v150
	s_waitcnt vmcnt(4)
	v_fma_f32 v5, v142, v156, -v5
	v_mul_f32_e32 v166, v144, v150
	v_add_f32_e32 v2, v2, v6
	v_fmac_f32_e32 v165, v143, v156
	v_add_f32_e32 v3, v3, v164
	s_waitcnt lgkmcnt(0)
	v_mul_f32_e32 v6, v11, v151
	s_waitcnt vmcnt(3)
	v_fma_f32 v4, v144, v157, -v4
	v_add_f32_e32 v2, v2, v5
	v_mul_f32_e32 v167, v10, v151
	v_fmac_f32_e32 v166, v145, v157
	v_add_f32_e32 v3, v3, v165
	s_waitcnt vmcnt(2)
	v_fma_f32 v5, v10, v158, -v6
	v_add_f32_e32 v2, v2, v4
	v_fmac_f32_e32 v167, v11, v158
	v_add_f32_e32 v3, v3, v166
	v_add_f32_e32 v2, v2, v5
	v_add_f32_e32 v3, v3, v167
	s_waitcnt vmcnt(1)
	v_sub_f32_e32 v2, v159, v2
	s_waitcnt vmcnt(0)
	v_sub_f32_e32 v3, v160, v3
	buffer_store_dword v2, off, s[0:3], 0 offset:448
	buffer_store_dword v3, off, s[0:3], 0 offset:452
	v_cmpx_lt_u32_e32 55, v0
	s_cbranch_execz .LBB63_287
; %bb.286:
	s_clause 0x1
	buffer_load_dword v2, off, s[0:3], 0 offset:440
	buffer_load_dword v3, off, s[0:3], 0 offset:444
	buffer_store_dword v1, off, s[0:3], 0 offset:440
	buffer_store_dword v1, off, s[0:3], 0 offset:444
	s_waitcnt vmcnt(0)
	ds_write_b64 v141, v[2:3]
.LBB63_287:
	s_or_b32 exec_lo, exec_lo, s4
	s_waitcnt lgkmcnt(0)
	s_waitcnt_vscnt null, 0x0
	s_barrier
	buffer_gl0_inv
	s_clause 0x11
	buffer_load_dword v10, off, s[0:3], 0 offset:452
	buffer_load_dword v11, off, s[0:3], 0 offset:460
	;; [unrolled: 1-line block ×18, first 2 shown]
	ds_read_b128 v[2:5], v1 offset:960
	ds_read_b128 v[6:9], v1 offset:976
	ds_read_b128 v[142:145], v1 offset:992
	ds_read_b128 v[146:149], v1 offset:1008
	s_mov_b32 s4, exec_lo
	s_waitcnt vmcnt(17) lgkmcnt(3)
	v_mul_f32_e32 v1, v2, v10
	v_mul_f32_e32 v10, v3, v10
	s_waitcnt vmcnt(16)
	v_mul_f32_e32 v165, v4, v11
	v_mul_f32_e32 v11, v5, v11
	s_waitcnt vmcnt(15) lgkmcnt(2)
	v_mul_f32_e32 v166, v6, v12
	s_waitcnt vmcnt(14)
	v_mul_f32_e32 v167, v8, v150
	s_waitcnt vmcnt(13) lgkmcnt(1)
	v_mul_f32_e32 v168, v142, v151
	s_waitcnt vmcnt(12)
	v_mul_f32_e32 v169, v144, v152
	s_waitcnt vmcnt(9)
	v_fma_f32 v2, v2, v155, -v10
	v_fmac_f32_e32 v1, v3, v155
	v_mul_f32_e32 v3, v7, v12
	s_waitcnt vmcnt(8)
	v_fma_f32 v4, v4, v156, -v11
	v_fmac_f32_e32 v165, v5, v156
	v_add_f32_e32 v2, 0, v2
	v_add_f32_e32 v1, 0, v1
	v_mul_f32_e32 v5, v9, v150
	s_waitcnt vmcnt(7)
	v_fma_f32 v3, v6, v157, -v3
	v_fmac_f32_e32 v166, v7, v157
	v_add_f32_e32 v2, v2, v4
	v_add_f32_e32 v1, v1, v165
	;; [unrolled: 6-line block ×4, first 2 shown]
	s_waitcnt lgkmcnt(0)
	v_mul_f32_e32 v5, v147, v153
	s_waitcnt vmcnt(4)
	v_fma_f32 v3, v144, v160, -v3
	v_mul_f32_e32 v170, v146, v153
	v_add_f32_e32 v2, v2, v4
	v_fmac_f32_e32 v169, v145, v160
	v_add_f32_e32 v1, v1, v168
	v_mul_f32_e32 v4, v149, v154
	s_waitcnt vmcnt(3)
	v_fma_f32 v5, v146, v161, -v5
	v_add_f32_e32 v2, v2, v3
	v_mul_f32_e32 v171, v148, v154
	v_fmac_f32_e32 v170, v147, v161
	v_add_f32_e32 v1, v1, v169
	s_waitcnt vmcnt(2)
	v_fma_f32 v3, v148, v162, -v4
	v_add_f32_e32 v2, v2, v5
	v_fmac_f32_e32 v171, v149, v162
	v_add_f32_e32 v1, v1, v170
	v_add_f32_e32 v2, v2, v3
	;; [unrolled: 1-line block ×3, first 2 shown]
	s_waitcnt vmcnt(1)
	v_sub_f32_e32 v2, v163, v2
	s_waitcnt vmcnt(0)
	v_sub_f32_e32 v1, v164, v1
	buffer_store_dword v2, off, s[0:3], 0 offset:440
	buffer_store_dword v1, off, s[0:3], 0 offset:444
	v_cmpx_lt_u32_e32 54, v0
	s_cbranch_execz .LBB63_289
; %bb.288:
	s_clause 0x1
	buffer_load_dword v1, off, s[0:3], 0 offset:432
	buffer_load_dword v2, off, s[0:3], 0 offset:436
	v_mov_b32_e32 v3, 0
	buffer_store_dword v3, off, s[0:3], 0 offset:432
	buffer_store_dword v3, off, s[0:3], 0 offset:436
	s_waitcnt vmcnt(0)
	ds_write_b64 v141, v[1:2]
.LBB63_289:
	s_or_b32 exec_lo, exec_lo, s4
	s_waitcnt lgkmcnt(0)
	s_waitcnt_vscnt null, 0x0
	s_barrier
	buffer_gl0_inv
	s_clause 0x13
	buffer_load_dword v12, off, s[0:3], 0 offset:444
	buffer_load_dword v150, off, s[0:3], 0 offset:452
	;; [unrolled: 1-line block ×20, first 2 shown]
	v_mov_b32_e32 v1, 0
	ds_read2_b64 v[2:5], v1 offset0:119 offset1:120
	ds_read2_b64 v[6:9], v1 offset0:121 offset1:122
	;; [unrolled: 1-line block ×4, first 2 shown]
	ds_read_b64 v[10:11], v1 offset:1016
	s_mov_b32 s4, exec_lo
	s_waitcnt vmcnt(19) lgkmcnt(4)
	v_mul_f32_e32 v169, v2, v12
	v_mul_f32_e32 v12, v3, v12
	s_waitcnt vmcnt(18)
	v_mul_f32_e32 v170, v4, v150
	v_mul_f32_e32 v150, v5, v150
	s_waitcnt vmcnt(17) lgkmcnt(3)
	v_mul_f32_e32 v171, v6, v151
	s_waitcnt vmcnt(16)
	v_mul_f32_e32 v172, v8, v152
	s_waitcnt vmcnt(15) lgkmcnt(2)
	v_mul_f32_e32 v173, v142, v153
	s_waitcnt vmcnt(14)
	;; [unrolled: 4-line block ×3, first 2 shown]
	v_fma_f32 v2, v2, v158, -v12
	v_fmac_f32_e32 v169, v3, v158
	v_mul_f32_e32 v3, v7, v151
	s_waitcnt vmcnt(9)
	v_fma_f32 v4, v4, v159, -v150
	v_fmac_f32_e32 v170, v5, v159
	v_add_f32_e32 v2, 0, v2
	v_add_f32_e32 v5, 0, v169
	v_mul_f32_e32 v12, v9, v152
	s_waitcnt vmcnt(8)
	v_fma_f32 v3, v6, v160, -v3
	v_fmac_f32_e32 v171, v7, v160
	v_add_f32_e32 v2, v2, v4
	v_add_f32_e32 v4, v5, v170
	;; [unrolled: 6-line block ×5, first 2 shown]
	v_mul_f32_e32 v5, v149, v156
	s_waitcnt vmcnt(4)
	v_fma_f32 v6, v146, v164, -v6
	v_mul_f32_e32 v176, v148, v156
	v_add_f32_e32 v2, v2, v4
	v_fmac_f32_e32 v175, v147, v164
	v_add_f32_e32 v3, v3, v174
	s_waitcnt lgkmcnt(0)
	v_mul_f32_e32 v4, v11, v157
	s_waitcnt vmcnt(3)
	v_fma_f32 v5, v148, v165, -v5
	v_add_f32_e32 v2, v2, v6
	v_mul_f32_e32 v177, v10, v157
	v_fmac_f32_e32 v176, v149, v165
	v_add_f32_e32 v3, v3, v175
	s_waitcnt vmcnt(2)
	v_fma_f32 v4, v10, v166, -v4
	v_add_f32_e32 v2, v2, v5
	v_fmac_f32_e32 v177, v11, v166
	v_add_f32_e32 v3, v3, v176
	v_add_f32_e32 v2, v2, v4
	v_add_f32_e32 v3, v3, v177
	s_waitcnt vmcnt(1)
	v_sub_f32_e32 v2, v167, v2
	s_waitcnt vmcnt(0)
	v_sub_f32_e32 v3, v168, v3
	buffer_store_dword v2, off, s[0:3], 0 offset:432
	buffer_store_dword v3, off, s[0:3], 0 offset:436
	v_cmpx_lt_u32_e32 53, v0
	s_cbranch_execz .LBB63_291
; %bb.290:
	s_clause 0x1
	buffer_load_dword v2, off, s[0:3], 0 offset:424
	buffer_load_dword v3, off, s[0:3], 0 offset:428
	buffer_store_dword v1, off, s[0:3], 0 offset:424
	buffer_store_dword v1, off, s[0:3], 0 offset:428
	s_waitcnt vmcnt(0)
	ds_write_b64 v141, v[2:3]
.LBB63_291:
	s_or_b32 exec_lo, exec_lo, s4
	s_waitcnt lgkmcnt(0)
	s_waitcnt_vscnt null, 0x0
	s_barrier
	buffer_gl0_inv
	s_clause 0x15
	buffer_load_dword v10, off, s[0:3], 0 offset:436
	buffer_load_dword v11, off, s[0:3], 0 offset:444
	buffer_load_dword v12, off, s[0:3], 0 offset:452
	buffer_load_dword v154, off, s[0:3], 0 offset:460
	buffer_load_dword v155, off, s[0:3], 0 offset:468
	buffer_load_dword v156, off, s[0:3], 0 offset:476
	buffer_load_dword v157, off, s[0:3], 0 offset:484
	buffer_load_dword v158, off, s[0:3], 0 offset:492
	buffer_load_dword v159, off, s[0:3], 0 offset:500
	buffer_load_dword v160, off, s[0:3], 0 offset:508
	buffer_load_dword v161, off, s[0:3], 0 offset:432
	buffer_load_dword v162, off, s[0:3], 0 offset:440
	buffer_load_dword v163, off, s[0:3], 0 offset:448
	buffer_load_dword v164, off, s[0:3], 0 offset:456
	buffer_load_dword v165, off, s[0:3], 0 offset:464
	buffer_load_dword v166, off, s[0:3], 0 offset:472
	buffer_load_dword v167, off, s[0:3], 0 offset:480
	buffer_load_dword v168, off, s[0:3], 0 offset:488
	buffer_load_dword v169, off, s[0:3], 0 offset:496
	buffer_load_dword v170, off, s[0:3], 0 offset:504
	buffer_load_dword v171, off, s[0:3], 0 offset:424
	buffer_load_dword v172, off, s[0:3], 0 offset:428
	ds_read_b128 v[2:5], v1 offset:944
	ds_read_b128 v[6:9], v1 offset:960
	;; [unrolled: 1-line block ×5, first 2 shown]
	s_mov_b32 s4, exec_lo
	s_waitcnt vmcnt(21) lgkmcnt(4)
	v_mul_f32_e32 v1, v2, v10
	v_mul_f32_e32 v10, v3, v10
	s_waitcnt vmcnt(20)
	v_mul_f32_e32 v173, v4, v11
	v_mul_f32_e32 v11, v5, v11
	s_waitcnt vmcnt(19) lgkmcnt(3)
	v_mul_f32_e32 v174, v6, v12
	s_waitcnt vmcnt(18)
	v_mul_f32_e32 v175, v8, v154
	s_waitcnt vmcnt(17) lgkmcnt(2)
	v_mul_f32_e32 v176, v142, v155
	s_waitcnt vmcnt(16)
	;; [unrolled: 4-line block ×3, first 2 shown]
	v_mul_f32_e32 v179, v148, v158
	s_waitcnt vmcnt(11)
	v_fma_f32 v2, v2, v161, -v10
	v_fmac_f32_e32 v1, v3, v161
	v_mul_f32_e32 v3, v7, v12
	s_waitcnt vmcnt(10)
	v_fma_f32 v4, v4, v162, -v11
	v_fmac_f32_e32 v173, v5, v162
	v_add_f32_e32 v2, 0, v2
	v_add_f32_e32 v1, 0, v1
	v_mul_f32_e32 v5, v9, v154
	s_waitcnt vmcnt(9)
	v_fma_f32 v3, v6, v163, -v3
	v_fmac_f32_e32 v174, v7, v163
	v_add_f32_e32 v2, v2, v4
	v_add_f32_e32 v1, v1, v173
	;; [unrolled: 6-line block ×6, first 2 shown]
	s_waitcnt lgkmcnt(0)
	v_mul_f32_e32 v3, v151, v159
	s_waitcnt vmcnt(4)
	v_fma_f32 v4, v148, v168, -v4
	v_mul_f32_e32 v180, v150, v159
	v_add_f32_e32 v2, v2, v5
	v_fmac_f32_e32 v179, v149, v168
	v_add_f32_e32 v1, v1, v178
	v_mul_f32_e32 v5, v153, v160
	s_waitcnt vmcnt(3)
	v_fma_f32 v3, v150, v169, -v3
	v_add_f32_e32 v2, v2, v4
	v_mul_f32_e32 v181, v152, v160
	v_fmac_f32_e32 v180, v151, v169
	v_add_f32_e32 v1, v1, v179
	s_waitcnt vmcnt(2)
	v_fma_f32 v4, v152, v170, -v5
	v_add_f32_e32 v2, v2, v3
	v_fmac_f32_e32 v181, v153, v170
	v_add_f32_e32 v1, v1, v180
	v_add_f32_e32 v2, v2, v4
	;; [unrolled: 1-line block ×3, first 2 shown]
	s_waitcnt vmcnt(1)
	v_sub_f32_e32 v2, v171, v2
	s_waitcnt vmcnt(0)
	v_sub_f32_e32 v1, v172, v1
	buffer_store_dword v2, off, s[0:3], 0 offset:424
	buffer_store_dword v1, off, s[0:3], 0 offset:428
	v_cmpx_lt_u32_e32 52, v0
	s_cbranch_execz .LBB63_293
; %bb.292:
	s_clause 0x1
	buffer_load_dword v1, off, s[0:3], 0 offset:416
	buffer_load_dword v2, off, s[0:3], 0 offset:420
	v_mov_b32_e32 v3, 0
	buffer_store_dword v3, off, s[0:3], 0 offset:416
	buffer_store_dword v3, off, s[0:3], 0 offset:420
	s_waitcnt vmcnt(0)
	ds_write_b64 v141, v[1:2]
.LBB63_293:
	s_or_b32 exec_lo, exec_lo, s4
	s_waitcnt lgkmcnt(0)
	s_waitcnt_vscnt null, 0x0
	s_barrier
	buffer_gl0_inv
	s_clause 0x17
	buffer_load_dword v12, off, s[0:3], 0 offset:428
	buffer_load_dword v154, off, s[0:3], 0 offset:436
	;; [unrolled: 1-line block ×24, first 2 shown]
	v_mov_b32_e32 v1, 0
	ds_read2_b64 v[2:5], v1 offset0:117 offset1:118
	ds_read2_b64 v[6:9], v1 offset0:119 offset1:120
	;; [unrolled: 1-line block ×5, first 2 shown]
	ds_read_b64 v[10:11], v1 offset:1016
	s_mov_b32 s4, exec_lo
	s_waitcnt vmcnt(23) lgkmcnt(5)
	v_mul_f32_e32 v177, v2, v12
	v_mul_f32_e32 v12, v3, v12
	s_waitcnt vmcnt(22)
	v_mul_f32_e32 v178, v4, v154
	v_mul_f32_e32 v154, v5, v154
	s_waitcnt vmcnt(21) lgkmcnt(4)
	v_mul_f32_e32 v179, v6, v155
	s_waitcnt vmcnt(20)
	v_mul_f32_e32 v180, v8, v156
	s_waitcnt vmcnt(19) lgkmcnt(3)
	v_mul_f32_e32 v181, v142, v157
	s_waitcnt vmcnt(18)
	v_mul_f32_e32 v182, v144, v158
	s_waitcnt vmcnt(17) lgkmcnt(2)
	v_mul_f32_e32 v183, v146, v159
	s_waitcnt vmcnt(16)
	v_mul_f32_e32 v184, v148, v160
	s_waitcnt vmcnt(15) lgkmcnt(1)
	v_mul_f32_e32 v185, v150, v161
	s_waitcnt vmcnt(12)
	v_fma_f32 v2, v2, v164, -v12
	v_fmac_f32_e32 v177, v3, v164
	v_mul_f32_e32 v3, v7, v155
	s_waitcnt vmcnt(11)
	v_fma_f32 v4, v4, v165, -v154
	v_fmac_f32_e32 v178, v5, v165
	v_add_f32_e32 v2, 0, v2
	v_add_f32_e32 v5, 0, v177
	v_mul_f32_e32 v12, v9, v156
	s_waitcnt vmcnt(10)
	v_fma_f32 v3, v6, v166, -v3
	v_fmac_f32_e32 v179, v7, v166
	v_add_f32_e32 v2, v2, v4
	v_add_f32_e32 v4, v5, v178
	;; [unrolled: 6-line block ×7, first 2 shown]
	v_mul_f32_e32 v6, v153, v162
	s_waitcnt vmcnt(4)
	v_fma_f32 v4, v150, v172, -v4
	v_mul_f32_e32 v186, v152, v162
	v_add_f32_e32 v2, v2, v5
	v_fmac_f32_e32 v185, v151, v172
	v_add_f32_e32 v3, v3, v184
	s_waitcnt lgkmcnt(0)
	v_mul_f32_e32 v5, v11, v163
	s_waitcnt vmcnt(3)
	v_fma_f32 v6, v152, v173, -v6
	v_add_f32_e32 v2, v2, v4
	v_mul_f32_e32 v187, v10, v163
	v_fmac_f32_e32 v186, v153, v173
	v_add_f32_e32 v3, v3, v185
	s_waitcnt vmcnt(2)
	v_fma_f32 v4, v10, v174, -v5
	v_add_f32_e32 v2, v2, v6
	v_fmac_f32_e32 v187, v11, v174
	v_add_f32_e32 v3, v3, v186
	v_add_f32_e32 v2, v2, v4
	v_add_f32_e32 v3, v3, v187
	s_waitcnt vmcnt(1)
	v_sub_f32_e32 v2, v175, v2
	s_waitcnt vmcnt(0)
	v_sub_f32_e32 v3, v176, v3
	buffer_store_dword v2, off, s[0:3], 0 offset:416
	buffer_store_dword v3, off, s[0:3], 0 offset:420
	v_cmpx_lt_u32_e32 51, v0
	s_cbranch_execz .LBB63_295
; %bb.294:
	s_clause 0x1
	buffer_load_dword v2, off, s[0:3], 0 offset:408
	buffer_load_dword v3, off, s[0:3], 0 offset:412
	buffer_store_dword v1, off, s[0:3], 0 offset:408
	buffer_store_dword v1, off, s[0:3], 0 offset:412
	s_waitcnt vmcnt(0)
	ds_write_b64 v141, v[2:3]
.LBB63_295:
	s_or_b32 exec_lo, exec_lo, s4
	s_waitcnt lgkmcnt(0)
	s_waitcnt_vscnt null, 0x0
	s_barrier
	buffer_gl0_inv
	s_clause 0x19
	buffer_load_dword v10, off, s[0:3], 0 offset:420
	buffer_load_dword v11, off, s[0:3], 0 offset:428
	;; [unrolled: 1-line block ×26, first 2 shown]
	ds_read_b128 v[2:5], v1 offset:928
	ds_read_b128 v[6:9], v1 offset:944
	;; [unrolled: 1-line block ×6, first 2 shown]
	s_mov_b32 s4, exec_lo
	s_waitcnt vmcnt(25) lgkmcnt(5)
	v_mul_f32_e32 v1, v2, v10
	v_mul_f32_e32 v10, v3, v10
	s_waitcnt vmcnt(24)
	v_mul_f32_e32 v181, v4, v11
	v_mul_f32_e32 v11, v5, v11
	s_waitcnt vmcnt(23) lgkmcnt(4)
	v_mul_f32_e32 v182, v6, v12
	s_waitcnt vmcnt(22)
	v_mul_f32_e32 v183, v8, v158
	s_waitcnt vmcnt(21) lgkmcnt(3)
	v_mul_f32_e32 v184, v142, v159
	s_waitcnt vmcnt(20)
	v_mul_f32_e32 v185, v144, v160
	s_waitcnt vmcnt(19) lgkmcnt(2)
	v_mul_f32_e32 v186, v146, v161
	s_waitcnt vmcnt(18)
	v_mul_f32_e32 v187, v148, v162
	s_waitcnt vmcnt(17) lgkmcnt(1)
	v_mul_f32_e32 v188, v150, v163
	s_waitcnt vmcnt(16)
	v_mul_f32_e32 v189, v152, v164
	s_waitcnt vmcnt(13)
	v_fma_f32 v2, v2, v167, -v10
	v_fmac_f32_e32 v1, v3, v167
	v_mul_f32_e32 v3, v7, v12
	s_waitcnt vmcnt(12)
	v_fma_f32 v4, v4, v168, -v11
	v_fmac_f32_e32 v181, v5, v168
	v_add_f32_e32 v2, 0, v2
	v_add_f32_e32 v1, 0, v1
	v_mul_f32_e32 v5, v9, v158
	s_waitcnt vmcnt(11)
	v_fma_f32 v3, v6, v169, -v3
	v_fmac_f32_e32 v182, v7, v169
	v_add_f32_e32 v2, v2, v4
	v_add_f32_e32 v1, v1, v181
	;; [unrolled: 6-line block ×8, first 2 shown]
	s_waitcnt lgkmcnt(0)
	v_mul_f32_e32 v4, v155, v165
	s_waitcnt vmcnt(4)
	v_fma_f32 v5, v152, v176, -v5
	v_mul_f32_e32 v190, v154, v165
	v_add_f32_e32 v2, v2, v3
	v_fmac_f32_e32 v189, v153, v176
	v_add_f32_e32 v1, v1, v188
	v_mul_f32_e32 v3, v157, v166
	s_waitcnt vmcnt(3)
	v_fma_f32 v4, v154, v177, -v4
	v_add_f32_e32 v2, v2, v5
	v_mul_f32_e32 v191, v156, v166
	v_fmac_f32_e32 v190, v155, v177
	v_add_f32_e32 v1, v1, v189
	s_waitcnt vmcnt(2)
	v_fma_f32 v3, v156, v178, -v3
	v_add_f32_e32 v2, v2, v4
	v_fmac_f32_e32 v191, v157, v178
	v_add_f32_e32 v1, v1, v190
	v_add_f32_e32 v2, v2, v3
	;; [unrolled: 1-line block ×3, first 2 shown]
	s_waitcnt vmcnt(1)
	v_sub_f32_e32 v2, v179, v2
	s_waitcnt vmcnt(0)
	v_sub_f32_e32 v1, v180, v1
	buffer_store_dword v2, off, s[0:3], 0 offset:408
	buffer_store_dword v1, off, s[0:3], 0 offset:412
	v_cmpx_lt_u32_e32 50, v0
	s_cbranch_execz .LBB63_297
; %bb.296:
	s_clause 0x1
	buffer_load_dword v1, off, s[0:3], 0 offset:400
	buffer_load_dword v2, off, s[0:3], 0 offset:404
	v_mov_b32_e32 v3, 0
	buffer_store_dword v3, off, s[0:3], 0 offset:400
	buffer_store_dword v3, off, s[0:3], 0 offset:404
	s_waitcnt vmcnt(0)
	ds_write_b64 v141, v[1:2]
.LBB63_297:
	s_or_b32 exec_lo, exec_lo, s4
	s_waitcnt lgkmcnt(0)
	s_waitcnt_vscnt null, 0x0
	s_barrier
	buffer_gl0_inv
	s_clause 0x1b
	buffer_load_dword v12, off, s[0:3], 0 offset:412
	buffer_load_dword v158, off, s[0:3], 0 offset:420
	;; [unrolled: 1-line block ×28, first 2 shown]
	v_mov_b32_e32 v1, 0
	ds_read2_b64 v[2:5], v1 offset0:115 offset1:116
	ds_read2_b64 v[6:9], v1 offset0:117 offset1:118
	;; [unrolled: 1-line block ×6, first 2 shown]
	ds_read_b64 v[10:11], v1 offset:1016
	s_mov_b32 s4, exec_lo
	s_waitcnt vmcnt(27) lgkmcnt(6)
	v_mul_f32_e32 v185, v2, v12
	v_mul_f32_e32 v12, v3, v12
	s_waitcnt vmcnt(26)
	v_mul_f32_e32 v186, v4, v158
	v_mul_f32_e32 v158, v5, v158
	s_waitcnt vmcnt(25) lgkmcnt(5)
	v_mul_f32_e32 v187, v6, v159
	s_waitcnt vmcnt(24)
	v_mul_f32_e32 v188, v8, v160
	s_waitcnt vmcnt(23) lgkmcnt(4)
	v_mul_f32_e32 v189, v142, v161
	s_waitcnt vmcnt(22)
	;; [unrolled: 4-line block ×5, first 2 shown]
	v_fma_f32 v2, v2, v170, -v12
	v_fmac_f32_e32 v185, v3, v170
	v_mul_f32_e32 v3, v7, v159
	s_waitcnt vmcnt(13)
	v_fma_f32 v4, v4, v171, -v158
	v_fmac_f32_e32 v186, v5, v171
	v_add_f32_e32 v2, 0, v2
	v_add_f32_e32 v5, 0, v185
	v_mul_f32_e32 v12, v9, v160
	s_waitcnt vmcnt(12)
	v_fma_f32 v3, v6, v172, -v3
	v_fmac_f32_e32 v187, v7, v172
	v_add_f32_e32 v2, v2, v4
	v_add_f32_e32 v4, v5, v186
	v_mul_f32_e32 v5, v143, v161
	s_waitcnt vmcnt(11)
	v_fma_f32 v6, v8, v173, -v12
	v_fmac_f32_e32 v188, v9, v173
	v_add_f32_e32 v2, v2, v3
	v_add_f32_e32 v3, v4, v187
	v_mul_f32_e32 v4, v145, v162
	s_waitcnt vmcnt(10)
	v_fma_f32 v5, v142, v174, -v5
	v_fmac_f32_e32 v189, v143, v174
	v_add_f32_e32 v2, v2, v6
	v_add_f32_e32 v3, v3, v188
	v_mul_f32_e32 v6, v147, v163
	s_waitcnt vmcnt(9)
	v_fma_f32 v4, v144, v175, -v4
	v_fmac_f32_e32 v190, v145, v175
	v_add_f32_e32 v2, v2, v5
	v_add_f32_e32 v3, v3, v189
	v_mul_f32_e32 v5, v149, v164
	s_waitcnt vmcnt(8)
	v_fma_f32 v6, v146, v176, -v6
	v_fmac_f32_e32 v191, v147, v176
	v_add_f32_e32 v2, v2, v4
	v_add_f32_e32 v3, v3, v190
	v_mul_f32_e32 v4, v151, v165
	s_waitcnt vmcnt(7)
	v_fma_f32 v5, v148, v177, -v5
	v_fmac_f32_e32 v192, v149, v177
	v_add_f32_e32 v2, v2, v6
	v_add_f32_e32 v3, v3, v191
	v_mul_f32_e32 v6, v153, v166
	s_waitcnt vmcnt(6)
	v_fma_f32 v4, v150, v178, -v4
	v_fmac_f32_e32 v193, v151, v178
	v_add_f32_e32 v2, v2, v5
	v_add_f32_e32 v3, v3, v192
	v_mul_f32_e32 v5, v155, v167
	s_waitcnt vmcnt(5)
	v_fma_f32 v6, v152, v179, -v6
	v_fmac_f32_e32 v194, v153, v179
	v_add_f32_e32 v2, v2, v4
	v_add_f32_e32 v3, v3, v193
	v_mul_f32_e32 v4, v157, v168
	s_waitcnt vmcnt(4)
	v_fma_f32 v5, v154, v180, -v5
	v_mul_f32_e32 v196, v156, v168
	v_add_f32_e32 v2, v2, v6
	v_fmac_f32_e32 v195, v155, v180
	v_add_f32_e32 v3, v3, v194
	s_waitcnt lgkmcnt(0)
	v_mul_f32_e32 v6, v11, v169
	s_waitcnt vmcnt(3)
	v_fma_f32 v4, v156, v181, -v4
	v_add_f32_e32 v2, v2, v5
	v_mul_f32_e32 v197, v10, v169
	v_fmac_f32_e32 v196, v157, v181
	v_add_f32_e32 v3, v3, v195
	s_waitcnt vmcnt(2)
	v_fma_f32 v5, v10, v182, -v6
	v_add_f32_e32 v2, v2, v4
	v_fmac_f32_e32 v197, v11, v182
	v_add_f32_e32 v3, v3, v196
	v_add_f32_e32 v2, v2, v5
	;; [unrolled: 1-line block ×3, first 2 shown]
	s_waitcnt vmcnt(1)
	v_sub_f32_e32 v2, v183, v2
	s_waitcnt vmcnt(0)
	v_sub_f32_e32 v3, v184, v3
	buffer_store_dword v2, off, s[0:3], 0 offset:400
	buffer_store_dword v3, off, s[0:3], 0 offset:404
	v_cmpx_lt_u32_e32 49, v0
	s_cbranch_execz .LBB63_299
; %bb.298:
	s_clause 0x1
	buffer_load_dword v2, off, s[0:3], 0 offset:392
	buffer_load_dword v3, off, s[0:3], 0 offset:396
	buffer_store_dword v1, off, s[0:3], 0 offset:392
	buffer_store_dword v1, off, s[0:3], 0 offset:396
	s_waitcnt vmcnt(0)
	ds_write_b64 v141, v[2:3]
.LBB63_299:
	s_or_b32 exec_lo, exec_lo, s4
	s_waitcnt lgkmcnt(0)
	s_waitcnt_vscnt null, 0x0
	s_barrier
	buffer_gl0_inv
	s_clause 0x1d
	buffer_load_dword v10, off, s[0:3], 0 offset:404
	buffer_load_dword v11, off, s[0:3], 0 offset:412
	;; [unrolled: 1-line block ×30, first 2 shown]
	ds_read_b128 v[2:5], v1 offset:912
	ds_read_b128 v[6:9], v1 offset:928
	;; [unrolled: 1-line block ×7, first 2 shown]
	s_mov_b32 s4, exec_lo
	s_waitcnt vmcnt(29) lgkmcnt(6)
	v_mul_f32_e32 v1, v2, v10
	v_mul_f32_e32 v10, v3, v10
	s_waitcnt vmcnt(28)
	v_mul_f32_e32 v189, v4, v11
	v_mul_f32_e32 v11, v5, v11
	s_waitcnt vmcnt(27) lgkmcnt(5)
	v_mul_f32_e32 v190, v6, v12
	s_waitcnt vmcnt(26)
	v_mul_f32_e32 v191, v8, v162
	s_waitcnt vmcnt(25) lgkmcnt(4)
	v_mul_f32_e32 v192, v142, v163
	s_waitcnt vmcnt(24)
	;; [unrolled: 4-line block ×5, first 2 shown]
	v_mul_f32_e32 v199, v156, v170
	s_waitcnt vmcnt(15)
	v_fma_f32 v2, v2, v173, -v10
	v_fmac_f32_e32 v1, v3, v173
	v_mul_f32_e32 v3, v7, v12
	s_waitcnt vmcnt(14)
	v_fma_f32 v4, v4, v174, -v11
	v_fmac_f32_e32 v189, v5, v174
	v_add_f32_e32 v2, 0, v2
	v_add_f32_e32 v1, 0, v1
	v_mul_f32_e32 v5, v9, v162
	s_waitcnt vmcnt(13)
	v_fma_f32 v3, v6, v175, -v3
	v_fmac_f32_e32 v190, v7, v175
	v_add_f32_e32 v2, v2, v4
	v_add_f32_e32 v1, v1, v189
	;; [unrolled: 6-line block ×10, first 2 shown]
	s_waitcnt lgkmcnt(0)
	v_mul_f32_e32 v5, v159, v171
	s_waitcnt vmcnt(4)
	v_fma_f32 v3, v156, v184, -v3
	v_mul_f32_e32 v200, v158, v171
	v_add_f32_e32 v2, v2, v4
	v_fmac_f32_e32 v199, v157, v184
	v_add_f32_e32 v1, v1, v198
	v_mul_f32_e32 v4, v161, v172
	s_waitcnt vmcnt(3)
	v_fma_f32 v5, v158, v185, -v5
	v_add_f32_e32 v2, v2, v3
	v_mul_f32_e32 v201, v160, v172
	v_fmac_f32_e32 v200, v159, v185
	v_add_f32_e32 v1, v1, v199
	s_waitcnt vmcnt(2)
	v_fma_f32 v3, v160, v186, -v4
	v_add_f32_e32 v2, v2, v5
	v_fmac_f32_e32 v201, v161, v186
	v_add_f32_e32 v1, v1, v200
	v_add_f32_e32 v2, v2, v3
	;; [unrolled: 1-line block ×3, first 2 shown]
	s_waitcnt vmcnt(1)
	v_sub_f32_e32 v2, v187, v2
	s_waitcnt vmcnt(0)
	v_sub_f32_e32 v1, v188, v1
	buffer_store_dword v2, off, s[0:3], 0 offset:392
	buffer_store_dword v1, off, s[0:3], 0 offset:396
	v_cmpx_lt_u32_e32 48, v0
	s_cbranch_execz .LBB63_301
; %bb.300:
	s_clause 0x1
	buffer_load_dword v1, off, s[0:3], 0 offset:384
	buffer_load_dword v2, off, s[0:3], 0 offset:388
	v_mov_b32_e32 v3, 0
	buffer_store_dword v3, off, s[0:3], 0 offset:384
	buffer_store_dword v3, off, s[0:3], 0 offset:388
	s_waitcnt vmcnt(0)
	ds_write_b64 v141, v[1:2]
.LBB63_301:
	s_or_b32 exec_lo, exec_lo, s4
	s_waitcnt lgkmcnt(0)
	s_waitcnt_vscnt null, 0x0
	s_barrier
	buffer_gl0_inv
	s_clause 0x1f
	buffer_load_dword v12, off, s[0:3], 0 offset:396
	buffer_load_dword v162, off, s[0:3], 0 offset:404
	;; [unrolled: 1-line block ×32, first 2 shown]
	v_mov_b32_e32 v1, 0
	ds_read2_b64 v[2:5], v1 offset0:113 offset1:114
	ds_read2_b64 v[6:9], v1 offset0:115 offset1:116
	;; [unrolled: 1-line block ×7, first 2 shown]
	ds_read_b64 v[10:11], v1 offset:1016
	s_mov_b32 s4, exec_lo
	s_waitcnt vmcnt(31) lgkmcnt(7)
	v_mul_f32_e32 v193, v2, v12
	v_mul_f32_e32 v12, v3, v12
	s_waitcnt vmcnt(30)
	v_mul_f32_e32 v194, v4, v162
	v_mul_f32_e32 v162, v5, v162
	s_waitcnt vmcnt(29) lgkmcnt(6)
	v_mul_f32_e32 v195, v6, v163
	s_waitcnt vmcnt(28)
	v_mul_f32_e32 v196, v8, v164
	s_waitcnt vmcnt(27) lgkmcnt(5)
	v_mul_f32_e32 v197, v142, v165
	s_waitcnt vmcnt(26)
	;; [unrolled: 4-line block ×6, first 2 shown]
	v_fma_f32 v2, v2, v176, -v12
	v_fmac_f32_e32 v193, v3, v176
	v_mul_f32_e32 v3, v7, v163
	s_waitcnt vmcnt(15)
	v_fma_f32 v4, v4, v177, -v162
	v_fmac_f32_e32 v194, v5, v177
	v_add_f32_e32 v2, 0, v2
	v_add_f32_e32 v5, 0, v193
	v_mul_f32_e32 v12, v9, v164
	s_waitcnt vmcnt(14)
	v_fma_f32 v3, v6, v178, -v3
	v_fmac_f32_e32 v195, v7, v178
	v_add_f32_e32 v2, v2, v4
	v_add_f32_e32 v4, v5, v194
	;; [unrolled: 6-line block ×11, first 2 shown]
	v_mul_f32_e32 v5, v161, v174
	s_waitcnt vmcnt(4)
	v_fma_f32 v6, v158, v188, -v6
	v_mul_f32_e32 v206, v160, v174
	v_add_f32_e32 v2, v2, v4
	v_fmac_f32_e32 v205, v159, v188
	v_add_f32_e32 v3, v3, v204
	s_waitcnt lgkmcnt(0)
	v_mul_f32_e32 v4, v11, v175
	s_waitcnt vmcnt(3)
	v_fma_f32 v5, v160, v189, -v5
	v_add_f32_e32 v2, v2, v6
	v_mul_f32_e32 v207, v10, v175
	v_fmac_f32_e32 v206, v161, v189
	v_add_f32_e32 v3, v3, v205
	s_waitcnt vmcnt(2)
	v_fma_f32 v4, v10, v190, -v4
	v_add_f32_e32 v2, v2, v5
	v_fmac_f32_e32 v207, v11, v190
	v_add_f32_e32 v3, v3, v206
	v_add_f32_e32 v2, v2, v4
	;; [unrolled: 1-line block ×3, first 2 shown]
	s_waitcnt vmcnt(1)
	v_sub_f32_e32 v2, v191, v2
	s_waitcnt vmcnt(0)
	v_sub_f32_e32 v3, v192, v3
	buffer_store_dword v2, off, s[0:3], 0 offset:384
	buffer_store_dword v3, off, s[0:3], 0 offset:388
	v_cmpx_lt_u32_e32 47, v0
	s_cbranch_execz .LBB63_303
; %bb.302:
	s_clause 0x1
	buffer_load_dword v2, off, s[0:3], 0 offset:376
	buffer_load_dword v3, off, s[0:3], 0 offset:380
	buffer_store_dword v1, off, s[0:3], 0 offset:376
	buffer_store_dword v1, off, s[0:3], 0 offset:380
	s_waitcnt vmcnt(0)
	ds_write_b64 v141, v[2:3]
.LBB63_303:
	s_or_b32 exec_lo, exec_lo, s4
	s_waitcnt lgkmcnt(0)
	s_waitcnt_vscnt null, 0x0
	s_barrier
	buffer_gl0_inv
	s_clause 0x21
	buffer_load_dword v10, off, s[0:3], 0 offset:388
	buffer_load_dword v11, off, s[0:3], 0 offset:396
	;; [unrolled: 1-line block ×34, first 2 shown]
	ds_read_b128 v[2:5], v1 offset:896
	ds_read_b128 v[6:9], v1 offset:912
	;; [unrolled: 1-line block ×8, first 2 shown]
	s_mov_b32 s4, exec_lo
	s_waitcnt vmcnt(33) lgkmcnt(7)
	v_mul_f32_e32 v1, v2, v10
	v_mul_f32_e32 v10, v3, v10
	s_waitcnt vmcnt(32)
	v_mul_f32_e32 v197, v4, v11
	v_mul_f32_e32 v11, v5, v11
	s_waitcnt vmcnt(31) lgkmcnt(6)
	v_mul_f32_e32 v198, v6, v12
	s_waitcnt vmcnt(30)
	v_mul_f32_e32 v199, v8, v166
	s_waitcnt vmcnt(29) lgkmcnt(5)
	v_mul_f32_e32 v200, v142, v167
	s_waitcnt vmcnt(28)
	;; [unrolled: 4-line block ×6, first 2 shown]
	v_mul_f32_e32 v209, v160, v176
	s_waitcnt vmcnt(17)
	v_fma_f32 v2, v2, v179, -v10
	v_fmac_f32_e32 v1, v3, v179
	v_mul_f32_e32 v3, v7, v12
	s_waitcnt vmcnt(16)
	v_fma_f32 v4, v4, v180, -v11
	v_fmac_f32_e32 v197, v5, v180
	v_add_f32_e32 v2, 0, v2
	v_add_f32_e32 v1, 0, v1
	v_mul_f32_e32 v5, v9, v166
	s_waitcnt vmcnt(15)
	v_fma_f32 v3, v6, v181, -v3
	v_fmac_f32_e32 v198, v7, v181
	v_add_f32_e32 v2, v2, v4
	v_add_f32_e32 v1, v1, v197
	;; [unrolled: 6-line block ×12, first 2 shown]
	s_waitcnt lgkmcnt(0)
	v_mul_f32_e32 v3, v163, v177
	s_waitcnt vmcnt(4)
	v_fma_f32 v4, v160, v192, -v4
	v_mul_f32_e32 v210, v162, v177
	v_add_f32_e32 v2, v2, v5
	v_fmac_f32_e32 v209, v161, v192
	v_add_f32_e32 v1, v1, v208
	v_mul_f32_e32 v5, v165, v178
	s_waitcnt vmcnt(3)
	v_fma_f32 v3, v162, v193, -v3
	v_add_f32_e32 v2, v2, v4
	v_mul_f32_e32 v211, v164, v178
	v_fmac_f32_e32 v210, v163, v193
	v_add_f32_e32 v1, v1, v209
	s_waitcnt vmcnt(2)
	v_fma_f32 v4, v164, v194, -v5
	v_add_f32_e32 v2, v2, v3
	v_fmac_f32_e32 v211, v165, v194
	v_add_f32_e32 v1, v1, v210
	v_add_f32_e32 v2, v2, v4
	;; [unrolled: 1-line block ×3, first 2 shown]
	s_waitcnt vmcnt(1)
	v_sub_f32_e32 v2, v195, v2
	s_waitcnt vmcnt(0)
	v_sub_f32_e32 v1, v196, v1
	buffer_store_dword v2, off, s[0:3], 0 offset:376
	buffer_store_dword v1, off, s[0:3], 0 offset:380
	v_cmpx_lt_u32_e32 46, v0
	s_cbranch_execz .LBB63_305
; %bb.304:
	s_clause 0x1
	buffer_load_dword v1, off, s[0:3], 0 offset:368
	buffer_load_dword v2, off, s[0:3], 0 offset:372
	v_mov_b32_e32 v3, 0
	buffer_store_dword v3, off, s[0:3], 0 offset:368
	buffer_store_dword v3, off, s[0:3], 0 offset:372
	s_waitcnt vmcnt(0)
	ds_write_b64 v141, v[1:2]
.LBB63_305:
	s_or_b32 exec_lo, exec_lo, s4
	s_waitcnt lgkmcnt(0)
	s_waitcnt_vscnt null, 0x0
	s_barrier
	buffer_gl0_inv
	s_clause 0x23
	buffer_load_dword v12, off, s[0:3], 0 offset:380
	buffer_load_dword v166, off, s[0:3], 0 offset:388
	;; [unrolled: 1-line block ×36, first 2 shown]
	v_mov_b32_e32 v1, 0
	ds_read2_b64 v[2:5], v1 offset0:111 offset1:112
	ds_read2_b64 v[6:9], v1 offset0:113 offset1:114
	;; [unrolled: 1-line block ×8, first 2 shown]
	ds_read_b64 v[10:11], v1 offset:1016
	s_mov_b32 s4, exec_lo
	s_waitcnt vmcnt(35) lgkmcnt(8)
	v_mul_f32_e32 v201, v2, v12
	v_mul_f32_e32 v12, v3, v12
	s_waitcnt vmcnt(34)
	v_mul_f32_e32 v202, v4, v166
	v_mul_f32_e32 v166, v5, v166
	s_waitcnt vmcnt(33) lgkmcnt(7)
	v_mul_f32_e32 v203, v6, v167
	s_waitcnt vmcnt(32)
	v_mul_f32_e32 v204, v8, v168
	s_waitcnt vmcnt(31) lgkmcnt(6)
	v_mul_f32_e32 v205, v142, v169
	s_waitcnt vmcnt(30)
	;; [unrolled: 4-line block ×7, first 2 shown]
	v_fma_f32 v2, v2, v182, -v12
	v_fmac_f32_e32 v201, v3, v182
	v_mul_f32_e32 v3, v7, v167
	s_waitcnt vmcnt(17)
	v_fma_f32 v4, v4, v183, -v166
	v_fmac_f32_e32 v202, v5, v183
	v_add_f32_e32 v2, 0, v2
	v_add_f32_e32 v5, 0, v201
	v_mul_f32_e32 v12, v9, v168
	s_waitcnt vmcnt(16)
	v_fma_f32 v3, v6, v184, -v3
	v_fmac_f32_e32 v203, v7, v184
	v_add_f32_e32 v2, v2, v4
	v_add_f32_e32 v4, v5, v202
	v_mul_f32_e32 v5, v143, v169
	s_waitcnt vmcnt(15)
	v_fma_f32 v6, v8, v185, -v12
	v_fmac_f32_e32 v204, v9, v185
	v_add_f32_e32 v2, v2, v3
	v_add_f32_e32 v3, v4, v203
	v_mul_f32_e32 v4, v145, v170
	s_waitcnt vmcnt(14)
	v_fma_f32 v5, v142, v186, -v5
	v_fmac_f32_e32 v205, v143, v186
	v_add_f32_e32 v2, v2, v6
	v_add_f32_e32 v3, v3, v204
	v_mul_f32_e32 v6, v147, v171
	s_waitcnt vmcnt(13)
	v_fma_f32 v4, v144, v187, -v4
	v_fmac_f32_e32 v206, v145, v187
	v_add_f32_e32 v2, v2, v5
	v_add_f32_e32 v3, v3, v205
	v_mul_f32_e32 v5, v149, v172
	s_waitcnt vmcnt(12)
	v_fma_f32 v6, v146, v188, -v6
	v_fmac_f32_e32 v207, v147, v188
	v_add_f32_e32 v2, v2, v4
	v_add_f32_e32 v3, v3, v206
	v_mul_f32_e32 v4, v151, v173
	s_waitcnt vmcnt(11)
	v_fma_f32 v5, v148, v189, -v5
	v_fmac_f32_e32 v208, v149, v189
	v_add_f32_e32 v2, v2, v6
	v_add_f32_e32 v3, v3, v207
	v_mul_f32_e32 v6, v153, v174
	s_waitcnt vmcnt(10)
	v_fma_f32 v4, v150, v190, -v4
	v_fmac_f32_e32 v209, v151, v190
	v_add_f32_e32 v2, v2, v5
	v_add_f32_e32 v3, v3, v208
	v_mul_f32_e32 v5, v155, v175
	s_waitcnt vmcnt(9)
	v_fma_f32 v6, v152, v191, -v6
	v_fmac_f32_e32 v210, v153, v191
	v_add_f32_e32 v2, v2, v4
	v_add_f32_e32 v3, v3, v209
	v_mul_f32_e32 v4, v157, v176
	s_waitcnt vmcnt(8)
	v_fma_f32 v5, v154, v192, -v5
	v_fmac_f32_e32 v211, v155, v192
	v_add_f32_e32 v2, v2, v6
	v_add_f32_e32 v3, v3, v210
	v_mul_f32_e32 v6, v159, v177
	s_waitcnt vmcnt(7)
	v_fma_f32 v4, v156, v193, -v4
	v_fmac_f32_e32 v212, v157, v193
	v_add_f32_e32 v2, v2, v5
	v_add_f32_e32 v3, v3, v211
	v_mul_f32_e32 v5, v161, v178
	s_waitcnt vmcnt(6)
	v_fma_f32 v6, v158, v194, -v6
	v_fmac_f32_e32 v213, v159, v194
	v_add_f32_e32 v2, v2, v4
	v_add_f32_e32 v3, v3, v212
	v_mul_f32_e32 v4, v163, v179
	s_waitcnt vmcnt(5)
	v_fma_f32 v5, v160, v195, -v5
	v_fmac_f32_e32 v214, v161, v195
	v_add_f32_e32 v2, v2, v6
	v_add_f32_e32 v3, v3, v213
	v_mul_f32_e32 v6, v165, v180
	s_waitcnt vmcnt(4)
	v_fma_f32 v4, v162, v196, -v4
	v_mul_f32_e32 v216, v164, v180
	v_add_f32_e32 v2, v2, v5
	v_fmac_f32_e32 v215, v163, v196
	v_add_f32_e32 v3, v3, v214
	s_waitcnt lgkmcnt(0)
	v_mul_f32_e32 v5, v11, v181
	s_waitcnt vmcnt(3)
	v_fma_f32 v6, v164, v197, -v6
	v_add_f32_e32 v2, v2, v4
	v_mul_f32_e32 v217, v10, v181
	v_fmac_f32_e32 v216, v165, v197
	v_add_f32_e32 v3, v3, v215
	s_waitcnt vmcnt(2)
	v_fma_f32 v4, v10, v198, -v5
	v_add_f32_e32 v2, v2, v6
	v_fmac_f32_e32 v217, v11, v198
	v_add_f32_e32 v3, v3, v216
	v_add_f32_e32 v2, v2, v4
	;; [unrolled: 1-line block ×3, first 2 shown]
	s_waitcnt vmcnt(1)
	v_sub_f32_e32 v2, v199, v2
	s_waitcnt vmcnt(0)
	v_sub_f32_e32 v3, v200, v3
	buffer_store_dword v2, off, s[0:3], 0 offset:368
	buffer_store_dword v3, off, s[0:3], 0 offset:372
	v_cmpx_lt_u32_e32 45, v0
	s_cbranch_execz .LBB63_307
; %bb.306:
	s_clause 0x1
	buffer_load_dword v2, off, s[0:3], 0 offset:360
	buffer_load_dword v3, off, s[0:3], 0 offset:364
	buffer_store_dword v1, off, s[0:3], 0 offset:360
	buffer_store_dword v1, off, s[0:3], 0 offset:364
	s_waitcnt vmcnt(0)
	ds_write_b64 v141, v[2:3]
.LBB63_307:
	s_or_b32 exec_lo, exec_lo, s4
	s_waitcnt lgkmcnt(0)
	s_waitcnt_vscnt null, 0x0
	s_barrier
	buffer_gl0_inv
	s_clause 0x25
	buffer_load_dword v10, off, s[0:3], 0 offset:372
	buffer_load_dword v11, off, s[0:3], 0 offset:380
	;; [unrolled: 1-line block ×38, first 2 shown]
	ds_read_b128 v[2:5], v1 offset:880
	ds_read_b128 v[6:9], v1 offset:896
	;; [unrolled: 1-line block ×9, first 2 shown]
	s_mov_b32 s4, exec_lo
	s_waitcnt vmcnt(37) lgkmcnt(8)
	v_mul_f32_e32 v1, v2, v10
	v_mul_f32_e32 v10, v3, v10
	s_waitcnt vmcnt(36)
	v_mul_f32_e32 v205, v4, v11
	v_mul_f32_e32 v11, v5, v11
	s_waitcnt vmcnt(35) lgkmcnt(7)
	v_mul_f32_e32 v206, v6, v12
	s_waitcnt vmcnt(34)
	v_mul_f32_e32 v207, v8, v170
	s_waitcnt vmcnt(33) lgkmcnt(6)
	v_mul_f32_e32 v208, v142, v171
	s_waitcnt vmcnt(32)
	;; [unrolled: 4-line block ×7, first 2 shown]
	v_mul_f32_e32 v219, v164, v182
	s_waitcnt vmcnt(19)
	v_fma_f32 v2, v2, v185, -v10
	v_fmac_f32_e32 v1, v3, v185
	v_mul_f32_e32 v3, v7, v12
	s_waitcnt vmcnt(18)
	v_fma_f32 v4, v4, v186, -v11
	v_fmac_f32_e32 v205, v5, v186
	v_add_f32_e32 v2, 0, v2
	v_add_f32_e32 v1, 0, v1
	v_mul_f32_e32 v5, v9, v170
	s_waitcnt vmcnt(17)
	v_fma_f32 v3, v6, v187, -v3
	v_fmac_f32_e32 v206, v7, v187
	v_add_f32_e32 v2, v2, v4
	v_add_f32_e32 v1, v1, v205
	;; [unrolled: 6-line block ×14, first 2 shown]
	s_waitcnt lgkmcnt(0)
	v_mul_f32_e32 v4, v167, v183
	s_waitcnt vmcnt(4)
	v_fma_f32 v5, v164, v200, -v5
	v_mul_f32_e32 v220, v166, v183
	v_add_f32_e32 v2, v2, v3
	v_fmac_f32_e32 v219, v165, v200
	v_add_f32_e32 v1, v1, v218
	v_mul_f32_e32 v3, v169, v184
	s_waitcnt vmcnt(3)
	v_fma_f32 v4, v166, v201, -v4
	v_add_f32_e32 v2, v2, v5
	v_mul_f32_e32 v221, v168, v184
	v_fmac_f32_e32 v220, v167, v201
	v_add_f32_e32 v1, v1, v219
	s_waitcnt vmcnt(2)
	v_fma_f32 v3, v168, v202, -v3
	v_add_f32_e32 v2, v2, v4
	v_fmac_f32_e32 v221, v169, v202
	v_add_f32_e32 v1, v1, v220
	v_add_f32_e32 v2, v2, v3
	;; [unrolled: 1-line block ×3, first 2 shown]
	s_waitcnt vmcnt(1)
	v_sub_f32_e32 v2, v203, v2
	s_waitcnt vmcnt(0)
	v_sub_f32_e32 v1, v204, v1
	buffer_store_dword v2, off, s[0:3], 0 offset:360
	buffer_store_dword v1, off, s[0:3], 0 offset:364
	v_cmpx_lt_u32_e32 44, v0
	s_cbranch_execz .LBB63_309
; %bb.308:
	s_clause 0x1
	buffer_load_dword v1, off, s[0:3], 0 offset:352
	buffer_load_dword v2, off, s[0:3], 0 offset:356
	v_mov_b32_e32 v3, 0
	buffer_store_dword v3, off, s[0:3], 0 offset:352
	buffer_store_dword v3, off, s[0:3], 0 offset:356
	s_waitcnt vmcnt(0)
	ds_write_b64 v141, v[1:2]
.LBB63_309:
	s_or_b32 exec_lo, exec_lo, s4
	s_waitcnt lgkmcnt(0)
	s_waitcnt_vscnt null, 0x0
	s_barrier
	buffer_gl0_inv
	s_clause 0x27
	buffer_load_dword v12, off, s[0:3], 0 offset:364
	buffer_load_dword v170, off, s[0:3], 0 offset:372
	;; [unrolled: 1-line block ×40, first 2 shown]
	v_mov_b32_e32 v1, 0
	ds_read2_b64 v[2:5], v1 offset0:109 offset1:110
	ds_read2_b64 v[6:9], v1 offset0:111 offset1:112
	;; [unrolled: 1-line block ×9, first 2 shown]
	ds_read_b64 v[10:11], v1 offset:1016
	s_mov_b32 s4, exec_lo
	s_waitcnt vmcnt(39) lgkmcnt(9)
	v_mul_f32_e32 v209, v2, v12
	v_mul_f32_e32 v12, v3, v12
	s_waitcnt vmcnt(38)
	v_mul_f32_e32 v210, v4, v170
	v_mul_f32_e32 v170, v5, v170
	s_waitcnt vmcnt(37) lgkmcnt(8)
	v_mul_f32_e32 v211, v6, v171
	s_waitcnt vmcnt(36)
	v_mul_f32_e32 v212, v8, v172
	s_waitcnt vmcnt(35) lgkmcnt(7)
	v_mul_f32_e32 v213, v142, v173
	s_waitcnt vmcnt(34)
	;; [unrolled: 4-line block ×8, first 2 shown]
	v_fma_f32 v2, v2, v188, -v12
	v_fmac_f32_e32 v209, v3, v188
	v_mul_f32_e32 v3, v7, v171
	s_waitcnt vmcnt(19)
	v_fma_f32 v4, v4, v189, -v170
	v_fmac_f32_e32 v210, v5, v189
	v_add_f32_e32 v2, 0, v2
	v_add_f32_e32 v5, 0, v209
	v_mul_f32_e32 v12, v9, v172
	s_waitcnt vmcnt(18)
	v_fma_f32 v3, v6, v190, -v3
	v_fmac_f32_e32 v211, v7, v190
	v_add_f32_e32 v2, v2, v4
	v_add_f32_e32 v4, v5, v210
	;; [unrolled: 6-line block ×15, first 2 shown]
	v_mul_f32_e32 v4, v169, v186
	s_waitcnt vmcnt(4)
	v_fma_f32 v5, v166, v204, -v5
	v_mul_f32_e32 v226, v168, v186
	v_add_f32_e32 v2, v2, v6
	v_fmac_f32_e32 v225, v167, v204
	v_add_f32_e32 v3, v3, v224
	s_waitcnt lgkmcnt(0)
	v_mul_f32_e32 v6, v11, v187
	s_waitcnt vmcnt(3)
	v_fma_f32 v4, v168, v205, -v4
	v_add_f32_e32 v2, v2, v5
	v_mul_f32_e32 v227, v10, v187
	v_fmac_f32_e32 v226, v169, v205
	v_add_f32_e32 v3, v3, v225
	s_waitcnt vmcnt(2)
	v_fma_f32 v5, v10, v206, -v6
	v_add_f32_e32 v2, v2, v4
	v_fmac_f32_e32 v227, v11, v206
	v_add_f32_e32 v3, v3, v226
	v_add_f32_e32 v2, v2, v5
	;; [unrolled: 1-line block ×3, first 2 shown]
	s_waitcnt vmcnt(1)
	v_sub_f32_e32 v2, v207, v2
	s_waitcnt vmcnt(0)
	v_sub_f32_e32 v3, v208, v3
	buffer_store_dword v2, off, s[0:3], 0 offset:352
	buffer_store_dword v3, off, s[0:3], 0 offset:356
	v_cmpx_lt_u32_e32 43, v0
	s_cbranch_execz .LBB63_311
; %bb.310:
	s_clause 0x1
	buffer_load_dword v2, off, s[0:3], 0 offset:344
	buffer_load_dword v3, off, s[0:3], 0 offset:348
	buffer_store_dword v1, off, s[0:3], 0 offset:344
	buffer_store_dword v1, off, s[0:3], 0 offset:348
	s_waitcnt vmcnt(0)
	ds_write_b64 v141, v[2:3]
.LBB63_311:
	s_or_b32 exec_lo, exec_lo, s4
	s_waitcnt lgkmcnt(0)
	s_waitcnt_vscnt null, 0x0
	s_barrier
	buffer_gl0_inv
	s_clause 0x29
	buffer_load_dword v10, off, s[0:3], 0 offset:356
	buffer_load_dword v11, off, s[0:3], 0 offset:364
	;; [unrolled: 1-line block ×42, first 2 shown]
	ds_read_b128 v[2:5], v1 offset:864
	ds_read_b128 v[6:9], v1 offset:880
	;; [unrolled: 1-line block ×10, first 2 shown]
	s_mov_b32 s4, exec_lo
	s_waitcnt vmcnt(41) lgkmcnt(9)
	v_mul_f32_e32 v1, v2, v10
	v_mul_f32_e32 v10, v3, v10
	s_waitcnt vmcnt(40)
	v_mul_f32_e32 v213, v4, v11
	v_mul_f32_e32 v11, v5, v11
	s_waitcnt vmcnt(39) lgkmcnt(8)
	v_mul_f32_e32 v214, v6, v12
	s_waitcnt vmcnt(38)
	v_mul_f32_e32 v215, v8, v174
	s_waitcnt vmcnt(37) lgkmcnt(7)
	v_mul_f32_e32 v216, v142, v175
	s_waitcnt vmcnt(36)
	;; [unrolled: 4-line block ×8, first 2 shown]
	v_mul_f32_e32 v229, v168, v188
	s_waitcnt vmcnt(21)
	v_fma_f32 v2, v2, v191, -v10
	v_fmac_f32_e32 v1, v3, v191
	v_mul_f32_e32 v3, v7, v12
	s_waitcnt vmcnt(20)
	v_fma_f32 v4, v4, v192, -v11
	v_fmac_f32_e32 v213, v5, v192
	v_add_f32_e32 v2, 0, v2
	v_add_f32_e32 v1, 0, v1
	v_mul_f32_e32 v5, v9, v174
	s_waitcnt vmcnt(19)
	v_fma_f32 v3, v6, v193, -v3
	v_fmac_f32_e32 v214, v7, v193
	v_add_f32_e32 v2, v2, v4
	v_add_f32_e32 v1, v1, v213
	;; [unrolled: 6-line block ×16, first 2 shown]
	s_waitcnt lgkmcnt(0)
	v_mul_f32_e32 v5, v171, v189
	s_waitcnt vmcnt(4)
	v_fma_f32 v3, v168, v208, -v3
	v_mul_f32_e32 v230, v170, v189
	v_add_f32_e32 v2, v2, v4
	v_fmac_f32_e32 v229, v169, v208
	v_add_f32_e32 v1, v1, v228
	v_mul_f32_e32 v4, v173, v190
	s_waitcnt vmcnt(3)
	v_fma_f32 v5, v170, v209, -v5
	v_add_f32_e32 v2, v2, v3
	v_mul_f32_e32 v231, v172, v190
	v_fmac_f32_e32 v230, v171, v209
	v_add_f32_e32 v1, v1, v229
	s_waitcnt vmcnt(2)
	v_fma_f32 v3, v172, v210, -v4
	v_add_f32_e32 v2, v2, v5
	v_fmac_f32_e32 v231, v173, v210
	v_add_f32_e32 v1, v1, v230
	v_add_f32_e32 v2, v2, v3
	;; [unrolled: 1-line block ×3, first 2 shown]
	s_waitcnt vmcnt(1)
	v_sub_f32_e32 v2, v211, v2
	s_waitcnt vmcnt(0)
	v_sub_f32_e32 v1, v212, v1
	buffer_store_dword v2, off, s[0:3], 0 offset:344
	buffer_store_dword v1, off, s[0:3], 0 offset:348
	v_cmpx_lt_u32_e32 42, v0
	s_cbranch_execz .LBB63_313
; %bb.312:
	s_clause 0x1
	buffer_load_dword v1, off, s[0:3], 0 offset:336
	buffer_load_dword v2, off, s[0:3], 0 offset:340
	v_mov_b32_e32 v3, 0
	buffer_store_dword v3, off, s[0:3], 0 offset:336
	buffer_store_dword v3, off, s[0:3], 0 offset:340
	s_waitcnt vmcnt(0)
	ds_write_b64 v141, v[1:2]
.LBB63_313:
	s_or_b32 exec_lo, exec_lo, s4
	s_waitcnt lgkmcnt(0)
	s_waitcnt_vscnt null, 0x0
	s_barrier
	buffer_gl0_inv
	s_clause 0x2b
	buffer_load_dword v12, off, s[0:3], 0 offset:348
	buffer_load_dword v174, off, s[0:3], 0 offset:356
	buffer_load_dword v175, off, s[0:3], 0 offset:364
	buffer_load_dword v176, off, s[0:3], 0 offset:372
	buffer_load_dword v177, off, s[0:3], 0 offset:380
	buffer_load_dword v178, off, s[0:3], 0 offset:388
	buffer_load_dword v179, off, s[0:3], 0 offset:396
	buffer_load_dword v180, off, s[0:3], 0 offset:404
	buffer_load_dword v181, off, s[0:3], 0 offset:412
	buffer_load_dword v182, off, s[0:3], 0 offset:420
	buffer_load_dword v183, off, s[0:3], 0 offset:428
	buffer_load_dword v184, off, s[0:3], 0 offset:436
	buffer_load_dword v185, off, s[0:3], 0 offset:444
	buffer_load_dword v186, off, s[0:3], 0 offset:452
	buffer_load_dword v187, off, s[0:3], 0 offset:460
	buffer_load_dword v188, off, s[0:3], 0 offset:468
	buffer_load_dword v189, off, s[0:3], 0 offset:476
	buffer_load_dword v190, off, s[0:3], 0 offset:484
	buffer_load_dword v191, off, s[0:3], 0 offset:492
	buffer_load_dword v192, off, s[0:3], 0 offset:500
	buffer_load_dword v193, off, s[0:3], 0 offset:508
	buffer_load_dword v194, off, s[0:3], 0 offset:344
	buffer_load_dword v195, off, s[0:3], 0 offset:352
	buffer_load_dword v196, off, s[0:3], 0 offset:360
	buffer_load_dword v197, off, s[0:3], 0 offset:368
	buffer_load_dword v198, off, s[0:3], 0 offset:376
	buffer_load_dword v199, off, s[0:3], 0 offset:384
	buffer_load_dword v200, off, s[0:3], 0 offset:392
	buffer_load_dword v201, off, s[0:3], 0 offset:400
	buffer_load_dword v202, off, s[0:3], 0 offset:408
	buffer_load_dword v203, off, s[0:3], 0 offset:416
	buffer_load_dword v204, off, s[0:3], 0 offset:424
	buffer_load_dword v205, off, s[0:3], 0 offset:432
	buffer_load_dword v206, off, s[0:3], 0 offset:440
	buffer_load_dword v207, off, s[0:3], 0 offset:448
	buffer_load_dword v208, off, s[0:3], 0 offset:456
	buffer_load_dword v209, off, s[0:3], 0 offset:464
	buffer_load_dword v210, off, s[0:3], 0 offset:472
	buffer_load_dword v211, off, s[0:3], 0 offset:480
	buffer_load_dword v212, off, s[0:3], 0 offset:488
	buffer_load_dword v213, off, s[0:3], 0 offset:496
	buffer_load_dword v214, off, s[0:3], 0 offset:504
	buffer_load_dword v215, off, s[0:3], 0 offset:336
	buffer_load_dword v216, off, s[0:3], 0 offset:340
	v_mov_b32_e32 v1, 0
	ds_read2_b64 v[2:5], v1 offset0:107 offset1:108
	ds_read2_b64 v[6:9], v1 offset0:109 offset1:110
	;; [unrolled: 1-line block ×10, first 2 shown]
	ds_read_b64 v[10:11], v1 offset:1016
	s_mov_b32 s4, exec_lo
	s_waitcnt vmcnt(43) lgkmcnt(10)
	v_mul_f32_e32 v217, v2, v12
	v_mul_f32_e32 v12, v3, v12
	s_waitcnt vmcnt(42)
	v_mul_f32_e32 v218, v4, v174
	v_mul_f32_e32 v174, v5, v174
	s_waitcnt vmcnt(41) lgkmcnt(9)
	v_mul_f32_e32 v219, v6, v175
	s_waitcnt vmcnt(40)
	v_mul_f32_e32 v220, v8, v176
	s_waitcnt vmcnt(39) lgkmcnt(8)
	v_mul_f32_e32 v221, v142, v177
	s_waitcnt vmcnt(38)
	;; [unrolled: 4-line block ×9, first 2 shown]
	v_fma_f32 v2, v2, v194, -v12
	v_fmac_f32_e32 v217, v3, v194
	v_mul_f32_e32 v3, v7, v175
	s_waitcnt vmcnt(21)
	v_fma_f32 v4, v4, v195, -v174
	v_fmac_f32_e32 v218, v5, v195
	v_add_f32_e32 v2, 0, v2
	v_add_f32_e32 v5, 0, v217
	v_mul_f32_e32 v12, v9, v176
	s_waitcnt vmcnt(20)
	v_fma_f32 v3, v6, v196, -v3
	v_fmac_f32_e32 v219, v7, v196
	v_add_f32_e32 v2, v2, v4
	v_add_f32_e32 v4, v5, v218
	;; [unrolled: 6-line block ×17, first 2 shown]
	v_mul_f32_e32 v5, v173, v192
	s_waitcnt vmcnt(4)
	v_fma_f32 v6, v170, v212, -v6
	v_mul_f32_e32 v236, v172, v192
	v_add_f32_e32 v2, v2, v4
	v_fmac_f32_e32 v235, v171, v212
	v_add_f32_e32 v3, v3, v234
	s_waitcnt lgkmcnt(0)
	v_mul_f32_e32 v4, v11, v193
	s_waitcnt vmcnt(3)
	v_fma_f32 v5, v172, v213, -v5
	v_add_f32_e32 v2, v2, v6
	v_mul_f32_e32 v237, v10, v193
	v_fmac_f32_e32 v236, v173, v213
	v_add_f32_e32 v3, v3, v235
	s_waitcnt vmcnt(2)
	v_fma_f32 v4, v10, v214, -v4
	v_add_f32_e32 v2, v2, v5
	v_fmac_f32_e32 v237, v11, v214
	v_add_f32_e32 v3, v3, v236
	v_add_f32_e32 v2, v2, v4
	;; [unrolled: 1-line block ×3, first 2 shown]
	s_waitcnt vmcnt(1)
	v_sub_f32_e32 v2, v215, v2
	s_waitcnt vmcnt(0)
	v_sub_f32_e32 v3, v216, v3
	buffer_store_dword v2, off, s[0:3], 0 offset:336
	buffer_store_dword v3, off, s[0:3], 0 offset:340
	v_cmpx_lt_u32_e32 41, v0
	s_cbranch_execz .LBB63_315
; %bb.314:
	s_clause 0x1
	buffer_load_dword v2, off, s[0:3], 0 offset:328
	buffer_load_dword v3, off, s[0:3], 0 offset:332
	buffer_store_dword v1, off, s[0:3], 0 offset:328
	buffer_store_dword v1, off, s[0:3], 0 offset:332
	s_waitcnt vmcnt(0)
	ds_write_b64 v141, v[2:3]
.LBB63_315:
	s_or_b32 exec_lo, exec_lo, s4
	s_waitcnt lgkmcnt(0)
	s_waitcnt_vscnt null, 0x0
	s_barrier
	buffer_gl0_inv
	s_clause 0x2d
	buffer_load_dword v10, off, s[0:3], 0 offset:340
	buffer_load_dword v11, off, s[0:3], 0 offset:348
	;; [unrolled: 1-line block ×46, first 2 shown]
	ds_read_b128 v[2:5], v1 offset:848
	ds_read_b128 v[6:9], v1 offset:864
	;; [unrolled: 1-line block ×11, first 2 shown]
	s_mov_b32 s4, exec_lo
	s_waitcnt vmcnt(45) lgkmcnt(10)
	v_mul_f32_e32 v1, v2, v10
	v_mul_f32_e32 v10, v3, v10
	s_waitcnt vmcnt(44)
	v_mul_f32_e32 v221, v4, v11
	v_mul_f32_e32 v11, v5, v11
	s_waitcnt vmcnt(43) lgkmcnt(9)
	v_mul_f32_e32 v222, v6, v12
	s_waitcnt vmcnt(42)
	v_mul_f32_e32 v223, v8, v178
	s_waitcnt vmcnt(41) lgkmcnt(8)
	v_mul_f32_e32 v224, v142, v179
	s_waitcnt vmcnt(40)
	;; [unrolled: 4-line block ×9, first 2 shown]
	v_mul_f32_e32 v239, v172, v194
	s_waitcnt vmcnt(23)
	v_fma_f32 v2, v2, v197, -v10
	v_fmac_f32_e32 v1, v3, v197
	v_mul_f32_e32 v3, v7, v12
	s_waitcnt vmcnt(22)
	v_fma_f32 v4, v4, v198, -v11
	v_fmac_f32_e32 v221, v5, v198
	v_add_f32_e32 v2, 0, v2
	v_add_f32_e32 v1, 0, v1
	v_mul_f32_e32 v5, v9, v178
	s_waitcnt vmcnt(21)
	v_fma_f32 v3, v6, v199, -v3
	v_fmac_f32_e32 v222, v7, v199
	v_add_f32_e32 v2, v2, v4
	v_add_f32_e32 v1, v1, v221
	;; [unrolled: 6-line block ×18, first 2 shown]
	s_waitcnt lgkmcnt(0)
	v_mul_f32_e32 v3, v175, v195
	s_waitcnt vmcnt(4)
	v_fma_f32 v4, v172, v216, -v4
	v_mul_f32_e32 v240, v174, v195
	v_add_f32_e32 v2, v2, v5
	v_fmac_f32_e32 v239, v173, v216
	v_add_f32_e32 v1, v1, v238
	v_mul_f32_e32 v5, v177, v196
	s_waitcnt vmcnt(3)
	v_fma_f32 v3, v174, v217, -v3
	v_add_f32_e32 v2, v2, v4
	v_mul_f32_e32 v241, v176, v196
	v_fmac_f32_e32 v240, v175, v217
	v_add_f32_e32 v1, v1, v239
	s_waitcnt vmcnt(2)
	v_fma_f32 v4, v176, v218, -v5
	v_add_f32_e32 v2, v2, v3
	v_fmac_f32_e32 v241, v177, v218
	v_add_f32_e32 v1, v1, v240
	v_add_f32_e32 v2, v2, v4
	;; [unrolled: 1-line block ×3, first 2 shown]
	s_waitcnt vmcnt(1)
	v_sub_f32_e32 v2, v219, v2
	s_waitcnt vmcnt(0)
	v_sub_f32_e32 v1, v220, v1
	buffer_store_dword v2, off, s[0:3], 0 offset:328
	buffer_store_dword v1, off, s[0:3], 0 offset:332
	v_cmpx_lt_u32_e32 40, v0
	s_cbranch_execz .LBB63_317
; %bb.316:
	s_clause 0x1
	buffer_load_dword v1, off, s[0:3], 0 offset:320
	buffer_load_dword v2, off, s[0:3], 0 offset:324
	v_mov_b32_e32 v3, 0
	buffer_store_dword v3, off, s[0:3], 0 offset:320
	buffer_store_dword v3, off, s[0:3], 0 offset:324
	s_waitcnt vmcnt(0)
	ds_write_b64 v141, v[1:2]
.LBB63_317:
	s_or_b32 exec_lo, exec_lo, s4
	s_waitcnt lgkmcnt(0)
	s_waitcnt_vscnt null, 0x0
	s_barrier
	buffer_gl0_inv
	s_clause 0x2f
	buffer_load_dword v12, off, s[0:3], 0 offset:332
	buffer_load_dword v178, off, s[0:3], 0 offset:340
	;; [unrolled: 1-line block ×48, first 2 shown]
	v_mov_b32_e32 v1, 0
	ds_read2_b64 v[2:5], v1 offset0:105 offset1:106
	ds_read2_b64 v[6:9], v1 offset0:107 offset1:108
	;; [unrolled: 1-line block ×11, first 2 shown]
	ds_read_b64 v[10:11], v1 offset:1016
	s_mov_b32 s4, exec_lo
	s_waitcnt vmcnt(47) lgkmcnt(11)
	v_mul_f32_e32 v225, v2, v12
	v_mul_f32_e32 v12, v3, v12
	s_waitcnt vmcnt(46)
	v_mul_f32_e32 v226, v4, v178
	v_mul_f32_e32 v178, v5, v178
	s_waitcnt vmcnt(45) lgkmcnt(10)
	v_mul_f32_e32 v227, v6, v179
	s_waitcnt vmcnt(44)
	v_mul_f32_e32 v228, v8, v180
	s_waitcnt vmcnt(43) lgkmcnt(9)
	v_mul_f32_e32 v229, v142, v181
	s_waitcnt vmcnt(42)
	;; [unrolled: 4-line block ×10, first 2 shown]
	v_fma_f32 v2, v2, v200, -v12
	v_fmac_f32_e32 v225, v3, v200
	v_mul_f32_e32 v3, v7, v179
	s_waitcnt vmcnt(23)
	v_fma_f32 v4, v4, v201, -v178
	v_fmac_f32_e32 v226, v5, v201
	v_add_f32_e32 v2, 0, v2
	v_add_f32_e32 v5, 0, v225
	v_mul_f32_e32 v12, v9, v180
	s_waitcnt vmcnt(22)
	v_fma_f32 v3, v6, v202, -v3
	v_fmac_f32_e32 v227, v7, v202
	v_add_f32_e32 v2, v2, v4
	v_add_f32_e32 v4, v5, v226
	;; [unrolled: 6-line block ×19, first 2 shown]
	v_mul_f32_e32 v6, v177, v198
	s_waitcnt vmcnt(4)
	v_fma_f32 v4, v174, v220, -v4
	v_mul_f32_e32 v246, v176, v198
	v_add_f32_e32 v2, v2, v5
	v_fmac_f32_e32 v245, v175, v220
	v_add_f32_e32 v3, v3, v244
	s_waitcnt lgkmcnt(0)
	v_mul_f32_e32 v5, v11, v199
	s_waitcnt vmcnt(3)
	v_fma_f32 v6, v176, v221, -v6
	v_add_f32_e32 v2, v2, v4
	v_mul_f32_e32 v247, v10, v199
	v_fmac_f32_e32 v246, v177, v221
	v_add_f32_e32 v3, v3, v245
	s_waitcnt vmcnt(2)
	v_fma_f32 v4, v10, v222, -v5
	v_add_f32_e32 v2, v2, v6
	v_fmac_f32_e32 v247, v11, v222
	v_add_f32_e32 v3, v3, v246
	v_add_f32_e32 v2, v2, v4
	;; [unrolled: 1-line block ×3, first 2 shown]
	s_waitcnt vmcnt(1)
	v_sub_f32_e32 v2, v223, v2
	s_waitcnt vmcnt(0)
	v_sub_f32_e32 v3, v224, v3
	buffer_store_dword v2, off, s[0:3], 0 offset:320
	buffer_store_dword v3, off, s[0:3], 0 offset:324
	v_cmpx_lt_u32_e32 39, v0
	s_cbranch_execz .LBB63_319
; %bb.318:
	s_clause 0x1
	buffer_load_dword v2, off, s[0:3], 0 offset:312
	buffer_load_dword v3, off, s[0:3], 0 offset:316
	buffer_store_dword v1, off, s[0:3], 0 offset:312
	buffer_store_dword v1, off, s[0:3], 0 offset:316
	s_waitcnt vmcnt(0)
	ds_write_b64 v141, v[2:3]
.LBB63_319:
	s_or_b32 exec_lo, exec_lo, s4
	s_waitcnt lgkmcnt(0)
	s_waitcnt_vscnt null, 0x0
	s_barrier
	buffer_gl0_inv
	s_clause 0x31
	buffer_load_dword v10, off, s[0:3], 0 offset:324
	buffer_load_dword v11, off, s[0:3], 0 offset:332
	;; [unrolled: 1-line block ×50, first 2 shown]
	ds_read_b128 v[2:5], v1 offset:832
	ds_read_b128 v[6:9], v1 offset:848
	;; [unrolled: 1-line block ×12, first 2 shown]
	s_mov_b32 s4, exec_lo
	s_waitcnt vmcnt(49) lgkmcnt(11)
	v_mul_f32_e32 v1, v2, v10
	v_mul_f32_e32 v10, v3, v10
	s_waitcnt vmcnt(48)
	v_mul_f32_e32 v229, v4, v11
	v_mul_f32_e32 v11, v5, v11
	s_waitcnt vmcnt(47) lgkmcnt(10)
	v_mul_f32_e32 v230, v6, v12
	s_waitcnt vmcnt(46)
	v_mul_f32_e32 v231, v8, v182
	s_waitcnt vmcnt(45) lgkmcnt(9)
	v_mul_f32_e32 v232, v142, v183
	s_waitcnt vmcnt(44)
	;; [unrolled: 4-line block ×10, first 2 shown]
	v_mul_f32_e32 v249, v176, v200
	s_waitcnt vmcnt(25)
	v_fma_f32 v2, v2, v203, -v10
	v_fmac_f32_e32 v1, v3, v203
	v_mul_f32_e32 v3, v7, v12
	s_waitcnt vmcnt(24)
	v_fma_f32 v4, v4, v204, -v11
	v_fmac_f32_e32 v229, v5, v204
	v_add_f32_e32 v2, 0, v2
	v_add_f32_e32 v1, 0, v1
	v_mul_f32_e32 v5, v9, v182
	s_waitcnt vmcnt(23)
	v_fma_f32 v3, v6, v205, -v3
	v_fmac_f32_e32 v230, v7, v205
	v_add_f32_e32 v2, v2, v4
	v_add_f32_e32 v1, v1, v229
	;; [unrolled: 6-line block ×20, first 2 shown]
	s_waitcnt lgkmcnt(0)
	v_mul_f32_e32 v4, v179, v201
	s_waitcnt vmcnt(4)
	v_fma_f32 v5, v176, v224, -v5
	v_mul_f32_e32 v250, v178, v201
	v_add_f32_e32 v2, v2, v3
	v_fmac_f32_e32 v249, v177, v224
	v_add_f32_e32 v1, v1, v248
	v_mul_f32_e32 v3, v181, v202
	s_waitcnt vmcnt(3)
	v_fma_f32 v4, v178, v225, -v4
	v_add_f32_e32 v2, v2, v5
	v_mul_f32_e32 v251, v180, v202
	v_fmac_f32_e32 v250, v179, v225
	v_add_f32_e32 v1, v1, v249
	s_waitcnt vmcnt(2)
	v_fma_f32 v3, v180, v226, -v3
	v_add_f32_e32 v2, v2, v4
	v_fmac_f32_e32 v251, v181, v226
	v_add_f32_e32 v1, v1, v250
	v_add_f32_e32 v2, v2, v3
	;; [unrolled: 1-line block ×3, first 2 shown]
	s_waitcnt vmcnt(1)
	v_sub_f32_e32 v2, v227, v2
	s_waitcnt vmcnt(0)
	v_sub_f32_e32 v1, v228, v1
	buffer_store_dword v2, off, s[0:3], 0 offset:312
	buffer_store_dword v1, off, s[0:3], 0 offset:316
	v_cmpx_lt_u32_e32 38, v0
	s_cbranch_execz .LBB63_321
; %bb.320:
	s_clause 0x1
	buffer_load_dword v1, off, s[0:3], 0 offset:304
	buffer_load_dword v2, off, s[0:3], 0 offset:308
	v_mov_b32_e32 v3, 0
	buffer_store_dword v3, off, s[0:3], 0 offset:304
	buffer_store_dword v3, off, s[0:3], 0 offset:308
	s_waitcnt vmcnt(0)
	ds_write_b64 v141, v[1:2]
.LBB63_321:
	s_or_b32 exec_lo, exec_lo, s4
	s_waitcnt lgkmcnt(0)
	s_waitcnt_vscnt null, 0x0
	s_barrier
	buffer_gl0_inv
	s_clause 0x33
	buffer_load_dword v10, off, s[0:3], 0 offset:316
	buffer_load_dword v11, off, s[0:3], 0 offset:324
	;; [unrolled: 1-line block ×52, first 2 shown]
	v_mov_b32_e32 v1, 0
	ds_read2_b64 v[2:5], v1 offset0:103 offset1:104
	ds_read2_b64 v[6:9], v1 offset0:105 offset1:106
	;; [unrolled: 1-line block ×4, first 2 shown]
	s_mov_b32 s4, exec_lo
	s_waitcnt vmcnt(51) lgkmcnt(3)
	v_mul_f32_e32 v199, v2, v10
	s_waitcnt vmcnt(50)
	v_mul_f32_e32 v200, v4, v11
	v_mul_f32_e32 v10, v3, v10
	;; [unrolled: 1-line block ×3, first 2 shown]
	s_waitcnt vmcnt(49) lgkmcnt(2)
	v_mul_f32_e32 v201, v6, v12
	s_waitcnt vmcnt(48)
	v_mul_f32_e32 v202, v8, v150
	v_mul_f32_e32 v12, v7, v12
	v_mul_f32_e32 v150, v9, v150
	s_waitcnt vmcnt(43)
	v_fmac_f32_e32 v199, v3, v155
	v_fmac_f32_e32 v200, v5, v154
	v_fma_f32 v10, v2, v155, -v10
	v_fma_f32 v11, v4, v154, -v11
	v_fmac_f32_e32 v201, v7, v153
	s_waitcnt vmcnt(39)
	v_fmac_f32_e32 v202, v9, v159
	v_fma_f32 v12, v6, v153, -v12
	v_fma_f32 v159, v8, v159, -v150
	ds_read2_b64 v[2:5], v1 offset0:111 offset1:112
	ds_read2_b64 v[6:9], v1 offset0:113 offset1:114
	s_waitcnt lgkmcnt(3)
	v_mul_f32_e32 v204, v144, v152
	v_mul_f32_e32 v152, v145, v152
	v_add_f32_e32 v10, 0, v10
	s_waitcnt vmcnt(38) lgkmcnt(2)
	v_mul_f32_e32 v206, v146, v160
	v_mul_f32_e32 v154, v147, v160
	v_fmac_f32_e32 v204, v145, v157
	v_fma_f32 v205, v144, v157, -v152
	v_add_f32_e32 v157, 0, v199
	v_add_f32_e32 v10, v10, v11
	v_mul_f32_e32 v203, v142, v151
	v_mul_f32_e32 v151, v143, v151
	s_waitcnt vmcnt(37)
	v_mul_f32_e32 v207, v148, v161
	v_add_f32_e32 v160, v157, v200
	v_add_f32_e32 v10, v10, v12
	v_fmac_f32_e32 v203, v143, v158
	v_fma_f32 v158, v142, v158, -v151
	v_mul_f32_e32 v155, v149, v161
	v_add_f32_e32 v11, v160, v201
	s_waitcnt vmcnt(32) lgkmcnt(1)
	v_mul_f32_e32 v200, v2, v166
	v_add_f32_e32 v10, v10, v159
	v_mul_f32_e32 v160, v3, v166
	s_waitcnt vmcnt(31)
	v_mul_f32_e32 v12, v4, v167
	v_mul_f32_e32 v161, v5, v167
	v_fmac_f32_e32 v200, v3, v164
	v_add_f32_e32 v3, v11, v202
	v_add_f32_e32 v167, v10, v158
	v_fma_f32 v199, v146, v156, -v154
	v_fmac_f32_e32 v206, v147, v156
	v_fmac_f32_e32 v207, v149, v165
	v_add_f32_e32 v166, v3, v203
	v_add_f32_e32 v167, v167, v205
	v_fma_f32 v165, v148, v165, -v155
	ds_read2_b64 v[142:145], v1 offset0:115 offset1:116
	ds_read2_b64 v[150:153], v1 offset0:117 offset1:118
	s_waitcnt vmcnt(30) lgkmcnt(2)
	v_mul_f32_e32 v201, v6, v168
	v_add_f32_e32 v166, v166, v204
	v_add_f32_e32 v167, v167, v199
	v_mul_f32_e32 v168, v7, v168
	v_fma_f32 v164, v2, v164, -v160
	v_fmac_f32_e32 v201, v7, v162
	v_add_f32_e32 v166, v166, v206
	v_add_f32_e32 v165, v167, v165
	v_fma_f32 v6, v6, v162, -v168
	v_fmac_f32_e32 v12, v5, v163
	v_fma_f32 v163, v4, v163, -v161
	v_add_f32_e32 v162, v166, v207
	v_add_f32_e32 v164, v165, v164
	s_waitcnt vmcnt(29)
	v_mul_f32_e32 v202, v8, v169
	v_mul_f32_e32 v169, v9, v169
	ds_read2_b64 v[146:149], v1 offset0:119 offset1:120
	ds_read2_b64 v[154:157], v1 offset0:121 offset1:122
	v_add_f32_e32 v162, v162, v200
	v_add_f32_e32 v163, v164, v163
	s_waitcnt vmcnt(28) lgkmcnt(3)
	v_mul_f32_e32 v168, v143, v170
	s_waitcnt vmcnt(20)
	v_fma_f32 v8, v8, v178, -v169
	v_mul_f32_e32 v203, v142, v170
	v_add_f32_e32 v12, v162, v12
	v_add_f32_e32 v6, v163, v6
	v_fmac_f32_e32 v202, v9, v178
	v_mul_f32_e32 v162, v145, v171
	v_fma_f32 v142, v142, v177, -v168
	v_add_f32_e32 v12, v12, v201
	v_add_f32_e32 v6, v6, v8
	v_mul_f32_e32 v199, v144, v171
	v_fmac_f32_e32 v203, v143, v177
	v_fma_f32 v143, v144, v176, -v162
	v_add_f32_e32 v8, v12, v202
	s_waitcnt lgkmcnt(2)
	v_mul_f32_e32 v12, v151, v172
	v_add_f32_e32 v6, v6, v142
	v_mul_f32_e32 v7, v150, v172
	v_fmac_f32_e32 v199, v145, v176
	v_add_f32_e32 v8, v8, v203
	v_mul_f32_e32 v142, v153, v173
	v_fma_f32 v12, v150, v175, -v12
	v_add_f32_e32 v6, v6, v143
	v_mul_f32_e32 v166, v152, v173
	v_fmac_f32_e32 v7, v151, v175
	v_add_f32_e32 v8, v8, v199
	s_waitcnt lgkmcnt(1)
	v_mul_f32_e32 v143, v147, v174
	s_waitcnt vmcnt(8)
	v_fma_f32 v142, v152, v190, -v142
	v_add_f32_e32 v6, v6, v12
	v_mul_f32_e32 v167, v146, v174
	v_fmac_f32_e32 v166, v153, v190
	v_add_f32_e32 v7, v8, v7
	ds_read2_b64 v[2:5], v1 offset0:123 offset1:124
	ds_read2_b64 v[158:161], v1 offset0:125 offset1:126
	ds_read_b64 v[10:11], v1 offset:1016
	v_mul_f32_e32 v8, v149, v179
	v_fma_f32 v12, v146, v189, -v143
	v_add_f32_e32 v6, v6, v142
	v_mul_f32_e32 v9, v148, v179
	v_fmac_f32_e32 v167, v147, v189
	v_add_f32_e32 v7, v7, v166
	s_waitcnt lgkmcnt(3)
	v_mul_f32_e32 v142, v155, v180
	v_fma_f32 v8, v148, v188, -v8
	v_add_f32_e32 v6, v6, v12
	v_mul_f32_e32 v169, v154, v180
	v_fmac_f32_e32 v9, v149, v188
	v_add_f32_e32 v7, v7, v167
	v_mul_f32_e32 v12, v157, v181
	v_fma_f32 v142, v154, v187, -v142
	v_add_f32_e32 v6, v6, v8
	v_mul_f32_e32 v165, v156, v181
	v_fmac_f32_e32 v169, v155, v187
	v_add_f32_e32 v7, v7, v9
	s_waitcnt lgkmcnt(2)
	v_mul_f32_e32 v170, v2, v182
	v_mul_f32_e32 v8, v3, v182
	s_waitcnt vmcnt(4)
	v_fma_f32 v9, v156, v194, -v12
	v_add_f32_e32 v6, v6, v142
	v_fmac_f32_e32 v165, v157, v194
	v_add_f32_e32 v7, v7, v169
	v_mul_f32_e32 v12, v5, v183
	v_fmac_f32_e32 v170, v3, v193
	v_fma_f32 v2, v2, v193, -v8
	v_add_f32_e32 v3, v6, v9
	v_mul_f32_e32 v178, v4, v183
	v_add_f32_e32 v6, v7, v165
	s_waitcnt lgkmcnt(1)
	v_mul_f32_e32 v7, v159, v184
	v_fma_f32 v4, v4, v192, -v12
	v_add_f32_e32 v2, v3, v2
	v_mul_f32_e32 v164, v158, v184
	v_fmac_f32_e32 v178, v5, v192
	v_add_f32_e32 v3, v6, v170
	v_mul_f32_e32 v5, v161, v185
	v_fma_f32 v6, v158, v191, -v7
	v_add_f32_e32 v2, v2, v4
	v_mul_f32_e32 v171, v160, v185
	v_fmac_f32_e32 v164, v159, v191
	v_add_f32_e32 v3, v3, v178
	s_waitcnt lgkmcnt(0)
	v_mul_f32_e32 v4, v11, v186
	s_waitcnt vmcnt(2)
	v_fma_f32 v5, v160, v196, -v5
	v_add_f32_e32 v2, v2, v6
	v_mul_f32_e32 v163, v10, v186
	v_fmac_f32_e32 v171, v161, v196
	v_add_f32_e32 v3, v3, v164
	v_fma_f32 v4, v10, v195, -v4
	v_add_f32_e32 v2, v2, v5
	v_fmac_f32_e32 v163, v11, v195
	v_add_f32_e32 v3, v3, v171
	v_add_f32_e32 v2, v2, v4
	;; [unrolled: 1-line block ×3, first 2 shown]
	s_waitcnt vmcnt(1)
	v_sub_f32_e32 v2, v197, v2
	s_waitcnt vmcnt(0)
	v_sub_f32_e32 v3, v198, v3
	buffer_store_dword v2, off, s[0:3], 0 offset:304
	buffer_store_dword v3, off, s[0:3], 0 offset:308
	v_cmpx_lt_u32_e32 37, v0
	s_cbranch_execz .LBB63_323
; %bb.322:
	s_clause 0x1
	buffer_load_dword v2, off, s[0:3], 0 offset:296
	buffer_load_dword v3, off, s[0:3], 0 offset:300
	buffer_store_dword v1, off, s[0:3], 0 offset:296
	buffer_store_dword v1, off, s[0:3], 0 offset:300
	s_waitcnt vmcnt(0)
	ds_write_b64 v141, v[2:3]
.LBB63_323:
	s_or_b32 exec_lo, exec_lo, s4
	s_waitcnt lgkmcnt(0)
	s_waitcnt_vscnt null, 0x0
	s_barrier
	buffer_gl0_inv
	s_clause 0x35
	buffer_load_dword v11, off, s[0:3], 0 offset:308
	buffer_load_dword v12, off, s[0:3], 0 offset:316
	;; [unrolled: 1-line block ×54, first 2 shown]
	ds_read_b128 v[3:6], v1 offset:816
	ds_read_b128 v[7:10], v1 offset:832
	;; [unrolled: 1-line block ×4, first 2 shown]
	s_mov_b32 s4, exec_lo
	s_waitcnt vmcnt(53) lgkmcnt(3)
	v_mul_f32_e32 v201, v3, v11
	v_mul_f32_e32 v11, v4, v11
	s_waitcnt vmcnt(52)
	v_mul_f32_e32 v202, v5, v12
	v_mul_f32_e32 v12, v6, v12
	s_waitcnt vmcnt(49)
	v_fmac_f32_e32 v201, v4, v152
	v_fma_f32 v11, v3, v152, -v11
	v_fmac_f32_e32 v202, v6, v151
	v_fma_f32 v12, v5, v151, -v12
	ds_read_b128 v[3:6], v1 offset:880
	s_waitcnt vmcnt(48) lgkmcnt(3)
	v_mul_f32_e32 v203, v7, v153
	v_mul_f32_e32 v151, v8, v153
	s_waitcnt vmcnt(47)
	v_mul_f32_e32 v152, v10, v154
	v_mul_f32_e32 v204, v9, v154
	s_waitcnt vmcnt(40) lgkmcnt(1)
	v_mul_f32_e32 v208, v146, v160
	v_fmac_f32_e32 v203, v8, v150
	v_fma_f32 v154, v7, v150, -v151
	v_mul_f32_e32 v150, v143, v158
	v_fma_f32 v205, v9, v157, -v152
	v_mul_f32_e32 v152, v147, v160
	v_add_f32_e32 v11, 0, v11
	v_fmac_f32_e32 v204, v10, v157
	ds_read_b128 v[7:10], v1 offset:896
	v_mul_f32_e32 v206, v142, v158
	v_fma_f32 v158, v142, v156, -v150
	v_add_f32_e32 v142, 0, v201
	v_fmac_f32_e32 v208, v147, v2
	v_fma_f32 v201, v146, v2, -v152
	v_add_f32_e32 v2, v11, v12
	s_waitcnt vmcnt(38) lgkmcnt(1)
	v_mul_f32_e32 v12, v4, v162
	v_add_f32_e32 v11, v142, v202
	v_mul_f32_e32 v210, v3, v162
	v_mul_f32_e32 v151, v145, v159
	v_add_f32_e32 v2, v2, v154
	s_waitcnt vmcnt(35)
	v_fma_f32 v12, v3, v165, -v12
	v_add_f32_e32 v3, v11, v203
	v_mul_f32_e32 v207, v144, v159
	v_mul_f32_e32 v209, v148, v161
	v_add_f32_e32 v2, v2, v205
	v_mul_f32_e32 v157, v149, v161
	v_fmac_f32_e32 v206, v143, v156
	s_waitcnt vmcnt(33)
	v_mul_f32_e32 v11, v5, v167
	v_add_f32_e32 v3, v3, v204
	v_fma_f32 v159, v144, v155, -v151
	v_add_f32_e32 v2, v2, v158
	v_fmac_f32_e32 v207, v145, v155
	v_fmac_f32_e32 v209, v149, v166
	v_fma_f32 v162, v148, v166, -v157
	v_fmac_f32_e32 v210, v4, v165
	v_mul_f32_e32 v4, v6, v167
	s_waitcnt vmcnt(31) lgkmcnt(0)
	v_mul_f32_e32 v166, v9, v169
	v_mul_f32_e32 v167, v10, v169
	v_fmac_f32_e32 v11, v6, v164
	v_add_f32_e32 v6, v3, v206
	v_mul_f32_e32 v165, v7, v168
	v_mul_f32_e32 v158, v8, v168
	v_add_f32_e32 v168, v2, v159
	s_waitcnt vmcnt(27)
	v_fmac_f32_e32 v166, v10, v173
	v_fma_f32 v10, v9, v173, -v167
	v_add_f32_e32 v167, v6, v207
	ds_read_b128 v[142:145], v1 offset:912
	ds_read_b128 v[150:153], v1 offset:928
	v_add_f32_e32 v168, v168, v201
	v_fma_f32 v164, v5, v164, -v4
	v_fmac_f32_e32 v165, v8, v163
	v_add_f32_e32 v167, v167, v208
	v_fma_f32 v163, v7, v163, -v158
	v_add_f32_e32 v162, v168, v162
	ds_read_b128 v[146:149], v1 offset:944
	ds_read_b128 v[154:157], v1 offset:960
	;; [unrolled: 1-line block ×4, first 2 shown]
	v_add_f32_e32 v167, v167, v209
	ds_read_b128 v[6:9], v1 offset:1008
	v_add_f32_e32 v12, v162, v12
	v_add_f32_e32 v167, v167, v210
	;; [unrolled: 1-line block ×4, first 2 shown]
	s_waitcnt vmcnt(26) lgkmcnt(6)
	v_mul_f32_e32 v169, v143, v174
	v_add_f32_e32 v12, v12, v163
	v_mul_f32_e32 v1, v142, v174
	s_waitcnt vmcnt(25)
	v_mul_f32_e32 v174, v145, v175
	v_add_f32_e32 v11, v11, v165
	v_fma_f32 v142, v142, v172, -v169
	v_add_f32_e32 v10, v12, v10
	v_mul_f32_e32 v173, v144, v175
	v_fmac_f32_e32 v1, v143, v172
	v_add_f32_e32 v11, v11, v166
	s_waitcnt vmcnt(24) lgkmcnt(5)
	v_mul_f32_e32 v12, v151, v176
	v_fma_f32 v144, v144, v171, -v174
	v_add_f32_e32 v10, v10, v142
	v_mul_f32_e32 v168, v150, v176
	v_fmac_f32_e32 v173, v145, v171
	v_add_f32_e32 v1, v11, v1
	s_waitcnt vmcnt(23)
	v_mul_f32_e32 v11, v153, v177
	v_fma_f32 v12, v150, v170, -v12
	v_add_f32_e32 v10, v10, v144
	v_mul_f32_e32 v175, v152, v177
	v_fmac_f32_e32 v168, v151, v170
	v_add_f32_e32 v1, v1, v173
	s_waitcnt vmcnt(22) lgkmcnt(4)
	v_mul_f32_e32 v142, v147, v178
	s_waitcnt vmcnt(9)
	v_fma_f32 v11, v152, v191, -v11
	v_add_f32_e32 v10, v10, v12
	v_mul_f32_e32 v201, v146, v178
	v_fmac_f32_e32 v175, v153, v191
	v_add_f32_e32 v1, v1, v168
	v_mul_f32_e32 v12, v149, v179
	v_fma_f32 v142, v146, v190, -v142
	v_add_f32_e32 v10, v10, v11
	v_mul_f32_e32 v162, v148, v179
	v_fmac_f32_e32 v201, v147, v190
	v_add_f32_e32 v1, v1, v175
	s_waitcnt lgkmcnt(3)
	v_mul_f32_e32 v11, v155, v180
	v_fma_f32 v12, v148, v189, -v12
	v_add_f32_e32 v10, v10, v142
	v_mul_f32_e32 v202, v154, v180
	v_fmac_f32_e32 v162, v149, v189
	v_add_f32_e32 v1, v1, v201
	v_mul_f32_e32 v142, v157, v181
	v_fma_f32 v11, v154, v188, -v11
	v_add_f32_e32 v10, v10, v12
	v_mul_f32_e32 v203, v156, v181
	v_fmac_f32_e32 v202, v155, v188
	v_add_f32_e32 v1, v1, v162
	s_waitcnt lgkmcnt(2)
	v_mul_f32_e32 v164, v2, v182
	v_mul_f32_e32 v12, v3, v182
	s_waitcnt vmcnt(5)
	v_fma_f32 v142, v156, v195, -v142
	v_add_f32_e32 v10, v10, v11
	v_fmac_f32_e32 v203, v157, v195
	v_add_f32_e32 v1, v1, v202
	v_mul_f32_e32 v11, v5, v183
	v_fmac_f32_e32 v164, v3, v194
	v_fma_f32 v2, v2, v194, -v12
	v_add_f32_e32 v3, v10, v142
	v_mul_f32_e32 v167, v4, v183
	v_add_f32_e32 v1, v1, v203
	s_waitcnt lgkmcnt(1)
	v_mul_f32_e32 v10, v159, v184
	v_fma_f32 v4, v4, v193, -v11
	v_add_f32_e32 v2, v3, v2
	v_mul_f32_e32 v204, v158, v184
	v_fmac_f32_e32 v167, v5, v193
	v_add_f32_e32 v1, v1, v164
	v_mul_f32_e32 v3, v161, v185
	v_fma_f32 v5, v158, v192, -v10
	v_add_f32_e32 v2, v2, v4
	v_mul_f32_e32 v163, v160, v185
	v_fmac_f32_e32 v204, v159, v192
	v_add_f32_e32 v1, v1, v167
	s_waitcnt lgkmcnt(0)
	v_mul_f32_e32 v4, v7, v186
	s_waitcnt vmcnt(2)
	v_fma_f32 v3, v160, v198, -v3
	v_add_f32_e32 v2, v2, v5
	v_mul_f32_e32 v165, v6, v186
	v_fmac_f32_e32 v163, v161, v198
	v_add_f32_e32 v1, v1, v204
	v_mul_f32_e32 v5, v9, v187
	v_fma_f32 v4, v6, v197, -v4
	v_add_f32_e32 v2, v2, v3
	v_mul_f32_e32 v143, v8, v187
	v_fmac_f32_e32 v165, v7, v197
	v_add_f32_e32 v1, v1, v163
	v_fma_f32 v3, v8, v196, -v5
	v_add_f32_e32 v2, v2, v4
	v_fmac_f32_e32 v143, v9, v196
	v_add_f32_e32 v1, v1, v165
	v_add_f32_e32 v2, v2, v3
	;; [unrolled: 1-line block ×3, first 2 shown]
	s_waitcnt vmcnt(1)
	v_sub_f32_e32 v2, v199, v2
	s_waitcnt vmcnt(0)
	v_sub_f32_e32 v1, v200, v1
	buffer_store_dword v2, off, s[0:3], 0 offset:296
	buffer_store_dword v1, off, s[0:3], 0 offset:300
	v_cmpx_lt_u32_e32 36, v0
	s_cbranch_execz .LBB63_325
; %bb.324:
	s_clause 0x1
	buffer_load_dword v1, off, s[0:3], 0 offset:288
	buffer_load_dword v2, off, s[0:3], 0 offset:292
	v_mov_b32_e32 v3, 0
	buffer_store_dword v3, off, s[0:3], 0 offset:288
	buffer_store_dword v3, off, s[0:3], 0 offset:292
	s_waitcnt vmcnt(0)
	ds_write_b64 v141, v[1:2]
.LBB63_325:
	s_or_b32 exec_lo, exec_lo, s4
	s_waitcnt lgkmcnt(0)
	s_waitcnt_vscnt null, 0x0
	s_barrier
	buffer_gl0_inv
	s_clause 0x37
	buffer_load_dword v155, off, s[0:3], 0 offset:300
	buffer_load_dword v159, off, s[0:3], 0 offset:308
	;; [unrolled: 1-line block ×56, first 2 shown]
	v_mov_b32_e32 v1, 0
	ds_read2_b64 v[143:146], v1 offset0:101 offset1:102
	ds_read2_b64 v[147:150], v1 offset0:103 offset1:104
	;; [unrolled: 1-line block ×3, first 2 shown]
	s_mov_b32 s4, exec_lo
	s_waitcnt vmcnt(55) lgkmcnt(2)
	v_mul_f32_e32 v202, v143, v155
	v_mul_f32_e32 v203, v144, v155
	ds_read2_b64 v[155:158], v1 offset0:107 offset1:108
	s_waitcnt vmcnt(54)
	v_mul_f32_e32 v204, v145, v159
	v_mul_f32_e32 v159, v146, v159
	s_waitcnt vmcnt(51)
	v_fmac_f32_e32 v202, v144, v162
	v_fma_f32 v162, v143, v162, -v203
	s_waitcnt vmcnt(50) lgkmcnt(2)
	v_mul_f32_e32 v203, v147, v163
	v_fmac_f32_e32 v204, v146, v161
	v_fma_f32 v159, v145, v161, -v159
	s_waitcnt vmcnt(49)
	v_mul_f32_e32 v205, v149, v164
	v_mul_f32_e32 v161, v148, v163
	;; [unrolled: 1-line block ×3, first 2 shown]
	ds_read2_b64 v[143:146], v1 offset0:109 offset1:110
	v_fmac_f32_e32 v203, v148, v160
	s_waitcnt vmcnt(45)
	v_fmac_f32_e32 v205, v150, v168
	v_fma_f32 v160, v147, v160, -v161
	v_fma_f32 v163, v149, v168, -v163
	s_waitcnt vmcnt(44) lgkmcnt(2)
	v_mul_f32_e32 v168, v151, v169
	v_mul_f32_e32 v161, v152, v169
	ds_read2_b64 v[147:150], v1 offset0:111 offset1:112
	s_waitcnt vmcnt(43)
	v_mul_f32_e32 v169, v153, v170
	v_mul_f32_e32 v164, v154, v170
	v_add_f32_e32 v170, 0, v202
	v_fmac_f32_e32 v168, v152, v167
	v_fma_f32 v167, v151, v167, -v161
	v_add_f32_e32 v151, 0, v162
	s_waitcnt vmcnt(42) lgkmcnt(2)
	v_mul_f32_e32 v202, v155, v171
	v_add_f32_e32 v152, v170, v204
	v_mul_f32_e32 v161, v156, v171
	s_waitcnt vmcnt(41)
	v_mul_f32_e32 v204, v157, v172
	v_add_f32_e32 v151, v151, v159
	v_mul_f32_e32 v170, v158, v172
	s_waitcnt vmcnt(40) lgkmcnt(1)
	v_mul_f32_e32 v206, v143, v173
	v_fma_f32 v171, v153, v166, -v164
	v_fmac_f32_e32 v202, v156, v165
	v_fma_f32 v172, v155, v165, -v161
	v_add_f32_e32 v155, v152, v203
	v_add_f32_e32 v156, v151, v160
	v_mul_f32_e32 v164, v144, v173
	s_waitcnt vmcnt(37)
	v_fmac_f32_e32 v206, v144, v176
	s_waitcnt vmcnt(36)
	v_fmac_f32_e32 v204, v158, v177
	v_add_f32_e32 v144, v155, v205
	v_fma_f32 v173, v157, v177, -v170
	v_fma_f32 v176, v143, v176, -v164
	v_add_f32_e32 v143, v156, v163
	s_waitcnt vmcnt(35)
	v_mul_f32_e32 v177, v145, v178
	v_add_f32_e32 v144, v144, v168
	v_mul_f32_e32 v168, v146, v178
	s_waitcnt vmcnt(34) lgkmcnt(0)
	v_mul_f32_e32 v178, v147, v179
	v_add_f32_e32 v143, v143, v167
	v_mul_f32_e32 v167, v148, v179
	v_fmac_f32_e32 v169, v154, v166
	s_waitcnt vmcnt(33)
	v_mul_f32_e32 v203, v149, v180
	v_mul_f32_e32 v179, v150, v180
	v_fmac_f32_e32 v178, v148, v174
	v_fma_f32 v174, v147, v174, -v167
	v_add_f32_e32 v147, v143, v171
	v_add_f32_e32 v144, v144, v169
	s_waitcnt vmcnt(29)
	v_fmac_f32_e32 v203, v150, v184
	v_fma_f32 v179, v149, v184, -v179
	ds_read2_b64 v[151:154], v1 offset0:113 offset1:114
	ds_read2_b64 v[159:162], v1 offset0:115 offset1:116
	v_add_f32_e32 v184, v147, v172
	v_add_f32_e32 v180, v144, v202
	v_fmac_f32_e32 v177, v146, v175
	v_fma_f32 v175, v145, v175, -v168
	ds_read2_b64 v[155:158], v1 offset0:117 offset1:118
	ds_read2_b64 v[163:166], v1 offset0:119 offset1:120
	v_add_f32_e32 v173, v184, v173
	v_add_f32_e32 v180, v180, v204
	ds_read2_b64 v[143:146], v1 offset0:121 offset1:122
	ds_read2_b64 v[167:170], v1 offset0:123 offset1:124
	ds_read2_b64 v[147:150], v1 offset0:125 offset1:126
	ds_read_b64 v[171:172], v1 offset:1016
	v_add_f32_e32 v173, v173, v176
	v_add_f32_e32 v180, v180, v206
	;; [unrolled: 1-line block ×4, first 2 shown]
	s_waitcnt vmcnt(28) lgkmcnt(7)
	v_mul_f32_e32 v202, v151, v185
	v_mul_f32_e32 v185, v152, v185
	v_add_f32_e32 v173, v173, v174
	v_add_f32_e32 v174, v177, v178
	s_waitcnt vmcnt(27)
	v_mul_f32_e32 v184, v153, v186
	v_mul_f32_e32 v186, v154, v186
	v_fma_f32 v151, v151, v183, -v185
	v_add_f32_e32 v173, v173, v179
	v_fmac_f32_e32 v202, v152, v183
	v_add_f32_e32 v174, v174, v203
	s_waitcnt vmcnt(26) lgkmcnt(6)
	v_mul_f32_e32 v183, v160, v187
	v_fma_f32 v153, v153, v182, -v186
	v_add_f32_e32 v151, v173, v151
	v_mul_f32_e32 v204, v159, v187
	v_fmac_f32_e32 v184, v154, v182
	v_add_f32_e32 v173, v174, v202
	s_waitcnt vmcnt(25)
	v_mul_f32_e32 v179, v162, v188
	v_fma_f32 v159, v159, v181, -v183
	v_add_f32_e32 v151, v151, v153
	v_mul_f32_e32 v176, v161, v188
	v_fmac_f32_e32 v204, v160, v181
	v_add_f32_e32 v153, v173, v184
	s_waitcnt vmcnt(24) lgkmcnt(5)
	v_mul_f32_e32 v160, v156, v189
	s_waitcnt vmcnt(10)
	v_fma_f32 v161, v161, v195, -v179
	v_add_f32_e32 v151, v151, v159
	v_mul_f32_e32 v152, v155, v189
	v_fmac_f32_e32 v176, v162, v195
	v_add_f32_e32 v153, v153, v204
	v_mul_f32_e32 v159, v158, v190
	v_fma_f32 v155, v155, v194, -v160
	v_add_f32_e32 v151, v151, v161
	v_mul_f32_e32 v180, v157, v190
	v_fmac_f32_e32 v152, v156, v194
	v_add_f32_e32 v153, v153, v176
	s_waitcnt lgkmcnt(4)
	v_mul_f32_e32 v156, v164, v191
	v_fma_f32 v157, v157, v193, -v159
	v_add_f32_e32 v151, v151, v155
	v_mul_f32_e32 v175, v163, v191
	v_fmac_f32_e32 v180, v158, v193
	v_add_f32_e32 v152, v153, v152
	v_mul_f32_e32 v154, v165, v142
	v_mul_f32_e32 v142, v166, v142
	v_fma_f32 v153, v163, v192, -v156
	v_add_f32_e32 v151, v151, v157
	v_fmac_f32_e32 v175, v164, v192
	v_add_f32_e32 v152, v152, v180
	s_waitcnt lgkmcnt(3)
	v_mul_f32_e32 v182, v143, v11
	v_mul_f32_e32 v11, v144, v11
	s_waitcnt vmcnt(6)
	v_fma_f32 v142, v165, v199, -v142
	v_add_f32_e32 v151, v151, v153
	v_fmac_f32_e32 v154, v166, v199
	v_add_f32_e32 v152, v152, v175
	v_mul_f32_e32 v177, v145, v10
	v_mul_f32_e32 v10, v146, v10
	v_fma_f32 v11, v143, v198, -v11
	v_add_f32_e32 v142, v151, v142
	v_fmac_f32_e32 v182, v144, v198
	v_add_f32_e32 v143, v152, v154
	s_waitcnt lgkmcnt(2)
	v_mul_f32_e32 v178, v167, v9
	v_mul_f32_e32 v9, v168, v9
	v_fma_f32 v10, v145, v197, -v10
	v_add_f32_e32 v11, v142, v11
	v_fmac_f32_e32 v177, v146, v197
	v_add_f32_e32 v142, v143, v182
	v_mul_f32_e32 v185, v169, v7
	v_mul_f32_e32 v7, v170, v7
	v_fma_f32 v9, v167, v196, -v9
	v_add_f32_e32 v10, v11, v10
	v_fmac_f32_e32 v178, v168, v196
	v_add_f32_e32 v11, v142, v177
	s_waitcnt lgkmcnt(1)
	v_mul_f32_e32 v186, v147, v6
	v_mul_f32_e32 v6, v148, v6
	s_waitcnt vmcnt(2)
	v_fma_f32 v7, v169, v201, -v7
	v_add_f32_e32 v9, v10, v9
	v_fmac_f32_e32 v185, v170, v201
	v_add_f32_e32 v10, v11, v178
	v_mul_f32_e32 v187, v149, v2
	v_mul_f32_e32 v2, v150, v2
	v_fma_f32 v6, v147, v200, -v6
	v_add_f32_e32 v7, v9, v7
	v_fmac_f32_e32 v186, v148, v200
	v_add_f32_e32 v9, v10, v185
	s_waitcnt lgkmcnt(0)
	v_mul_f32_e32 v174, v171, v3
	v_mul_f32_e32 v3, v172, v3
	v_fma_f32 v2, v149, v12, -v2
	v_add_f32_e32 v6, v7, v6
	v_fmac_f32_e32 v187, v150, v12
	v_add_f32_e32 v7, v9, v186
	v_fma_f32 v3, v171, v8, -v3
	v_fmac_f32_e32 v174, v172, v8
	v_add_f32_e32 v2, v6, v2
	v_add_f32_e32 v6, v7, v187
	;; [unrolled: 1-line block ×4, first 2 shown]
	s_waitcnt vmcnt(1)
	v_sub_f32_e32 v2, v4, v2
	s_waitcnt vmcnt(0)
	v_sub_f32_e32 v3, v5, v3
	buffer_store_dword v2, off, s[0:3], 0 offset:288
	buffer_store_dword v3, off, s[0:3], 0 offset:292
	v_cmpx_lt_u32_e32 35, v0
	s_cbranch_execz .LBB63_327
; %bb.326:
	s_clause 0x1
	buffer_load_dword v2, off, s[0:3], 0 offset:280
	buffer_load_dword v3, off, s[0:3], 0 offset:284
	buffer_store_dword v1, off, s[0:3], 0 offset:280
	buffer_store_dword v1, off, s[0:3], 0 offset:284
	s_waitcnt vmcnt(0)
	ds_write_b64 v141, v[2:3]
.LBB63_327:
	s_or_b32 exec_lo, exec_lo, s4
	s_waitcnt lgkmcnt(0)
	s_waitcnt_vscnt null, 0x0
	s_barrier
	buffer_gl0_inv
	s_clause 0x39
	buffer_load_dword v161, off, s[0:3], 0 offset:292
	buffer_load_dword v162, off, s[0:3], 0 offset:300
	;; [unrolled: 1-line block ×58, first 2 shown]
	ds_read_b128 v[149:152], v1 offset:800
	ds_read_b128 v[153:156], v1 offset:816
	;; [unrolled: 1-line block ×3, first 2 shown]
	s_mov_b32 s4, exec_lo
	s_waitcnt vmcnt(57) lgkmcnt(2)
	v_mul_f32_e32 v201, v149, v161
	v_mul_f32_e32 v161, v150, v161
	s_waitcnt vmcnt(56)
	v_mul_f32_e32 v202, v151, v162
	v_mul_f32_e32 v162, v152, v162
	s_waitcnt vmcnt(53)
	v_fmac_f32_e32 v201, v150, v165
	v_fma_f32 v161, v149, v165, -v161
	v_fmac_f32_e32 v202, v152, v164
	v_fma_f32 v165, v151, v164, -v162
	ds_read_b128 v[149:152], v1 offset:848
	s_waitcnt vmcnt(52) lgkmcnt(2)
	v_mul_f32_e32 v203, v153, v166
	v_mul_f32_e32 v162, v154, v166
	s_waitcnt vmcnt(51)
	v_mul_f32_e32 v166, v155, v167
	v_mul_f32_e32 v164, v156, v167
	s_waitcnt vmcnt(50) lgkmcnt(1)
	v_mul_f32_e32 v204, v157, v168
	v_mul_f32_e32 v167, v158, v168
	s_waitcnt vmcnt(49)
	v_mul_f32_e32 v205, v159, v169
	v_mul_f32_e32 v168, v160, v169
	v_fmac_f32_e32 v203, v154, v163
	v_fma_f32 v169, v153, v163, -v162
	s_waitcnt vmcnt(45)
	v_fmac_f32_e32 v166, v156, v173
	v_fma_f32 v173, v155, v173, -v164
	ds_read_b128 v[153:156], v1 offset:864
	v_fmac_f32_e32 v204, v158, v172
	v_fma_f32 v172, v157, v172, -v167
	v_fmac_f32_e32 v205, v160, v171
	v_fma_f32 v206, v159, v171, -v168
	ds_read_b128 v[157:160], v1 offset:880
	v_add_f32_e32 v167, 0, v161
	s_waitcnt vmcnt(44) lgkmcnt(2)
	v_mul_f32_e32 v207, v149, v174
	v_mul_f32_e32 v162, v150, v174
	s_waitcnt vmcnt(43)
	v_mul_f32_e32 v174, v151, v175
	v_mul_f32_e32 v163, v152, v175
	v_add_f32_e32 v168, 0, v201
	v_add_f32_e32 v165, v167, v165
	v_fmac_f32_e32 v207, v150, v170
	v_fma_f32 v175, v149, v170, -v162
	s_waitcnt vmcnt(39)
	v_fmac_f32_e32 v174, v152, v179
	v_fma_f32 v179, v151, v179, -v163
	ds_read_b128 v[149:152], v1 offset:896
	ds_read_b128 v[161:164], v1 offset:912
	v_add_f32_e32 v168, v168, v202
	v_add_f32_e32 v165, v165, v169
	s_waitcnt vmcnt(38) lgkmcnt(3)
	v_mul_f32_e32 v201, v153, v180
	v_mul_f32_e32 v167, v154, v180
	s_waitcnt vmcnt(37)
	v_mul_f32_e32 v180, v155, v181
	v_mul_f32_e32 v170, v156, v181
	v_add_f32_e32 v168, v168, v203
	s_waitcnt vmcnt(36) lgkmcnt(2)
	v_mul_f32_e32 v181, v157, v182
	v_mul_f32_e32 v169, v158, v182
	v_fmac_f32_e32 v180, v156, v177
	v_fma_f32 v177, v155, v177, -v170
	v_add_f32_e32 v170, v165, v173
	v_add_f32_e32 v171, v168, v166
	s_waitcnt vmcnt(35)
	v_mul_f32_e32 v173, v160, v183
	v_mul_f32_e32 v202, v159, v183
	v_fmac_f32_e32 v181, v158, v176
	v_fma_f32 v182, v157, v176, -v169
	v_add_f32_e32 v176, v170, v172
	s_waitcnt vmcnt(31)
	v_fma_f32 v183, v159, v186, -v173
	v_add_f32_e32 v173, v171, v204
	v_fmac_f32_e32 v202, v160, v186
	s_waitcnt vmcnt(30) lgkmcnt(1)
	v_mul_f32_e32 v186, v149, v187
	v_add_f32_e32 v176, v176, v206
	v_mul_f32_e32 v187, v150, v187
	v_add_f32_e32 v173, v173, v205
	v_fmac_f32_e32 v201, v154, v178
	v_fmac_f32_e32 v186, v150, v185
	v_add_f32_e32 v150, v176, v175
	v_fma_f32 v178, v153, v178, -v167
	v_add_f32_e32 v173, v173, v207
	v_fma_f32 v185, v149, v185, -v187
	ds_read_b128 v[153:156], v1 offset:928
	ds_read_b128 v[165:168], v1 offset:944
	v_add_f32_e32 v179, v150, v179
	s_waitcnt vmcnt(29)
	v_mul_f32_e32 v203, v151, v188
	v_add_f32_e32 v187, v173, v174
	v_mul_f32_e32 v188, v152, v188
	ds_read_b128 v[157:160], v1 offset:960
	ds_read_b128 v[169:172], v1 offset:976
	v_add_f32_e32 v178, v179, v178
	v_fmac_f32_e32 v203, v152, v184
	v_add_f32_e32 v187, v187, v201
	v_fma_f32 v184, v151, v184, -v188
	ds_read_b128 v[149:152], v1 offset:992
	ds_read_b128 v[173:176], v1 offset:1008
	v_add_f32_e32 v177, v178, v177
	s_waitcnt vmcnt(28) lgkmcnt(6)
	v_mul_f32_e32 v1, v161, v189
	v_add_f32_e32 v180, v187, v180
	v_mul_f32_e32 v179, v162, v189
	s_waitcnt vmcnt(27)
	v_mul_f32_e32 v189, v164, v190
	v_add_f32_e32 v177, v177, v182
	v_fmac_f32_e32 v1, v162, v12
	v_add_f32_e32 v180, v180, v181
	v_fma_f32 v12, v161, v12, -v179
	v_mul_f32_e32 v188, v163, v190
	v_add_f32_e32 v177, v177, v183
	s_waitcnt vmcnt(26) lgkmcnt(5)
	v_mul_f32_e32 v178, v153, v147
	v_add_f32_e32 v180, v180, v202
	v_mul_f32_e32 v147, v154, v147
	s_waitcnt vmcnt(11)
	v_fma_f32 v163, v163, v194, -v189
	v_add_f32_e32 v177, v177, v185
	v_fmac_f32_e32 v188, v164, v194
	v_add_f32_e32 v180, v180, v186
	v_mul_f32_e32 v187, v155, v146
	v_mul_f32_e32 v146, v156, v146
	v_add_f32_e32 v162, v177, v184
	v_fma_f32 v147, v153, v193, -v147
	v_add_f32_e32 v177, v180, v203
	v_fmac_f32_e32 v178, v154, v193
	s_waitcnt lgkmcnt(4)
	v_mul_f32_e32 v190, v165, v145
	v_add_f32_e32 v12, v162, v12
	v_mul_f32_e32 v145, v166, v145
	v_add_f32_e32 v1, v177, v1
	v_fma_f32 v146, v155, v192, -v146
	v_fmac_f32_e32 v187, v156, v192
	v_add_f32_e32 v12, v12, v163
	v_mul_f32_e32 v182, v167, v144
	v_add_f32_e32 v1, v1, v188
	v_mul_f32_e32 v144, v168, v144
	v_fma_f32 v145, v165, v191, -v145
	v_add_f32_e32 v12, v12, v147
	v_fmac_f32_e32 v190, v166, v191
	v_add_f32_e32 v1, v1, v178
	s_waitcnt lgkmcnt(3)
	v_mul_f32_e32 v181, v157, v142
	v_mul_f32_e32 v142, v158, v142
	v_add_f32_e32 v12, v12, v146
	s_waitcnt vmcnt(7)
	v_fma_f32 v144, v167, v198, -v144
	v_add_f32_e32 v1, v1, v187
	v_fmac_f32_e32 v182, v168, v198
	v_mul_f32_e32 v201, v159, v11
	v_add_f32_e32 v12, v12, v145
	v_mul_f32_e32 v11, v160, v11
	v_add_f32_e32 v1, v1, v190
	v_fma_f32 v142, v157, v197, -v142
	v_fmac_f32_e32 v181, v158, v197
	v_add_f32_e32 v12, v12, v144
	s_waitcnt lgkmcnt(2)
	v_mul_f32_e32 v183, v169, v10
	v_add_f32_e32 v1, v1, v182
	v_mul_f32_e32 v10, v170, v10
	v_fma_f32 v11, v159, v196, -v11
	v_add_f32_e32 v12, v12, v142
	v_fmac_f32_e32 v201, v160, v196
	v_add_f32_e32 v1, v1, v181
	v_mul_f32_e32 v202, v171, v8
	v_mul_f32_e32 v8, v172, v8
	v_fma_f32 v10, v169, v195, -v10
	v_add_f32_e32 v11, v12, v11
	v_fmac_f32_e32 v183, v170, v195
	v_add_f32_e32 v1, v1, v201
	s_waitcnt lgkmcnt(1)
	v_mul_f32_e32 v204, v149, v7
	v_mul_f32_e32 v7, v150, v7
	s_waitcnt vmcnt(3)
	v_fma_f32 v8, v171, v200, -v8
	v_add_f32_e32 v10, v11, v10
	v_fmac_f32_e32 v202, v172, v200
	v_add_f32_e32 v1, v1, v183
	v_mul_f32_e32 v185, v151, v6
	v_mul_f32_e32 v6, v152, v6
	v_fma_f32 v7, v149, v199, -v7
	v_add_f32_e32 v8, v10, v8
	v_fmac_f32_e32 v204, v150, v199
	v_add_f32_e32 v1, v1, v202
	s_waitcnt lgkmcnt(0)
	v_mul_f32_e32 v186, v173, v5
	v_mul_f32_e32 v5, v174, v5
	v_fma_f32 v6, v151, v148, -v6
	v_add_f32_e32 v7, v8, v7
	v_fmac_f32_e32 v185, v152, v148
	v_add_f32_e32 v1, v1, v204
	v_mul_f32_e32 v161, v175, v2
	v_mul_f32_e32 v2, v176, v2
	v_fma_f32 v5, v173, v143, -v5
	v_add_f32_e32 v6, v7, v6
	v_fmac_f32_e32 v186, v174, v143
	v_add_f32_e32 v1, v1, v185
	s_waitcnt vmcnt(2)
	v_fma_f32 v2, v175, v9, -v2
	v_fmac_f32_e32 v161, v176, v9
	v_add_f32_e32 v5, v6, v5
	v_add_f32_e32 v1, v1, v186
	;; [unrolled: 1-line block ×4, first 2 shown]
	s_waitcnt vmcnt(1)
	v_sub_f32_e32 v2, v3, v2
	s_waitcnt vmcnt(0)
	v_sub_f32_e32 v1, v4, v1
	buffer_store_dword v2, off, s[0:3], 0 offset:280
	buffer_store_dword v1, off, s[0:3], 0 offset:284
	v_cmpx_lt_u32_e32 34, v0
	s_cbranch_execz .LBB63_329
; %bb.328:
	s_clause 0x1
	buffer_load_dword v1, off, s[0:3], 0 offset:272
	buffer_load_dword v2, off, s[0:3], 0 offset:276
	v_mov_b32_e32 v3, 0
	buffer_store_dword v3, off, s[0:3], 0 offset:272
	buffer_store_dword v3, off, s[0:3], 0 offset:276
	s_waitcnt vmcnt(0)
	ds_write_b64 v141, v[1:2]
.LBB63_329:
	s_or_b32 exec_lo, exec_lo, s4
	s_waitcnt lgkmcnt(0)
	s_waitcnt_vscnt null, 0x0
	s_barrier
	buffer_gl0_inv
	s_clause 0x3b
	buffer_load_dword v173, off, s[0:3], 0 offset:284
	buffer_load_dword v174, off, s[0:3], 0 offset:292
	;; [unrolled: 1-line block ×60, first 2 shown]
	v_mov_b32_e32 v1, 0
	ds_read2_b64 v[161:164], v1 offset0:99 offset1:100
	ds_read2_b64 v[165:168], v1 offset0:101 offset1:102
	;; [unrolled: 1-line block ×3, first 2 shown]
	s_mov_b32 s4, exec_lo
	s_waitcnt vmcnt(59) lgkmcnt(2)
	v_mul_f32_e32 v203, v161, v173
	s_waitcnt vmcnt(58)
	v_mul_f32_e32 v204, v163, v174
	v_mul_f32_e32 v173, v162, v173
	;; [unrolled: 1-line block ×3, first 2 shown]
	s_waitcnt vmcnt(55)
	v_fmac_f32_e32 v203, v162, v176
	v_fmac_f32_e32 v204, v164, v175
	v_fma_f32 v173, v161, v176, -v173
	v_fma_f32 v174, v163, v175, -v174
	ds_read2_b64 v[161:164], v1 offset0:105 offset1:106
	s_waitcnt vmcnt(54) lgkmcnt(2)
	v_mul_f32_e32 v205, v165, v157
	v_mul_f32_e32 v157, v166, v157
	s_waitcnt vmcnt(53)
	v_mul_f32_e32 v206, v167, v156
	v_mul_f32_e32 v156, v168, v156
	s_waitcnt vmcnt(47) lgkmcnt(1)
	v_mul_f32_e32 v175, v172, v180
	v_fmac_f32_e32 v205, v166, v152
	v_fma_f32 v152, v165, v152, -v157
	v_fmac_f32_e32 v206, v168, v179
	v_fma_f32 v156, v167, v179, -v156
	ds_read2_b64 v[165:168], v1 offset0:107 offset1:108
	v_mul_f32_e32 v207, v171, v180
	v_mul_f32_e32 v157, v169, v154
	;; [unrolled: 1-line block ×3, first 2 shown]
	v_fma_f32 v208, v171, v177, -v175
	v_fmac_f32_e32 v207, v172, v177
	v_add_f32_e32 v177, 0, v203
	v_fmac_f32_e32 v157, v170, v178
	v_fma_f32 v154, v169, v178, -v154
	s_waitcnt vmcnt(46) lgkmcnt(1)
	v_mul_f32_e32 v209, v161, v181
	v_mul_f32_e32 v175, v162, v181
	ds_read2_b64 v[169:172], v1 offset0:109 offset1:110
	v_add_f32_e32 v177, v177, v204
	s_waitcnt vmcnt(45)
	v_mul_f32_e32 v210, v163, v182
	v_fmac_f32_e32 v209, v162, v159
	v_add_f32_e32 v162, 0, v173
	v_mul_f32_e32 v176, v164, v182
	v_add_f32_e32 v177, v177, v205
	s_waitcnt vmcnt(41)
	v_fmac_f32_e32 v210, v164, v185
	v_fma_f32 v159, v161, v159, -v175
	v_add_f32_e32 v178, v162, v174
	v_fma_f32 v185, v163, v185, -v176
	v_add_f32_e32 v177, v177, v206
	ds_read2_b64 v[161:164], v1 offset0:111 offset1:112
	ds_read2_b64 v[173:176], v1 offset0:113 offset1:114
	s_waitcnt vmcnt(40) lgkmcnt(3)
	v_mul_f32_e32 v203, v165, v186
	v_add_f32_e32 v152, v178, v152
	v_mul_f32_e32 v178, v166, v186
	v_add_f32_e32 v157, v177, v157
	s_waitcnt vmcnt(39)
	v_mul_f32_e32 v179, v168, v187
	v_mul_f32_e32 v204, v167, v187
	v_add_f32_e32 v152, v152, v156
	s_waitcnt vmcnt(37) lgkmcnt(2)
	v_mul_f32_e32 v156, v171, v153
	v_mul_f32_e32 v153, v172, v153
	v_fma_f32 v186, v165, v184, -v178
	v_fmac_f32_e32 v203, v166, v184
	v_add_f32_e32 v152, v152, v154
	v_add_f32_e32 v154, v157, v207
	s_waitcnt vmcnt(33)
	v_fma_f32 v157, v171, v191, -v153
	v_mul_f32_e32 v205, v169, v188
	v_mul_f32_e32 v181, v170, v188
	v_add_f32_e32 v152, v152, v208
	v_add_f32_e32 v153, v154, v209
	v_fma_f32 v206, v167, v183, -v179
	s_waitcnt vmcnt(32) lgkmcnt(1)
	v_mul_f32_e32 v154, v161, v192
	v_mul_f32_e32 v187, v162, v192
	v_add_f32_e32 v152, v152, v159
	v_add_f32_e32 v153, v153, v210
	v_fmac_f32_e32 v204, v168, v183
	v_fmac_f32_e32 v156, v172, v191
	;; [unrolled: 1-line block ×3, first 2 shown]
	v_add_f32_e32 v152, v152, v185
	v_add_f32_e32 v191, v153, v203
	v_fma_f32 v149, v169, v149, -v181
	ds_read2_b64 v[165:168], v1 offset0:115 offset1:116
	ds_read2_b64 v[177:180], v1 offset0:117 offset1:118
	s_waitcnt vmcnt(31)
	v_mul_f32_e32 v159, v163, v193
	v_add_f32_e32 v192, v152, v186
	v_add_f32_e32 v191, v191, v204
	v_mul_f32_e32 v188, v164, v193
	v_fmac_f32_e32 v154, v162, v190
	v_fma_f32 v190, v161, v190, -v187
	v_add_f32_e32 v192, v192, v206
	v_add_f32_e32 v191, v191, v205
	v_fmac_f32_e32 v159, v164, v189
	v_fma_f32 v189, v163, v189, -v188
	s_waitcnt vmcnt(30) lgkmcnt(2)
	v_mul_f32_e32 v193, v173, v147
	v_add_f32_e32 v149, v192, v149
	v_add_f32_e32 v156, v191, v156
	v_mul_f32_e32 v147, v174, v147
	s_waitcnt vmcnt(29)
	v_mul_f32_e32 v203, v175, v148
	v_mul_f32_e32 v148, v176, v148
	v_add_f32_e32 v149, v149, v157
	v_add_f32_e32 v154, v156, v154
	v_fmac_f32_e32 v193, v174, v143
	v_fma_f32 v143, v173, v143, -v147
	s_waitcnt vmcnt(28) lgkmcnt(1)
	v_mul_f32_e32 v204, v165, v144
	v_add_f32_e32 v149, v149, v190
	v_add_f32_e32 v154, v154, v159
	v_mul_f32_e32 v144, v166, v144
	s_waitcnt vmcnt(20)
	v_fma_f32 v148, v175, v197, -v148
	ds_read2_b64 v[169:172], v1 offset0:119 offset1:120
	ds_read2_b64 v[181:184], v1 offset0:121 offset1:122
	v_add_f32_e32 v149, v149, v189
	v_fmac_f32_e32 v203, v176, v197
	v_mul_f32_e32 v192, v167, v10
	v_mul_f32_e32 v10, v168, v10
	v_fma_f32 v144, v165, v196, -v144
	v_add_f32_e32 v143, v149, v143
	v_add_f32_e32 v149, v154, v193
	v_fmac_f32_e32 v204, v166, v196
	s_waitcnt lgkmcnt(2)
	v_mul_f32_e32 v147, v177, v8
	v_mul_f32_e32 v8, v178, v8
	v_add_f32_e32 v143, v143, v148
	v_add_f32_e32 v148, v149, v203
	v_fma_f32 v10, v167, v195, -v10
	v_fmac_f32_e32 v192, v168, v195
	v_mul_f32_e32 v173, v179, v6
	v_add_f32_e32 v143, v143, v144
	v_add_f32_e32 v144, v148, v204
	v_mul_f32_e32 v6, v180, v6
	v_fma_f32 v8, v177, v194, -v8
	v_fmac_f32_e32 v147, v178, v194
	v_add_f32_e32 v10, v143, v10
	v_add_f32_e32 v143, v144, v192
	s_waitcnt lgkmcnt(1)
	v_mul_f32_e32 v157, v169, v5
	v_mul_f32_e32 v5, v170, v5
	s_waitcnt vmcnt(8)
	v_fma_f32 v6, v179, v202, -v6
	v_add_f32_e32 v8, v10, v8
	v_fmac_f32_e32 v173, v180, v202
	v_add_f32_e32 v10, v143, v147
	ds_read2_b64 v[161:164], v1 offset0:123 offset1:124
	ds_read2_b64 v[185:188], v1 offset0:125 offset1:126
	ds_read_b64 v[152:153], v1 offset:1016
	v_mul_f32_e32 v143, v172, v198
	v_fma_f32 v5, v169, v201, -v5
	v_add_f32_e32 v6, v8, v6
	v_mul_f32_e32 v174, v171, v198
	v_fmac_f32_e32 v157, v170, v201
	v_add_f32_e32 v8, v10, v173
	s_waitcnt lgkmcnt(3)
	v_mul_f32_e32 v10, v182, v199
	v_fma_f32 v143, v171, v200, -v143
	v_add_f32_e32 v5, v6, v5
	v_mul_f32_e32 v175, v181, v199
	v_fmac_f32_e32 v174, v172, v200
	v_add_f32_e32 v6, v8, v157
	v_mul_f32_e32 v8, v184, v155
	v_fma_f32 v10, v181, v160, -v10
	v_add_f32_e32 v5, v5, v143
	v_mul_f32_e32 v156, v183, v155
	v_fmac_f32_e32 v175, v182, v160
	v_add_f32_e32 v6, v6, v174
	s_waitcnt lgkmcnt(2)
	v_mul_f32_e32 v143, v162, v150
	s_waitcnt vmcnt(4)
	v_fma_f32 v8, v183, v158, -v8
	v_add_f32_e32 v5, v5, v10
	v_mul_f32_e32 v176, v161, v150
	v_fmac_f32_e32 v156, v184, v158
	v_add_f32_e32 v6, v6, v175
	v_mul_f32_e32 v10, v164, v146
	v_fma_f32 v143, v161, v151, -v143
	v_add_f32_e32 v5, v5, v8
	v_mul_f32_e32 v190, v163, v146
	v_fmac_f32_e32 v176, v162, v151
	v_add_f32_e32 v6, v6, v156
	s_waitcnt lgkmcnt(1)
	v_mul_f32_e32 v8, v186, v142
	v_fma_f32 v10, v163, v145, -v10
	v_add_f32_e32 v5, v5, v143
	v_mul_f32_e32 v159, v185, v142
	v_fmac_f32_e32 v190, v164, v145
	v_add_f32_e32 v6, v6, v176
	v_mul_f32_e32 v189, v187, v9
	v_mul_f32_e32 v9, v188, v9
	v_fma_f32 v8, v185, v12, -v8
	v_add_f32_e32 v5, v5, v10
	v_fmac_f32_e32 v159, v186, v12
	v_add_f32_e32 v6, v6, v190
	s_waitcnt lgkmcnt(0)
	v_mul_f32_e32 v154, v152, v4
	v_mul_f32_e32 v4, v153, v4
	s_waitcnt vmcnt(2)
	v_fma_f32 v9, v187, v11, -v9
	v_add_f32_e32 v5, v5, v8
	v_fmac_f32_e32 v189, v188, v11
	v_add_f32_e32 v6, v6, v159
	v_fma_f32 v4, v152, v7, -v4
	v_fmac_f32_e32 v154, v153, v7
	v_add_f32_e32 v5, v5, v9
	v_add_f32_e32 v6, v6, v189
	;; [unrolled: 1-line block ×4, first 2 shown]
	s_waitcnt vmcnt(1)
	v_sub_f32_e32 v2, v2, v4
	s_waitcnt vmcnt(0)
	v_sub_f32_e32 v3, v3, v5
	buffer_store_dword v2, off, s[0:3], 0 offset:272
	buffer_store_dword v3, off, s[0:3], 0 offset:276
	v_cmpx_lt_u32_e32 33, v0
	s_cbranch_execz .LBB63_331
; %bb.330:
	s_clause 0x1
	buffer_load_dword v2, off, s[0:3], 0 offset:264
	buffer_load_dword v3, off, s[0:3], 0 offset:268
	buffer_store_dword v1, off, s[0:3], 0 offset:264
	buffer_store_dword v1, off, s[0:3], 0 offset:268
	s_waitcnt vmcnt(0)
	ds_write_b64 v141, v[2:3]
.LBB63_331:
	s_or_b32 exec_lo, exec_lo, s4
	s_waitcnt lgkmcnt(0)
	s_waitcnt_vscnt null, 0x0
	s_barrier
	buffer_gl0_inv
	s_clause 0x3d
	buffer_load_dword v171, off, s[0:3], 0 offset:276
	buffer_load_dword v172, off, s[0:3], 0 offset:284
	;; [unrolled: 1-line block ×62, first 2 shown]
	ds_read_b128 v[163:166], v1 offset:784
	ds_read_b128 v[167:170], v1 offset:800
	s_mov_b32 s4, exec_lo
	s_waitcnt vmcnt(61) lgkmcnt(1)
	v_mul_f32_e32 v182, v163, v171
	s_waitcnt vmcnt(60)
	v_mul_f32_e32 v202, v165, v172
	v_mul_f32_e32 v171, v164, v171
	;; [unrolled: 1-line block ×3, first 2 shown]
	s_waitcnt vmcnt(57)
	v_fmac_f32_e32 v182, v164, v174
	v_fmac_f32_e32 v202, v166, v173
	v_fma_f32 v171, v163, v174, -v171
	v_fma_f32 v203, v165, v173, -v172
	ds_read_b128 v[163:166], v1 offset:816
	s_waitcnt vmcnt(56) lgkmcnt(1)
	v_mul_f32_e32 v204, v167, v175
	v_mul_f32_e32 v172, v168, v175
	s_waitcnt vmcnt(55)
	v_mul_f32_e32 v205, v169, v176
	v_mul_f32_e32 v173, v170, v176
	v_fmac_f32_e32 v204, v168, v160
	v_fma_f32 v160, v167, v160, -v172
	s_waitcnt vmcnt(51)
	v_fmac_f32_e32 v205, v170, v177
	v_fma_f32 v206, v169, v177, -v173
	ds_read_b128 v[167:170], v1 offset:832
	s_waitcnt vmcnt(49) lgkmcnt(1)
	v_mul_f32_e32 v208, v165, v155
	v_mul_f32_e32 v155, v166, v155
	;; [unrolled: 1-line block ×4, first 2 shown]
	v_fmac_f32_e32 v208, v166, v150
	v_fma_f32 v150, v165, v150, -v155
	v_fmac_f32_e32 v207, v164, v151
	v_fma_f32 v151, v163, v151, -v156
	ds_read_b128 v[163:166], v1 offset:848
	s_waitcnt vmcnt(48) lgkmcnt(1)
	v_mul_f32_e32 v209, v167, v11
	v_mul_f32_e32 v11, v168, v11
	s_waitcnt vmcnt(47)
	v_mul_f32_e32 v210, v169, v178
	v_mul_f32_e32 v155, v170, v178
	v_add_f32_e32 v156, 0, v182
	v_fmac_f32_e32 v209, v168, v7
	v_fma_f32 v7, v167, v7, -v11
	s_waitcnt vmcnt(43)
	v_fmac_f32_e32 v210, v170, v179
	v_fma_f32 v11, v169, v179, -v155
	ds_read_b128 v[167:170], v1 offset:864
	v_add_f32_e32 v155, 0, v171
	v_add_f32_e32 v156, v156, v202
	ds_read_b128 v[171:174], v1 offset:880
	ds_read_b128 v[175:178], v1 offset:896
	v_add_f32_e32 v155, v155, v203
	v_add_f32_e32 v156, v156, v204
	s_waitcnt vmcnt(42) lgkmcnt(3)
	v_mul_f32_e32 v203, v163, v162
	v_add_f32_e32 v155, v155, v160
	v_add_f32_e32 v156, v156, v205
	v_mul_f32_e32 v162, v164, v162
	s_waitcnt vmcnt(41)
	v_mul_f32_e32 v202, v165, v154
	v_mul_f32_e32 v154, v166, v154
	v_add_f32_e32 v155, v155, v206
	v_fmac_f32_e32 v203, v164, v157
	v_fma_f32 v160, v163, v157, -v162
	v_fmac_f32_e32 v202, v166, v9
	s_waitcnt vmcnt(40) lgkmcnt(2)
	v_mul_f32_e32 v204, v167, v152
	v_mul_f32_e32 v152, v168, v152
	v_add_f32_e32 v151, v155, v151
	v_add_f32_e32 v155, v156, v207
	s_waitcnt vmcnt(39)
	v_mul_f32_e32 v205, v169, v158
	v_fmac_f32_e32 v204, v168, v8
	v_fma_f32 v152, v167, v8, -v152
	v_add_f32_e32 v8, v151, v150
	v_add_f32_e32 v150, v155, v208
	v_mul_f32_e32 v158, v170, v158
	s_waitcnt vmcnt(38) lgkmcnt(1)
	v_mul_f32_e32 v206, v171, v146
	v_mul_f32_e32 v146, v172, v146
	v_add_f32_e32 v7, v8, v7
	v_add_f32_e32 v8, v150, v209
	v_fma_f32 v9, v165, v9, -v154
	s_waitcnt vmcnt(32) lgkmcnt(0)
	v_mul_f32_e32 v150, v175, v144
	v_mul_f32_e32 v144, v176, v144
	v_add_f32_e32 v7, v7, v11
	v_add_f32_e32 v8, v8, v210
	v_mul_f32_e32 v11, v173, v147
	v_fmac_f32_e32 v205, v170, v181
	v_fma_f32 v151, v169, v181, -v158
	v_add_f32_e32 v7, v7, v160
	v_fma_f32 v158, v171, v180, -v146
	s_waitcnt vmcnt(31)
	v_mul_f32_e32 v170, v178, v145
	v_add_f32_e32 v171, v8, v203
	v_mul_f32_e32 v146, v174, v147
	v_fmac_f32_e32 v11, v174, v12
	v_fma_f32 v174, v175, v10, -v144
	v_add_f32_e32 v175, v7, v9
	v_mul_f32_e32 v160, v177, v145
	v_fmac_f32_e32 v150, v176, v10
	s_waitcnt vmcnt(27)
	v_fma_f32 v176, v177, v186, -v170
	v_add_f32_e32 v177, v171, v202
	v_add_f32_e32 v152, v175, v152
	ds_read_b128 v[154:157], v1 offset:912
	ds_read_b128 v[162:165], v1 offset:928
	v_fmac_f32_e32 v206, v172, v180
	v_fma_f32 v12, v173, v12, -v146
	v_add_f32_e32 v177, v177, v204
	v_add_f32_e32 v151, v152, v151
	ds_read_b128 v[166:169], v1 offset:944
	ds_read_b128 v[179:182], v1 offset:960
	;; [unrolled: 1-line block ×4, first 2 shown]
	v_fmac_f32_e32 v160, v178, v186
	v_add_f32_e32 v177, v177, v205
	v_add_f32_e32 v151, v151, v158
	ds_read_b128 v[170:173], v1 offset:1008
	v_add_f32_e32 v177, v177, v206
	v_add_f32_e32 v12, v151, v12
	;; [unrolled: 1-line block ×3, first 2 shown]
	s_waitcnt vmcnt(26) lgkmcnt(6)
	v_mul_f32_e32 v175, v155, v187
	v_add_f32_e32 v12, v12, v174
	v_mul_f32_e32 v1, v154, v187
	s_waitcnt vmcnt(25)
	v_mul_f32_e32 v186, v157, v188
	v_add_f32_e32 v11, v11, v150
	v_fma_f32 v154, v154, v185, -v175
	v_add_f32_e32 v12, v12, v176
	v_mul_f32_e32 v178, v156, v188
	v_fmac_f32_e32 v1, v155, v185
	v_add_f32_e32 v11, v11, v160
	s_waitcnt vmcnt(24) lgkmcnt(5)
	v_mul_f32_e32 v160, v163, v189
	v_fma_f32 v156, v156, v184, -v186
	v_add_f32_e32 v12, v12, v154
	v_mul_f32_e32 v152, v162, v189
	v_fmac_f32_e32 v178, v157, v184
	v_add_f32_e32 v1, v11, v1
	s_waitcnt vmcnt(23)
	v_mul_f32_e32 v11, v165, v190
	v_fma_f32 v154, v162, v183, -v160
	v_add_f32_e32 v12, v12, v156
	v_mul_f32_e32 v187, v164, v190
	v_fmac_f32_e32 v152, v163, v183
	v_add_f32_e32 v1, v1, v178
	s_waitcnt vmcnt(22) lgkmcnt(4)
	v_mul_f32_e32 v156, v167, v191
	s_waitcnt vmcnt(9)
	v_fma_f32 v11, v164, v196, -v11
	v_add_f32_e32 v12, v12, v154
	v_mul_f32_e32 v188, v166, v191
	v_fmac_f32_e32 v187, v165, v196
	v_add_f32_e32 v1, v1, v152
	v_mul_f32_e32 v152, v169, v192
	v_fma_f32 v154, v166, v195, -v156
	v_add_f32_e32 v11, v12, v11
	v_mul_f32_e32 v158, v168, v192
	v_fmac_f32_e32 v188, v167, v195
	v_add_f32_e32 v1, v1, v187
	s_waitcnt lgkmcnt(3)
	v_mul_f32_e32 v12, v180, v193
	v_fma_f32 v152, v168, v194, -v152
	v_add_f32_e32 v11, v11, v154
	v_mul_f32_e32 v202, v179, v193
	v_fmac_f32_e32 v158, v169, v194
	v_add_f32_e32 v1, v1, v188
	v_mul_f32_e32 v203, v181, v153
	v_mul_f32_e32 v153, v182, v153
	v_fma_f32 v12, v179, v161, -v12
	v_add_f32_e32 v11, v11, v152
	v_fmac_f32_e32 v202, v180, v161
	v_add_f32_e32 v1, v1, v158
	s_waitcnt lgkmcnt(2)
	v_mul_f32_e32 v151, v7, v148
	v_mul_f32_e32 v148, v8, v148
	s_waitcnt vmcnt(5)
	v_fma_f32 v152, v181, v159, -v153
	v_add_f32_e32 v11, v11, v12
	v_fmac_f32_e32 v203, v182, v159
	v_add_f32_e32 v1, v1, v202
	v_mul_f32_e32 v12, v10, v142
	v_fmac_f32_e32 v151, v8, v149
	v_fma_f32 v7, v7, v149, -v148
	v_add_f32_e32 v8, v11, v152
	v_mul_f32_e32 v177, v9, v142
	v_add_f32_e32 v1, v1, v203
	s_waitcnt lgkmcnt(1)
	v_mul_f32_e32 v204, v144, v6
	v_mul_f32_e32 v6, v145, v6
	v_fma_f32 v9, v9, v143, -v12
	v_add_f32_e32 v7, v8, v7
	v_fmac_f32_e32 v177, v10, v143
	v_add_f32_e32 v1, v1, v151
	v_mul_f32_e32 v174, v146, v4
	v_mul_f32_e32 v4, v147, v4
	v_fmac_f32_e32 v204, v145, v5
	v_fma_f32 v5, v144, v5, -v6
	v_add_f32_e32 v6, v7, v9
	v_add_f32_e32 v1, v1, v177
	s_waitcnt lgkmcnt(0)
	v_mul_f32_e32 v150, v170, v3
	v_mul_f32_e32 v3, v171, v3
	s_waitcnt vmcnt(2)
	v_fma_f32 v4, v146, v199, -v4
	v_add_f32_e32 v5, v6, v5
	v_fmac_f32_e32 v174, v147, v199
	v_add_f32_e32 v1, v1, v204
	v_mul_f32_e32 v155, v172, v2
	v_mul_f32_e32 v2, v173, v2
	v_fma_f32 v3, v170, v198, -v3
	v_add_f32_e32 v4, v5, v4
	v_fmac_f32_e32 v150, v171, v198
	v_add_f32_e32 v1, v1, v174
	v_fma_f32 v2, v172, v197, -v2
	v_fmac_f32_e32 v155, v173, v197
	v_add_f32_e32 v3, v4, v3
	v_add_f32_e32 v1, v1, v150
	;; [unrolled: 1-line block ×4, first 2 shown]
	s_waitcnt vmcnt(1)
	v_sub_f32_e32 v2, v200, v2
	s_waitcnt vmcnt(0)
	v_sub_f32_e32 v1, v201, v1
	buffer_store_dword v2, off, s[0:3], 0 offset:264
	buffer_store_dword v1, off, s[0:3], 0 offset:268
	v_cmpx_lt_u32_e32 32, v0
	s_cbranch_execz .LBB63_333
; %bb.332:
	s_clause 0x1
	buffer_load_dword v1, off, s[0:3], 0 offset:256
	buffer_load_dword v2, off, s[0:3], 0 offset:260
	v_mov_b32_e32 v3, 0
	buffer_store_dword v3, off, s[0:3], 0 offset:256
	buffer_store_dword v3, off, s[0:3], 0 offset:260
	s_waitcnt vmcnt(0)
	ds_write_b64 v141, v[1:2]
.LBB63_333:
	s_or_b32 exec_lo, exec_lo, s4
	s_waitcnt lgkmcnt(0)
	s_waitcnt_vscnt null, 0x0
	s_barrier
	buffer_gl0_inv
	s_clause 0x3e
	buffer_load_dword v10, off, s[0:3], 0 offset:268
	buffer_load_dword v11, off, s[0:3], 0 offset:276
	;; [unrolled: 1-line block ×64, first 2 shown]
	v_mov_b32_e32 v1, 0
	ds_read2_b64 v[2:5], v1 offset0:97 offset1:98
	ds_read2_b64 v[6:9], v1 offset0:99 offset1:100
	s_mov_b32 s4, exec_lo
	s_waitcnt vmcnt(62) lgkmcnt(1)
	v_mul_f32_e32 v203, v3, v10
	v_mul_f32_e32 v10, v2, v10
	;; [unrolled: 1-line block ×4, first 2 shown]
	s_waitcnt vmcnt(59)
	v_fma_f32 v203, v2, v143, -v203
	v_fmac_f32_e32 v10, v3, v143
	v_fmac_f32_e32 v204, v5, v142
	v_fma_f32 v11, v4, v142, -v11
	ds_read2_b64 v[2:5], v1 offset0:101 offset1:102
	s_waitcnt vmcnt(58) lgkmcnt(1)
	v_mul_f32_e32 v205, v6, v144
	v_mul_f32_e32 v142, v7, v144
	s_waitcnt vmcnt(57)
	v_mul_f32_e32 v206, v8, v145
	v_mul_f32_e32 v143, v9, v145
	v_add_f32_e32 v10, 0, v10
	v_fmac_f32_e32 v205, v7, v12
	v_fma_f32 v12, v6, v12, -v142
	s_waitcnt vmcnt(53)
	v_fmac_f32_e32 v206, v9, v149
	v_fma_f32 v149, v8, v149, -v143
	ds_read2_b64 v[6:9], v1 offset0:103 offset1:104
	v_add_f32_e32 v10, v10, v204
	v_add_f32_e32 v10, v10, v205
	s_waitcnt vmcnt(52) lgkmcnt(1)
	v_mul_f32_e32 v207, v2, v150
	v_mul_f32_e32 v142, v3, v150
	s_waitcnt vmcnt(51)
	v_mul_f32_e32 v150, v4, v151
	v_mul_f32_e32 v143, v5, v151
	v_fmac_f32_e32 v207, v3, v148
	v_fma_f32 v151, v2, v148, -v142
	v_fmac_f32_e32 v150, v5, v147
	v_fma_f32 v208, v4, v147, -v143
	ds_read2_b64 v[2:5], v1 offset0:105 offset1:106
	s_waitcnt vmcnt(50) lgkmcnt(1)
	v_mul_f32_e32 v142, v7, v152
	v_mul_f32_e32 v209, v6, v152
	s_waitcnt vmcnt(49)
	v_mul_f32_e32 v210, v8, v153
	v_mul_f32_e32 v143, v9, v153
	v_fma_f32 v152, v6, v146, -v142
	v_add_f32_e32 v142, 0, v203
	v_fmac_f32_e32 v209, v7, v146
	s_waitcnt vmcnt(45)
	v_fmac_f32_e32 v210, v9, v157
	v_fma_f32 v157, v8, v157, -v143
	ds_read2_b64 v[6:9], v1 offset0:107 offset1:108
	v_add_f32_e32 v11, v142, v11
	ds_read2_b64 v[142:145], v1 offset0:109 offset1:110
	v_add_f32_e32 v11, v11, v12
	s_waitcnt vmcnt(44) lgkmcnt(2)
	v_mul_f32_e32 v146, v3, v158
	v_mul_f32_e32 v12, v2, v158
	v_add_f32_e32 v11, v11, v149
	v_fma_f32 v158, v2, v156, -v146
	v_add_f32_e32 v2, v10, v206
	v_fmac_f32_e32 v12, v3, v156
	v_add_f32_e32 v3, v11, v151
	ds_read2_b64 v[146:149], v1 offset0:111 offset1:112
	s_waitcnt vmcnt(43)
	v_mul_f32_e32 v10, v4, v159
	v_add_f32_e32 v2, v2, v207
	s_waitcnt vmcnt(42) lgkmcnt(2)
	v_mul_f32_e32 v151, v7, v160
	v_add_f32_e32 v3, v3, v208
	v_mul_f32_e32 v203, v6, v160
	v_mul_f32_e32 v11, v5, v159
	v_add_f32_e32 v2, v2, v150
	s_waitcnt vmcnt(40) lgkmcnt(1)
	v_mul_f32_e32 v205, v142, v162
	v_fma_f32 v159, v6, v154, -v151
	v_add_f32_e32 v6, v3, v152
	v_fmac_f32_e32 v203, v7, v154
	v_add_f32_e32 v7, v2, v209
	v_mul_f32_e32 v154, v143, v162
	s_waitcnt vmcnt(37)
	v_fmac_f32_e32 v205, v143, v165
	v_add_f32_e32 v143, v6, v157
	v_fma_f32 v11, v4, v155, -v11
	v_fmac_f32_e32 v10, v5, v155
	v_fma_f32 v165, v142, v165, -v154
	v_add_f32_e32 v142, v7, v210
	v_add_f32_e32 v143, v143, v158
	v_mul_f32_e32 v156, v9, v161
	v_mul_f32_e32 v204, v8, v161
	ds_read2_b64 v[2:5], v1 offset0:113 offset1:114
	ds_read2_b64 v[150:153], v1 offset0:115 offset1:116
	v_add_f32_e32 v12, v142, v12
	v_add_f32_e32 v11, v143, v11
	s_waitcnt vmcnt(36)
	v_fma_f32 v162, v8, v166, -v156
	v_fmac_f32_e32 v204, v9, v166
	s_waitcnt vmcnt(35)
	v_mul_f32_e32 v166, v144, v167
	v_add_f32_e32 v10, v12, v10
	v_add_f32_e32 v12, v11, v159
	v_mul_f32_e32 v158, v145, v167
	s_waitcnt vmcnt(34) lgkmcnt(2)
	v_mul_f32_e32 v167, v146, v168
	s_waitcnt vmcnt(33)
	v_mul_f32_e32 v206, v148, v169
	v_mul_f32_e32 v142, v147, v168
	;; [unrolled: 1-line block ×3, first 2 shown]
	v_add_f32_e32 v169, v10, v203
	v_add_f32_e32 v12, v12, v162
	v_fmac_f32_e32 v166, v145, v164
	v_fma_f32 v164, v144, v164, -v158
	v_fmac_f32_e32 v167, v147, v163
	v_add_f32_e32 v169, v169, v204
	v_add_f32_e32 v12, v12, v165
	v_fma_f32 v163, v146, v163, -v142
	s_waitcnt vmcnt(29)
	v_fma_f32 v168, v148, v173, -v168
	s_waitcnt vmcnt(28) lgkmcnt(1)
	v_mul_f32_e32 v162, v2, v174
	v_add_f32_e32 v169, v169, v205
	v_add_f32_e32 v12, v12, v164
	v_mul_f32_e32 v174, v3, v174
	ds_read2_b64 v[6:9], v1 offset0:117 offset1:118
	ds_read2_b64 v[154:157], v1 offset0:119 offset1:120
	v_fmac_f32_e32 v206, v149, v173
	v_add_f32_e32 v166, v169, v166
	v_add_f32_e32 v12, v12, v163
	s_waitcnt vmcnt(27)
	v_mul_f32_e32 v173, v4, v175
	v_mul_f32_e32 v175, v5, v175
	v_fma_f32 v2, v2, v172, -v174
	v_add_f32_e32 v163, v166, v167
	v_add_f32_e32 v12, v12, v168
	v_fmac_f32_e32 v162, v3, v172
	s_waitcnt vmcnt(26) lgkmcnt(2)
	v_mul_f32_e32 v172, v151, v176
	v_fma_f32 v4, v4, v171, -v175
	v_add_f32_e32 v163, v163, v206
	v_add_f32_e32 v2, v12, v2
	v_mul_f32_e32 v165, v150, v176
	v_fmac_f32_e32 v173, v5, v171
	s_waitcnt vmcnt(25)
	v_mul_f32_e32 v168, v153, v177
	v_add_f32_e32 v12, v163, v162
	v_fma_f32 v150, v150, v170, -v172
	v_add_f32_e32 v2, v2, v4
	v_mul_f32_e32 v203, v152, v177
	v_fmac_f32_e32 v165, v151, v170
	v_add_f32_e32 v4, v12, v173
	s_waitcnt vmcnt(24) lgkmcnt(1)
	v_mul_f32_e32 v12, v7, v178
	s_waitcnt vmcnt(10)
	v_fma_f32 v151, v152, v192, -v168
	v_add_f32_e32 v2, v2, v150
	ds_read2_b64 v[142:145], v1 offset0:121 offset1:122
	ds_read2_b64 v[158:161], v1 offset0:123 offset1:124
	v_mul_f32_e32 v3, v6, v178
	v_fmac_f32_e32 v203, v153, v192
	v_add_f32_e32 v4, v4, v165
	v_mul_f32_e32 v150, v9, v179
	v_fma_f32 v6, v6, v191, -v12
	v_add_f32_e32 v2, v2, v151
	v_mul_f32_e32 v164, v8, v179
	v_fmac_f32_e32 v3, v7, v191
	v_add_f32_e32 v4, v4, v203
	s_waitcnt lgkmcnt(2)
	v_mul_f32_e32 v7, v155, v180
	v_fma_f32 v8, v8, v190, -v150
	v_add_f32_e32 v2, v2, v6
	v_mul_f32_e32 v169, v154, v180
	v_fmac_f32_e32 v164, v9, v190
	v_add_f32_e32 v3, v4, v3
	v_mul_f32_e32 v4, v157, v181
	v_fma_f32 v6, v154, v189, -v7
	v_add_f32_e32 v2, v2, v8
	v_mul_f32_e32 v5, v156, v181
	v_fmac_f32_e32 v169, v155, v189
	v_add_f32_e32 v3, v3, v164
	s_waitcnt lgkmcnt(1)
	v_mul_f32_e32 v7, v143, v182
	s_waitcnt vmcnt(6)
	v_fma_f32 v4, v156, v196, -v4
	v_add_f32_e32 v2, v2, v6
	ds_read2_b64 v[146:149], v1 offset0:125 offset1:126
	ds_read_b64 v[10:11], v1 offset:1016
	v_mul_f32_e32 v171, v142, v182
	v_fmac_f32_e32 v5, v157, v196
	v_add_f32_e32 v3, v3, v169
	v_mul_f32_e32 v6, v145, v183
	v_fma_f32 v7, v142, v195, -v7
	v_add_f32_e32 v2, v2, v4
	v_mul_f32_e32 v166, v144, v183
	v_fmac_f32_e32 v171, v143, v195
	v_add_f32_e32 v3, v3, v5
	s_waitcnt lgkmcnt(2)
	v_mul_f32_e32 v4, v159, v184
	v_fma_f32 v5, v144, v194, -v6
	v_add_f32_e32 v2, v2, v7
	v_mul_f32_e32 v167, v158, v184
	v_fmac_f32_e32 v166, v145, v194
	v_add_f32_e32 v3, v3, v171
	v_mul_f32_e32 v6, v161, v185
	v_fma_f32 v4, v158, v193, -v4
	v_add_f32_e32 v2, v2, v5
	v_mul_f32_e32 v174, v160, v185
	v_fmac_f32_e32 v167, v159, v193
	v_add_f32_e32 v3, v3, v166
	s_waitcnt lgkmcnt(1)
	v_mul_f32_e32 v5, v147, v186
	s_waitcnt vmcnt(2)
	v_fma_f32 v6, v160, v200, -v6
	v_add_f32_e32 v2, v2, v4
	v_mul_f32_e32 v175, v146, v186
	v_fmac_f32_e32 v174, v161, v200
	v_add_f32_e32 v3, v3, v167
	v_mul_f32_e32 v4, v149, v187
	v_fma_f32 v5, v146, v199, -v5
	v_add_f32_e32 v2, v2, v6
	v_mul_f32_e32 v176, v148, v187
	v_fmac_f32_e32 v175, v147, v199
	v_add_f32_e32 v3, v3, v174
	s_waitcnt lgkmcnt(0)
	v_mul_f32_e32 v6, v11, v188
	v_fma_f32 v4, v148, v198, -v4
	v_add_f32_e32 v2, v2, v5
	v_mul_f32_e32 v162, v10, v188
	v_fmac_f32_e32 v176, v149, v198
	v_add_f32_e32 v3, v3, v175
	v_fma_f32 v5, v10, v197, -v6
	v_add_f32_e32 v2, v2, v4
	v_fmac_f32_e32 v162, v11, v197
	v_add_f32_e32 v3, v3, v176
	v_add_f32_e32 v2, v2, v5
	v_add_f32_e32 v3, v3, v162
	s_waitcnt vmcnt(1)
	v_sub_f32_e32 v2, v201, v2
	s_waitcnt vmcnt(0)
	v_sub_f32_e32 v3, v202, v3
	buffer_store_dword v2, off, s[0:3], 0 offset:256
	buffer_store_dword v3, off, s[0:3], 0 offset:260
	v_cmpx_lt_u32_e32 31, v0
	s_cbranch_execz .LBB63_335
; %bb.334:
	s_clause 0x1
	buffer_load_dword v2, off, s[0:3], 0 offset:248
	buffer_load_dword v3, off, s[0:3], 0 offset:252
	buffer_store_dword v1, off, s[0:3], 0 offset:248
	buffer_store_dword v1, off, s[0:3], 0 offset:252
	s_waitcnt vmcnt(0)
	ds_write_b64 v141, v[2:3]
.LBB63_335:
	s_or_b32 exec_lo, exec_lo, s4
	s_waitcnt lgkmcnt(0)
	s_waitcnt_vscnt null, 0x0
	s_barrier
	buffer_gl0_inv
	s_clause 0x31
	buffer_load_dword v10, off, s[0:3], 0 offset:260
	buffer_load_dword v11, off, s[0:3], 0 offset:268
	;; [unrolled: 1-line block ×50, first 2 shown]
	ds_read_b128 v[2:5], v1 offset:768
	s_clause 0x4
	buffer_load_dword v193, off, s[0:3], 0 offset:508
	buffer_load_dword v194, off, s[0:3], 0 offset:432
	;; [unrolled: 1-line block ×5, first 2 shown]
	ds_read_b128 v[6:9], v1 offset:784
	ds_read_b128 v[142:145], v1 offset:800
	s_clause 0x4
	buffer_load_dword v198, off, s[0:3], 0 offset:464
	buffer_load_dword v199, off, s[0:3], 0 offset:456
	;; [unrolled: 1-line block ×5, first 2 shown]
	s_mov_b32 s4, exec_lo
	s_waitcnt vmcnt(59) lgkmcnt(2)
	v_mul_f32_e32 v202, v3, v10
	v_mul_f32_e32 v10, v2, v10
	s_waitcnt vmcnt(58)
	v_mul_f32_e32 v204, v4, v11
	v_mul_f32_e32 v11, v5, v11
	s_waitcnt vmcnt(55)
	v_fma_f32 v202, v2, v147, -v202
	v_fmac_f32_e32 v10, v3, v147
	s_waitcnt vmcnt(54) lgkmcnt(1)
	v_mul_f32_e32 v147, v6, v148
	v_mul_f32_e32 v148, v7, v148
	v_fmac_f32_e32 v204, v5, v146
	v_fma_f32 v11, v4, v146, -v11
	ds_read_b128 v[2:5], v1 offset:816
	s_clause 0x3
	buffer_load_dword v205, off, s[0:3], 0 offset:496
	buffer_load_dword v206, off, s[0:3], 0 offset:488
	;; [unrolled: 1-line block ×4, first 2 shown]
	s_waitcnt vmcnt(57)
	v_mul_f32_e32 v146, v8, v149
	v_mul_f32_e32 v149, v9, v149
	v_fmac_f32_e32 v147, v7, v12
	v_fma_f32 v12, v6, v12, -v148
	s_waitcnt vmcnt(56) lgkmcnt(1)
	v_mul_f32_e32 v148, v142, v150
	v_mul_f32_e32 v6, v143, v150
	s_waitcnt vmcnt(51)
	v_mul_f32_e32 v150, v144, v155
	v_mul_f32_e32 v7, v145, v155
	v_fmac_f32_e32 v146, v9, v154
	v_fma_f32 v149, v8, v154, -v149
	v_fmac_f32_e32 v148, v143, v153
	v_fma_f32 v153, v142, v153, -v6
	;; [unrolled: 2-line block ×3, first 2 shown]
	ds_read_b128 v[6:9], v1 offset:832
	buffer_load_dword v209, off, s[0:3], 0 offset:504
	s_waitcnt vmcnt(51) lgkmcnt(1)
	v_mul_f32_e32 v154, v2, v156
	v_mul_f32_e32 v142, v3, v156
	s_waitcnt vmcnt(50)
	v_mul_f32_e32 v155, v4, v157
	v_mul_f32_e32 v143, v5, v157
	v_fmac_f32_e32 v154, v3, v151
	v_fma_f32 v151, v2, v151, -v142
	s_waitcnt vmcnt(46)
	v_fmac_f32_e32 v155, v5, v161
	v_fma_f32 v156, v4, v161, -v143
	ds_read_b128 v[2:5], v1 offset:848
	s_waitcnt vmcnt(45) lgkmcnt(1)
	v_mul_f32_e32 v157, v6, v162
	v_mul_f32_e32 v142, v7, v162
	buffer_load_dword v162, off, s[0:3], 0 offset:248
	v_fmac_f32_e32 v157, v7, v160
	v_fma_f32 v160, v6, v160, -v142
	v_add_f32_e32 v6, 0, v202
	v_add_f32_e32 v7, 0, v10
	s_waitcnt vmcnt(45)
	v_mul_f32_e32 v10, v9, v163
	v_add_f32_e32 v6, v6, v11
	v_add_f32_e32 v142, v7, v204
	v_mul_f32_e32 v11, v8, v163
	v_fma_f32 v10, v8, v159, -v10
	s_waitcnt vmcnt(43) lgkmcnt(0)
	v_mul_f32_e32 v161, v4, v165
	v_add_f32_e32 v12, v6, v12
	v_add_f32_e32 v147, v142, v147
	v_fmac_f32_e32 v11, v9, v159
	v_mul_f32_e32 v159, v2, v164
	ds_read_b128 v[6:9], v1 offset:864
	ds_read_b128 v[142:145], v1 offset:880
	v_add_f32_e32 v12, v12, v149
	v_add_f32_e32 v146, v147, v146
	v_mul_f32_e32 v149, v3, v164
	v_mul_f32_e32 v147, v5, v165
	v_fmac_f32_e32 v159, v3, v158
	v_add_f32_e32 v12, v12, v153
	v_add_f32_e32 v153, v146, v148
	v_fma_f32 v158, v2, v158, -v149
	s_waitcnt vmcnt(39)
	v_fmac_f32_e32 v161, v5, v169
	v_fma_f32 v163, v4, v169, -v147
	v_add_f32_e32 v12, v12, v152
	ds_read_b128 v[2:5], v1 offset:896
	ds_read_b128 v[146:149], v1 offset:912
	v_add_f32_e32 v150, v153, v150
	v_add_f32_e32 v12, v12, v151
	v_add_f32_e32 v150, v150, v154
	s_waitcnt vmcnt(38) lgkmcnt(3)
	v_mul_f32_e32 v164, v6, v170
	v_mul_f32_e32 v152, v7, v170
	v_add_f32_e32 v12, v12, v156
	s_waitcnt vmcnt(37)
	v_mul_f32_e32 v165, v8, v171
	v_add_f32_e32 v154, v150, v155
	v_mul_f32_e32 v153, v9, v171
	v_fmac_f32_e32 v164, v7, v168
	v_add_f32_e32 v12, v12, v160
	v_fma_f32 v168, v6, v168, -v152
	v_add_f32_e32 v160, v154, v157
	s_waitcnt vmcnt(36) lgkmcnt(2)
	v_mul_f32_e32 v169, v142, v172
	v_mul_f32_e32 v170, v143, v172
	v_add_f32_e32 v10, v12, v10
	s_waitcnt vmcnt(30) lgkmcnt(1)
	v_mul_f32_e32 v12, v2, v178
	v_add_f32_e32 v11, v160, v11
	v_mul_f32_e32 v160, v3, v178
	v_fmac_f32_e32 v165, v9, v167
	v_fma_f32 v167, v8, v167, -v153
	v_fmac_f32_e32 v12, v3, v176
	v_add_f32_e32 v3, v10, v158
	v_add_f32_e32 v10, v11, v159
	v_mul_f32_e32 v155, v145, v173
	v_fmac_f32_e32 v169, v143, v166
	v_fma_f32 v166, v142, v166, -v170
	v_add_f32_e32 v163, v3, v163
	v_add_f32_e32 v10, v10, v161
	v_mul_f32_e32 v171, v144, v173
	v_fma_f32 v170, v144, v177, -v155
	ds_read_b128 v[6:9], v1 offset:928
	ds_read_b128 v[150:153], v1 offset:944
	v_add_f32_e32 v163, v163, v168
	v_add_f32_e32 v10, v10, v164
	v_fmac_f32_e32 v171, v145, v177
	s_waitcnt vmcnt(29)
	v_mul_f32_e32 v173, v5, v179
	v_fma_f32 v11, v2, v176, -v160
	v_add_f32_e32 v163, v163, v167
	v_add_f32_e32 v10, v10, v165
	v_mul_f32_e32 v172, v4, v179
	v_fma_f32 v173, v4, v175, -v173
	s_waitcnt vmcnt(28) lgkmcnt(2)
	v_mul_f32_e32 v168, v147, v180
	v_add_f32_e32 v163, v163, v166
	v_add_f32_e32 v10, v10, v169
	ds_read_b128 v[142:145], v1 offset:960
	ds_read_b128 v[154:157], v1 offset:976
	v_fmac_f32_e32 v172, v5, v175
	ds_read_b128 v[2:5], v1 offset:992
	ds_read_b128 v[158:161], v1 offset:1008
	v_add_f32_e32 v163, v163, v170
	v_add_f32_e32 v10, v10, v171
	v_mul_f32_e32 v1, v146, v180
	s_waitcnt vmcnt(27)
	v_mul_f32_e32 v175, v149, v181
	v_fma_f32 v146, v146, v174, -v168
	v_add_f32_e32 v11, v163, v11
	v_add_f32_e32 v10, v10, v12
	v_mul_f32_e32 v164, v148, v181
	v_fmac_f32_e32 v1, v147, v174
	s_waitcnt vmcnt(26) lgkmcnt(5)
	v_mul_f32_e32 v167, v6, v182
	v_add_f32_e32 v11, v11, v173
	v_add_f32_e32 v10, v10, v172
	v_mul_f32_e32 v168, v7, v182
	s_waitcnt vmcnt(11)
	v_fma_f32 v148, v148, v197, -v175
	v_fmac_f32_e32 v164, v149, v197
	v_add_f32_e32 v11, v11, v146
	v_add_f32_e32 v1, v10, v1
	v_mul_f32_e32 v10, v9, v183
	v_fmac_f32_e32 v167, v7, v196
	v_fma_f32 v6, v6, v196, -v168
	v_add_f32_e32 v7, v11, v148
	v_mul_f32_e32 v165, v8, v183
	v_add_f32_e32 v1, v1, v164
	s_waitcnt lgkmcnt(4)
	v_mul_f32_e32 v11, v151, v184
	v_fma_f32 v8, v8, v195, -v10
	v_add_f32_e32 v6, v7, v6
	v_mul_f32_e32 v176, v150, v184
	v_fmac_f32_e32 v165, v9, v195
	v_add_f32_e32 v1, v1, v167
	v_mul_f32_e32 v7, v153, v185
	v_fma_f32 v9, v150, v194, -v11
	v_add_f32_e32 v6, v6, v8
	v_mul_f32_e32 v166, v152, v185
	v_fmac_f32_e32 v176, v151, v194
	v_add_f32_e32 v1, v1, v165
	s_waitcnt lgkmcnt(3)
	v_mul_f32_e32 v8, v143, v186
	s_waitcnt vmcnt(7)
	v_fma_f32 v7, v152, v201, -v7
	v_add_f32_e32 v6, v6, v9
	v_mul_f32_e32 v169, v142, v186
	v_fmac_f32_e32 v166, v153, v201
	v_add_f32_e32 v1, v1, v176
	v_mul_f32_e32 v9, v145, v187
	v_fma_f32 v8, v142, v200, -v8
	v_add_f32_e32 v6, v6, v7
	v_mul_f32_e32 v177, v144, v187
	v_fmac_f32_e32 v169, v143, v200
	v_add_f32_e32 v1, v1, v166
	s_waitcnt lgkmcnt(2)
	v_mul_f32_e32 v7, v155, v188
	v_fma_f32 v9, v144, v199, -v9
	v_add_f32_e32 v6, v6, v8
	v_mul_f32_e32 v170, v154, v188
	v_fmac_f32_e32 v177, v145, v199
	v_add_f32_e32 v1, v1, v169
	v_mul_f32_e32 v8, v157, v189
	v_fma_f32 v7, v154, v198, -v7
	v_add_f32_e32 v6, v6, v9
	v_mul_f32_e32 v171, v156, v189
	v_fmac_f32_e32 v170, v155, v198
	v_add_f32_e32 v1, v1, v177
	s_waitcnt lgkmcnt(1)
	v_mul_f32_e32 v178, v2, v190
	v_mul_f32_e32 v9, v3, v190
	v_add_f32_e32 v6, v6, v7
	v_mul_f32_e32 v7, v5, v191
	v_add_f32_e32 v1, v1, v170
	v_mul_f32_e32 v163, v4, v191
	s_waitcnt lgkmcnt(0)
	v_mul_f32_e32 v12, v158, v192
	v_mul_f32_e32 v147, v160, v193
	s_waitcnt vmcnt(5)
	v_fmac_f32_e32 v12, v159, v205
	s_waitcnt vmcnt(4)
	v_fma_f32 v4, v4, v206, -v7
	s_waitcnt vmcnt(3)
	v_fmac_f32_e32 v178, v3, v207
	s_waitcnt vmcnt(2)
	v_fma_f32 v8, v156, v208, -v8
	v_fmac_f32_e32 v171, v157, v208
	v_fma_f32 v2, v2, v207, -v9
	v_fmac_f32_e32 v163, v5, v206
	v_add_f32_e32 v3, v6, v8
	v_add_f32_e32 v1, v1, v171
	v_mul_f32_e32 v6, v159, v192
	v_add_f32_e32 v2, v3, v2
	v_add_f32_e32 v1, v1, v178
	v_mul_f32_e32 v3, v161, v193
	v_fma_f32 v5, v158, v205, -v6
	v_add_f32_e32 v2, v2, v4
	v_add_f32_e32 v1, v1, v163
	s_waitcnt vmcnt(1)
	v_fma_f32 v3, v160, v209, -v3
	v_fmac_f32_e32 v147, v161, v209
	v_add_f32_e32 v2, v2, v5
	v_add_f32_e32 v1, v1, v12
	;; [unrolled: 1-line block ×4, first 2 shown]
	v_sub_f32_e32 v1, v203, v1
	s_waitcnt vmcnt(0)
	v_sub_f32_e32 v2, v162, v2
	buffer_store_dword v2, off, s[0:3], 0 offset:248
	buffer_store_dword v1, off, s[0:3], 0 offset:252
	v_cmpx_lt_u32_e32 30, v0
	s_cbranch_execz .LBB63_337
; %bb.336:
	s_clause 0x1
	buffer_load_dword v1, off, s[0:3], 0 offset:240
	buffer_load_dword v2, off, s[0:3], 0 offset:244
	v_mov_b32_e32 v3, 0
	buffer_store_dword v3, off, s[0:3], 0 offset:240
	buffer_store_dword v3, off, s[0:3], 0 offset:244
	s_waitcnt vmcnt(0)
	ds_write_b64 v141, v[1:2]
.LBB63_337:
	s_or_b32 exec_lo, exec_lo, s4
	s_waitcnt lgkmcnt(0)
	s_waitcnt_vscnt null, 0x0
	s_barrier
	buffer_gl0_inv
	s_clause 0x26
	buffer_load_dword v2, off, s[0:3], 0 offset:252
	buffer_load_dword v3, off, s[0:3], 0 offset:260
	;; [unrolled: 1-line block ×39, first 2 shown]
	v_mov_b32_e32 v1, 0
	s_clause 0x2
	buffer_load_dword v182, off, s[0:3], 0 offset:412
	buffer_load_dword v183, off, s[0:3], 0 offset:420
	;; [unrolled: 1-line block ×3, first 2 shown]
	s_mov_b32 s4, exec_lo
	ds_read2_b64 v[4:7], v1 offset0:95 offset1:96
	s_clause 0x1
	buffer_load_dword v185, off, s[0:3], 0 offset:436
	buffer_load_dword v186, off, s[0:3], 0 offset:444
	ds_read2_b64 v[8:11], v1 offset0:97 offset1:98
	s_clause 0xc
	buffer_load_dword v187, off, s[0:3], 0 offset:424
	buffer_load_dword v188, off, s[0:3], 0 offset:416
	;; [unrolled: 1-line block ×13, first 2 shown]
	ds_read2_b64 v[142:145], v1 offset0:99 offset1:100
	s_waitcnt vmcnt(56) lgkmcnt(2)
	v_mul_f32_e32 v200, v5, v2
	v_mul_f32_e32 v201, v4, v2
	s_waitcnt vmcnt(55)
	v_mul_f32_e32 v202, v6, v3
	v_mul_f32_e32 v2, v7, v3
	s_waitcnt vmcnt(54) lgkmcnt(1)
	v_mul_f32_e32 v203, v8, v12
	s_waitcnt vmcnt(51)
	v_fma_f32 v200, v4, v148, -v200
	v_fmac_f32_e32 v201, v5, v148
	v_fmac_f32_e32 v202, v7, v147
	v_fma_f32 v147, v6, v147, -v2
	ds_read2_b64 v[2:5], v1 offset0:101 offset1:102
	s_clause 0x3
	buffer_load_dword v204, off, s[0:3], 0 offset:456
	buffer_load_dword v205, off, s[0:3], 0 offset:448
	;; [unrolled: 1-line block ×4, first 2 shown]
	s_waitcnt vmcnt(54)
	v_mul_f32_e32 v148, v10, v149
	v_mul_f32_e32 v6, v11, v149
	;; [unrolled: 1-line block ×3, first 2 shown]
	v_fmac_f32_e32 v203, v9, v146
	s_waitcnt vmcnt(48) lgkmcnt(1)
	v_mul_f32_e32 v149, v145, v155
	v_fmac_f32_e32 v148, v11, v153
	v_fma_f32 v10, v10, v153, -v6
	v_mul_f32_e32 v11, v142, v154
	v_mul_f32_e32 v6, v143, v154
	v_fma_f32 v12, v8, v146, -v12
	v_mul_f32_e32 v146, v144, v155
	v_fma_f32 v149, v144, v151, -v149
	v_fmac_f32_e32 v11, v143, v152
	v_fma_f32 v152, v142, v152, -v6
	ds_read2_b64 v[6:9], v1 offset0:103 offset1:104
	s_clause 0x3
	buffer_load_dword v208, off, s[0:3], 0 offset:488
	buffer_load_dword v209, off, s[0:3], 0 offset:480
	;; [unrolled: 1-line block ×4, first 2 shown]
	v_fmac_f32_e32 v146, v145, v151
	v_add_f32_e32 v143, 0, v200
	s_waitcnt vmcnt(51) lgkmcnt(1)
	v_mul_f32_e32 v151, v2, v156
	v_mul_f32_e32 v142, v3, v156
	s_waitcnt vmcnt(50)
	v_mul_f32_e32 v153, v4, v157
	v_fmac_f32_e32 v151, v3, v150
	v_fma_f32 v150, v2, v150, -v142
	v_mul_f32_e32 v2, v5, v157
	s_waitcnt vmcnt(46)
	v_fmac_f32_e32 v153, v5, v161
	v_fma_f32 v154, v4, v161, -v2
	ds_read2_b64 v[2:5], v1 offset0:105 offset1:106
	s_waitcnt vmcnt(45) lgkmcnt(1)
	v_mul_f32_e32 v155, v6, v162
	v_mul_f32_e32 v142, v7, v162
	s_clause 0x1
	buffer_load_dword v162, off, s[0:3], 0 offset:504
	buffer_load_dword v200, off, s[0:3], 0 offset:496
	v_fmac_f32_e32 v155, v7, v160
	v_add_f32_e32 v7, 0, v201
	buffer_load_dword v201, off, s[0:3], 0 offset:240
	v_fma_f32 v156, v6, v160, -v142
	v_add_f32_e32 v6, v143, v147
	s_waitcnt vmcnt(47)
	v_mul_f32_e32 v142, v9, v163
	v_add_f32_e32 v7, v7, v202
	v_add_f32_e32 v6, v6, v12
	v_mul_f32_e32 v12, v8, v163
	v_add_f32_e32 v143, v7, v203
	v_fma_f32 v157, v8, v159, -v142
	s_waitcnt vmcnt(45) lgkmcnt(0)
	v_mul_f32_e32 v160, v4, v165
	v_add_f32_e32 v10, v6, v10
	v_fmac_f32_e32 v12, v9, v159
	v_add_f32_e32 v147, v143, v148
	v_mul_f32_e32 v159, v2, v164
	v_mul_f32_e32 v148, v3, v164
	v_add_f32_e32 v10, v10, v152
	ds_read2_b64 v[6:9], v1 offset0:107 offset1:108
	ds_read2_b64 v[142:145], v1 offset0:109 offset1:110
	v_add_f32_e32 v11, v147, v11
	v_mul_f32_e32 v147, v5, v165
	v_add_f32_e32 v10, v10, v149
	v_fmac_f32_e32 v159, v3, v158
	v_fma_f32 v158, v2, v158, -v148
	v_add_f32_e32 v11, v11, v146
	s_waitcnt vmcnt(41)
	v_fmac_f32_e32 v160, v5, v169
	v_add_f32_e32 v10, v10, v150
	v_fma_f32 v161, v4, v169, -v147
	ds_read2_b64 v[2:5], v1 offset0:111 offset1:112
	ds_read2_b64 v[146:149], v1 offset0:113 offset1:114
	v_add_f32_e32 v11, v11, v151
	v_add_f32_e32 v10, v10, v154
	;; [unrolled: 1-line block ×4, first 2 shown]
	s_waitcnt vmcnt(40) lgkmcnt(3)
	v_mul_f32_e32 v163, v6, v170
	v_mul_f32_e32 v150, v7, v170
	v_add_f32_e32 v11, v11, v155
	s_waitcnt vmcnt(39)
	v_mul_f32_e32 v164, v8, v171
	v_add_f32_e32 v10, v10, v157
	v_mul_f32_e32 v151, v9, v171
	v_fmac_f32_e32 v163, v7, v168
	v_add_f32_e32 v11, v11, v12
	v_fma_f32 v168, v6, v168, -v150
	v_add_f32_e32 v10, v10, v158
	s_waitcnt vmcnt(32) lgkmcnt(1)
	v_mul_f32_e32 v12, v2, v178
	v_mul_f32_e32 v158, v3, v178
	v_add_f32_e32 v11, v11, v159
	v_mul_f32_e32 v165, v142, v172
	v_mul_f32_e32 v154, v143, v172
	v_fmac_f32_e32 v12, v3, v176
	v_add_f32_e32 v3, v10, v161
	v_add_f32_e32 v10, v11, v160
	v_fmac_f32_e32 v164, v9, v167
	v_fma_f32 v167, v8, v167, -v151
	v_mul_f32_e32 v155, v145, v173
	v_add_f32_e32 v168, v3, v168
	v_add_f32_e32 v163, v10, v163
	v_fmac_f32_e32 v165, v143, v166
	v_fma_f32 v166, v142, v166, -v154
	v_mul_f32_e32 v169, v144, v173
	v_add_f32_e32 v167, v168, v167
	v_add_f32_e32 v163, v163, v164
	v_fma_f32 v170, v144, v177, -v155
	ds_read2_b64 v[6:9], v1 offset0:115 offset1:116
	ds_read2_b64 v[150:153], v1 offset0:117 offset1:118
	v_fmac_f32_e32 v169, v145, v177
	v_add_f32_e32 v166, v167, v166
	v_add_f32_e32 v163, v163, v165
	s_waitcnt vmcnt(31)
	v_mul_f32_e32 v171, v4, v179
	v_mul_f32_e32 v159, v5, v179
	v_fma_f32 v172, v2, v176, -v158
	v_add_f32_e32 v166, v166, v170
	v_add_f32_e32 v163, v163, v169
	v_fmac_f32_e32 v171, v5, v175
	v_fma_f32 v173, v4, v175, -v159
	s_waitcnt vmcnt(30) lgkmcnt(2)
	v_mul_f32_e32 v175, v147, v180
	v_add_f32_e32 v166, v166, v172
	v_mul_f32_e32 v168, v146, v180
	v_add_f32_e32 v12, v163, v12
	s_waitcnt vmcnt(29)
	v_mul_f32_e32 v176, v149, v181
	v_fma_f32 v146, v146, v174, -v175
	v_add_f32_e32 v166, v166, v173
	v_mul_f32_e32 v164, v148, v181
	v_fmac_f32_e32 v168, v147, v174
	v_add_f32_e32 v12, v12, v171
	s_waitcnt vmcnt(28) lgkmcnt(1)
	v_mul_f32_e32 v167, v6, v182
	v_mul_f32_e32 v174, v7, v182
	s_waitcnt vmcnt(20)
	v_fma_f32 v148, v148, v190, -v176
	v_add_f32_e32 v146, v166, v146
	ds_read2_b64 v[142:145], v1 offset0:119 offset1:120
	ds_read2_b64 v[154:157], v1 offset0:121 offset1:122
	v_fmac_f32_e32 v164, v149, v190
	v_add_f32_e32 v12, v12, v168
	v_mul_f32_e32 v171, v9, v183
	v_fmac_f32_e32 v167, v7, v189
	v_fma_f32 v6, v6, v189, -v174
	v_add_f32_e32 v7, v146, v148
	v_mul_f32_e32 v165, v8, v183
	v_add_f32_e32 v12, v12, v164
	s_waitcnt lgkmcnt(2)
	v_mul_f32_e32 v146, v151, v184
	v_fma_f32 v8, v8, v188, -v171
	v_add_f32_e32 v6, v7, v6
	v_mul_f32_e32 v147, v150, v184
	v_fmac_f32_e32 v165, v9, v188
	v_add_f32_e32 v7, v12, v167
	v_mul_f32_e32 v9, v153, v185
	v_fma_f32 v12, v150, v187, -v146
	v_add_f32_e32 v6, v6, v8
	v_mul_f32_e32 v170, v152, v185
	v_fmac_f32_e32 v147, v151, v187
	v_add_f32_e32 v7, v7, v165
	s_waitcnt lgkmcnt(1)
	v_mul_f32_e32 v8, v143, v186
	v_add_f32_e32 v6, v6, v12
	v_mul_f32_e32 v169, v142, v186
	ds_read2_b64 v[2:5], v1 offset0:123 offset1:124
	ds_read2_b64 v[158:161], v1 offset0:125 offset1:126
	ds_read_b64 v[10:11], v1 offset:1016
	v_add_f32_e32 v7, v7, v147
	s_waitcnt vmcnt(19)
	v_mul_f32_e32 v12, v145, v191
	v_mul_f32_e32 v149, v144, v191
	s_waitcnt vmcnt(18) lgkmcnt(3)
	v_mul_f32_e32 v175, v154, v192
	s_waitcnt vmcnt(17)
	v_mul_f32_e32 v163, v156, v193
	s_waitcnt vmcnt(16) lgkmcnt(2)
	v_mul_f32_e32 v172, v2, v194
	s_waitcnt vmcnt(15)
	;; [unrolled: 4-line block ×4, first 2 shown]
	v_fmac_f32_e32 v175, v155, v204
	s_waitcnt vmcnt(9)
	v_fma_f32 v12, v144, v205, -v12
	s_waitcnt vmcnt(8)
	v_fma_f32 v8, v142, v206, -v8
	;; [unrolled: 2-line block ×3, first 2 shown]
	v_fmac_f32_e32 v170, v153, v207
	v_fmac_f32_e32 v169, v143, v206
	;; [unrolled: 1-line block ×3, first 2 shown]
	v_add_f32_e32 v6, v6, v9
	v_add_f32_e32 v7, v7, v170
	v_mul_f32_e32 v9, v155, v192
	v_add_f32_e32 v6, v6, v8
	v_add_f32_e32 v7, v7, v169
	v_mul_f32_e32 v8, v157, v193
	v_fma_f32 v9, v154, v204, -v9
	s_waitcnt vmcnt(5)
	v_fmac_f32_e32 v176, v5, v209
	v_add_f32_e32 v6, v6, v12
	v_add_f32_e32 v7, v7, v149
	v_mul_f32_e32 v12, v3, v194
	s_waitcnt vmcnt(3)
	v_fma_f32 v8, v156, v211, -v8
	v_fmac_f32_e32 v163, v157, v211
	v_add_f32_e32 v6, v6, v9
	v_add_f32_e32 v7, v7, v175
	v_mul_f32_e32 v9, v5, v195
	v_fmac_f32_e32 v172, v3, v210
	v_fma_f32 v2, v2, v210, -v12
	v_add_f32_e32 v3, v6, v8
	v_add_f32_e32 v6, v7, v163
	v_mul_f32_e32 v7, v159, v196
	v_fma_f32 v4, v4, v209, -v9
	v_mul_f32_e32 v5, v161, v197
	v_add_f32_e32 v2, v3, v2
	v_add_f32_e32 v3, v6, v172
	v_fma_f32 v6, v158, v208, -v7
	v_fmac_f32_e32 v173, v159, v208
	v_add_f32_e32 v2, v2, v4
	v_add_f32_e32 v3, v3, v176
	v_mul_f32_e32 v4, v11, v198
	s_waitcnt vmcnt(1)
	v_fma_f32 v5, v160, v200, -v5
	v_fmac_f32_e32 v177, v161, v200
	v_add_f32_e32 v2, v2, v6
	v_add_f32_e32 v3, v3, v173
	v_fma_f32 v4, v10, v162, -v4
	v_fmac_f32_e32 v166, v11, v162
	v_add_f32_e32 v2, v2, v5
	v_add_f32_e32 v3, v3, v177
	;; [unrolled: 1-line block ×4, first 2 shown]
	s_waitcnt vmcnt(0)
	v_sub_f32_e32 v2, v201, v2
	v_sub_f32_e32 v3, v199, v3
	buffer_store_dword v2, off, s[0:3], 0 offset:240
	buffer_store_dword v3, off, s[0:3], 0 offset:244
	v_cmpx_lt_u32_e32 29, v0
	s_cbranch_execz .LBB63_339
; %bb.338:
	s_clause 0x1
	buffer_load_dword v2, off, s[0:3], 0 offset:232
	buffer_load_dword v3, off, s[0:3], 0 offset:236
	buffer_store_dword v1, off, s[0:3], 0 offset:232
	buffer_store_dword v1, off, s[0:3], 0 offset:236
	s_waitcnt vmcnt(0)
	ds_write_b64 v141, v[2:3]
.LBB63_339:
	s_or_b32 exec_lo, exec_lo, s4
	s_waitcnt lgkmcnt(0)
	s_waitcnt_vscnt null, 0x0
	s_barrier
	buffer_gl0_inv
	s_clause 0x24
	buffer_load_dword v10, off, s[0:3], 0 offset:244
	buffer_load_dword v11, off, s[0:3], 0 offset:252
	;; [unrolled: 1-line block ×37, first 2 shown]
	ds_read_b128 v[2:5], v1 offset:752
	s_clause 0x1
	buffer_load_dword v188, off, s[0:3], 0 offset:388
	buffer_load_dword v189, off, s[0:3], 0 offset:396
	ds_read_b128 v[6:9], v1 offset:768
	s_clause 0xa
	buffer_load_dword v190, off, s[0:3], 0 offset:404
	buffer_load_dword v191, off, s[0:3], 0 offset:412
	;; [unrolled: 1-line block ×11, first 2 shown]
	ds_read_b128 v[142:145], v1 offset:784
	ds_read_b128 v[146:149], v1 offset:800
	;; [unrolled: 1-line block ×3, first 2 shown]
	s_clause 0x7
	buffer_load_dword v203, off, s[0:3], 0 offset:236
	buffer_load_dword v204, off, s[0:3], 0 offset:460
	;; [unrolled: 1-line block ×8, first 2 shown]
	s_mov_b32 s4, exec_lo
	s_waitcnt vmcnt(57) lgkmcnt(4)
	v_mul_f32_e32 v201, v3, v10
	v_mul_f32_e32 v10, v2, v10
	s_waitcnt vmcnt(56)
	v_mul_f32_e32 v202, v4, v11
	v_mul_f32_e32 v11, v5, v11
	s_waitcnt vmcnt(53)
	v_fma_f32 v201, v2, v155, -v201
	v_fmac_f32_e32 v10, v3, v155
	v_fmac_f32_e32 v202, v5, v154
	v_fma_f32 v11, v4, v154, -v11
	s_waitcnt vmcnt(52) lgkmcnt(3)
	v_mul_f32_e32 v154, v6, v156
	v_mul_f32_e32 v2, v7, v156
	s_waitcnt vmcnt(51)
	v_mul_f32_e32 v3, v9, v157
	v_mul_f32_e32 v155, v8, v157
	s_waitcnt vmcnt(46) lgkmcnt(2)
	v_mul_f32_e32 v156, v142, v162
	v_fmac_f32_e32 v154, v7, v12
	v_fma_f32 v6, v6, v12, -v2
	v_fma_f32 v12, v8, v161, -v3
	v_mul_f32_e32 v2, v143, v162
	s_waitcnt vmcnt(45)
	v_mul_f32_e32 v157, v144, v163
	v_mul_f32_e32 v3, v145, v163
	s_clause 0x3
	buffer_load_dword v162, off, s[0:3], 0 offset:448
	buffer_load_dword v163, off, s[0:3], 0 offset:440
	;; [unrolled: 1-line block ×4, first 2 shown]
	v_fmac_f32_e32 v155, v9, v161
	v_fmac_f32_e32 v156, v143, v160
	v_fma_f32 v142, v142, v160, -v2
	v_fmac_f32_e32 v157, v145, v159
	v_fma_f32 v159, v144, v159, -v3
	s_waitcnt vmcnt(48) lgkmcnt(1)
	v_mul_f32_e32 v160, v146, v164
	v_mul_f32_e32 v2, v147, v164
	s_waitcnt vmcnt(47)
	v_mul_f32_e32 v161, v148, v165
	v_mul_f32_e32 v3, v149, v165
	s_waitcnt vmcnt(42) lgkmcnt(0)
	v_mul_f32_e32 v164, v150, v170
	v_mul_f32_e32 v7, v151, v170
	s_waitcnt vmcnt(41)
	v_mul_f32_e32 v165, v152, v171
	v_mul_f32_e32 v8, v153, v171
	v_fmac_f32_e32 v160, v147, v158
	v_fma_f32 v146, v146, v158, -v2
	v_fmac_f32_e32 v161, v149, v169
	v_fma_f32 v158, v148, v169, -v3
	ds_read_b128 v[2:5], v1 offset:832
	v_fmac_f32_e32 v164, v151, v168
	v_fma_f32 v150, v150, v168, -v7
	v_fmac_f32_e32 v165, v153, v167
	v_fma_f32 v151, v152, v167, -v8
	s_clause 0x7
	buffer_load_dword v167, off, s[0:3], 0 offset:480
	buffer_load_dword v168, off, s[0:3], 0 offset:472
	;; [unrolled: 1-line block ×8, first 2 shown]
	v_add_f32_e32 v7, 0, v201
	v_add_f32_e32 v8, 0, v10
	;; [unrolled: 1-line block ×4, first 2 shown]
	s_waitcnt vmcnt(48) lgkmcnt(0)
	v_mul_f32_e32 v10, v2, v172
	v_mul_f32_e32 v9, v3, v172
	v_fmac_f32_e32 v10, v3, v166
	v_fma_f32 v11, v2, v166, -v9
	v_add_f32_e32 v2, v7, v6
	v_add_f32_e32 v3, v8, v154
	ds_read_b128 v[6:9], v1 offset:848
	s_waitcnt vmcnt(47)
	v_mul_f32_e32 v166, v4, v173
	v_add_f32_e32 v12, v2, v12
	v_mul_f32_e32 v2, v5, v173
	v_add_f32_e32 v143, v3, v155
	s_waitcnt vmcnt(43)
	v_fmac_f32_e32 v166, v5, v177
	v_add_f32_e32 v12, v12, v142
	v_fma_f32 v172, v4, v177, -v2
	ds_read_b128 v[2:5], v1 offset:864
	v_add_f32_e32 v147, v143, v156
	ds_read_b128 v[142:145], v1 offset:880
	v_add_f32_e32 v12, v12, v159
	v_add_f32_e32 v147, v147, v157
	;; [unrolled: 1-line block ×3, first 2 shown]
	s_waitcnt vmcnt(42) lgkmcnt(2)
	v_mul_f32_e32 v148, v7, v178
	v_mul_f32_e32 v159, v6, v178
	s_waitcnt vmcnt(41)
	v_mul_f32_e32 v152, v9, v179
	v_fma_f32 v173, v6, v176, -v148
	v_add_f32_e32 v6, v147, v160
	v_fmac_f32_e32 v159, v7, v176
	v_add_f32_e32 v7, v12, v158
	v_mul_f32_e32 v12, v8, v179
	s_waitcnt vmcnt(40) lgkmcnt(1)
	v_mul_f32_e32 v176, v2, v180
	v_add_f32_e32 v6, v6, v161
	v_mul_f32_e32 v153, v3, v180
	v_add_f32_e32 v7, v7, v150
	ds_read_b128 v[146:149], v1 offset:896
	v_fmac_f32_e32 v176, v3, v174
	v_add_f32_e32 v6, v6, v164
	v_fma_f32 v174, v2, v174, -v153
	v_add_f32_e32 v2, v7, v151
	v_fma_f32 v158, v8, v175, -v152
	v_fmac_f32_e32 v12, v9, v175
	v_add_f32_e32 v3, v6, v165
	s_waitcnt vmcnt(39)
	v_mul_f32_e32 v154, v5, v181
	v_add_f32_e32 v11, v2, v11
	v_mul_f32_e32 v177, v4, v181
	s_waitcnt vmcnt(38) lgkmcnt(1)
	v_mul_f32_e32 v155, v143, v182
	v_add_f32_e32 v10, v3, v10
	s_waitcnt vmcnt(34)
	v_fma_f32 v165, v4, v186, -v154
	v_add_f32_e32 v11, v11, v172
	v_mul_f32_e32 v164, v142, v182
	ds_read_b128 v[6:9], v1 offset:912
	ds_read_b128 v[150:153], v1 offset:928
	v_add_f32_e32 v10, v10, v166
	v_fmac_f32_e32 v177, v5, v186
	v_add_f32_e32 v11, v11, v173
	v_fma_f32 v175, v142, v185, -v155
	s_waitcnt vmcnt(33)
	v_mul_f32_e32 v142, v145, v187
	v_add_f32_e32 v10, v10, v159
	v_fmac_f32_e32 v164, v143, v185
	v_add_f32_e32 v11, v11, v158
	v_mul_f32_e32 v172, v144, v187
	s_waitcnt vmcnt(32) lgkmcnt(2)
	v_mul_f32_e32 v143, v147, v188
	v_add_f32_e32 v10, v10, v12
	v_fma_f32 v179, v144, v184, -v142
	v_add_f32_e32 v11, v11, v174
	v_mul_f32_e32 v166, v146, v188
	v_fmac_f32_e32 v172, v145, v184
	v_add_f32_e32 v10, v10, v176
	s_waitcnt vmcnt(31)
	v_mul_f32_e32 v178, v149, v189
	v_add_f32_e32 v11, v11, v165
	v_fma_f32 v180, v146, v183, -v143
	v_mul_f32_e32 v173, v148, v189
	v_add_f32_e32 v10, v10, v177
	v_fmac_f32_e32 v166, v147, v183
	v_add_f32_e32 v11, v11, v175
	s_waitcnt vmcnt(24)
	v_fma_f32 v178, v148, v196, -v178
	s_waitcnt lgkmcnt(1)
	v_mul_f32_e32 v12, v7, v190
	v_add_f32_e32 v10, v10, v164
	ds_read_b128 v[2:5], v1 offset:944
	ds_read_b128 v[154:157], v1 offset:960
	v_add_f32_e32 v11, v11, v179
	ds_read_b128 v[142:145], v1 offset:976
	ds_read_b128 v[158:161], v1 offset:992
	v_fmac_f32_e32 v173, v149, v196
	v_add_f32_e32 v10, v10, v172
	ds_read_b128 v[146:149], v1 offset:1008
	v_add_f32_e32 v11, v11, v180
	v_mul_f32_e32 v1, v6, v190
	v_mul_f32_e32 v176, v9, v191
	v_add_f32_e32 v10, v10, v166
	v_fma_f32 v6, v6, v195, -v12
	v_add_f32_e32 v11, v11, v178
	v_mul_f32_e32 v174, v8, v191
	v_fmac_f32_e32 v1, v7, v195
	v_add_f32_e32 v10, v10, v173
	s_waitcnt lgkmcnt(5)
	v_mul_f32_e32 v12, v151, v192
	v_fma_f32 v8, v8, v194, -v176
	v_add_f32_e32 v6, v11, v6
	v_mul_f32_e32 v165, v150, v192
	v_fmac_f32_e32 v174, v9, v194
	v_add_f32_e32 v1, v10, v1
	s_waitcnt vmcnt(23)
	v_mul_f32_e32 v9, v153, v197
	v_fma_f32 v10, v150, v193, -v12
	v_add_f32_e32 v6, v6, v8
	v_mul_f32_e32 v177, v152, v197
	v_fmac_f32_e32 v165, v151, v193
	v_add_f32_e32 v1, v1, v174
	s_waitcnt vmcnt(22) lgkmcnt(4)
	v_mul_f32_e32 v181, v2, v198
	v_mul_f32_e32 v8, v3, v198
	v_add_f32_e32 v6, v6, v10
	s_waitcnt vmcnt(21)
	v_mul_f32_e32 v10, v5, v199
	v_add_f32_e32 v1, v1, v165
	v_mul_f32_e32 v175, v4, v199
	s_waitcnt vmcnt(20) lgkmcnt(3)
	v_mul_f32_e32 v164, v154, v200
	s_waitcnt vmcnt(18)
	v_mul_f32_e32 v182, v156, v204
	s_waitcnt vmcnt(17) lgkmcnt(2)
	v_mul_f32_e32 v179, v142, v205
	s_waitcnt vmcnt(16)
	;; [unrolled: 4-line block ×4, first 2 shown]
	v_mul_f32_e32 v7, v148, v210
	s_waitcnt vmcnt(11)
	v_fmac_f32_e32 v164, v155, v162
	s_waitcnt vmcnt(10)
	v_fma_f32 v4, v4, v163, -v10
	s_waitcnt vmcnt(9)
	v_fmac_f32_e32 v181, v3, v211
	s_waitcnt vmcnt(8)
	v_fma_f32 v9, v152, v212, -v9
	v_fmac_f32_e32 v177, v153, v212
	v_fma_f32 v2, v2, v211, -v8
	v_fmac_f32_e32 v175, v5, v163
	v_add_f32_e32 v3, v6, v9
	v_add_f32_e32 v1, v1, v177
	v_mul_f32_e32 v6, v155, v200
	v_add_f32_e32 v2, v3, v2
	v_add_f32_e32 v1, v1, v181
	v_mul_f32_e32 v3, v157, v204
	v_fma_f32 v5, v154, v162, -v6
	v_add_f32_e32 v2, v2, v4
	v_add_f32_e32 v1, v1, v175
	v_mul_f32_e32 v4, v143, v205
	s_waitcnt vmcnt(5)
	v_fmac_f32_e32 v179, v143, v169
	s_waitcnt vmcnt(4)
	v_fma_f32 v3, v156, v170, -v3
	v_add_f32_e32 v2, v2, v5
	v_fmac_f32_e32 v182, v157, v170
	v_add_f32_e32 v1, v1, v164
	v_mul_f32_e32 v5, v145, v206
	v_fma_f32 v4, v142, v169, -v4
	v_add_f32_e32 v2, v2, v3
	v_mul_f32_e32 v3, v159, v207
	v_add_f32_e32 v1, v1, v182
	v_fma_f32 v5, v144, v168, -v5
	v_fmac_f32_e32 v172, v145, v168
	v_add_f32_e32 v2, v2, v4
	v_mul_f32_e32 v4, v161, v208
	v_add_f32_e32 v1, v1, v179
	v_fma_f32 v3, v158, v167, -v3
	v_fmac_f32_e32 v183, v159, v167
	v_add_f32_e32 v2, v2, v5
	v_mul_f32_e32 v5, v147, v209
	v_add_f32_e32 v1, v1, v172
	s_waitcnt vmcnt(1)
	v_fma_f32 v4, v160, v214, -v4
	v_fmac_f32_e32 v180, v161, v214
	v_add_f32_e32 v2, v2, v3
	v_mul_f32_e32 v3, v149, v210
	v_add_f32_e32 v1, v1, v183
	v_fma_f32 v5, v146, v213, -v5
	v_fmac_f32_e32 v166, v147, v213
	v_add_f32_e32 v2, v2, v4
	v_fma_f32 v3, v148, v171, -v3
	v_add_f32_e32 v1, v1, v180
	v_fmac_f32_e32 v7, v149, v171
	v_add_f32_e32 v2, v2, v5
	v_add_f32_e32 v1, v1, v166
	;; [unrolled: 1-line block ×4, first 2 shown]
	s_waitcnt vmcnt(0)
	v_sub_f32_e32 v2, v215, v2
	v_sub_f32_e32 v1, v203, v1
	buffer_store_dword v2, off, s[0:3], 0 offset:232
	buffer_store_dword v1, off, s[0:3], 0 offset:236
	v_cmpx_lt_u32_e32 28, v0
	s_cbranch_execz .LBB63_341
; %bb.340:
	s_clause 0x1
	buffer_load_dword v1, off, s[0:3], 0 offset:224
	buffer_load_dword v2, off, s[0:3], 0 offset:228
	v_mov_b32_e32 v3, 0
	buffer_store_dword v3, off, s[0:3], 0 offset:224
	buffer_store_dword v3, off, s[0:3], 0 offset:228
	s_waitcnt vmcnt(0)
	ds_write_b64 v141, v[1:2]
.LBB63_341:
	s_or_b32 exec_lo, exec_lo, s4
	s_waitcnt lgkmcnt(0)
	s_waitcnt_vscnt null, 0x0
	s_barrier
	buffer_gl0_inv
	s_clause 0x23
	buffer_load_dword v2, off, s[0:3], 0 offset:236
	buffer_load_dword v3, off, s[0:3], 0 offset:244
	;; [unrolled: 1-line block ×36, first 2 shown]
	v_mov_b32_e32 v1, 0
	s_clause 0x1
	buffer_load_dword v183, off, s[0:3], 0 offset:372
	buffer_load_dword v184, off, s[0:3], 0 offset:380
	s_mov_b32 s4, exec_lo
	ds_read2_b64 v[4:7], v1 offset0:93 offset1:94
	s_clause 0x7
	buffer_load_dword v185, off, s[0:3], 0 offset:388
	buffer_load_dword v186, off, s[0:3], 0 offset:396
	;; [unrolled: 1-line block ×8, first 2 shown]
	ds_read2_b64 v[8:11], v1 offset0:95 offset1:96
	s_clause 0x3
	buffer_load_dword v193, off, s[0:3], 0 offset:420
	buffer_load_dword v194, off, s[0:3], 0 offset:428
	;; [unrolled: 1-line block ×4, first 2 shown]
	ds_read2_b64 v[142:145], v1 offset0:97 offset1:98
	s_clause 0x4
	buffer_load_dword v197, off, s[0:3], 0 offset:452
	buffer_load_dword v198, off, s[0:3], 0 offset:460
	;; [unrolled: 1-line block ×5, first 2 shown]
	ds_read2_b64 v[146:149], v1 offset0:99 offset1:100
	s_waitcnt vmcnt(54) lgkmcnt(3)
	v_mul_f32_e32 v202, v5, v2
	v_mul_f32_e32 v203, v4, v2
	s_waitcnt vmcnt(53)
	v_mul_f32_e32 v204, v6, v3
	v_mul_f32_e32 v2, v7, v3
	s_waitcnt vmcnt(50)
	v_fma_f32 v202, v4, v151, -v202
	v_fmac_f32_e32 v203, v5, v151
	v_fmac_f32_e32 v204, v7, v150
	v_fma_f32 v150, v6, v150, -v2
	ds_read2_b64 v[2:5], v1 offset0:101 offset1:102
	s_waitcnt vmcnt(49) lgkmcnt(3)
	v_mul_f32_e32 v151, v8, v152
	v_mul_f32_e32 v6, v9, v152
	s_clause 0x7
	buffer_load_dword v206, off, s[0:3], 0 offset:484
	buffer_load_dword v207, off, s[0:3], 0 offset:492
	;; [unrolled: 1-line block ×8, first 2 shown]
	s_waitcnt vmcnt(56)
	v_mul_f32_e32 v152, v10, v153
	v_mul_f32_e32 v7, v11, v153
	s_waitcnt vmcnt(55) lgkmcnt(2)
	v_mul_f32_e32 v153, v142, v154
	v_mul_f32_e32 v154, v143, v154
	v_fmac_f32_e32 v151, v9, v12
	v_fma_f32 v12, v8, v12, -v6
	s_waitcnt vmcnt(54)
	v_mul_f32_e32 v6, v145, v155
	v_mul_f32_e32 v205, v144, v155
	s_waitcnt vmcnt(50)
	v_fmac_f32_e32 v152, v11, v159
	v_fma_f32 v11, v142, v158, -v154
	s_waitcnt vmcnt(49) lgkmcnt(1)
	v_mul_f32_e32 v154, v146, v160
	v_fma_f32 v142, v144, v157, -v6
	v_mul_f32_e32 v6, v147, v160
	v_fma_f32 v10, v10, v159, -v7
	v_fmac_f32_e32 v153, v143, v158
	v_fmac_f32_e32 v205, v145, v157
	s_waitcnt vmcnt(48)
	v_mul_f32_e32 v155, v148, v161
	v_mul_f32_e32 v7, v149, v161
	v_fmac_f32_e32 v154, v147, v156
	v_fma_f32 v146, v146, v156, -v6
	s_waitcnt vmcnt(43) lgkmcnt(0)
	v_mul_f32_e32 v156, v2, v166
	v_mul_f32_e32 v143, v3, v166
	s_waitcnt vmcnt(42)
	v_mul_f32_e32 v157, v4, v167
	v_mul_f32_e32 v144, v5, v167
	v_fmac_f32_e32 v155, v149, v165
	v_fma_f32 v147, v148, v165, -v7
	ds_read2_b64 v[6:9], v1 offset0:103 offset1:104
	v_fmac_f32_e32 v156, v3, v164
	v_fma_f32 v158, v2, v164, -v143
	v_fmac_f32_e32 v157, v5, v163
	v_fma_f32 v159, v4, v163, -v144
	s_clause 0x3
	buffer_load_dword v163, off, s[0:3], 0 offset:472
	buffer_load_dword v164, off, s[0:3], 0 offset:464
	;; [unrolled: 1-line block ×4, first 2 shown]
	v_add_f32_e32 v2, 0, v202
	s_clause 0x3
	buffer_load_dword v167, off, s[0:3], 0 offset:504
	buffer_load_dword v202, off, s[0:3], 0 offset:496
	;; [unrolled: 1-line block ×4, first 2 shown]
	v_add_f32_e32 v3, 0, v203
	buffer_load_dword v203, off, s[0:3], 0 offset:224
	v_add_f32_e32 v2, v2, v150
	v_add_f32_e32 v3, v3, v204
	;; [unrolled: 1-line block ×4, first 2 shown]
	s_waitcnt vmcnt(50) lgkmcnt(0)
	v_mul_f32_e32 v12, v6, v168
	v_mul_f32_e32 v4, v7, v168
	v_fmac_f32_e32 v12, v7, v162
	v_fma_f32 v150, v6, v162, -v4
	v_add_f32_e32 v6, v2, v10
	v_add_f32_e32 v7, v3, v152
	ds_read2_b64 v[2:5], v1 offset0:105 offset1:106
	v_add_f32_e32 v10, v6, v11
	s_waitcnt vmcnt(49)
	v_mul_f32_e32 v11, v8, v169
	v_mul_f32_e32 v6, v9, v169
	v_add_f32_e32 v143, v7, v153
	v_add_f32_e32 v10, v10, v142
	s_waitcnt vmcnt(45)
	v_fmac_f32_e32 v11, v9, v173
	v_fma_f32 v160, v8, v173, -v6
	ds_read2_b64 v[6:9], v1 offset0:107 offset1:108
	v_add_f32_e32 v148, v143, v205
	ds_read2_b64 v[142:145], v1 offset0:109 offset1:110
	v_add_f32_e32 v10, v10, v146
	v_add_f32_e32 v148, v148, v154
	;; [unrolled: 1-line block ×3, first 2 shown]
	s_waitcnt vmcnt(44) lgkmcnt(2)
	v_mul_f32_e32 v146, v3, v174
	v_mul_f32_e32 v161, v2, v174
	s_waitcnt vmcnt(43)
	v_mul_f32_e32 v151, v5, v175
	v_fma_f32 v162, v2, v172, -v146
	v_add_f32_e32 v2, v148, v155
	v_fmac_f32_e32 v161, v3, v172
	v_add_f32_e32 v3, v10, v158
	ds_read2_b64 v[146:149], v1 offset0:111 offset1:112
	v_mul_f32_e32 v10, v4, v175
	v_add_f32_e32 v2, v2, v156
	s_waitcnt vmcnt(42) lgkmcnt(2)
	v_mul_f32_e32 v152, v7, v176
	v_add_f32_e32 v3, v3, v159
	v_mul_f32_e32 v168, v6, v176
	s_waitcnt vmcnt(40) lgkmcnt(1)
	v_mul_f32_e32 v172, v142, v178
	v_add_f32_e32 v2, v2, v157
	v_fma_f32 v159, v6, v170, -v152
	v_add_f32_e32 v6, v3, v150
	v_fmac_f32_e32 v168, v7, v170
	s_waitcnt vmcnt(37)
	v_fmac_f32_e32 v172, v143, v181
	v_add_f32_e32 v7, v2, v12
	v_mul_f32_e32 v12, v143, v178
	v_add_f32_e32 v143, v6, v160
	v_fma_f32 v158, v4, v171, -v151
	v_fmac_f32_e32 v10, v5, v171
	v_add_f32_e32 v11, v7, v11
	v_fma_f32 v12, v142, v181, -v12
	v_add_f32_e32 v142, v143, v162
	v_mul_f32_e32 v154, v9, v177
	v_mul_f32_e32 v169, v8, v177
	v_add_f32_e32 v11, v11, v161
	ds_read2_b64 v[2:5], v1 offset0:113 offset1:114
	ds_read2_b64 v[150:153], v1 offset0:115 offset1:116
	v_add_f32_e32 v142, v142, v158
	s_waitcnt vmcnt(36)
	v_fma_f32 v170, v8, v182, -v154
	v_fmac_f32_e32 v169, v9, v182
	v_add_f32_e32 v10, v11, v10
	s_waitcnt vmcnt(35)
	v_mul_f32_e32 v143, v145, v183
	v_add_f32_e32 v177, v142, v159
	v_mul_f32_e32 v162, v144, v183
	s_waitcnt vmcnt(34) lgkmcnt(2)
	v_mul_f32_e32 v158, v147, v184
	v_add_f32_e32 v168, v10, v168
	v_fma_f32 v175, v144, v180, -v143
	v_add_f32_e32 v170, v177, v170
	v_mul_f32_e32 v171, v146, v184
	v_fmac_f32_e32 v162, v145, v180
	v_add_f32_e32 v168, v168, v169
	s_waitcnt vmcnt(33)
	v_mul_f32_e32 v174, v149, v185
	v_add_f32_e32 v12, v170, v12
	v_fma_f32 v176, v146, v179, -v158
	v_mul_f32_e32 v173, v148, v185
	v_add_f32_e32 v168, v168, v172
	v_fmac_f32_e32 v171, v147, v179
	v_add_f32_e32 v12, v12, v175
	s_waitcnt vmcnt(26)
	v_fma_f32 v174, v148, v192, -v174
	s_waitcnt lgkmcnt(1)
	v_mul_f32_e32 v178, v3, v186
	v_add_f32_e32 v162, v168, v162
	ds_read2_b64 v[6:9], v1 offset0:117 offset1:118
	ds_read2_b64 v[154:157], v1 offset0:119 offset1:120
	v_add_f32_e32 v12, v12, v176
	v_fmac_f32_e32 v173, v149, v192
	v_mul_f32_e32 v177, v2, v186
	v_add_f32_e32 v162, v162, v171
	v_mul_f32_e32 v179, v5, v187
	v_fma_f32 v2, v2, v191, -v178
	v_add_f32_e32 v12, v12, v174
	v_mul_f32_e32 v169, v4, v187
	v_fmac_f32_e32 v177, v3, v191
	v_add_f32_e32 v162, v162, v173
	s_waitcnt lgkmcnt(2)
	v_mul_f32_e32 v178, v151, v188
	v_fma_f32 v4, v4, v190, -v179
	v_add_f32_e32 v2, v12, v2
	v_mul_f32_e32 v170, v150, v188
	v_fmac_f32_e32 v169, v5, v190
	v_add_f32_e32 v12, v162, v177
	s_waitcnt vmcnt(25)
	v_mul_f32_e32 v173, v153, v193
	v_fma_f32 v150, v150, v189, -v178
	v_add_f32_e32 v2, v2, v4
	v_mul_f32_e32 v172, v152, v193
	v_fmac_f32_e32 v170, v151, v189
	v_add_f32_e32 v4, v12, v169
	s_waitcnt vmcnt(24) lgkmcnt(1)
	v_mul_f32_e32 v12, v7, v194
	v_add_f32_e32 v2, v2, v150
	ds_read2_b64 v[142:145], v1 offset0:121 offset1:122
	ds_read2_b64 v[158:161], v1 offset0:123 offset1:124
	v_mul_f32_e32 v3, v6, v194
	v_add_f32_e32 v4, v4, v170
	s_waitcnt vmcnt(23)
	v_mul_f32_e32 v150, v9, v195
	v_mul_f32_e32 v175, v8, v195
	s_waitcnt vmcnt(22) lgkmcnt(2)
	v_mul_f32_e32 v168, v154, v196
	s_waitcnt vmcnt(21)
	v_mul_f32_e32 v5, v156, v197
	ds_read2_b64 v[146:149], v1 offset0:125 offset1:126
	ds_read_b64 v[10:11], v1 offset:1016
	s_waitcnt vmcnt(20) lgkmcnt(3)
	v_mul_f32_e32 v179, v142, v198
	s_waitcnt vmcnt(19)
	v_mul_f32_e32 v171, v144, v199
	s_waitcnt vmcnt(18) lgkmcnt(2)
	v_mul_f32_e32 v176, v158, v200
	s_waitcnt vmcnt(16)
	v_mul_f32_e32 v180, v160, v206
	s_waitcnt vmcnt(12)
	v_fmac_f32_e32 v168, v155, v210
	s_waitcnt vmcnt(11)
	v_fma_f32 v8, v8, v211, -v150
	s_waitcnt vmcnt(10)
	v_fma_f32 v6, v6, v212, -v12
	;; [unrolled: 2-line block ×3, first 2 shown]
	v_fmac_f32_e32 v172, v153, v213
	v_fmac_f32_e32 v3, v7, v212
	v_mul_f32_e32 v7, v155, v196
	v_fmac_f32_e32 v175, v9, v211
	v_add_f32_e32 v2, v2, v151
	v_add_f32_e32 v4, v4, v172
	s_waitcnt lgkmcnt(1)
	v_mul_f32_e32 v174, v146, v207
	v_mul_f32_e32 v181, v148, v208
	s_waitcnt lgkmcnt(0)
	v_mul_f32_e32 v162, v10, v209
	v_add_f32_e32 v2, v2, v6
	v_add_f32_e32 v3, v4, v3
	v_mul_f32_e32 v4, v157, v197
	v_fma_f32 v6, v154, v210, -v7
	v_mul_f32_e32 v7, v143, v198
	v_add_f32_e32 v2, v2, v8
	v_add_f32_e32 v3, v3, v175
	;; [unrolled: 1-line block ×4, first 2 shown]
	v_mul_f32_e32 v6, v145, v199
	s_waitcnt vmcnt(8)
	v_fmac_f32_e32 v176, v159, v163
	s_waitcnt vmcnt(7)
	v_fmac_f32_e32 v171, v145, v164
	s_waitcnt vmcnt(6)
	v_fma_f32 v7, v142, v165, -v7
	s_waitcnt vmcnt(5)
	v_fma_f32 v4, v156, v166, -v4
	v_fmac_f32_e32 v5, v157, v166
	v_fmac_f32_e32 v179, v143, v165
	s_waitcnt vmcnt(1)
	v_fmac_f32_e32 v180, v161, v215
	v_fmac_f32_e32 v174, v147, v214
	v_add_f32_e32 v2, v2, v4
	v_add_f32_e32 v3, v3, v5
	v_mul_f32_e32 v4, v159, v200
	v_fma_f32 v5, v144, v164, -v6
	v_mul_f32_e32 v6, v161, v206
	v_add_f32_e32 v2, v2, v7
	v_add_f32_e32 v3, v3, v179
	v_fma_f32 v4, v158, v163, -v4
	v_fmac_f32_e32 v181, v149, v202
	v_fma_f32 v6, v160, v215, -v6
	v_add_f32_e32 v2, v2, v5
	v_add_f32_e32 v3, v3, v171
	v_mul_f32_e32 v5, v147, v207
	v_fmac_f32_e32 v162, v11, v167
	v_add_f32_e32 v2, v2, v4
	v_add_f32_e32 v3, v3, v176
	v_mul_f32_e32 v4, v149, v208
	v_fma_f32 v5, v146, v214, -v5
	v_add_f32_e32 v2, v2, v6
	v_add_f32_e32 v3, v3, v180
	v_mul_f32_e32 v6, v11, v209
	v_fma_f32 v4, v148, v202, -v4
	v_add_f32_e32 v2, v2, v5
	v_add_f32_e32 v3, v3, v174
	v_fma_f32 v5, v10, v167, -v6
	v_add_f32_e32 v2, v2, v4
	v_add_f32_e32 v3, v3, v181
	;; [unrolled: 1-line block ×4, first 2 shown]
	s_waitcnt vmcnt(0)
	v_sub_f32_e32 v2, v203, v2
	v_sub_f32_e32 v3, v201, v3
	buffer_store_dword v2, off, s[0:3], 0 offset:224
	buffer_store_dword v3, off, s[0:3], 0 offset:228
	v_cmpx_lt_u32_e32 27, v0
	s_cbranch_execz .LBB63_343
; %bb.342:
	s_clause 0x1
	buffer_load_dword v2, off, s[0:3], 0 offset:216
	buffer_load_dword v3, off, s[0:3], 0 offset:220
	buffer_store_dword v1, off, s[0:3], 0 offset:216
	buffer_store_dword v1, off, s[0:3], 0 offset:220
	s_waitcnt vmcnt(0)
	ds_write_b64 v141, v[2:3]
.LBB63_343:
	s_or_b32 exec_lo, exec_lo, s4
	s_waitcnt lgkmcnt(0)
	s_waitcnt_vscnt null, 0x0
	s_barrier
	buffer_gl0_inv
	s_clause 0x23
	buffer_load_dword v150, off, s[0:3], 0 offset:228
	buffer_load_dword v151, off, s[0:3], 0 offset:236
	;; [unrolled: 1-line block ×36, first 2 shown]
	ds_read_b128 v[5:8], v1 offset:736
	s_clause 0x2
	buffer_load_dword v186, off, s[0:3], 0 offset:364
	buffer_load_dword v187, off, s[0:3], 0 offset:372
	;; [unrolled: 1-line block ×3, first 2 shown]
	ds_read_b128 v[9:12], v1 offset:752
	s_clause 0x3
	buffer_load_dword v189, off, s[0:3], 0 offset:412
	buffer_load_dword v4, off, s[0:3], 0 offset:420
	;; [unrolled: 1-line block ×4, first 2 shown]
	ds_read_b128 v[142:145], v1 offset:768
	s_clause 0x6
	buffer_load_dword v190, off, s[0:3], 0 offset:388
	buffer_load_dword v191, off, s[0:3], 0 offset:396
	;; [unrolled: 1-line block ×7, first 2 shown]
	ds_read_b128 v[146:149], v1 offset:784
	buffer_load_dword v200, off, s[0:3], 0 offset:220
	s_mov_b32 s4, exec_lo
	s_waitcnt vmcnt(50) lgkmcnt(3)
	v_mul_f32_e32 v197, v6, v150
	v_mul_f32_e32 v198, v5, v150
	s_waitcnt vmcnt(49)
	v_mul_f32_e32 v199, v7, v151
	v_mul_f32_e32 v150, v8, v151
	s_waitcnt vmcnt(46)
	v_fma_f32 v197, v5, v153, -v197
	v_fmac_f32_e32 v198, v6, v153
	v_fmac_f32_e32 v199, v8, v152
	v_fma_f32 v201, v7, v152, -v150
	ds_read_b128 v[5:8], v1 offset:800
	ds_read_b128 v[150:153], v1 offset:816
	s_waitcnt vmcnt(45) lgkmcnt(4)
	v_mul_f32_e32 v202, v9, v155
	v_mul_f32_e32 v155, v10, v155
	s_waitcnt vmcnt(43) lgkmcnt(3)
	v_mul_f32_e32 v204, v142, v157
	v_mul_f32_e32 v157, v143, v157
	;; [unrolled: 1-line block ×3, first 2 shown]
	v_fmac_f32_e32 v202, v10, v154
	v_fma_f32 v154, v9, v154, -v155
	s_waitcnt vmcnt(42)
	v_mul_f32_e32 v9, v145, v158
	v_mul_f32_e32 v156, v12, v156
	;; [unrolled: 1-line block ×3, first 2 shown]
	s_waitcnt vmcnt(39)
	v_fmac_f32_e32 v204, v143, v161
	v_fma_f32 v142, v142, v161, -v157
	v_fma_f32 v143, v144, v160, -v9
	s_waitcnt vmcnt(37) lgkmcnt(2)
	v_mul_f32_e32 v144, v146, v163
	v_mul_f32_e32 v9, v147, v163
	s_waitcnt vmcnt(36)
	v_mul_f32_e32 v157, v148, v164
	v_mul_f32_e32 v10, v149, v164
	v_fmac_f32_e32 v203, v12, v162
	v_fma_f32 v156, v11, v162, -v156
	s_clause 0x3
	buffer_load_dword v162, off, s[0:3], 0 offset:444
	buffer_load_dword v205, off, s[0:3], 0 offset:452
	;; [unrolled: 1-line block ×4, first 2 shown]
	v_fmac_f32_e32 v155, v145, v160
	s_clause 0x4
	buffer_load_dword v208, off, s[0:3], 0 offset:476
	buffer_load_dword v209, off, s[0:3], 0 offset:484
	;; [unrolled: 1-line block ×5, first 2 shown]
	v_fmac_f32_e32 v144, v147, v159
	v_fma_f32 v145, v146, v159, -v9
	s_waitcnt vmcnt(44) lgkmcnt(1)
	v_mul_f32_e32 v146, v5, v165
	v_mul_f32_e32 v9, v6, v165
	s_waitcnt vmcnt(40)
	v_fmac_f32_e32 v157, v149, v169
	v_fma_f32 v147, v148, v169, -v10
	s_waitcnt vmcnt(39)
	v_mul_f32_e32 v158, v7, v170
	v_mul_f32_e32 v10, v8, v170
	s_clause 0x3
	buffer_load_dword v164, off, s[0:3], 0 offset:432
	buffer_load_dword v165, off, s[0:3], 0 offset:424
	;; [unrolled: 1-line block ×4, first 2 shown]
	v_fmac_f32_e32 v146, v6, v168
	v_fma_f32 v148, v5, v168, -v9
	v_fmac_f32_e32 v158, v8, v167
	v_fma_f32 v159, v7, v167, -v10
	ds_read_b128 v[5:8], v1 offset:832
	s_waitcnt vmcnt(42) lgkmcnt(1)
	v_mul_f32_e32 v160, v150, v171
	v_mul_f32_e32 v9, v151, v171
	s_waitcnt vmcnt(41)
	v_mul_f32_e32 v161, v152, v172
	v_mul_f32_e32 v10, v153, v172
	v_fmac_f32_e32 v160, v151, v166
	v_fma_f32 v150, v150, v166, -v9
	s_clause 0x3
	buffer_load_dword v166, off, s[0:3], 0 offset:464
	buffer_load_dword v167, off, s[0:3], 0 offset:456
	buffer_load_dword v168, off, s[0:3], 0 offset:448
	buffer_load_dword v171, off, s[0:3], 0 offset:440
	v_add_f32_e32 v9, 0, v197
	s_waitcnt vmcnt(41)
	v_fmac_f32_e32 v161, v153, v176
	v_fma_f32 v151, v152, v176, -v10
	v_add_f32_e32 v10, 0, v198
	v_add_f32_e32 v149, v9, v201
	;; [unrolled: 1-line block ×3, first 2 shown]
	ds_read_b128 v[9:12], v1 offset:848
	v_add_f32_e32 v149, v149, v154
	s_waitcnt vmcnt(40) lgkmcnt(1)
	v_mul_f32_e32 v154, v5, v177
	v_mul_f32_e32 v153, v6, v177
	v_add_f32_e32 v152, v152, v202
	s_waitcnt vmcnt(39)
	v_mul_f32_e32 v201, v7, v178
	v_fmac_f32_e32 v154, v6, v175
	v_fma_f32 v172, v5, v175, -v153
	s_clause 0x5
	buffer_load_dword v175, off, s[0:3], 0 offset:496
	buffer_load_dword v176, off, s[0:3], 0 offset:488
	;; [unrolled: 1-line block ×6, first 2 shown]
	v_add_f32_e32 v5, v149, v156
	v_add_f32_e32 v6, v152, v203
	v_fmac_f32_e32 v201, v8, v174
	v_add_f32_e32 v5, v5, v142
	v_add_f32_e32 v6, v6, v204
	v_mul_f32_e32 v142, v8, v178
	s_waitcnt vmcnt(43) lgkmcnt(0)
	v_mul_f32_e32 v153, v12, v180
	v_mul_f32_e32 v178, v9, v179
	v_add_f32_e32 v5, v5, v143
	v_add_f32_e32 v143, v6, v155
	v_fma_f32 v174, v7, v174, -v142
	v_fmac_f32_e32 v178, v10, v173
	v_add_f32_e32 v149, v5, v145
	ds_read_b128 v[5:8], v1 offset:864
	v_add_f32_e32 v152, v143, v144
	ds_read_b128 v[142:145], v1 offset:880
	v_add_f32_e32 v147, v149, v147
	v_mul_f32_e32 v149, v10, v179
	v_add_f32_e32 v152, v152, v157
	v_mul_f32_e32 v179, v11, v180
	s_waitcnt vmcnt(39)
	v_fma_f32 v180, v11, v184, -v153
	v_add_f32_e32 v155, v147, v148
	v_fma_f32 v173, v9, v173, -v149
	v_add_f32_e32 v152, v152, v146
	v_fmac_f32_e32 v179, v12, v184
	ds_read_b128 v[9:12], v1 offset:896
	ds_read_b128 v[146:149], v1 offset:912
	v_add_f32_e32 v153, v155, v159
	v_add_f32_e32 v152, v152, v158
	;; [unrolled: 1-line block ×3, first 2 shown]
	s_waitcnt vmcnt(38) lgkmcnt(3)
	v_mul_f32_e32 v184, v5, v185
	v_mul_f32_e32 v155, v6, v185
	s_waitcnt vmcnt(37)
	v_mul_f32_e32 v185, v7, v186
	v_mul_f32_e32 v156, v8, v186
	v_add_f32_e32 v152, v152, v160
	v_fmac_f32_e32 v184, v6, v183
	v_fma_f32 v183, v5, v183, -v155
	v_add_f32_e32 v155, v150, v151
	v_fmac_f32_e32 v185, v8, v182
	v_fma_f32 v182, v7, v182, -v156
	v_add_f32_e32 v156, v152, v161
	s_waitcnt vmcnt(35) lgkmcnt(2)
	v_mul_f32_e32 v158, v145, v188
	v_add_f32_e32 v159, v155, v172
	s_waitcnt vmcnt(30) lgkmcnt(1)
	v_mul_f32_e32 v160, v10, v190
	v_mul_f32_e32 v186, v142, v187
	;; [unrolled: 1-line block ×3, first 2 shown]
	s_waitcnt vmcnt(24)
	v_fma_f32 v172, v144, v196, -v158
	v_add_f32_e32 v158, v156, v154
	v_add_f32_e32 v159, v159, v174
	v_mul_f32_e32 v174, v9, v190
	v_fmac_f32_e32 v186, v143, v181
	v_fma_f32 v181, v142, v181, -v157
	v_add_f32_e32 v158, v158, v201
	v_mul_f32_e32 v187, v144, v188
	v_fmac_f32_e32 v174, v10, v195
	v_add_f32_e32 v10, v159, v173
	ds_read_b128 v[5:8], v1 offset:928
	ds_read_b128 v[150:153], v1 offset:944
	v_add_f32_e32 v158, v158, v178
	v_fmac_f32_e32 v187, v145, v196
	v_mul_f32_e32 v161, v12, v191
	v_add_f32_e32 v180, v10, v180
	v_fma_f32 v173, v9, v195, -v160
	v_add_f32_e32 v179, v158, v179
	v_mul_f32_e32 v188, v11, v191
	v_fma_f32 v178, v11, v194, -v161
	v_add_f32_e32 v180, v180, v183
	s_waitcnt lgkmcnt(2)
	v_mul_f32_e32 v183, v147, v192
	v_add_f32_e32 v179, v179, v184
	ds_read_b128 v[142:145], v1 offset:960
	ds_read_b128 v[154:157], v1 offset:976
	v_fmac_f32_e32 v188, v12, v194
	v_add_f32_e32 v180, v180, v182
	ds_read_b128 v[9:12], v1 offset:992
	ds_read_b128 v[158:161], v1 offset:1008
	v_add_f32_e32 v179, v179, v185
	v_mul_f32_e32 v1, v146, v192
	v_mul_f32_e32 v184, v148, v189
	v_add_f32_e32 v180, v180, v181
	v_mul_f32_e32 v189, v149, v189
	v_add_f32_e32 v179, v179, v186
	v_fma_f32 v146, v146, v193, -v183
	v_fmac_f32_e32 v1, v147, v193
	v_add_f32_e32 v172, v180, v172
	s_waitcnt lgkmcnt(5)
	v_mul_f32_e32 v182, v5, v4
	v_add_f32_e32 v179, v179, v187
	v_mul_f32_e32 v4, v6, v4
	v_mul_f32_e32 v185, v7, v3
	v_add_f32_e32 v172, v172, v173
	v_mul_f32_e32 v3, v8, v3
	v_add_f32_e32 v174, v179, v174
	s_waitcnt lgkmcnt(4)
	v_mul_f32_e32 v190, v150, v2
	v_mul_f32_e32 v2, v151, v2
	v_add_f32_e32 v172, v172, v178
	v_add_f32_e32 v174, v174, v188
	;; [unrolled: 1-line block ×4, first 2 shown]
	s_waitcnt vmcnt(22)
	v_mul_f32_e32 v181, v152, v162
	s_waitcnt vmcnt(21) lgkmcnt(3)
	v_mul_f32_e32 v186, v142, v205
	s_waitcnt vmcnt(20)
	v_mul_f32_e32 v191, v144, v206
	s_waitcnt vmcnt(19) lgkmcnt(2)
	v_mul_f32_e32 v180, v154, v207
	;; [unrolled: 4-line block ×4, first 2 shown]
	s_waitcnt vmcnt(14)
	v_mul_f32_e32 v147, v160, v163
	s_waitcnt vmcnt(13)
	v_fma_f32 v2, v150, v164, -v2
	s_waitcnt vmcnt(12)
	v_fma_f32 v3, v7, v165, -v3
	;; [unrolled: 2-line block ×4, first 2 shown]
	v_fmac_f32_e32 v184, v149, v170
	v_fmac_f32_e32 v182, v6, v169
	;; [unrolled: 1-line block ×4, first 2 shown]
	v_add_f32_e32 v5, v146, v148
	v_add_f32_e32 v1, v1, v184
	;; [unrolled: 1-line block ×4, first 2 shown]
	v_mul_f32_e32 v5, v153, v162
	s_waitcnt vmcnt(6)
	v_fmac_f32_e32 v181, v153, v171
	v_fmac_f32_e32 v186, v143, v168
	v_add_f32_e32 v3, v4, v3
	v_add_f32_e32 v1, v1, v185
	v_mul_f32_e32 v4, v143, v205
	v_fma_f32 v5, v152, v171, -v5
	v_fmac_f32_e32 v191, v145, v167
	v_add_f32_e32 v2, v3, v2
	v_add_f32_e32 v1, v1, v190
	v_mul_f32_e32 v3, v145, v206
	v_fma_f32 v4, v142, v168, -v4
	;; [unrolled: 5-line block ×3, first 2 shown]
	s_waitcnt vmcnt(5)
	v_fmac_f32_e32 v179, v159, v175
	v_add_f32_e32 v2, v2, v4
	v_add_f32_e32 v1, v1, v186
	v_mul_f32_e32 v4, v157, v208
	v_fma_f32 v5, v154, v166, -v5
	s_waitcnt vmcnt(2)
	v_fmac_f32_e32 v187, v157, v197
	v_add_f32_e32 v2, v2, v3
	v_add_f32_e32 v1, v1, v191
	v_mul_f32_e32 v3, v10, v209
	v_fma_f32 v4, v156, v197, -v4
	v_fmac_f32_e32 v192, v10, v177
	v_add_f32_e32 v2, v2, v5
	v_add_f32_e32 v1, v1, v180
	v_mul_f32_e32 v5, v12, v210
	v_fma_f32 v3, v9, v177, -v3
	;; [unrolled: 5-line block ×3, first 2 shown]
	s_waitcnt vmcnt(1)
	v_fmac_f32_e32 v147, v161, v198
	v_add_f32_e32 v2, v2, v3
	v_add_f32_e32 v1, v1, v192
	v_mul_f32_e32 v3, v161, v163
	v_fma_f32 v4, v158, v175, -v4
	v_add_f32_e32 v2, v2, v5
	v_add_f32_e32 v1, v1, v173
	v_fma_f32 v3, v160, v198, -v3
	v_add_f32_e32 v2, v2, v4
	v_add_f32_e32 v1, v1, v179
	;; [unrolled: 1-line block ×4, first 2 shown]
	s_waitcnt vmcnt(0)
	v_sub_f32_e32 v2, v199, v2
	v_sub_f32_e32 v1, v200, v1
	buffer_store_dword v2, off, s[0:3], 0 offset:216
	buffer_store_dword v1, off, s[0:3], 0 offset:220
	v_cmpx_lt_u32_e32 26, v0
	s_cbranch_execz .LBB63_345
; %bb.344:
	s_clause 0x1
	buffer_load_dword v1, off, s[0:3], 0 offset:208
	buffer_load_dword v2, off, s[0:3], 0 offset:212
	v_mov_b32_e32 v3, 0
	buffer_store_dword v3, off, s[0:3], 0 offset:208
	buffer_store_dword v3, off, s[0:3], 0 offset:212
	s_waitcnt vmcnt(0)
	ds_write_b64 v141, v[1:2]
.LBB63_345:
	s_or_b32 exec_lo, exec_lo, s4
	s_waitcnt lgkmcnt(0)
	s_waitcnt_vscnt null, 0x0
	s_barrier
	buffer_gl0_inv
	s_clause 0x25
	buffer_load_dword v2, off, s[0:3], 0 offset:220
	buffer_load_dword v3, off, s[0:3], 0 offset:228
	;; [unrolled: 1-line block ×38, first 2 shown]
	v_mov_b32_e32 v1, 0
	ds_read2_b64 v[4:7], v1 offset0:91 offset1:92
	ds_read2_b64 v[8:11], v1 offset0:93 offset1:94
	s_clause 0x10
	buffer_load_dword v185, off, s[0:3], 0 offset:372
	buffer_load_dword v186, off, s[0:3], 0 offset:380
	;; [unrolled: 1-line block ×17, first 2 shown]
	ds_read2_b64 v[142:145], v1 offset0:95 offset1:96
	ds_read2_b64 v[146:149], v1 offset0:97 offset1:98
	s_mov_b32 s4, exec_lo
	s_waitcnt vmcnt(54) lgkmcnt(3)
	v_mul_f32_e32 v202, v5, v2
	v_mul_f32_e32 v203, v4, v2
	s_waitcnt vmcnt(53)
	v_mul_f32_e32 v204, v6, v3
	v_mul_f32_e32 v2, v7, v3
	s_waitcnt vmcnt(52) lgkmcnt(2)
	v_mul_f32_e32 v205, v8, v12
	v_mul_f32_e32 v3, v9, v12
	s_waitcnt vmcnt(49)
	v_fma_f32 v12, v4, v152, -v202
	s_waitcnt vmcnt(48)
	v_mul_f32_e32 v4, v11, v153
	v_fmac_f32_e32 v203, v5, v152
	v_mul_f32_e32 v152, v10, v153
	v_fmac_f32_e32 v204, v7, v151
	v_fma_f32 v151, v6, v151, -v2
	v_fmac_f32_e32 v205, v9, v150
	v_fma_f32 v150, v8, v150, -v3
	s_waitcnt vmcnt(44)
	v_fma_f32 v10, v10, v157, -v4
	ds_read2_b64 v[2:5], v1 offset0:99 offset1:100
	ds_read2_b64 v[6:9], v1 offset0:101 offset1:102
	v_fmac_f32_e32 v152, v11, v157
	s_waitcnt vmcnt(43) lgkmcnt(3)
	v_mul_f32_e32 v11, v142, v158
	v_mul_f32_e32 v153, v143, v158
	s_waitcnt vmcnt(42)
	v_mul_f32_e32 v157, v144, v159
	v_mul_f32_e32 v158, v145, v159
	s_waitcnt vmcnt(41) lgkmcnt(2)
	v_mul_f32_e32 v159, v146, v160
	v_mul_f32_e32 v160, v147, v160
	v_fmac_f32_e32 v11, v143, v156
	v_fma_f32 v142, v142, v156, -v153
	s_waitcnt vmcnt(40)
	v_mul_f32_e32 v143, v148, v161
	v_mul_f32_e32 v153, v149, v161
	v_fmac_f32_e32 v157, v145, v155
	v_fma_f32 v144, v144, v155, -v158
	v_fmac_f32_e32 v159, v147, v154
	v_fma_f32 v145, v146, v154, -v160
	s_waitcnt vmcnt(36)
	v_fmac_f32_e32 v143, v149, v165
	v_fma_f32 v146, v148, v165, -v153
	s_clause 0x3
	buffer_load_dword v202, off, s[0:3], 0 offset:436
	buffer_load_dword v206, off, s[0:3], 0 offset:444
	;; [unrolled: 1-line block ×4, first 2 shown]
	s_waitcnt vmcnt(39) lgkmcnt(1)
	v_mul_f32_e32 v147, v2, v166
	v_mul_f32_e32 v148, v3, v166
	s_waitcnt vmcnt(38)
	v_mul_f32_e32 v149, v4, v167
	v_mul_f32_e32 v153, v5, v167
	s_waitcnt vmcnt(37) lgkmcnt(0)
	v_mul_f32_e32 v155, v7, v168
	s_clause 0x3
	buffer_load_dword v165, off, s[0:3], 0 offset:468
	buffer_load_dword v209, off, s[0:3], 0 offset:476
	;; [unrolled: 1-line block ×4, first 2 shown]
	v_fmac_f32_e32 v147, v3, v164
	v_fma_f32 v148, v2, v164, -v148
	v_mul_f32_e32 v154, v6, v168
	v_fmac_f32_e32 v149, v5, v163
	v_fma_f32 v153, v4, v163, -v153
	ds_read2_b64 v[2:5], v1 offset0:103 offset1:104
	v_fma_f32 v155, v6, v162, -v155
	s_waitcnt vmcnt(40)
	v_mul_f32_e32 v6, v9, v169
	s_clause 0x1
	buffer_load_dword v166, off, s[0:3], 0 offset:500
	buffer_load_dword v163, off, s[0:3], 0 offset:508
	v_fmac_f32_e32 v154, v7, v162
	v_mul_f32_e32 v156, v8, v169
	s_waitcnt vmcnt(38)
	v_fma_f32 v158, v8, v173, -v6
	v_add_f32_e32 v6, 0, v12
	s_clause 0x3
	buffer_load_dword v12, off, s[0:3], 0 offset:456
	buffer_load_dword v162, off, s[0:3], 0 offset:448
	;; [unrolled: 1-line block ×4, first 2 shown]
	v_add_f32_e32 v7, 0, v203
	v_fmac_f32_e32 v156, v9, v173
	v_add_f32_e32 v6, v6, v151
	v_add_f32_e32 v151, v7, v204
	;; [unrolled: 1-line block ×3, first 2 shown]
	ds_read2_b64 v[6:9], v1 offset0:105 offset1:106
	s_waitcnt vmcnt(41) lgkmcnt(1)
	v_mul_f32_e32 v160, v2, v174
	v_mul_f32_e32 v161, v3, v174
	v_add_f32_e32 v151, v151, v205
	v_add_f32_e32 v10, v150, v10
	v_fmac_f32_e32 v160, v3, v172
	v_fma_f32 v150, v2, v172, -v161
	s_clause 0x6
	buffer_load_dword v168, off, s[0:3], 0 offset:488
	buffer_load_dword v169, off, s[0:3], 0 offset:480
	buffer_load_dword v172, off, s[0:3], 0 offset:472
	buffer_load_dword v173, off, s[0:3], 0 offset:464
	buffer_load_dword v174, off, s[0:3], 0 offset:504
	buffer_load_dword v203, off, s[0:3], 0 offset:496
	buffer_load_dword v204, off, s[0:3], 0 offset:208
	v_add_f32_e32 v2, v151, v152
	v_add_f32_e32 v3, v10, v142
	s_waitcnt vmcnt(47)
	v_mul_f32_e32 v10, v4, v175
	v_add_f32_e32 v2, v2, v11
	v_add_f32_e32 v3, v3, v144
	v_mul_f32_e32 v11, v5, v175
	v_fmac_f32_e32 v10, v5, v171
	s_waitcnt vmcnt(45) lgkmcnt(0)
	v_mul_f32_e32 v161, v8, v177
	v_add_f32_e32 v2, v2, v157
	v_add_f32_e32 v3, v3, v145
	v_fma_f32 v11, v4, v171, -v11
	s_waitcnt vmcnt(41)
	v_fmac_f32_e32 v161, v9, v181
	v_add_f32_e32 v142, v2, v159
	v_add_f32_e32 v146, v3, v146
	ds_read2_b64 v[2:5], v1 offset0:107 offset1:108
	v_mul_f32_e32 v159, v6, v176
	v_add_f32_e32 v151, v142, v143
	v_add_f32_e32 v146, v146, v148
	v_mul_f32_e32 v148, v7, v176
	ds_read2_b64 v[142:145], v1 offset0:109 offset1:110
	v_fmac_f32_e32 v159, v7, v170
	v_add_f32_e32 v147, v151, v147
	v_mul_f32_e32 v151, v9, v177
	v_add_f32_e32 v152, v146, v153
	v_fma_f32 v170, v6, v170, -v148
	v_fma_f32 v171, v8, v181, -v151
	v_add_f32_e32 v151, v147, v149
	v_add_f32_e32 v152, v152, v155
	ds_read2_b64 v[6:9], v1 offset0:111 offset1:112
	ds_read2_b64 v[146:149], v1 offset0:113 offset1:114
	v_add_f32_e32 v151, v151, v154
	s_waitcnt vmcnt(39) lgkmcnt(3)
	v_mul_f32_e32 v176, v4, v183
	v_mul_f32_e32 v154, v5, v183
	v_add_f32_e32 v152, v152, v158
	v_mul_f32_e32 v153, v3, v182
	v_add_f32_e32 v151, v151, v156
	v_fmac_f32_e32 v176, v5, v179
	v_fma_f32 v179, v4, v179, -v154
	v_add_f32_e32 v154, v152, v150
	v_mul_f32_e32 v175, v2, v182
	v_add_f32_e32 v156, v151, v160
	v_fma_f32 v158, v2, v180, -v153
	s_waitcnt vmcnt(38) lgkmcnt(2)
	v_mul_f32_e32 v177, v142, v184
	v_add_f32_e32 v11, v154, v11
	v_fmac_f32_e32 v175, v3, v180
	v_add_f32_e32 v10, v156, v10
	v_mul_f32_e32 v155, v143, v184
	s_waitcnt vmcnt(37)
	v_mul_f32_e32 v157, v145, v185
	v_add_f32_e32 v11, v11, v170
	s_waitcnt vmcnt(36) lgkmcnt(1)
	v_mul_f32_e32 v170, v6, v186
	v_add_f32_e32 v10, v10, v159
	v_mul_f32_e32 v159, v7, v186
	v_fmac_f32_e32 v177, v143, v178
	v_fma_f32 v178, v142, v178, -v155
	s_waitcnt vmcnt(31)
	v_fmac_f32_e32 v170, v7, v191
	v_add_f32_e32 v7, v11, v171
	v_add_f32_e32 v10, v10, v161
	v_mul_f32_e32 v181, v144, v185
	s_waitcnt vmcnt(30)
	v_fma_f32 v180, v144, v192, -v157
	ds_read2_b64 v[2:5], v1 offset0:115 offset1:116
	ds_read2_b64 v[150:153], v1 offset0:117 offset1:118
	v_add_f32_e32 v184, v7, v158
	v_add_f32_e32 v175, v10, v175
	v_fmac_f32_e32 v181, v145, v192
	v_mul_f32_e32 v160, v9, v187
	v_fma_f32 v171, v6, v191, -v159
	v_add_f32_e32 v179, v184, v179
	v_add_f32_e32 v175, v175, v176
	v_mul_f32_e32 v182, v8, v187
	v_fma_f32 v183, v8, v190, -v160
	s_waitcnt lgkmcnt(2)
	v_mul_f32_e32 v185, v147, v188
	v_add_f32_e32 v178, v179, v178
	v_add_f32_e32 v175, v175, v177
	v_fmac_f32_e32 v182, v9, v190
	v_mul_f32_e32 v184, v146, v188
	s_waitcnt vmcnt(29)
	v_mul_f32_e32 v186, v149, v193
	v_add_f32_e32 v178, v178, v180
	v_add_f32_e32 v175, v175, v181
	v_fma_f32 v146, v146, v189, -v185
	v_mul_f32_e32 v176, v148, v193
	v_fmac_f32_e32 v184, v147, v189
	v_add_f32_e32 v171, v178, v171
	v_add_f32_e32 v170, v175, v170
	s_waitcnt vmcnt(28) lgkmcnt(1)
	v_mul_f32_e32 v179, v2, v194
	v_mul_f32_e32 v185, v3, v194
	s_waitcnt vmcnt(22)
	v_fma_f32 v148, v148, v200, -v186
	v_add_f32_e32 v171, v171, v183
	v_add_f32_e32 v170, v170, v182
	ds_read2_b64 v[142:145], v1 offset0:119 offset1:120
	ds_read2_b64 v[154:157], v1 offset0:121 offset1:122
	v_fmac_f32_e32 v176, v149, v200
	v_mul_f32_e32 v182, v5, v195
	v_add_f32_e32 v146, v171, v146
	v_add_f32_e32 v170, v170, v184
	v_fmac_f32_e32 v179, v3, v199
	v_fma_f32 v2, v2, v199, -v185
	v_mul_f32_e32 v177, v4, v195
	v_add_f32_e32 v3, v146, v148
	v_add_f32_e32 v146, v170, v176
	s_waitcnt lgkmcnt(2)
	v_mul_f32_e32 v148, v151, v196
	v_fma_f32 v4, v4, v198, -v182
	v_mul_f32_e32 v147, v150, v196
	v_add_f32_e32 v2, v3, v2
	v_fmac_f32_e32 v177, v5, v198
	v_add_f32_e32 v3, v146, v179
	v_fma_f32 v146, v150, v197, -v148
	v_fmac_f32_e32 v147, v151, v197
	v_add_f32_e32 v2, v2, v4
	ds_read2_b64 v[6:9], v1 offset0:123 offset1:124
	ds_read2_b64 v[158:161], v1 offset0:125 offset1:126
	ds_read_b64 v[10:11], v1 offset:1016
	v_add_f32_e32 v3, v3, v177
	v_add_f32_e32 v2, v2, v146
	;; [unrolled: 1-line block ×3, first 2 shown]
	s_waitcnt vmcnt(20)
	v_mul_f32_e32 v5, v153, v202
	v_mul_f32_e32 v180, v152, v202
	s_waitcnt vmcnt(19) lgkmcnt(4)
	v_mul_f32_e32 v4, v143, v206
	v_mul_f32_e32 v181, v142, v206
	s_waitcnt vmcnt(18)
	v_mul_f32_e32 v146, v145, v207
	v_mul_f32_e32 v149, v144, v207
	s_waitcnt vmcnt(17) lgkmcnt(3)
	v_mul_f32_e32 v186, v154, v208
	s_waitcnt vmcnt(16)
	v_mul_f32_e32 v175, v156, v165
	s_waitcnt vmcnt(15) lgkmcnt(2)
	v_mul_f32_e32 v178, v6, v209
	s_waitcnt vmcnt(14)
	v_mul_f32_e32 v187, v8, v210
	s_waitcnt vmcnt(13) lgkmcnt(1)
	v_mul_f32_e32 v183, v158, v211
	s_waitcnt vmcnt(12)
	v_mul_f32_e32 v188, v160, v166
	s_waitcnt vmcnt(11) lgkmcnt(0)
	v_mul_f32_e32 v171, v10, v163
	s_waitcnt vmcnt(10)
	v_fmac_f32_e32 v186, v155, v12
	s_waitcnt vmcnt(9)
	v_fmac_f32_e32 v149, v145, v162
	s_waitcnt vmcnt(8)
	v_fma_f32 v4, v142, v164, -v4
	s_waitcnt vmcnt(7)
	v_fma_f32 v5, v152, v167, -v5
	v_fmac_f32_e32 v180, v153, v167
	v_fmac_f32_e32 v181, v143, v164
	v_fma_f32 v142, v144, v162, -v146
	v_add_f32_e32 v2, v2, v5
	v_add_f32_e32 v3, v3, v180
	v_mul_f32_e32 v5, v155, v208
	v_add_f32_e32 v2, v2, v4
	v_add_f32_e32 v3, v3, v181
	v_mul_f32_e32 v4, v157, v165
	v_fma_f32 v5, v154, v12, -v5
	v_mul_f32_e32 v12, v7, v209
	v_add_f32_e32 v2, v2, v142
	v_add_f32_e32 v3, v3, v149
	s_waitcnt vmcnt(4)
	v_fmac_f32_e32 v178, v7, v172
	s_waitcnt vmcnt(3)
	v_fma_f32 v4, v156, v173, -v4
	v_fmac_f32_e32 v175, v157, v173
	v_add_f32_e32 v2, v2, v5
	v_add_f32_e32 v3, v3, v186
	v_mul_f32_e32 v5, v9, v210
	v_fma_f32 v6, v6, v172, -v12
	v_fmac_f32_e32 v187, v9, v169
	v_add_f32_e32 v2, v2, v4
	v_add_f32_e32 v3, v3, v175
	v_mul_f32_e32 v4, v159, v211
	;; [unrolled: 5-line block ×3, first 2 shown]
	v_fma_f32 v4, v158, v168, -v4
	s_waitcnt vmcnt(1)
	v_fmac_f32_e32 v188, v161, v203
	v_add_f32_e32 v2, v2, v5
	v_add_f32_e32 v3, v3, v187
	v_mul_f32_e32 v5, v11, v163
	v_fma_f32 v6, v160, v203, -v6
	v_fmac_f32_e32 v171, v11, v174
	v_add_f32_e32 v2, v2, v4
	v_add_f32_e32 v3, v3, v183
	v_fma_f32 v4, v10, v174, -v5
	v_add_f32_e32 v2, v2, v6
	v_add_f32_e32 v3, v3, v188
	;; [unrolled: 1-line block ×4, first 2 shown]
	s_waitcnt vmcnt(0)
	v_sub_f32_e32 v2, v204, v2
	v_sub_f32_e32 v3, v201, v3
	buffer_store_dword v2, off, s[0:3], 0 offset:208
	buffer_store_dword v3, off, s[0:3], 0 offset:212
	v_cmpx_lt_u32_e32 25, v0
	s_cbranch_execz .LBB63_347
; %bb.346:
	s_clause 0x1
	buffer_load_dword v2, off, s[0:3], 0 offset:200
	buffer_load_dword v3, off, s[0:3], 0 offset:204
	buffer_store_dword v1, off, s[0:3], 0 offset:200
	buffer_store_dword v1, off, s[0:3], 0 offset:204
	s_waitcnt vmcnt(0)
	ds_write_b64 v141, v[2:3]
.LBB63_347:
	s_or_b32 exec_lo, exec_lo, s4
	s_waitcnt lgkmcnt(0)
	s_waitcnt_vscnt null, 0x0
	s_barrier
	buffer_gl0_inv
	s_clause 0x1e
	buffer_load_dword v2, off, s[0:3], 0 offset:212
	buffer_load_dword v3, off, s[0:3], 0 offset:220
	;; [unrolled: 1-line block ×31, first 2 shown]
	ds_read_b128 v[4:7], v1 offset:720
	s_clause 0x3
	buffer_load_dword v186, off, s[0:3], 0 offset:352
	buffer_load_dword v187, off, s[0:3], 0 offset:344
	;; [unrolled: 1-line block ×4, first 2 shown]
	ds_read_b128 v[8:11], v1 offset:736
	s_clause 0xa
	buffer_load_dword v190, off, s[0:3], 0 offset:340
	buffer_load_dword v191, off, s[0:3], 0 offset:348
	;; [unrolled: 1-line block ×11, first 2 shown]
	ds_read_b128 v[142:145], v1 offset:752
	ds_read_b128 v[146:149], v1 offset:768
	;; [unrolled: 1-line block ×4, first 2 shown]
	buffer_load_dword v201, off, s[0:3], 0 offset:204
	s_mov_b32 s4, exec_lo
	s_waitcnt vmcnt(46) lgkmcnt(5)
	v_mul_f32_e32 v202, v5, v2
	v_mul_f32_e32 v203, v4, v2
	s_waitcnt vmcnt(45)
	v_mul_f32_e32 v204, v6, v3
	v_mul_f32_e32 v2, v7, v3
	s_waitcnt vmcnt(44) lgkmcnt(4)
	v_mul_f32_e32 v205, v8, v12
	v_mul_f32_e32 v3, v9, v12
	s_waitcnt vmcnt(41)
	v_fma_f32 v12, v4, v160, -v202
	v_fmac_f32_e32 v203, v5, v160
	s_waitcnt vmcnt(40)
	v_mul_f32_e32 v160, v10, v161
	v_mul_f32_e32 v4, v11, v161
	v_fmac_f32_e32 v204, v7, v159
	s_waitcnt vmcnt(35) lgkmcnt(3)
	v_mul_f32_e32 v161, v143, v166
	v_fma_f32 v159, v6, v159, -v2
	v_fmac_f32_e32 v160, v11, v165
	v_mul_f32_e32 v11, v142, v166
	v_fma_f32 v10, v10, v165, -v4
	s_waitcnt vmcnt(34)
	v_mul_f32_e32 v165, v144, v167
	v_mul_f32_e32 v166, v145, v167
	s_waitcnt vmcnt(33) lgkmcnt(2)
	v_mul_f32_e32 v167, v146, v168
	v_mul_f32_e32 v168, v147, v168
	v_fmac_f32_e32 v11, v143, v164
	v_fma_f32 v142, v142, v164, -v161
	s_waitcnt vmcnt(32)
	v_mul_f32_e32 v143, v148, v169
	v_mul_f32_e32 v161, v149, v169
	v_fmac_f32_e32 v205, v9, v158
	v_fma_f32 v158, v8, v158, -v3
	ds_read_b128 v[2:5], v1 offset:816
	ds_read_b128 v[6:9], v1 offset:832
	v_fmac_f32_e32 v165, v145, v163
	v_fma_f32 v144, v144, v163, -v166
	v_fmac_f32_e32 v167, v147, v162
	v_fma_f32 v145, v146, v162, -v168
	s_waitcnt vmcnt(28)
	v_fmac_f32_e32 v143, v149, v173
	v_fma_f32 v146, v148, v173, -v161
	s_clause 0x7
	buffer_load_dword v161, off, s[0:3], 0 offset:396
	buffer_load_dword v162, off, s[0:3], 0 offset:404
	;; [unrolled: 1-line block ×8, first 2 shown]
	s_waitcnt vmcnt(35) lgkmcnt(3)
	v_mul_f32_e32 v147, v150, v174
	v_mul_f32_e32 v148, v151, v174
	s_waitcnt vmcnt(34)
	v_mul_f32_e32 v149, v152, v175
	v_mul_f32_e32 v174, v153, v175
	s_waitcnt vmcnt(33) lgkmcnt(2)
	v_mul_f32_e32 v175, v154, v176
	v_mul_f32_e32 v176, v155, v176
	v_fmac_f32_e32 v147, v151, v172
	v_fma_f32 v148, v150, v172, -v148
	s_waitcnt vmcnt(32)
	v_mul_f32_e32 v150, v156, v177
	v_mul_f32_e32 v151, v157, v177
	v_fmac_f32_e32 v149, v153, v171
	v_fmac_f32_e32 v175, v155, v170
	v_fma_f32 v153, v154, v170, -v176
	s_waitcnt vmcnt(28)
	v_fmac_f32_e32 v150, v157, v181
	v_fma_f32 v151, v156, v181, -v151
	s_waitcnt vmcnt(27) lgkmcnt(1)
	v_mul_f32_e32 v154, v2, v182
	v_mul_f32_e32 v155, v3, v182
	s_waitcnt vmcnt(26)
	v_mul_f32_e32 v156, v4, v183
	v_mul_f32_e32 v157, v5, v183
	v_fma_f32 v152, v152, v171, -v174
	s_clause 0x8
	buffer_load_dword v171, off, s[0:3], 0 offset:428
	buffer_load_dword v172, off, s[0:3], 0 offset:436
	buffer_load_dword v174, off, s[0:3], 0 offset:444
	buffer_load_dword v177, off, s[0:3], 0 offset:452
	buffer_load_dword v170, off, s[0:3], 0 offset:460
	buffer_load_dword v176, off, s[0:3], 0 offset:468
	buffer_load_dword v181, off, s[0:3], 0 offset:476
	buffer_load_dword v202, off, s[0:3], 0 offset:484
	buffer_load_dword v182, off, s[0:3], 0 offset:492
	v_fmac_f32_e32 v154, v3, v180
	v_fma_f32 v155, v2, v180, -v155
	buffer_load_dword v180, off, s[0:3], 0 offset:500
	v_fmac_f32_e32 v156, v5, v179
	v_fma_f32 v157, v4, v179, -v157
	s_clause 0x4
	buffer_load_dword v179, off, s[0:3], 0 offset:508
	buffer_load_dword v183, off, s[0:3], 0 offset:448
	;; [unrolled: 1-line block ×5, first 2 shown]
	v_add_f32_e32 v3, 0, v203
	v_add_f32_e32 v2, 0, v12
	s_waitcnt vmcnt(40) lgkmcnt(0)
	v_mul_f32_e32 v4, v7, v184
	v_add_f32_e32 v3, v3, v204
	v_add_f32_e32 v2, v2, v159
	v_fma_f32 v159, v6, v178, -v4
	v_add_f32_e32 v3, v3, v205
	s_clause 0x3
	buffer_load_dword v12, off, s[0:3], 0 offset:480
	buffer_load_dword v203, off, s[0:3], 0 offset:472
	;; [unrolled: 1-line block ×4, first 2 shown]
	v_add_f32_e32 v2, v2, v158
	v_mul_f32_e32 v158, v6, v184
	v_add_f32_e32 v3, v3, v160
	s_waitcnt vmcnt(43)
	v_mul_f32_e32 v160, v8, v185
	v_add_f32_e32 v2, v2, v10
	s_clause 0x2
	buffer_load_dword v10, off, s[0:3], 0 offset:504
	buffer_load_dword v209, off, s[0:3], 0 offset:496
	;; [unrolled: 1-line block ×3, first 2 shown]
	v_fmac_f32_e32 v158, v7, v178
	v_add_f32_e32 v3, v3, v11
	buffer_load_dword v11, off, s[0:3], 0 offset:200
	v_add_f32_e32 v2, v2, v142
	s_waitcnt vmcnt(43)
	v_fmac_f32_e32 v160, v9, v189
	v_add_f32_e32 v3, v3, v165
	v_add_f32_e32 v2, v2, v144
	;; [unrolled: 1-line block ×4, first 2 shown]
	ds_read_b128 v[2:5], v1 offset:848
	v_add_f32_e32 v143, v7, v143
	v_add_f32_e32 v142, v6, v146
	v_mul_f32_e32 v6, v9, v185
	v_add_f32_e32 v147, v143, v147
	v_add_f32_e32 v146, v142, v148
	v_fma_f32 v165, v8, v189, -v6
	ds_read_b128 v[6:9], v1 offset:864
	ds_read_b128 v[142:145], v1 offset:880
	v_add_f32_e32 v147, v147, v149
	v_add_f32_e32 v146, v146, v152
	v_add_f32_e32 v152, v146, v153
	s_waitcnt vmcnt(42) lgkmcnt(2)
	v_mul_f32_e32 v148, v3, v190
	v_mul_f32_e32 v167, v2, v190
	v_fma_f32 v178, v2, v188, -v148
	v_add_f32_e32 v2, v147, v175
	v_fmac_f32_e32 v167, v3, v188
	v_add_f32_e32 v3, v152, v151
	ds_read_b128 v[146:149], v1 offset:896
	s_waitcnt vmcnt(41)
	v_mul_f32_e32 v175, v4, v191
	v_add_f32_e32 v2, v2, v150
	s_waitcnt vmcnt(40) lgkmcnt(2)
	v_mul_f32_e32 v184, v6, v192
	v_mul_f32_e32 v150, v7, v192
	v_add_f32_e32 v3, v3, v155
	s_waitcnt vmcnt(38) lgkmcnt(1)
	v_mul_f32_e32 v188, v142, v194
	v_add_f32_e32 v2, v2, v154
	v_fmac_f32_e32 v184, v7, v186
	v_fma_f32 v186, v6, v186, -v150
	v_add_f32_e32 v6, v3, v157
	v_mul_f32_e32 v154, v143, v194
	v_add_f32_e32 v7, v2, v156
	s_waitcnt vmcnt(33)
	v_fmac_f32_e32 v188, v143, v199
	v_mul_f32_e32 v151, v5, v191
	v_add_f32_e32 v143, v6, v159
	v_fma_f32 v190, v142, v199, -v154
	v_add_f32_e32 v142, v7, v158
	v_fmac_f32_e32 v175, v5, v187
	v_fma_f32 v187, v4, v187, -v151
	v_add_f32_e32 v143, v143, v165
	s_waitcnt lgkmcnt(0)
	v_mul_f32_e32 v159, v147, v196
	v_add_f32_e32 v142, v142, v160
	v_mul_f32_e32 v191, v146, v196
	v_mul_f32_e32 v155, v9, v193
	v_add_f32_e32 v143, v143, v178
	v_fma_f32 v194, v146, v197, -v159
	v_add_f32_e32 v146, v142, v167
	v_mul_f32_e32 v185, v8, v193
	s_waitcnt vmcnt(32)
	v_fma_f32 v189, v8, v200, -v155
	v_add_f32_e32 v167, v143, v187
	ds_read_b128 v[2:5], v1 offset:912
	ds_read_b128 v[150:153], v1 offset:928
	v_add_f32_e32 v175, v146, v175
	v_fmac_f32_e32 v185, v9, v200
	v_mul_f32_e32 v158, v145, v195
	v_add_f32_e32 v167, v167, v186
	v_mul_f32_e32 v165, v144, v195
	v_add_f32_e32 v175, v175, v184
	v_fmac_f32_e32 v191, v147, v197
	v_fma_f32 v193, v144, v198, -v158
	v_add_f32_e32 v167, v167, v189
	v_fmac_f32_e32 v165, v145, v198
	v_add_f32_e32 v175, v175, v185
	ds_read_b128 v[6:9], v1 offset:944
	ds_read_b128 v[154:157], v1 offset:960
	v_add_f32_e32 v167, v167, v190
	v_add_f32_e32 v175, v175, v188
	;; [unrolled: 1-line block ×6, first 2 shown]
	s_waitcnt vmcnt(30)
	v_mul_f32_e32 v178, v148, v161
	v_mul_f32_e32 v192, v149, v161
	ds_read_b128 v[142:145], v1 offset:976
	ds_read_b128 v[158:161], v1 offset:992
	s_waitcnt vmcnt(28) lgkmcnt(5)
	v_mul_f32_e32 v184, v4, v163
	v_mul_f32_e32 v163, v5, v163
	s_waitcnt vmcnt(27) lgkmcnt(4)
	v_mul_f32_e32 v186, v150, v164
	v_mul_f32_e32 v164, v151, v164
	s_waitcnt vmcnt(23)
	v_fmac_f32_e32 v178, v149, v173
	v_fma_f32 v173, v148, v173, -v192
	ds_read_b128 v[146:149], v1 offset:1008
	v_mul_f32_e32 v1, v2, v162
	v_mul_f32_e32 v162, v3, v162
	v_add_f32_e32 v165, v165, v178
	v_fma_f32 v4, v4, v168, -v163
	v_fmac_f32_e32 v184, v5, v168
	v_fmac_f32_e32 v1, v3, v169
	v_fma_f32 v2, v2, v169, -v162
	v_add_f32_e32 v162, v167, v173
	v_fma_f32 v150, v150, v166, -v164
	v_fmac_f32_e32 v186, v151, v166
	v_add_f32_e32 v1, v165, v1
	v_add_f32_e32 v2, v162, v2
	s_waitcnt vmcnt(22)
	v_mul_f32_e32 v5, v153, v171
	v_mul_f32_e32 v185, v152, v171
	v_add_f32_e32 v2, v2, v4
	v_add_f32_e32 v1, v1, v184
	s_waitcnt vmcnt(21) lgkmcnt(4)
	v_mul_f32_e32 v4, v7, v172
	v_mul_f32_e32 v187, v6, v172
	s_waitcnt vmcnt(20)
	v_mul_f32_e32 v189, v8, v174
	v_add_f32_e32 v2, v2, v150
	v_add_f32_e32 v1, v1, v186
	v_mul_f32_e32 v150, v9, v174
	s_waitcnt vmcnt(9)
	v_fma_f32 v4, v6, v207, -v4
	s_waitcnt vmcnt(8)
	v_fma_f32 v5, v152, v208, -v5
	v_fmac_f32_e32 v185, v153, v208
	v_fmac_f32_e32 v187, v7, v207
	v_fma_f32 v6, v8, v206, -v150
	s_waitcnt lgkmcnt(3)
	v_mul_f32_e32 v188, v154, v177
	v_add_f32_e32 v2, v2, v5
	v_add_f32_e32 v1, v1, v185
	v_mul_f32_e32 v5, v155, v177
	v_fmac_f32_e32 v189, v9, v206
	v_mul_f32_e32 v190, v156, v170
	v_add_f32_e32 v2, v2, v4
	v_add_f32_e32 v1, v1, v187
	v_mul_f32_e32 v4, v157, v170
	v_fma_f32 v5, v154, v183, -v5
	v_fmac_f32_e32 v188, v155, v183
	v_add_f32_e32 v2, v2, v6
	v_add_f32_e32 v1, v1, v189
	s_waitcnt lgkmcnt(2)
	v_mul_f32_e32 v6, v143, v176
	s_waitcnt vmcnt(4)
	v_fma_f32 v4, v156, v205, -v4
	v_mul_f32_e32 v192, v142, v176
	v_add_f32_e32 v2, v2, v5
	v_fmac_f32_e32 v190, v157, v205
	v_add_f32_e32 v1, v1, v188
	v_mul_f32_e32 v5, v145, v181
	v_fma_f32 v6, v142, v204, -v6
	v_add_f32_e32 v2, v2, v4
	v_mul_f32_e32 v175, v144, v181
	v_fmac_f32_e32 v192, v143, v204
	v_add_f32_e32 v1, v1, v190
	s_waitcnt lgkmcnt(1)
	v_mul_f32_e32 v4, v159, v202
	v_fma_f32 v5, v144, v203, -v5
	v_add_f32_e32 v2, v2, v6
	v_mul_f32_e32 v193, v158, v202
	v_fmac_f32_e32 v175, v145, v203
	v_add_f32_e32 v1, v1, v192
	v_mul_f32_e32 v6, v161, v182
	v_fma_f32 v4, v158, v12, -v4
	v_add_f32_e32 v2, v2, v5
	v_mul_f32_e32 v194, v160, v182
	v_fmac_f32_e32 v193, v159, v12
	v_add_f32_e32 v1, v1, v175
	s_waitcnt lgkmcnt(0)
	v_mul_f32_e32 v5, v147, v180
	s_waitcnt vmcnt(1)
	v_fma_f32 v6, v160, v210, -v6
	v_add_f32_e32 v2, v2, v4
	v_mul_f32_e32 v191, v146, v180
	v_fmac_f32_e32 v194, v161, v210
	v_add_f32_e32 v1, v1, v193
	v_mul_f32_e32 v4, v149, v179
	v_fma_f32 v5, v146, v209, -v5
	v_add_f32_e32 v2, v2, v6
	v_mul_f32_e32 v3, v148, v179
	v_fmac_f32_e32 v191, v147, v209
	v_add_f32_e32 v1, v1, v194
	v_fma_f32 v4, v148, v10, -v4
	v_add_f32_e32 v2, v2, v5
	v_fmac_f32_e32 v3, v149, v10
	v_add_f32_e32 v1, v1, v191
	v_add_f32_e32 v2, v2, v4
	;; [unrolled: 1-line block ×3, first 2 shown]
	s_waitcnt vmcnt(0)
	v_sub_f32_e32 v2, v11, v2
	v_sub_f32_e32 v1, v201, v1
	buffer_store_dword v2, off, s[0:3], 0 offset:200
	buffer_store_dword v1, off, s[0:3], 0 offset:204
	v_cmpx_lt_u32_e32 24, v0
	s_cbranch_execz .LBB63_349
; %bb.348:
	s_clause 0x1
	buffer_load_dword v1, off, s[0:3], 0 offset:192
	buffer_load_dword v2, off, s[0:3], 0 offset:196
	v_mov_b32_e32 v3, 0
	buffer_store_dword v3, off, s[0:3], 0 offset:192
	buffer_store_dword v3, off, s[0:3], 0 offset:196
	s_waitcnt vmcnt(0)
	ds_write_b64 v141, v[1:2]
.LBB63_349:
	s_or_b32 exec_lo, exec_lo, s4
	s_waitcnt lgkmcnt(0)
	s_waitcnt_vscnt null, 0x0
	s_barrier
	buffer_gl0_inv
	s_clause 0x25
	buffer_load_dword v2, off, s[0:3], 0 offset:204
	buffer_load_dword v3, off, s[0:3], 0 offset:212
	;; [unrolled: 1-line block ×38, first 2 shown]
	v_mov_b32_e32 v1, 0
	ds_read2_b64 v[4:7], v1 offset0:89 offset1:90
	ds_read2_b64 v[8:11], v1 offset0:91 offset1:92
	s_clause 0x10
	buffer_load_dword v185, off, s[0:3], 0 offset:356
	buffer_load_dword v186, off, s[0:3], 0 offset:364
	;; [unrolled: 1-line block ×17, first 2 shown]
	ds_read2_b64 v[142:145], v1 offset0:93 offset1:94
	ds_read2_b64 v[146:149], v1 offset0:95 offset1:96
	s_mov_b32 s4, exec_lo
	s_waitcnt vmcnt(54) lgkmcnt(3)
	v_mul_f32_e32 v202, v5, v2
	v_mul_f32_e32 v203, v4, v2
	s_waitcnt vmcnt(53)
	v_mul_f32_e32 v204, v6, v3
	v_mul_f32_e32 v2, v7, v3
	s_waitcnt vmcnt(52) lgkmcnt(2)
	v_mul_f32_e32 v205, v8, v12
	v_mul_f32_e32 v3, v9, v12
	s_waitcnt vmcnt(49)
	v_fma_f32 v12, v4, v152, -v202
	v_fmac_f32_e32 v203, v5, v152
	s_waitcnt vmcnt(48)
	v_mul_f32_e32 v152, v10, v153
	v_mul_f32_e32 v4, v11, v153
	v_fmac_f32_e32 v204, v7, v151
	s_waitcnt vmcnt(43) lgkmcnt(1)
	v_mul_f32_e32 v153, v143, v158
	v_fma_f32 v151, v6, v151, -v2
	v_fmac_f32_e32 v205, v9, v150
	v_fma_f32 v150, v8, v150, -v3
	v_fmac_f32_e32 v152, v11, v157
	v_fma_f32 v10, v10, v157, -v4
	ds_read2_b64 v[2:5], v1 offset0:97 offset1:98
	ds_read2_b64 v[6:9], v1 offset0:99 offset1:100
	v_mul_f32_e32 v11, v142, v158
	s_waitcnt vmcnt(42)
	v_mul_f32_e32 v157, v144, v159
	v_mul_f32_e32 v158, v145, v159
	s_waitcnt vmcnt(41) lgkmcnt(2)
	v_mul_f32_e32 v159, v146, v160
	v_fma_f32 v153, v142, v156, -v153
	s_waitcnt vmcnt(40)
	v_mul_f32_e32 v142, v149, v161
	v_mul_f32_e32 v160, v147, v160
	v_fmac_f32_e32 v11, v143, v156
	v_fmac_f32_e32 v157, v145, v155
	v_fma_f32 v155, v144, v155, -v158
	s_clause 0x3
	buffer_load_dword v202, off, s[0:3], 0 offset:420
	buffer_load_dword v206, off, s[0:3], 0 offset:428
	;; [unrolled: 1-line block ×4, first 2 shown]
	v_fmac_f32_e32 v159, v147, v154
	s_waitcnt vmcnt(40)
	v_fma_f32 v147, v148, v165, -v142
	ds_read2_b64 v[142:145], v1 offset0:101 offset1:102
	v_mul_f32_e32 v156, v148, v161
	v_fma_f32 v146, v146, v154, -v160
	s_waitcnt vmcnt(39) lgkmcnt(2)
	v_mul_f32_e32 v148, v2, v166
	v_fmac_f32_e32 v156, v149, v165
	v_mul_f32_e32 v149, v3, v166
	s_waitcnt vmcnt(37) lgkmcnt(1)
	v_mul_f32_e32 v161, v7, v168
	v_mul_f32_e32 v154, v4, v167
	;; [unrolled: 1-line block ×4, first 2 shown]
	v_fmac_f32_e32 v148, v3, v164
	v_fma_f32 v149, v2, v164, -v149
	s_waitcnt vmcnt(36)
	v_mul_f32_e32 v164, v8, v169
	v_mul_f32_e32 v2, v9, v169
	v_fma_f32 v161, v6, v162, -v161
	v_fmac_f32_e32 v154, v5, v163
	v_fma_f32 v158, v4, v163, -v158
	s_clause 0x3
	buffer_load_dword v163, off, s[0:3], 0 offset:452
	buffer_load_dword v165, off, s[0:3], 0 offset:460
	;; [unrolled: 1-line block ×4, first 2 shown]
	s_waitcnt vmcnt(35) lgkmcnt(0)
	v_mul_f32_e32 v168, v142, v174
	v_mul_f32_e32 v6, v143, v174
	v_fmac_f32_e32 v160, v7, v162
	v_fmac_f32_e32 v164, v9, v173
	v_fma_f32 v162, v8, v173, -v2
	ds_read2_b64 v[2:5], v1 offset0:103 offset1:104
	s_waitcnt vmcnt(34)
	v_mul_f32_e32 v169, v144, v175
	v_mul_f32_e32 v7, v145, v175
	buffer_load_dword v173, off, s[0:3], 0 offset:484
	v_fmac_f32_e32 v168, v143, v172
	v_fma_f32 v172, v142, v172, -v6
	v_add_f32_e32 v6, 0, v12
	s_clause 0x6
	buffer_load_dword v12, off, s[0:3], 0 offset:492
	buffer_load_dword v174, off, s[0:3], 0 offset:500
	;; [unrolled: 1-line block ×7, first 2 shown]
	v_fmac_f32_e32 v169, v145, v171
	v_fma_f32 v171, v144, v171, -v7
	v_add_f32_e32 v7, 0, v203
	v_add_f32_e32 v6, v6, v151
	;; [unrolled: 1-line block ×4, first 2 shown]
	s_waitcnt vmcnt(41) lgkmcnt(0)
	v_mul_f32_e32 v8, v3, v176
	v_add_f32_e32 v7, v7, v205
	s_clause 0x8
	buffer_load_dword v203, off, s[0:3], 0 offset:472
	buffer_load_dword v204, off, s[0:3], 0 offset:464
	;; [unrolled: 1-line block ×9, first 2 shown]
	v_add_f32_e32 v6, v6, v10
	v_add_f32_e32 v7, v7, v152
	v_mul_f32_e32 v10, v2, v176
	v_add_f32_e32 v6, v6, v153
	v_add_f32_e32 v7, v7, v11
	v_fmac_f32_e32 v10, v3, v170
	v_fma_f32 v11, v2, v170, -v8
	v_add_f32_e32 v6, v6, v155
	v_add_f32_e32 v7, v7, v157
	s_waitcnt vmcnt(49)
	v_mul_f32_e32 v155, v4, v177
	v_add_f32_e32 v6, v6, v146
	v_add_f32_e32 v7, v7, v159
	s_waitcnt vmcnt(45)
	v_fmac_f32_e32 v155, v5, v181
	v_add_f32_e32 v2, v6, v147
	v_add_f32_e32 v3, v7, v156
	ds_read2_b64 v[6:9], v1 offset0:105 offset1:106
	v_add_f32_e32 v142, v2, v149
	v_mul_f32_e32 v2, v5, v177
	v_add_f32_e32 v143, v3, v148
	v_add_f32_e32 v146, v142, v158
	v_fma_f32 v156, v4, v181, -v2
	ds_read2_b64 v[2:5], v1 offset0:107 offset1:108
	v_add_f32_e32 v147, v143, v154
	ds_read2_b64 v[142:145], v1 offset0:109 offset1:110
	v_add_f32_e32 v146, v146, v161
	v_add_f32_e32 v147, v147, v160
	;; [unrolled: 1-line block ×3, first 2 shown]
	s_waitcnt vmcnt(44) lgkmcnt(2)
	v_mul_f32_e32 v148, v7, v182
	v_mul_f32_e32 v158, v6, v182
	s_waitcnt vmcnt(43)
	v_mul_f32_e32 v160, v8, v183
	v_fma_f32 v159, v6, v180, -v148
	v_add_f32_e32 v6, v147, v164
	v_fmac_f32_e32 v158, v7, v180
	v_add_f32_e32 v7, v150, v172
	ds_read2_b64 v[146:149], v1 offset0:111 offset1:112
	s_waitcnt vmcnt(42) lgkmcnt(2)
	v_mul_f32_e32 v151, v3, v184
	v_add_f32_e32 v6, v6, v168
	v_mul_f32_e32 v162, v2, v184
	v_add_f32_e32 v7, v7, v171
	v_mul_f32_e32 v150, v9, v183
	v_fmac_f32_e32 v160, v9, v179
	v_add_f32_e32 v6, v6, v169
	v_fma_f32 v169, v2, v178, -v151
	v_add_f32_e32 v2, v7, v11
	v_fmac_f32_e32 v162, v3, v178
	v_fma_f32 v161, v8, v179, -v150
	v_add_f32_e32 v3, v6, v10
	s_waitcnt vmcnt(40) lgkmcnt(1)
	v_mul_f32_e32 v10, v143, v186
	v_add_f32_e32 v11, v2, v156
	v_mul_f32_e32 v154, v5, v185
	v_mul_f32_e32 v164, v4, v185
	;; [unrolled: 1-line block ×3, first 2 shown]
	s_waitcnt vmcnt(35)
	v_fma_f32 v171, v142, v191, -v10
	v_add_f32_e32 v10, v3, v155
	v_add_f32_e32 v11, v11, v159
	s_waitcnt vmcnt(34)
	v_fma_f32 v170, v4, v192, -v154
	ds_read2_b64 v[6:9], v1 offset0:113 offset1:114
	ds_read2_b64 v[150:153], v1 offset0:115 offset1:116
	v_fmac_f32_e32 v164, v5, v192
	v_add_f32_e32 v10, v10, v158
	v_add_f32_e32 v11, v11, v161
	v_mul_f32_e32 v142, v145, v187
	v_fmac_f32_e32 v168, v143, v191
	v_mul_f32_e32 v172, v144, v187
	v_add_f32_e32 v10, v10, v160
	v_add_f32_e32 v169, v11, v169
	s_waitcnt lgkmcnt(2)
	v_mul_f32_e32 v143, v147, v188
	v_fma_f32 v179, v144, v190, -v142
	v_mul_f32_e32 v176, v146, v188
	v_add_f32_e32 v162, v10, v162
	v_add_f32_e32 v169, v169, v170
	v_fmac_f32_e32 v172, v145, v190
	s_waitcnt vmcnt(33)
	v_mul_f32_e32 v178, v149, v193
	v_fma_f32 v180, v146, v189, -v143
	v_add_f32_e32 v162, v162, v164
	v_add_f32_e32 v169, v169, v171
	v_mul_f32_e32 v177, v148, v193
	v_fmac_f32_e32 v176, v147, v189
	s_waitcnt vmcnt(26)
	v_fma_f32 v178, v148, v200, -v178
	v_add_f32_e32 v162, v162, v168
	v_add_f32_e32 v169, v169, v179
	s_waitcnt lgkmcnt(1)
	v_mul_f32_e32 v181, v7, v194
	ds_read2_b64 v[2:5], v1 offset0:117 offset1:118
	ds_read2_b64 v[154:157], v1 offset0:119 offset1:120
	v_fmac_f32_e32 v177, v149, v200
	v_add_f32_e32 v162, v162, v172
	v_add_f32_e32 v169, v169, v180
	v_mul_f32_e32 v170, v6, v194
	v_mul_f32_e32 v182, v9, v195
	v_fma_f32 v6, v6, v199, -v181
	v_add_f32_e32 v162, v162, v176
	v_add_f32_e32 v169, v169, v178
	v_mul_f32_e32 v164, v8, v195
	v_fmac_f32_e32 v170, v7, v199
	s_waitcnt lgkmcnt(2)
	v_mul_f32_e32 v181, v151, v196
	v_add_f32_e32 v162, v162, v177
	v_fma_f32 v8, v8, v198, -v182
	v_add_f32_e32 v6, v169, v6
	v_mul_f32_e32 v171, v150, v196
	v_fmac_f32_e32 v164, v9, v198
	v_add_f32_e32 v162, v162, v170
	v_fma_f32 v150, v150, v197, -v181
	v_add_f32_e32 v6, v6, v8
	v_fmac_f32_e32 v171, v151, v197
	ds_read2_b64 v[142:145], v1 offset0:121 offset1:122
	ds_read2_b64 v[158:161], v1 offset0:123 offset1:124
	v_add_f32_e32 v8, v162, v164
	ds_read2_b64 v[146:149], v1 offset0:125 offset1:126
	ds_read_b64 v[10:11], v1 offset:1016
	v_add_f32_e32 v6, v6, v150
	v_add_f32_e32 v8, v8, v171
	s_waitcnt vmcnt(24)
	v_mul_f32_e32 v177, v153, v202
	v_mul_f32_e32 v168, v152, v202
	s_waitcnt vmcnt(23) lgkmcnt(5)
	v_mul_f32_e32 v7, v2, v206
	v_mul_f32_e32 v151, v3, v206
	s_waitcnt vmcnt(22)
	v_mul_f32_e32 v150, v5, v207
	v_mul_f32_e32 v179, v4, v207
	s_waitcnt vmcnt(21) lgkmcnt(4)
	v_mul_f32_e32 v172, v154, v208
	s_waitcnt vmcnt(20)
	v_mul_f32_e32 v9, v156, v163
	s_waitcnt vmcnt(19) lgkmcnt(3)
	v_mul_f32_e32 v182, v142, v165
	s_waitcnt vmcnt(18)
	;; [unrolled: 4-line block ×3, first 2 shown]
	v_mul_f32_e32 v183, v160, v173
	s_waitcnt vmcnt(12)
	v_fmac_f32_e32 v172, v155, v209
	s_waitcnt vmcnt(11)
	v_fma_f32 v4, v4, v210, -v150
	s_waitcnt vmcnt(10)
	v_fmac_f32_e32 v7, v3, v211
	s_waitcnt vmcnt(9)
	v_fma_f32 v152, v152, v212, -v177
	v_fmac_f32_e32 v168, v153, v212
	v_fma_f32 v2, v2, v211, -v151
	v_fmac_f32_e32 v179, v5, v210
	v_mul_f32_e32 v5, v157, v163
	v_add_f32_e32 v3, v6, v152
	v_add_f32_e32 v6, v8, v168
	v_mul_f32_e32 v8, v155, v208
	s_waitcnt lgkmcnt(1)
	v_mul_f32_e32 v178, v146, v12
	v_mul_f32_e32 v184, v148, v174
	v_add_f32_e32 v2, v3, v2
	v_add_f32_e32 v3, v6, v7
	v_fma_f32 v6, v154, v209, -v8
	s_waitcnt vmcnt(6)
	v_fmac_f32_e32 v182, v143, v205
	s_waitcnt vmcnt(5)
	v_fma_f32 v5, v156, v213, -v5
	v_add_f32_e32 v2, v2, v4
	v_add_f32_e32 v3, v3, v179
	v_mul_f32_e32 v4, v143, v165
	v_fmac_f32_e32 v9, v157, v213
	v_fmac_f32_e32 v176, v145, v204
	v_add_f32_e32 v2, v2, v6
	v_add_f32_e32 v3, v3, v172
	v_mul_f32_e32 v6, v145, v166
	v_fma_f32 v4, v142, v205, -v4
	v_fmac_f32_e32 v180, v159, v203
	v_add_f32_e32 v2, v2, v5
	v_add_f32_e32 v3, v3, v9
	v_mul_f32_e32 v5, v159, v167
	v_fma_f32 v6, v144, v204, -v6
	s_waitcnt vmcnt(1)
	v_fmac_f32_e32 v183, v161, v217
	v_add_f32_e32 v2, v2, v4
	v_add_f32_e32 v3, v3, v182
	v_mul_f32_e32 v4, v161, v173
	v_fma_f32 v5, v158, v203, -v5
	v_fmac_f32_e32 v178, v147, v216
	v_add_f32_e32 v2, v2, v6
	v_add_f32_e32 v3, v3, v176
	v_mul_f32_e32 v6, v147, v12
	v_fma_f32 v4, v160, v217, -v4
	s_waitcnt lgkmcnt(0)
	v_mul_f32_e32 v169, v10, v175
	v_add_f32_e32 v2, v2, v5
	v_add_f32_e32 v3, v3, v180
	v_mul_f32_e32 v5, v149, v174
	v_fma_f32 v6, v146, v216, -v6
	v_fmac_f32_e32 v184, v149, v215
	v_add_f32_e32 v2, v2, v4
	v_add_f32_e32 v3, v3, v183
	v_mul_f32_e32 v4, v11, v175
	v_fma_f32 v5, v148, v215, -v5
	v_fmac_f32_e32 v169, v11, v214
	v_add_f32_e32 v2, v2, v6
	v_add_f32_e32 v3, v3, v178
	v_fma_f32 v4, v10, v214, -v4
	v_add_f32_e32 v2, v2, v5
	v_add_f32_e32 v3, v3, v184
	;; [unrolled: 1-line block ×4, first 2 shown]
	s_waitcnt vmcnt(0)
	v_sub_f32_e32 v2, v218, v2
	v_sub_f32_e32 v3, v201, v3
	buffer_store_dword v2, off, s[0:3], 0 offset:192
	buffer_store_dword v3, off, s[0:3], 0 offset:196
	v_cmpx_lt_u32_e32 23, v0
	s_cbranch_execz .LBB63_351
; %bb.350:
	s_clause 0x1
	buffer_load_dword v2, off, s[0:3], 0 offset:184
	buffer_load_dword v3, off, s[0:3], 0 offset:188
	buffer_store_dword v1, off, s[0:3], 0 offset:184
	buffer_store_dword v1, off, s[0:3], 0 offset:188
	s_waitcnt vmcnt(0)
	ds_write_b64 v141, v[2:3]
.LBB63_351:
	s_or_b32 exec_lo, exec_lo, s4
	s_waitcnt lgkmcnt(0)
	s_waitcnt_vscnt null, 0x0
	s_barrier
	buffer_gl0_inv
	s_clause 0x23
	buffer_load_dword v10, off, s[0:3], 0 offset:196
	buffer_load_dword v11, off, s[0:3], 0 offset:204
	;; [unrolled: 1-line block ×36, first 2 shown]
	ds_read_b128 v[2:5], v1 offset:704
	s_clause 0x1
	buffer_load_dword v191, off, s[0:3], 0 offset:332
	buffer_load_dword v192, off, s[0:3], 0 offset:340
	ds_read_b128 v[6:9], v1 offset:720
	ds_read_b128 v[142:145], v1 offset:736
	s_clause 0x7
	buffer_load_dword v193, off, s[0:3], 0 offset:348
	buffer_load_dword v194, off, s[0:3], 0 offset:356
	;; [unrolled: 1-line block ×8, first 2 shown]
	ds_read_b128 v[146:149], v1 offset:752
	ds_read_b128 v[150:153], v1 offset:768
	ds_read_b128 v[154:157], v1 offset:784
	buffer_load_dword v203, off, s[0:3], 0 offset:188
	s_mov_b32 s4, exec_lo
	s_waitcnt vmcnt(46) lgkmcnt(5)
	v_mul_f32_e32 v201, v3, v10
	v_mul_f32_e32 v10, v2, v10
	s_waitcnt vmcnt(45)
	v_mul_f32_e32 v202, v4, v11
	v_mul_f32_e32 v11, v5, v11
	s_waitcnt vmcnt(42)
	v_fma_f32 v201, v2, v159, -v201
	v_fmac_f32_e32 v10, v3, v159
	v_fmac_f32_e32 v202, v5, v158
	v_fma_f32 v11, v4, v158, -v11
	s_waitcnt vmcnt(41) lgkmcnt(4)
	v_mul_f32_e32 v158, v6, v160
	v_mul_f32_e32 v159, v7, v160
	s_waitcnt vmcnt(40)
	v_mul_f32_e32 v160, v8, v161
	v_mul_f32_e32 v161, v9, v161
	s_waitcnt vmcnt(39) lgkmcnt(3)
	v_mul_f32_e32 v204, v142, v162
	v_mul_f32_e32 v162, v143, v162
	v_fmac_f32_e32 v158, v7, v12
	v_fma_f32 v12, v6, v12, -v159
	s_waitcnt vmcnt(38)
	v_mul_f32_e32 v159, v144, v163
	v_mul_f32_e32 v6, v145, v163
	ds_read_b128 v[2:5], v1 offset:800
	s_waitcnt vmcnt(34)
	v_fmac_f32_e32 v160, v9, v167
	v_fma_f32 v161, v8, v167, -v161
	v_fmac_f32_e32 v204, v143, v166
	v_fma_f32 v142, v142, v166, -v162
	;; [unrolled: 2-line block ×3, first 2 shown]
	s_clause 0x7
	buffer_load_dword v162, off, s[0:3], 0 offset:380
	buffer_load_dword v163, off, s[0:3], 0 offset:388
	;; [unrolled: 1-line block ×8, first 2 shown]
	s_waitcnt vmcnt(41) lgkmcnt(3)
	v_mul_f32_e32 v6, v147, v168
	s_waitcnt vmcnt(40)
	v_mul_f32_e32 v7, v149, v169
	v_mul_f32_e32 v144, v146, v168
	v_mul_f32_e32 v145, v148, v169
	s_waitcnt vmcnt(39) lgkmcnt(2)
	v_mul_f32_e32 v168, v150, v170
	v_fma_f32 v146, v146, v164, -v6
	s_waitcnt vmcnt(34)
	v_fma_f32 v148, v148, v175, -v7
	ds_read_b128 v[6:9], v1 offset:816
	v_mul_f32_e32 v169, v151, v170
	v_fmac_f32_e32 v144, v147, v164
	v_mul_f32_e32 v147, v152, v171
	v_mul_f32_e32 v164, v153, v171
	v_fmac_f32_e32 v145, v149, v175
	v_fmac_f32_e32 v168, v151, v174
	v_fma_f32 v149, v150, v174, -v169
	v_fmac_f32_e32 v147, v153, v173
	v_fma_f32 v150, v152, v173, -v164
	s_waitcnt vmcnt(33) lgkmcnt(2)
	v_mul_f32_e32 v151, v154, v176
	v_mul_f32_e32 v152, v155, v176
	s_waitcnt vmcnt(32)
	v_mul_f32_e32 v153, v156, v177
	s_waitcnt vmcnt(31) lgkmcnt(1)
	v_mul_f32_e32 v174, v2, v178
	v_mul_f32_e32 v175, v3, v178
	;; [unrolled: 1-line block ×3, first 2 shown]
	v_fmac_f32_e32 v151, v155, v172
	v_fma_f32 v152, v154, v172, -v152
	s_waitcnt vmcnt(30)
	v_mul_f32_e32 v154, v4, v179
	v_mul_f32_e32 v155, v5, v179
	s_waitcnt vmcnt(26)
	v_fmac_f32_e32 v153, v157, v183
	v_fmac_f32_e32 v174, v3, v182
	v_fma_f32 v157, v2, v182, -v175
	s_waitcnt vmcnt(25) lgkmcnt(0)
	v_mul_f32_e32 v182, v6, v184
	v_mul_f32_e32 v2, v7, v184
	v_add_f32_e32 v3, 0, v201
	s_clause 0x3
	buffer_load_dword v164, off, s[0:3], 0 offset:412
	buffer_load_dword v169, off, s[0:3], 0 offset:420
	;; [unrolled: 1-line block ×4, first 2 shown]
	v_fma_f32 v156, v156, v183, -v173
	s_clause 0x3
	buffer_load_dword v172, off, s[0:3], 0 offset:444
	buffer_load_dword v173, off, s[0:3], 0 offset:452
	;; [unrolled: 1-line block ×4, first 2 shown]
	v_fmac_f32_e32 v154, v5, v181
	v_fma_f32 v155, v4, v181, -v155
	s_clause 0x3
	buffer_load_dword v175, off, s[0:3], 0 offset:476
	buffer_load_dword v178, off, s[0:3], 0 offset:484
	;; [unrolled: 1-line block ×4, first 2 shown]
	v_add_f32_e32 v4, 0, v10
	buffer_load_dword v10, off, s[0:3], 0 offset:508
	v_fmac_f32_e32 v182, v7, v180
	v_fma_f32 v180, v6, v180, -v2
	v_add_f32_e32 v2, v3, v11
	s_clause 0x3
	buffer_load_dword v11, off, s[0:3], 0 offset:432
	buffer_load_dword v183, off, s[0:3], 0 offset:424
	;; [unrolled: 1-line block ×4, first 2 shown]
	v_add_f32_e32 v6, v4, v202
	v_add_f32_e32 v7, v2, v12
	s_waitcnt vmcnt(41)
	v_mul_f32_e32 v2, v9, v185
	v_mul_f32_e32 v12, v8, v185
	v_add_f32_e32 v6, v6, v158
	v_add_f32_e32 v7, v7, v161
	s_waitcnt vmcnt(37)
	v_fma_f32 v185, v8, v189, -v2
	ds_read_b128 v[2:5], v1 offset:832
	v_fmac_f32_e32 v12, v9, v189
	s_clause 0x3
	buffer_load_dword v189, off, s[0:3], 0 offset:464
	buffer_load_dword v202, off, s[0:3], 0 offset:456
	;; [unrolled: 1-line block ×4, first 2 shown]
	v_add_f32_e32 v7, v7, v142
	v_add_f32_e32 v6, v6, v160
	;; [unrolled: 1-line block ×6, first 2 shown]
	ds_read_b128 v[6:9], v1 offset:848
	v_add_f32_e32 v143, v143, v144
	s_waitcnt vmcnt(40) lgkmcnt(1)
	v_mul_f32_e32 v158, v2, v190
	v_mul_f32_e32 v146, v3, v190
	s_waitcnt vmcnt(39)
	v_mul_f32_e32 v160, v4, v191
	v_fmac_f32_e32 v158, v3, v188
	v_fma_f32 v159, v2, v188, -v146
	s_clause 0x4
	buffer_load_dword v188, off, s[0:3], 0 offset:496
	buffer_load_dword v190, off, s[0:3], 0 offset:488
	;; [unrolled: 1-line block ×5, first 2 shown]
	v_add_f32_e32 v3, v143, v145
	v_add_f32_e32 v2, v142, v148
	v_mul_f32_e32 v142, v5, v191
	v_fmac_f32_e32 v160, v5, v187
	v_add_f32_e32 v3, v3, v168
	buffer_load_dword v168, off, s[0:3], 0 offset:184
	v_add_f32_e32 v2, v2, v149
	v_fma_f32 v161, v4, v187, -v142
	s_waitcnt vmcnt(44) lgkmcnt(0)
	v_mul_f32_e32 v187, v6, v192
	v_add_f32_e32 v143, v3, v147
	v_mul_f32_e32 v148, v7, v192
	v_add_f32_e32 v2, v2, v150
	s_waitcnt vmcnt(43)
	v_mul_f32_e32 v191, v8, v193
	v_mul_f32_e32 v149, v9, v193
	v_add_f32_e32 v147, v143, v151
	ds_read_b128 v[142:145], v1 offset:880
	v_add_f32_e32 v146, v2, v152
	ds_read_b128 v[2:5], v1 offset:864
	v_fmac_f32_e32 v187, v7, v186
	v_add_f32_e32 v147, v147, v153
	v_fma_f32 v186, v6, v186, -v148
	v_add_f32_e32 v146, v146, v156
	s_waitcnt vmcnt(36)
	v_fmac_f32_e32 v191, v9, v200
	v_fma_f32 v192, v8, v200, -v149
	v_add_f32_e32 v151, v147, v174
	v_add_f32_e32 v150, v146, v157
	ds_read_b128 v[6:9], v1 offset:896
	ds_read_b128 v[146:149], v1 offset:912
	v_add_f32_e32 v151, v151, v154
	v_add_f32_e32 v150, v150, v155
	;; [unrolled: 1-line block ×3, first 2 shown]
	s_waitcnt lgkmcnt(3)
	v_mul_f32_e32 v154, v143, v196
	v_add_f32_e32 v150, v150, v180
	v_mul_f32_e32 v180, v142, v196
	s_waitcnt lgkmcnt(2)
	v_mul_f32_e32 v152, v3, v194
	v_add_f32_e32 v12, v151, v12
	v_mul_f32_e32 v174, v2, v194
	v_add_f32_e32 v155, v150, v185
	v_mul_f32_e32 v153, v5, v195
	v_fma_f32 v194, v2, v199, -v152
	v_add_f32_e32 v12, v12, v158
	v_mul_f32_e32 v193, v4, v195
	v_add_f32_e32 v159, v155, v159
	v_fmac_f32_e32 v174, v3, v199
	v_fma_f32 v195, v4, v198, -v153
	v_add_f32_e32 v12, v12, v160
	v_fmac_f32_e32 v193, v5, v198
	v_add_f32_e32 v158, v159, v161
	v_fmac_f32_e32 v180, v143, v197
	ds_read_b128 v[2:5], v1 offset:928
	ds_read_b128 v[150:153], v1 offset:944
	v_add_f32_e32 v12, v12, v187
	v_add_f32_e32 v12, v12, v191
	;; [unrolled: 1-line block ×5, first 2 shown]
	s_waitcnt vmcnt(34)
	v_mul_f32_e32 v182, v144, v162
	s_waitcnt vmcnt(33) lgkmcnt(3)
	v_mul_f32_e32 v196, v6, v163
	v_mul_f32_e32 v159, v7, v163
	v_mul_f32_e32 v156, v145, v162
	v_fma_f32 v162, v142, v197, -v154
	s_waitcnt vmcnt(32)
	v_mul_f32_e32 v197, v8, v165
	s_waitcnt vmcnt(28)
	v_fmac_f32_e32 v196, v7, v206
	v_add_f32_e32 v7, v158, v186
	s_waitcnt vmcnt(27)
	v_fma_f32 v185, v144, v207, -v156
	v_fmac_f32_e32 v182, v145, v207
	v_mul_f32_e32 v160, v9, v165
	v_fma_f32 v163, v6, v206, -v159
	v_add_f32_e32 v186, v7, v192
	ds_read_b128 v[142:145], v1 offset:960
	ds_read_b128 v[154:157], v1 offset:976
	v_add_f32_e32 v12, v12, v182
	v_fmac_f32_e32 v197, v9, v205
	v_fma_f32 v165, v8, v205, -v160
	v_add_f32_e32 v186, v186, v194
	ds_read_b128 v[6:9], v1 offset:992
	ds_read_b128 v[158:161], v1 offset:1008
	s_waitcnt lgkmcnt(6)
	v_mul_f32_e32 v1, v146, v166
	v_mul_f32_e32 v166, v147, v166
	v_add_f32_e32 v12, v12, v196
	v_add_f32_e32 v186, v186, v195
	v_fmac_f32_e32 v1, v147, v167
	v_fma_f32 v146, v146, v167, -v166
	v_add_f32_e32 v12, v12, v197
	v_add_f32_e32 v162, v186, v162
	;; [unrolled: 1-line block ×5, first 2 shown]
	s_waitcnt vmcnt(26)
	v_mul_f32_e32 v174, v148, v164
	v_mul_f32_e32 v164, v149, v164
	s_waitcnt vmcnt(25) lgkmcnt(5)
	v_mul_f32_e32 v187, v2, v169
	s_waitcnt vmcnt(24)
	v_mul_f32_e32 v12, v5, v170
	v_add_f32_e32 v162, v162, v165
	v_mul_f32_e32 v165, v3, v169
	v_mul_f32_e32 v191, v4, v170
	s_waitcnt vmcnt(23) lgkmcnt(4)
	v_mul_f32_e32 v192, v150, v171
	s_waitcnt vmcnt(22)
	v_mul_f32_e32 v186, v152, v172
	v_add_f32_e32 v146, v162, v146
	s_waitcnt vmcnt(21) lgkmcnt(3)
	v_mul_f32_e32 v180, v142, v173
	s_waitcnt vmcnt(20)
	v_mul_f32_e32 v193, v144, v176
	s_waitcnt vmcnt(12)
	v_fma_f32 v4, v4, v183, -v12
	s_waitcnt vmcnt(11)
	v_fmac_f32_e32 v187, v3, v184
	s_waitcnt vmcnt(10)
	v_fma_f32 v148, v148, v201, -v164
	v_fmac_f32_e32 v174, v149, v201
	v_fma_f32 v2, v2, v184, -v165
	v_fmac_f32_e32 v191, v5, v183
	v_fmac_f32_e32 v192, v151, v11
	v_add_f32_e32 v3, v146, v148
	v_add_f32_e32 v1, v1, v174
	v_mul_f32_e32 v146, v151, v171
	s_waitcnt lgkmcnt(2)
	v_mul_f32_e32 v185, v154, v177
	v_mul_f32_e32 v182, v156, v175
	v_add_f32_e32 v2, v3, v2
	v_add_f32_e32 v1, v1, v187
	v_mul_f32_e32 v3, v153, v172
	v_fma_f32 v5, v150, v11, -v146
	s_waitcnt vmcnt(6)
	v_fmac_f32_e32 v186, v153, v209
	v_add_f32_e32 v2, v2, v4
	v_add_f32_e32 v1, v1, v191
	v_mul_f32_e32 v4, v143, v173
	v_fma_f32 v3, v152, v209, -v3
	v_fmac_f32_e32 v180, v143, v208
	v_add_f32_e32 v2, v2, v5
	v_add_f32_e32 v1, v1, v192
	v_mul_f32_e32 v5, v145, v176
	v_fma_f32 v4, v142, v208, -v4
	;; [unrolled: 5-line block ×4, first 2 shown]
	s_waitcnt lgkmcnt(1)
	v_mul_f32_e32 v194, v6, v178
	v_add_f32_e32 v2, v2, v5
	v_add_f32_e32 v1, v1, v193
	v_mul_f32_e32 v5, v7, v178
	s_waitcnt vmcnt(2)
	v_fma_f32 v4, v156, v210, -v4
	v_fmac_f32_e32 v182, v157, v210
	v_add_f32_e32 v2, v2, v3
	v_add_f32_e32 v1, v1, v185
	v_mul_f32_e32 v3, v9, v179
	v_fma_f32 v5, v6, v204, -v5
	v_mul_f32_e32 v163, v8, v179
	v_add_f32_e32 v2, v2, v4
	v_fmac_f32_e32 v194, v7, v204
	v_add_f32_e32 v1, v1, v182
	s_waitcnt lgkmcnt(0)
	v_mul_f32_e32 v4, v159, v181
	v_fma_f32 v3, v8, v190, -v3
	v_add_f32_e32 v2, v2, v5
	v_mul_f32_e32 v195, v158, v181
	v_fmac_f32_e32 v163, v9, v190
	v_add_f32_e32 v1, v1, v194
	v_mul_f32_e32 v5, v161, v10
	v_fma_f32 v4, v158, v188, -v4
	v_add_f32_e32 v2, v2, v3
	v_mul_f32_e32 v147, v160, v10
	v_fmac_f32_e32 v195, v159, v188
	v_add_f32_e32 v1, v1, v163
	s_waitcnt vmcnt(1)
	v_fma_f32 v3, v160, v211, -v5
	v_add_f32_e32 v2, v2, v4
	v_fmac_f32_e32 v147, v161, v211
	v_add_f32_e32 v1, v1, v195
	v_add_f32_e32 v2, v2, v3
	;; [unrolled: 1-line block ×3, first 2 shown]
	s_waitcnt vmcnt(0)
	v_sub_f32_e32 v2, v168, v2
	v_sub_f32_e32 v1, v203, v1
	buffer_store_dword v2, off, s[0:3], 0 offset:184
	buffer_store_dword v1, off, s[0:3], 0 offset:188
	v_cmpx_lt_u32_e32 22, v0
	s_cbranch_execz .LBB63_353
; %bb.352:
	s_clause 0x1
	buffer_load_dword v1, off, s[0:3], 0 offset:176
	buffer_load_dword v2, off, s[0:3], 0 offset:180
	v_mov_b32_e32 v3, 0
	buffer_store_dword v3, off, s[0:3], 0 offset:176
	buffer_store_dword v3, off, s[0:3], 0 offset:180
	s_waitcnt vmcnt(0)
	ds_write_b64 v141, v[1:2]
.LBB63_353:
	s_or_b32 exec_lo, exec_lo, s4
	s_waitcnt lgkmcnt(0)
	s_waitcnt_vscnt null, 0x0
	s_barrier
	buffer_gl0_inv
	s_clause 0x23
	buffer_load_dword v145, off, s[0:3], 0 offset:188
	buffer_load_dword v144, off, s[0:3], 0 offset:196
	;; [unrolled: 1-line block ×36, first 2 shown]
	v_mov_b32_e32 v142, 0
	s_mov_b32 s4, exec_lo
	ds_read2_b64 v[5:8], v142 offset0:87 offset1:88
	s_clause 0x1
	buffer_load_dword v187, off, s[0:3], 0 offset:324
	buffer_load_dword v186, off, s[0:3], 0 offset:332
	ds_read2_b64 v[1:4], v142 offset0:89 offset1:90
	s_clause 0x8
	buffer_load_dword v184, off, s[0:3], 0 offset:340
	buffer_load_dword v170, off, s[0:3], 0 offset:348
	;; [unrolled: 1-line block ×9, first 2 shown]
	ds_read2_b64 v[9:12], v142 offset0:91 offset1:92
	ds_read2_b64 v[190:193], v142 offset0:93 offset1:94
	buffer_load_dword v202, off, s[0:3], 0 offset:180
	ds_read2_b64 v[194:197], v142 offset0:95 offset1:96
	ds_read2_b64 v[198:201], v142 offset0:97 offset1:98
	s_waitcnt vmcnt(47) lgkmcnt(5)
	v_mul_f32_e32 v203, v5, v145
	v_mul_f32_e32 v145, v6, v145
	s_waitcnt vmcnt(46)
	v_mul_f32_e32 v204, v7, v144
	v_mul_f32_e32 v144, v8, v144
	s_waitcnt vmcnt(43)
	v_fmac_f32_e32 v203, v6, v150
	v_fma_f32 v145, v5, v150, -v145
	s_waitcnt vmcnt(42) lgkmcnt(4)
	v_mul_f32_e32 v150, v1, v149
	v_mul_f32_e32 v149, v2, v149
	v_fmac_f32_e32 v204, v8, v147
	v_fma_f32 v144, v7, v147, -v144
	s_waitcnt vmcnt(41)
	v_mul_f32_e32 v147, v3, v148
	v_mul_f32_e32 v148, v4, v148
	v_fmac_f32_e32 v150, v2, v143
	v_fma_f32 v143, v1, v143, -v149
	s_waitcnt vmcnt(40) lgkmcnt(3)
	v_mul_f32_e32 v149, v9, v146
	v_mul_f32_e32 v1, v10, v146
	s_waitcnt vmcnt(36)
	v_fma_f32 v146, v3, v157, -v148
	s_waitcnt vmcnt(35)
	v_mul_f32_e32 v148, v11, v156
	v_mul_f32_e32 v2, v12, v156
	ds_read2_b64 v[5:8], v142 offset0:99 offset1:100
	v_fmac_f32_e32 v147, v4, v157
	v_fmac_f32_e32 v149, v10, v153
	v_fmac_f32_e32 v148, v12, v152
	v_fma_f32 v10, v11, v152, -v2
	s_clause 0x6
	buffer_load_dword v152, off, s[0:3], 0 offset:368
	buffer_load_dword v157, off, s[0:3], 0 offset:376
	;; [unrolled: 1-line block ×7, first 2 shown]
	s_waitcnt vmcnt(41) lgkmcnt(3)
	v_mul_f32_e32 v3, v191, v155
	s_waitcnt vmcnt(40)
	v_mul_f32_e32 v4, v193, v154
	v_fma_f32 v9, v9, v153, -v1
	v_mul_f32_e32 v156, v190, v155
	v_mul_f32_e32 v155, v192, v154
	v_fma_f32 v11, v190, v151, -v3
	s_waitcnt vmcnt(36)
	v_fma_f32 v12, v192, v169, -v4
	ds_read2_b64 v[1:4], v142 offset0:101 offset1:102
	v_fmac_f32_e32 v156, v191, v151
	s_waitcnt vmcnt(35) lgkmcnt(3)
	v_mul_f32_e32 v151, v194, v166
	v_mul_f32_e32 v153, v195, v166
	s_waitcnt vmcnt(34)
	v_mul_f32_e32 v154, v196, v165
	v_mul_f32_e32 v165, v197, v165
	v_fmac_f32_e32 v155, v193, v169
	s_waitcnt vmcnt(33) lgkmcnt(2)
	v_mul_f32_e32 v166, v198, v164
	v_mul_f32_e32 v164, v199, v164
	v_fmac_f32_e32 v151, v195, v161
	v_fma_f32 v153, v194, v161, -v153
	s_waitcnt vmcnt(32)
	v_mul_f32_e32 v161, v200, v162
	v_mul_f32_e32 v162, v201, v162
	v_fmac_f32_e32 v154, v197, v160
	v_fma_f32 v160, v196, v160, -v165
	s_waitcnt vmcnt(31) lgkmcnt(1)
	v_mul_f32_e32 v165, v5, v171
	v_mul_f32_e32 v169, v6, v171
	s_waitcnt vmcnt(26)
	v_mul_f32_e32 v195, v7, v181
	v_mul_f32_e32 v181, v8, v181
	v_fmac_f32_e32 v166, v199, v159
	v_fma_f32 v159, v198, v159, -v164
	v_fmac_f32_e32 v161, v201, v183
	v_fma_f32 v162, v200, v183, -v162
	s_clause 0x7
	buffer_load_dword v164, off, s[0:3], 0 offset:404
	buffer_load_dword v171, off, s[0:3], 0 offset:412
	;; [unrolled: 1-line block ×8, first 2 shown]
	v_fmac_f32_e32 v165, v6, v180
	v_fma_f32 v169, v5, v180, -v169
	v_fmac_f32_e32 v195, v8, v178
	v_fma_f32 v178, v7, v178, -v181
	s_waitcnt vmcnt(33) lgkmcnt(0)
	v_mul_f32_e32 v181, v1, v179
	v_mul_f32_e32 v5, v2, v179
	v_add_f32_e32 v6, 0, v203
	s_clause 0x3
	buffer_load_dword v180, off, s[0:3], 0 offset:436
	buffer_load_dword v196, off, s[0:3], 0 offset:444
	;; [unrolled: 1-line block ×4, first 2 shown]
	v_fmac_f32_e32 v181, v2, v176
	v_fma_f32 v176, v1, v176, -v5
	v_add_f32_e32 v1, 0, v145
	v_add_f32_e32 v2, v6, v204
	s_clause 0x4
	buffer_load_dword v198, off, s[0:3], 0 offset:468
	buffer_load_dword v199, off, s[0:3], 0 offset:476
	;; [unrolled: 1-line block ×5, first 2 shown]
	v_add_f32_e32 v1, v1, v144
	v_add_f32_e32 v5, v2, v150
	s_waitcnt vmcnt(41)
	v_mul_f32_e32 v150, v3, v173
	v_mul_f32_e32 v2, v4, v173
	buffer_load_dword v173, off, s[0:3], 0 offset:508
	v_add_f32_e32 v6, v1, v143
	v_add_f32_e32 v5, v5, v147
	s_waitcnt vmcnt(38)
	v_fmac_f32_e32 v150, v4, v189
	v_fma_f32 v189, v3, v189, -v2
	ds_read2_b64 v[1:4], v142 offset0:103 offset1:104
	v_add_f32_e32 v6, v6, v146
	s_clause 0x3
	buffer_load_dword v204, off, s[0:3], 0 offset:456
	buffer_load_dword v210, off, s[0:3], 0 offset:448
	;; [unrolled: 1-line block ×4, first 2 shown]
	v_add_f32_e32 v5, v5, v149
	v_add_f32_e32 v6, v6, v9
	;; [unrolled: 1-line block ×5, first 2 shown]
	ds_read2_b64 v[5:8], v142 offset0:105 offset1:106
	v_add_f32_e32 v9, v9, v11
	v_add_f32_e32 v10, v10, v155
	s_waitcnt vmcnt(41) lgkmcnt(1)
	v_mul_f32_e32 v147, v1, v185
	v_mul_f32_e32 v11, v2, v185
	v_fmac_f32_e32 v147, v2, v182
	v_fma_f32 v148, v1, v182, -v11
	s_clause 0x6
	buffer_load_dword v182, off, s[0:3], 0 offset:488
	buffer_load_dword v185, off, s[0:3], 0 offset:480
	;; [unrolled: 1-line block ×7, first 2 shown]
	v_add_f32_e32 v1, v9, v12
	v_add_f32_e32 v2, v10, v151
	s_waitcnt vmcnt(47)
	v_mul_f32_e32 v151, v3, v187
	v_mul_f32_e32 v9, v4, v187
	s_waitcnt vmcnt(46) lgkmcnt(0)
	v_mul_f32_e32 v155, v5, v186
	v_add_f32_e32 v1, v1, v153
	v_add_f32_e32 v2, v2, v154
	v_fmac_f32_e32 v151, v4, v177
	v_fma_f32 v153, v3, v177, -v9
	v_mul_f32_e32 v145, v6, v186
	v_add_f32_e32 v1, v1, v160
	v_add_f32_e32 v2, v2, v166
	s_waitcnt vmcnt(45)
	v_mul_f32_e32 v156, v7, v184
	v_mul_f32_e32 v146, v8, v184
	v_fmac_f32_e32 v155, v6, v167
	v_add_f32_e32 v10, v1, v159
	v_add_f32_e32 v143, v2, v161
	ds_read2_b64 v[1:4], v142 offset0:107 offset1:108
	v_fma_f32 v159, v5, v167, -v145
	s_waitcnt vmcnt(38)
	v_fmac_f32_e32 v156, v8, v188
	v_add_f32_e32 v144, v10, v162
	ds_read2_b64 v[9:12], v142 offset0:109 offset1:110
	v_add_f32_e32 v143, v143, v165
	v_fma_f32 v160, v7, v188, -v146
	v_add_f32_e32 v144, v144, v169
	v_add_f32_e32 v149, v143, v195
	;; [unrolled: 1-line block ×3, first 2 shown]
	ds_read2_b64 v[5:8], v142 offset0:111 offset1:112
	ds_read2_b64 v[143:146], v142 offset0:113 offset1:114
	v_add_f32_e32 v149, v149, v181
	v_add_f32_e32 v154, v154, v176
	;; [unrolled: 1-line block ×3, first 2 shown]
	s_waitcnt lgkmcnt(3)
	v_mul_f32_e32 v161, v1, v170
	v_mul_f32_e32 v162, v2, v170
	v_add_f32_e32 v150, v154, v189
	v_mul_f32_e32 v165, v3, v168
	v_mul_f32_e32 v166, v4, v168
	s_waitcnt lgkmcnt(2)
	v_mul_f32_e32 v167, v9, v175
	v_mul_f32_e32 v154, v10, v175
	v_add_f32_e32 v169, v149, v147
	v_add_f32_e32 v170, v150, v148
	v_fmac_f32_e32 v165, v4, v172
	v_fma_f32 v166, v3, v172, -v166
	v_fmac_f32_e32 v167, v10, v158
	v_fma_f32 v172, v9, v158, -v154
	v_add_f32_e32 v158, v169, v151
	v_add_f32_e32 v169, v170, v153
	v_fma_f32 v162, v1, v174, -v162
	v_fmac_f32_e32 v161, v2, v174
	s_waitcnt vmcnt(37)
	v_mul_f32_e32 v168, v11, v163
	v_add_f32_e32 v155, v158, v155
	v_add_f32_e32 v158, v169, v159
	v_mul_f32_e32 v163, v12, v163
	ds_read2_b64 v[1:4], v142 offset0:115 offset1:116
	ds_read2_b64 v[147:150], v142 offset0:117 offset1:118
	s_waitcnt vmcnt(35)
	v_fma_f32 v163, v11, v152, -v163
	v_fmac_f32_e32 v168, v12, v152
	s_waitcnt vmcnt(33) lgkmcnt(3)
	v_mul_f32_e32 v170, v5, v205
	v_mul_f32_e32 v159, v6, v205
	s_waitcnt vmcnt(31)
	v_mul_f32_e32 v174, v8, v207
	v_mul_f32_e32 v169, v7, v207
	s_waitcnt vmcnt(30) lgkmcnt(2)
	v_mul_f32_e32 v176, v144, v208
	v_fmac_f32_e32 v170, v6, v157
	v_add_f32_e32 v6, v155, v156
	v_add_f32_e32 v155, v158, v160
	v_fma_f32 v175, v5, v157, -v159
	v_fma_f32 v174, v7, v206, -v174
	v_fmac_f32_e32 v169, v8, v206
	v_add_f32_e32 v161, v6, v161
	v_add_f32_e32 v162, v155, v162
	ds_read2_b64 v[9:12], v142 offset0:119 offset1:120
	ds_read2_b64 v[151:154], v142 offset0:121 offset1:122
	;; [unrolled: 1-line block ×4, first 2 shown]
	ds_read_b64 v[159:160], v142 offset:1016
	v_add_f32_e32 v161, v161, v165
	v_add_f32_e32 v162, v162, v166
	v_mul_f32_e32 v165, v143, v208
	s_waitcnt vmcnt(29)
	v_fma_f32 v143, v143, v209, -v176
	v_add_f32_e32 v161, v161, v167
	v_add_f32_e32 v162, v162, v172
	v_fmac_f32_e32 v165, v144, v209
	v_add_f32_e32 v161, v161, v168
	v_add_f32_e32 v162, v162, v163
	s_waitcnt vmcnt(28)
	v_mul_f32_e32 v166, v145, v164
	v_mul_f32_e32 v164, v146, v164
	s_waitcnt vmcnt(27) lgkmcnt(6)
	v_mul_f32_e32 v167, v1, v171
	v_add_f32_e32 v161, v161, v170
	v_add_f32_e32 v162, v162, v175
	v_mul_f32_e32 v171, v2, v171
	s_waitcnt vmcnt(26)
	v_mul_f32_e32 v172, v3, v183
	s_waitcnt vmcnt(21)
	v_fma_f32 v145, v145, v194, -v164
	v_add_f32_e32 v161, v161, v169
	v_add_f32_e32 v162, v162, v174
	v_fmac_f32_e32 v166, v146, v194
	v_mul_f32_e32 v169, v4, v183
	v_fmac_f32_e32 v167, v2, v193
	v_add_f32_e32 v161, v161, v165
	v_add_f32_e32 v143, v162, v143
	v_fma_f32 v1, v1, v193, -v171
	v_fma_f32 v3, v3, v192, -v169
	s_waitcnt lgkmcnt(5)
	v_mul_f32_e32 v144, v147, v190
	v_fmac_f32_e32 v172, v4, v192
	v_add_f32_e32 v2, v143, v145
	v_add_f32_e32 v143, v161, v166
	v_mul_f32_e32 v145, v148, v190
	s_waitcnt vmcnt(20)
	v_mul_f32_e32 v4, v150, v180
	v_mul_f32_e32 v168, v149, v180
	v_add_f32_e32 v1, v2, v1
	v_add_f32_e32 v2, v143, v167
	v_fma_f32 v143, v147, v191, -v145
	v_fmac_f32_e32 v144, v148, v191
	s_waitcnt vmcnt(19) lgkmcnt(4)
	v_mul_f32_e32 v163, v9, v196
	v_add_f32_e32 v1, v1, v3
	v_add_f32_e32 v2, v2, v172
	v_mul_f32_e32 v3, v10, v196
	s_waitcnt vmcnt(18)
	v_mul_f32_e32 v146, v11, v179
	s_waitcnt vmcnt(17) lgkmcnt(3)
	v_mul_f32_e32 v164, v151, v197
	v_add_f32_e32 v1, v1, v143
	s_waitcnt vmcnt(7)
	v_fma_f32 v4, v149, v212, -v4
	v_fmac_f32_e32 v168, v150, v212
	v_add_f32_e32 v2, v2, v144
	v_mul_f32_e32 v143, v12, v179
	v_fma_f32 v3, v9, v211, -v3
	v_add_f32_e32 v1, v1, v4
	v_fmac_f32_e32 v163, v10, v211
	v_add_f32_e32 v2, v2, v168
	v_mul_f32_e32 v4, v152, v197
	v_fma_f32 v9, v11, v210, -v143
	v_add_f32_e32 v1, v1, v3
	v_fmac_f32_e32 v146, v12, v210
	v_add_f32_e32 v2, v2, v163
	v_mul_f32_e32 v3, v154, v198
	v_fma_f32 v4, v151, v204, -v4
	v_add_f32_e32 v1, v1, v9
	v_mul_f32_e32 v170, v153, v198
	v_fmac_f32_e32 v164, v152, v204
	v_add_f32_e32 v2, v2, v146
	s_waitcnt lgkmcnt(2)
	v_mul_f32_e32 v9, v6, v199
	v_add_f32_e32 v1, v1, v4
	v_mul_f32_e32 v175, v5, v199
	v_mul_f32_e32 v4, v8, v200
	v_add_f32_e32 v2, v2, v164
	s_waitcnt vmcnt(4)
	v_fma_f32 v5, v5, v213, -v9
	s_waitcnt vmcnt(3)
	v_fma_f32 v3, v153, v214, -v3
	v_fmac_f32_e32 v170, v154, v214
	v_mul_f32_e32 v176, v7, v200
	v_fmac_f32_e32 v175, v6, v213
	v_fma_f32 v4, v7, v185, -v4
	v_add_f32_e32 v1, v1, v3
	v_add_f32_e32 v2, v2, v170
	s_waitcnt lgkmcnt(1)
	v_mul_f32_e32 v3, v156, v201
	v_mul_f32_e32 v174, v155, v201
	v_fmac_f32_e32 v176, v8, v185
	v_add_f32_e32 v1, v1, v5
	v_add_f32_e32 v2, v2, v175
	v_mul_f32_e32 v5, v158, v203
	v_fma_f32 v3, v155, v182, -v3
	v_mul_f32_e32 v177, v157, v203
	v_add_f32_e32 v1, v1, v4
	v_fmac_f32_e32 v174, v156, v182
	v_add_f32_e32 v2, v2, v176
	s_waitcnt lgkmcnt(0)
	v_mul_f32_e32 v4, v160, v173
	s_waitcnt vmcnt(1)
	v_fma_f32 v5, v157, v216, -v5
	v_add_f32_e32 v1, v1, v3
	v_mul_f32_e32 v162, v159, v173
	v_fmac_f32_e32 v177, v158, v216
	v_add_f32_e32 v2, v2, v174
	v_fma_f32 v3, v159, v215, -v4
	v_add_f32_e32 v1, v1, v5
	v_fmac_f32_e32 v162, v160, v215
	v_add_f32_e32 v2, v2, v177
	v_add_f32_e32 v1, v1, v3
	;; [unrolled: 1-line block ×3, first 2 shown]
	s_waitcnt vmcnt(0)
	v_sub_f32_e32 v1, v217, v1
	v_sub_f32_e32 v2, v202, v2
	buffer_store_dword v1, off, s[0:3], 0 offset:176
	buffer_store_dword v2, off, s[0:3], 0 offset:180
	v_cmpx_lt_u32_e32 21, v0
	s_cbranch_execz .LBB63_355
; %bb.354:
	s_clause 0x1
	buffer_load_dword v1, off, s[0:3], 0 offset:168
	buffer_load_dword v2, off, s[0:3], 0 offset:172
	buffer_store_dword v142, off, s[0:3], 0 offset:168
	buffer_store_dword v142, off, s[0:3], 0 offset:172
	s_waitcnt vmcnt(0)
	ds_write_b64 v141, v[1:2]
.LBB63_355:
	s_or_b32 exec_lo, exec_lo, s4
	s_waitcnt lgkmcnt(0)
	s_waitcnt_vscnt null, 0x0
	s_barrier
	buffer_gl0_inv
	s_clause 0x24
	buffer_load_dword v143, off, s[0:3], 0 offset:180
	buffer_load_dword v144, off, s[0:3], 0 offset:188
	;; [unrolled: 1-line block ×37, first 2 shown]
	ds_read_b128 v[9:12], v142 offset:688
	ds_read_b128 v[5:8], v142 offset:704
	s_clause 0x8
	buffer_load_dword v188, off, s[0:3], 0 offset:324
	buffer_load_dword v183, off, s[0:3], 0 offset:332
	;; [unrolled: 1-line block ×9, first 2 shown]
	ds_read_b128 v[1:4], v142 offset:720
	ds_read_b128 v[189:192], v142 offset:736
	;; [unrolled: 1-line block ×4, first 2 shown]
	buffer_load_dword v201, off, s[0:3], 0 offset:172
	s_mov_b32 s4, exec_lo
	s_waitcnt vmcnt(46) lgkmcnt(5)
	v_mul_f32_e32 v202, v9, v143
	s_waitcnt vmcnt(45)
	v_mul_f32_e32 v203, v11, v144
	v_mul_f32_e32 v143, v10, v143
	;; [unrolled: 1-line block ×3, first 2 shown]
	s_waitcnt vmcnt(44) lgkmcnt(4)
	v_mul_f32_e32 v204, v5, v146
	v_mul_f32_e32 v146, v6, v146
	s_waitcnt vmcnt(41)
	v_fmac_f32_e32 v202, v10, v149
	v_fma_f32 v143, v9, v149, -v143
	s_waitcnt vmcnt(40)
	v_mul_f32_e32 v149, v7, v148
	v_mul_f32_e32 v9, v8, v148
	v_fmac_f32_e32 v203, v12, v147
	v_fma_f32 v144, v11, v147, -v144
	s_waitcnt vmcnt(35) lgkmcnt(3)
	v_mul_f32_e32 v147, v1, v156
	v_mul_f32_e32 v156, v2, v156
	v_fmac_f32_e32 v204, v6, v145
	v_fma_f32 v145, v5, v145, -v146
	v_fmac_f32_e32 v149, v8, v159
	v_fma_f32 v146, v7, v159, -v9
	s_waitcnt vmcnt(34)
	v_mul_f32_e32 v148, v3, v157
	v_mul_f32_e32 v157, v4, v157
	s_waitcnt vmcnt(33) lgkmcnt(2)
	v_mul_f32_e32 v159, v189, v155
	v_mul_f32_e32 v155, v190, v155
	v_fmac_f32_e32 v147, v2, v153
	v_fma_f32 v153, v1, v153, -v156
	s_waitcnt vmcnt(32)
	v_mul_f32_e32 v156, v191, v154
	v_mul_f32_e32 v1, v192, v154
	ds_read_b128 v[5:8], v142 offset:784
	ds_read_b128 v[9:12], v142 offset:800
	v_fmac_f32_e32 v148, v4, v151
	v_fma_f32 v151, v3, v151, -v157
	s_waitcnt vmcnt(31) lgkmcnt(3)
	v_mul_f32_e32 v157, v193, v152
	s_waitcnt vmcnt(30)
	v_mul_f32_e32 v154, v195, v158
	v_mul_f32_e32 v2, v194, v152
	;; [unrolled: 1-line block ×3, first 2 shown]
	v_fmac_f32_e32 v159, v190, v150
	v_fma_f32 v150, v189, v150, -v155
	s_waitcnt vmcnt(26)
	v_fmac_f32_e32 v156, v192, v170
	v_fma_f32 v152, v191, v170, -v1
	s_clause 0x7
	buffer_load_dword v155, off, s[0:3], 0 offset:364
	buffer_load_dword v158, off, s[0:3], 0 offset:368
	buffer_load_dword v170, off, s[0:3], 0 offset:372
	buffer_load_dword v189, off, s[0:3], 0 offset:376
	buffer_load_dword v190, off, s[0:3], 0 offset:380
	buffer_load_dword v191, off, s[0:3], 0 offset:388
	buffer_load_dword v192, off, s[0:3], 0 offset:384
	buffer_load_dword v205, off, s[0:3], 0 offset:360
	v_fmac_f32_e32 v157, v194, v165
	v_fmac_f32_e32 v154, v196, v163
	v_fma_f32 v165, v193, v165, -v2
	v_fma_f32 v163, v195, v163, -v3
	ds_read_b128 v[1:4], v142 offset:816
	s_waitcnt vmcnt(33) lgkmcnt(3)
	v_mul_f32_e32 v193, v197, v164
	v_mul_f32_e32 v164, v198, v164
	s_waitcnt vmcnt(32)
	v_mul_f32_e32 v195, v199, v162
	v_mul_f32_e32 v162, v200, v162
	buffer_load_dword v194, off, s[0:3], 0 offset:396
	v_fmac_f32_e32 v193, v198, v160
	v_fma_f32 v160, v197, v160, -v164
	s_waitcnt vmcnt(32) lgkmcnt(2)
	v_mul_f32_e32 v164, v5, v161
	s_waitcnt vmcnt(28)
	v_fmac_f32_e32 v195, v200, v176
	v_fma_f32 v162, v199, v176, -v162
	s_waitcnt vmcnt(27)
	v_mul_f32_e32 v176, v7, v175
	v_mul_f32_e32 v161, v6, v161
	;; [unrolled: 1-line block ×3, first 2 shown]
	s_waitcnt vmcnt(26) lgkmcnt(1)
	v_mul_f32_e32 v196, v9, v174
	v_mul_f32_e32 v174, v10, v174
	v_fmac_f32_e32 v164, v6, v173
	v_fmac_f32_e32 v176, v8, v172
	v_fma_f32 v161, v5, v173, -v161
	v_fma_f32 v172, v7, v172, -v175
	s_clause 0x4
	buffer_load_dword v173, off, s[0:3], 0 offset:404
	buffer_load_dword v175, off, s[0:3], 0 offset:416
	;; [unrolled: 1-line block ×5, first 2 shown]
	s_waitcnt vmcnt(30)
	v_mul_f32_e32 v200, v11, v171
	v_mul_f32_e32 v171, v12, v171
	v_fmac_f32_e32 v196, v10, v168
	v_fma_f32 v168, v9, v168, -v174
	s_waitcnt vmcnt(25) lgkmcnt(0)
	v_mul_f32_e32 v174, v1, v186
	v_mul_f32_e32 v9, v2, v186
	ds_read_b128 v[5:8], v142 offset:832
	v_fmac_f32_e32 v200, v12, v187
	v_fma_f32 v171, v11, v187, -v171
	s_clause 0x1
	buffer_load_dword v186, off, s[0:3], 0 offset:412
	buffer_load_dword v187, off, s[0:3], 0 offset:420
	v_fmac_f32_e32 v174, v2, v182
	v_fma_f32 v182, v1, v182, -v9
	v_add_f32_e32 v1, 0, v202
	s_waitcnt vmcnt(26)
	v_mul_f32_e32 v206, v3, v184
	v_mul_f32_e32 v10, v4, v184
	s_clause 0x2
	buffer_load_dword v184, off, s[0:3], 0 offset:428
	buffer_load_dword v207, off, s[0:3], 0 offset:436
	buffer_load_dword v208, off, s[0:3], 0 offset:444
	v_add_f32_e32 v1, v1, v203
	s_clause 0x6
	buffer_load_dword v202, off, s[0:3], 0 offset:452
	buffer_load_dword v209, off, s[0:3], 0 offset:460
	buffer_load_dword v210, off, s[0:3], 0 offset:468
	buffer_load_dword v203, off, s[0:3], 0 offset:476
	buffer_load_dword v211, off, s[0:3], 0 offset:484
	buffer_load_dword v212, off, s[0:3], 0 offset:492
	buffer_load_dword v213, off, s[0:3], 0 offset:508
	v_add_f32_e32 v1, v1, v204
	s_clause 0x4
	buffer_load_dword v204, off, s[0:3], 0 offset:500
	buffer_load_dword v214, off, s[0:3], 0 offset:448
	buffer_load_dword v215, off, s[0:3], 0 offset:440
	buffer_load_dword v216, off, s[0:3], 0 offset:432
	buffer_load_dword v217, off, s[0:3], 0 offset:424
	v_add_f32_e32 v2, 0, v143
	v_fmac_f32_e32 v206, v4, v181
	v_add_f32_e32 v1, v1, v149
	v_fma_f32 v181, v3, v181, -v10
	s_waitcnt vmcnt(40) lgkmcnt(0)
	v_mul_f32_e32 v3, v6, v188
	v_add_f32_e32 v2, v2, v144
	v_add_f32_e32 v1, v1, v147
	;; [unrolled: 1-line block ×6, first 2 shown]
	s_clause 0x6
	buffer_load_dword v159, off, s[0:3], 0 offset:480
	buffer_load_dword v218, off, s[0:3], 0 offset:472
	;; [unrolled: 1-line block ×7, first 2 shown]
	v_add_f32_e32 v2, v2, v153
	v_add_f32_e32 v1, v1, v156
	s_waitcnt vmcnt(46)
	v_mul_f32_e32 v156, v7, v183
	v_add_f32_e32 v2, v2, v151
	v_mul_f32_e32 v151, v5, v188
	v_add_f32_e32 v1, v1, v157
	s_waitcnt vmcnt(39)
	v_fmac_f32_e32 v156, v8, v185
	v_add_f32_e32 v2, v2, v150
	v_fmac_f32_e32 v151, v6, v166
	v_add_f32_e32 v1, v1, v154
	v_add_f32_e32 v2, v2, v152
	v_fma_f32 v152, v5, v166, -v3
	v_add_f32_e32 v6, v1, v193
	v_add_f32_e32 v2, v2, v165
	buffer_load_dword v165, off, s[0:3], 0 offset:168
	v_add_f32_e32 v10, v6, v195
	v_add_f32_e32 v2, v2, v163
	;; [unrolled: 1-line block ×4, first 2 shown]
	ds_read_b128 v[1:4], v142 offset:848
	v_add_f32_e32 v144, v144, v176
	v_add_f32_e32 v9, v5, v162
	v_mul_f32_e32 v5, v8, v183
	v_add_f32_e32 v143, v9, v161
	v_fma_f32 v157, v7, v185, -v5
	ds_read_b128 v[5:8], v142 offset:864
	ds_read_b128 v[9:12], v142 offset:880
	v_add_f32_e32 v143, v143, v172
	v_add_f32_e32 v147, v143, v168
	s_waitcnt lgkmcnt(2)
	v_mul_f32_e32 v145, v2, v179
	v_mul_f32_e32 v160, v1, v179
	;; [unrolled: 1-line block ×3, first 2 shown]
	v_fma_f32 v161, v1, v180, -v145
	v_add_f32_e32 v1, v144, v196
	v_fmac_f32_e32 v160, v2, v180
	v_add_f32_e32 v2, v147, v171
	ds_read_b128 v[143:146], v142 offset:896
	v_mul_f32_e32 v147, v4, v178
	v_add_f32_e32 v1, v1, v200
	s_waitcnt lgkmcnt(2)
	v_mul_f32_e32 v163, v5, v177
	v_mul_f32_e32 v148, v6, v177
	v_add_f32_e32 v2, v2, v182
	v_fmac_f32_e32 v162, v4, v169
	v_add_f32_e32 v1, v1, v174
	v_fmac_f32_e32 v163, v6, v167
	v_fma_f32 v167, v5, v167, -v148
	v_add_f32_e32 v5, v2, v181
	v_add_f32_e32 v6, v1, v206
	s_waitcnt vmcnt(38)
	v_mul_f32_e32 v164, v7, v155
	v_mul_f32_e32 v153, v8, v155
	s_waitcnt vmcnt(36) lgkmcnt(1)
	v_mul_f32_e32 v166, v9, v170
	v_mul_f32_e32 v154, v10, v170
	v_fma_f32 v155, v3, v169, -v147
	s_waitcnt vmcnt(33) lgkmcnt(0)
	v_mul_f32_e32 v171, v143, v191
	ds_read_b128 v[1:4], v142 offset:912
	ds_read_b128 v[147:150], v142 offset:928
	v_fmac_f32_e32 v166, v10, v158
	v_add_f32_e32 v10, v5, v152
	v_fma_f32 v169, v9, v158, -v154
	v_add_f32_e32 v9, v6, v151
	s_waitcnt vmcnt(31)
	v_fma_f32 v168, v7, v205, -v153
	v_fmac_f32_e32 v164, v8, v205
	v_add_f32_e32 v10, v10, v157
	v_mul_f32_e32 v157, v12, v190
	v_add_f32_e32 v9, v9, v156
	v_mul_f32_e32 v156, v144, v191
	v_mul_f32_e32 v170, v11, v190
	v_add_f32_e32 v10, v10, v161
	v_fma_f32 v174, v11, v189, -v157
	s_waitcnt vmcnt(30)
	v_mul_f32_e32 v161, v145, v194
	v_fma_f32 v176, v143, v192, -v156
	v_add_f32_e32 v143, v9, v160
	v_add_f32_e32 v160, v10, v155
	v_fmac_f32_e32 v170, v12, v189
	v_mul_f32_e32 v172, v146, v194
	v_fmac_f32_e32 v171, v144, v192
	v_add_f32_e32 v162, v143, v162
	v_add_f32_e32 v160, v160, v167
	s_waitcnt vmcnt(29) lgkmcnt(1)
	v_mul_f32_e32 v167, v2, v173
	ds_read_b128 v[5:8], v142 offset:944
	ds_read_b128 v[151:154], v142 offset:960
	ds_read_b128 v[9:12], v142 offset:976
	ds_read_b128 v[155:158], v142 offset:992
	v_add_f32_e32 v162, v162, v163
	v_add_f32_e32 v160, v160, v168
	s_waitcnt vmcnt(25)
	v_fmac_f32_e32 v161, v146, v199
	v_fma_f32 v146, v145, v199, -v172
	v_mul_f32_e32 v172, v1, v173
	v_add_f32_e32 v162, v162, v164
	v_add_f32_e32 v160, v160, v169
	v_fma_f32 v1, v1, v198, -v167
	ds_read_b128 v[142:145], v142 offset:1008
	s_waitcnt vmcnt(24)
	v_mul_f32_e32 v173, v4, v186
	v_add_f32_e32 v162, v162, v166
	v_add_f32_e32 v160, v160, v174
	v_mul_f32_e32 v163, v3, v186
	v_fmac_f32_e32 v172, v2, v198
	v_fma_f32 v3, v3, v197, -v173
	v_add_f32_e32 v162, v162, v170
	v_add_f32_e32 v160, v160, v176
	s_waitcnt vmcnt(23) lgkmcnt(5)
	v_mul_f32_e32 v168, v147, v187
	v_fmac_f32_e32 v163, v4, v197
	s_waitcnt vmcnt(22)
	v_mul_f32_e32 v164, v149, v184
	v_add_f32_e32 v162, v162, v171
	v_add_f32_e32 v146, v160, v146
	v_fmac_f32_e32 v168, v148, v175
	s_waitcnt vmcnt(21) lgkmcnt(4)
	v_mul_f32_e32 v177, v5, v207
	s_waitcnt vmcnt(20)
	v_mul_f32_e32 v169, v7, v208
	v_add_f32_e32 v160, v162, v161
	v_mul_f32_e32 v161, v148, v187
	v_add_f32_e32 v1, v146, v1
	v_mul_f32_e32 v146, v150, v184
	s_waitcnt vmcnt(8)
	v_fmac_f32_e32 v164, v150, v217
	v_add_f32_e32 v4, v160, v172
	v_fma_f32 v147, v147, v175, -v161
	v_add_f32_e32 v1, v1, v3
	v_fma_f32 v146, v149, v217, -v146
	v_fmac_f32_e32 v177, v6, v216
	v_add_f32_e32 v3, v4, v163
	v_mul_f32_e32 v4, v6, v207
	v_add_f32_e32 v1, v1, v147
	v_mul_f32_e32 v147, v8, v208
	s_waitcnt lgkmcnt(3)
	v_mul_f32_e32 v166, v151, v202
	v_add_f32_e32 v3, v3, v168
	v_fma_f32 v4, v5, v216, -v4
	v_add_f32_e32 v1, v1, v146
	v_mul_f32_e32 v5, v152, v202
	v_fma_f32 v6, v7, v215, -v147
	v_add_f32_e32 v3, v3, v164
	v_fmac_f32_e32 v169, v8, v215
	v_add_f32_e32 v1, v1, v4
	v_mul_f32_e32 v4, v154, v209
	v_fma_f32 v5, v151, v214, -v5
	v_add_f32_e32 v3, v3, v177
	v_mul_f32_e32 v178, v153, v209
	v_add_f32_e32 v1, v1, v6
	v_fmac_f32_e32 v166, v152, v214
	s_waitcnt lgkmcnt(2)
	v_mul_f32_e32 v6, v10, v210
	v_add_f32_e32 v3, v3, v169
	s_waitcnt vmcnt(4)
	v_fma_f32 v4, v153, v220, -v4
	v_add_f32_e32 v1, v1, v5
	v_mul_f32_e32 v174, v9, v210
	v_fmac_f32_e32 v178, v154, v220
	v_add_f32_e32 v3, v3, v166
	v_mul_f32_e32 v5, v12, v203
	v_fma_f32 v6, v9, v219, -v6
	v_add_f32_e32 v1, v1, v4
	v_mul_f32_e32 v170, v11, v203
	v_fmac_f32_e32 v174, v10, v219
	v_add_f32_e32 v3, v3, v178
	s_waitcnt lgkmcnt(1)
	v_mul_f32_e32 v4, v156, v211
	v_fma_f32 v5, v11, v218, -v5
	v_add_f32_e32 v1, v1, v6
	v_mul_f32_e32 v179, v155, v211
	v_fmac_f32_e32 v170, v12, v218
	v_add_f32_e32 v3, v3, v174
	v_mul_f32_e32 v6, v158, v212
	v_fma_f32 v4, v155, v159, -v4
	v_add_f32_e32 v1, v1, v5
	v_mul_f32_e32 v176, v157, v212
	v_fmac_f32_e32 v179, v156, v159
	v_add_f32_e32 v3, v3, v170
	s_waitcnt lgkmcnt(0)
	v_mul_f32_e32 v5, v143, v204
	s_waitcnt vmcnt(1)
	v_fma_f32 v6, v157, v223, -v6
	v_add_f32_e32 v1, v1, v4
	v_mul_f32_e32 v171, v142, v204
	v_fmac_f32_e32 v176, v158, v223
	v_add_f32_e32 v3, v3, v179
	v_mul_f32_e32 v4, v145, v213
	v_fma_f32 v5, v142, v222, -v5
	v_add_f32_e32 v1, v1, v6
	v_mul_f32_e32 v2, v144, v213
	v_fmac_f32_e32 v171, v143, v222
	v_add_f32_e32 v3, v3, v176
	v_fma_f32 v4, v144, v221, -v4
	v_add_f32_e32 v1, v1, v5
	v_fmac_f32_e32 v2, v145, v221
	v_add_f32_e32 v3, v3, v171
	v_add_f32_e32 v1, v1, v4
	;; [unrolled: 1-line block ×3, first 2 shown]
	s_waitcnt vmcnt(0)
	v_sub_f32_e32 v1, v165, v1
	v_sub_f32_e32 v2, v201, v2
	buffer_store_dword v1, off, s[0:3], 0 offset:168
	buffer_store_dword v2, off, s[0:3], 0 offset:172
	v_cmpx_lt_u32_e32 20, v0
	s_cbranch_execz .LBB63_357
; %bb.356:
	s_clause 0x1
	buffer_load_dword v1, off, s[0:3], 0 offset:160
	buffer_load_dword v2, off, s[0:3], 0 offset:164
	v_mov_b32_e32 v3, 0
	buffer_store_dword v3, off, s[0:3], 0 offset:160
	buffer_store_dword v3, off, s[0:3], 0 offset:164
	s_waitcnt vmcnt(0)
	ds_write_b64 v141, v[1:2]
.LBB63_357:
	s_or_b32 exec_lo, exec_lo, s4
	s_waitcnt lgkmcnt(0)
	s_waitcnt_vscnt null, 0x0
	s_barrier
	buffer_gl0_inv
	s_clause 0x25
	buffer_load_dword v144, off, s[0:3], 0 offset:172
	buffer_load_dword v145, off, s[0:3], 0 offset:180
	;; [unrolled: 1-line block ×38, first 2 shown]
	v_mov_b32_e32 v142, 0
	ds_read2_b64 v[9:12], v142 offset0:85 offset1:86
	ds_read2_b64 v[1:4], v142 offset0:87 offset1:88
	s_clause 0x7
	buffer_load_dword v185, off, s[0:3], 0 offset:324
	buffer_load_dword v182, off, s[0:3], 0 offset:332
	;; [unrolled: 1-line block ×8, first 2 shown]
	ds_read2_b64 v[5:8], v142 offset0:89 offset1:90
	s_clause 0x9
	buffer_load_dword v180, off, s[0:3], 0 offset:356
	buffer_load_dword v167, off, s[0:3], 0 offset:360
	;; [unrolled: 1-line block ×10, first 2 shown]
	ds_read2_b64 v[192:195], v142 offset0:91 offset1:92
	s_mov_b32 s4, exec_lo
	s_waitcnt vmcnt(55) lgkmcnt(3)
	v_mul_f32_e32 v203, v9, v144
	v_mul_f32_e32 v144, v10, v144
	s_waitcnt vmcnt(54)
	v_mul_f32_e32 v204, v11, v145
	v_mul_f32_e32 v145, v12, v145
	s_waitcnt vmcnt(51)
	v_fmac_f32_e32 v203, v10, v150
	v_fma_f32 v150, v9, v150, -v144
	s_waitcnt vmcnt(50) lgkmcnt(2)
	v_mul_f32_e32 v205, v1, v149
	v_mul_f32_e32 v144, v2, v149
	v_fmac_f32_e32 v204, v12, v147
	v_fma_f32 v147, v11, v147, -v145
	ds_read2_b64 v[9:12], v142 offset0:93 offset1:94
	s_waitcnt vmcnt(49)
	v_mul_f32_e32 v149, v3, v148
	v_mul_f32_e32 v145, v4, v148
	v_fmac_f32_e32 v205, v2, v143
	v_fma_f32 v148, v1, v143, -v144
	s_waitcnt vmcnt(48) lgkmcnt(2)
	v_mul_f32_e32 v206, v5, v146
	v_mul_f32_e32 v143, v6, v146
	s_waitcnt vmcnt(44)
	v_fmac_f32_e32 v149, v4, v158
	v_fma_f32 v158, v3, v158, -v145
	ds_read2_b64 v[1:4], v142 offset0:95 offset1:96
	s_waitcnt vmcnt(43)
	v_mul_f32_e32 v207, v7, v156
	v_mul_f32_e32 v144, v8, v156
	v_fmac_f32_e32 v206, v6, v154
	v_fma_f32 v154, v5, v154, -v143
	s_waitcnt vmcnt(42) lgkmcnt(2)
	v_mul_f32_e32 v156, v192, v155
	v_fmac_f32_e32 v207, v8, v152
	v_fma_f32 v152, v7, v152, -v144
	ds_read2_b64 v[5:8], v142 offset0:97 offset1:98
	v_mul_f32_e32 v143, v193, v155
	s_waitcnt vmcnt(41)
	v_mul_f32_e32 v155, v194, v153
	v_mul_f32_e32 v144, v195, v153
	s_waitcnt vmcnt(40) lgkmcnt(2)
	v_mul_f32_e32 v153, v9, v157
	v_mul_f32_e32 v157, v10, v157
	v_fmac_f32_e32 v156, v193, v151
	v_fma_f32 v151, v192, v151, -v143
	s_waitcnt vmcnt(36)
	v_fmac_f32_e32 v155, v195, v166
	v_fma_f32 v166, v194, v166, -v144
	ds_read2_b64 v[143:146], v142 offset0:99 offset1:100
	s_waitcnt vmcnt(35)
	v_mul_f32_e32 v192, v11, v165
	v_mul_f32_e32 v165, v12, v165
	v_fmac_f32_e32 v153, v10, v162
	v_fma_f32 v157, v9, v162, -v157
	s_waitcnt vmcnt(34) lgkmcnt(2)
	v_mul_f32_e32 v162, v1, v163
	v_mul_f32_e32 v163, v2, v163
	v_fmac_f32_e32 v192, v12, v160
	v_fma_f32 v160, v11, v160, -v165
	ds_read2_b64 v[9:12], v142 offset0:101 offset1:102
	v_fmac_f32_e32 v162, v2, v159
	v_fma_f32 v159, v1, v159, -v163
	s_waitcnt vmcnt(32) lgkmcnt(2)
	v_mul_f32_e32 v163, v5, v164
	v_mul_f32_e32 v1, v6, v164
	;; [unrolled: 1-line block ×4, first 2 shown]
	s_waitcnt vmcnt(27)
	v_mul_f32_e32 v2, v8, v176
	v_fmac_f32_e32 v163, v6, v173
	v_add_f32_e32 v6, 0, v203
	v_fmac_f32_e32 v165, v4, v177
	v_fma_f32 v161, v3, v177, -v161
	v_mul_f32_e32 v177, v7, v176
	s_waitcnt vmcnt(26) lgkmcnt(1)
	v_mul_f32_e32 v164, v143, v175
	v_add_f32_e32 v6, v6, v204
	v_mul_f32_e32 v3, v144, v175
	s_waitcnt vmcnt(25)
	v_mul_f32_e32 v175, v145, v174
	v_mul_f32_e32 v4, v146, v174
	s_clause 0x6
	buffer_load_dword v174, off, s[0:3], 0 offset:396
	buffer_load_dword v176, off, s[0:3], 0 offset:408
	;; [unrolled: 1-line block ×7, first 2 shown]
	v_add_f32_e32 v6, v6, v205
	v_fma_f32 v173, v5, v173, -v1
	v_fmac_f32_e32 v164, v144, v170
	v_fma_f32 v143, v143, v170, -v3
	s_waitcnt vmcnt(27) lgkmcnt(0)
	v_mul_f32_e32 v170, v9, v189
	v_mul_f32_e32 v5, v10, v189
	v_add_f32_e32 v6, v6, v149
	v_fmac_f32_e32 v177, v8, v172
	v_fma_f32 v172, v7, v172, -v2
	v_fmac_f32_e32 v175, v146, v190
	v_fma_f32 v144, v145, v190, -v4
	buffer_load_dword v189, off, s[0:3], 0 offset:420
	s_waitcnt vmcnt(27)
	v_mul_f32_e32 v190, v11, v184
	v_fmac_f32_e32 v170, v10, v186
	v_fma_f32 v186, v9, v186, -v5
	v_add_f32_e32 v5, 0, v150
	v_mul_f32_e32 v7, v12, v184
	v_add_f32_e32 v6, v6, v206
	ds_read2_b64 v[1:4], v142 offset0:103 offset1:104
	s_clause 0x1
	buffer_load_dword v203, off, s[0:3], 0 offset:428
	buffer_load_dword v204, off, s[0:3], 0 offset:436
	v_add_f32_e32 v5, v5, v147
	buffer_load_dword v184, off, s[0:3], 0 offset:444
	v_fmac_f32_e32 v190, v12, v181
	v_fma_f32 v147, v11, v181, -v7
	s_clause 0x7
	buffer_load_dword v181, off, s[0:3], 0 offset:452
	buffer_load_dword v205, off, s[0:3], 0 offset:460
	;; [unrolled: 1-line block ×8, first 2 shown]
	v_add_f32_e32 v6, v6, v207
	s_clause 0x3
	buffer_load_dword v207, off, s[0:3], 0 offset:440
	buffer_load_dword v215, off, s[0:3], 0 offset:432
	;; [unrolled: 1-line block ×4, first 2 shown]
	v_add_f32_e32 v5, v5, v148
	s_clause 0x3
	buffer_load_dword v218, off, s[0:3], 0 offset:472
	buffer_load_dword v219, off, s[0:3], 0 offset:464
	;; [unrolled: 1-line block ×4, first 2 shown]
	v_add_f32_e32 v6, v6, v156
	v_add_f32_e32 v5, v5, v158
	;; [unrolled: 1-line block ×3, first 2 shown]
	s_waitcnt vmcnt(45) lgkmcnt(0)
	v_mul_f32_e32 v148, v1, v188
	v_add_f32_e32 v5, v5, v154
	v_mul_f32_e32 v7, v2, v188
	v_add_f32_e32 v6, v6, v153
	v_fmac_f32_e32 v148, v2, v168
	v_add_f32_e32 v5, v5, v152
	v_fma_f32 v149, v1, v168, -v7
	v_add_f32_e32 v6, v6, v192
	v_add_f32_e32 v5, v5, v151
	s_waitcnt vmcnt(44)
	v_mul_f32_e32 v151, v3, v185
	v_add_f32_e32 v6, v6, v162
	v_add_f32_e32 v5, v5, v166
	s_clause 0x4
	buffer_load_dword v166, off, s[0:3], 0 offset:504
	buffer_load_dword v192, off, s[0:3], 0 offset:496
	;; [unrolled: 1-line block ×5, first 2 shown]
	v_add_f32_e32 v1, v6, v165
	s_waitcnt vmcnt(42)
	v_fmac_f32_e32 v151, v4, v187
	v_add_f32_e32 v5, v5, v157
	v_add_f32_e32 v9, v1, v163
	v_mul_f32_e32 v1, v4, v185
	v_add_f32_e32 v5, v5, v160
	v_add_f32_e32 v145, v9, v177
	v_fma_f32 v152, v3, v187, -v1
	v_add_f32_e32 v5, v5, v159
	v_add_f32_e32 v145, v145, v164
	;; [unrolled: 1-line block ×3, first 2 shown]
	ds_read2_b64 v[5:8], v142 offset0:105 offset1:106
	v_add_f32_e32 v153, v145, v175
	v_add_f32_e32 v10, v2, v173
	ds_read2_b64 v[1:4], v142 offset0:107 offset1:108
	v_add_f32_e32 v146, v10, v172
	ds_read2_b64 v[9:12], v142 offset0:109 offset1:110
	v_add_f32_e32 v143, v146, v143
	s_waitcnt lgkmcnt(2)
	v_mul_f32_e32 v150, v6, v182
	v_mul_f32_e32 v155, v5, v182
	;; [unrolled: 1-line block ×3, first 2 shown]
	v_fma_f32 v156, v5, v183, -v150
	v_add_f32_e32 v5, v143, v144
	ds_read2_b64 v[143:146], v142 offset0:111 offset1:112
	v_fmac_f32_e32 v155, v6, v183
	v_add_f32_e32 v6, v153, v170
	s_waitcnt lgkmcnt(2)
	v_mul_f32_e32 v158, v1, v178
	v_add_f32_e32 v5, v5, v186
	v_mul_f32_e32 v153, v2, v178
	s_waitcnt vmcnt(39) lgkmcnt(1)
	v_mul_f32_e32 v162, v9, v196
	v_add_f32_e32 v6, v6, v190
	v_fmac_f32_e32 v158, v2, v169
	v_add_f32_e32 v5, v5, v147
	v_fma_f32 v160, v1, v169, -v153
	v_mul_f32_e32 v153, v10, v196
	v_add_f32_e32 v1, v6, v148
	v_mul_f32_e32 v150, v8, v179
	v_add_f32_e32 v2, v5, v149
	v_fmac_f32_e32 v162, v10, v167
	v_fma_f32 v164, v9, v167, -v153
	v_add_f32_e32 v10, v1, v151
	v_fma_f32 v159, v7, v171, -v150
	v_add_f32_e32 v9, v2, v152
	v_fmac_f32_e32 v157, v8, v171
	v_mul_f32_e32 v154, v4, v180
	v_add_f32_e32 v10, v10, v155
	s_waitcnt vmcnt(36) lgkmcnt(0)
	v_mul_f32_e32 v167, v143, v199
	v_add_f32_e32 v9, v9, v156
	v_mul_f32_e32 v156, v144, v199
	v_mul_f32_e32 v161, v3, v180
	v_add_f32_e32 v10, v10, v157
	s_waitcnt vmcnt(34)
	v_fma_f32 v163, v3, v201, -v154
	ds_read2_b64 v[5:8], v142 offset0:113 offset1:114
	ds_read2_b64 v[147:150], v142 offset0:115 offset1:116
	v_fma_f32 v171, v143, v200, -v156
	v_add_f32_e32 v143, v9, v159
	v_fmac_f32_e32 v161, v4, v201
	v_add_f32_e32 v172, v10, v158
	v_mul_f32_e32 v155, v12, v198
	v_mul_f32_e32 v165, v11, v198
	v_add_f32_e32 v173, v143, v160
	s_waitcnt vmcnt(33)
	v_mul_f32_e32 v169, v146, v202
	v_add_f32_e32 v161, v172, v161
	v_fma_f32 v170, v11, v197, -v155
	v_fmac_f32_e32 v165, v12, v197
	v_add_f32_e32 v163, v173, v163
	v_mul_f32_e32 v168, v145, v202
	v_add_f32_e32 v161, v161, v162
	v_fmac_f32_e32 v167, v144, v200
	ds_read2_b64 v[1:4], v142 offset0:117 offset1:118
	ds_read2_b64 v[151:154], v142 offset0:119 offset1:120
	v_add_f32_e32 v163, v163, v164
	ds_read2_b64 v[9:12], v142 offset0:121 offset1:122
	ds_read2_b64 v[155:158], v142 offset0:123 offset1:124
	v_add_f32_e32 v161, v161, v165
	v_add_f32_e32 v163, v163, v170
	;; [unrolled: 1-line block ×4, first 2 shown]
	s_waitcnt vmcnt(31) lgkmcnt(5)
	v_mul_f32_e32 v172, v5, v174
	v_mul_f32_e32 v174, v6, v174
	s_waitcnt vmcnt(27)
	v_fma_f32 v169, v145, v195, -v169
	v_fmac_f32_e32 v168, v146, v195
	s_waitcnt vmcnt(26)
	v_mul_f32_e32 v175, v8, v208
	v_fma_f32 v5, v5, v194, -v174
	v_mul_f32_e32 v173, v7, v208
	v_add_f32_e32 v163, v163, v169
	v_fmac_f32_e32 v172, v6, v194
	v_add_f32_e32 v161, v161, v168
	s_waitcnt vmcnt(25) lgkmcnt(4)
	v_mul_f32_e32 v174, v148, v209
	v_fma_f32 v7, v7, v193, -v175
	v_add_f32_e32 v5, v163, v5
	v_mul_f32_e32 v162, v147, v209
	v_fmac_f32_e32 v173, v8, v193
	v_add_f32_e32 v161, v161, v172
	s_waitcnt vmcnt(24)
	v_mul_f32_e32 v168, v150, v189
	v_fma_f32 v147, v147, v176, -v174
	v_add_f32_e32 v5, v5, v7
	v_mul_f32_e32 v164, v149, v189
	v_fmac_f32_e32 v162, v148, v176
	v_add_f32_e32 v7, v161, v173
	ds_read2_b64 v[143:146], v142 offset0:125 offset1:126
	ds_read_b64 v[159:160], v142 offset:1016
	s_waitcnt vmcnt(23) lgkmcnt(5)
	v_mul_f32_e32 v6, v1, v203
	v_mul_f32_e32 v148, v2, v203
	v_add_f32_e32 v5, v5, v147
	v_add_f32_e32 v7, v7, v162
	s_waitcnt vmcnt(22)
	v_mul_f32_e32 v147, v4, v204
	v_mul_f32_e32 v165, v3, v204
	s_waitcnt vmcnt(21) lgkmcnt(4)
	v_mul_f32_e32 v170, v151, v184
	s_waitcnt vmcnt(20)
	v_mul_f32_e32 v8, v153, v181
	s_waitcnt vmcnt(19) lgkmcnt(3)
	v_mul_f32_e32 v175, v9, v205
	s_waitcnt vmcnt(10)
	v_fmac_f32_e32 v6, v2, v216
	s_waitcnt vmcnt(9)
	v_fma_f32 v149, v149, v217, -v168
	v_fmac_f32_e32 v164, v150, v217
	v_fma_f32 v1, v1, v216, -v148
	v_fma_f32 v3, v3, v215, -v147
	v_fmac_f32_e32 v165, v4, v215
	v_add_f32_e32 v2, v5, v149
	v_add_f32_e32 v5, v7, v164
	v_mul_f32_e32 v7, v152, v184
	v_mul_f32_e32 v4, v154, v181
	v_fmac_f32_e32 v170, v152, v207
	v_add_f32_e32 v1, v2, v1
	v_add_f32_e32 v2, v5, v6
	v_fma_f32 v5, v151, v207, -v7
	s_waitcnt vmcnt(5)
	v_fma_f32 v4, v153, v221, -v4
	v_fmac_f32_e32 v8, v154, v221
	v_add_f32_e32 v1, v1, v3
	v_add_f32_e32 v2, v2, v165
	v_mul_f32_e32 v3, v10, v205
	v_mul_f32_e32 v167, v11, v210
	v_fmac_f32_e32 v175, v10, v220
	v_add_f32_e32 v1, v1, v5
	v_add_f32_e32 v2, v2, v170
	v_mul_f32_e32 v5, v12, v210
	v_fma_f32 v3, v9, v220, -v3
	s_waitcnt lgkmcnt(2)
	v_mul_f32_e32 v171, v155, v211
	v_add_f32_e32 v1, v1, v4
	v_add_f32_e32 v2, v2, v8
	v_mul_f32_e32 v4, v156, v211
	v_fma_f32 v5, v11, v219, -v5
	v_fmac_f32_e32 v167, v12, v219
	v_add_f32_e32 v1, v1, v3
	v_add_f32_e32 v2, v2, v175
	v_mul_f32_e32 v3, v158, v212
	v_fma_f32 v4, v155, v218, -v4
	v_mul_f32_e32 v177, v157, v212
	v_add_f32_e32 v1, v1, v5
	v_fmac_f32_e32 v171, v156, v218
	v_add_f32_e32 v2, v2, v167
	s_waitcnt lgkmcnt(1)
	v_mul_f32_e32 v5, v144, v206
	s_waitcnt vmcnt(1)
	v_fma_f32 v3, v157, v223, -v3
	v_add_f32_e32 v1, v1, v4
	v_mul_f32_e32 v169, v143, v206
	v_fmac_f32_e32 v177, v158, v223
	v_add_f32_e32 v2, v2, v171
	v_mul_f32_e32 v4, v146, v213
	v_fma_f32 v5, v143, v222, -v5
	v_add_f32_e32 v1, v1, v3
	v_mul_f32_e32 v178, v145, v213
	v_fmac_f32_e32 v169, v144, v222
	v_add_f32_e32 v2, v2, v177
	s_waitcnt lgkmcnt(0)
	v_mul_f32_e32 v3, v160, v214
	v_fma_f32 v4, v145, v192, -v4
	v_add_f32_e32 v1, v1, v5
	v_mul_f32_e32 v163, v159, v214
	v_fmac_f32_e32 v178, v146, v192
	v_add_f32_e32 v2, v2, v169
	v_fma_f32 v3, v159, v166, -v3
	v_add_f32_e32 v1, v1, v4
	v_fmac_f32_e32 v163, v160, v166
	v_add_f32_e32 v2, v2, v178
	v_add_f32_e32 v1, v1, v3
	;; [unrolled: 1-line block ×3, first 2 shown]
	s_waitcnt vmcnt(0)
	v_sub_f32_e32 v1, v224, v1
	v_sub_f32_e32 v2, v191, v2
	buffer_store_dword v1, off, s[0:3], 0 offset:160
	buffer_store_dword v2, off, s[0:3], 0 offset:164
	v_cmpx_lt_u32_e32 19, v0
	s_cbranch_execz .LBB63_359
; %bb.358:
	s_clause 0x1
	buffer_load_dword v1, off, s[0:3], 0 offset:152
	buffer_load_dword v2, off, s[0:3], 0 offset:156
	buffer_store_dword v142, off, s[0:3], 0 offset:152
	buffer_store_dword v142, off, s[0:3], 0 offset:156
	s_waitcnt vmcnt(0)
	ds_write_b64 v141, v[1:2]
.LBB63_359:
	s_or_b32 exec_lo, exec_lo, s4
	s_waitcnt lgkmcnt(0)
	s_waitcnt_vscnt null, 0x0
	s_barrier
	buffer_gl0_inv
	s_clause 0x2b
	buffer_load_dword v165, off, s[0:3], 0 offset:164
	buffer_load_dword v166, off, s[0:3], 0 offset:172
	;; [unrolled: 1-line block ×44, first 2 shown]
	ds_read_b128 v[9:12], v142 offset:672
	s_clause 0x1
	buffer_load_dword v191, off, s[0:3], 0 offset:332
	buffer_load_dword v185, off, s[0:3], 0 offset:340
	ds_read_b128 v[5:8], v142 offset:688
	ds_read_b128 v[1:4], v142 offset:704
	s_clause 0x7
	buffer_load_dword v186, off, s[0:3], 0 offset:348
	buffer_load_dword v175, off, s[0:3], 0 offset:356
	buffer_load_dword v172, off, s[0:3], 0 offset:364
	buffer_load_dword v196, off, s[0:3], 0 offset:372
	buffer_load_dword v197, off, s[0:3], 0 offset:368
	buffer_load_dword v198, off, s[0:3], 0 offset:360
	buffer_load_dword v199, off, s[0:3], 0 offset:352
	buffer_load_dword v200, off, s[0:3], 0 offset:344
	ds_read_b128 v[192:195], v142 offset:720
	buffer_load_dword v203, off, s[0:3], 0 offset:156
	s_mov_b32 s4, exec_lo
	s_waitcnt vmcnt(54) lgkmcnt(3)
	v_mul_f32_e32 v201, v9, v165
	s_waitcnt vmcnt(53)
	v_mul_f32_e32 v202, v11, v166
	v_mul_f32_e32 v165, v10, v165
	;; [unrolled: 1-line block ×3, first 2 shown]
	s_waitcnt vmcnt(50)
	v_fmac_f32_e32 v201, v10, v149
	v_fmac_f32_e32 v202, v12, v148
	v_fma_f32 v149, v9, v149, -v165
	v_fma_f32 v148, v11, v148, -v166
	ds_read_b128 v[9:12], v142 offset:736
	s_waitcnt vmcnt(49) lgkmcnt(3)
	v_mul_f32_e32 v165, v5, v146
	v_mul_f32_e32 v146, v6, v146
	s_waitcnt vmcnt(48)
	v_mul_f32_e32 v166, v7, v145
	v_mul_f32_e32 v145, v8, v145
	s_waitcnt vmcnt(47) lgkmcnt(2)
	v_mul_f32_e32 v204, v1, v144
	v_fmac_f32_e32 v165, v6, v143
	v_fma_f32 v205, v5, v143, -v146
	s_waitcnt vmcnt(46)
	v_mul_f32_e32 v206, v3, v147
	v_mul_f32_e32 v143, v2, v144
	;; [unrolled: 1-line block ×3, first 2 shown]
	s_waitcnt vmcnt(42)
	v_fmac_f32_e32 v166, v8, v155
	v_fma_f32 v147, v7, v155, -v145
	ds_read_b128 v[5:8], v142 offset:752
	v_fmac_f32_e32 v204, v2, v154
	v_fmac_f32_e32 v206, v4, v152
	v_fma_f32 v154, v1, v154, -v143
	v_fma_f32 v152, v3, v152, -v144
	ds_read_b128 v[1:4], v142 offset:768
	s_waitcnt vmcnt(41) lgkmcnt(3)
	v_mul_f32_e32 v155, v192, v153
	v_mul_f32_e32 v143, v193, v153
	s_waitcnt vmcnt(40)
	v_mul_f32_e32 v153, v194, v151
	v_mul_f32_e32 v144, v195, v151
	s_waitcnt vmcnt(39) lgkmcnt(2)
	v_mul_f32_e32 v151, v9, v156
	v_fmac_f32_e32 v155, v193, v150
	v_fma_f32 v150, v192, v150, -v143
	s_waitcnt vmcnt(34)
	v_fmac_f32_e32 v153, v195, v163
	v_fma_f32 v163, v194, v163, -v144
	ds_read_b128 v[143:146], v142 offset:784
	v_mul_f32_e32 v192, v11, v157
	v_mul_f32_e32 v157, v12, v157
	;; [unrolled: 1-line block ×3, first 2 shown]
	v_fmac_f32_e32 v151, v10, v162
	s_waitcnt vmcnt(32) lgkmcnt(2)
	v_mul_f32_e32 v193, v7, v159
	v_fmac_f32_e32 v192, v12, v160
	v_fma_f32 v157, v11, v160, -v157
	v_mul_f32_e32 v160, v5, v161
	v_mul_f32_e32 v161, v6, v161
	;; [unrolled: 1-line block ×3, first 2 shown]
	v_fma_f32 v156, v9, v162, -v156
	ds_read_b128 v[9:12], v142 offset:800
	v_fmac_f32_e32 v160, v6, v158
	v_fma_f32 v158, v5, v158, -v161
	s_waitcnt vmcnt(31) lgkmcnt(2)
	v_mul_f32_e32 v161, v1, v164
	v_mul_f32_e32 v5, v2, v164
	buffer_load_dword v162, off, s[0:3], 0 offset:380
	s_waitcnt vmcnt(28)
	v_fmac_f32_e32 v193, v8, v179
	v_fma_f32 v159, v7, v179, -v159
	s_clause 0x3
	buffer_load_dword v164, off, s[0:3], 0 offset:400
	buffer_load_dword v179, off, s[0:3], 0 offset:392
	;; [unrolled: 1-line block ×4, first 2 shown]
	s_waitcnt vmcnt(31)
	v_mul_f32_e32 v207, v3, v178
	v_mul_f32_e32 v6, v4, v178
	v_fmac_f32_e32 v161, v2, v173
	v_fma_f32 v173, v1, v173, -v5
	s_waitcnt vmcnt(30) lgkmcnt(1)
	v_mul_f32_e32 v178, v143, v170
	s_waitcnt vmcnt(29)
	v_mul_f32_e32 v208, v145, v171
	v_mul_f32_e32 v1, v144, v170
	;; [unrolled: 1-line block ×3, first 2 shown]
	s_clause 0x2
	buffer_load_dword v170, off, s[0:3], 0 offset:388
	buffer_load_dword v171, off, s[0:3], 0 offset:396
	buffer_load_dword v209, off, s[0:3], 0 offset:404
	v_fmac_f32_e32 v207, v4, v169
	v_fma_f32 v169, v3, v169, -v6
	v_fmac_f32_e32 v178, v144, v167
	v_fma_f32 v143, v143, v167, -v1
	s_waitcnt vmcnt(28)
	v_fma_f32 v144, v145, v190, -v2
	ds_read_b128 v[1:4], v142 offset:816
	s_waitcnt vmcnt(27) lgkmcnt(1)
	v_mul_f32_e32 v5, v10, v188
	v_add_f32_e32 v6, 0, v201
	v_fmac_f32_e32 v208, v146, v190
	v_add_f32_e32 v7, 0, v149
	v_mul_f32_e32 v145, v9, v188
	v_fma_f32 v146, v9, v184, -v5
	v_add_f32_e32 v5, v6, v202
	s_waitcnt vmcnt(26)
	v_mul_f32_e32 v167, v11, v187
	v_add_f32_e32 v6, v7, v148
	v_mul_f32_e32 v8, v12, v187
	v_fmac_f32_e32 v145, v10, v184
	v_add_f32_e32 v5, v5, v165
	s_clause 0x3
	buffer_load_dword v184, off, s[0:3], 0 offset:412
	buffer_load_dword v187, off, s[0:3], 0 offset:420
	;; [unrolled: 1-line block ×4, first 2 shown]
	v_add_f32_e32 v6, v6, v205
	v_fmac_f32_e32 v167, v12, v182
	v_fma_f32 v148, v11, v182, -v8
	v_add_f32_e32 v5, v5, v166
	s_clause 0x3
	buffer_load_dword v165, off, s[0:3], 0 offset:444
	buffer_load_dword v182, off, s[0:3], 0 offset:452
	;; [unrolled: 1-line block ×4, first 2 shown]
	v_add_f32_e32 v6, v6, v147
	s_waitcnt vmcnt(33) lgkmcnt(0)
	v_mul_f32_e32 v147, v1, v180
	v_mul_f32_e32 v7, v2, v180
	v_add_f32_e32 v5, v5, v204
	s_clause 0x3
	buffer_load_dword v166, off, s[0:3], 0 offset:476
	buffer_load_dword v205, off, s[0:3], 0 offset:484
	;; [unrolled: 1-line block ×4, first 2 shown]
	v_add_f32_e32 v6, v6, v154
	buffer_load_dword v180, off, s[0:3], 0 offset:508
	v_fmac_f32_e32 v147, v2, v176
	v_fma_f32 v149, v1, v176, -v7
	v_add_f32_e32 v5, v5, v206
	s_clause 0x3
	buffer_load_dword v176, off, s[0:3], 0 offset:432
	buffer_load_dword v204, off, s[0:3], 0 offset:424
	buffer_load_dword v206, off, s[0:3], 0 offset:416
	buffer_load_dword v212, off, s[0:3], 0 offset:408
	v_add_f32_e32 v1, v6, v152
	v_add_f32_e32 v5, v5, v155
	v_add_f32_e32 v6, v1, v150
	s_waitcnt vmcnt(41)
	v_mul_f32_e32 v150, v3, v174
	v_mul_f32_e32 v1, v4, v174
	v_add_f32_e32 v5, v5, v153
	v_add_f32_e32 v6, v6, v163
	s_waitcnt vmcnt(37)
	v_fmac_f32_e32 v150, v4, v189
	v_fma_f32 v152, v3, v189, -v1
	ds_read_b128 v[1:4], v142 offset:832
	s_clause 0x3
	buffer_load_dword v163, off, s[0:3], 0 offset:464
	buffer_load_dword v174, off, s[0:3], 0 offset:456
	;; [unrolled: 1-line block ×4, first 2 shown]
	v_add_f32_e32 v6, v6, v156
	v_add_f32_e32 v5, v5, v151
	;; [unrolled: 1-line block ×4, first 2 shown]
	ds_read_b128 v[5:8], v142 offset:848
	v_add_f32_e32 v9, v9, v158
	v_add_f32_e32 v10, v10, v160
	s_waitcnt vmcnt(40) lgkmcnt(1)
	v_mul_f32_e32 v151, v1, v183
	v_mul_f32_e32 v11, v2, v183
	s_waitcnt vmcnt(39)
	v_mul_f32_e32 v155, v3, v191
	v_fmac_f32_e32 v151, v2, v181
	v_fma_f32 v153, v1, v181, -v11
	v_add_f32_e32 v1, v9, v159
	s_clause 0x3
	buffer_load_dword v159, off, s[0:3], 0 offset:496
	buffer_load_dword v160, off, s[0:3], 0 offset:488
	;; [unrolled: 1-line block ×4, first 2 shown]
	v_add_f32_e32 v2, v10, v193
	v_mul_f32_e32 v9, v4, v191
	v_fmac_f32_e32 v155, v4, v177
	v_add_f32_e32 v1, v1, v173
	buffer_load_dword v173, off, s[0:3], 0 offset:504
	v_add_f32_e32 v2, v2, v161
	buffer_load_dword v161, off, s[0:3], 0 offset:152
	v_fma_f32 v156, v3, v177, -v9
	v_add_f32_e32 v1, v1, v169
	s_waitcnt vmcnt(44) lgkmcnt(0)
	v_mul_f32_e32 v157, v5, v185
	v_add_f32_e32 v10, v2, v207
	s_waitcnt vmcnt(43)
	v_mul_f32_e32 v158, v7, v186
	v_mul_f32_e32 v169, v8, v186
	v_add_f32_e32 v143, v1, v143
	ds_read_b128 v[1:4], v142 offset:864
	v_add_f32_e32 v154, v10, v178
	ds_read_b128 v[9:12], v142 offset:880
	v_fmac_f32_e32 v157, v6, v168
	v_add_f32_e32 v143, v143, v144
	v_mul_f32_e32 v144, v6, v185
	v_add_f32_e32 v154, v154, v208
	s_waitcnt vmcnt(36)
	v_fmac_f32_e32 v158, v8, v200
	v_fma_f32 v169, v7, v200, -v169
	v_add_f32_e32 v177, v143, v146
	v_fma_f32 v168, v5, v168, -v144
	v_add_f32_e32 v154, v154, v145
	ds_read_b128 v[5:8], v142 offset:896
	ds_read_b128 v[143:146], v142 offset:912
	v_add_f32_e32 v148, v177, v148
	v_add_f32_e32 v154, v154, v167
	;; [unrolled: 1-line block ×3, first 2 shown]
	s_waitcnt lgkmcnt(3)
	v_mul_f32_e32 v177, v1, v175
	v_add_f32_e32 v147, v154, v147
	v_mul_f32_e32 v175, v2, v175
	v_mul_f32_e32 v167, v3, v172
	v_add_f32_e32 v152, v148, v152
	v_mul_f32_e32 v172, v4, v172
	v_add_f32_e32 v186, v147, v150
	v_fma_f32 v175, v1, v199, -v175
	v_fmac_f32_e32 v177, v2, v199
	v_add_f32_e32 v192, v152, v153
	s_waitcnt lgkmcnt(2)
	v_mul_f32_e32 v154, v10, v196
	v_add_f32_e32 v186, v186, v151
	v_fma_f32 v172, v3, v198, -v172
	v_mul_f32_e32 v178, v9, v196
	v_add_f32_e32 v156, v192, v156
	v_fmac_f32_e32 v167, v4, v198
	v_add_f32_e32 v155, v186, v155
	v_fma_f32 v191, v9, v197, -v154
	v_fmac_f32_e32 v178, v10, v197
	ds_read_b128 v[1:4], v142 offset:928
	ds_read_b128 v[147:150], v142 offset:944
	v_add_f32_e32 v155, v155, v157
	s_waitcnt vmcnt(34)
	v_mul_f32_e32 v185, v11, v162
	v_mul_f32_e32 v162, v12, v162
	s_waitcnt vmcnt(30)
	v_fmac_f32_e32 v185, v12, v195
	v_fma_f32 v162, v11, v195, -v162
	ds_read_b128 v[9:12], v142 offset:960
	ds_read_b128 v[151:154], v142 offset:976
	s_waitcnt vmcnt(29) lgkmcnt(5)
	v_mul_f32_e32 v192, v5, v170
	v_mul_f32_e32 v170, v6, v170
	s_waitcnt vmcnt(28)
	v_mul_f32_e32 v186, v7, v171
	v_mul_f32_e32 v171, v8, v171
	v_fmac_f32_e32 v192, v6, v194
	v_add_f32_e32 v6, v156, v168
	v_fma_f32 v168, v5, v194, -v170
	v_fma_f32 v170, v7, v179, -v171
	v_add_f32_e32 v171, v155, v158
	v_fmac_f32_e32 v186, v8, v179
	v_add_f32_e32 v169, v6, v169
	ds_read_b128 v[5:8], v142 offset:992
	ds_read_b128 v[155:158], v142 offset:1008
	s_waitcnt vmcnt(27) lgkmcnt(6)
	v_mul_f32_e32 v142, v143, v209
	v_add_f32_e32 v171, v171, v177
	v_add_f32_e32 v169, v169, v175
	v_mul_f32_e32 v175, v144, v209
	s_waitcnt vmcnt(26)
	v_mul_f32_e32 v179, v146, v184
	v_add_f32_e32 v167, v171, v167
	v_mul_f32_e32 v177, v145, v184
	v_add_f32_e32 v169, v169, v172
	v_fma_f32 v143, v143, v164, -v175
	v_fmac_f32_e32 v142, v144, v164
	v_add_f32_e32 v167, v167, v178
	s_waitcnt vmcnt(25) lgkmcnt(5)
	v_mul_f32_e32 v172, v1, v187
	v_add_f32_e32 v169, v169, v191
	s_waitcnt vmcnt(24)
	v_mul_f32_e32 v171, v3, v188
	s_waitcnt vmcnt(23) lgkmcnt(4)
	v_mul_f32_e32 v184, v147, v190
	v_add_f32_e32 v167, v167, v185
	s_waitcnt vmcnt(22)
	v_mul_f32_e32 v191, v149, v165
	v_add_f32_e32 v162, v169, v162
	s_waitcnt vmcnt(21) lgkmcnt(3)
	v_mul_f32_e32 v178, v9, v182
	s_waitcnt vmcnt(20)
	v_mul_f32_e32 v193, v11, v201
	v_add_f32_e32 v167, v167, v192
	s_waitcnt vmcnt(12)
	v_fmac_f32_e32 v171, v4, v204
	v_add_f32_e32 v162, v162, v168
	s_waitcnt vmcnt(10)
	v_fma_f32 v145, v145, v212, -v179
	v_fmac_f32_e32 v177, v146, v212
	v_add_f32_e32 v164, v167, v186
	v_mul_f32_e32 v167, v2, v187
	v_add_f32_e32 v162, v162, v170
	v_mul_f32_e32 v146, v4, v188
	v_fmac_f32_e32 v172, v2, v206
	v_add_f32_e32 v142, v164, v142
	v_fma_f32 v1, v1, v206, -v167
	v_add_f32_e32 v143, v162, v143
	v_fma_f32 v3, v3, v204, -v146
	v_mul_f32_e32 v4, v150, v165
	v_add_f32_e32 v142, v142, v177
	v_fmac_f32_e32 v184, v148, v176
	v_add_f32_e32 v2, v143, v145
	v_mul_f32_e32 v143, v148, v190
	s_waitcnt vmcnt(6)
	v_fma_f32 v4, v149, v213, -v4
	v_fmac_f32_e32 v191, v150, v213
	v_fmac_f32_e32 v178, v10, v189
	v_add_f32_e32 v1, v2, v1
	v_add_f32_e32 v2, v142, v172
	v_fma_f32 v142, v147, v176, -v143
	s_waitcnt lgkmcnt(2)
	v_mul_f32_e32 v169, v151, v202
	v_fmac_f32_e32 v193, v12, v174
	v_add_f32_e32 v1, v1, v3
	v_add_f32_e32 v2, v2, v171
	v_mul_f32_e32 v3, v10, v182
	v_mul_f32_e32 v185, v153, v166
	v_fmac_f32_e32 v169, v152, v163
	v_add_f32_e32 v1, v1, v142
	v_add_f32_e32 v2, v2, v184
	v_mul_f32_e32 v142, v12, v201
	v_fma_f32 v3, v9, v189, -v3
	s_waitcnt lgkmcnt(1)
	v_mul_f32_e32 v194, v5, v205
	v_add_f32_e32 v1, v1, v4
	v_add_f32_e32 v2, v2, v191
	v_mul_f32_e32 v4, v152, v202
	v_fma_f32 v9, v11, v174, -v142
	v_mul_f32_e32 v168, v7, v210
	v_add_f32_e32 v1, v1, v3
	v_add_f32_e32 v2, v2, v178
	v_mul_f32_e32 v3, v154, v166
	v_fma_f32 v4, v151, v163, -v4
	s_waitcnt vmcnt(2)
	v_fmac_f32_e32 v185, v154, v183
	v_add_f32_e32 v1, v1, v9
	v_add_f32_e32 v2, v2, v193
	v_mul_f32_e32 v9, v6, v205
	v_fma_f32 v3, v153, v183, -v3
	v_fmac_f32_e32 v194, v6, v181
	v_add_f32_e32 v1, v1, v4
	v_add_f32_e32 v2, v2, v169
	v_mul_f32_e32 v4, v8, v210
	v_fma_f32 v5, v5, v181, -v9
	s_waitcnt lgkmcnt(0)
	v_mul_f32_e32 v192, v155, v211
	v_add_f32_e32 v1, v1, v3
	v_add_f32_e32 v2, v2, v185
	v_mul_f32_e32 v3, v156, v211
	v_fma_f32 v4, v7, v160, -v4
	v_fmac_f32_e32 v168, v8, v160
	v_add_f32_e32 v1, v1, v5
	v_add_f32_e32 v2, v2, v194
	v_mul_f32_e32 v5, v158, v180
	v_fma_f32 v3, v155, v159, -v3
	v_mul_f32_e32 v144, v157, v180
	v_add_f32_e32 v1, v1, v4
	v_fmac_f32_e32 v192, v156, v159
	v_add_f32_e32 v2, v2, v168
	s_waitcnt vmcnt(1)
	v_fma_f32 v4, v157, v173, -v5
	v_fmac_f32_e32 v144, v158, v173
	v_add_f32_e32 v1, v1, v3
	v_add_f32_e32 v2, v2, v192
	;; [unrolled: 1-line block ×4, first 2 shown]
	s_waitcnt vmcnt(0)
	v_sub_f32_e32 v1, v161, v1
	v_sub_f32_e32 v2, v203, v2
	buffer_store_dword v1, off, s[0:3], 0 offset:152
	buffer_store_dword v2, off, s[0:3], 0 offset:156
	v_cmpx_lt_u32_e32 18, v0
	s_cbranch_execz .LBB63_361
; %bb.360:
	s_clause 0x1
	buffer_load_dword v1, off, s[0:3], 0 offset:144
	buffer_load_dword v2, off, s[0:3], 0 offset:148
	v_mov_b32_e32 v3, 0
	buffer_store_dword v3, off, s[0:3], 0 offset:144
	buffer_store_dword v3, off, s[0:3], 0 offset:148
	s_waitcnt vmcnt(0)
	ds_write_b64 v141, v[1:2]
.LBB63_361:
	s_or_b32 exec_lo, exec_lo, s4
	s_waitcnt lgkmcnt(0)
	s_waitcnt_vscnt null, 0x0
	s_barrier
	buffer_gl0_inv
	s_clause 0x2b
	buffer_load_dword v144, off, s[0:3], 0 offset:156
	buffer_load_dword v145, off, s[0:3], 0 offset:164
	;; [unrolled: 1-line block ×44, first 2 shown]
	v_mov_b32_e32 v142, 0
	ds_read2_b64 v[9:12], v142 offset0:83 offset1:84
	ds_read2_b64 v[5:8], v142 offset0:85 offset1:86
	s_clause 0x1
	buffer_load_dword v191, off, s[0:3], 0 offset:324
	buffer_load_dword v186, off, s[0:3], 0 offset:332
	ds_read2_b64 v[1:4], v142 offset0:87 offset1:88
	s_clause 0x9
	buffer_load_dword v185, off, s[0:3], 0 offset:340
	buffer_load_dword v173, off, s[0:3], 0 offset:348
	;; [unrolled: 1-line block ×10, first 2 shown]
	ds_read2_b64 v[193:196], v142 offset0:89 offset1:90
	s_mov_b32 s4, exec_lo
	s_waitcnt vmcnt(55) lgkmcnt(3)
	v_mul_f32_e32 v203, v9, v144
	v_mul_f32_e32 v144, v10, v144
	s_waitcnt vmcnt(54)
	v_mul_f32_e32 v204, v11, v145
	v_mul_f32_e32 v145, v12, v145
	s_waitcnt vmcnt(51)
	v_fmac_f32_e32 v203, v10, v150
	v_fma_f32 v150, v9, v150, -v144
	s_waitcnt vmcnt(50) lgkmcnt(2)
	v_mul_f32_e32 v205, v5, v149
	v_mul_f32_e32 v144, v6, v149
	v_fmac_f32_e32 v204, v12, v146
	v_fma_f32 v149, v11, v146, -v145
	ds_read2_b64 v[9:12], v142 offset0:91 offset1:92
	s_waitcnt vmcnt(49)
	v_mul_f32_e32 v206, v7, v147
	v_mul_f32_e32 v145, v8, v147
	v_fmac_f32_e32 v205, v6, v143
	v_fma_f32 v147, v5, v143, -v144
	s_waitcnt vmcnt(48) lgkmcnt(2)
	v_mul_f32_e32 v207, v1, v148
	v_mul_f32_e32 v143, v2, v148
	s_waitcnt vmcnt(44)
	v_fmac_f32_e32 v206, v8, v157
	v_fma_f32 v148, v7, v157, -v145
	ds_read2_b64 v[5:8], v142 offset0:93 offset1:94
	s_waitcnt vmcnt(43)
	v_mul_f32_e32 v157, v3, v156
	v_mul_f32_e32 v144, v4, v156
	v_fmac_f32_e32 v207, v2, v154
	v_fma_f32 v154, v1, v154, -v143
	s_waitcnt vmcnt(42) lgkmcnt(2)
	v_mul_f32_e32 v156, v193, v155
	v_mul_f32_e32 v143, v194, v155
	v_fmac_f32_e32 v157, v4, v152
	v_fma_f32 v152, v3, v152, -v144
	ds_read2_b64 v[1:4], v142 offset0:95 offset1:96
	s_waitcnt vmcnt(41)
	v_mul_f32_e32 v155, v195, v153
	v_mul_f32_e32 v144, v196, v153
	v_fmac_f32_e32 v156, v194, v151
	v_fma_f32 v151, v193, v151, -v143
	s_waitcnt vmcnt(40) lgkmcnt(2)
	v_mul_f32_e32 v153, v9, v158
	s_waitcnt vmcnt(36)
	v_fmac_f32_e32 v155, v196, v165
	v_fma_f32 v165, v195, v165, -v144
	ds_read2_b64 v[143:146], v142 offset0:97 offset1:98
	v_mul_f32_e32 v158, v10, v158
	s_waitcnt vmcnt(35)
	v_mul_f32_e32 v193, v11, v164
	v_mul_f32_e32 v164, v12, v164
	v_fmac_f32_e32 v153, v10, v162
	v_fma_f32 v158, v9, v162, -v158
	s_waitcnt vmcnt(34) lgkmcnt(2)
	v_mul_f32_e32 v162, v5, v163
	v_mul_f32_e32 v163, v6, v163
	v_fmac_f32_e32 v193, v12, v160
	v_fma_f32 v160, v11, v160, -v164
	s_waitcnt vmcnt(33)
	v_mul_f32_e32 v164, v7, v161
	v_mul_f32_e32 v161, v8, v161
	v_fmac_f32_e32 v162, v6, v159
	v_fma_f32 v159, v5, v159, -v163
	s_waitcnt vmcnt(32) lgkmcnt(1)
	v_mul_f32_e32 v163, v1, v166
	v_mul_f32_e32 v5, v2, v166
	ds_read2_b64 v[9:12], v142 offset0:99 offset1:100
	s_waitcnt vmcnt(28)
	v_fmac_f32_e32 v164, v8, v179
	v_fma_f32 v161, v7, v179, -v161
	s_clause 0x3
	buffer_load_dword v166, off, s[0:3], 0 offset:392
	buffer_load_dword v179, off, s[0:3], 0 offset:384
	;; [unrolled: 1-line block ×4, first 2 shown]
	s_waitcnt vmcnt(31)
	v_mul_f32_e32 v196, v3, v177
	v_mul_f32_e32 v6, v4, v177
	v_fmac_f32_e32 v163, v2, v175
	v_fma_f32 v175, v1, v175, -v5
	s_waitcnt vmcnt(30) lgkmcnt(1)
	v_mul_f32_e32 v177, v143, v171
	s_waitcnt vmcnt(29)
	v_mul_f32_e32 v208, v145, v172
	v_mul_f32_e32 v1, v144, v171
	;; [unrolled: 1-line block ×3, first 2 shown]
	s_clause 0x2
	buffer_load_dword v171, off, s[0:3], 0 offset:380
	buffer_load_dword v172, off, s[0:3], 0 offset:388
	;; [unrolled: 1-line block ×3, first 2 shown]
	v_fmac_f32_e32 v196, v4, v169
	v_fma_f32 v169, v3, v169, -v6
	v_fmac_f32_e32 v177, v144, v168
	v_fma_f32 v143, v143, v168, -v1
	s_waitcnt vmcnt(28)
	v_fma_f32 v144, v145, v190, -v2
	ds_read2_b64 v[1:4], v142 offset0:101 offset1:102
	v_add_f32_e32 v5, 0, v203
	s_waitcnt vmcnt(27) lgkmcnt(1)
	v_mul_f32_e32 v6, v10, v187
	v_add_f32_e32 v8, 0, v150
	v_fmac_f32_e32 v208, v146, v190
	v_mul_f32_e32 v145, v9, v187
	v_add_f32_e32 v5, v5, v204
	v_fma_f32 v150, v9, v184, -v6
	v_add_f32_e32 v6, v8, v149
	s_waitcnt vmcnt(26)
	v_mul_f32_e32 v146, v11, v188
	v_mul_f32_e32 v7, v12, v188
	v_add_f32_e32 v5, v5, v205
	v_fmac_f32_e32 v145, v10, v184
	v_add_f32_e32 v6, v6, v147
	v_fmac_f32_e32 v146, v12, v183
	v_fma_f32 v168, v11, v183, -v7
	v_add_f32_e32 v5, v5, v206
	s_clause 0x7
	buffer_load_dword v183, off, s[0:3], 0 offset:404
	buffer_load_dword v184, off, s[0:3], 0 offset:412
	;; [unrolled: 1-line block ×8, first 2 shown]
	v_add_f32_e32 v6, v6, v148
	s_clause 0x1
	buffer_load_dword v206, off, s[0:3], 0 offset:436
	buffer_load_dword v210, off, s[0:3], 0 offset:444
	s_waitcnt vmcnt(35) lgkmcnt(0)
	v_mul_f32_e32 v147, v1, v180
	v_mul_f32_e32 v7, v2, v180
	v_add_f32_e32 v5, v5, v207
	s_waitcnt vmcnt(34)
	v_mul_f32_e32 v149, v3, v176
	s_clause 0x1
	buffer_load_dword v180, off, s[0:3], 0 offset:452
	buffer_load_dword v207, off, s[0:3], 0 offset:460
	v_fmac_f32_e32 v147, v2, v178
	v_fma_f32 v148, v1, v178, -v7
	v_add_f32_e32 v1, v6, v154
	v_add_f32_e32 v2, v5, v157
	s_clause 0x3
	buffer_load_dword v178, off, s[0:3], 0 offset:468
	buffer_load_dword v211, off, s[0:3], 0 offset:476
	;; [unrolled: 1-line block ×4, first 2 shown]
	s_waitcnt vmcnt(36)
	v_fmac_f32_e32 v149, v4, v189
	buffer_load_dword v214, off, s[0:3], 0 offset:500
	v_add_f32_e32 v1, v1, v152
	v_add_f32_e32 v5, v2, v156
	v_mul_f32_e32 v2, v4, v176
	buffer_load_dword v176, off, s[0:3], 0 offset:508
	v_add_f32_e32 v6, v1, v151
	v_add_f32_e32 v5, v5, v155
	v_fma_f32 v151, v3, v189, -v2
	ds_read2_b64 v[1:4], v142 offset0:103 offset1:104
	v_add_f32_e32 v6, v6, v165
	v_add_f32_e32 v5, v5, v153
	s_clause 0x3
	buffer_load_dword v165, off, s[0:3], 0 offset:456
	buffer_load_dword v189, off, s[0:3], 0 offset:448
	;; [unrolled: 1-line block ×4, first 2 shown]
	v_add_f32_e32 v6, v6, v158
	v_add_f32_e32 v5, v5, v193
	;; [unrolled: 1-line block ×4, first 2 shown]
	ds_read2_b64 v[5:8], v142 offset0:105 offset1:106
	v_add_f32_e32 v9, v9, v159
	v_add_f32_e32 v10, v10, v164
	s_waitcnt vmcnt(41) lgkmcnt(1)
	v_mul_f32_e32 v152, v1, v182
	v_mul_f32_e32 v11, v2, v182
	s_waitcnt vmcnt(40)
	v_mul_f32_e32 v154, v3, v191
	v_fmac_f32_e32 v152, v2, v181
	v_fma_f32 v153, v1, v181, -v11
	v_add_f32_e32 v1, v9, v161
	v_add_f32_e32 v2, v10, v163
	s_clause 0x3
	buffer_load_dword v161, off, s[0:3], 0 offset:488
	buffer_load_dword v162, off, s[0:3], 0 offset:480
	;; [unrolled: 1-line block ×4, first 2 shown]
	v_mul_f32_e32 v9, v4, v191
	v_fmac_f32_e32 v154, v4, v174
	v_add_f32_e32 v1, v1, v175
	s_clause 0x1
	buffer_load_dword v175, off, s[0:3], 0 offset:504
	buffer_load_dword v181, off, s[0:3], 0 offset:496
	v_add_f32_e32 v2, v2, v196
	s_waitcnt vmcnt(45) lgkmcnt(0)
	v_mul_f32_e32 v156, v5, v186
	s_waitcnt vmcnt(44)
	v_mul_f32_e32 v157, v7, v185
	v_add_f32_e32 v1, v1, v169
	buffer_load_dword v169, off, s[0:3], 0 offset:144
	v_add_f32_e32 v2, v2, v177
	v_fma_f32 v155, v3, v174, -v9
	v_fmac_f32_e32 v156, v6, v167
	v_add_f32_e32 v10, v1, v143
	s_waitcnt vmcnt(38)
	v_fmac_f32_e32 v157, v8, v201
	v_add_f32_e32 v143, v2, v208
	ds_read2_b64 v[1:4], v142 offset0:107 offset1:108
	v_add_f32_e32 v144, v10, v144
	ds_read2_b64 v[9:12], v142 offset0:109 offset1:110
	v_add_f32_e32 v143, v143, v145
	v_mul_f32_e32 v145, v6, v186
	v_add_f32_e32 v144, v144, v150
	v_mul_f32_e32 v150, v8, v185
	v_add_f32_e32 v159, v143, v146
	v_fma_f32 v158, v5, v167, -v145
	v_fma_f32 v160, v7, v201, -v150
	v_add_f32_e32 v150, v144, v168
	v_add_f32_e32 v147, v159, v147
	ds_read2_b64 v[5:8], v142 offset0:111 offset1:112
	ds_read2_b64 v[143:146], v142 offset0:113 offset1:114
	v_add_f32_e32 v148, v150, v148
	v_add_f32_e32 v147, v147, v149
	s_waitcnt lgkmcnt(3)
	v_mul_f32_e32 v167, v2, v173
	v_mul_f32_e32 v159, v1, v173
	;; [unrolled: 1-line block ×3, first 2 shown]
	v_add_f32_e32 v148, v148, v151
	v_add_f32_e32 v152, v147, v152
	v_fma_f32 v167, v1, v200, -v167
	v_mul_f32_e32 v168, v3, v170
	v_fmac_f32_e32 v159, v2, v200
	v_add_f32_e32 v153, v148, v153
	v_add_f32_e32 v185, v152, v154
	s_waitcnt lgkmcnt(2)
	v_mul_f32_e32 v151, v10, v198
	v_fma_f32 v174, v3, v199, -v150
	v_mul_f32_e32 v170, v9, v198
	v_add_f32_e32 v155, v153, v155
	v_add_f32_e32 v156, v185, v156
	v_fmac_f32_e32 v168, v4, v199
	s_waitcnt vmcnt(37)
	v_mul_f32_e32 v177, v12, v202
	v_fma_f32 v182, v9, v197, -v151
	v_add_f32_e32 v155, v155, v158
	v_mul_f32_e32 v173, v11, v202
	v_fmac_f32_e32 v170, v10, v197
	ds_read2_b64 v[1:4], v142 offset0:115 offset1:116
	ds_read2_b64 v[147:150], v142 offset0:117 offset1:118
	v_add_f32_e32 v155, v155, v160
	v_add_f32_e32 v167, v155, v167
	;; [unrolled: 1-line block ×4, first 2 shown]
	s_waitcnt vmcnt(32)
	v_fma_f32 v177, v11, v195, -v177
	v_fmac_f32_e32 v173, v12, v195
	ds_read2_b64 v[9:12], v142 offset0:119 offset1:120
	ds_read2_b64 v[151:154], v142 offset0:121 offset1:122
	v_add_f32_e32 v167, v167, v177
	s_waitcnt vmcnt(31) lgkmcnt(5)
	v_mul_f32_e32 v185, v5, v171
	s_waitcnt vmcnt(30)
	v_mul_f32_e32 v186, v7, v172
	v_mul_f32_e32 v158, v6, v171
	v_mul_f32_e32 v171, v8, v172
	s_waitcnt vmcnt(29) lgkmcnt(4)
	v_mul_f32_e32 v191, v144, v209
	v_fmac_f32_e32 v185, v6, v194
	v_add_f32_e32 v6, v156, v157
	v_fmac_f32_e32 v186, v8, v179
	v_fma_f32 v171, v7, v179, -v171
	v_fma_f32 v172, v5, v194, -v158
	v_add_f32_e32 v179, v6, v159
	ds_read2_b64 v[5:8], v142 offset0:123 offset1:124
	ds_read2_b64 v[155:158], v142 offset0:125 offset1:126
	ds_read_b64 v[159:160], v142 offset:1016
	v_add_f32_e32 v167, v167, v172
	v_add_f32_e32 v168, v179, v168
	v_mul_f32_e32 v179, v143, v209
	v_fma_f32 v143, v143, v166, -v191
	s_waitcnt vmcnt(28)
	v_mul_f32_e32 v174, v145, v183
	v_mul_f32_e32 v183, v146, v183
	v_add_f32_e32 v168, v168, v170
	v_fmac_f32_e32 v179, v144, v166
	v_add_f32_e32 v167, v167, v171
	s_waitcnt vmcnt(27) lgkmcnt(6)
	v_mul_f32_e32 v170, v1, v184
	v_mul_f32_e32 v177, v2, v184
	v_add_f32_e32 v166, v168, v173
	s_waitcnt vmcnt(21)
	v_fma_f32 v145, v145, v205, -v183
	v_add_f32_e32 v143, v167, v143
	v_fmac_f32_e32 v174, v146, v205
	v_mul_f32_e32 v171, v4, v187
	v_add_f32_e32 v166, v166, v185
	v_fmac_f32_e32 v170, v2, v204
	v_fma_f32 v1, v1, v204, -v177
	v_add_f32_e32 v2, v143, v145
	v_mul_f32_e32 v182, v3, v187
	v_add_f32_e32 v166, v166, v186
	s_waitcnt lgkmcnt(5)
	v_mul_f32_e32 v145, v148, v188
	v_fma_f32 v3, v3, v203, -v171
	v_add_f32_e32 v1, v2, v1
	v_mul_f32_e32 v144, v147, v188
	v_add_f32_e32 v166, v166, v179
	v_fmac_f32_e32 v182, v4, v203
	s_waitcnt vmcnt(20)
	v_mul_f32_e32 v4, v150, v206
	v_add_f32_e32 v1, v1, v3
	v_mul_f32_e32 v168, v149, v206
	v_add_f32_e32 v143, v166, v174
	v_fmac_f32_e32 v144, v148, v190
	s_waitcnt vmcnt(19) lgkmcnt(4)
	v_mul_f32_e32 v3, v10, v210
	v_mul_f32_e32 v173, v9, v210
	s_waitcnt vmcnt(18)
	v_mul_f32_e32 v146, v11, v180
	v_add_f32_e32 v2, v143, v170
	v_fma_f32 v143, v147, v190, -v145
	s_waitcnt vmcnt(7)
	v_fma_f32 v4, v149, v216, -v4
	v_fmac_f32_e32 v168, v150, v216
	v_fma_f32 v3, v9, v215, -v3
	v_add_f32_e32 v2, v2, v182
	v_add_f32_e32 v1, v1, v143
	v_mul_f32_e32 v143, v12, v180
	v_fmac_f32_e32 v173, v10, v215
	s_waitcnt lgkmcnt(3)
	v_mul_f32_e32 v183, v151, v207
	v_add_f32_e32 v2, v2, v144
	v_add_f32_e32 v1, v1, v4
	v_mul_f32_e32 v4, v152, v207
	v_fma_f32 v9, v11, v189, -v143
	v_fmac_f32_e32 v146, v12, v189
	v_add_f32_e32 v2, v2, v168
	v_add_f32_e32 v1, v1, v3
	v_mul_f32_e32 v3, v154, v178
	v_fma_f32 v4, v151, v165, -v4
	v_mul_f32_e32 v172, v153, v178
	v_add_f32_e32 v2, v2, v173
	v_add_f32_e32 v1, v1, v9
	v_fmac_f32_e32 v183, v152, v165
	s_waitcnt lgkmcnt(2)
	v_mul_f32_e32 v9, v6, v211
	v_mul_f32_e32 v184, v5, v211
	v_add_f32_e32 v2, v2, v146
	s_waitcnt vmcnt(3)
	v_fma_f32 v3, v153, v164, -v3
	v_add_f32_e32 v1, v1, v4
	v_fmac_f32_e32 v172, v154, v164
	v_mul_f32_e32 v4, v8, v212
	v_add_f32_e32 v2, v2, v183
	v_fma_f32 v5, v5, v163, -v9
	v_add_f32_e32 v1, v1, v3
	v_mul_f32_e32 v185, v7, v212
	v_fmac_f32_e32 v184, v6, v163
	v_add_f32_e32 v2, v2, v172
	s_waitcnt lgkmcnt(1)
	v_mul_f32_e32 v3, v156, v213
	v_fma_f32 v4, v7, v162, -v4
	v_add_f32_e32 v1, v1, v5
	v_mul_f32_e32 v186, v155, v213
	v_fmac_f32_e32 v185, v8, v162
	v_add_f32_e32 v2, v2, v184
	v_mul_f32_e32 v5, v158, v214
	v_fma_f32 v3, v155, v161, -v3
	v_add_f32_e32 v1, v1, v4
	v_mul_f32_e32 v187, v157, v214
	v_fmac_f32_e32 v186, v156, v161
	v_add_f32_e32 v2, v2, v185
	s_waitcnt lgkmcnt(0)
	v_mul_f32_e32 v4, v160, v176
	s_waitcnt vmcnt(1)
	v_fma_f32 v5, v157, v181, -v5
	v_add_f32_e32 v1, v1, v3
	v_mul_f32_e32 v167, v159, v176
	v_fmac_f32_e32 v187, v158, v181
	v_add_f32_e32 v2, v2, v186
	v_fma_f32 v3, v159, v175, -v4
	v_add_f32_e32 v1, v1, v5
	v_fmac_f32_e32 v167, v160, v175
	v_add_f32_e32 v2, v2, v187
	v_add_f32_e32 v1, v1, v3
	;; [unrolled: 1-line block ×3, first 2 shown]
	s_waitcnt vmcnt(0)
	v_sub_f32_e32 v1, v169, v1
	v_sub_f32_e32 v2, v192, v2
	buffer_store_dword v1, off, s[0:3], 0 offset:144
	buffer_store_dword v2, off, s[0:3], 0 offset:148
	v_cmpx_lt_u32_e32 17, v0
	s_cbranch_execz .LBB63_363
; %bb.362:
	s_clause 0x1
	buffer_load_dword v1, off, s[0:3], 0 offset:136
	buffer_load_dword v2, off, s[0:3], 0 offset:140
	buffer_store_dword v142, off, s[0:3], 0 offset:136
	buffer_store_dword v142, off, s[0:3], 0 offset:140
	s_waitcnt vmcnt(0)
	ds_write_b64 v141, v[1:2]
.LBB63_363:
	s_or_b32 exec_lo, exec_lo, s4
	s_waitcnt lgkmcnt(0)
	s_waitcnt_vscnt null, 0x0
	s_barrier
	buffer_gl0_inv
	s_clause 0x2c
	buffer_load_dword v183, off, s[0:3], 0 offset:148
	buffer_load_dword v184, off, s[0:3], 0 offset:156
	;; [unrolled: 1-line block ×45, first 2 shown]
	ds_read_b128 v[5:8], v142 offset:656
	buffer_load_dword v177, off, s[0:3], 0 offset:324
	ds_read_b128 v[1:4], v142 offset:672
	ds_read_b128 v[193:196], v142 offset:688
	s_clause 0x7
	buffer_load_dword v191, off, s[0:3], 0 offset:332
	buffer_load_dword v189, off, s[0:3], 0 offset:340
	buffer_load_dword v188, off, s[0:3], 0 offset:348
	buffer_load_dword v187, off, s[0:3], 0 offset:356
	buffer_load_dword v185, off, s[0:3], 0 offset:352
	buffer_load_dword v186, off, s[0:3], 0 offset:344
	buffer_load_dword v190, off, s[0:3], 0 offset:336
	buffer_load_dword v192, off, s[0:3], 0 offset:328
	ds_read_b128 v[197:200], v142 offset:704
	s_mov_b32 s4, exec_lo
	s_waitcnt vmcnt(53) lgkmcnt(3)
	v_mul_f32_e32 v201, v5, v183
	s_waitcnt vmcnt(52)
	v_mul_f32_e32 v202, v7, v184
	v_mul_f32_e32 v203, v6, v183
	;; [unrolled: 1-line block ×3, first 2 shown]
	buffer_load_dword v183, off, s[0:3], 0 offset:140
	s_waitcnt vmcnt(50)
	v_fmac_f32_e32 v201, v6, v145
	v_fmac_f32_e32 v202, v8, v144
	v_fma_f32 v203, v5, v145, -v203
	v_fma_f32 v184, v7, v144, -v184
	ds_read_b128 v[5:8], v142 offset:720
	s_waitcnt vmcnt(49) lgkmcnt(3)
	v_mul_f32_e32 v204, v1, v12
	v_mul_f32_e32 v12, v2, v12
	s_waitcnt vmcnt(48)
	v_mul_f32_e32 v205, v3, v11
	v_mul_f32_e32 v11, v4, v11
	s_waitcnt vmcnt(47) lgkmcnt(2)
	v_mul_f32_e32 v206, v193, v10
	v_fmac_f32_e32 v204, v2, v9
	v_fma_f32 v207, v1, v9, -v12
	s_waitcnt vmcnt(46)
	v_mul_f32_e32 v208, v195, v143
	v_mul_f32_e32 v9, v194, v10
	;; [unrolled: 1-line block ×3, first 2 shown]
	s_waitcnt vmcnt(42)
	v_fmac_f32_e32 v205, v4, v151
	v_fma_f32 v151, v3, v151, -v11
	ds_read_b128 v[1:4], v142 offset:736
	v_fmac_f32_e32 v206, v194, v150
	v_fmac_f32_e32 v208, v196, v148
	v_fma_f32 v150, v193, v150, -v9
	v_fma_f32 v148, v195, v148, -v10
	ds_read_b128 v[9:12], v142 offset:752
	s_waitcnt vmcnt(41) lgkmcnt(3)
	v_mul_f32_e32 v193, v197, v149
	v_mul_f32_e32 v143, v198, v149
	s_waitcnt vmcnt(40)
	v_mul_f32_e32 v149, v199, v147
	v_mul_f32_e32 v144, v200, v147
	s_waitcnt vmcnt(39) lgkmcnt(2)
	v_mul_f32_e32 v147, v5, v152
	v_fmac_f32_e32 v193, v198, v146
	v_fma_f32 v194, v197, v146, -v143
	s_waitcnt vmcnt(34)
	v_fmac_f32_e32 v149, v200, v159
	v_fma_f32 v159, v199, v159, -v144
	ds_read_b128 v[143:146], v142 offset:768
	v_mul_f32_e32 v195, v7, v153
	v_mul_f32_e32 v152, v6, v152
	;; [unrolled: 1-line block ×3, first 2 shown]
	v_fmac_f32_e32 v147, v6, v158
	v_fmac_f32_e32 v195, v8, v156
	v_fma_f32 v152, v5, v158, -v152
	v_fma_f32 v153, v7, v156, -v153
	ds_read_b128 v[5:8], v142 offset:784
	s_waitcnt vmcnt(33) lgkmcnt(3)
	v_mul_f32_e32 v156, v1, v157
	v_mul_f32_e32 v157, v2, v157
	s_waitcnt vmcnt(32)
	v_mul_f32_e32 v158, v3, v155
	v_mul_f32_e32 v155, v4, v155
	s_waitcnt vmcnt(31) lgkmcnt(2)
	v_mul_f32_e32 v196, v9, v160
	v_fmac_f32_e32 v156, v2, v154
	v_fma_f32 v154, v1, v154, -v157
	s_waitcnt vmcnt(30)
	v_mul_f32_e32 v157, v11, v161
	v_mul_f32_e32 v161, v12, v161
	s_waitcnt vmcnt(26)
	v_fmac_f32_e32 v158, v4, v168
	v_fma_f32 v155, v3, v168, -v155
	ds_read_b128 v[1:4], v142 offset:800
	v_mul_f32_e32 v160, v10, v160
	v_fmac_f32_e32 v157, v12, v165
	v_fma_f32 v161, v11, v165, -v161
	s_waitcnt vmcnt(25) lgkmcnt(2)
	v_mul_f32_e32 v165, v143, v163
	v_mul_f32_e32 v163, v144, v163
	v_fmac_f32_e32 v196, v10, v167
	v_fma_f32 v160, v9, v167, -v160
	ds_read_b128 v[9:12], v142 offset:816
	v_fmac_f32_e32 v165, v144, v162
	v_fma_f32 v143, v143, v162, -v163
	s_clause 0x1
	buffer_load_dword v162, off, s[0:3], 0 offset:364
	buffer_load_dword v163, off, s[0:3], 0 offset:372
	s_waitcnt vmcnt(26)
	v_mul_f32_e32 v167, v145, v164
	v_mul_f32_e32 v164, v146, v164
	s_waitcnt vmcnt(25) lgkmcnt(2)
	v_mul_f32_e32 v168, v5, v169
	v_mul_f32_e32 v169, v6, v169
	s_waitcnt vmcnt(21)
	v_fmac_f32_e32 v167, v146, v176
	v_fma_f32 v144, v145, v176, -v164
	s_waitcnt vmcnt(20)
	v_mul_f32_e32 v145, v7, v175
	v_mul_f32_e32 v146, v8, v175
	v_fmac_f32_e32 v168, v6, v174
	v_fma_f32 v164, v5, v174, -v169
	s_clause 0x3
	buffer_load_dword v169, off, s[0:3], 0 offset:384
	buffer_load_dword v174, off, s[0:3], 0 offset:376
	;; [unrolled: 1-line block ×4, first 2 shown]
	v_fmac_f32_e32 v145, v8, v171
	v_fma_f32 v146, v7, v171, -v146
	s_waitcnt vmcnt(23) lgkmcnt(1)
	v_mul_f32_e32 v171, v1, v172
	s_waitcnt vmcnt(22)
	v_mul_f32_e32 v197, v3, v173
	v_mul_f32_e32 v5, v2, v172
	;; [unrolled: 1-line block ×3, first 2 shown]
	s_clause 0x1
	buffer_load_dword v172, off, s[0:3], 0 offset:380
	buffer_load_dword v173, off, s[0:3], 0 offset:388
	s_waitcnt vmcnt(18) lgkmcnt(0)
	v_mul_f32_e32 v200, v11, v181
	v_fmac_f32_e32 v197, v4, v182
	v_fmac_f32_e32 v171, v2, v170
	v_fma_f32 v182, v3, v182, -v6
	v_mul_f32_e32 v6, v12, v181
	v_fma_f32 v170, v1, v170, -v5
	v_mul_f32_e32 v199, v9, v180
	v_mul_f32_e32 v5, v10, v180
	v_fmac_f32_e32 v200, v12, v178
	v_fma_f32 v178, v11, v178, -v6
	v_add_f32_e32 v6, 0, v203
	v_fmac_f32_e32 v199, v10, v179
	v_fma_f32 v179, v9, v179, -v5
	v_add_f32_e32 v5, 0, v201
	buffer_load_dword v198, off, s[0:3], 0 offset:396
	v_add_f32_e32 v6, v6, v184
	ds_read_b128 v[1:4], v142 offset:832
	s_clause 0x3
	buffer_load_dword v180, off, s[0:3], 0 offset:416
	buffer_load_dword v181, off, s[0:3], 0 offset:408
	buffer_load_dword v201, off, s[0:3], 0 offset:400
	buffer_load_dword v209, off, s[0:3], 0 offset:392
	v_add_f32_e32 v5, v5, v202
	s_clause 0x2
	buffer_load_dword v202, off, s[0:3], 0 offset:404
	buffer_load_dword v184, off, s[0:3], 0 offset:412
	;; [unrolled: 1-line block ×3, first 2 shown]
	v_add_f32_e32 v6, v6, v207
	v_add_f32_e32 v5, v5, v204
	;; [unrolled: 1-line block ×4, first 2 shown]
	s_clause 0x2
	buffer_load_dword v204, off, s[0:3], 0 offset:428
	buffer_load_dword v205, off, s[0:3], 0 offset:436
	;; [unrolled: 1-line block ×3, first 2 shown]
	v_add_f32_e32 v6, v6, v150
	v_add_f32_e32 v5, v5, v206
	s_clause 0x2
	buffer_load_dword v206, off, s[0:3], 0 offset:452
	buffer_load_dword v210, off, s[0:3], 0 offset:460
	;; [unrolled: 1-line block ×3, first 2 shown]
	s_waitcnt vmcnt(31) lgkmcnt(0)
	v_mul_f32_e32 v151, v1, v177
	v_add_f32_e32 v6, v6, v148
	v_add_f32_e32 v5, v5, v208
	s_clause 0x2
	buffer_load_dword v208, off, s[0:3], 0 offset:476
	buffer_load_dword v212, off, s[0:3], 0 offset:484
	;; [unrolled: 1-line block ×3, first 2 shown]
	v_mul_f32_e32 v7, v2, v177
	v_add_f32_e32 v6, v6, v194
	v_add_f32_e32 v5, v5, v193
	s_clause 0x1
	buffer_load_dword v193, off, s[0:3], 0 offset:500
	buffer_load_dword v194, off, s[0:3], 0 offset:508
	v_fmac_f32_e32 v151, v2, v166
	v_add_f32_e32 v6, v6, v159
	s_clause 0x3
	buffer_load_dword v159, off, s[0:3], 0 offset:448
	buffer_load_dword v214, off, s[0:3], 0 offset:440
	buffer_load_dword v215, off, s[0:3], 0 offset:432
	buffer_load_dword v216, off, s[0:3], 0 offset:424
	v_add_f32_e32 v5, v5, v149
	v_add_f32_e32 v6, v6, v152
	v_fma_f32 v152, v1, v166, -v7
	v_add_f32_e32 v5, v5, v147
	v_add_f32_e32 v6, v6, v153
	;; [unrolled: 1-line block ×3, first 2 shown]
	s_clause 0x3
	buffer_load_dword v195, off, s[0:3], 0 offset:480
	buffer_load_dword v217, off, s[0:3], 0 offset:472
	;; [unrolled: 1-line block ×4, first 2 shown]
	v_add_f32_e32 v6, v6, v154
	v_add_f32_e32 v5, v5, v156
	;; [unrolled: 1-line block ×3, first 2 shown]
	s_waitcnt vmcnt(43)
	v_mul_f32_e32 v155, v3, v191
	v_add_f32_e32 v5, v5, v158
	v_add_f32_e32 v6, v6, v160
	s_waitcnt vmcnt(36)
	v_fmac_f32_e32 v155, v4, v192
	v_add_f32_e32 v5, v5, v196
	s_clause 0x3
	buffer_load_dword v196, off, s[0:3], 0 offset:504
	buffer_load_dword v220, off, s[0:3], 0 offset:496
	;; [unrolled: 1-line block ×4, first 2 shown]
	v_add_f32_e32 v6, v6, v161
	v_add_f32_e32 v5, v5, v157
	;; [unrolled: 1-line block ×4, first 2 shown]
	ds_read_b128 v[5:8], v142 offset:848
	v_add_f32_e32 v9, v1, v144
	v_mul_f32_e32 v1, v4, v191
	v_add_f32_e32 v10, v2, v167
	v_add_f32_e32 v143, v9, v164
	v_fma_f32 v156, v3, v192, -v1
	ds_read_b128 v[1:4], v142 offset:864
	v_add_f32_e32 v144, v10, v168
	ds_read_b128 v[9:12], v142 offset:880
	v_add_f32_e32 v143, v143, v146
	v_add_f32_e32 v144, v144, v145
	;; [unrolled: 1-line block ×3, first 2 shown]
	s_waitcnt lgkmcnt(2)
	v_mul_f32_e32 v146, v6, v189
	v_mul_f32_e32 v157, v5, v189
	;; [unrolled: 1-line block ×3, first 2 shown]
	v_fma_f32 v158, v5, v190, -v146
	v_add_f32_e32 v5, v144, v171
	v_fmac_f32_e32 v157, v6, v190
	v_add_f32_e32 v6, v147, v182
	ds_read_b128 v[143:146], v142 offset:896
	s_waitcnt lgkmcnt(2)
	v_mul_f32_e32 v148, v2, v187
	v_add_f32_e32 v5, v5, v197
	v_mul_f32_e32 v164, v1, v187
	v_add_f32_e32 v6, v6, v179
	v_mul_f32_e32 v147, v8, v188
	v_fma_f32 v167, v1, v185, -v148
	v_add_f32_e32 v5, v5, v199
	v_fmac_f32_e32 v164, v2, v185
	v_add_f32_e32 v1, v6, v178
	v_fma_f32 v166, v7, v186, -v147
	v_fmac_f32_e32 v161, v8, v186
	v_add_f32_e32 v2, v5, v200
	ds_read_b128 v[5:8], v142 offset:912
	ds_read_b128 v[147:150], v142 offset:928
	s_waitcnt vmcnt(38)
	v_mul_f32_e32 v165, v3, v162
	v_mul_f32_e32 v153, v4, v162
	s_waitcnt vmcnt(37) lgkmcnt(3)
	v_mul_f32_e32 v162, v9, v163
	v_mul_f32_e32 v154, v10, v163
	s_waitcnt vmcnt(34)
	v_fmac_f32_e32 v162, v10, v175
	v_add_f32_e32 v10, v1, v152
	v_fma_f32 v168, v9, v175, -v154
	v_add_f32_e32 v9, v2, v151
	s_waitcnt vmcnt(33)
	v_fma_f32 v163, v3, v176, -v153
	v_fmac_f32_e32 v165, v4, v176
	v_add_f32_e32 v10, v10, v156
	s_waitcnt vmcnt(32)
	v_mul_f32_e32 v170, v11, v172
	v_add_f32_e32 v9, v9, v155
	s_waitcnt vmcnt(31) lgkmcnt(2)
	v_mul_f32_e32 v171, v143, v173
	v_mul_f32_e32 v155, v144, v173
	v_add_f32_e32 v10, v10, v158
	v_mul_f32_e32 v156, v12, v172
	v_fmac_f32_e32 v170, v12, v174
	v_fmac_f32_e32 v171, v144, v169
	v_fma_f32 v169, v143, v169, -v155
	v_add_f32_e32 v143, v9, v157
	v_add_f32_e32 v166, v10, v166
	v_fma_f32 v174, v11, v174, -v156
	ds_read_b128 v[1:4], v142 offset:944
	ds_read_b128 v[151:154], v142 offset:960
	;; [unrolled: 1-line block ×4, first 2 shown]
	v_add_f32_e32 v161, v143, v161
	v_add_f32_e32 v166, v166, v167
	s_waitcnt vmcnt(30)
	v_mul_f32_e32 v172, v145, v198
	v_mul_f32_e32 v173, v146, v198
	v_add_f32_e32 v161, v161, v164
	v_add_f32_e32 v163, v166, v163
	s_waitcnt vmcnt(26)
	v_fmac_f32_e32 v172, v146, v209
	v_fma_f32 v146, v145, v209, -v173
	s_waitcnt vmcnt(25) lgkmcnt(5)
	v_mul_f32_e32 v167, v6, v202
	v_add_f32_e32 v161, v161, v165
	v_add_f32_e32 v163, v163, v168
	v_mul_f32_e32 v173, v5, v202
	s_waitcnt vmcnt(24)
	v_mul_f32_e32 v175, v8, v184
	v_fma_f32 v5, v5, v201, -v167
	v_add_f32_e32 v161, v161, v162
	v_add_f32_e32 v163, v163, v174
	v_mul_f32_e32 v164, v7, v184
	v_fmac_f32_e32 v173, v6, v201
	v_fma_f32 v7, v7, v181, -v175
	v_add_f32_e32 v161, v161, v170
	v_add_f32_e32 v163, v163, v169
	s_waitcnt vmcnt(23) lgkmcnt(4)
	v_mul_f32_e32 v166, v147, v203
	v_fmac_f32_e32 v164, v8, v181
	s_waitcnt vmcnt(22)
	v_mul_f32_e32 v165, v149, v204
	v_add_f32_e32 v161, v161, v171
	v_add_f32_e32 v146, v163, v146
	v_mul_f32_e32 v163, v148, v203
	v_fmac_f32_e32 v166, v148, v180
	s_waitcnt vmcnt(21) lgkmcnt(3)
	v_mul_f32_e32 v176, v1, v205
	v_add_f32_e32 v161, v161, v172
	v_add_f32_e32 v5, v146, v5
	v_mul_f32_e32 v146, v150, v204
	v_fma_f32 v147, v147, v180, -v163
	s_waitcnt vmcnt(20)
	v_mul_f32_e32 v168, v3, v207
	v_add_f32_e32 v8, v161, v173
	v_add_f32_e32 v5, v5, v7
	s_waitcnt vmcnt(8)
	v_fma_f32 v146, v149, v216, -v146
	v_fmac_f32_e32 v165, v150, v216
	v_fmac_f32_e32 v176, v2, v215
	v_add_f32_e32 v7, v8, v164
	v_mul_f32_e32 v8, v2, v205
	v_add_f32_e32 v5, v5, v147
	v_mul_f32_e32 v147, v4, v207
	s_waitcnt lgkmcnt(2)
	v_mul_f32_e32 v162, v151, v206
	v_add_f32_e32 v7, v7, v166
	v_fma_f32 v1, v1, v215, -v8
	v_add_f32_e32 v2, v5, v146
	v_fma_f32 v3, v3, v214, -v147
	v_fmac_f32_e32 v168, v4, v214
	v_add_f32_e32 v5, v7, v165
	v_mul_f32_e32 v7, v152, v206
	v_add_f32_e32 v1, v2, v1
	v_mul_f32_e32 v4, v154, v210
	v_mul_f32_e32 v177, v153, v210
	v_add_f32_e32 v2, v5, v176
	v_fma_f32 v5, v151, v159, -v7
	v_add_f32_e32 v1, v1, v3
	v_fmac_f32_e32 v162, v152, v159
	ds_read_b128 v[142:145], v142 offset:1008
	v_add_f32_e32 v2, v2, v168
	s_waitcnt lgkmcnt(2)
	v_mul_f32_e32 v3, v10, v211
	s_waitcnt vmcnt(4)
	v_fma_f32 v4, v153, v219, -v4
	v_add_f32_e32 v1, v1, v5
	v_mul_f32_e32 v174, v9, v211
	v_fmac_f32_e32 v177, v154, v219
	v_add_f32_e32 v2, v2, v162
	v_mul_f32_e32 v5, v12, v208
	v_fma_f32 v3, v9, v218, -v3
	v_add_f32_e32 v1, v1, v4
	v_mul_f32_e32 v170, v11, v208
	v_fmac_f32_e32 v174, v10, v218
	v_add_f32_e32 v2, v2, v177
	s_waitcnt lgkmcnt(1)
	v_mul_f32_e32 v4, v156, v212
	v_fma_f32 v5, v11, v217, -v5
	v_add_f32_e32 v1, v1, v3
	v_mul_f32_e32 v178, v155, v212
	v_fmac_f32_e32 v170, v12, v217
	v_add_f32_e32 v2, v2, v174
	v_mul_f32_e32 v3, v158, v213
	v_fma_f32 v4, v155, v195, -v4
	v_add_f32_e32 v1, v1, v5
	v_mul_f32_e32 v169, v157, v213
	v_fmac_f32_e32 v178, v156, v195
	v_add_f32_e32 v2, v2, v170
	s_waitcnt lgkmcnt(0)
	v_mul_f32_e32 v5, v143, v193
	s_waitcnt vmcnt(1)
	v_fma_f32 v3, v157, v221, -v3
	v_add_f32_e32 v1, v1, v4
	v_mul_f32_e32 v171, v142, v193
	v_fmac_f32_e32 v169, v158, v221
	v_add_f32_e32 v2, v2, v178
	v_mul_f32_e32 v4, v145, v194
	v_fma_f32 v5, v142, v220, -v5
	v_add_f32_e32 v1, v1, v3
	v_mul_f32_e32 v6, v144, v194
	v_fmac_f32_e32 v171, v143, v220
	v_add_f32_e32 v2, v2, v169
	v_fma_f32 v3, v144, v196, -v4
	v_add_f32_e32 v1, v1, v5
	v_fmac_f32_e32 v6, v145, v196
	v_add_f32_e32 v2, v2, v171
	v_add_f32_e32 v1, v1, v3
	;; [unrolled: 1-line block ×3, first 2 shown]
	s_waitcnt vmcnt(0)
	v_sub_f32_e32 v1, v160, v1
	v_sub_f32_e32 v2, v183, v2
	buffer_store_dword v1, off, s[0:3], 0 offset:136
	buffer_store_dword v2, off, s[0:3], 0 offset:140
	v_cmpx_lt_u32_e32 16, v0
	s_cbranch_execz .LBB63_365
; %bb.364:
	s_clause 0x1
	buffer_load_dword v1, off, s[0:3], 0 offset:128
	buffer_load_dword v2, off, s[0:3], 0 offset:132
	v_mov_b32_e32 v3, 0
	buffer_store_dword v3, off, s[0:3], 0 offset:128
	buffer_store_dword v3, off, s[0:3], 0 offset:132
	s_waitcnt vmcnt(0)
	ds_write_b64 v141, v[1:2]
.LBB63_365:
	s_or_b32 exec_lo, exec_lo, s4
	s_waitcnt lgkmcnt(0)
	s_waitcnt_vscnt null, 0x0
	s_barrier
	buffer_gl0_inv
	s_clause 0x2c
	buffer_load_dword v11, off, s[0:3], 0 offset:140
	buffer_load_dword v12, off, s[0:3], 0 offset:148
	;; [unrolled: 1-line block ×45, first 2 shown]
	v_mov_b32_e32 v9, 0
	ds_read2_b64 v[5:8], v9 offset0:81 offset1:82
	ds_read2_b64 v[1:4], v9 offset0:83 offset1:84
	s_clause 0x9
	buffer_load_dword v190, off, s[0:3], 0 offset:316
	buffer_load_dword v187, off, s[0:3], 0 offset:324
	buffer_load_dword v183, off, s[0:3], 0 offset:332
	buffer_load_dword v179, off, s[0:3], 0 offset:340
	buffer_load_dword v177, off, s[0:3], 0 offset:348
	buffer_load_dword v168, off, s[0:3], 0 offset:344
	buffer_load_dword v171, off, s[0:3], 0 offset:336
	buffer_load_dword v184, off, s[0:3], 0 offset:328
	buffer_load_dword v189, off, s[0:3], 0 offset:320
	buffer_load_dword v193, off, s[0:3], 0 offset:132
	ds_read2_b64 v[194:197], v9 offset0:85 offset1:86
	ds_read2_b64 v[198:201], v9 offset0:87 offset1:88
	s_mov_b32 s4, exec_lo
	s_waitcnt vmcnt(54) lgkmcnt(3)
	v_mul_f32_e32 v202, v5, v11
	v_mul_f32_e32 v11, v6, v11
	s_waitcnt vmcnt(53)
	v_mul_f32_e32 v203, v7, v12
	v_mul_f32_e32 v12, v8, v12
	s_waitcnt vmcnt(52) lgkmcnt(2)
	v_mul_f32_e32 v204, v1, v142
	s_waitcnt vmcnt(49)
	v_fmac_f32_e32 v202, v6, v145
	v_fma_f32 v11, v5, v145, -v11
	s_waitcnt vmcnt(48)
	v_mul_f32_e32 v205, v3, v144
	v_mul_f32_e32 v5, v2, v142
	;; [unrolled: 1-line block ×3, first 2 shown]
	v_fmac_f32_e32 v203, v8, v143
	s_waitcnt vmcnt(43) lgkmcnt(1)
	v_mul_f32_e32 v206, v194, v152
	v_mul_f32_e32 v142, v195, v152
	v_fma_f32 v12, v7, v143, -v12
	v_fmac_f32_e32 v204, v2, v10
	v_fmac_f32_e32 v205, v4, v153
	v_fma_f32 v10, v1, v10, -v5
	v_fma_f32 v153, v3, v153, -v6
	ds_read2_b64 v[1:4], v9 offset0:89 offset1:90
	ds_read2_b64 v[5:8], v9 offset0:91 offset1:92
	s_waitcnt vmcnt(42)
	v_mul_f32_e32 v152, v196, v151
	v_mul_f32_e32 v143, v197, v151
	s_waitcnt vmcnt(41) lgkmcnt(2)
	v_mul_f32_e32 v151, v198, v149
	v_fmac_f32_e32 v206, v195, v148
	v_fma_f32 v194, v194, v148, -v142
	s_waitcnt vmcnt(40)
	v_mul_f32_e32 v195, v200, v150
	v_mul_f32_e32 v142, v199, v149
	;; [unrolled: 1-line block ×3, first 2 shown]
	v_fmac_f32_e32 v152, v197, v147
	v_fma_f32 v150, v196, v147, -v143
	v_fmac_f32_e32 v151, v199, v146
	s_waitcnt vmcnt(36)
	v_fmac_f32_e32 v195, v201, v161
	v_fma_f32 v196, v198, v146, -v142
	v_fma_f32 v161, v200, v161, -v144
	ds_read2_b64 v[142:145], v9 offset0:93 offset1:94
	ds_read2_b64 v[146:149], v9 offset0:95 offset1:96
	s_waitcnt vmcnt(35) lgkmcnt(3)
	v_mul_f32_e32 v197, v1, v159
	s_waitcnt vmcnt(34)
	v_mul_f32_e32 v198, v3, v160
	v_mul_f32_e32 v159, v2, v159
	;; [unrolled: 1-line block ×3, first 2 shown]
	s_waitcnt vmcnt(33) lgkmcnt(2)
	v_mul_f32_e32 v199, v5, v158
	v_mul_f32_e32 v158, v6, v158
	v_fmac_f32_e32 v197, v2, v156
	v_fmac_f32_e32 v198, v4, v155
	v_fma_f32 v156, v1, v156, -v159
	v_fma_f32 v155, v3, v155, -v160
	s_clause 0x1
	buffer_load_dword v159, off, s[0:3], 0 offset:356
	buffer_load_dword v160, off, s[0:3], 0 offset:364
	s_waitcnt vmcnt(34)
	v_mul_f32_e32 v200, v7, v157
	v_mul_f32_e32 v157, v8, v157
	v_fmac_f32_e32 v199, v6, v154
	v_fma_f32 v154, v5, v154, -v158
	ds_read2_b64 v[1:4], v9 offset0:97 offset1:98
	s_waitcnt vmcnt(29) lgkmcnt(2)
	v_mul_f32_e32 v158, v142, v169
	v_mul_f32_e32 v5, v143, v169
	s_waitcnt vmcnt(28)
	v_mul_f32_e32 v6, v145, v170
	v_fmac_f32_e32 v200, v8, v172
	v_fma_f32 v157, v7, v172, -v157
	v_fmac_f32_e32 v158, v143, v164
	v_fma_f32 v142, v142, v164, -v5
	v_fma_f32 v143, v144, v163, -v6
	ds_read2_b64 v[5:8], v9 offset0:99 offset1:100
	v_mul_f32_e32 v172, v144, v170
	s_waitcnt vmcnt(27) lgkmcnt(2)
	v_mul_f32_e32 v169, v146, v166
	s_waitcnt vmcnt(26)
	v_mul_f32_e32 v170, v148, v167
	v_mul_f32_e32 v166, v147, v166
	;; [unrolled: 1-line block ×3, first 2 shown]
	v_fmac_f32_e32 v172, v145, v163
	v_fmac_f32_e32 v169, v147, v162
	s_waitcnt vmcnt(22)
	v_fmac_f32_e32 v170, v149, v185
	v_fma_f32 v144, v146, v162, -v166
	v_fma_f32 v145, v148, v185, -v167
	s_clause 0x5
	buffer_load_dword v162, off, s[0:3], 0 offset:372
	buffer_load_dword v163, off, s[0:3], 0 offset:380
	;; [unrolled: 1-line block ×6, first 2 shown]
	s_waitcnt vmcnt(27) lgkmcnt(1)
	v_mul_f32_e32 v146, v1, v180
	s_waitcnt vmcnt(26)
	v_mul_f32_e32 v147, v3, v181
	v_mul_f32_e32 v148, v2, v180
	;; [unrolled: 1-line block ×3, first 2 shown]
	v_add_f32_e32 v181, 0, v202
	v_fmac_f32_e32 v146, v2, v178
	v_fmac_f32_e32 v147, v4, v174
	v_fma_f32 v148, v1, v178, -v148
	v_fma_f32 v149, v3, v174, -v149
	ds_read2_b64 v[1:4], v9 offset0:101 offset1:102
	s_waitcnt vmcnt(25) lgkmcnt(1)
	v_mul_f32_e32 v174, v5, v175
	v_mul_f32_e32 v175, v6, v175
	buffer_load_dword v180, off, s[0:3], 0 offset:388
	s_waitcnt vmcnt(25)
	v_mul_f32_e32 v178, v7, v176
	v_mul_f32_e32 v176, v8, v176
	v_fmac_f32_e32 v174, v6, v173
	v_add_f32_e32 v6, 0, v11
	v_add_f32_e32 v11, v181, v203
	v_fma_f32 v173, v5, v173, -v175
	s_waitcnt vmcnt(21)
	v_fmac_f32_e32 v178, v8, v192
	v_fma_f32 v175, v7, v192, -v176
	v_add_f32_e32 v5, v6, v12
	v_add_f32_e32 v11, v11, v204
	s_clause 0x4
	buffer_load_dword v12, off, s[0:3], 0 offset:408
	buffer_load_dword v176, off, s[0:3], 0 offset:400
	;; [unrolled: 1-line block ×5, first 2 shown]
	v_add_f32_e32 v10, v5, v10
	v_add_f32_e32 v11, v11, v205
	ds_read2_b64 v[5:8], v9 offset0:103 offset1:104
	s_waitcnt vmcnt(25) lgkmcnt(1)
	v_mul_f32_e32 v202, v1, v191
	v_mul_f32_e32 v191, v2, v191
	v_add_f32_e32 v10, v10, v153
	v_add_f32_e32 v11, v11, v206
	s_clause 0x1
	buffer_load_dword v203, off, s[0:3], 0 offset:404
	buffer_load_dword v204, off, s[0:3], 0 offset:412
	v_fmac_f32_e32 v202, v2, v188
	v_fma_f32 v153, v1, v188, -v191
	v_add_f32_e32 v1, v10, v194
	v_add_f32_e32 v2, v11, v152
	buffer_load_dword v205, off, s[0:3], 0 offset:420
	s_waitcnt vmcnt(27)
	v_mul_f32_e32 v188, v3, v186
	v_mul_f32_e32 v10, v4, v186
	v_add_f32_e32 v1, v1, v150
	v_add_f32_e32 v2, v2, v151
	s_clause 0x2
	buffer_load_dword v191, off, s[0:3], 0 offset:428
	buffer_load_dword v194, off, s[0:3], 0 offset:436
	;; [unrolled: 1-line block ×3, first 2 shown]
	v_fmac_f32_e32 v188, v4, v182
	v_fma_f32 v10, v3, v182, -v10
	v_add_f32_e32 v2, v2, v195
	s_clause 0x1
	buffer_load_dword v182, off, s[0:3], 0 offset:452
	buffer_load_dword v206, off, s[0:3], 0 offset:460
	v_add_f32_e32 v1, v1, v196
	s_clause 0x2
	buffer_load_dword v195, off, s[0:3], 0 offset:468
	buffer_load_dword v196, off, s[0:3], 0 offset:476
	;; [unrolled: 1-line block ×3, first 2 shown]
	s_waitcnt vmcnt(34) lgkmcnt(0)
	v_mul_f32_e32 v11, v5, v190
	v_add_f32_e32 v2, v2, v197
	s_clause 0x2
	buffer_load_dword v197, off, s[0:3], 0 offset:492
	buffer_load_dword v208, off, s[0:3], 0 offset:500
	;; [unrolled: 1-line block ×3, first 2 shown]
	v_add_f32_e32 v1, v1, v161
	v_mul_f32_e32 v3, v6, v190
	v_fmac_f32_e32 v11, v6, v165
	v_add_f32_e32 v2, v2, v198
	s_clause 0x3
	buffer_load_dword v198, off, s[0:3], 0 offset:440
	buffer_load_dword v210, off, s[0:3], 0 offset:432
	;; [unrolled: 1-line block ×4, first 2 shown]
	v_add_f32_e32 v1, v1, v156
	v_fma_f32 v150, v5, v165, -v3
	v_add_f32_e32 v2, v2, v199
	v_add_f32_e32 v1, v1, v155
	;; [unrolled: 1-line block ×3, first 2 shown]
	s_clause 0x3
	buffer_load_dword v199, off, s[0:3], 0 offset:472
	buffer_load_dword v200, off, s[0:3], 0 offset:464
	;; [unrolled: 1-line block ×4, first 2 shown]
	v_add_f32_e32 v1, v1, v154
	s_waitcnt vmcnt(44)
	v_mul_f32_e32 v154, v7, v187
	v_add_f32_e32 v2, v2, v158
	v_add_f32_e32 v1, v1, v157
	s_waitcnt vmcnt(37)
	v_fmac_f32_e32 v154, v8, v189
	v_add_f32_e32 v2, v2, v172
	s_clause 0x4
	buffer_load_dword v172, off, s[0:3], 0 offset:504
	buffer_load_dword v215, off, s[0:3], 0 offset:496
	;; [unrolled: 1-line block ×5, first 2 shown]
	v_add_f32_e32 v1, v1, v142
	v_add_f32_e32 v2, v2, v169
	;; [unrolled: 1-line block ×6, first 2 shown]
	v_mul_f32_e32 v5, v8, v187
	v_add_f32_e32 v6, v1, v145
	ds_read2_b64 v[1:4], v9 offset0:105 offset1:106
	v_add_f32_e32 v146, v142, v147
	v_fma_f32 v155, v7, v189, -v5
	v_add_f32_e32 v143, v6, v148
	ds_read2_b64 v[5:8], v9 offset0:107 offset1:108
	v_add_f32_e32 v146, v146, v174
	v_add_f32_e32 v147, v143, v149
	ds_read2_b64 v[142:145], v9 offset0:109 offset1:110
	v_add_f32_e32 v151, v146, v178
	v_add_f32_e32 v147, v147, v173
	s_waitcnt lgkmcnt(2)
	v_mul_f32_e32 v148, v2, v183
	v_mul_f32_e32 v158, v1, v183
	;; [unrolled: 1-line block ×3, first 2 shown]
	v_fma_f32 v161, v1, v184, -v148
	v_add_f32_e32 v1, v147, v175
	v_fmac_f32_e32 v158, v2, v184
	v_add_f32_e32 v2, v151, v202
	s_waitcnt lgkmcnt(1)
	v_mul_f32_e32 v169, v5, v177
	v_mul_f32_e32 v152, v6, v177
	v_add_f32_e32 v1, v1, v153
	ds_read2_b64 v[146:149], v9 offset0:111 offset1:112
	v_add_f32_e32 v2, v2, v188
	v_fmac_f32_e32 v169, v6, v168
	v_fma_f32 v168, v5, v168, -v152
	v_add_f32_e32 v1, v1, v10
	v_mul_f32_e32 v151, v4, v179
	v_add_f32_e32 v5, v2, v11
	v_fmac_f32_e32 v165, v4, v171
	v_add_f32_e32 v6, v1, v150
	v_fma_f32 v10, v3, v171, -v151
	ds_read2_b64 v[1:4], v9 offset0:113 offset1:114
	ds_read2_b64 v[150:153], v9 offset0:115 offset1:116
	s_waitcnt vmcnt(40)
	v_mul_f32_e32 v156, v8, v159
	s_waitcnt vmcnt(39) lgkmcnt(3)
	v_mul_f32_e32 v173, v142, v160
	v_mul_f32_e32 v11, v143, v160
	;; [unrolled: 1-line block ×3, first 2 shown]
	s_waitcnt vmcnt(38)
	v_mul_f32_e32 v174, v144, v162
	s_waitcnt vmcnt(34)
	v_fmac_f32_e32 v173, v143, v167
	v_fma_f32 v167, v142, v167, -v11
	v_add_f32_e32 v11, v6, v155
	v_add_f32_e32 v143, v5, v154
	s_waitcnt vmcnt(33)
	v_fma_f32 v171, v7, v185, -v156
	v_fmac_f32_e32 v170, v8, v185
	v_fmac_f32_e32 v174, v145, v166
	v_add_f32_e32 v11, v11, v161
	v_add_f32_e32 v142, v143, v158
	v_mul_f32_e32 v143, v145, v162
	s_waitcnt lgkmcnt(2)
	v_mul_f32_e32 v162, v146, v163
	v_mul_f32_e32 v158, v147, v163
	v_add_f32_e32 v10, v11, v10
	v_add_f32_e32 v142, v142, v165
	v_fma_f32 v166, v144, v166, -v143
	s_waitcnt vmcnt(32)
	v_mul_f32_e32 v163, v149, v180
	v_fmac_f32_e32 v162, v147, v164
	v_add_f32_e32 v168, v10, v168
	v_add_f32_e32 v169, v142, v169
	v_fma_f32 v164, v146, v164, -v158
	v_mul_f32_e32 v165, v148, v180
	ds_read2_b64 v[5:8], v9 offset0:117 offset1:118
	ds_read2_b64 v[154:157], v9 offset0:119 offset1:120
	v_add_f32_e32 v168, v168, v171
	v_add_f32_e32 v169, v169, v170
	s_waitcnt vmcnt(28)
	v_fma_f32 v163, v148, v192, -v163
	s_waitcnt vmcnt(27) lgkmcnt(3)
	v_mul_f32_e32 v175, v2, v201
	v_fmac_f32_e32 v165, v149, v192
	v_add_f32_e32 v167, v168, v167
	v_add_f32_e32 v169, v169, v173
	v_mul_f32_e32 v170, v1, v201
	v_fma_f32 v1, v1, v181, -v175
	ds_read2_b64 v[142:145], v9 offset0:121 offset1:122
	ds_read2_b64 v[158:161], v9 offset0:123 offset1:124
	v_add_f32_e32 v166, v167, v166
	v_add_f32_e32 v169, v169, v174
	s_waitcnt vmcnt(26)
	v_mul_f32_e32 v177, v4, v203
	v_mul_f32_e32 v171, v3, v203
	v_fmac_f32_e32 v170, v2, v181
	v_add_f32_e32 v164, v166, v164
	v_add_f32_e32 v162, v169, v162
	s_waitcnt vmcnt(25) lgkmcnt(4)
	v_mul_f32_e32 v173, v150, v204
	v_mul_f32_e32 v175, v151, v204
	v_fma_f32 v3, v3, v176, -v177
	v_add_f32_e32 v163, v164, v163
	v_add_f32_e32 v162, v162, v165
	v_fmac_f32_e32 v171, v4, v176
	s_waitcnt vmcnt(24)
	v_mul_f32_e32 v164, v153, v205
	v_fmac_f32_e32 v173, v151, v12
	v_add_f32_e32 v1, v163, v1
	v_add_f32_e32 v162, v162, v170
	v_fma_f32 v12, v150, v12, -v175
	v_mul_f32_e32 v168, v152, v205
	s_waitcnt vmcnt(23) lgkmcnt(3)
	v_mul_f32_e32 v150, v6, v191
	v_add_f32_e32 v1, v1, v3
	v_add_f32_e32 v3, v162, v171
	v_mul_f32_e32 v2, v5, v191
	s_waitcnt vmcnt(22)
	v_mul_f32_e32 v174, v7, v194
	s_waitcnt vmcnt(21) lgkmcnt(2)
	v_mul_f32_e32 v167, v154, v186
	v_add_f32_e32 v1, v1, v12
	v_add_f32_e32 v3, v3, v173
	v_mul_f32_e32 v12, v8, v194
	s_waitcnt vmcnt(9)
	v_fma_f32 v151, v152, v212, -v164
	v_fmac_f32_e32 v168, v153, v212
	v_fma_f32 v5, v5, v211, -v150
	v_fmac_f32_e32 v2, v6, v211
	v_mul_f32_e32 v6, v155, v186
	v_add_f32_e32 v1, v1, v151
	v_add_f32_e32 v3, v3, v168
	v_fma_f32 v7, v7, v210, -v12
	v_fmac_f32_e32 v174, v8, v210
	v_mul_f32_e32 v4, v156, v182
	v_add_f32_e32 v1, v1, v5
	v_add_f32_e32 v2, v3, v2
	v_mul_f32_e32 v3, v157, v182
	v_fma_f32 v5, v154, v198, -v6
	v_fmac_f32_e32 v167, v155, v198
	v_add_f32_e32 v1, v1, v7
	v_add_f32_e32 v2, v2, v174
	s_waitcnt lgkmcnt(1)
	v_mul_f32_e32 v6, v143, v206
	s_waitcnt vmcnt(5)
	v_fma_f32 v3, v156, v214, -v3
	ds_read2_b64 v[146:149], v9 offset0:125 offset1:126
	ds_read_b64 v[10:11], v9 offset:1016
	v_add_f32_e32 v1, v1, v5
	v_mul_f32_e32 v176, v142, v206
	v_fmac_f32_e32 v4, v157, v214
	v_add_f32_e32 v2, v2, v167
	v_mul_f32_e32 v5, v145, v195
	v_fma_f32 v6, v142, v213, -v6
	v_add_f32_e32 v1, v1, v3
	v_mul_f32_e32 v166, v144, v195
	v_fmac_f32_e32 v176, v143, v213
	v_add_f32_e32 v2, v2, v4
	s_waitcnt lgkmcnt(2)
	v_mul_f32_e32 v3, v159, v196
	v_fma_f32 v4, v144, v200, -v5
	v_add_f32_e32 v1, v1, v6
	v_mul_f32_e32 v169, v158, v196
	v_fmac_f32_e32 v166, v145, v200
	v_add_f32_e32 v2, v2, v176
	v_mul_f32_e32 v5, v161, v207
	v_fma_f32 v3, v158, v199, -v3
	v_add_f32_e32 v1, v1, v4
	v_mul_f32_e32 v177, v160, v207
	v_fmac_f32_e32 v169, v159, v199
	v_add_f32_e32 v2, v2, v166
	s_waitcnt lgkmcnt(1)
	v_mul_f32_e32 v4, v147, v197
	s_waitcnt vmcnt(1)
	v_fma_f32 v5, v160, v217, -v5
	v_add_f32_e32 v1, v1, v3
	v_mul_f32_e32 v165, v146, v197
	v_fmac_f32_e32 v177, v161, v217
	v_add_f32_e32 v2, v2, v169
	v_mul_f32_e32 v3, v149, v208
	v_fma_f32 v4, v146, v216, -v4
	v_add_f32_e32 v1, v1, v5
	v_mul_f32_e32 v178, v148, v208
	v_fmac_f32_e32 v165, v147, v216
	v_add_f32_e32 v2, v2, v177
	s_waitcnt lgkmcnt(0)
	v_mul_f32_e32 v5, v11, v209
	v_fma_f32 v3, v148, v215, -v3
	v_add_f32_e32 v1, v1, v4
	v_mul_f32_e32 v163, v10, v209
	v_fmac_f32_e32 v178, v149, v215
	v_add_f32_e32 v2, v2, v165
	v_fma_f32 v4, v10, v172, -v5
	v_add_f32_e32 v1, v1, v3
	v_fmac_f32_e32 v163, v11, v172
	v_add_f32_e32 v2, v2, v178
	v_add_f32_e32 v1, v1, v4
	;; [unrolled: 1-line block ×3, first 2 shown]
	s_waitcnt vmcnt(0)
	v_sub_f32_e32 v1, v218, v1
	v_sub_f32_e32 v2, v193, v2
	buffer_store_dword v1, off, s[0:3], 0 offset:128
	buffer_store_dword v2, off, s[0:3], 0 offset:132
	v_cmpx_lt_u32_e32 15, v0
	s_cbranch_execz .LBB63_367
; %bb.366:
	s_clause 0x1
	buffer_load_dword v1, off, s[0:3], 0 offset:120
	buffer_load_dword v2, off, s[0:3], 0 offset:124
	buffer_store_dword v9, off, s[0:3], 0 offset:120
	buffer_store_dword v9, off, s[0:3], 0 offset:124
	s_waitcnt vmcnt(0)
	ds_write_b64 v141, v[1:2]
.LBB63_367:
	s_or_b32 exec_lo, exec_lo, s4
	s_waitcnt lgkmcnt(0)
	s_waitcnt_vscnt null, 0x0
	s_barrier
	buffer_gl0_inv
	s_clause 0x33
	buffer_load_dword v176, off, s[0:3], 0 offset:132
	buffer_load_dword v177, off, s[0:3], 0 offset:140
	;; [unrolled: 1-line block ×52, first 2 shown]
	ds_read_b128 v[185:188], v9 offset:640
	ds_read_b128 v[189:192], v9 offset:656
	;; [unrolled: 1-line block ×3, first 2 shown]
	s_clause 0x1
	buffer_load_dword v182, off, s[0:3], 0 offset:324
	buffer_load_dword v183, off, s[0:3], 0 offset:332
	ds_read_b128 v[197:200], v9 offset:688
	s_mov_b32 s4, exec_lo
	s_waitcnt vmcnt(53) lgkmcnt(3)
	v_mul_f32_e32 v201, v185, v176
	v_mul_f32_e32 v202, v186, v176
	s_waitcnt vmcnt(52)
	v_mul_f32_e32 v203, v187, v177
	v_mul_f32_e32 v177, v188, v177
	buffer_load_dword v176, off, s[0:3], 0 offset:124
	s_waitcnt vmcnt(50)
	v_fmac_f32_e32 v201, v186, v7
	v_fma_f32 v202, v185, v7, -v202
	v_fmac_f32_e32 v203, v188, v5
	v_fma_f32 v177, v187, v5, -v177
	ds_read_b128 v[185:188], v9 offset:704
	s_waitcnt vmcnt(49) lgkmcnt(3)
	v_mul_f32_e32 v204, v189, v2
	s_waitcnt vmcnt(48)
	v_mul_f32_e32 v205, v191, v3
	v_mul_f32_e32 v2, v190, v2
	;; [unrolled: 1-line block ×3, first 2 shown]
	s_waitcnt vmcnt(47) lgkmcnt(2)
	v_mul_f32_e32 v206, v193, v6
	v_mul_f32_e32 v5, v194, v6
	v_fmac_f32_e32 v204, v190, v1
	v_fma_f32 v207, v189, v1, -v2
	s_waitcnt vmcnt(46)
	v_mul_f32_e32 v208, v195, v4
	v_mul_f32_e32 v6, v196, v4
	s_waitcnt vmcnt(42)
	v_fma_f32 v209, v191, v143, -v3
	ds_read_b128 v[1:4], v9 offset:720
	v_fmac_f32_e32 v205, v192, v143
	v_fmac_f32_e32 v206, v194, v142
	v_fma_f32 v193, v193, v142, -v5
	v_fmac_f32_e32 v208, v196, v11
	v_fma_f32 v11, v195, v11, -v6
	ds_read_b128 v[189:192], v9 offset:736
	s_waitcnt vmcnt(41) lgkmcnt(3)
	v_mul_f32_e32 v194, v197, v12
	v_mul_f32_e32 v5, v198, v12
	s_waitcnt vmcnt(40)
	v_mul_f32_e32 v12, v199, v10
	v_mul_f32_e32 v6, v200, v10
	s_waitcnt vmcnt(39) lgkmcnt(2)
	v_mul_f32_e32 v10, v185, v144
	v_fmac_f32_e32 v194, v198, v8
	v_fma_f32 v195, v197, v8, -v5
	v_mul_f32_e32 v142, v186, v144
	s_waitcnt vmcnt(38)
	v_mul_f32_e32 v143, v188, v145
	s_waitcnt vmcnt(34)
	v_fmac_f32_e32 v12, v200, v151
	v_fma_f32 v151, v199, v151, -v6
	ds_read_b128 v[5:8], v9 offset:752
	v_mul_f32_e32 v196, v187, v145
	v_fmac_f32_e32 v10, v186, v150
	v_fma_f32 v150, v185, v150, -v142
	v_fma_f32 v185, v187, v148, -v143
	ds_read_b128 v[142:145], v9 offset:768
	v_fmac_f32_e32 v196, v188, v148
	s_waitcnt vmcnt(33) lgkmcnt(3)
	v_mul_f32_e32 v186, v1, v149
	v_mul_f32_e32 v148, v2, v149
	s_waitcnt vmcnt(32)
	v_mul_f32_e32 v187, v3, v147
	v_mul_f32_e32 v147, v4, v147
	s_waitcnt vmcnt(31) lgkmcnt(2)
	v_mul_f32_e32 v188, v189, v152
	v_fmac_f32_e32 v186, v2, v146
	v_fma_f32 v197, v1, v146, -v148
	v_mul_f32_e32 v146, v190, v152
	s_waitcnt vmcnt(30)
	v_mul_f32_e32 v198, v191, v153
	v_mul_f32_e32 v148, v192, v153
	s_waitcnt vmcnt(26)
	v_fmac_f32_e32 v187, v4, v159
	v_fma_f32 v152, v3, v159, -v147
	ds_read_b128 v[1:4], v9 offset:784
	v_fmac_f32_e32 v188, v190, v158
	v_fma_f32 v153, v189, v158, -v146
	s_waitcnt vmcnt(25) lgkmcnt(2)
	v_mul_f32_e32 v158, v5, v157
	v_fmac_f32_e32 v198, v192, v156
	v_fma_f32 v156, v191, v156, -v148
	ds_read_b128 v[146:149], v9 offset:800
	v_mul_f32_e32 v157, v6, v157
	s_waitcnt vmcnt(24)
	v_mul_f32_e32 v159, v7, v155
	v_mul_f32_e32 v155, v8, v155
	s_waitcnt vmcnt(23) lgkmcnt(2)
	v_mul_f32_e32 v189, v142, v160
	v_fmac_f32_e32 v158, v6, v154
	v_mul_f32_e32 v6, v143, v160
	v_fma_f32 v5, v5, v154, -v157
	s_waitcnt vmcnt(22)
	v_mul_f32_e32 v154, v144, v161
	v_mul_f32_e32 v157, v145, v161
	s_waitcnt vmcnt(18)
	v_fmac_f32_e32 v159, v8, v168
	v_fma_f32 v7, v7, v168, -v155
	v_fmac_f32_e32 v189, v143, v167
	v_fma_f32 v6, v142, v167, -v6
	s_clause 0x5
	buffer_load_dword v155, off, s[0:3], 0 offset:348
	buffer_load_dword v160, off, s[0:3], 0 offset:352
	;; [unrolled: 1-line block ×6, first 2 shown]
	v_fma_f32 v142, v144, v163, -v157
	s_waitcnt vmcnt(23) lgkmcnt(1)
	v_mul_f32_e32 v143, v1, v164
	s_waitcnt vmcnt(22)
	v_mul_f32_e32 v157, v3, v165
	v_mul_f32_e32 v8, v2, v164
	;; [unrolled: 1-line block ×3, first 2 shown]
	v_fmac_f32_e32 v154, v145, v163
	v_fmac_f32_e32 v143, v2, v162
	s_waitcnt vmcnt(18)
	v_fmac_f32_e32 v157, v4, v175
	v_fma_f32 v145, v1, v162, -v8
	v_fma_f32 v162, v3, v175, -v144
	s_waitcnt vmcnt(17) lgkmcnt(0)
	v_mul_f32_e32 v175, v146, v173
	v_mul_f32_e32 v8, v147, v173
	s_clause 0x1
	buffer_load_dword v163, off, s[0:3], 0 offset:364
	buffer_load_dword v164, off, s[0:3], 0 offset:372
	ds_read_b128 v[1:4], v9 offset:816
	buffer_load_dword v165, off, s[0:3], 0 offset:380
	s_waitcnt vmcnt(19)
	v_mul_f32_e32 v191, v148, v174
	v_mul_f32_e32 v144, v149, v174
	v_fmac_f32_e32 v175, v147, v172
	v_fma_f32 v146, v146, v172, -v8
	s_clause 0x5
	buffer_load_dword v172, off, s[0:3], 0 offset:400
	buffer_load_dword v173, off, s[0:3], 0 offset:392
	;; [unrolled: 1-line block ×6, first 2 shown]
	v_fmac_f32_e32 v191, v149, v171
	v_fma_f32 v171, v148, v171, -v144
	v_add_f32_e32 v8, 0, v201
	v_add_f32_e32 v144, 0, v202
	;; [unrolled: 1-line block ×4, first 2 shown]
	buffer_load_dword v177, off, s[0:3], 0 offset:404
	s_waitcnt vmcnt(25) lgkmcnt(0)
	v_mul_f32_e32 v147, v2, v170
	v_add_f32_e32 v8, v8, v204
	v_add_f32_e32 v144, v144, v207
	s_waitcnt vmcnt(24)
	v_mul_f32_e32 v148, v4, v169
	s_clause 0x3
	buffer_load_dword v201, off, s[0:3], 0 offset:412
	buffer_load_dword v202, off, s[0:3], 0 offset:420
	;; [unrolled: 1-line block ×4, first 2 shown]
	v_add_f32_e32 v8, v8, v205
	v_add_f32_e32 v144, v144, v209
	v_mul_f32_e32 v205, v1, v170
	v_mul_f32_e32 v170, v3, v169
	v_add_f32_e32 v8, v8, v206
	v_add_f32_e32 v144, v144, v193
	v_fmac_f32_e32 v205, v2, v166
	v_fma_f32 v166, v1, v166, -v147
	s_clause 0x3
	buffer_load_dword v169, off, s[0:3], 0 offset:444
	buffer_load_dword v193, off, s[0:3], 0 offset:452
	;; [unrolled: 1-line block ×4, first 2 shown]
	v_add_f32_e32 v1, v8, v208
	v_add_f32_e32 v2, v144, v11
	s_waitcnt vmcnt(27)
	v_fmac_f32_e32 v170, v4, v184
	v_fma_f32 v11, v3, v184, -v148
	s_clause 0x1
	buffer_load_dword v184, off, s[0:3], 0 offset:476
	buffer_load_dword v208, off, s[0:3], 0 offset:484
	v_add_f32_e32 v1, v1, v194
	v_add_f32_e32 v2, v2, v195
	s_clause 0x6
	buffer_load_dword v194, off, s[0:3], 0 offset:492
	buffer_load_dword v195, off, s[0:3], 0 offset:500
	buffer_load_dword v209, off, s[0:3], 0 offset:508
	buffer_load_dword v210, off, s[0:3], 0 offset:432
	buffer_load_dword v211, off, s[0:3], 0 offset:424
	buffer_load_dword v212, off, s[0:3], 0 offset:416
	buffer_load_dword v213, off, s[0:3], 0 offset:408
	v_add_f32_e32 v1, v1, v12
	v_add_f32_e32 v2, v2, v151
	;; [unrolled: 1-line block ×6, first 2 shown]
	s_clause 0x3
	buffer_load_dword v185, off, s[0:3], 0 offset:464
	buffer_load_dword v196, off, s[0:3], 0 offset:456
	;; [unrolled: 1-line block ×4, first 2 shown]
	v_add_f32_e32 v1, v1, v186
	v_add_f32_e32 v2, v2, v197
	;; [unrolled: 1-line block ×3, first 2 shown]
	s_clause 0x4
	buffer_load_dword v186, off, s[0:3], 0 offset:496
	buffer_load_dword v187, off, s[0:3], 0 offset:488
	;; [unrolled: 1-line block ×5, first 2 shown]
	v_add_f32_e32 v2, v2, v152
	v_add_f32_e32 v1, v1, v188
	buffer_load_dword v188, off, s[0:3], 0 offset:504
	v_add_f32_e32 v2, v2, v153
	v_add_f32_e32 v1, v1, v198
	v_add_f32_e32 v2, v2, v156
	v_add_f32_e32 v8, v1, v158
	v_add_f32_e32 v5, v2, v5
	ds_read_b128 v[1:4], v9 offset:832
	v_add_f32_e32 v5, v5, v7
	v_add_f32_e32 v7, v8, v159
	;; [unrolled: 1-line block ×4, first 2 shown]
	ds_read_b128 v[5:8], v9 offset:848
	v_add_f32_e32 v10, v10, v142
	v_add_f32_e32 v12, v12, v154
	;; [unrolled: 1-line block ×4, first 2 shown]
	s_waitcnt vmcnt(44) lgkmcnt(1)
	v_mul_f32_e32 v158, v3, v183
	v_mul_f32_e32 v144, v4, v183
	;; [unrolled: 1-line block ×3, first 2 shown]
	v_add_f32_e32 v10, v10, v162
	v_add_f32_e32 v12, v12, v157
	v_mul_f32_e32 v142, v2, v182
	v_fmac_f32_e32 v158, v4, v180
	v_fma_f32 v159, v3, v180, -v144
	v_add_f32_e32 v10, v10, v146
	v_add_f32_e32 v12, v12, v175
	s_waitcnt lgkmcnt(0)
	v_mul_f32_e32 v162, v5, v179
	v_mul_f32_e32 v147, v6, v179
	v_fmac_f32_e32 v156, v2, v181
	v_fma_f32 v154, v1, v181, -v142
	ds_read_b128 v[1:4], v9 offset:864
	ds_read_b128 v[142:145], v9 offset:880
	v_add_f32_e32 v10, v10, v171
	v_fmac_f32_e32 v162, v6, v178
	v_fma_f32 v178, v5, v178, -v147
	v_add_f32_e32 v12, v12, v191
	v_add_f32_e32 v10, v10, v166
	;; [unrolled: 1-line block ×9, first 2 shown]
	s_waitcnt vmcnt(42)
	v_mul_f32_e32 v180, v7, v155
	v_mul_f32_e32 v148, v8, v155
	s_waitcnt vmcnt(40) lgkmcnt(1)
	v_mul_f32_e32 v171, v1, v161
	v_mul_f32_e32 v150, v2, v161
	s_waitcnt vmcnt(37)
	v_fmac_f32_e32 v180, v8, v190
	v_fma_f32 v179, v7, v190, -v148
	ds_read_b128 v[5:8], v9 offset:896
	ds_read_b128 v[146:149], v9 offset:912
	v_fmac_f32_e32 v171, v2, v160
	v_fma_f32 v160, v1, v160, -v150
	s_waitcnt vmcnt(36)
	v_mul_f32_e32 v161, v3, v163
	v_mul_f32_e32 v151, v4, v163
	s_waitcnt vmcnt(35) lgkmcnt(2)
	v_mul_f32_e32 v163, v142, v164
	v_mul_f32_e32 v155, v143, v164
	s_waitcnt vmcnt(34)
	v_mul_f32_e32 v12, v145, v165
	v_mul_f32_e32 v166, v144, v165
	v_fmac_f32_e32 v161, v4, v168
	v_fmac_f32_e32 v163, v143, v167
	v_fma_f32 v165, v142, v167, -v155
	s_waitcnt vmcnt(29) lgkmcnt(1)
	v_mul_f32_e32 v159, v5, v199
	v_fma_f32 v167, v144, v192, -v12
	v_mul_f32_e32 v12, v6, v199
	v_fma_f32 v164, v3, v168, -v151
	s_waitcnt vmcnt(28)
	v_mul_f32_e32 v158, v7, v200
	v_fmac_f32_e32 v159, v6, v174
	v_add_f32_e32 v6, v10, v178
	v_mul_f32_e32 v168, v8, v200
	v_add_f32_e32 v10, v11, v162
	v_fmac_f32_e32 v158, v8, v173
	ds_read_b128 v[1:4], v9 offset:928
	ds_read_b128 v[150:153], v9 offset:944
	v_add_f32_e32 v170, v6, v179
	v_fma_f32 v168, v7, v173, -v168
	v_add_f32_e32 v173, v10, v180
	v_fmac_f32_e32 v166, v145, v192
	v_fma_f32 v162, v5, v174, -v12
	v_add_f32_e32 v160, v170, v160
	s_waitcnt vmcnt(27) lgkmcnt(2)
	v_mul_f32_e32 v170, v147, v177
	v_add_f32_e32 v171, v173, v171
	v_mul_f32_e32 v174, v146, v177
	s_waitcnt vmcnt(26)
	v_mul_f32_e32 v175, v149, v201
	v_add_f32_e32 v160, v160, v164
	v_fma_f32 v146, v146, v172, -v170
	v_add_f32_e32 v161, v171, v161
	v_mul_f32_e32 v173, v148, v201
	v_fmac_f32_e32 v174, v147, v172
	v_add_f32_e32 v160, v160, v165
	ds_read_b128 v[142:145], v9 offset:960
	ds_read_b128 v[154:157], v9 offset:976
	v_add_f32_e32 v161, v161, v163
	s_waitcnt vmcnt(25) lgkmcnt(3)
	v_mul_f32_e32 v164, v1, v202
	s_waitcnt vmcnt(24)
	v_mul_f32_e32 v171, v3, v203
	v_add_f32_e32 v160, v160, v167
	s_waitcnt vmcnt(23) lgkmcnt(2)
	v_mul_f32_e32 v177, v150, v204
	v_add_f32_e32 v161, v161, v166
	s_waitcnt vmcnt(22)
	v_mul_f32_e32 v165, v152, v169
	s_waitcnt vmcnt(12)
	v_fmac_f32_e32 v171, v4, v211
	v_add_f32_e32 v160, v160, v162
	s_waitcnt vmcnt(10)
	v_fma_f32 v148, v148, v213, -v175
	v_add_f32_e32 v159, v161, v159
	v_fmac_f32_e32 v173, v149, v213
	v_fmac_f32_e32 v164, v2, v212
	v_add_f32_e32 v160, v160, v168
	v_fmac_f32_e32 v177, v151, v210
	v_add_f32_e32 v158, v159, v158
	v_mul_f32_e32 v159, v2, v202
	ds_read_b128 v[5:8], v9 offset:992
	ds_read_b128 v[9:12], v9 offset:1008
	v_add_f32_e32 v146, v160, v146
	s_waitcnt lgkmcnt(3)
	v_mul_f32_e32 v163, v142, v193
	v_add_f32_e32 v149, v158, v174
	v_mul_f32_e32 v158, v4, v203
	v_fma_f32 v1, v1, v212, -v159
	v_add_f32_e32 v2, v146, v148
	v_mul_f32_e32 v148, v151, v204
	v_add_f32_e32 v146, v149, v173
	v_fma_f32 v3, v3, v211, -v158
	v_mul_f32_e32 v4, v153, v169
	v_add_f32_e32 v1, v2, v1
	s_waitcnt vmcnt(6)
	v_fmac_f32_e32 v165, v153, v215
	v_add_f32_e32 v2, v146, v164
	v_fma_f32 v146, v150, v210, -v148
	v_fma_f32 v4, v152, v215, -v4
	v_add_f32_e32 v1, v1, v3
	v_mul_f32_e32 v3, v143, v193
	v_add_f32_e32 v2, v2, v171
	v_mul_f32_e32 v178, v144, v206
	v_fmac_f32_e32 v163, v143, v214
	v_add_f32_e32 v1, v1, v146
	v_mul_f32_e32 v146, v145, v206
	v_add_f32_e32 v2, v2, v177
	v_fma_f32 v3, v142, v214, -v3
	s_waitcnt lgkmcnt(2)
	v_mul_f32_e32 v167, v154, v207
	v_add_f32_e32 v1, v1, v4
	v_mul_f32_e32 v4, v155, v207
	v_add_f32_e32 v2, v2, v165
	v_fma_f32 v142, v144, v196, -v146
	v_fmac_f32_e32 v178, v145, v196
	v_add_f32_e32 v1, v1, v3
	v_mul_f32_e32 v3, v157, v184
	v_add_f32_e32 v2, v2, v163
	v_fma_f32 v4, v154, v185, -v4
	v_mul_f32_e32 v166, v156, v184
	v_add_f32_e32 v1, v1, v142
	v_fmac_f32_e32 v167, v155, v185
	v_add_f32_e32 v2, v2, v178
	s_waitcnt lgkmcnt(1)
	v_mul_f32_e32 v142, v6, v208
	s_waitcnt vmcnt(2)
	v_fma_f32 v3, v156, v216, -v3
	v_add_f32_e32 v1, v1, v4
	v_mul_f32_e32 v179, v5, v208
	v_fmac_f32_e32 v166, v157, v216
	v_add_f32_e32 v2, v2, v167
	v_mul_f32_e32 v4, v8, v194
	v_fma_f32 v5, v5, v197, -v142
	v_add_f32_e32 v1, v1, v3
	v_mul_f32_e32 v162, v7, v194
	v_fmac_f32_e32 v179, v6, v197
	v_add_f32_e32 v2, v2, v166
	s_waitcnt lgkmcnt(0)
	v_mul_f32_e32 v3, v10, v195
	v_fma_f32 v4, v7, v187, -v4
	v_add_f32_e32 v1, v1, v5
	v_mul_f32_e32 v161, v9, v195
	v_fmac_f32_e32 v162, v8, v187
	v_add_f32_e32 v2, v2, v179
	v_mul_f32_e32 v5, v12, v209
	v_fma_f32 v3, v9, v186, -v3
	v_add_f32_e32 v1, v1, v4
	v_mul_f32_e32 v147, v11, v209
	v_fmac_f32_e32 v161, v10, v186
	v_add_f32_e32 v2, v2, v162
	s_waitcnt vmcnt(0)
	v_fma_f32 v4, v11, v188, -v5
	v_add_f32_e32 v1, v1, v3
	v_fmac_f32_e32 v147, v12, v188
	v_add_f32_e32 v2, v2, v161
	v_add_f32_e32 v1, v1, v4
	;; [unrolled: 1-line block ×3, first 2 shown]
	v_sub_f32_e32 v1, v217, v1
	v_sub_f32_e32 v2, v176, v2
	buffer_store_dword v1, off, s[0:3], 0 offset:120
	buffer_store_dword v2, off, s[0:3], 0 offset:124
	v_cmpx_lt_u32_e32 14, v0
	s_cbranch_execz .LBB63_369
; %bb.368:
	s_clause 0x1
	buffer_load_dword v1, off, s[0:3], 0 offset:112
	buffer_load_dword v2, off, s[0:3], 0 offset:116
	v_mov_b32_e32 v3, 0
	buffer_store_dword v3, off, s[0:3], 0 offset:112
	buffer_store_dword v3, off, s[0:3], 0 offset:116
	s_waitcnt vmcnt(0)
	ds_write_b64 v141, v[1:2]
.LBB63_369:
	s_or_b32 exec_lo, exec_lo, s4
	s_waitcnt lgkmcnt(0)
	s_waitcnt_vscnt null, 0x0
	s_barrier
	buffer_gl0_inv
	s_clause 0x33
	buffer_load_dword v11, off, s[0:3], 0 offset:124
	buffer_load_dword v12, off, s[0:3], 0 offset:132
	;; [unrolled: 1-line block ×52, first 2 shown]
	v_mov_b32_e32 v9, 0
	ds_read2_b64 v[5:8], v9 offset0:79 offset1:80
	ds_read2_b64 v[1:4], v9 offset0:81 offset1:82
	;; [unrolled: 1-line block ×3, first 2 shown]
	s_clause 0x2
	buffer_load_dword v191, off, s[0:3], 0 offset:316
	buffer_load_dword v192, off, s[0:3], 0 offset:324
	;; [unrolled: 1-line block ×3, first 2 shown]
	ds_read2_b64 v[198:201], v9 offset0:85 offset1:86
	s_mov_b32 s4, exec_lo
	s_waitcnt vmcnt(54) lgkmcnt(3)
	v_mul_f32_e32 v202, v5, v11
	s_waitcnt vmcnt(53)
	v_mul_f32_e32 v203, v7, v12
	v_mul_f32_e32 v11, v6, v11
	;; [unrolled: 1-line block ×3, first 2 shown]
	s_waitcnt vmcnt(50)
	v_fmac_f32_e32 v202, v6, v147
	v_fmac_f32_e32 v203, v8, v145
	v_fma_f32 v11, v5, v147, -v11
	v_fma_f32 v12, v7, v145, -v12
	ds_read2_b64 v[5:8], v9 offset0:87 offset1:88
	s_waitcnt vmcnt(49) lgkmcnt(3)
	v_mul_f32_e32 v204, v1, v142
	s_waitcnt vmcnt(48)
	v_mul_f32_e32 v205, v3, v143
	v_mul_f32_e32 v142, v2, v142
	;; [unrolled: 1-line block ×3, first 2 shown]
	s_waitcnt vmcnt(47) lgkmcnt(2)
	v_mul_f32_e32 v206, v194, v146
	v_mul_f32_e32 v145, v195, v146
	v_fmac_f32_e32 v204, v2, v10
	v_fma_f32 v10, v1, v10, -v142
	s_waitcnt vmcnt(46)
	v_mul_f32_e32 v207, v196, v144
	v_mul_f32_e32 v142, v197, v144
	s_waitcnt vmcnt(42)
	v_fmac_f32_e32 v205, v4, v153
	v_fma_f32 v153, v3, v153, -v143
	ds_read2_b64 v[1:4], v9 offset0:89 offset1:90
	v_fmac_f32_e32 v206, v195, v152
	v_fma_f32 v152, v194, v152, -v145
	v_fmac_f32_e32 v207, v197, v150
	v_fma_f32 v150, v196, v150, -v142
	ds_read2_b64 v[142:145], v9 offset0:91 offset1:92
	s_waitcnt vmcnt(41) lgkmcnt(3)
	v_mul_f32_e32 v194, v198, v151
	v_mul_f32_e32 v146, v199, v151
	s_waitcnt vmcnt(40)
	v_mul_f32_e32 v151, v200, v149
	v_mul_f32_e32 v147, v201, v149
	s_waitcnt vmcnt(39) lgkmcnt(2)
	v_mul_f32_e32 v195, v5, v154
	v_fmac_f32_e32 v194, v199, v148
	v_fma_f32 v196, v198, v148, -v146
	s_waitcnt vmcnt(38)
	v_mul_f32_e32 v197, v7, v155
	v_mul_f32_e32 v154, v6, v154
	;; [unrolled: 1-line block ×3, first 2 shown]
	s_waitcnt vmcnt(34)
	v_fmac_f32_e32 v151, v201, v161
	v_fma_f32 v161, v200, v161, -v147
	ds_read2_b64 v[146:149], v9 offset0:93 offset1:94
	v_fmac_f32_e32 v195, v6, v160
	v_fmac_f32_e32 v197, v8, v158
	v_fma_f32 v154, v5, v160, -v154
	v_fma_f32 v155, v7, v158, -v155
	ds_read2_b64 v[5:8], v9 offset0:95 offset1:96
	s_waitcnt vmcnt(33) lgkmcnt(3)
	v_mul_f32_e32 v158, v1, v159
	v_mul_f32_e32 v159, v2, v159
	s_waitcnt vmcnt(32)
	v_mul_f32_e32 v160, v3, v157
	v_mul_f32_e32 v157, v4, v157
	s_waitcnt vmcnt(31) lgkmcnt(2)
	v_mul_f32_e32 v198, v142, v162
	v_fmac_f32_e32 v158, v2, v156
	v_fma_f32 v156, v1, v156, -v159
	s_waitcnt vmcnt(30)
	v_mul_f32_e32 v159, v144, v163
	v_mul_f32_e32 v163, v145, v163
	;; [unrolled: 1-line block ×3, first 2 shown]
	s_waitcnt vmcnt(26)
	v_fmac_f32_e32 v160, v4, v170
	v_fma_f32 v157, v3, v170, -v157
	v_fmac_f32_e32 v159, v145, v167
	v_fma_f32 v163, v144, v167, -v163
	s_waitcnt vmcnt(25) lgkmcnt(1)
	v_mul_f32_e32 v167, v146, v168
	v_mul_f32_e32 v168, v147, v168
	ds_read2_b64 v[1:4], v9 offset0:97 offset1:98
	v_fmac_f32_e32 v198, v143, v169
	v_fma_f32 v162, v142, v169, -v162
	s_waitcnt vmcnt(24)
	v_mul_f32_e32 v169, v148, v166
	v_mul_f32_e32 v166, v149, v166
	s_waitcnt vmcnt(23) lgkmcnt(1)
	v_mul_f32_e32 v170, v5, v171
	v_fmac_f32_e32 v167, v147, v164
	v_fma_f32 v146, v146, v164, -v168
	v_mul_f32_e32 v164, v6, v171
	ds_read2_b64 v[142:145], v9 offset0:99 offset1:100
	s_waitcnt vmcnt(22)
	v_mul_f32_e32 v147, v7, v173
	v_mul_f32_e32 v168, v8, v173
	s_waitcnt vmcnt(18)
	v_fmac_f32_e32 v169, v149, v181
	v_fma_f32 v148, v148, v181, -v166
	v_fmac_f32_e32 v170, v6, v180
	v_fma_f32 v5, v5, v180, -v164
	s_clause 0x5
	buffer_load_dword v149, off, s[0:3], 0 offset:340
	buffer_load_dword v164, off, s[0:3], 0 offset:344
	;; [unrolled: 1-line block ×6, first 2 shown]
	v_fmac_f32_e32 v147, v8, v179
	v_fma_f32 v6, v7, v179, -v168
	s_clause 0x1
	buffer_load_dword v168, off, s[0:3], 0 offset:356
	buffer_load_dword v179, off, s[0:3], 0 offset:364
	s_waitcnt vmcnt(25) lgkmcnt(1)
	v_mul_f32_e32 v181, v1, v177
	s_waitcnt vmcnt(24)
	v_mul_f32_e32 v199, v3, v178
	v_mul_f32_e32 v7, v2, v177
	;; [unrolled: 1-line block ×3, first 2 shown]
	buffer_load_dword v177, off, s[0:3], 0 offset:372
	v_fmac_f32_e32 v181, v2, v175
	s_waitcnt vmcnt(21)
	v_fmac_f32_e32 v199, v4, v189
	v_fma_f32 v175, v1, v175, -v7
	v_fma_f32 v178, v3, v189, -v8
	ds_read2_b64 v[1:4], v9 offset0:101 offset1:102
	s_waitcnt vmcnt(20) lgkmcnt(1)
	v_mul_f32_e32 v189, v142, v187
	s_waitcnt vmcnt(19)
	v_mul_f32_e32 v200, v144, v188
	v_mul_f32_e32 v7, v143, v187
	;; [unrolled: 1-line block ×3, first 2 shown]
	s_clause 0x4
	buffer_load_dword v187, off, s[0:3], 0 offset:392
	buffer_load_dword v188, off, s[0:3], 0 offset:384
	;; [unrolled: 1-line block ×5, first 2 shown]
	v_fmac_f32_e32 v189, v143, v186
	v_fmac_f32_e32 v200, v145, v185
	v_fma_f32 v186, v142, v186, -v7
	v_add_f32_e32 v7, 0, v202
	v_fma_f32 v185, v144, v185, -v8
	buffer_load_dword v202, off, s[0:3], 0 offset:388
	v_add_f32_e32 v8, 0, v11
	v_add_f32_e32 v7, v7, v203
	buffer_load_dword v203, off, s[0:3], 0 offset:396
	v_add_f32_e32 v8, v8, v12
	v_add_f32_e32 v7, v7, v204
	s_waitcnt vmcnt(25) lgkmcnt(0)
	v_mul_f32_e32 v11, v1, v184
	v_mul_f32_e32 v12, v2, v184
	s_waitcnt vmcnt(24)
	v_mul_f32_e32 v184, v3, v183
	v_mul_f32_e32 v142, v4, v183
	v_fmac_f32_e32 v11, v2, v182
	v_add_f32_e32 v2, v7, v205
	v_fma_f32 v12, v1, v182, -v12
	s_clause 0x2
	buffer_load_dword v182, off, s[0:3], 0 offset:404
	buffer_load_dword v183, off, s[0:3], 0 offset:412
	;; [unrolled: 1-line block ×3, first 2 shown]
	v_add_f32_e32 v1, v8, v10
	buffer_load_dword v205, off, s[0:3], 0 offset:436
	v_add_f32_e32 v2, v2, v206
	s_waitcnt vmcnt(23)
	v_fmac_f32_e32 v184, v4, v190
	v_fma_f32 v10, v3, v190, -v142
	s_clause 0x5
	buffer_load_dword v190, off, s[0:3], 0 offset:428
	buffer_load_dword v206, off, s[0:3], 0 offset:424
	;; [unrolled: 1-line block ×6, first 2 shown]
	v_add_f32_e32 v1, v1, v153
	v_add_f32_e32 v2, v2, v207
	s_clause 0x1
	buffer_load_dword v207, off, s[0:3], 0 offset:452
	buffer_load_dword v214, off, s[0:3], 0 offset:460
	v_add_f32_e32 v1, v1, v152
	v_add_f32_e32 v2, v2, v194
	;; [unrolled: 1-line block ×6, first 2 shown]
	s_clause 0x5
	buffer_load_dword v194, off, s[0:3], 0 offset:468
	buffer_load_dword v196, off, s[0:3], 0 offset:476
	;; [unrolled: 1-line block ×6, first 2 shown]
	v_add_f32_e32 v2, v2, v197
	s_clause 0x3
	buffer_load_dword v197, off, s[0:3], 0 offset:456
	buffer_load_dword v218, off, s[0:3], 0 offset:448
	;; [unrolled: 1-line block ×4, first 2 shown]
	v_add_f32_e32 v1, v1, v161
	v_add_f32_e32 v2, v2, v158
	;; [unrolled: 1-line block ×6, first 2 shown]
	s_clause 0x3
	buffer_load_dword v198, off, s[0:3], 0 offset:488
	buffer_load_dword v221, off, s[0:3], 0 offset:480
	;; [unrolled: 1-line block ×4, first 2 shown]
	v_add_f32_e32 v1, v1, v156
	v_add_f32_e32 v2, v2, v159
	;; [unrolled: 1-line block ×5, first 2 shown]
	s_clause 0x1
	buffer_load_dword v162, off, s[0:3], 0 offset:504
	buffer_load_dword v224, off, s[0:3], 0 offset:496
	v_add_f32_e32 v7, v2, v169
	v_add_f32_e32 v1, v1, v163
	buffer_load_dword v163, off, s[0:3], 0 offset:112
	v_add_f32_e32 v7, v7, v170
	v_add_f32_e32 v1, v1, v146
	;; [unrolled: 1-line block ×4, first 2 shown]
	ds_read2_b64 v[1:4], v9 offset0:103 offset1:104
	v_add_f32_e32 v142, v142, v181
	v_add_f32_e32 v5, v8, v5
	;; [unrolled: 1-line block ×4, first 2 shown]
	ds_read2_b64 v[5:8], v9 offset0:105 offset1:106
	v_add_f32_e32 v146, v146, v189
	v_add_f32_e32 v143, v143, v175
	;; [unrolled: 1-line block ×4, first 2 shown]
	s_waitcnt vmcnt(47) lgkmcnt(1)
	v_mul_f32_e32 v150, v1, v191
	s_waitcnt vmcnt(46)
	v_mul_f32_e32 v154, v3, v192
	v_mul_f32_e32 v144, v2, v191
	;; [unrolled: 1-line block ×3, first 2 shown]
	v_add_f32_e32 v147, v147, v186
	v_fmac_f32_e32 v150, v2, v176
	v_fmac_f32_e32 v154, v4, v174
	v_fma_f32 v151, v1, v176, -v144
	v_fma_f32 v155, v3, v174, -v145
	v_add_f32_e32 v153, v147, v185
	ds_read2_b64 v[1:4], v9 offset0:107 offset1:108
	ds_read2_b64 v[142:145], v9 offset0:109 offset1:110
	s_waitcnt lgkmcnt(2)
	v_mul_f32_e32 v158, v5, v172
	v_mul_f32_e32 v148, v6, v172
	v_add_f32_e32 v12, v153, v12
	v_add_f32_e32 v11, v152, v11
	v_fmac_f32_e32 v158, v6, v165
	v_fma_f32 v160, v5, v165, -v148
	v_add_f32_e32 v10, v12, v10
	v_add_f32_e32 v11, v11, v184
	;; [unrolled: 1-line block ×8, first 2 shown]
	s_waitcnt vmcnt(44)
	v_mul_f32_e32 v159, v7, v149
	v_mul_f32_e32 v149, v8, v149
	s_waitcnt vmcnt(42) lgkmcnt(1)
	v_mul_f32_e32 v165, v1, v166
	v_mul_f32_e32 v152, v2, v166
	s_waitcnt vmcnt(39)
	v_fmac_f32_e32 v159, v8, v180
	v_fma_f32 v161, v7, v180, -v149
	ds_read2_b64 v[5:8], v9 offset0:111 offset1:112
	ds_read2_b64 v[146:149], v9 offset0:113 offset1:114
	s_waitcnt vmcnt(37) lgkmcnt(2)
	v_mul_f32_e32 v167, v142, v179
	v_mul_f32_e32 v156, v143, v179
	;; [unrolled: 1-line block ×3, first 2 shown]
	v_fmac_f32_e32 v165, v2, v164
	v_fma_f32 v164, v1, v164, -v152
	v_fmac_f32_e32 v167, v143, v171
	v_fma_f32 v169, v142, v171, -v156
	v_add_f32_e32 v10, v10, v161
	v_mul_f32_e32 v166, v3, v168
	v_fma_f32 v168, v3, v173, -v153
	s_waitcnt vmcnt(36)
	v_mul_f32_e32 v157, v145, v177
	v_mul_f32_e32 v12, v144, v177
	v_add_f32_e32 v164, v10, v164
	v_fmac_f32_e32 v166, v4, v173
	ds_read2_b64 v[1:4], v9 offset0:115 offset1:116
	ds_read2_b64 v[150:153], v9 offset0:117 offset1:118
	s_waitcnt vmcnt(32)
	v_fma_f32 v170, v144, v208, -v157
	v_fmac_f32_e32 v12, v145, v208
	v_add_f32_e32 v164, v164, v168
	s_waitcnt vmcnt(31) lgkmcnt(3)
	v_mul_f32_e32 v171, v5, v209
	v_mul_f32_e32 v158, v6, v209
	ds_read2_b64 v[142:145], v9 offset0:119 offset1:120
	ds_read2_b64 v[154:157], v9 offset0:121 offset1:122
	s_waitcnt vmcnt(30)
	v_mul_f32_e32 v160, v8, v202
	v_add_f32_e32 v164, v164, v169
	v_fmac_f32_e32 v171, v6, v201
	v_add_f32_e32 v6, v11, v159
	v_fma_f32 v173, v5, v201, -v158
	v_mul_f32_e32 v172, v7, v202
	v_add_f32_e32 v164, v164, v170
	v_fma_f32 v174, v7, v188, -v160
	v_add_f32_e32 v165, v6, v165
	s_waitcnt vmcnt(29) lgkmcnt(4)
	v_mul_f32_e32 v175, v147, v203
	v_fmac_f32_e32 v172, v8, v188
	v_add_f32_e32 v164, v164, v173
	ds_read2_b64 v[5:8], v9 offset0:123 offset1:124
	ds_read2_b64 v[158:161], v9 offset0:125 offset1:126
	ds_read_b64 v[10:11], v9 offset:1016
	v_add_f32_e32 v165, v165, v166
	v_mul_f32_e32 v166, v146, v203
	s_waitcnt vmcnt(28)
	v_mul_f32_e32 v176, v149, v182
	v_fma_f32 v146, v146, v187, -v175
	v_add_f32_e32 v164, v164, v174
	v_add_f32_e32 v165, v165, v167
	v_mul_f32_e32 v168, v148, v182
	v_fmac_f32_e32 v166, v147, v187
	s_waitcnt vmcnt(27) lgkmcnt(6)
	v_mul_f32_e32 v167, v1, v183
	v_mul_f32_e32 v175, v2, v183
	v_add_f32_e32 v12, v165, v12
	s_waitcnt vmcnt(20)
	v_fma_f32 v148, v148, v212, -v176
	v_add_f32_e32 v146, v164, v146
	v_fmac_f32_e32 v168, v149, v212
	v_fmac_f32_e32 v167, v2, v211
	v_add_f32_e32 v12, v12, v171
	v_fma_f32 v1, v1, v211, -v175
	v_add_f32_e32 v2, v146, v148
	v_mul_f32_e32 v169, v3, v204
	s_waitcnt lgkmcnt(5)
	v_mul_f32_e32 v146, v151, v190
	v_add_f32_e32 v12, v12, v172
	v_mul_f32_e32 v172, v4, v204
	v_add_f32_e32 v1, v2, v1
	v_mul_f32_e32 v147, v150, v190
	v_fmac_f32_e32 v169, v4, v210
	v_add_f32_e32 v12, v12, v166
	v_fma_f32 v3, v3, v210, -v172
	v_mul_f32_e32 v4, v153, v205
	v_mul_f32_e32 v165, v152, v205
	v_fmac_f32_e32 v147, v151, v206
	v_add_f32_e32 v12, v12, v168
	v_add_f32_e32 v1, v1, v3
	s_waitcnt vmcnt(19) lgkmcnt(4)
	v_mul_f32_e32 v3, v143, v213
	s_waitcnt vmcnt(7)
	v_fma_f32 v4, v152, v220, -v4
	v_mul_f32_e32 v170, v142, v213
	v_add_f32_e32 v2, v12, v167
	v_fma_f32 v12, v150, v206, -v146
	v_fmac_f32_e32 v165, v153, v220
	v_fma_f32 v3, v142, v219, -v3
	v_mul_f32_e32 v149, v144, v207
	v_add_f32_e32 v2, v2, v169
	v_add_f32_e32 v1, v1, v12
	v_mul_f32_e32 v12, v145, v207
	v_fmac_f32_e32 v170, v143, v219
	s_waitcnt lgkmcnt(3)
	v_mul_f32_e32 v176, v154, v214
	v_add_f32_e32 v2, v2, v147
	v_add_f32_e32 v1, v1, v4
	v_mul_f32_e32 v4, v155, v214
	v_fma_f32 v12, v144, v218, -v12
	v_fmac_f32_e32 v149, v145, v218
	v_add_f32_e32 v2, v2, v165
	v_add_f32_e32 v1, v1, v3
	v_mul_f32_e32 v3, v157, v194
	v_fma_f32 v4, v154, v197, -v4
	v_mul_f32_e32 v171, v156, v194
	v_add_f32_e32 v2, v2, v170
	v_add_f32_e32 v1, v1, v12
	v_fmac_f32_e32 v176, v155, v197
	s_waitcnt lgkmcnt(2)
	v_mul_f32_e32 v12, v6, v196
	s_waitcnt vmcnt(3)
	v_fma_f32 v3, v156, v223, -v3
	v_add_f32_e32 v2, v2, v149
	v_add_f32_e32 v1, v1, v4
	v_mul_f32_e32 v173, v5, v196
	v_fmac_f32_e32 v171, v157, v223
	v_mul_f32_e32 v4, v8, v215
	v_add_f32_e32 v2, v2, v176
	v_fma_f32 v5, v5, v222, -v12
	v_add_f32_e32 v1, v1, v3
	v_mul_f32_e32 v177, v7, v215
	v_fmac_f32_e32 v173, v6, v222
	v_add_f32_e32 v2, v2, v171
	s_waitcnt lgkmcnt(1)
	v_mul_f32_e32 v3, v159, v216
	v_fma_f32 v4, v7, v221, -v4
	v_add_f32_e32 v1, v1, v5
	v_mul_f32_e32 v174, v158, v216
	v_fmac_f32_e32 v177, v8, v221
	v_add_f32_e32 v2, v2, v173
	v_mul_f32_e32 v5, v161, v217
	v_fma_f32 v3, v158, v198, -v3
	v_add_f32_e32 v1, v1, v4
	v_mul_f32_e32 v178, v160, v217
	v_fmac_f32_e32 v174, v159, v198
	v_add_f32_e32 v2, v2, v177
	s_waitcnt lgkmcnt(0)
	v_mul_f32_e32 v4, v11, v195
	s_waitcnt vmcnt(1)
	v_fma_f32 v5, v160, v224, -v5
	v_add_f32_e32 v1, v1, v3
	v_mul_f32_e32 v164, v10, v195
	v_fmac_f32_e32 v178, v161, v224
	v_add_f32_e32 v2, v2, v174
	v_fma_f32 v3, v10, v162, -v4
	v_add_f32_e32 v1, v1, v5
	v_fmac_f32_e32 v164, v11, v162
	v_add_f32_e32 v2, v2, v178
	v_add_f32_e32 v1, v1, v3
	v_add_f32_e32 v2, v2, v164
	s_waitcnt vmcnt(0)
	v_sub_f32_e32 v1, v163, v1
	v_sub_f32_e32 v2, v193, v2
	buffer_store_dword v1, off, s[0:3], 0 offset:112
	buffer_store_dword v2, off, s[0:3], 0 offset:116
	v_cmpx_lt_u32_e32 13, v0
	s_cbranch_execz .LBB63_371
; %bb.370:
	s_clause 0x1
	buffer_load_dword v1, off, s[0:3], 0 offset:104
	buffer_load_dword v2, off, s[0:3], 0 offset:108
	buffer_store_dword v9, off, s[0:3], 0 offset:104
	buffer_store_dword v9, off, s[0:3], 0 offset:108
	s_waitcnt vmcnt(0)
	ds_write_b64 v141, v[1:2]
.LBB63_371:
	s_or_b32 exec_lo, exec_lo, s4
	s_waitcnt lgkmcnt(0)
	s_waitcnt_vscnt null, 0x0
	s_barrier
	buffer_gl0_inv
	s_clause 0x35
	buffer_load_dword v1, off, s[0:3], 0 offset:116
	buffer_load_dword v3, off, s[0:3], 0 offset:124
	;; [unrolled: 1-line block ×54, first 2 shown]
	ds_read_b128 v[186:189], v9 offset:624
	ds_read_b128 v[190:193], v9 offset:640
	;; [unrolled: 1-line block ×4, first 2 shown]
	buffer_load_dword v180, off, s[0:3], 0 offset:108
	s_mov_b32 s4, exec_lo
	s_waitcnt vmcnt(54) lgkmcnt(3)
	v_mul_f32_e32 v202, v186, v1
	v_mul_f32_e32 v1, v187, v1
	s_waitcnt vmcnt(53)
	v_mul_f32_e32 v203, v188, v3
	v_mul_f32_e32 v3, v189, v3
	s_waitcnt vmcnt(52) lgkmcnt(2)
	v_mul_f32_e32 v204, v190, v5
	v_mul_f32_e32 v5, v191, v5
	s_waitcnt vmcnt(49)
	v_fma_f32 v205, v186, v7, -v1
	s_waitcnt vmcnt(48)
	v_mul_f32_e32 v1, v193, v6
	v_fmac_f32_e32 v202, v187, v7
	v_fmac_f32_e32 v203, v189, v4
	v_fma_f32 v207, v188, v4, -v3
	v_fmac_f32_e32 v204, v191, v2
	v_fma_f32 v190, v190, v2, -v5
	s_waitcnt vmcnt(44)
	v_fma_f32 v191, v192, v145, -v1
	ds_read_b128 v[1:4], v9 offset:688
	ds_read_b128 v[186:189], v9 offset:704
	v_mul_f32_e32 v206, v192, v6
	s_waitcnt vmcnt(43) lgkmcnt(3)
	v_mul_f32_e32 v192, v194, v144
	v_mul_f32_e32 v5, v195, v144
	s_waitcnt vmcnt(42)
	v_mul_f32_e32 v6, v197, v143
	s_waitcnt vmcnt(41) lgkmcnt(2)
	v_mul_f32_e32 v208, v198, v12
	v_fmac_f32_e32 v206, v193, v145
	v_mul_f32_e32 v193, v196, v143
	v_fmac_f32_e32 v192, v195, v11
	v_fma_f32 v11, v194, v11, -v5
	s_waitcnt vmcnt(40)
	v_mul_f32_e32 v194, v200, v142
	v_mul_f32_e32 v5, v199, v12
	;; [unrolled: 1-line block ×3, first 2 shown]
	v_fmac_f32_e32 v193, v197, v10
	v_fma_f32 v10, v196, v10, -v6
	v_fmac_f32_e32 v208, v199, v8
	s_waitcnt vmcnt(36)
	v_fmac_f32_e32 v194, v201, v153
	v_fma_f32 v12, v198, v8, -v5
	v_fma_f32 v153, v200, v153, -v7
	ds_read_b128 v[5:8], v9 offset:720
	ds_read_b128 v[142:145], v9 offset:736
	s_waitcnt vmcnt(35) lgkmcnt(3)
	v_mul_f32_e32 v195, v1, v152
	v_mul_f32_e32 v152, v2, v152
	s_waitcnt vmcnt(34)
	v_mul_f32_e32 v196, v3, v151
	v_mul_f32_e32 v151, v4, v151
	s_waitcnt vmcnt(33) lgkmcnt(2)
	v_mul_f32_e32 v197, v186, v149
	v_fmac_f32_e32 v195, v2, v148
	v_fma_f32 v152, v1, v148, -v152
	s_waitcnt vmcnt(32)
	v_mul_f32_e32 v198, v188, v150
	v_mul_f32_e32 v1, v187, v149
	;; [unrolled: 1-line block ×3, first 2 shown]
	v_fmac_f32_e32 v196, v4, v147
	v_fma_f32 v150, v3, v147, -v151
	v_fmac_f32_e32 v197, v187, v146
	s_waitcnt vmcnt(28)
	v_fmac_f32_e32 v198, v189, v160
	v_fma_f32 v151, v186, v146, -v1
	v_fma_f32 v160, v188, v160, -v2
	ds_read_b128 v[1:4], v9 offset:752
	ds_read_b128 v[146:149], v9 offset:768
	s_waitcnt vmcnt(27) lgkmcnt(3)
	v_mul_f32_e32 v186, v5, v159
	v_mul_f32_e32 v159, v6, v159
	s_waitcnt vmcnt(26)
	v_mul_f32_e32 v187, v7, v158
	v_mul_f32_e32 v158, v8, v158
	s_waitcnt vmcnt(25) lgkmcnt(2)
	v_mul_f32_e32 v188, v142, v157
	v_mul_f32_e32 v157, v143, v157
	v_fmac_f32_e32 v186, v6, v156
	v_fma_f32 v156, v5, v156, -v159
	s_waitcnt vmcnt(24)
	v_mul_f32_e32 v159, v144, v161
	v_mul_f32_e32 v5, v145, v161
	v_fmac_f32_e32 v187, v8, v155
	v_fma_f32 v155, v7, v155, -v158
	v_fmac_f32_e32 v188, v143, v154
	v_fma_f32 v154, v142, v154, -v157
	s_waitcnt vmcnt(20)
	v_fmac_f32_e32 v159, v145, v168
	v_fma_f32 v157, v144, v168, -v5
	ds_read_b128 v[5:8], v9 offset:784
	ds_read_b128 v[142:145], v9 offset:800
	s_waitcnt vmcnt(19) lgkmcnt(3)
	v_mul_f32_e32 v161, v2, v167
	v_mul_f32_e32 v158, v1, v167
	s_waitcnt vmcnt(18)
	v_mul_f32_e32 v167, v3, v166
	v_mul_f32_e32 v166, v4, v166
	s_waitcnt vmcnt(17) lgkmcnt(2)
	v_mul_f32_e32 v168, v146, v165
	v_fma_f32 v161, v1, v164, -v161
	s_waitcnt vmcnt(16)
	v_mul_f32_e32 v1, v149, v169
	v_mul_f32_e32 v165, v147, v165
	v_fmac_f32_e32 v158, v2, v164
	v_mul_f32_e32 v164, v148, v169
	v_fmac_f32_e32 v167, v4, v163
	v_fma_f32 v163, v3, v163, -v166
	s_clause 0x4
	buffer_load_dword v166, off, s[0:3], 0 offset:332
	buffer_load_dword v169, off, s[0:3], 0 offset:352
	;; [unrolled: 1-line block ×5, first 2 shown]
	v_fmac_f32_e32 v168, v147, v162
	s_waitcnt vmcnt(17)
	v_fma_f32 v147, v148, v177, -v1
	ds_read_b128 v[1:4], v9 offset:816
	v_fmac_f32_e32 v164, v149, v177
	v_fma_f32 v146, v146, v162, -v165
	s_waitcnt vmcnt(16) lgkmcnt(2)
	v_mul_f32_e32 v148, v5, v175
	v_mul_f32_e32 v149, v6, v175
	s_waitcnt vmcnt(15)
	v_mul_f32_e32 v162, v7, v174
	v_mul_f32_e32 v165, v8, v174
	buffer_load_dword v174, off, s[0:3], 0 offset:348
	v_fmac_f32_e32 v148, v6, v173
	v_fma_f32 v149, v5, v173, -v149
	buffer_load_dword v173, off, s[0:3], 0 offset:340
	v_fmac_f32_e32 v162, v8, v171
	v_fma_f32 v165, v7, v171, -v165
	s_waitcnt vmcnt(16) lgkmcnt(1)
	v_mul_f32_e32 v171, v142, v172
	v_mul_f32_e32 v5, v143, v172
	s_waitcnt vmcnt(15)
	v_mul_f32_e32 v6, v145, v176
	v_mul_f32_e32 v172, v144, v176
	v_fmac_f32_e32 v171, v143, v170
	v_fma_f32 v170, v142, v170, -v5
	s_waitcnt vmcnt(10)
	v_fma_f32 v175, v144, v185, -v6
	ds_read_b128 v[5:8], v9 offset:832
	s_waitcnt vmcnt(9) lgkmcnt(1)
	v_mul_f32_e32 v176, v1, v184
	v_mul_f32_e32 v142, v2, v184
	s_waitcnt vmcnt(8)
	v_mul_f32_e32 v201, v3, v183
	v_fmac_f32_e32 v172, v145, v185
	s_clause 0x2
	buffer_load_dword v177, off, s[0:3], 0 offset:356
	buffer_load_dword v184, off, s[0:3], 0 offset:364
	;; [unrolled: 1-line block ×3, first 2 shown]
	v_fmac_f32_e32 v176, v2, v182
	v_fma_f32 v182, v1, v182, -v142
	v_mul_f32_e32 v1, v4, v183
	v_fmac_f32_e32 v201, v4, v181
	v_add_f32_e32 v2, 0, v205
	s_clause 0x3
	buffer_load_dword v183, off, s[0:3], 0 offset:384
	buffer_load_dword v209, off, s[0:3], 0 offset:376
	;; [unrolled: 1-line block ×4, first 2 shown]
	v_fma_f32 v181, v3, v181, -v1
	v_add_f32_e32 v1, 0, v202
	v_add_f32_e32 v2, v2, v207
	buffer_load_dword v202, off, s[0:3], 0 offset:380
	v_add_f32_e32 v1, v1, v203
	v_add_f32_e32 v2, v2, v190
	s_waitcnt lgkmcnt(0)
	v_mul_f32_e32 v3, v6, v179
	v_add_f32_e32 v1, v1, v204
	s_clause 0x1
	buffer_load_dword v203, off, s[0:3], 0 offset:388
	buffer_load_dword v204, off, s[0:3], 0 offset:396
	v_add_f32_e32 v2, v2, v191
	v_add_f32_e32 v1, v1, v206
	;; [unrolled: 1-line block ×3, first 2 shown]
	v_fma_f32 v11, v5, v178, -v3
	v_add_f32_e32 v1, v1, v192
	s_clause 0x5
	buffer_load_dword v190, off, s[0:3], 0 offset:416
	buffer_load_dword v191, off, s[0:3], 0 offset:408
	;; [unrolled: 1-line block ×6, first 2 shown]
	v_add_f32_e32 v2, v2, v10
	v_add_f32_e32 v1, v1, v193
	buffer_load_dword v193, off, s[0:3], 0 offset:404
	v_mul_f32_e32 v10, v5, v179
	v_add_f32_e32 v2, v2, v12
	v_add_f32_e32 v1, v1, v208
	v_fmac_f32_e32 v10, v6, v178
	v_add_f32_e32 v2, v2, v153
	v_add_f32_e32 v1, v1, v194
	s_clause 0x2
	buffer_load_dword v194, off, s[0:3], 0 offset:428
	buffer_load_dword v208, off, s[0:3], 0 offset:436
	buffer_load_dword v212, off, s[0:3], 0 offset:444
	v_add_f32_e32 v2, v2, v152
	v_add_f32_e32 v1, v1, v195
	s_clause 0x2
	buffer_load_dword v195, off, s[0:3], 0 offset:452
	buffer_load_dword v213, off, s[0:3], 0 offset:460
	buffer_load_dword v214, off, s[0:3], 0 offset:468
	;; [unrolled: 6-line block ×3, first 2 shown]
	buffer_load_dword v217, off, s[0:3], 0 offset:508
	v_add_f32_e32 v2, v2, v151
	v_add_f32_e32 v1, v1, v197
	buffer_load_dword v197, off, s[0:3], 0 offset:500
	v_add_f32_e32 v2, v2, v160
	v_add_f32_e32 v1, v1, v198
	;; [unrolled: 1-line block ×4, first 2 shown]
	s_clause 0x3
	buffer_load_dword v186, off, s[0:3], 0 offset:448
	buffer_load_dword v198, off, s[0:3], 0 offset:440
	;; [unrolled: 1-line block ×4, first 2 shown]
	v_add_f32_e32 v2, v2, v155
	v_add_f32_e32 v1, v1, v187
	;; [unrolled: 1-line block ×4, first 2 shown]
	s_clause 0x7
	buffer_load_dword v187, off, s[0:3], 0 offset:480
	buffer_load_dword v188, off, s[0:3], 0 offset:472
	;; [unrolled: 1-line block ×8, first 2 shown]
	v_add_f32_e32 v2, v2, v157
	v_add_f32_e32 v1, v1, v159
	;; [unrolled: 1-line block ×8, first 2 shown]
	ds_read_b128 v[1:4], v9 offset:848
	v_add_f32_e32 v12, v5, v147
	v_add_f32_e32 v142, v6, v164
	;; [unrolled: 1-line block ×4, first 2 shown]
	ds_read_b128 v[142:145], v9 offset:880
	v_add_f32_e32 v12, v12, v165
	v_add_f32_e32 v146, v146, v162
	;; [unrolled: 1-line block ×3, first 2 shown]
	s_waitcnt vmcnt(46)
	v_mul_f32_e32 v158, v7, v166
	v_mul_f32_e32 v5, v8, v166
	s_waitcnt vmcnt(42)
	v_fmac_f32_e32 v158, v8, v200
	v_fma_f32 v159, v7, v200, -v5
	ds_read_b128 v[5:8], v9 offset:864
	s_waitcnt vmcnt(41) lgkmcnt(2)
	v_mul_f32_e32 v150, v4, v174
	s_waitcnt vmcnt(40)
	v_mul_f32_e32 v147, v2, v173
	v_mul_f32_e32 v160, v1, v173
	v_fma_f32 v165, v3, v189, -v150
	v_fma_f32 v161, v1, v199, -v147
	v_add_f32_e32 v1, v146, v171
	v_fmac_f32_e32 v160, v2, v199
	v_add_f32_e32 v2, v12, v175
	ds_read_b128 v[146:149], v9 offset:896
	v_mul_f32_e32 v12, v3, v174
	v_add_f32_e32 v1, v1, v172
	v_add_f32_e32 v2, v2, v182
	s_waitcnt vmcnt(39) lgkmcnt(1)
	v_mul_f32_e32 v151, v6, v177
	v_mul_f32_e32 v162, v5, v177
	v_add_f32_e32 v1, v1, v176
	s_waitcnt vmcnt(37)
	v_mul_f32_e32 v164, v142, v185
	v_fmac_f32_e32 v12, v4, v189
	v_fma_f32 v166, v5, v169, -v151
	v_add_f32_e32 v5, v2, v181
	v_fmac_f32_e32 v162, v6, v169
	v_add_f32_e32 v6, v1, v201
	v_mul_f32_e32 v154, v8, v184
	v_mul_f32_e32 v155, v143, v185
	v_add_f32_e32 v11, v5, v11
	s_waitcnt vmcnt(34)
	v_fmac_f32_e32 v164, v143, v210
	v_add_f32_e32 v10, v6, v10
	v_mul_f32_e32 v163, v7, v184
	s_waitcnt vmcnt(33)
	v_fma_f32 v167, v7, v211, -v154
	v_add_f32_e32 v11, v11, v159
	ds_read_b128 v[1:4], v9 offset:912
	ds_read_b128 v[150:153], v9 offset:928
	v_add_f32_e32 v10, v10, v158
	v_fmac_f32_e32 v163, v8, v211
	v_fma_f32 v168, v142, v210, -v155
	s_waitcnt vmcnt(31) lgkmcnt(2)
	v_mul_f32_e32 v170, v146, v203
	v_add_f32_e32 v11, v11, v161
	s_waitcnt vmcnt(30)
	v_mul_f32_e32 v171, v148, v204
	v_add_f32_e32 v10, v10, v160
	v_mul_f32_e32 v143, v147, v203
	v_fmac_f32_e32 v170, v147, v183
	v_add_f32_e32 v147, v11, v165
	v_mul_f32_e32 v172, v149, v204
	v_mul_f32_e32 v142, v145, v202
	;; [unrolled: 1-line block ×3, first 2 shown]
	v_fma_f32 v146, v146, v183, -v143
	s_waitcnt vmcnt(26)
	v_fmac_f32_e32 v171, v149, v205
	v_add_f32_e32 v149, v10, v12
	v_add_f32_e32 v147, v147, v166
	v_fma_f32 v173, v144, v209, -v142
	v_fmac_f32_e32 v169, v145, v209
	v_fma_f32 v148, v148, v205, -v172
	v_add_f32_e32 v149, v149, v162
	v_add_f32_e32 v147, v147, v167
	s_waitcnt vmcnt(23) lgkmcnt(1)
	v_mul_f32_e32 v166, v2, v193
	ds_read_b128 v[5:8], v9 offset:944
	ds_read_b128 v[154:157], v9 offset:960
	v_mul_f32_e32 v165, v1, v193
	v_add_f32_e32 v149, v149, v163
	v_add_f32_e32 v147, v147, v168
	v_mul_f32_e32 v172, v4, v206
	v_fma_f32 v1, v1, v192, -v166
	v_mul_f32_e32 v162, v3, v206
	v_add_f32_e32 v149, v149, v164
	v_add_f32_e32 v147, v147, v173
	v_fmac_f32_e32 v165, v2, v192
	v_fma_f32 v3, v3, v191, -v172
	s_waitcnt lgkmcnt(2)
	v_mul_f32_e32 v167, v150, v207
	v_add_f32_e32 v149, v149, v169
	v_add_f32_e32 v146, v147, v146
	v_fmac_f32_e32 v162, v4, v191
	s_waitcnt vmcnt(22)
	v_mul_f32_e32 v163, v152, v194
	v_fmac_f32_e32 v167, v151, v190
	v_add_f32_e32 v149, v149, v170
	v_add_f32_e32 v146, v146, v148
	ds_read_b128 v[142:145], v9 offset:976
	ds_read_b128 v[158:161], v9 offset:992
	s_waitcnt vmcnt(21) lgkmcnt(3)
	v_mul_f32_e32 v174, v5, v208
	s_waitcnt vmcnt(20)
	v_mul_f32_e32 v168, v7, v212
	v_add_f32_e32 v148, v149, v171
	v_mul_f32_e32 v149, v151, v207
	v_add_f32_e32 v1, v146, v1
	v_mul_f32_e32 v146, v153, v194
	s_waitcnt vmcnt(19) lgkmcnt(2)
	v_mul_f32_e32 v164, v154, v195
	v_add_f32_e32 v4, v148, v165
	v_fma_f32 v148, v150, v190, -v149
	v_add_f32_e32 v1, v1, v3
	s_waitcnt vmcnt(9)
	v_fmac_f32_e32 v174, v6, v218
	s_waitcnt vmcnt(8)
	v_fma_f32 v146, v152, v219, -v146
	v_add_f32_e32 v3, v4, v162
	v_mul_f32_e32 v4, v6, v208
	v_add_f32_e32 v1, v1, v148
	v_fmac_f32_e32 v163, v153, v219
	v_mul_f32_e32 v148, v8, v212
	v_add_f32_e32 v3, v3, v167
	v_fma_f32 v4, v5, v218, -v4
	v_add_f32_e32 v1, v1, v146
	v_mul_f32_e32 v5, v155, v195
	v_fma_f32 v6, v7, v198, -v148
	v_add_f32_e32 v3, v3, v163
	v_fmac_f32_e32 v168, v8, v198
	v_add_f32_e32 v1, v1, v4
	v_mul_f32_e32 v4, v157, v213
	v_fma_f32 v5, v154, v186, -v5
	v_add_f32_e32 v3, v3, v174
	v_mul_f32_e32 v175, v156, v213
	v_add_f32_e32 v1, v1, v6
	v_fmac_f32_e32 v164, v155, v186
	ds_read_b128 v[9:12], v9 offset:1008
	v_add_f32_e32 v3, v3, v168
	s_waitcnt lgkmcnt(2)
	v_mul_f32_e32 v6, v143, v214
	s_waitcnt vmcnt(4)
	v_fma_f32 v4, v156, v221, -v4
	v_add_f32_e32 v1, v1, v5
	v_mul_f32_e32 v173, v142, v214
	v_fmac_f32_e32 v175, v157, v221
	v_add_f32_e32 v3, v3, v164
	v_mul_f32_e32 v5, v145, v196
	v_fma_f32 v6, v142, v220, -v6
	v_add_f32_e32 v1, v1, v4
	v_mul_f32_e32 v169, v144, v196
	v_fmac_f32_e32 v173, v143, v220
	v_add_f32_e32 v3, v3, v175
	s_waitcnt lgkmcnt(1)
	v_mul_f32_e32 v4, v159, v215
	v_fma_f32 v5, v144, v188, -v5
	v_add_f32_e32 v1, v1, v6
	v_mul_f32_e32 v176, v158, v215
	v_fmac_f32_e32 v169, v145, v188
	v_add_f32_e32 v3, v3, v173
	v_mul_f32_e32 v6, v161, v216
	v_fma_f32 v4, v158, v187, -v4
	v_add_f32_e32 v1, v1, v5
	v_mul_f32_e32 v147, v160, v216
	v_fmac_f32_e32 v176, v159, v187
	v_add_f32_e32 v3, v3, v169
	s_waitcnt lgkmcnt(0)
	v_mul_f32_e32 v5, v10, v197
	s_waitcnt vmcnt(1)
	v_fma_f32 v6, v160, v224, -v6
	v_add_f32_e32 v1, v1, v4
	v_mul_f32_e32 v170, v9, v197
	v_fmac_f32_e32 v147, v161, v224
	v_add_f32_e32 v3, v3, v176
	v_mul_f32_e32 v4, v12, v217
	v_fma_f32 v5, v9, v223, -v5
	v_add_f32_e32 v1, v1, v6
	v_mul_f32_e32 v2, v11, v217
	v_fmac_f32_e32 v170, v10, v223
	v_add_f32_e32 v3, v3, v147
	v_fma_f32 v4, v11, v222, -v4
	v_add_f32_e32 v1, v1, v5
	v_fmac_f32_e32 v2, v12, v222
	v_add_f32_e32 v3, v3, v170
	v_add_f32_e32 v1, v1, v4
	;; [unrolled: 1-line block ×3, first 2 shown]
	s_waitcnt vmcnt(0)
	v_sub_f32_e32 v1, v225, v1
	v_sub_f32_e32 v2, v180, v2
	buffer_store_dword v1, off, s[0:3], 0 offset:104
	buffer_store_dword v2, off, s[0:3], 0 offset:108
	v_cmpx_lt_u32_e32 12, v0
	s_cbranch_execz .LBB63_373
; %bb.372:
	s_clause 0x1
	buffer_load_dword v1, off, s[0:3], 0 offset:96
	buffer_load_dword v2, off, s[0:3], 0 offset:100
	v_mov_b32_e32 v3, 0
	buffer_store_dword v3, off, s[0:3], 0 offset:96
	buffer_store_dword v3, off, s[0:3], 0 offset:100
	s_waitcnt vmcnt(0)
	ds_write_b64 v141, v[1:2]
.LBB63_373:
	s_or_b32 exec_lo, exec_lo, s4
	s_waitcnt lgkmcnt(0)
	s_waitcnt_vscnt null, 0x0
	s_barrier
	buffer_gl0_inv
	s_clause 0x34
	buffer_load_dword v2, off, s[0:3], 0 offset:108
	buffer_load_dword v3, off, s[0:3], 0 offset:116
	;; [unrolled: 1-line block ×53, first 2 shown]
	v_mov_b32_e32 v1, 0
	ds_read2_b64 v[180:183], v1 offset0:77 offset1:78
	ds_read2_b64 v[184:187], v1 offset0:79 offset1:80
	s_clause 0x1
	buffer_load_dword v179, off, s[0:3], 0 offset:316
	buffer_load_dword v201, off, s[0:3], 0 offset:100
	ds_read2_b64 v[188:191], v1 offset0:81 offset1:82
	ds_read2_b64 v[192:195], v1 offset0:83 offset1:84
	s_mov_b32 s4, exec_lo
	s_waitcnt vmcnt(54) lgkmcnt(3)
	v_mul_f32_e32 v202, v180, v2
	v_mul_f32_e32 v2, v181, v2
	s_waitcnt vmcnt(53)
	v_mul_f32_e32 v203, v182, v3
	v_mul_f32_e32 v3, v183, v3
	s_waitcnt vmcnt(52) lgkmcnt(2)
	v_mul_f32_e32 v204, v184, v5
	v_mul_f32_e32 v5, v185, v5
	s_waitcnt vmcnt(49)
	v_fmac_f32_e32 v202, v181, v163
	v_fma_f32 v2, v180, v163, -v2
	s_waitcnt vmcnt(48)
	v_mul_f32_e32 v163, v186, v161
	v_mul_f32_e32 v161, v187, v161
	v_fmac_f32_e32 v203, v183, v158
	v_fma_f32 v3, v182, v158, -v3
	v_fmac_f32_e32 v204, v185, v153
	v_fma_f32 v5, v184, v153, -v5
	s_waitcnt vmcnt(44)
	v_fmac_f32_e32 v163, v187, v177
	v_fma_f32 v177, v186, v177, -v161
	ds_read2_b64 v[180:183], v1 offset0:85 offset1:86
	ds_read2_b64 v[184:187], v1 offset0:87 offset1:88
	s_waitcnt vmcnt(43) lgkmcnt(3)
	v_mul_f32_e32 v205, v188, v175
	v_mul_f32_e32 v153, v189, v175
	s_waitcnt vmcnt(41) lgkmcnt(2)
	v_mul_f32_e32 v207, v192, v173
	v_mul_f32_e32 v206, v190, v174
	;; [unrolled: 1-line block ×3, first 2 shown]
	v_fmac_f32_e32 v205, v189, v164
	v_fma_f32 v164, v188, v164, -v153
	s_waitcnt vmcnt(40)
	v_mul_f32_e32 v153, v195, v168
	v_mul_f32_e32 v208, v194, v168
	;; [unrolled: 1-line block ×3, first 2 shown]
	v_fmac_f32_e32 v207, v193, v154
	v_fmac_f32_e32 v206, v191, v159
	s_waitcnt vmcnt(36)
	v_fma_f32 v193, v194, v176, -v153
	v_fma_f32 v209, v190, v159, -v158
	v_fmac_f32_e32 v208, v195, v176
	ds_read2_b64 v[173:176], v1 offset0:89 offset1:90
	ds_read2_b64 v[188:191], v1 offset0:91 offset1:92
	v_fma_f32 v192, v192, v154, -v161
	v_add_f32_e32 v2, 0, v2
	s_waitcnt vmcnt(35) lgkmcnt(3)
	v_mul_f32_e32 v194, v180, v172
	v_mul_f32_e32 v153, v181, v172
	s_waitcnt vmcnt(34)
	v_mul_f32_e32 v172, v182, v170
	v_mul_f32_e32 v154, v183, v170
	s_waitcnt vmcnt(33) lgkmcnt(2)
	v_mul_f32_e32 v158, v185, v169
	v_fmac_f32_e32 v194, v181, v160
	v_fma_f32 v180, v180, v160, -v153
	s_waitcnt vmcnt(32)
	v_mul_f32_e32 v181, v186, v165
	v_mul_f32_e32 v153, v187, v165
	v_mul_f32_e32 v195, v184, v169
	v_fmac_f32_e32 v172, v183, v155
	v_fma_f32 v165, v182, v155, -v154
	v_fma_f32 v182, v184, v149, -v158
	s_waitcnt vmcnt(28)
	v_fmac_f32_e32 v181, v187, v171
	v_fma_f32 v183, v186, v171, -v153
	ds_read2_b64 v[158:161], v1 offset0:93 offset1:94
	ds_read2_b64 v[168:171], v1 offset0:95 offset1:96
	v_fmac_f32_e32 v195, v185, v149
	s_waitcnt vmcnt(27) lgkmcnt(3)
	v_mul_f32_e32 v184, v173, v167
	v_mul_f32_e32 v149, v174, v167
	s_waitcnt vmcnt(26)
	v_mul_f32_e32 v167, v175, v166
	v_mul_f32_e32 v153, v176, v166
	s_waitcnt vmcnt(25) lgkmcnt(2)
	v_mul_f32_e32 v166, v188, v162
	v_mul_f32_e32 v154, v189, v162
	v_fmac_f32_e32 v184, v174, v156
	v_fma_f32 v156, v173, v156, -v149
	v_fmac_f32_e32 v167, v176, v151
	v_fma_f32 v162, v175, v151, -v153
	s_clause 0x4
	buffer_load_dword v173, off, s[0:3], 0 offset:324
	buffer_load_dword v174, off, s[0:3], 0 offset:344
	;; [unrolled: 1-line block ×5, first 2 shown]
	s_waitcnt vmcnt(29)
	v_mul_f32_e32 v186, v190, v150
	v_mul_f32_e32 v149, v191, v150
	v_fmac_f32_e32 v166, v189, v11
	v_fma_f32 v187, v188, v11, -v154
	v_add_f32_e32 v2, v2, v3
	s_waitcnt vmcnt(24)
	v_fmac_f32_e32 v186, v191, v157
	s_waitcnt lgkmcnt(1)
	v_mul_f32_e32 v188, v158, v148
	v_mul_f32_e32 v11, v159, v148
	v_fma_f32 v157, v190, v157, -v149
	ds_read2_b64 v[148:151], v1 offset0:97 offset1:98
	s_waitcnt vmcnt(23)
	v_mul_f32_e32 v189, v160, v152
	v_fmac_f32_e32 v188, v159, v147
	v_fma_f32 v147, v158, v147, -v11
	buffer_load_dword v158, off, s[0:3], 0 offset:332
	v_mul_f32_e32 v152, v161, v152
	v_fmac_f32_e32 v189, v161, v143
	s_waitcnt vmcnt(23) lgkmcnt(1)
	v_mul_f32_e32 v159, v168, v145
	v_mul_f32_e32 v11, v169, v145
	s_waitcnt vmcnt(22)
	v_mul_f32_e32 v145, v170, v142
	v_fma_f32 v143, v160, v143, -v152
	s_clause 0x1
	buffer_load_dword v160, off, s[0:3], 0 offset:340
	buffer_load_dword v161, off, s[0:3], 0 offset:348
	v_mul_f32_e32 v142, v171, v142
	v_fmac_f32_e32 v159, v169, v9
	v_fma_f32 v168, v168, v9, -v11
	s_clause 0x1
	buffer_load_dword v169, off, s[0:3], 0 offset:356
	buffer_load_dword v190, off, s[0:3], 0 offset:364
	ds_read2_b64 v[152:155], v1 offset0:99 offset1:100
	v_add_f32_e32 v11, 0, v202
	s_waitcnt vmcnt(22)
	v_fmac_f32_e32 v145, v171, v146
	v_fma_f32 v142, v170, v146, -v142
	s_waitcnt vmcnt(21) lgkmcnt(1)
	v_mul_f32_e32 v9, v149, v144
	s_waitcnt vmcnt(20)
	v_mul_f32_e32 v3, v151, v12
	v_mul_f32_e32 v146, v148, v144
	;; [unrolled: 1-line block ×3, first 2 shown]
	v_add_f32_e32 v2, v2, v5
	v_fma_f32 v12, v148, v10, -v9
	v_fma_f32 v148, v150, v8, -v3
	v_add_f32_e32 v3, v11, v203
	s_clause 0x3
	buffer_load_dword v170, off, s[0:3], 0 offset:376
	buffer_load_dword v171, off, s[0:3], 0 offset:368
	;; [unrolled: 1-line block ×4, first 2 shown]
	v_add_f32_e32 v2, v2, v177
	v_fmac_f32_e32 v146, v149, v10
	v_fmac_f32_e32 v144, v151, v8
	v_add_f32_e32 v3, v3, v204
	s_clause 0x2
	buffer_load_dword v177, off, s[0:3], 0 offset:372
	buffer_load_dword v203, off, s[0:3], 0 offset:380
	;; [unrolled: 1-line block ×3, first 2 shown]
	v_add_f32_e32 v2, v2, v164
	ds_read2_b64 v[8:11], v1 offset0:101 offset1:102
	s_waitcnt vmcnt(26) lgkmcnt(1)
	v_mul_f32_e32 v5, v153, v7
	v_add_f32_e32 v3, v3, v163
	s_waitcnt vmcnt(25)
	v_mul_f32_e32 v150, v154, v6
	v_mul_f32_e32 v6, v155, v6
	v_add_f32_e32 v2, v2, v209
	v_mul_f32_e32 v149, v152, v7
	v_add_f32_e32 v3, v3, v205
	v_fma_f32 v151, v152, v4, -v5
	s_waitcnt vmcnt(21)
	v_fma_f32 v152, v154, v198, -v6
	v_add_f32_e32 v6, v2, v192
	v_fmac_f32_e32 v150, v155, v198
	v_add_f32_e32 v3, v3, v206
	s_clause 0x4
	buffer_load_dword v163, off, s[0:3], 0 offset:408
	buffer_load_dword v164, off, s[0:3], 0 offset:400
	;; [unrolled: 1-line block ×5, first 2 shown]
	v_fmac_f32_e32 v149, v153, v4
	v_add_f32_e32 v6, v6, v193
	v_add_f32_e32 v7, v3, v207
	ds_read2_b64 v[2:5], v1 offset0:103 offset1:104
	v_add_f32_e32 v6, v6, v180
	s_waitcnt vmcnt(25) lgkmcnt(1)
	v_mul_f32_e32 v153, v8, v199
	v_add_f32_e32 v7, v7, v208
	v_mul_f32_e32 v154, v9, v199
	s_clause 0x1
	buffer_load_dword v193, off, s[0:3], 0 offset:404
	buffer_load_dword v199, off, s[0:3], 0 offset:412
	v_add_f32_e32 v6, v6, v165
	buffer_load_dword v180, off, s[0:3], 0 offset:420
	v_add_f32_e32 v7, v7, v194
	v_fma_f32 v154, v8, v197, -v154
	s_waitcnt vmcnt(27)
	v_mul_f32_e32 v155, v10, v200
	v_add_f32_e32 v6, v6, v182
	v_mul_f32_e32 v8, v11, v200
	v_add_f32_e32 v7, v7, v172
	v_fmac_f32_e32 v153, v9, v197
	s_clause 0x1
	buffer_load_dword v165, off, s[0:3], 0 offset:428
	buffer_load_dword v194, off, s[0:3], 0 offset:436
	v_add_f32_e32 v6, v6, v183
	buffer_load_dword v172, off, s[0:3], 0 offset:444
	v_add_f32_e32 v7, v7, v195
	v_fmac_f32_e32 v155, v11, v196
	v_fma_f32 v10, v10, v196, -v8
	v_add_f32_e32 v6, v6, v156
	s_clause 0x1
	buffer_load_dword v182, off, s[0:3], 0 offset:452
	buffer_load_dword v196, off, s[0:3], 0 offset:460
	v_add_f32_e32 v7, v7, v181
	s_clause 0x5
	buffer_load_dword v183, off, s[0:3], 0 offset:468
	buffer_load_dword v195, off, s[0:3], 0 offset:476
	;; [unrolled: 1-line block ×6, first 2 shown]
	v_add_f32_e32 v6, v6, v162
	s_waitcnt vmcnt(37) lgkmcnt(0)
	v_mul_f32_e32 v11, v2, v179
	v_add_f32_e32 v7, v7, v184
	s_clause 0x3
	buffer_load_dword v162, off, s[0:3], 0 offset:440
	buffer_load_dword v184, off, s[0:3], 0 offset:432
	;; [unrolled: 1-line block ×4, first 2 shown]
	v_mul_f32_e32 v8, v3, v179
	v_add_f32_e32 v6, v6, v187
	v_fmac_f32_e32 v11, v3, v178
	v_add_f32_e32 v7, v7, v167
	v_fma_f32 v156, v2, v178, -v8
	v_add_f32_e32 v6, v6, v157
	v_add_f32_e32 v7, v7, v166
	s_clause 0x3
	buffer_load_dword v166, off, s[0:3], 0 offset:472
	buffer_load_dword v167, off, s[0:3], 0 offset:464
	;; [unrolled: 1-line block ×4, first 2 shown]
	v_add_f32_e32 v6, v6, v147
	v_add_f32_e32 v7, v7, v186
	;; [unrolled: 1-line block ×4, first 2 shown]
	s_clause 0x3
	buffer_load_dword v186, off, s[0:3], 0 offset:504
	buffer_load_dword v188, off, s[0:3], 0 offset:496
	;; [unrolled: 1-line block ×4, first 2 shown]
	v_add_f32_e32 v6, v6, v168
	v_add_f32_e32 v7, v7, v189
	buffer_load_dword v189, off, s[0:3], 0 offset:96
	v_add_f32_e32 v2, v6, v142
	v_add_f32_e32 v7, v7, v159
	;; [unrolled: 1-line block ×4, first 2 shown]
	ds_read2_b64 v[6:9], v1 offset0:105 offset1:106
	v_add_f32_e32 v12, v12, v148
	v_add_f32_e32 v142, v3, v146
	;; [unrolled: 1-line block ×4, first 2 shown]
	ds_read2_b64 v[142:145], v1 offset0:109 offset1:110
	v_add_f32_e32 v12, v12, v152
	v_add_f32_e32 v146, v146, v149
	s_waitcnt vmcnt(48)
	v_mul_f32_e32 v157, v4, v173
	v_mul_f32_e32 v2, v5, v173
	s_waitcnt vmcnt(44)
	v_fmac_f32_e32 v157, v5, v185
	v_fma_f32 v159, v4, v185, -v2
	ds_read2_b64 v[2:5], v1 offset0:107 offset1:108
	s_waitcnt vmcnt(43) lgkmcnt(2)
	v_mul_f32_e32 v147, v7, v158
	v_mul_f32_e32 v168, v6, v158
	v_fma_f32 v158, v6, v176, -v147
	v_add_f32_e32 v6, v146, v150
	v_fmac_f32_e32 v168, v7, v176
	v_add_f32_e32 v7, v12, v154
	s_waitcnt vmcnt(41) lgkmcnt(0)
	v_mul_f32_e32 v151, v3, v161
	v_mul_f32_e32 v173, v2, v161
	v_add_f32_e32 v6, v6, v153
	ds_read2_b64 v[146:149], v1 offset0:111 offset1:112
	v_add_f32_e32 v7, v7, v10
	s_waitcnt vmcnt(40)
	v_mul_f32_e32 v10, v5, v169
	v_fma_f32 v161, v2, v174, -v151
	v_add_f32_e32 v6, v6, v155
	v_mul_f32_e32 v12, v8, v160
	v_add_f32_e32 v2, v7, v156
	v_mul_f32_e32 v150, v9, v160
	v_fmac_f32_e32 v173, v3, v174
	v_add_f32_e32 v3, v6, v11
	s_waitcnt vmcnt(39)
	v_mul_f32_e32 v11, v143, v190
	v_fmac_f32_e32 v12, v9, v175
	s_waitcnt vmcnt(35)
	v_fma_f32 v174, v4, v202, -v10
	v_add_f32_e32 v10, v2, v159
	v_fma_f32 v160, v8, v175, -v150
	v_fma_f32 v175, v142, v191, -v11
	v_add_f32_e32 v11, v3, v157
	v_mul_f32_e32 v176, v4, v169
	v_add_f32_e32 v10, v10, v158
	v_mul_f32_e32 v169, v142, v190
	ds_read2_b64 v[6:9], v1 offset0:113 offset1:114
	ds_read2_b64 v[150:153], v1 offset0:115 offset1:116
	v_add_f32_e32 v11, v11, v168
	v_fmac_f32_e32 v176, v5, v202
	v_add_f32_e32 v10, v10, v160
	s_waitcnt vmcnt(34)
	v_mul_f32_e32 v178, v144, v177
	v_mul_f32_e32 v142, v145, v177
	v_add_f32_e32 v11, v11, v12
	v_fmac_f32_e32 v169, v143, v191
	v_add_f32_e32 v12, v10, v161
	s_waitcnt vmcnt(33) lgkmcnt(2)
	v_mul_f32_e32 v168, v146, v203
	v_mul_f32_e32 v143, v147, v203
	v_add_f32_e32 v173, v11, v173
	v_fmac_f32_e32 v178, v145, v171
	v_add_f32_e32 v12, v12, v174
	v_fma_f32 v171, v144, v171, -v142
	s_waitcnt vmcnt(32)
	v_mul_f32_e32 v179, v149, v204
	v_add_f32_e32 v173, v173, v176
	v_fmac_f32_e32 v168, v147, v170
	v_add_f32_e32 v12, v12, v175
	v_fma_f32 v170, v146, v170, -v143
	v_mul_f32_e32 v177, v148, v204
	v_add_f32_e32 v169, v173, v169
	s_waitcnt vmcnt(28)
	v_fma_f32 v179, v148, v198, -v179
	v_add_f32_e32 v12, v12, v171
	s_waitcnt vmcnt(27) lgkmcnt(1)
	v_mul_f32_e32 v185, v7, v205
	ds_read2_b64 v[2:5], v1 offset0:117 offset1:118
	ds_read2_b64 v[154:157], v1 offset0:119 offset1:120
	v_add_f32_e32 v169, v169, v178
	v_fmac_f32_e32 v177, v149, v198
	v_add_f32_e32 v12, v12, v170
	v_mul_f32_e32 v174, v6, v205
	s_waitcnt vmcnt(26)
	v_mul_f32_e32 v190, v9, v193
	v_add_f32_e32 v168, v169, v168
	v_fma_f32 v6, v6, v192, -v185
	v_add_f32_e32 v12, v12, v179
	v_mul_f32_e32 v176, v8, v193
	v_fmac_f32_e32 v174, v7, v192
	v_add_f32_e32 v168, v168, v177
	s_waitcnt vmcnt(25) lgkmcnt(2)
	v_mul_f32_e32 v185, v151, v199
	v_fma_f32 v8, v8, v164, -v190
	v_add_f32_e32 v6, v12, v6
	v_mul_f32_e32 v175, v150, v199
	v_fmac_f32_e32 v176, v9, v164
	v_add_f32_e32 v12, v168, v174
	s_waitcnt vmcnt(24)
	v_mul_f32_e32 v177, v153, v180
	v_fma_f32 v150, v150, v163, -v185
	v_add_f32_e32 v6, v6, v8
	v_mul_f32_e32 v173, v152, v180
	v_fmac_f32_e32 v175, v151, v163
	v_add_f32_e32 v8, v12, v176
	s_waitcnt vmcnt(23) lgkmcnt(1)
	v_mul_f32_e32 v7, v2, v165
	v_mul_f32_e32 v12, v3, v165
	s_waitcnt vmcnt(9)
	v_fma_f32 v151, v152, v208, -v177
	v_add_f32_e32 v6, v6, v150
	ds_read2_b64 v[142:145], v1 offset0:121 offset1:122
	ds_read2_b64 v[158:161], v1 offset0:123 offset1:124
	v_fmac_f32_e32 v173, v153, v208
	v_add_f32_e32 v8, v8, v175
	v_mul_f32_e32 v150, v5, v194
	v_fmac_f32_e32 v7, v3, v207
	v_fma_f32 v2, v2, v207, -v12
	v_add_f32_e32 v3, v6, v151
	v_mul_f32_e32 v171, v4, v194
	v_add_f32_e32 v6, v8, v173
	s_waitcnt lgkmcnt(2)
	v_mul_f32_e32 v8, v155, v172
	v_fma_f32 v4, v4, v184, -v150
	v_add_f32_e32 v2, v3, v2
	v_mul_f32_e32 v178, v154, v172
	v_fmac_f32_e32 v171, v5, v184
	v_add_f32_e32 v3, v6, v7
	v_mul_f32_e32 v5, v157, v182
	v_fma_f32 v6, v154, v162, -v8
	v_add_f32_e32 v2, v2, v4
	v_mul_f32_e32 v9, v156, v182
	v_fmac_f32_e32 v178, v155, v162
	v_add_f32_e32 v3, v3, v171
	s_waitcnt lgkmcnt(1)
	v_mul_f32_e32 v4, v143, v196
	s_waitcnt vmcnt(5)
	v_fma_f32 v5, v156, v209, -v5
	v_add_f32_e32 v2, v2, v6
	ds_read2_b64 v[146:149], v1 offset0:125 offset1:126
	ds_read_b64 v[10:11], v1 offset:1016
	v_mul_f32_e32 v164, v142, v196
	v_fmac_f32_e32 v9, v157, v209
	v_add_f32_e32 v3, v3, v178
	v_mul_f32_e32 v6, v145, v183
	v_fma_f32 v4, v142, v187, -v4
	v_add_f32_e32 v2, v2, v5
	v_mul_f32_e32 v169, v144, v183
	v_fmac_f32_e32 v164, v143, v187
	v_add_f32_e32 v3, v3, v9
	s_waitcnt lgkmcnt(2)
	v_mul_f32_e32 v5, v159, v195
	v_fma_f32 v6, v144, v167, -v6
	v_add_f32_e32 v2, v2, v4
	v_mul_f32_e32 v170, v158, v195
	v_fmac_f32_e32 v169, v145, v167
	v_add_f32_e32 v3, v3, v164
	v_mul_f32_e32 v4, v161, v197
	v_fma_f32 v5, v158, v166, -v5
	v_add_f32_e32 v2, v2, v6
	v_mul_f32_e32 v190, v160, v197
	v_fmac_f32_e32 v170, v159, v166
	v_add_f32_e32 v3, v3, v169
	s_waitcnt lgkmcnt(1)
	v_mul_f32_e32 v6, v147, v181
	s_waitcnt vmcnt(1)
	v_fma_f32 v4, v160, v211, -v4
	v_add_f32_e32 v2, v2, v5
	v_mul_f32_e32 v179, v146, v181
	v_fmac_f32_e32 v190, v161, v211
	v_add_f32_e32 v3, v3, v170
	v_mul_f32_e32 v5, v149, v200
	v_fma_f32 v6, v146, v210, -v6
	v_add_f32_e32 v2, v2, v4
	v_mul_f32_e32 v180, v148, v200
	v_fmac_f32_e32 v179, v147, v210
	v_add_f32_e32 v3, v3, v190
	s_waitcnt lgkmcnt(0)
	v_mul_f32_e32 v4, v11, v206
	v_fma_f32 v5, v148, v188, -v5
	v_add_f32_e32 v2, v2, v6
	v_mul_f32_e32 v168, v10, v206
	v_fmac_f32_e32 v180, v149, v188
	v_add_f32_e32 v3, v3, v179
	v_fma_f32 v4, v10, v186, -v4
	v_add_f32_e32 v2, v2, v5
	v_fmac_f32_e32 v168, v11, v186
	v_add_f32_e32 v3, v3, v180
	v_add_f32_e32 v2, v2, v4
	;; [unrolled: 1-line block ×3, first 2 shown]
	s_waitcnt vmcnt(0)
	v_sub_f32_e32 v2, v189, v2
	v_sub_f32_e32 v3, v201, v3
	buffer_store_dword v2, off, s[0:3], 0 offset:96
	buffer_store_dword v3, off, s[0:3], 0 offset:100
	v_cmpx_lt_u32_e32 11, v0
	s_cbranch_execz .LBB63_375
; %bb.374:
	s_clause 0x1
	buffer_load_dword v2, off, s[0:3], 0 offset:88
	buffer_load_dword v3, off, s[0:3], 0 offset:92
	buffer_store_dword v1, off, s[0:3], 0 offset:88
	buffer_store_dword v1, off, s[0:3], 0 offset:92
	s_waitcnt vmcnt(0)
	ds_write_b64 v141, v[2:3]
.LBB63_375:
	s_or_b32 exec_lo, exec_lo, s4
	s_waitcnt lgkmcnt(0)
	s_waitcnt_vscnt null, 0x0
	s_barrier
	buffer_gl0_inv
	s_clause 0x3b
	buffer_load_dword v4, off, s[0:3], 0 offset:100
	buffer_load_dword v3, off, s[0:3], 0 offset:112
	;; [unrolled: 1-line block ×60, first 2 shown]
	ds_read_b128 v[187:190], v1 offset:608
	ds_read_b128 v[191:194], v1 offset:624
	;; [unrolled: 1-line block ×3, first 2 shown]
	buffer_load_dword v204, off, s[0:3], 0 offset:92
	s_mov_b32 s4, exec_lo
	s_waitcnt vmcnt(60) lgkmcnt(2)
	v_mul_f32_e32 v203, v187, v4
	v_mul_f32_e32 v4, v188, v4
	s_waitcnt vmcnt(56)
	v_mul_f32_e32 v205, v189, v10
	v_mul_f32_e32 v10, v190, v10
	v_fmac_f32_e32 v203, v188, v11
	v_fma_f32 v4, v187, v11, -v4
	s_waitcnt vmcnt(55) lgkmcnt(1)
	v_mul_f32_e32 v206, v191, v9
	v_fmac_f32_e32 v205, v190, v7
	v_fma_f32 v7, v189, v7, -v10
	ds_read_b128 v[187:190], v1 offset:656
	v_mul_f32_e32 v9, v192, v9
	s_waitcnt vmcnt(54)
	v_mul_f32_e32 v207, v193, v5
	v_mul_f32_e32 v5, v194, v5
	v_fmac_f32_e32 v206, v192, v3
	s_waitcnt vmcnt(48) lgkmcnt(1)
	v_mul_f32_e32 v208, v197, v173
	v_fma_f32 v3, v191, v3, -v9
	v_fmac_f32_e32 v207, v194, v177
	v_fma_f32 v5, v193, v177, -v5
	v_mul_f32_e32 v9, v196, v176
	ds_read_b128 v[191:194], v1 offset:672
	v_mul_f32_e32 v177, v195, v176
	v_fmac_f32_e32 v208, v198, v164
	v_add_f32_e32 v4, 0, v4
	v_fma_f32 v176, v195, v172, -v9
	v_mul_f32_e32 v9, v198, v173
	v_fmac_f32_e32 v177, v196, v172
	v_add_f32_e32 v4, v4, v7
	v_fma_f32 v209, v197, v164, -v9
	s_waitcnt vmcnt(47) lgkmcnt(1)
	v_mul_f32_e32 v210, v187, v168
	v_mul_f32_e32 v9, v188, v168
	ds_read_b128 v[195:198], v1 offset:688
	s_waitcnt vmcnt(46)
	v_mul_f32_e32 v211, v189, v161
	v_add_f32_e32 v3, v4, v3
	v_fmac_f32_e32 v210, v188, v152
	v_fma_f32 v152, v187, v152, -v9
	v_mul_f32_e32 v9, v190, v161
	s_waitcnt vmcnt(42)
	v_fmac_f32_e32 v211, v190, v175
	s_waitcnt vmcnt(41) lgkmcnt(1)
	v_mul_f32_e32 v213, v191, v174
	v_fma_f32 v212, v189, v175, -v9
	v_mul_f32_e32 v9, v192, v174
	ds_read_b128 v[172:175], v1 offset:704
	ds_read_b128 v[187:190], v1 offset:720
	v_fmac_f32_e32 v213, v192, v167
	s_waitcnt vmcnt(40)
	v_mul_f32_e32 v192, v193, v169
	v_fma_f32 v191, v191, v167, -v9
	v_mul_f32_e32 v9, v194, v169
	v_fmac_f32_e32 v192, v194, v159
	s_waitcnt vmcnt(39) lgkmcnt(2)
	v_mul_f32_e32 v194, v195, v165
	v_fma_f32 v193, v193, v159, -v9
	v_mul_f32_e32 v9, v196, v165
	s_waitcnt vmcnt(38)
	v_mul_f32_e32 v165, v197, v157
	v_fmac_f32_e32 v194, v196, v147
	v_fma_f32 v147, v195, v147, -v9
	v_mul_f32_e32 v9, v198, v157
	s_waitcnt vmcnt(34)
	v_fmac_f32_e32 v165, v198, v171
	s_waitcnt vmcnt(33) lgkmcnt(1)
	v_mul_f32_e32 v195, v172, v170
	s_waitcnt vmcnt(30) lgkmcnt(0)
	v_mul_f32_e32 v10, v190, v154
	v_fma_f32 v171, v197, v171, -v9
	v_mul_f32_e32 v9, v173, v170
	ds_read_b128 v[167:170], v1 offset:736
	v_fmac_f32_e32 v195, v173, v160
	v_mul_f32_e32 v173, v174, v162
	v_fma_f32 v172, v172, v160, -v9
	v_mul_f32_e32 v9, v175, v162
	v_fmac_f32_e32 v173, v175, v150
	v_mul_f32_e32 v175, v189, v154
	s_waitcnt vmcnt(26)
	v_fma_f32 v154, v189, v166, -v10
	v_fma_f32 v150, v174, v150, -v9
	v_mul_f32_e32 v174, v187, v158
	v_mul_f32_e32 v9, v188, v158
	ds_read_b128 v[157:160], v1 offset:752
	v_fmac_f32_e32 v175, v190, v166
	v_fmac_f32_e32 v174, v188, v143
	v_fma_f32 v143, v187, v143, -v9
	s_waitcnt vmcnt(25) lgkmcnt(1)
	v_mul_f32_e32 v166, v167, v163
	v_mul_f32_e32 v9, v168, v163
	ds_read_b128 v[161:164], v1 offset:768
	v_fmac_f32_e32 v166, v168, v153
	v_fma_f32 v153, v167, v153, -v9
	s_waitcnt vmcnt(24)
	v_mul_f32_e32 v167, v169, v155
	v_mul_f32_e32 v9, v170, v155
	buffer_load_dword v155, off, s[0:3], 0 offset:332
	v_fmac_f32_e32 v167, v170, v145
	v_fma_f32 v145, v169, v145, -v9
	s_waitcnt vmcnt(24) lgkmcnt(1)
	v_mul_f32_e32 v168, v157, v148
	v_mul_f32_e32 v9, v158, v148
	s_waitcnt vmcnt(23)
	v_mul_f32_e32 v148, v159, v146
	v_mul_f32_e32 v10, v160, v146
	buffer_load_dword v146, off, s[0:3], 0 offset:340
	v_fmac_f32_e32 v168, v158, v12
	v_fma_f32 v157, v157, v12, -v9
	s_waitcnt vmcnt(20)
	v_fmac_f32_e32 v148, v160, v156
	v_fma_f32 v156, v159, v156, -v10
	ds_read_b128 v[9:12], v1 offset:784
	s_waitcnt vmcnt(18) lgkmcnt(1)
	v_mul_f32_e32 v159, v163, v149
	v_mul_f32_e32 v149, v164, v149
	;; [unrolled: 1-line block ×4, first 2 shown]
	buffer_load_dword v160, off, s[0:3], 0 offset:348
	v_fmac_f32_e32 v159, v164, v142
	v_fma_f32 v142, v163, v142, -v149
	v_add_f32_e32 v163, 0, v203
	v_fmac_f32_e32 v158, v162, v144
	v_fma_f32 v144, v161, v144, -v151
	s_clause 0x6
	buffer_load_dword v161, off, s[0:3], 0 offset:368
	buffer_load_dword v151, off, s[0:3], 0 offset:360
	;; [unrolled: 1-line block ×7, first 2 shown]
	v_add_f32_e32 v7, v163, v205
	buffer_load_dword v163, off, s[0:3], 0 offset:380
	v_add_f32_e32 v7, v7, v206
	s_waitcnt vmcnt(26) lgkmcnt(0)
	v_mul_f32_e32 v187, v9, v8
	v_mul_f32_e32 v4, v10, v8
	s_waitcnt vmcnt(25)
	v_mul_f32_e32 v188, v11, v6
	v_mul_f32_e32 v6, v12, v6
	v_add_f32_e32 v8, v3, v5
	v_add_f32_e32 v7, v7, v207
	v_fmac_f32_e32 v187, v10, v2
	v_fma_f32 v10, v9, v2, -v4
	s_waitcnt vmcnt(21)
	v_fma_f32 v11, v11, v199, -v6
	ds_read_b128 v[2:5], v1 offset:800
	v_add_f32_e32 v6, v8, v176
	v_add_f32_e32 v7, v7, v177
	v_fmac_f32_e32 v188, v12, v199
	s_clause 0x6
	buffer_load_dword v12, off, s[0:3], 0 offset:400
	buffer_load_dword v176, off, s[0:3], 0 offset:392
	;; [unrolled: 1-line block ×7, first 2 shown]
	v_add_f32_e32 v6, v6, v209
	v_add_f32_e32 v7, v7, v208
	v_add_f32_e32 v6, v6, v152
	v_add_f32_e32 v152, v7, v210
	v_add_f32_e32 v198, v6, v212
	v_add_f32_e32 v152, v152, v211
	ds_read_b128 v[6:9], v1 offset:816
	s_waitcnt vmcnt(27) lgkmcnt(1)
	v_mul_f32_e32 v199, v2, v186
	v_mul_f32_e32 v186, v3, v186
	v_add_f32_e32 v152, v152, v213
	v_add_f32_e32 v191, v198, v191
	s_waitcnt vmcnt(26)
	v_mul_f32_e32 v198, v4, v185
	v_fmac_f32_e32 v199, v3, v183
	v_fma_f32 v183, v2, v183, -v186
	v_add_f32_e32 v3, v152, v192
	v_add_f32_e32 v2, v191, v193
	v_mul_f32_e32 v185, v5, v185
	s_clause 0x3
	buffer_load_dword v186, off, s[0:3], 0 offset:412
	buffer_load_dword v191, off, s[0:3], 0 offset:420
	;; [unrolled: 1-line block ×4, first 2 shown]
	v_fmac_f32_e32 v198, v5, v182
	v_add_f32_e32 v3, v3, v194
	v_add_f32_e32 v2, v2, v147
	v_fma_f32 v152, v4, v182, -v185
	s_clause 0x3
	buffer_load_dword v182, off, s[0:3], 0 offset:444
	buffer_load_dword v185, off, s[0:3], 0 offset:452
	;; [unrolled: 1-line block ×4, first 2 shown]
	v_add_f32_e32 v3, v3, v165
	v_add_f32_e32 v2, v2, v171
	s_waitcnt vmcnt(33) lgkmcnt(0)
	v_mul_f32_e32 v207, v6, v180
	v_mul_f32_e32 v4, v7, v180
	s_clause 0x3
	buffer_load_dword v165, off, s[0:3], 0 offset:476
	buffer_load_dword v171, off, s[0:3], 0 offset:484
	buffer_load_dword v205, off, s[0:3], 0 offset:492
	buffer_load_dword v206, off, s[0:3], 0 offset:500
	v_add_f32_e32 v3, v3, v195
	v_add_f32_e32 v2, v2, v172
	buffer_load_dword v172, off, s[0:3], 0 offset:508
	v_fmac_f32_e32 v207, v7, v179
	v_fma_f32 v179, v6, v179, -v4
	v_add_f32_e32 v6, v3, v173
	s_clause 0x3
	buffer_load_dword v173, off, s[0:3], 0 offset:432
	buffer_load_dword v180, off, s[0:3], 0 offset:424
	;; [unrolled: 1-line block ×4, first 2 shown]
	v_add_f32_e32 v2, v2, v150
	s_waitcnt vmcnt(41)
	v_mul_f32_e32 v150, v8, v178
	v_add_f32_e32 v6, v6, v174
	v_add_f32_e32 v7, v2, v143
	v_mul_f32_e32 v2, v9, v178
	s_waitcnt vmcnt(37)
	v_fmac_f32_e32 v150, v9, v201
	v_add_f32_e32 v6, v6, v175
	v_add_f32_e32 v7, v7, v154
	v_fma_f32 v178, v8, v201, -v2
	ds_read_b128 v[2:5], v1 offset:832
	s_clause 0x3
	buffer_load_dword v174, off, s[0:3], 0 offset:464
	buffer_load_dword v175, off, s[0:3], 0 offset:456
	;; [unrolled: 1-line block ×4, first 2 shown]
	v_add_f32_e32 v6, v6, v166
	v_add_f32_e32 v7, v7, v153
	;; [unrolled: 1-line block ×4, first 2 shown]
	ds_read_b128 v[6:9], v1 offset:848
	v_add_f32_e32 v143, v143, v157
	v_add_f32_e32 v145, v145, v168
	s_waitcnt vmcnt(40) lgkmcnt(1)
	v_mul_f32_e32 v154, v2, v202
	v_mul_f32_e32 v147, v3, v202
	v_fmac_f32_e32 v154, v3, v200
	v_fma_f32 v157, v2, v200, -v147
	s_clause 0x5
	buffer_load_dword v166, off, s[0:3], 0 offset:496
	buffer_load_dword v167, off, s[0:3], 0 offset:488
	;; [unrolled: 1-line block ×6, first 2 shown]
	v_add_f32_e32 v2, v143, v156
	v_add_f32_e32 v3, v145, v148
	;; [unrolled: 1-line block ×18, first 2 shown]
	s_waitcnt vmcnt(44)
	v_mul_f32_e32 v158, v4, v155
	v_mul_f32_e32 v142, v5, v155
	v_fmac_f32_e32 v158, v5, v184
	v_fma_f32 v159, v4, v184, -v142
	ds_read_b128 v[2:5], v1 offset:864
	ds_read_b128 v[142:145], v1 offset:880
	s_waitcnt vmcnt(43) lgkmcnt(2)
	v_mul_f32_e32 v11, v6, v146
	v_mul_f32_e32 v146, v7, v146
	v_add_f32_e32 v10, v10, v159
	v_fmac_f32_e32 v11, v7, v181
	s_waitcnt vmcnt(42)
	v_mul_f32_e32 v184, v8, v160
	v_mul_f32_e32 v148, v9, v160
	v_fma_f32 v160, v6, v181, -v146
	s_waitcnt vmcnt(38)
	v_fmac_f32_e32 v184, v9, v149
	v_fma_f32 v181, v8, v149, -v148
	ds_read_b128 v[6:9], v1 offset:896
	ds_read_b128 v[146:149], v1 offset:912
	s_waitcnt vmcnt(36) lgkmcnt(3)
	v_mul_f32_e32 v155, v5, v169
	v_mul_f32_e32 v183, v2, v164
	;; [unrolled: 1-line block ×4, first 2 shown]
	s_waitcnt vmcnt(35) lgkmcnt(2)
	v_mul_f32_e32 v169, v142, v170
	v_mul_f32_e32 v156, v143, v170
	v_fma_f32 v179, v4, v151, -v155
	v_add_f32_e32 v155, v153, v150
	v_fmac_f32_e32 v183, v3, v162
	v_fmac_f32_e32 v169, v143, v161
	v_fma_f32 v178, v142, v161, -v156
	v_fma_f32 v162, v2, v162, -v152
	v_add_f32_e32 v161, v155, v154
	v_fmac_f32_e32 v164, v5, v151
	s_waitcnt vmcnt(34)
	v_mul_f32_e32 v170, v144, v163
	v_mul_f32_e32 v163, v145, v163
	ds_read_b128 v[2:5], v1 offset:928
	ds_read_b128 v[150:153], v1 offset:944
	v_add_f32_e32 v158, v161, v158
	s_waitcnt vmcnt(29) lgkmcnt(3)
	v_mul_f32_e32 v187, v6, v190
	v_mul_f32_e32 v159, v7, v190
	v_fma_f32 v163, v144, v189, -v163
	v_fmac_f32_e32 v170, v145, v189
	s_waitcnt vmcnt(28)
	v_mul_f32_e32 v188, v8, v196
	v_fmac_f32_e32 v187, v7, v177
	v_add_f32_e32 v7, v10, v160
	v_add_f32_e32 v10, v158, v11
	v_fma_f32 v11, v6, v177, -v159
	v_mul_f32_e32 v161, v9, v196
	ds_read_b128 v[142:145], v1 offset:960
	ds_read_b128 v[154:157], v1 offset:976
	v_add_f32_e32 v177, v7, v181
	v_add_f32_e32 v10, v10, v184
	v_fmac_f32_e32 v188, v9, v176
	v_fma_f32 v176, v8, v176, -v161
	ds_read_b128 v[6:9], v1 offset:992
	ds_read_b128 v[158:161], v1 offset:1008
	v_add_f32_e32 v162, v177, v162
	v_add_f32_e32 v10, v10, v183
	s_waitcnt vmcnt(27) lgkmcnt(6)
	v_mul_f32_e32 v1, v146, v197
	v_mul_f32_e32 v177, v147, v197
	v_add_f32_e32 v162, v162, v179
	v_add_f32_e32 v10, v10, v164
	v_fmac_f32_e32 v1, v147, v12
	s_waitcnt vmcnt(26)
	v_mul_f32_e32 v183, v149, v186
	v_fma_f32 v12, v146, v12, -v177
	v_add_f32_e32 v162, v162, v178
	v_add_f32_e32 v10, v10, v169
	v_mul_f32_e32 v181, v148, v186
	s_waitcnt vmcnt(25) lgkmcnt(5)
	v_mul_f32_e32 v179, v2, v191
	v_mul_f32_e32 v147, v3, v191
	v_add_f32_e32 v162, v162, v163
	v_add_f32_e32 v10, v10, v170
	s_waitcnt vmcnt(24)
	v_mul_f32_e32 v164, v4, v192
	s_waitcnt vmcnt(23) lgkmcnt(4)
	v_mul_f32_e32 v184, v150, v193
	s_waitcnt vmcnt(22)
	v_mul_f32_e32 v178, v152, v182
	v_add_f32_e32 v11, v162, v11
	v_add_f32_e32 v10, v10, v187
	s_waitcnt vmcnt(21) lgkmcnt(3)
	v_mul_f32_e32 v169, v142, v185
	s_waitcnt vmcnt(20)
	v_mul_f32_e32 v186, v144, v194
	s_waitcnt vmcnt(19) lgkmcnt(2)
	v_mul_f32_e32 v163, v154, v203
	v_add_f32_e32 v11, v11, v176
	v_add_f32_e32 v10, v10, v188
	s_waitcnt vmcnt(12)
	v_fmac_f32_e32 v164, v5, v180
	s_waitcnt vmcnt(11)
	v_fmac_f32_e32 v179, v3, v195
	s_waitcnt vmcnt(10)
	v_fma_f32 v148, v148, v208, -v183
	v_add_f32_e32 v11, v11, v12
	v_fmac_f32_e32 v181, v149, v208
	v_add_f32_e32 v1, v10, v1
	v_mul_f32_e32 v10, v5, v192
	v_fma_f32 v2, v2, v195, -v147
	v_add_f32_e32 v3, v11, v148
	v_mul_f32_e32 v11, v151, v193
	v_add_f32_e32 v1, v1, v181
	v_fma_f32 v4, v4, v180, -v10
	v_fmac_f32_e32 v184, v151, v173
	v_add_f32_e32 v2, v3, v2
	v_mul_f32_e32 v3, v153, v182
	v_add_f32_e32 v1, v1, v179
	v_fma_f32 v5, v150, v173, -v11
	s_waitcnt vmcnt(6)
	v_fmac_f32_e32 v178, v153, v209
	v_add_f32_e32 v2, v2, v4
	v_mul_f32_e32 v4, v143, v185
	v_add_f32_e32 v1, v1, v164
	v_fma_f32 v3, v152, v209, -v3
	v_fmac_f32_e32 v169, v143, v201
	v_add_f32_e32 v2, v2, v5
	v_mul_f32_e32 v5, v145, v194
	v_add_f32_e32 v1, v1, v184
	v_fma_f32 v4, v142, v201, -v4
	;; [unrolled: 5-line block ×3, first 2 shown]
	v_mul_f32_e32 v170, v156, v165
	v_add_f32_e32 v2, v2, v4
	v_mul_f32_e32 v4, v157, v165
	v_add_f32_e32 v1, v1, v169
	v_fma_f32 v3, v154, v174, -v3
	v_fmac_f32_e32 v163, v155, v174
	v_add_f32_e32 v2, v2, v5
	s_waitcnt lgkmcnt(1)
	v_mul_f32_e32 v5, v7, v171
	v_add_f32_e32 v1, v1, v186
	v_mul_f32_e32 v189, v6, v171
	s_waitcnt vmcnt(2)
	v_fma_f32 v4, v156, v200, -v4
	v_add_f32_e32 v2, v2, v3
	v_fmac_f32_e32 v170, v157, v200
	v_add_f32_e32 v1, v1, v163
	v_mul_f32_e32 v3, v9, v205
	v_fma_f32 v5, v6, v168, -v5
	v_add_f32_e32 v2, v2, v4
	v_mul_f32_e32 v162, v8, v205
	v_fmac_f32_e32 v189, v7, v168
	v_add_f32_e32 v1, v1, v170
	s_waitcnt lgkmcnt(0)
	v_mul_f32_e32 v4, v159, v206
	v_fma_f32 v3, v8, v167, -v3
	v_add_f32_e32 v2, v2, v5
	v_mul_f32_e32 v187, v158, v206
	v_fmac_f32_e32 v162, v9, v167
	v_add_f32_e32 v1, v1, v189
	v_mul_f32_e32 v5, v161, v172
	v_fma_f32 v4, v158, v166, -v4
	v_add_f32_e32 v2, v2, v3
	v_mul_f32_e32 v146, v160, v172
	v_fmac_f32_e32 v187, v159, v166
	v_add_f32_e32 v1, v1, v162
	s_waitcnt vmcnt(1)
	v_fma_f32 v3, v160, v202, -v5
	v_add_f32_e32 v2, v2, v4
	v_fmac_f32_e32 v146, v161, v202
	v_add_f32_e32 v1, v1, v187
	v_add_f32_e32 v2, v2, v3
	;; [unrolled: 1-line block ×3, first 2 shown]
	s_waitcnt vmcnt(0)
	v_sub_f32_e32 v2, v210, v2
	v_sub_f32_e32 v1, v204, v1
	buffer_store_dword v2, off, s[0:3], 0 offset:88
	buffer_store_dword v1, off, s[0:3], 0 offset:92
	v_cmpx_lt_u32_e32 10, v0
	s_cbranch_execz .LBB63_377
; %bb.376:
	s_clause 0x1
	buffer_load_dword v1, off, s[0:3], 0 offset:80
	buffer_load_dword v2, off, s[0:3], 0 offset:84
	v_mov_b32_e32 v3, 0
	buffer_store_dword v3, off, s[0:3], 0 offset:80
	buffer_store_dword v3, off, s[0:3], 0 offset:84
	s_waitcnt vmcnt(0)
	ds_write_b64 v141, v[1:2]
.LBB63_377:
	s_or_b32 exec_lo, exec_lo, s4
	s_waitcnt lgkmcnt(0)
	s_waitcnt_vscnt null, 0x0
	s_barrier
	buffer_gl0_inv
	s_clause 0x3b
	buffer_load_dword v9, off, s[0:3], 0 offset:92
	buffer_load_dword v2, off, s[0:3], 0 offset:104
	;; [unrolled: 1-line block ×60, first 2 shown]
	v_mov_b32_e32 v1, 0
	ds_read2_b64 v[187:190], v1 offset0:75 offset1:76
	ds_read2_b64 v[191:194], v1 offset0:77 offset1:78
	ds_read2_b64 v[195:198], v1 offset0:79 offset1:80
	buffer_load_dword v204, off, s[0:3], 0 offset:84
	s_mov_b32 s4, exec_lo
	s_waitcnt vmcnt(60) lgkmcnt(2)
	v_mul_f32_e32 v203, v187, v9
	v_mul_f32_e32 v9, v188, v9
	s_waitcnt vmcnt(56)
	v_mul_f32_e32 v205, v189, v6
	v_mul_f32_e32 v6, v190, v6
	v_fmac_f32_e32 v203, v188, v7
	v_fma_f32 v9, v187, v7, -v9
	s_waitcnt vmcnt(55) lgkmcnt(1)
	v_mul_f32_e32 v207, v191, v5
	v_fmac_f32_e32 v205, v190, v4
	v_fma_f32 v206, v189, v4, -v6
	v_mul_f32_e32 v187, v192, v5
	ds_read2_b64 v[4:7], v1 offset0:81 offset1:82
	v_fmac_f32_e32 v207, v192, v2
	s_waitcnt vmcnt(54)
	v_mul_f32_e32 v209, v193, v3
	s_waitcnt vmcnt(49) lgkmcnt(1)
	v_mul_f32_e32 v210, v195, v176
	v_fma_f32 v208, v191, v2, -v187
	v_mul_f32_e32 v2, v194, v3
	ds_read2_b64 v[187:190], v1 offset0:83 offset1:84
	v_fmac_f32_e32 v209, v194, v177
	v_fmac_f32_e32 v210, v196, v172
	v_add_f32_e32 v9, 0, v9
	v_fma_f32 v177, v193, v177, -v2
	v_mul_f32_e32 v2, v196, v176
	ds_read2_b64 v[191:194], v1 offset0:85 offset1:86
	v_add_f32_e32 v9, v9, v206
	v_fma_f32 v176, v195, v172, -v2
	s_waitcnt vmcnt(48)
	v_mul_f32_e32 v195, v197, v173
	v_mul_f32_e32 v2, v198, v173
	v_add_f32_e32 v9, v9, v208
	s_waitcnt vmcnt(47) lgkmcnt(2)
	v_mul_f32_e32 v196, v4, v168
	v_fmac_f32_e32 v195, v198, v164
	v_fma_f32 v164, v197, v164, -v2
	v_mul_f32_e32 v2, v5, v168
	v_fmac_f32_e32 v196, v5, v152
	s_waitcnt vmcnt(46)
	v_mul_f32_e32 v197, v6, v161
	v_fma_f32 v152, v4, v152, -v2
	v_mul_f32_e32 v2, v7, v161
	s_waitcnt vmcnt(42)
	v_fmac_f32_e32 v197, v7, v175
	s_waitcnt vmcnt(41) lgkmcnt(1)
	v_mul_f32_e32 v161, v187, v174
	v_mul_f32_e32 v7, v188, v174
	v_fma_f32 v6, v6, v175, -v2
	ds_read2_b64 v[2:5], v1 offset0:87 offset1:88
	ds_read2_b64 v[172:175], v1 offset0:89 offset1:90
	v_fmac_f32_e32 v161, v188, v167
	v_fma_f32 v187, v187, v167, -v7
	s_waitcnt vmcnt(40)
	v_mul_f32_e32 v188, v189, v169
	v_mul_f32_e32 v7, v190, v169
	v_fmac_f32_e32 v188, v190, v159
	v_fma_f32 v189, v189, v159, -v7
	s_waitcnt vmcnt(39) lgkmcnt(2)
	v_mul_f32_e32 v190, v191, v165
	v_mul_f32_e32 v7, v192, v165
	s_waitcnt vmcnt(38)
	v_mul_f32_e32 v165, v193, v157
	v_fmac_f32_e32 v190, v192, v147
	v_fma_f32 v147, v191, v147, -v7
	v_mul_f32_e32 v7, v194, v157
	s_waitcnt vmcnt(34)
	v_fmac_f32_e32 v165, v194, v171
	s_waitcnt vmcnt(33) lgkmcnt(1)
	v_mul_f32_e32 v191, v2, v170
	s_waitcnt vmcnt(30) lgkmcnt(0)
	v_mul_f32_e32 v194, v174, v154
	v_fma_f32 v171, v193, v171, -v7
	v_mul_f32_e32 v7, v3, v170
	ds_read2_b64 v[167:170], v1 offset0:91 offset1:92
	v_mul_f32_e32 v193, v4, v162
	v_fmac_f32_e32 v191, v3, v160
	s_waitcnt vmcnt(26)
	v_fmac_f32_e32 v194, v175, v166
	v_fma_f32 v192, v2, v160, -v7
	v_mul_f32_e32 v2, v5, v162
	v_fmac_f32_e32 v193, v5, v150
	v_mul_f32_e32 v162, v172, v158
	v_mul_f32_e32 v7, v175, v154
	v_fma_f32 v150, v4, v150, -v2
	v_mul_f32_e32 v2, v173, v158
	v_fmac_f32_e32 v162, v173, v143
	v_fma_f32 v154, v174, v166, -v7
	ds_read2_b64 v[157:160], v1 offset0:95 offset1:96
	v_fma_f32 v143, v172, v143, -v2
	ds_read2_b64 v[2:5], v1 offset0:93 offset1:94
	s_waitcnt vmcnt(25) lgkmcnt(2)
	v_mul_f32_e32 v166, v167, v163
	v_mul_f32_e32 v7, v168, v163
	s_waitcnt vmcnt(24)
	v_mul_f32_e32 v163, v169, v155
	v_fmac_f32_e32 v166, v168, v153
	v_fma_f32 v153, v167, v153, -v7
	v_mul_f32_e32 v7, v170, v155
	v_fmac_f32_e32 v163, v170, v145
	s_clause 0x1
	buffer_load_dword v155, off, s[0:3], 0 offset:324
	buffer_load_dword v168, off, s[0:3], 0 offset:332
	v_fma_f32 v145, v169, v145, -v7
	buffer_load_dword v169, off, s[0:3], 0 offset:340
	s_waitcnt vmcnt(26) lgkmcnt(0)
	v_mul_f32_e32 v167, v2, v148
	v_mul_f32_e32 v7, v3, v148
	s_waitcnt vmcnt(25)
	v_mul_f32_e32 v148, v4, v146
	v_mul_f32_e32 v146, v5, v146
	v_fmac_f32_e32 v167, v3, v12
	v_fma_f32 v12, v2, v12, -v7
	s_waitcnt vmcnt(21)
	v_fmac_f32_e32 v148, v5, v156
	v_fma_f32 v146, v4, v156, -v146
	ds_read2_b64 v[2:5], v1 offset0:97 offset1:98
	s_waitcnt vmcnt(20)
	v_mul_f32_e32 v156, v157, v151
	v_mul_f32_e32 v7, v158, v151
	s_waitcnt vmcnt(19)
	v_mul_f32_e32 v151, v159, v149
	v_mul_f32_e32 v149, v160, v149
	v_fmac_f32_e32 v156, v158, v144
	v_fma_f32 v144, v157, v144, -v7
	v_add_f32_e32 v7, 0, v203
	v_fmac_f32_e32 v151, v160, v142
	v_fma_f32 v142, v159, v142, -v149
	s_clause 0x6
	buffer_load_dword v157, off, s[0:3], 0 offset:360
	buffer_load_dword v158, off, s[0:3], 0 offset:352
	;; [unrolled: 1-line block ×7, first 2 shown]
	v_add_f32_e32 v7, v7, v205
	buffer_load_dword v173, off, s[0:3], 0 offset:372
	v_add_f32_e32 v7, v7, v207
	s_waitcnt vmcnt(26) lgkmcnt(0)
	v_mul_f32_e32 v174, v2, v11
	v_mul_f32_e32 v11, v3, v11
	s_waitcnt vmcnt(25)
	v_mul_f32_e32 v175, v4, v10
	v_add_f32_e32 v7, v7, v209
	v_mul_f32_e32 v10, v5, v10
	v_fmac_f32_e32 v174, v3, v8
	v_fma_f32 v11, v2, v8, -v11
	v_add_f32_e32 v8, v9, v177
	v_add_f32_e32 v7, v7, v210
	s_waitcnt vmcnt(21)
	v_fmac_f32_e32 v175, v5, v199
	v_fma_f32 v10, v4, v199, -v10
	ds_read2_b64 v[2:5], v1 offset0:99 offset1:100
	v_add_f32_e32 v8, v8, v176
	v_add_f32_e32 v7, v7, v195
	s_clause 0x3
	buffer_load_dword v176, off, s[0:3], 0 offset:392
	buffer_load_dword v177, off, s[0:3], 0 offset:384
	;; [unrolled: 1-line block ×4, first 2 shown]
	v_add_f32_e32 v8, v8, v164
	v_add_f32_e32 v8, v8, v152
	;; [unrolled: 1-line block ×3, first 2 shown]
	s_clause 0x2
	buffer_load_dword v164, off, s[0:3], 0 offset:380
	buffer_load_dword v195, off, s[0:3], 0 offset:388
	;; [unrolled: 1-line block ×3, first 2 shown]
	v_add_f32_e32 v203, v8, v6
	v_add_f32_e32 v152, v152, v197
	ds_read2_b64 v[6:9], v1 offset0:101 offset1:102
	s_waitcnt vmcnt(27) lgkmcnt(1)
	v_mul_f32_e32 v197, v2, v186
	v_mul_f32_e32 v186, v3, v186
	v_add_f32_e32 v187, v203, v187
	s_waitcnt vmcnt(26)
	v_mul_f32_e32 v203, v4, v185
	v_mul_f32_e32 v185, v5, v185
	v_fmac_f32_e32 v197, v3, v184
	v_add_f32_e32 v3, v152, v161
	v_add_f32_e32 v152, v187, v189
	v_fma_f32 v161, v2, v184, -v186
	v_fmac_f32_e32 v203, v5, v182
	v_fma_f32 v182, v4, v182, -v185
	v_add_f32_e32 v2, v3, v188
	v_add_f32_e32 v3, v152, v147
	s_clause 0x7
	buffer_load_dword v184, off, s[0:3], 0 offset:404
	buffer_load_dword v185, off, s[0:3], 0 offset:412
	;; [unrolled: 1-line block ×8, first 2 shown]
	v_add_f32_e32 v2, v2, v190
	v_add_f32_e32 v3, v3, v171
	s_waitcnt vmcnt(33) lgkmcnt(0)
	v_mul_f32_e32 v152, v6, v181
	v_mul_f32_e32 v4, v7, v181
	s_clause 0x1
	buffer_load_dword v171, off, s[0:3], 0 offset:436
	buffer_load_dword v190, off, s[0:3], 0 offset:444
	v_add_f32_e32 v2, v2, v165
	v_add_f32_e32 v3, v3, v192
	v_fmac_f32_e32 v152, v7, v179
	v_fma_f32 v179, v6, v179, -v4
	s_clause 0x1
	buffer_load_dword v165, off, s[0:3], 0 offset:452
	buffer_load_dword v181, off, s[0:3], 0 offset:460
	v_add_f32_e32 v2, v2, v191
	v_add_f32_e32 v3, v3, v150
	s_clause 0x3
	buffer_load_dword v191, off, s[0:3], 0 offset:468
	buffer_load_dword v192, off, s[0:3], 0 offset:476
	;; [unrolled: 1-line block ×4, first 2 shown]
	s_waitcnt vmcnt(40)
	v_mul_f32_e32 v150, v8, v178
	v_add_f32_e32 v2, v2, v193
	v_add_f32_e32 v6, v3, v143
	v_mul_f32_e32 v3, v9, v178
	buffer_load_dword v193, off, s[0:3], 0 offset:500
	s_waitcnt vmcnt(37)
	v_fmac_f32_e32 v150, v9, v201
	v_add_f32_e32 v7, v2, v162
	v_add_f32_e32 v6, v6, v154
	v_fma_f32 v178, v8, v201, -v3
	ds_read2_b64 v[2:5], v1 offset0:103 offset1:104
	buffer_load_dword v162, off, s[0:3], 0 offset:508
	v_add_f32_e32 v7, v7, v194
	v_add_f32_e32 v6, v6, v153
	;; [unrolled: 1-line block ×3, first 2 shown]
	s_clause 0x3
	buffer_load_dword v166, off, s[0:3], 0 offset:456
	buffer_load_dword v194, off, s[0:3], 0 offset:448
	;; [unrolled: 1-line block ×4, first 2 shown]
	v_add_f32_e32 v6, v6, v145
	v_add_f32_e32 v143, v7, v163
	;; [unrolled: 1-line block ×3, first 2 shown]
	ds_read2_b64 v[6:9], v1 offset0:105 offset1:106
	v_add_f32_e32 v143, v143, v167
	v_add_f32_e32 v12, v12, v146
	s_waitcnt vmcnt(41) lgkmcnt(1)
	v_mul_f32_e32 v153, v2, v202
	v_mul_f32_e32 v145, v3, v202
	v_fmac_f32_e32 v153, v3, v200
	v_fma_f32 v154, v2, v200, -v145
	v_add_f32_e32 v3, v12, v144
	s_clause 0x6
	buffer_load_dword v12, off, s[0:3], 0 offset:488
	buffer_load_dword v163, off, s[0:3], 0 offset:480
	;; [unrolled: 1-line block ×7, first 2 shown]
	v_add_f32_e32 v2, v143, v148
	v_add_f32_e32 v3, v3, v142
	;; [unrolled: 1-line block ×18, first 2 shown]
	s_waitcnt vmcnt(46)
	v_mul_f32_e32 v11, v4, v155
	v_mul_f32_e32 v142, v5, v155
	s_waitcnt vmcnt(45) lgkmcnt(0)
	v_mul_f32_e32 v161, v6, v168
	v_mul_f32_e32 v147, v7, v168
	s_waitcnt vmcnt(44)
	v_mul_f32_e32 v168, v8, v169
	v_mul_f32_e32 v148, v9, v169
	v_fmac_f32_e32 v11, v5, v183
	v_fma_f32 v155, v4, v183, -v142
	ds_read2_b64 v[2:5], v1 offset0:107 offset1:108
	ds_read2_b64 v[142:145], v1 offset0:109 offset1:110
	v_fmac_f32_e32 v161, v7, v180
	v_fma_f32 v169, v6, v180, -v147
	v_add_f32_e32 v10, v10, v155
	v_add_f32_e32 v11, v154, v11
	;; [unrolled: 1-line block ×4, first 2 shown]
	s_waitcnt vmcnt(40)
	v_fmac_f32_e32 v168, v9, v149
	v_fma_f32 v174, v8, v149, -v148
	ds_read2_b64 v[6:9], v1 offset0:111 offset1:112
	ds_read2_b64 v[146:149], v1 offset0:113 offset1:114
	s_waitcnt vmcnt(39) lgkmcnt(3)
	v_mul_f32_e32 v175, v2, v160
	v_mul_f32_e32 v156, v3, v160
	s_waitcnt vmcnt(38)
	v_mul_f32_e32 v179, v4, v170
	v_mul_f32_e32 v152, v5, v170
	s_waitcnt vmcnt(37) lgkmcnt(2)
	v_mul_f32_e32 v170, v142, v172
	v_mul_f32_e32 v160, v143, v172
	v_fmac_f32_e32 v175, v3, v159
	v_fma_f32 v159, v2, v159, -v156
	v_fmac_f32_e32 v179, v5, v158
	v_fma_f32 v172, v4, v158, -v152
	s_waitcnt vmcnt(36)
	v_mul_f32_e32 v178, v144, v173
	v_mul_f32_e32 v156, v145, v173
	v_fma_f32 v173, v142, v157, -v160
	v_fmac_f32_e32 v170, v143, v157
	ds_read2_b64 v[2:5], v1 offset0:115 offset1:116
	ds_read2_b64 v[150:153], v1 offset0:117 offset1:118
	s_waitcnt vmcnt(32)
	v_fma_f32 v180, v144, v199, -v156
	v_fmac_f32_e32 v178, v145, v199
	ds_read2_b64 v[142:145], v1 offset0:119 offset1:120
	ds_read2_b64 v[154:157], v1 offset0:121 offset1:122
	s_waitcnt vmcnt(31) lgkmcnt(5)
	v_mul_f32_e32 v169, v6, v164
	v_mul_f32_e32 v158, v7, v164
	s_waitcnt vmcnt(30)
	v_mul_f32_e32 v160, v9, v195
	v_mul_f32_e32 v182, v8, v195
	v_fmac_f32_e32 v169, v7, v198
	v_add_f32_e32 v7, v10, v174
	v_add_f32_e32 v10, v11, v168
	v_fma_f32 v164, v6, v198, -v158
	v_fma_f32 v168, v8, v177, -v160
	v_fmac_f32_e32 v182, v9, v177
	v_add_f32_e32 v174, v7, v159
	v_add_f32_e32 v175, v10, v175
	ds_read2_b64 v[6:9], v1 offset0:123 offset1:124
	ds_read2_b64 v[158:161], v1 offset0:125 offset1:126
	ds_read_b64 v[10:11], v1 offset:1016
	s_waitcnt vmcnt(28) lgkmcnt(7)
	v_mul_f32_e32 v183, v149, v184
	v_add_f32_e32 v172, v174, v172
	v_add_f32_e32 v175, v175, v179
	v_mul_f32_e32 v179, v147, v196
	v_mul_f32_e32 v174, v146, v196
	;; [unrolled: 1-line block ×3, first 2 shown]
	v_add_f32_e32 v172, v172, v173
	v_add_f32_e32 v170, v175, v170
	v_fma_f32 v146, v146, v176, -v179
	v_fmac_f32_e32 v174, v147, v176
	s_waitcnt vmcnt(27) lgkmcnt(6)
	v_mul_f32_e32 v173, v2, v185
	v_add_f32_e32 v172, v172, v180
	v_add_f32_e32 v170, v170, v178
	v_mul_f32_e32 v179, v3, v185
	s_waitcnt vmcnt(21)
	v_fma_f32 v148, v148, v206, -v183
	v_fmac_f32_e32 v177, v149, v206
	v_add_f32_e32 v164, v172, v164
	v_add_f32_e32 v169, v170, v169
	v_fmac_f32_e32 v173, v3, v205
	v_fma_f32 v2, v2, v205, -v179
	v_mul_f32_e32 v175, v4, v186
	v_add_f32_e32 v164, v164, v168
	v_add_f32_e32 v168, v169, v182
	v_mul_f32_e32 v169, v5, v186
	s_waitcnt lgkmcnt(5)
	v_mul_f32_e32 v147, v150, v187
	v_fmac_f32_e32 v175, v5, v189
	v_add_f32_e32 v146, v164, v146
	v_add_f32_e32 v164, v168, v174
	v_fma_f32 v4, v4, v189, -v169
	s_waitcnt vmcnt(20)
	v_mul_f32_e32 v5, v153, v171
	v_mul_f32_e32 v176, v152, v171
	v_add_f32_e32 v3, v146, v148
	v_add_f32_e32 v146, v164, v177
	v_mul_f32_e32 v148, v151, v187
	v_fmac_f32_e32 v147, v151, v188
	s_waitcnt vmcnt(19) lgkmcnt(4)
	v_mul_f32_e32 v178, v142, v190
	v_add_f32_e32 v2, v3, v2
	v_add_f32_e32 v3, v146, v173
	v_fma_f32 v146, v150, v188, -v148
	s_waitcnt vmcnt(18)
	v_mul_f32_e32 v149, v144, v165
	s_waitcnt vmcnt(8)
	v_fmac_f32_e32 v178, v143, v201
	v_add_f32_e32 v2, v2, v4
	v_add_f32_e32 v3, v3, v175
	v_mul_f32_e32 v4, v143, v190
	s_waitcnt vmcnt(7)
	v_fma_f32 v5, v152, v209, -v5
	v_fmac_f32_e32 v176, v153, v209
	v_add_f32_e32 v2, v2, v146
	v_add_f32_e32 v3, v3, v147
	v_mul_f32_e32 v146, v145, v165
	v_fma_f32 v4, v142, v201, -v4
	s_waitcnt lgkmcnt(3)
	v_mul_f32_e32 v180, v154, v181
	v_add_f32_e32 v2, v2, v5
	v_add_f32_e32 v3, v3, v176
	v_mul_f32_e32 v5, v155, v181
	v_fma_f32 v142, v144, v194, -v146
	v_fmac_f32_e32 v149, v145, v194
	v_add_f32_e32 v2, v2, v4
	v_add_f32_e32 v3, v3, v178
	v_mul_f32_e32 v4, v157, v191
	v_fma_f32 v5, v154, v166, -v5
	v_mul_f32_e32 v170, v156, v191
	v_add_f32_e32 v2, v2, v142
	v_fmac_f32_e32 v180, v155, v166
	v_add_f32_e32 v3, v3, v149
	s_waitcnt lgkmcnt(2)
	v_mul_f32_e32 v142, v7, v192
	s_waitcnt vmcnt(3)
	v_fma_f32 v4, v156, v200, -v4
	v_add_f32_e32 v2, v2, v5
	v_mul_f32_e32 v172, v6, v192
	v_fmac_f32_e32 v170, v157, v200
	v_add_f32_e32 v3, v3, v180
	v_mul_f32_e32 v5, v9, v207
	v_fma_f32 v6, v6, v167, -v142
	v_add_f32_e32 v2, v2, v4
	v_mul_f32_e32 v183, v8, v207
	v_fmac_f32_e32 v172, v7, v167
	v_add_f32_e32 v3, v3, v170
	s_waitcnt lgkmcnt(1)
	v_mul_f32_e32 v4, v159, v208
	v_fma_f32 v5, v8, v163, -v5
	v_add_f32_e32 v2, v2, v6
	v_mul_f32_e32 v182, v158, v208
	v_fmac_f32_e32 v183, v9, v163
	v_add_f32_e32 v3, v3, v172
	v_mul_f32_e32 v6, v161, v193
	v_fma_f32 v4, v158, v12, -v4
	v_add_f32_e32 v2, v2, v5
	v_mul_f32_e32 v184, v160, v193
	v_fmac_f32_e32 v182, v159, v12
	v_add_f32_e32 v3, v3, v183
	s_waitcnt lgkmcnt(0)
	v_mul_f32_e32 v5, v11, v162
	s_waitcnt vmcnt(1)
	v_fma_f32 v6, v160, v210, -v6
	v_add_f32_e32 v2, v2, v4
	v_mul_f32_e32 v168, v10, v162
	v_fmac_f32_e32 v184, v161, v210
	v_add_f32_e32 v3, v3, v182
	v_fma_f32 v4, v10, v202, -v5
	v_add_f32_e32 v2, v2, v6
	v_fmac_f32_e32 v168, v11, v202
	v_add_f32_e32 v3, v3, v184
	v_add_f32_e32 v2, v2, v4
	;; [unrolled: 1-line block ×3, first 2 shown]
	s_waitcnt vmcnt(0)
	v_sub_f32_e32 v2, v211, v2
	v_sub_f32_e32 v3, v204, v3
	buffer_store_dword v2, off, s[0:3], 0 offset:80
	buffer_store_dword v3, off, s[0:3], 0 offset:84
	v_cmpx_lt_u32_e32 9, v0
	s_cbranch_execz .LBB63_379
; %bb.378:
	s_clause 0x1
	buffer_load_dword v2, off, s[0:3], 0 offset:72
	buffer_load_dword v3, off, s[0:3], 0 offset:76
	buffer_store_dword v1, off, s[0:3], 0 offset:72
	buffer_store_dword v1, off, s[0:3], 0 offset:76
	s_waitcnt vmcnt(0)
	ds_write_b64 v141, v[2:3]
.LBB63_379:
	s_or_b32 exec_lo, exec_lo, s4
	s_waitcnt lgkmcnt(0)
	s_waitcnt_vscnt null, 0x0
	s_barrier
	buffer_gl0_inv
	s_clause 0x3c
	buffer_load_dword v9, off, s[0:3], 0 offset:84
	buffer_load_dword v10, off, s[0:3], 0 offset:92
	;; [unrolled: 1-line block ×61, first 2 shown]
	ds_read_b128 v[187:190], v1 offset:592
	ds_read_b128 v[191:194], v1 offset:608
	buffer_load_dword v202, off, s[0:3], 0 offset:76
	s_mov_b32 s4, exec_lo
	s_waitcnt vmcnt(61) lgkmcnt(1)
	v_mul_f32_e32 v200, v187, v9
	v_mul_f32_e32 v9, v188, v9
	s_waitcnt vmcnt(60)
	v_mul_f32_e32 v201, v189, v10
	v_mul_f32_e32 v10, v190, v10
	s_waitcnt vmcnt(57)
	v_fmac_f32_e32 v200, v188, v6
	v_fma_f32 v203, v187, v6, -v9
	v_fmac_f32_e32 v201, v190, v5
	v_fma_f32 v204, v189, v5, -v10
	ds_read_b128 v[187:190], v1 offset:624
	s_waitcnt vmcnt(56) lgkmcnt(1)
	v_mul_f32_e32 v205, v191, v4
	v_mul_f32_e32 v4, v192, v4
	s_waitcnt vmcnt(55)
	v_mul_f32_e32 v206, v193, v3
	v_mul_f32_e32 v3, v194, v3
	v_fmac_f32_e32 v205, v192, v2
	v_fma_f32 v191, v191, v2, -v4
	s_waitcnt vmcnt(51)
	v_fmac_f32_e32 v206, v194, v177
	v_fma_f32 v177, v193, v177, -v3
	ds_read_b128 v[2:5], v1 offset:640
	s_waitcnt vmcnt(50) lgkmcnt(1)
	v_mul_f32_e32 v192, v187, v176
	v_mul_f32_e32 v6, v188, v176
	s_waitcnt vmcnt(49)
	v_mul_f32_e32 v176, v189, v174
	v_mul_f32_e32 v9, v190, v174
	v_fmac_f32_e32 v192, v188, v170
	v_fma_f32 v170, v187, v170, -v6
	v_fmac_f32_e32 v176, v190, v163
	v_fma_f32 v163, v189, v163, -v9
	ds_read_b128 v[187:190], v1 offset:656
	s_waitcnt vmcnt(48) lgkmcnt(1)
	v_mul_f32_e32 v193, v2, v168
	v_mul_f32_e32 v6, v3, v168
	s_waitcnt vmcnt(47)
	v_mul_f32_e32 v194, v4, v166
	v_mul_f32_e32 v9, v5, v166
	v_fmac_f32_e32 v193, v3, v149
	v_fma_f32 v149, v2, v149, -v6
	s_waitcnt vmcnt(43)
	v_fmac_f32_e32 v194, v5, v175
	v_fma_f32 v207, v4, v175, -v9
	ds_read_b128 v[2:5], v1 offset:672
	s_waitcnt vmcnt(42) lgkmcnt(1)
	v_mul_f32_e32 v208, v187, v173
	v_mul_f32_e32 v6, v188, v173
	s_waitcnt vmcnt(41)
	v_mul_f32_e32 v209, v189, v172
	v_mul_f32_e32 v9, v190, v172
	ds_read_b128 v[172:175], v1 offset:688
	v_fmac_f32_e32 v208, v188, v164
	v_fma_f32 v164, v187, v164, -v6
	v_fmac_f32_e32 v209, v190, v158
	v_fma_f32 v187, v189, v158, -v9
	s_waitcnt vmcnt(40) lgkmcnt(1)
	v_mul_f32_e32 v188, v2, v162
	v_mul_f32_e32 v6, v3, v162
	s_waitcnt vmcnt(39)
	v_mul_f32_e32 v162, v4, v160
	v_mul_f32_e32 v9, v5, v160
	v_fmac_f32_e32 v188, v3, v145
	v_fma_f32 v145, v2, v145, -v6
	s_waitcnt vmcnt(35)
	v_fmac_f32_e32 v162, v5, v171
	v_fma_f32 v171, v4, v171, -v9
	ds_read_b128 v[2:5], v1 offset:704
	s_waitcnt vmcnt(34) lgkmcnt(1)
	v_mul_f32_e32 v189, v172, v169
	v_mul_f32_e32 v6, v173, v169
	s_waitcnt vmcnt(33)
	v_mul_f32_e32 v190, v174, v167
	v_mul_f32_e32 v9, v175, v167
	ds_read_b128 v[166:169], v1 offset:720
	v_fmac_f32_e32 v189, v173, v156
	v_fma_f32 v156, v172, v156, -v6
	v_fmac_f32_e32 v190, v175, v151
	v_fma_f32 v151, v174, v151, -v9
	;; [unrolled: 23-line block ×3, first 2 shown]
	s_waitcnt vmcnt(24) lgkmcnt(1)
	v_mul_f32_e32 v166, v2, v148
	v_mul_f32_e32 v6, v3, v148
	s_waitcnt vmcnt(23)
	v_mul_f32_e32 v148, v4, v147
	v_mul_f32_e32 v9, v5, v147
	v_fmac_f32_e32 v166, v3, v8
	v_fma_f32 v147, v2, v8, -v6
	s_waitcnt vmcnt(19)
	v_fmac_f32_e32 v148, v5, v157
	v_fma_f32 v157, v4, v157, -v9
	ds_read_b128 v[2:5], v1 offset:768
	s_waitcnt vmcnt(18) lgkmcnt(1)
	v_mul_f32_e32 v167, v158, v154
	v_mul_f32_e32 v6, v159, v154
	s_waitcnt vmcnt(17)
	v_mul_f32_e32 v154, v160, v152
	v_mul_f32_e32 v8, v161, v152
	v_fmac_f32_e32 v167, v159, v144
	v_fma_f32 v144, v158, v144, -v6
	v_fmac_f32_e32 v154, v161, v12
	v_fma_f32 v12, v160, v12, -v8
	ds_read_b128 v[8:11], v1 offset:784
	s_waitcnt vmcnt(16) lgkmcnt(1)
	v_mul_f32_e32 v152, v2, v143
	v_mul_f32_e32 v6, v3, v143
	s_waitcnt vmcnt(15)
	v_mul_f32_e32 v143, v4, v142
	v_mul_f32_e32 v142, v5, v142
	v_fmac_f32_e32 v152, v3, v7
	v_fma_f32 v158, v2, v7, -v6
	s_waitcnt vmcnt(11)
	v_fmac_f32_e32 v143, v5, v186
	v_fma_f32 v142, v4, v186, -v142
	ds_read_b128 v[2:5], v1 offset:800
	s_waitcnt vmcnt(10) lgkmcnt(1)
	v_mul_f32_e32 v159, v8, v185
	v_mul_f32_e32 v6, v9, v185
	s_waitcnt vmcnt(9)
	v_mul_f32_e32 v7, v11, v184
	v_mul_f32_e32 v160, v10, v184
	buffer_load_dword v184, off, s[0:3], 0 offset:332
	v_fmac_f32_e32 v159, v9, v183
	v_fma_f32 v161, v8, v183, -v6
	v_fma_f32 v10, v10, v180, -v7
	ds_read_b128 v[6:9], v1 offset:816
	v_fmac_f32_e32 v160, v11, v180
	buffer_load_dword v11, off, s[0:3], 0 offset:324
	s_waitcnt vmcnt(10) lgkmcnt(1)
	v_mul_f32_e32 v168, v2, v182
	v_mul_f32_e32 v169, v3, v182
	s_waitcnt vmcnt(9)
	v_mul_f32_e32 v175, v4, v181
	v_mul_f32_e32 v180, v5, v181
	v_fmac_f32_e32 v168, v3, v179
	v_fma_f32 v169, v2, v179, -v169
	s_waitcnt vmcnt(5)
	v_fmac_f32_e32 v175, v5, v197
	v_fma_f32 v179, v4, v197, -v180
	ds_read_b128 v[2:5], v1 offset:832
	s_waitcnt vmcnt(4) lgkmcnt(1)
	v_mul_f32_e32 v180, v6, v198
	v_mul_f32_e32 v181, v7, v198
	s_waitcnt vmcnt(3)
	v_mul_f32_e32 v182, v8, v199
	v_mul_f32_e32 v183, v9, v199
	v_fmac_f32_e32 v180, v7, v196
	v_fma_f32 v181, v6, v196, -v181
	v_fmac_f32_e32 v182, v9, v195
	v_fma_f32 v183, v8, v195, -v183
	s_clause 0x4
	buffer_load_dword v185, off, s[0:3], 0 offset:352
	buffer_load_dword v186, off, s[0:3], 0 offset:344
	;; [unrolled: 1-line block ×5, first 2 shown]
	v_add_f32_e32 v7, 0, v200
	v_add_f32_e32 v6, 0, v203
	s_clause 0x1
	buffer_load_dword v198, off, s[0:3], 0 offset:348
	buffer_load_dword v199, off, s[0:3], 0 offset:356
	v_add_f32_e32 v7, v7, v201
	v_add_f32_e32 v6, v6, v204
	;; [unrolled: 1-line block ×4, first 2 shown]
	s_clause 0x1
	buffer_load_dword v191, off, s[0:3], 0 offset:364
	buffer_load_dword v200, off, s[0:3], 0 offset:372
	v_add_f32_e32 v7, v7, v206
	v_add_f32_e32 v6, v6, v177
	;; [unrolled: 1-line block ×4, first 2 shown]
	s_clause 0x3
	buffer_load_dword v170, off, s[0:3], 0 offset:384
	buffer_load_dword v177, off, s[0:3], 0 offset:376
	;; [unrolled: 1-line block ×4, first 2 shown]
	v_add_f32_e32 v7, v7, v176
	v_add_f32_e32 v6, v6, v163
	s_clause 0x2
	buffer_load_dword v163, off, s[0:3], 0 offset:380
	buffer_load_dword v176, off, s[0:3], 0 offset:388
	;; [unrolled: 1-line block ×3, first 2 shown]
	v_add_f32_e32 v7, v7, v193
	v_add_f32_e32 v6, v6, v149
	v_add_f32_e32 v7, v7, v194
	v_add_f32_e32 v6, v6, v207
	v_add_f32_e32 v7, v7, v208
	v_add_f32_e32 v6, v6, v164
	s_clause 0x4
	buffer_load_dword v164, off, s[0:3], 0 offset:416
	buffer_load_dword v193, off, s[0:3], 0 offset:408
	;; [unrolled: 1-line block ×5, first 2 shown]
	v_add_f32_e32 v7, v7, v209
	v_add_f32_e32 v6, v6, v187
	buffer_load_dword v187, off, s[0:3], 0 offset:404
	v_add_f32_e32 v7, v7, v188
	v_add_f32_e32 v6, v6, v145
	buffer_load_dword v188, off, s[0:3], 0 offset:420
	v_add_f32_e32 v7, v7, v162
	v_add_f32_e32 v6, v6, v171
	s_clause 0x4
	buffer_load_dword v171, off, s[0:3], 0 offset:428
	buffer_load_dword v206, off, s[0:3], 0 offset:436
	;; [unrolled: 1-line block ×5, first 2 shown]
	v_add_f32_e32 v7, v7, v189
	v_add_f32_e32 v6, v6, v156
	s_clause 0x3
	buffer_load_dword v189, off, s[0:3], 0 offset:468
	buffer_load_dword v209, off, s[0:3], 0 offset:476
	;; [unrolled: 1-line block ×4, first 2 shown]
	v_add_f32_e32 v7, v7, v190
	v_add_f32_e32 v6, v6, v151
	buffer_load_dword v190, off, s[0:3], 0 offset:492
	v_add_f32_e32 v7, v7, v172
	v_add_f32_e32 v6, v6, v153
	buffer_load_dword v172, off, s[0:3], 0 offset:508
	v_add_f32_e32 v7, v7, v155
	v_add_f32_e32 v6, v6, v165
	;; [unrolled: 1-line block ×3, first 2 shown]
	s_clause 0x3
	buffer_load_dword v165, off, s[0:3], 0 offset:448
	buffer_load_dword v173, off, s[0:3], 0 offset:440
	buffer_load_dword v212, off, s[0:3], 0 offset:432
	buffer_load_dword v213, off, s[0:3], 0 offset:424
	v_add_f32_e32 v6, v6, v150
	v_add_f32_e32 v7, v7, v174
	;; [unrolled: 1-line block ×4, first 2 shown]
	s_clause 0x6
	buffer_load_dword v166, off, s[0:3], 0 offset:480
	buffer_load_dword v174, off, s[0:3], 0 offset:472
	;; [unrolled: 1-line block ×7, first 2 shown]
	v_add_f32_e32 v6, v6, v147
	v_add_f32_e32 v7, v7, v148
	;; [unrolled: 1-line block ×4, first 2 shown]
	buffer_load_dword v167, off, s[0:3], 0 offset:72
	v_add_f32_e32 v6, v6, v144
	v_add_f32_e32 v7, v7, v154
	;; [unrolled: 1-line block ×3, first 2 shown]
	s_waitcnt vmcnt(46) lgkmcnt(0)
	v_mul_f32_e32 v12, v2, v11
	v_mul_f32_e32 v8, v3, v11
	v_fmac_f32_e32 v12, v3, v178
	v_fma_f32 v11, v2, v178, -v8
	v_add_f32_e32 v2, v6, v158
	v_add_f32_e32 v3, v7, v152
	ds_read_b128 v[6:9], v1 offset:848
	v_mul_f32_e32 v158, v4, v184
	v_add_f32_e32 v142, v2, v142
	v_mul_f32_e32 v2, v5, v184
	v_add_f32_e32 v143, v3, v143
	v_add_f32_e32 v146, v142, v161
	;; [unrolled: 1-line block ×3, first 2 shown]
	ds_read_b128 v[142:145], v1 offset:880
	v_add_f32_e32 v10, v146, v10
	v_add_f32_e32 v147, v147, v160
	s_waitcnt vmcnt(42)
	v_fmac_f32_e32 v158, v5, v196
	v_fma_f32 v178, v4, v196, -v2
	ds_read_b128 v[2:5], v1 offset:864
	s_waitcnt vmcnt(41) lgkmcnt(2)
	v_mul_f32_e32 v146, v7, v197
	v_mul_f32_e32 v159, v6, v197
	v_add_f32_e32 v10, v10, v169
	s_waitcnt vmcnt(40)
	v_mul_f32_e32 v150, v9, v198
	v_fma_f32 v160, v6, v195, -v146
	v_add_f32_e32 v6, v147, v168
	v_fmac_f32_e32 v159, v7, v195
	v_add_f32_e32 v7, v10, v179
	v_mul_f32_e32 v10, v8, v198
	ds_read_b128 v[146:149], v1 offset:896
	v_add_f32_e32 v6, v6, v175
	v_fma_f32 v161, v8, v186, -v150
	v_add_f32_e32 v7, v7, v181
	v_fmac_f32_e32 v10, v9, v186
	s_waitcnt vmcnt(37) lgkmcnt(2)
	v_mul_f32_e32 v155, v143, v200
	v_add_f32_e32 v6, v6, v180
	v_mul_f32_e32 v175, v142, v200
	s_waitcnt lgkmcnt(1)
	v_mul_f32_e32 v151, v3, v199
	v_mul_f32_e32 v168, v2, v199
	;; [unrolled: 1-line block ×4, first 2 shown]
	s_waitcnt vmcnt(34)
	v_fma_f32 v181, v142, v201, -v155
	v_fma_f32 v179, v2, v185, -v151
	v_add_f32_e32 v2, v7, v183
	v_fmac_f32_e32 v168, v3, v185
	v_add_f32_e32 v3, v6, v182
	s_waitcnt vmcnt(33)
	v_fma_f32 v180, v4, v203, -v154
	ds_read_b128 v[6:9], v1 offset:912
	ds_read_b128 v[150:153], v1 offset:928
	v_add_f32_e32 v11, v2, v11
	v_fmac_f32_e32 v169, v5, v203
	v_add_f32_e32 v12, v3, v12
	s_waitcnt vmcnt(32)
	v_mul_f32_e32 v142, v145, v163
	v_fmac_f32_e32 v175, v143, v201
	v_add_f32_e32 v11, v11, v178
	v_mul_f32_e32 v178, v144, v163
	v_add_f32_e32 v12, v12, v158
	s_waitcnt vmcnt(31) lgkmcnt(2)
	v_mul_f32_e32 v163, v146, v176
	v_mul_f32_e32 v143, v147, v176
	v_add_f32_e32 v11, v11, v160
	v_fmac_f32_e32 v178, v145, v177
	v_add_f32_e32 v12, v12, v159
	v_fma_f32 v177, v144, v177, -v142
	s_waitcnt vmcnt(30)
	v_mul_f32_e32 v176, v149, v192
	v_add_f32_e32 v11, v11, v161
	v_fmac_f32_e32 v163, v147, v170
	v_add_f32_e32 v10, v12, v10
	v_fma_f32 v170, v146, v170, -v143
	v_mul_f32_e32 v182, v148, v192
	v_add_f32_e32 v11, v11, v179
	s_waitcnt vmcnt(26)
	v_fma_f32 v176, v148, v204, -v176
	v_add_f32_e32 v10, v10, v168
	s_waitcnt vmcnt(24) lgkmcnt(1)
	v_mul_f32_e32 v12, v7, v187
	ds_read_b128 v[2:5], v1 offset:944
	ds_read_b128 v[154:157], v1 offset:960
	v_add_f32_e32 v11, v11, v180
	ds_read_b128 v[142:145], v1 offset:976
	ds_read_b128 v[158:161], v1 offset:992
	v_add_f32_e32 v10, v10, v169
	v_fmac_f32_e32 v182, v149, v204
	ds_read_b128 v[146:149], v1 offset:1008
	v_add_f32_e32 v11, v11, v181
	v_mul_f32_e32 v1, v6, v187
	v_add_f32_e32 v10, v10, v175
	v_mul_f32_e32 v179, v9, v205
	v_fma_f32 v6, v6, v194, -v12
	v_add_f32_e32 v11, v11, v177
	v_mul_f32_e32 v168, v8, v205
	v_add_f32_e32 v10, v10, v178
	v_fmac_f32_e32 v1, v7, v194
	s_waitcnt vmcnt(23) lgkmcnt(5)
	v_mul_f32_e32 v12, v151, v188
	v_add_f32_e32 v11, v11, v170
	v_fma_f32 v8, v8, v193, -v179
	v_add_f32_e32 v10, v10, v163
	v_mul_f32_e32 v180, v150, v188
	v_fmac_f32_e32 v168, v9, v193
	v_add_f32_e32 v11, v11, v176
	s_waitcnt vmcnt(22)
	v_mul_f32_e32 v9, v153, v171
	v_add_f32_e32 v10, v10, v182
	v_mul_f32_e32 v169, v152, v171
	v_fmac_f32_e32 v180, v151, v164
	v_add_f32_e32 v6, v11, v6
	s_waitcnt vmcnt(21) lgkmcnt(4)
	v_mul_f32_e32 v183, v2, v206
	v_add_f32_e32 v1, v10, v1
	v_fma_f32 v10, v150, v164, -v12
	s_waitcnt vmcnt(8)
	v_fma_f32 v9, v152, v213, -v9
	v_add_f32_e32 v6, v6, v8
	v_mul_f32_e32 v8, v3, v206
	v_add_f32_e32 v1, v1, v168
	v_fmac_f32_e32 v169, v153, v213
	v_fmac_f32_e32 v183, v3, v212
	v_add_f32_e32 v6, v6, v10
	v_mul_f32_e32 v10, v5, v162
	v_add_f32_e32 v1, v1, v180
	v_fma_f32 v2, v2, v212, -v8
	v_mul_f32_e32 v181, v4, v162
	v_add_f32_e32 v3, v6, v9
	s_waitcnt lgkmcnt(3)
	v_mul_f32_e32 v6, v155, v207
	v_add_f32_e32 v1, v1, v169
	v_fma_f32 v4, v4, v173, -v10
	v_mul_f32_e32 v175, v154, v207
	v_add_f32_e32 v2, v3, v2
	v_fmac_f32_e32 v181, v5, v173
	v_add_f32_e32 v1, v1, v183
	v_mul_f32_e32 v3, v157, v208
	v_fma_f32 v5, v154, v165, -v6
	v_add_f32_e32 v2, v2, v4
	v_mul_f32_e32 v184, v156, v208
	v_fmac_f32_e32 v175, v155, v165
	v_add_f32_e32 v1, v1, v181
	s_waitcnt lgkmcnt(2)
	v_mul_f32_e32 v4, v143, v189
	s_waitcnt vmcnt(4)
	v_fma_f32 v3, v156, v215, -v3
	v_add_f32_e32 v2, v2, v5
	v_mul_f32_e32 v177, v142, v189
	v_fmac_f32_e32 v184, v157, v215
	v_add_f32_e32 v1, v1, v175
	v_mul_f32_e32 v5, v145, v209
	v_fma_f32 v4, v142, v214, -v4
	v_add_f32_e32 v2, v2, v3
	v_mul_f32_e32 v178, v144, v209
	v_fmac_f32_e32 v177, v143, v214
	v_add_f32_e32 v1, v1, v184
	s_waitcnt lgkmcnt(1)
	v_mul_f32_e32 v3, v159, v210
	v_fma_f32 v5, v144, v174, -v5
	v_add_f32_e32 v2, v2, v4
	v_mul_f32_e32 v185, v158, v210
	v_fmac_f32_e32 v178, v145, v174
	v_add_f32_e32 v1, v1, v177
	v_mul_f32_e32 v4, v161, v190
	v_fma_f32 v3, v158, v166, -v3
	v_add_f32_e32 v2, v2, v5
	v_mul_f32_e32 v170, v160, v190
	v_fmac_f32_e32 v185, v159, v166
	v_add_f32_e32 v1, v1, v178
	s_waitcnt lgkmcnt(0)
	v_mul_f32_e32 v5, v147, v211
	s_waitcnt vmcnt(1)
	v_fma_f32 v4, v160, v218, -v4
	v_add_f32_e32 v2, v2, v3
	v_mul_f32_e32 v163, v146, v211
	v_fmac_f32_e32 v170, v161, v218
	v_add_f32_e32 v1, v1, v185
	v_mul_f32_e32 v3, v149, v172
	v_fma_f32 v5, v146, v217, -v5
	v_add_f32_e32 v2, v2, v4
	v_mul_f32_e32 v7, v148, v172
	v_fmac_f32_e32 v163, v147, v217
	v_add_f32_e32 v1, v1, v170
	v_fma_f32 v3, v148, v216, -v3
	v_add_f32_e32 v2, v2, v5
	v_fmac_f32_e32 v7, v149, v216
	v_add_f32_e32 v1, v1, v163
	v_add_f32_e32 v2, v2, v3
	;; [unrolled: 1-line block ×3, first 2 shown]
	s_waitcnt vmcnt(0)
	v_sub_f32_e32 v2, v167, v2
	v_sub_f32_e32 v1, v202, v1
	buffer_store_dword v2, off, s[0:3], 0 offset:72
	buffer_store_dword v1, off, s[0:3], 0 offset:76
	v_cmpx_lt_u32_e32 8, v0
	s_cbranch_execz .LBB63_381
; %bb.380:
	s_clause 0x1
	buffer_load_dword v1, off, s[0:3], 0 offset:64
	buffer_load_dword v2, off, s[0:3], 0 offset:68
	v_mov_b32_e32 v3, 0
	buffer_store_dword v3, off, s[0:3], 0 offset:64
	buffer_store_dword v3, off, s[0:3], 0 offset:68
	s_waitcnt vmcnt(0)
	ds_write_b64 v141, v[1:2]
.LBB63_381:
	s_or_b32 exec_lo, exec_lo, s4
	s_waitcnt lgkmcnt(0)
	s_waitcnt_vscnt null, 0x0
	s_barrier
	buffer_gl0_inv
	s_clause 0x3c
	buffer_load_dword v2, off, s[0:3], 0 offset:76
	buffer_load_dword v3, off, s[0:3], 0 offset:84
	buffer_load_dword v4, off, s[0:3], 0 offset:92
	buffer_load_dword v5, off, s[0:3], 0 offset:100
	buffer_load_dword v6, off, s[0:3], 0 offset:88
	buffer_load_dword v7, off, s[0:3], 0 offset:80
	buffer_load_dword v8, off, s[0:3], 0 offset:72
	buffer_load_dword v142, off, s[0:3], 0 offset:120
	buffer_load_dword v147, off, s[0:3], 0 offset:112
	buffer_load_dword v151, off, s[0:3], 0 offset:104
	buffer_load_dword v172, off, s[0:3], 0 offset:96
	buffer_load_dword v169, off, s[0:3], 0 offset:108
	buffer_load_dword v167, off, s[0:3], 0 offset:116
	buffer_load_dword v164, off, s[0:3], 0 offset:124
	buffer_load_dword v162, off, s[0:3], 0 offset:132
	buffer_load_dword v148, off, s[0:3], 0 offset:152
	buffer_load_dword v154, off, s[0:3], 0 offset:144
	buffer_load_dword v157, off, s[0:3], 0 offset:136
	buffer_load_dword v177, off, s[0:3], 0 offset:128
	buffer_load_dword v176, off, s[0:3], 0 offset:140
	buffer_load_dword v175, off, s[0:3], 0 offset:148
	buffer_load_dword v173, off, s[0:3], 0 offset:156
	buffer_load_dword v171, off, s[0:3], 0 offset:164
	buffer_load_dword v143, off, s[0:3], 0 offset:184
	buffer_load_dword v149, off, s[0:3], 0 offset:176
	buffer_load_dword v152, off, s[0:3], 0 offset:168
	buffer_load_dword v174, off, s[0:3], 0 offset:160
	buffer_load_dword v170, off, s[0:3], 0 offset:172
	buffer_load_dword v168, off, s[0:3], 0 offset:180
	buffer_load_dword v165, off, s[0:3], 0 offset:188
	buffer_load_dword v163, off, s[0:3], 0 offset:196
	buffer_load_dword v10, off, s[0:3], 0 offset:216
	buffer_load_dword v144, off, s[0:3], 0 offset:208
	buffer_load_dword v146, off, s[0:3], 0 offset:200
	buffer_load_dword v166, off, s[0:3], 0 offset:192
	buffer_load_dword v161, off, s[0:3], 0 offset:204
	buffer_load_dword v160, off, s[0:3], 0 offset:212
	buffer_load_dword v158, off, s[0:3], 0 offset:220
	buffer_load_dword v156, off, s[0:3], 0 offset:228
	buffer_load_dword v9, off, s[0:3], 0 offset:248
	buffer_load_dword v11, off, s[0:3], 0 offset:240
	buffer_load_dword v145, off, s[0:3], 0 offset:232
	buffer_load_dword v159, off, s[0:3], 0 offset:224
	buffer_load_dword v155, off, s[0:3], 0 offset:236
	buffer_load_dword v153, off, s[0:3], 0 offset:244
	buffer_load_dword v150, off, s[0:3], 0 offset:252
	buffer_load_dword v12, off, s[0:3], 0 offset:260
	buffer_load_dword v178, off, s[0:3], 0 offset:280
	buffer_load_dword v182, off, s[0:3], 0 offset:272
	buffer_load_dword v183, off, s[0:3], 0 offset:264
	buffer_load_dword v186, off, s[0:3], 0 offset:256
	buffer_load_dword v185, off, s[0:3], 0 offset:268
	buffer_load_dword v184, off, s[0:3], 0 offset:276
	buffer_load_dword v180, off, s[0:3], 0 offset:284
	buffer_load_dword v179, off, s[0:3], 0 offset:292
	buffer_load_dword v181, off, s[0:3], 0 offset:312
	buffer_load_dword v187, off, s[0:3], 0 offset:304
	buffer_load_dword v198, off, s[0:3], 0 offset:296
	buffer_load_dword v199, off, s[0:3], 0 offset:288
	buffer_load_dword v200, off, s[0:3], 0 offset:300
	buffer_load_dword v189, off, s[0:3], 0 offset:308
	v_mov_b32_e32 v1, 0
	ds_read2_b64 v[190:193], v1 offset0:73 offset1:74
	ds_read2_b64 v[194:197], v1 offset0:75 offset1:76
	buffer_load_dword v188, off, s[0:3], 0 offset:68
	s_mov_b32 s4, exec_lo
	s_waitcnt vmcnt(61) lgkmcnt(1)
	v_mul_f32_e32 v201, v190, v2
	v_mul_f32_e32 v2, v191, v2
	s_waitcnt vmcnt(60)
	v_mul_f32_e32 v202, v192, v3
	v_mul_f32_e32 v3, v193, v3
	s_waitcnt vmcnt(59) lgkmcnt(0)
	v_mul_f32_e32 v203, v194, v4
	v_mul_f32_e32 v204, v195, v4
	s_waitcnt vmcnt(58)
	v_mul_f32_e32 v205, v196, v5
	v_mul_f32_e32 v206, v197, v5
	s_waitcnt vmcnt(55)
	v_fmac_f32_e32 v201, v191, v8
	v_fma_f32 v8, v190, v8, -v2
	v_fmac_f32_e32 v202, v193, v7
	v_fma_f32 v7, v192, v7, -v3
	ds_read2_b64 v[2:5], v1 offset0:77 offset1:78
	ds_read2_b64 v[190:193], v1 offset0:79 offset1:80
	v_fmac_f32_e32 v203, v195, v6
	v_fma_f32 v6, v194, v6, -v204
	s_waitcnt vmcnt(51)
	v_fma_f32 v194, v196, v172, -v206
	v_fmac_f32_e32 v205, v197, v172
	v_add_f32_e32 v8, 0, v8
	v_add_f32_e32 v7, v8, v7
	;; [unrolled: 1-line block ×3, first 2 shown]
	s_waitcnt vmcnt(50) lgkmcnt(1)
	v_mul_f32_e32 v195, v2, v169
	v_mul_f32_e32 v169, v3, v169
	s_waitcnt vmcnt(49)
	v_mul_f32_e32 v196, v4, v167
	v_mul_f32_e32 v167, v5, v167
	s_waitcnt vmcnt(48) lgkmcnt(0)
	v_mul_f32_e32 v197, v190, v164
	v_fmac_f32_e32 v195, v3, v151
	v_fma_f32 v151, v2, v151, -v169
	v_fmac_f32_e32 v196, v5, v147
	v_fma_f32 v167, v4, v147, -v167
	ds_read2_b64 v[2:5], v1 offset0:81 offset1:82
	v_mul_f32_e32 v164, v191, v164
	s_waitcnt vmcnt(47)
	v_mul_f32_e32 v204, v192, v162
	v_mul_f32_e32 v162, v193, v162
	v_fmac_f32_e32 v197, v191, v142
	v_fma_f32 v142, v190, v142, -v164
	s_waitcnt vmcnt(43)
	v_fmac_f32_e32 v204, v193, v177
	v_fma_f32 v169, v192, v177, -v162
	ds_read2_b64 v[190:193], v1 offset0:83 offset1:84
	s_waitcnt vmcnt(42) lgkmcnt(1)
	v_mul_f32_e32 v177, v2, v176
	v_mul_f32_e32 v147, v3, v176
	s_waitcnt vmcnt(41)
	v_mul_f32_e32 v176, v4, v175
	v_mul_f32_e32 v162, v5, v175
	v_fmac_f32_e32 v177, v3, v157
	v_fma_f32 v157, v2, v157, -v147
	v_fmac_f32_e32 v176, v5, v154
	v_fma_f32 v154, v4, v154, -v162
	ds_read2_b64 v[2:5], v1 offset0:85 offset1:86
	s_waitcnt vmcnt(40) lgkmcnt(1)
	v_mul_f32_e32 v175, v190, v173
	s_waitcnt vmcnt(39)
	v_mul_f32_e32 v206, v192, v171
	v_mul_f32_e32 v171, v193, v171
	;; [unrolled: 1-line block ×3, first 2 shown]
	v_fmac_f32_e32 v175, v191, v148
	s_waitcnt vmcnt(35)
	v_fmac_f32_e32 v206, v193, v174
	v_fma_f32 v191, v192, v174, -v171
	ds_read2_b64 v[171:174], v1 offset0:87 offset1:88
	v_fma_f32 v190, v190, v148, -v164
	s_waitcnt vmcnt(34) lgkmcnt(1)
	v_mul_f32_e32 v192, v2, v170
	v_mul_f32_e32 v147, v3, v170
	s_waitcnt vmcnt(33)
	v_mul_f32_e32 v170, v4, v168
	v_mul_f32_e32 v148, v5, v168
	v_fmac_f32_e32 v192, v3, v152
	v_fma_f32 v152, v2, v152, -v147
	v_fmac_f32_e32 v170, v5, v149
	v_fma_f32 v207, v4, v149, -v148
	ds_read2_b64 v[2:5], v1 offset0:89 offset1:90
	s_waitcnt vmcnt(32) lgkmcnt(1)
	v_mul_f32_e32 v168, v171, v165
	v_mul_f32_e32 v162, v172, v165
	s_waitcnt vmcnt(31)
	v_mul_f32_e32 v193, v173, v163
	v_mul_f32_e32 v163, v174, v163
	v_fmac_f32_e32 v168, v172, v143
	v_fma_f32 v143, v171, v143, -v162
	s_waitcnt vmcnt(27)
	v_fmac_f32_e32 v193, v174, v166
	v_fma_f32 v166, v173, v166, -v163
	ds_read2_b64 v[162:165], v1 offset0:91 offset1:92
	s_waitcnt vmcnt(26) lgkmcnt(1)
	v_mul_f32_e32 v171, v2, v161
	v_mul_f32_e32 v147, v3, v161
	s_waitcnt vmcnt(25)
	v_mul_f32_e32 v161, v4, v160
	v_mul_f32_e32 v148, v5, v160
	v_fmac_f32_e32 v171, v3, v146
	v_fma_f32 v172, v2, v146, -v147
	v_fmac_f32_e32 v161, v5, v144
	v_fma_f32 v144, v4, v144, -v148
	ds_read2_b64 v[2:5], v1 offset0:93 offset1:94
	s_waitcnt vmcnt(24) lgkmcnt(1)
	v_mul_f32_e32 v160, v162, v158
	v_mul_f32_e32 v149, v163, v158
	s_waitcnt vmcnt(23)
	v_mul_f32_e32 v158, v164, v156
	v_mul_f32_e32 v156, v165, v156
	v_fmac_f32_e32 v160, v163, v10
	v_fma_f32 v10, v162, v10, -v149
	ds_read2_b64 v[146:149], v1 offset0:95 offset1:96
	s_waitcnt vmcnt(19)
	v_fmac_f32_e32 v158, v165, v159
	v_fma_f32 v156, v164, v159, -v156
	buffer_load_dword v159, off, s[0:3], 0 offset:316
	s_waitcnt vmcnt(18) lgkmcnt(1)
	v_mul_f32_e32 v163, v4, v153
	v_mul_f32_e32 v153, v5, v153
	;; [unrolled: 1-line block ×4, first 2 shown]
	v_fmac_f32_e32 v163, v5, v11
	v_fma_f32 v11, v4, v11, -v153
	s_clause 0x4
	buffer_load_dword v153, off, s[0:3], 0 offset:324
	buffer_load_dword v165, off, s[0:3], 0 offset:344
	;; [unrolled: 1-line block ×5, first 2 shown]
	s_waitcnt vmcnt(22) lgkmcnt(0)
	v_mul_f32_e32 v164, v146, v150
	v_mul_f32_e32 v150, v147, v150
	v_fmac_f32_e32 v162, v3, v145
	v_fma_f32 v145, v2, v145, -v155
	s_waitcnt vmcnt(21)
	v_mul_f32_e32 v2, v149, v12
	v_mul_f32_e32 v155, v148, v12
	v_fmac_f32_e32 v164, v147, v9
	v_fma_f32 v12, v146, v9, -v150
	v_add_f32_e32 v9, 0, v201
	s_waitcnt vmcnt(17)
	v_fma_f32 v146, v148, v186, -v2
	ds_read2_b64 v[2:5], v1 offset0:97 offset1:98
	buffer_load_dword v147, off, s[0:3], 0 offset:332
	v_add_f32_e32 v148, v6, v194
	v_add_f32_e32 v8, v9, v202
	v_fmac_f32_e32 v155, v149, v186
	s_clause 0x2
	buffer_load_dword v150, off, s[0:3], 0 offset:340
	buffer_load_dword v186, off, s[0:3], 0 offset:348
	;; [unrolled: 1-line block ×3, first 2 shown]
	v_add_f32_e32 v148, v148, v151
	v_add_f32_e32 v7, v8, v203
	;; [unrolled: 1-line block ×4, first 2 shown]
	ds_read2_b64 v[6:9], v1 offset0:99 offset1:100
	buffer_load_dword v167, off, s[0:3], 0 offset:364
	v_add_f32_e32 v149, v149, v195
	s_waitcnt vmcnt(21) lgkmcnt(1)
	v_mul_f32_e32 v151, v2, v185
	v_mul_f32_e32 v185, v3, v185
	s_waitcnt vmcnt(20)
	v_mul_f32_e32 v195, v4, v184
	v_mul_f32_e32 v184, v5, v184
	v_fmac_f32_e32 v151, v3, v183
	v_fma_f32 v183, v2, v183, -v185
	v_add_f32_e32 v2, v149, v196
	v_fmac_f32_e32 v195, v5, v182
	v_fma_f32 v182, v4, v182, -v184
	s_clause 0x3
	buffer_load_dword v184, off, s[0:3], 0 offset:376
	buffer_load_dword v185, off, s[0:3], 0 offset:368
	;; [unrolled: 1-line block ×4, first 2 shown]
	v_add_f32_e32 v3, v148, v142
	v_add_f32_e32 v2, v2, v197
	s_waitcnt vmcnt(23) lgkmcnt(0)
	v_mul_f32_e32 v149, v6, v180
	v_add_f32_e32 v142, v3, v169
	s_clause 0x2
	buffer_load_dword v169, off, s[0:3], 0 offset:372
	buffer_load_dword v197, off, s[0:3], 0 offset:380
	;; [unrolled: 1-line block ×3, first 2 shown]
	v_add_f32_e32 v148, v2, v204
	ds_read2_b64 v[2:5], v1 offset0:101 offset1:102
	v_fmac_f32_e32 v149, v7, v178
	v_add_f32_e32 v142, v142, v157
	v_mul_f32_e32 v157, v7, v180
	v_add_f32_e32 v148, v148, v177
	s_waitcnt vmcnt(25)
	v_mul_f32_e32 v177, v8, v179
	v_mul_f32_e32 v179, v9, v179
	v_add_f32_e32 v7, v142, v154
	v_fma_f32 v154, v6, v178, -v157
	v_add_f32_e32 v6, v148, v176
	s_waitcnt vmcnt(21)
	v_fmac_f32_e32 v177, v9, v199
	v_fma_f32 v157, v8, v199, -v179
	v_add_f32_e32 v142, v7, v190
	s_clause 0x4
	buffer_load_dword v176, off, s[0:3], 0 offset:408
	buffer_load_dword v178, off, s[0:3], 0 offset:400
	;; [unrolled: 1-line block ×5, first 2 shown]
	v_add_f32_e32 v148, v6, v175
	ds_read2_b64 v[6:9], v1 offset0:103 offset1:104
	v_add_f32_e32 v142, v142, v191
	v_add_f32_e32 v148, v148, v206
	s_waitcnt vmcnt(25) lgkmcnt(1)
	v_mul_f32_e32 v191, v3, v200
	v_mul_f32_e32 v175, v2, v200
	v_add_f32_e32 v142, v142, v152
	s_clause 0x2
	buffer_load_dword v199, off, s[0:3], 0 offset:404
	buffer_load_dword v200, off, s[0:3], 0 offset:412
	;; [unrolled: 1-line block ×3, first 2 shown]
	v_fma_f32 v152, v2, v198, -v191
	v_add_f32_e32 v2, v148, v192
	v_fmac_f32_e32 v175, v3, v198
	v_add_f32_e32 v3, v142, v207
	s_waitcnt vmcnt(27)
	v_mul_f32_e32 v191, v4, v189
	s_clause 0x1
	buffer_load_dword v192, off, s[0:3], 0 offset:428
	buffer_load_dword v198, off, s[0:3], 0 offset:436
	v_add_f32_e32 v2, v2, v170
	v_mul_f32_e32 v142, v5, v189
	v_add_f32_e32 v3, v3, v143
	s_clause 0x2
	buffer_load_dword v170, off, s[0:3], 0 offset:444
	buffer_load_dword v189, off, s[0:3], 0 offset:452
	;; [unrolled: 1-line block ×3, first 2 shown]
	v_add_f32_e32 v2, v2, v168
	v_fmac_f32_e32 v191, v5, v187
	v_add_f32_e32 v3, v3, v166
	s_clause 0x2
	buffer_load_dword v166, off, s[0:3], 0 offset:468
	buffer_load_dword v168, off, s[0:3], 0 offset:476
	;; [unrolled: 1-line block ×3, first 2 shown]
	v_fma_f32 v187, v4, v187, -v142
	v_add_f32_e32 v2, v2, v193
	v_add_f32_e32 v3, v3, v172
	s_clause 0x2
	buffer_load_dword v172, off, s[0:3], 0 offset:492
	buffer_load_dword v193, off, s[0:3], 0 offset:500
	buffer_load_dword v206, off, s[0:3], 0 offset:508
	v_add_f32_e32 v2, v2, v171
	s_clause 0x7
	buffer_load_dword v171, off, s[0:3], 0 offset:440
	buffer_load_dword v207, off, s[0:3], 0 offset:432
	;; [unrolled: 1-line block ×8, first 2 shown]
	v_add_f32_e32 v3, v3, v144
	v_add_f32_e32 v2, v2, v161
	;; [unrolled: 1-line block ×8, first 2 shown]
	s_clause 0x3
	buffer_load_dword v162, off, s[0:3], 0 offset:504
	buffer_load_dword v215, off, s[0:3], 0 offset:496
	;; [unrolled: 1-line block ×4, first 2 shown]
	v_add_f32_e32 v3, v3, v11
	v_add_f32_e32 v2, v2, v163
	buffer_load_dword v163, off, s[0:3], 0 offset:64
	v_add_f32_e32 v3, v3, v12
	v_add_f32_e32 v2, v2, v164
	s_waitcnt vmcnt(49) lgkmcnt(0)
	v_mul_f32_e32 v10, v6, v159
	v_mul_f32_e32 v4, v7, v159
	v_fmac_f32_e32 v10, v7, v181
	v_fma_f32 v11, v6, v181, -v4
	v_add_f32_e32 v6, v3, v146
	v_add_f32_e32 v7, v2, v155
	ds_read2_b64 v[2:5], v1 offset0:105 offset1:106
	v_add_f32_e32 v12, v6, v183
	s_waitcnt vmcnt(48)
	v_mul_f32_e32 v155, v8, v153
	v_mul_f32_e32 v6, v9, v153
	v_add_f32_e32 v142, v7, v151
	v_add_f32_e32 v12, v12, v182
	s_waitcnt vmcnt(44)
	v_fmac_f32_e32 v155, v9, v208
	v_fma_f32 v156, v8, v208, -v6
	ds_read2_b64 v[6:9], v1 offset0:107 offset1:108
	v_add_f32_e32 v146, v142, v195
	v_add_f32_e32 v12, v12, v154
	ds_read2_b64 v[142:145], v1 offset0:109 offset1:110
	v_add_f32_e32 v146, v146, v149
	v_add_f32_e32 v12, v12, v157
	s_waitcnt vmcnt(43) lgkmcnt(2)
	v_mul_f32_e32 v158, v2, v147
	v_mul_f32_e32 v147, v3, v147
	v_fmac_f32_e32 v158, v3, v174
	v_fma_f32 v159, v2, v174, -v147
	v_add_f32_e32 v2, v146, v177
	v_add_f32_e32 v3, v12, v152
	ds_read2_b64 v[146:149], v1 offset0:111 offset1:112
	s_waitcnt vmcnt(42)
	v_mul_f32_e32 v12, v4, v150
	s_waitcnt vmcnt(41) lgkmcnt(2)
	v_mul_f32_e32 v151, v7, v186
	v_add_f32_e32 v2, v2, v175
	v_add_f32_e32 v3, v3, v187
	v_mul_f32_e32 v164, v6, v186
	v_mul_f32_e32 v150, v5, v150
	v_fma_f32 v161, v6, v165, -v151
	v_add_f32_e32 v2, v2, v191
	v_add_f32_e32 v6, v3, v11
	v_fmac_f32_e32 v164, v7, v165
	s_waitcnt vmcnt(39) lgkmcnt(1)
	v_mul_f32_e32 v175, v142, v167
	v_fma_f32 v160, v4, v173, -v150
	v_add_f32_e32 v7, v2, v10
	v_mul_f32_e32 v10, v143, v167
	v_add_f32_e32 v11, v6, v156
	v_fmac_f32_e32 v12, v5, v173
	v_mul_f32_e32 v154, v9, v194
	v_mul_f32_e32 v174, v8, v194
	s_waitcnt vmcnt(36)
	v_fma_f32 v167, v142, v196, -v10
	v_add_f32_e32 v10, v7, v155
	v_add_f32_e32 v11, v11, v159
	s_waitcnt vmcnt(35)
	v_fma_f32 v165, v8, v201, -v154
	ds_read2_b64 v[2:5], v1 offset0:113 offset1:114
	ds_read2_b64 v[150:153], v1 offset0:115 offset1:116
	v_fmac_f32_e32 v174, v9, v201
	v_add_f32_e32 v10, v10, v158
	v_add_f32_e32 v11, v11, v160
	s_waitcnt vmcnt(34)
	v_mul_f32_e32 v142, v145, v169
	v_fmac_f32_e32 v175, v143, v196
	v_mul_f32_e32 v173, v144, v169
	v_add_f32_e32 v10, v10, v12
	v_add_f32_e32 v12, v11, v161
	s_waitcnt vmcnt(33) lgkmcnt(2)
	v_mul_f32_e32 v143, v147, v197
	v_fma_f32 v182, v144, v185, -v142
	v_mul_f32_e32 v169, v146, v197
	v_add_f32_e32 v164, v10, v164
	v_add_f32_e32 v12, v12, v165
	v_fmac_f32_e32 v173, v145, v185
	s_waitcnt vmcnt(32)
	v_mul_f32_e32 v177, v148, v202
	v_mul_f32_e32 v181, v149, v202
	v_add_f32_e32 v164, v164, v174
	v_add_f32_e32 v12, v12, v167
	v_fma_f32 v183, v146, v184, -v143
	v_fmac_f32_e32 v169, v147, v184
	s_waitcnt vmcnt(28)
	v_fmac_f32_e32 v177, v149, v180
	v_add_f32_e32 v164, v164, v175
	v_add_f32_e32 v12, v12, v182
	v_fma_f32 v180, v148, v180, -v181
	s_waitcnt vmcnt(27) lgkmcnt(1)
	v_mul_f32_e32 v181, v3, v190
	ds_read2_b64 v[6:9], v1 offset0:117 offset1:118
	ds_read2_b64 v[154:157], v1 offset0:119 offset1:120
	v_add_f32_e32 v164, v164, v173
	v_add_f32_e32 v12, v12, v183
	v_mul_f32_e32 v165, v2, v190
	s_waitcnt vmcnt(26)
	v_mul_f32_e32 v184, v5, v199
	v_fma_f32 v2, v2, v179, -v181
	v_add_f32_e32 v164, v164, v169
	v_add_f32_e32 v12, v12, v180
	v_mul_f32_e32 v174, v4, v199
	v_fmac_f32_e32 v165, v3, v179
	s_waitcnt vmcnt(25) lgkmcnt(2)
	v_mul_f32_e32 v181, v151, v200
	v_add_f32_e32 v164, v164, v177
	v_fma_f32 v4, v4, v178, -v184
	v_add_f32_e32 v2, v12, v2
	v_mul_f32_e32 v167, v150, v200
	v_fmac_f32_e32 v174, v5, v178
	v_add_f32_e32 v12, v164, v165
	s_waitcnt vmcnt(24)
	v_mul_f32_e32 v177, v153, v203
	v_fma_f32 v150, v150, v176, -v181
	v_add_f32_e32 v2, v2, v4
	v_mul_f32_e32 v175, v152, v203
	v_fmac_f32_e32 v167, v151, v176
	v_add_f32_e32 v4, v12, v174
	s_waitcnt vmcnt(23) lgkmcnt(1)
	v_mul_f32_e32 v12, v7, v192
	v_add_f32_e32 v2, v2, v150
	ds_read2_b64 v[142:145], v1 offset0:121 offset1:122
	ds_read2_b64 v[158:161], v1 offset0:123 offset1:124
	s_waitcnt vmcnt(9)
	v_fma_f32 v151, v152, v210, -v177
	v_mul_f32_e32 v3, v6, v192
	v_fmac_f32_e32 v175, v153, v210
	v_add_f32_e32 v4, v4, v167
	v_mul_f32_e32 v150, v9, v198
	v_fma_f32 v6, v6, v209, -v12
	v_add_f32_e32 v2, v2, v151
	v_mul_f32_e32 v179, v8, v198
	v_fmac_f32_e32 v3, v7, v209
	v_add_f32_e32 v4, v4, v175
	s_waitcnt lgkmcnt(2)
	v_mul_f32_e32 v7, v155, v170
	v_fma_f32 v8, v8, v207, -v150
	v_add_f32_e32 v2, v2, v6
	v_mul_f32_e32 v173, v154, v170
	v_fmac_f32_e32 v179, v9, v207
	v_add_f32_e32 v3, v4, v3
	v_mul_f32_e32 v4, v157, v189
	v_fma_f32 v6, v154, v171, -v7
	v_add_f32_e32 v2, v2, v8
	v_mul_f32_e32 v5, v156, v189
	v_fmac_f32_e32 v173, v155, v171
	v_add_f32_e32 v3, v3, v179
	s_waitcnt lgkmcnt(1)
	v_mul_f32_e32 v7, v143, v204
	s_waitcnt vmcnt(5)
	v_fma_f32 v4, v156, v214, -v4
	v_add_f32_e32 v2, v2, v6
	ds_read2_b64 v[146:149], v1 offset0:125 offset1:126
	ds_read_b64 v[10:11], v1 offset:1016
	v_mul_f32_e32 v178, v142, v204
	v_fmac_f32_e32 v5, v157, v214
	v_add_f32_e32 v3, v3, v173
	v_mul_f32_e32 v6, v145, v166
	v_fma_f32 v7, v142, v213, -v7
	v_add_f32_e32 v2, v2, v4
	v_mul_f32_e32 v169, v144, v166
	v_fmac_f32_e32 v178, v143, v213
	v_add_f32_e32 v3, v3, v5
	s_waitcnt lgkmcnt(2)
	v_mul_f32_e32 v4, v159, v168
	v_fma_f32 v5, v144, v212, -v6
	v_add_f32_e32 v2, v2, v7
	v_mul_f32_e32 v182, v158, v168
	v_fmac_f32_e32 v169, v145, v212
	v_add_f32_e32 v3, v3, v178
	v_mul_f32_e32 v6, v161, v205
	v_fma_f32 v4, v158, v211, -v4
	v_add_f32_e32 v2, v2, v5
	v_mul_f32_e32 v183, v160, v205
	v_fmac_f32_e32 v182, v159, v211
	v_add_f32_e32 v3, v3, v169
	s_waitcnt lgkmcnt(1)
	v_mul_f32_e32 v5, v147, v172
	s_waitcnt vmcnt(1)
	v_fma_f32 v6, v160, v217, -v6
	v_add_f32_e32 v2, v2, v4
	v_mul_f32_e32 v180, v146, v172
	v_fmac_f32_e32 v183, v161, v217
	v_add_f32_e32 v3, v3, v182
	v_mul_f32_e32 v4, v149, v193
	v_fma_f32 v5, v146, v216, -v5
	v_add_f32_e32 v2, v2, v6
	v_mul_f32_e32 v184, v148, v193
	v_fmac_f32_e32 v180, v147, v216
	v_add_f32_e32 v3, v3, v183
	s_waitcnt lgkmcnt(0)
	v_mul_f32_e32 v6, v11, v206
	v_fma_f32 v4, v148, v215, -v4
	v_add_f32_e32 v2, v2, v5
	v_mul_f32_e32 v164, v10, v206
	v_fmac_f32_e32 v184, v149, v215
	v_add_f32_e32 v3, v3, v180
	v_fma_f32 v5, v10, v162, -v6
	v_add_f32_e32 v2, v2, v4
	v_fmac_f32_e32 v164, v11, v162
	v_add_f32_e32 v3, v3, v184
	v_add_f32_e32 v2, v2, v5
	;; [unrolled: 1-line block ×3, first 2 shown]
	s_waitcnt vmcnt(0)
	v_sub_f32_e32 v2, v163, v2
	v_sub_f32_e32 v3, v188, v3
	buffer_store_dword v2, off, s[0:3], 0 offset:64
	buffer_store_dword v3, off, s[0:3], 0 offset:68
	v_cmpx_lt_u32_e32 7, v0
	s_cbranch_execz .LBB63_383
; %bb.382:
	s_clause 0x1
	buffer_load_dword v2, off, s[0:3], 0 offset:56
	buffer_load_dword v3, off, s[0:3], 0 offset:60
	buffer_store_dword v1, off, s[0:3], 0 offset:56
	buffer_store_dword v1, off, s[0:3], 0 offset:60
	s_waitcnt vmcnt(0)
	ds_write_b64 v141, v[2:3]
.LBB63_383:
	s_or_b32 exec_lo, exec_lo, s4
	s_waitcnt lgkmcnt(0)
	s_waitcnt_vscnt null, 0x0
	s_barrier
	buffer_gl0_inv
	s_clause 0x34
	buffer_load_dword v177, off, s[0:3], 0 offset:68
	buffer_load_dword v178, off, s[0:3], 0 offset:76
	;; [unrolled: 1-line block ×53, first 2 shown]
	ds_read_b128 v[185:188], v1 offset:576
	ds_read_b128 v[189:192], v1 offset:592
	;; [unrolled: 1-line block ×4, first 2 shown]
	s_mov_b32 s4, exec_lo
	s_waitcnt vmcnt(52) lgkmcnt(3)
	v_mul_f32_e32 v180, v185, v177
	v_mul_f32_e32 v201, v186, v177
	s_waitcnt vmcnt(51)
	v_mul_f32_e32 v177, v187, v178
	v_mul_f32_e32 v202, v188, v178
	buffer_load_dword v178, off, s[0:3], 0 offset:60
	s_waitcnt vmcnt(49)
	v_fmac_f32_e32 v180, v186, v6
	v_fma_f32 v201, v185, v6, -v201
	v_fmac_f32_e32 v177, v188, v5
	v_fma_f32 v202, v187, v5, -v202
	ds_read_b128 v[185:188], v1 offset:640
	s_waitcnt vmcnt(48) lgkmcnt(3)
	v_mul_f32_e32 v203, v189, v4
	v_mul_f32_e32 v4, v190, v4
	s_waitcnt vmcnt(47)
	v_mul_f32_e32 v204, v191, v3
	v_mul_f32_e32 v3, v192, v3
	s_waitcnt vmcnt(46) lgkmcnt(2)
	v_mul_f32_e32 v205, v193, v8
	v_fmac_f32_e32 v203, v190, v2
	v_fma_f32 v207, v189, v2, -v4
	s_waitcnt vmcnt(41)
	v_fmac_f32_e32 v204, v192, v143
	v_fma_f32 v143, v191, v143, -v3
	ds_read_b128 v[2:5], v1 offset:656
	ds_read_b128 v[189:192], v1 offset:672
	v_mul_f32_e32 v6, v194, v8
	v_mul_f32_e32 v206, v195, v7
	;; [unrolled: 1-line block ×3, first 2 shown]
	v_fmac_f32_e32 v205, v194, v142
	v_fma_f32 v142, v193, v142, -v6
	v_fmac_f32_e32 v206, v196, v11
	v_fma_f32 v11, v195, v11, -v7
	s_waitcnt vmcnt(40) lgkmcnt(3)
	v_mul_f32_e32 v193, v197, v12
	v_mul_f32_e32 v6, v198, v12
	s_waitcnt vmcnt(39)
	v_mul_f32_e32 v12, v199, v10
	v_mul_f32_e32 v7, v200, v10
	s_waitcnt vmcnt(34) lgkmcnt(2)
	v_mul_f32_e32 v195, v185, v174
	v_fmac_f32_e32 v193, v198, v9
	v_fma_f32 v194, v197, v9, -v6
	v_fmac_f32_e32 v12, v200, v175
	v_fma_f32 v175, v199, v175, -v7
	ds_read_b128 v[6:9], v1 offset:688
	v_mul_f32_e32 v174, v186, v174
	s_waitcnt vmcnt(33)
	v_mul_f32_e32 v196, v187, v173
	v_mul_f32_e32 v173, v188, v173
	s_waitcnt vmcnt(32) lgkmcnt(2)
	v_mul_f32_e32 v197, v2, v172
	v_mul_f32_e32 v172, v3, v172
	v_fmac_f32_e32 v195, v186, v167
	v_fma_f32 v174, v185, v167, -v174
	s_waitcnt vmcnt(31)
	v_mul_f32_e32 v185, v4, v171
	v_mul_f32_e32 v167, v5, v171
	v_fmac_f32_e32 v196, v188, v163
	v_fma_f32 v163, v187, v163, -v173
	s_waitcnt vmcnt(30) lgkmcnt(1)
	v_mul_f32_e32 v171, v189, v168
	v_mul_f32_e32 v173, v190, v168
	s_waitcnt vmcnt(29)
	v_mul_f32_e32 v186, v191, v169
	v_mul_f32_e32 v187, v192, v169
	buffer_load_dword v10, off, s[0:3], 0 offset:276
	v_fmac_f32_e32 v197, v3, v153
	v_fma_f32 v153, v2, v153, -v172
	s_waitcnt vmcnt(26)
	v_fmac_f32_e32 v185, v5, v170
	v_fma_f32 v172, v4, v170, -v167
	ds_read_b128 v[2:5], v1 offset:704
	ds_read_b128 v[167:170], v1 offset:720
	v_fmac_f32_e32 v171, v190, v166
	v_fma_f32 v166, v189, v166, -v173
	v_fmac_f32_e32 v186, v192, v164
	v_fma_f32 v164, v191, v164, -v187
	s_clause 0x4
	buffer_load_dword v173, off, s[0:3], 0 offset:284
	buffer_load_dword v187, off, s[0:3], 0 offset:304
	;; [unrolled: 1-line block ×5, first 2 shown]
	s_waitcnt vmcnt(30) lgkmcnt(2)
	v_mul_f32_e32 v191, v6, v159
	v_mul_f32_e32 v159, v7, v159
	s_waitcnt vmcnt(29)
	v_mul_f32_e32 v192, v8, v157
	v_mul_f32_e32 v157, v9, v157
	v_fmac_f32_e32 v191, v7, v149
	v_fma_f32 v149, v6, v149, -v159
	s_waitcnt vmcnt(25)
	v_fmac_f32_e32 v192, v9, v165
	v_fma_f32 v157, v8, v165, -v157
	ds_read_b128 v[6:9], v1 offset:736
	s_waitcnt vmcnt(24) lgkmcnt(2)
	v_mul_f32_e32 v159, v2, v162
	v_mul_f32_e32 v162, v3, v162
	s_waitcnt vmcnt(23)
	v_mul_f32_e32 v165, v4, v161
	v_mul_f32_e32 v161, v5, v161
	v_fmac_f32_e32 v159, v3, v154
	v_fma_f32 v154, v2, v154, -v162
	s_waitcnt vmcnt(22) lgkmcnt(1)
	v_mul_f32_e32 v162, v167, v158
	v_mul_f32_e32 v2, v168, v158
	v_fmac_f32_e32 v165, v5, v150
	v_fma_f32 v150, v4, v150, -v161
	s_waitcnt vmcnt(21)
	v_mul_f32_e32 v158, v169, v152
	v_mul_f32_e32 v3, v170, v152
	s_clause 0x1
	buffer_load_dword v152, off, s[0:3], 0 offset:292
	buffer_load_dword v161, off, s[0:3], 0 offset:300
	v_fmac_f32_e32 v162, v168, v145
	v_fma_f32 v145, v167, v145, -v2
	s_waitcnt vmcnt(19)
	v_fmac_f32_e32 v158, v170, v160
	v_fma_f32 v160, v169, v160, -v3
	ds_read_b128 v[2:5], v1 offset:752
	s_waitcnt vmcnt(18) lgkmcnt(1)
	v_mul_f32_e32 v167, v6, v156
	v_mul_f32_e32 v156, v7, v156
	s_waitcnt vmcnt(17)
	v_mul_f32_e32 v168, v8, v155
	v_mul_f32_e32 v155, v9, v155
	v_fmac_f32_e32 v167, v7, v151
	v_fma_f32 v151, v6, v151, -v156
	v_fmac_f32_e32 v168, v9, v146
	v_fma_f32 v146, v8, v146, -v155
	ds_read_b128 v[6:9], v1 offset:768
	buffer_load_dword v155, off, s[0:3], 0 offset:308
	s_waitcnt vmcnt(16) lgkmcnt(1)
	v_mul_f32_e32 v169, v4, v147
	v_mul_f32_e32 v147, v5, v147
	;; [unrolled: 1-line block ×4, first 2 shown]
	s_waitcnt vmcnt(12)
	v_fmac_f32_e32 v169, v5, v184
	v_fma_f32 v147, v4, v184, -v147
	buffer_load_dword v184, off, s[0:3], 0 offset:316
	v_fmac_f32_e32 v156, v3, v144
	v_fma_f32 v144, v2, v144, -v148
	s_waitcnt vmcnt(12) lgkmcnt(0)
	v_mul_f32_e32 v148, v6, v183
	v_mul_f32_e32 v170, v7, v183
	s_waitcnt vmcnt(11)
	v_mul_f32_e32 v183, v8, v182
	v_mul_f32_e32 v182, v9, v182
	ds_read_b128 v[2:5], v1 offset:784
	v_fmac_f32_e32 v148, v7, v181
	v_fma_f32 v170, v6, v181, -v170
	v_fmac_f32_e32 v183, v9, v179
	v_fma_f32 v179, v8, v179, -v182
	s_clause 0x4
	buffer_load_dword v181, off, s[0:3], 0 offset:336
	buffer_load_dword v182, off, s[0:3], 0 offset:328
	;; [unrolled: 1-line block ×5, first 2 shown]
	v_add_f32_e32 v6, 0, v201
	v_add_f32_e32 v7, 0, v180
	buffer_load_dword v201, off, s[0:3], 0 offset:332
	v_add_f32_e32 v6, v6, v202
	v_add_f32_e32 v7, v7, v177
	s_clause 0x1
	buffer_load_dword v177, off, s[0:3], 0 offset:340
	buffer_load_dword v180, off, s[0:3], 0 offset:348
	v_add_f32_e32 v6, v6, v207
	v_add_f32_e32 v7, v7, v203
	;; [unrolled: 1-line block ×4, first 2 shown]
	s_clause 0x3
	buffer_load_dword v202, off, s[0:3], 0 offset:368
	buffer_load_dword v203, off, s[0:3], 0 offset:360
	;; [unrolled: 1-line block ×4, first 2 shown]
	v_add_f32_e32 v6, v6, v142
	v_add_f32_e32 v7, v7, v205
	v_add_f32_e32 v6, v6, v11
	v_add_f32_e32 v7, v7, v206
	s_clause 0x3
	buffer_load_dword v11, off, s[0:3], 0 offset:356
	buffer_load_dword v205, off, s[0:3], 0 offset:364
	;; [unrolled: 1-line block ×4, first 2 shown]
	v_add_f32_e32 v6, v6, v194
	v_add_f32_e32 v7, v7, v193
	;; [unrolled: 1-line block ×14, first 2 shown]
	s_waitcnt vmcnt(25) lgkmcnt(0)
	v_mul_f32_e32 v142, v2, v10
	v_mul_f32_e32 v8, v3, v10
	v_fmac_f32_e32 v142, v3, v176
	s_waitcnt vmcnt(24)
	v_mul_f32_e32 v10, v4, v173
	v_mul_f32_e32 v9, v5, v173
	v_fma_f32 v143, v2, v176, -v8
	s_waitcnt vmcnt(20)
	v_fmac_f32_e32 v10, v5, v190
	v_fma_f32 v12, v4, v190, -v9
	ds_read_b128 v[2:5], v1 offset:800
	s_clause 0x6
	buffer_load_dword v173, off, s[0:3], 0 offset:400
	buffer_load_dword v174, off, s[0:3], 0 offset:392
	;; [unrolled: 1-line block ×7, first 2 shown]
	ds_read_b128 v[6:9], v1 offset:816
	s_waitcnt vmcnt(26) lgkmcnt(1)
	v_mul_f32_e32 v185, v2, v152
	v_mul_f32_e32 v152, v3, v152
	s_waitcnt vmcnt(25)
	v_mul_f32_e32 v172, v4, v161
	v_mul_f32_e32 v161, v5, v161
	v_fmac_f32_e32 v185, v3, v189
	v_add_f32_e32 v3, v153, v186
	v_fma_f32 v152, v2, v189, -v152
	v_add_f32_e32 v2, v166, v164
	v_fma_f32 v153, v4, v188, -v161
	s_clause 0x3
	buffer_load_dword v164, off, s[0:3], 0 offset:412
	buffer_load_dword v166, off, s[0:3], 0 offset:420
	;; [unrolled: 1-line block ×4, first 2 shown]
	v_add_f32_e32 v3, v3, v191
	v_fmac_f32_e32 v172, v5, v188
	v_add_f32_e32 v2, v2, v149
	s_clause 0x3
	buffer_load_dword v188, off, s[0:3], 0 offset:444
	buffer_load_dword v189, off, s[0:3], 0 offset:452
	buffer_load_dword v191, off, s[0:3], 0 offset:460
	buffer_load_dword v194, off, s[0:3], 0 offset:468
	v_add_f32_e32 v3, v3, v192
	s_waitcnt vmcnt(32) lgkmcnt(0)
	v_mul_f32_e32 v4, v7, v155
	v_add_f32_e32 v2, v2, v157
	v_mul_f32_e32 v157, v6, v155
	s_clause 0x3
	buffer_load_dword v192, off, s[0:3], 0 offset:476
	buffer_load_dword v195, off, s[0:3], 0 offset:484
	;; [unrolled: 1-line block ×4, first 2 shown]
	v_add_f32_e32 v3, v3, v159
	buffer_load_dword v209, off, s[0:3], 0 offset:508
	v_add_f32_e32 v2, v2, v154
	v_fmac_f32_e32 v157, v7, v187
	v_fma_f32 v154, v6, v187, -v4
	v_add_f32_e32 v6, v3, v165
	s_clause 0x3
	buffer_load_dword v165, off, s[0:3], 0 offset:432
	buffer_load_dword v187, off, s[0:3], 0 offset:424
	;; [unrolled: 1-line block ×4, first 2 shown]
	v_add_f32_e32 v2, v2, v150
	v_add_f32_e32 v6, v6, v162
	;; [unrolled: 1-line block ×3, first 2 shown]
	s_waitcnt vmcnt(40)
	v_mul_f32_e32 v2, v9, v184
	v_mul_f32_e32 v150, v8, v184
	v_add_f32_e32 v6, v6, v158
	v_add_f32_e32 v7, v7, v160
	;; [unrolled: 1-line block ×4, first 2 shown]
	s_waitcnt vmcnt(36)
	v_fma_f32 v155, v8, v199, -v2
	ds_read_b128 v[2:5], v1 offset:832
	v_fmac_f32_e32 v150, v9, v199
	s_clause 0x3
	buffer_load_dword v162, off, s[0:3], 0 offset:464
	buffer_load_dword v184, off, s[0:3], 0 offset:456
	buffer_load_dword v199, off, s[0:3], 0 offset:448
	buffer_load_dword v212, off, s[0:3], 0 offset:440
	v_add_f32_e32 v145, v7, v146
	v_add_f32_e32 v146, v6, v168
	ds_read_b128 v[6:9], v1 offset:848
	v_add_f32_e32 v144, v145, v144
	v_add_f32_e32 v146, v146, v156
	s_waitcnt vmcnt(39) lgkmcnt(1)
	v_mul_f32_e32 v158, v2, v200
	v_mul_f32_e32 v145, v3, v200
	s_waitcnt vmcnt(38)
	v_mul_f32_e32 v159, v4, v201
	v_fmac_f32_e32 v158, v3, v198
	v_fma_f32 v156, v2, v198, -v145
	v_add_f32_e32 v3, v146, v169
	s_clause 0x3
	buffer_load_dword v167, off, s[0:3], 0 offset:496
	buffer_load_dword v168, off, s[0:3], 0 offset:488
	;; [unrolled: 1-line block ×4, first 2 shown]
	v_add_f32_e32 v2, v144, v147
	buffer_load_dword v200, off, s[0:3], 0 offset:56
	v_mul_f32_e32 v144, v5, v201
	v_add_f32_e32 v3, v3, v148
	v_fmac_f32_e32 v159, v5, v182
	v_add_f32_e32 v2, v2, v170
	buffer_load_dword v170, off, s[0:3], 0 offset:504
	v_fma_f32 v160, v4, v182, -v144
	v_add_f32_e32 v145, v3, v183
	s_waitcnt vmcnt(43) lgkmcnt(0)
	v_mul_f32_e32 v161, v6, v177
	v_add_f32_e32 v2, v2, v179
	v_add_f32_e32 v147, v145, v142
	v_fmac_f32_e32 v161, v7, v181
	v_add_f32_e32 v146, v2, v143
	ds_read_b128 v[2:5], v1 offset:864
	ds_read_b128 v[142:145], v1 offset:880
	v_add_f32_e32 v10, v147, v10
	s_waitcnt vmcnt(42)
	v_mul_f32_e32 v147, v9, v180
	v_add_f32_e32 v12, v146, v12
	v_mul_f32_e32 v146, v7, v177
	v_mul_f32_e32 v177, v8, v180
	v_add_f32_e32 v10, v10, v185
	s_waitcnt vmcnt(38)
	v_fma_f32 v180, v8, v207, -v147
	v_add_f32_e32 v12, v12, v152
	v_fma_f32 v179, v6, v181, -v146
	v_fmac_f32_e32 v177, v9, v207
	ds_read_b128 v[6:9], v1 offset:896
	ds_read_b128 v[146:149], v1 offset:912
	v_add_f32_e32 v10, v10, v172
	v_add_f32_e32 v12, v12, v153
	;; [unrolled: 1-line block ×4, first 2 shown]
	s_waitcnt vmcnt(36) lgkmcnt(3)
	v_mul_f32_e32 v172, v4, v205
	s_waitcnt vmcnt(35) lgkmcnt(2)
	v_mul_f32_e32 v182, v142, v208
	v_mul_f32_e32 v154, v143, v208
	v_add_f32_e32 v10, v10, v150
	v_add_f32_e32 v12, v12, v155
	v_mul_f32_e32 v151, v5, v205
	v_fmac_f32_e32 v182, v143, v202
	v_fma_f32 v201, v142, v202, -v154
	v_add_f32_e32 v10, v10, v158
	v_add_f32_e32 v12, v12, v156
	v_mul_f32_e32 v181, v2, v11
	v_mul_f32_e32 v11, v3, v11
	v_fmac_f32_e32 v172, v5, v203
	v_add_f32_e32 v10, v10, v159
	v_add_f32_e32 v12, v12, v160
	v_fma_f32 v185, v4, v203, -v151
	v_fma_f32 v11, v2, v204, -v11
	v_fmac_f32_e32 v181, v3, v204
	v_add_f32_e32 v10, v10, v161
	s_waitcnt vmcnt(34)
	v_mul_f32_e32 v183, v144, v206
	v_mul_f32_e32 v155, v145, v206
	ds_read_b128 v[2:5], v1 offset:928
	ds_read_b128 v[150:153], v1 offset:944
	v_add_f32_e32 v10, v10, v177
	v_add_f32_e32 v10, v10, v181
	;; [unrolled: 1-line block ×4, first 2 shown]
	s_waitcnt vmcnt(29) lgkmcnt(3)
	v_mul_f32_e32 v202, v6, v163
	s_waitcnt vmcnt(28)
	v_mul_f32_e32 v203, v8, v190
	v_mul_f32_e32 v158, v7, v163
	;; [unrolled: 1-line block ×3, first 2 shown]
	v_fmac_f32_e32 v183, v145, v176
	v_fmac_f32_e32 v202, v7, v175
	v_add_f32_e32 v7, v12, v179
	v_fmac_f32_e32 v203, v9, v174
	v_fma_f32 v163, v8, v174, -v159
	v_fma_f32 v176, v144, v176, -v155
	;; [unrolled: 1-line block ×3, first 2 shown]
	v_add_f32_e32 v174, v7, v180
	v_add_f32_e32 v10, v10, v183
	ds_read_b128 v[142:145], v1 offset:960
	ds_read_b128 v[154:157], v1 offset:976
	;; [unrolled: 1-line block ×4, first 2 shown]
	s_waitcnt vmcnt(27) lgkmcnt(6)
	v_mul_f32_e32 v1, v146, v193
	v_add_f32_e32 v11, v174, v11
	v_mul_f32_e32 v174, v147, v193
	v_add_f32_e32 v10, v10, v202
	v_fmac_f32_e32 v1, v147, v173
	v_add_f32_e32 v11, v11, v185
	v_fma_f32 v146, v146, v173, -v174
	v_add_f32_e32 v10, v10, v203
	v_add_f32_e32 v11, v11, v201
	;; [unrolled: 1-line block ×3, first 2 shown]
	s_waitcnt vmcnt(26)
	v_mul_f32_e32 v175, v148, v164
	v_add_f32_e32 v11, v11, v176
	v_mul_f32_e32 v164, v149, v164
	s_waitcnt vmcnt(25) lgkmcnt(5)
	v_mul_f32_e32 v177, v2, v166
	s_waitcnt vmcnt(24)
	v_mul_f32_e32 v10, v5, v171
	v_mul_f32_e32 v172, v4, v171
	v_add_f32_e32 v11, v11, v12
	s_waitcnt vmcnt(23) lgkmcnt(4)
	v_mul_f32_e32 v179, v150, v186
	s_waitcnt vmcnt(22)
	v_mul_f32_e32 v180, v152, v188
	s_waitcnt vmcnt(21) lgkmcnt(3)
	v_mul_f32_e32 v181, v142, v189
	s_waitcnt vmcnt(20)
	v_mul_f32_e32 v182, v144, v191
	v_add_f32_e32 v11, v11, v163
	v_mul_f32_e32 v163, v3, v166
	s_waitcnt vmcnt(19) lgkmcnt(2)
	v_mul_f32_e32 v176, v154, v194
	s_waitcnt vmcnt(18)
	v_mul_f32_e32 v183, v156, v192
	s_waitcnt vmcnt(17) lgkmcnt(1)
	v_mul_f32_e32 v185, v6, v195
	v_add_f32_e32 v11, v11, v146
	s_waitcnt vmcnt(13)
	v_fmac_f32_e32 v179, v151, v165
	s_waitcnt vmcnt(12)
	v_fma_f32 v4, v4, v187, -v10
	s_waitcnt vmcnt(11)
	v_fmac_f32_e32 v177, v3, v210
	s_waitcnt vmcnt(10)
	v_fma_f32 v148, v148, v211, -v164
	v_fmac_f32_e32 v175, v149, v211
	v_fma_f32 v2, v2, v210, -v163
	v_fmac_f32_e32 v172, v5, v187
	v_mul_f32_e32 v12, v8, v196
	v_add_f32_e32 v3, v11, v148
	v_add_f32_e32 v1, v1, v175
	v_mul_f32_e32 v11, v151, v186
	s_waitcnt lgkmcnt(0)
	v_mul_f32_e32 v190, v158, v197
	v_mul_f32_e32 v147, v160, v209
	v_add_f32_e32 v2, v3, v2
	v_add_f32_e32 v1, v1, v177
	v_mul_f32_e32 v3, v153, v188
	v_fma_f32 v5, v150, v165, -v11
	v_add_f32_e32 v2, v2, v4
	v_add_f32_e32 v1, v1, v172
	v_mul_f32_e32 v4, v143, v189
	s_waitcnt vmcnt(8)
	v_fmac_f32_e32 v182, v145, v184
	s_waitcnt vmcnt(7)
	v_fmac_f32_e32 v181, v143, v199
	s_waitcnt vmcnt(6)
	v_fma_f32 v3, v152, v212, -v3
	v_add_f32_e32 v2, v2, v5
	v_fmac_f32_e32 v180, v153, v212
	v_add_f32_e32 v1, v1, v179
	v_mul_f32_e32 v5, v145, v191
	v_fma_f32 v4, v142, v199, -v4
	v_add_f32_e32 v2, v2, v3
	v_mul_f32_e32 v3, v155, v194
	v_add_f32_e32 v1, v1, v180
	v_fma_f32 v5, v144, v184, -v5
	v_fmac_f32_e32 v176, v155, v162
	v_add_f32_e32 v2, v2, v4
	v_mul_f32_e32 v4, v157, v192
	v_add_f32_e32 v1, v1, v181
	v_fma_f32 v3, v154, v162, -v3
	v_add_f32_e32 v2, v2, v5
	v_mul_f32_e32 v5, v7, v195
	v_add_f32_e32 v1, v1, v182
	v_add_f32_e32 v2, v2, v3
	v_mul_f32_e32 v3, v9, v196
	v_add_f32_e32 v1, v1, v176
	s_waitcnt vmcnt(4)
	v_fmac_f32_e32 v12, v9, v168
	s_waitcnt vmcnt(3)
	v_fma_f32 v5, v6, v169, -v5
	s_waitcnt vmcnt(2)
	v_fma_f32 v4, v156, v198, -v4
	v_fmac_f32_e32 v183, v157, v198
	v_fmac_f32_e32 v185, v7, v169
	v_fma_f32 v3, v8, v168, -v3
	v_fmac_f32_e32 v190, v159, v167
	v_add_f32_e32 v2, v2, v4
	v_add_f32_e32 v1, v1, v183
	v_mul_f32_e32 v4, v159, v197
	s_waitcnt vmcnt(0)
	v_fmac_f32_e32 v147, v161, v170
	v_add_f32_e32 v2, v2, v5
	v_add_f32_e32 v1, v1, v185
	v_mul_f32_e32 v5, v161, v209
	v_fma_f32 v4, v158, v167, -v4
	v_add_f32_e32 v2, v2, v3
	v_add_f32_e32 v1, v1, v12
	v_fma_f32 v3, v160, v170, -v5
	v_add_f32_e32 v2, v2, v4
	v_add_f32_e32 v1, v1, v190
	;; [unrolled: 1-line block ×4, first 2 shown]
	v_sub_f32_e32 v2, v200, v2
	v_sub_f32_e32 v1, v178, v1
	buffer_store_dword v2, off, s[0:3], 0 offset:56
	buffer_store_dword v1, off, s[0:3], 0 offset:60
	v_cmpx_lt_u32_e32 6, v0
	s_cbranch_execz .LBB63_385
; %bb.384:
	s_clause 0x1
	buffer_load_dword v1, off, s[0:3], 0 offset:48
	buffer_load_dword v2, off, s[0:3], 0 offset:52
	v_mov_b32_e32 v3, 0
	buffer_store_dword v3, off, s[0:3], 0 offset:48
	buffer_store_dword v3, off, s[0:3], 0 offset:52
	s_waitcnt vmcnt(0)
	ds_write_b64 v141, v[1:2]
.LBB63_385:
	s_or_b32 exec_lo, exec_lo, s4
	s_waitcnt lgkmcnt(0)
	s_waitcnt_vscnt null, 0x0
	s_barrier
	buffer_gl0_inv
	s_clause 0x34
	buffer_load_dword v2, off, s[0:3], 0 offset:60
	buffer_load_dword v3, off, s[0:3], 0 offset:68
	;; [unrolled: 1-line block ×53, first 2 shown]
	v_mov_b32_e32 v1, 0
	ds_read2_b64 v[185:188], v1 offset0:71 offset1:72
	ds_read2_b64 v[189:192], v1 offset0:73 offset1:74
	;; [unrolled: 1-line block ×4, first 2 shown]
	buffer_load_dword v184, off, s[0:3], 0 offset:52
	s_mov_b32 s4, exec_lo
	s_waitcnt vmcnt(53) lgkmcnt(3)
	v_mul_f32_e32 v201, v185, v2
	v_mul_f32_e32 v2, v186, v2
	s_waitcnt vmcnt(52)
	v_mul_f32_e32 v202, v187, v3
	v_mul_f32_e32 v3, v188, v3
	s_waitcnt vmcnt(49)
	v_fmac_f32_e32 v201, v186, v8
	v_fma_f32 v203, v185, v8, -v2
	v_fmac_f32_e32 v202, v188, v7
	v_fma_f32 v204, v187, v7, -v3
	ds_read2_b64 v[185:188], v1 offset0:79 offset1:80
	s_waitcnt vmcnt(48) lgkmcnt(3)
	v_mul_f32_e32 v205, v189, v6
	v_mul_f32_e32 v2, v190, v6
	s_waitcnt vmcnt(47)
	v_mul_f32_e32 v3, v192, v5
	v_mul_f32_e32 v206, v191, v5
	s_waitcnt vmcnt(46) lgkmcnt(2)
	v_mul_f32_e32 v6, v194, v10
	s_waitcnt vmcnt(45)
	v_mul_f32_e32 v7, v196, v9
	v_fmac_f32_e32 v205, v190, v4
	v_fma_f32 v189, v189, v4, -v2
	s_waitcnt vmcnt(41)
	v_fma_f32 v190, v191, v145, -v3
	ds_read2_b64 v[2:5], v1 offset0:81 offset1:82
	v_mul_f32_e32 v207, v193, v10
	v_mul_f32_e32 v10, v195, v9
	v_fmac_f32_e32 v206, v192, v145
	v_fma_f32 v191, v193, v144, -v6
	v_fma_f32 v192, v195, v142, -v7
	ds_read2_b64 v[6:9], v1 offset0:83 offset1:84
	v_fmac_f32_e32 v10, v196, v142
	s_waitcnt vmcnt(40) lgkmcnt(3)
	v_mul_f32_e32 v193, v197, v143
	v_mul_f32_e32 v142, v198, v143
	v_fmac_f32_e32 v207, v194, v144
	s_waitcnt vmcnt(39)
	v_mul_f32_e32 v194, v199, v12
	v_mul_f32_e32 v12, v200, v12
	v_fmac_f32_e32 v193, v198, v11
	v_fma_f32 v11, v197, v11, -v142
	ds_read2_b64 v[142:145], v1 offset0:85 offset1:86
	s_waitcnt vmcnt(35)
	v_fmac_f32_e32 v194, v200, v177
	v_fma_f32 v12, v199, v177, -v12
	s_waitcnt vmcnt(34) lgkmcnt(3)
	v_mul_f32_e32 v177, v185, v176
	v_mul_f32_e32 v176, v186, v176
	s_waitcnt vmcnt(33)
	v_mul_f32_e32 v196, v187, v175
	v_mul_f32_e32 v175, v188, v175
	s_waitcnt vmcnt(32) lgkmcnt(2)
	v_mul_f32_e32 v197, v2, v174
	v_mul_f32_e32 v174, v3, v174
	v_fmac_f32_e32 v177, v186, v169
	v_fma_f32 v176, v185, v169, -v176
	s_waitcnt vmcnt(31)
	v_mul_f32_e32 v185, v4, v173
	v_mul_f32_e32 v169, v5, v173
	v_fmac_f32_e32 v196, v188, v165
	v_fma_f32 v165, v187, v165, -v175
	s_waitcnt vmcnt(30) lgkmcnt(1)
	v_mul_f32_e32 v173, v6, v170
	v_mul_f32_e32 v175, v7, v170
	s_waitcnt vmcnt(29)
	v_mul_f32_e32 v186, v8, v171
	v_mul_f32_e32 v187, v9, v171
	buffer_load_dword v195, off, s[0:3], 0 offset:268
	v_fmac_f32_e32 v197, v3, v155
	v_fma_f32 v155, v2, v155, -v174
	s_waitcnt vmcnt(26)
	v_fmac_f32_e32 v185, v5, v172
	v_fma_f32 v174, v4, v172, -v169
	ds_read2_b64 v[2:5], v1 offset0:87 offset1:88
	ds_read2_b64 v[169:172], v1 offset0:89 offset1:90
	v_fmac_f32_e32 v173, v7, v168
	v_fma_f32 v168, v6, v168, -v175
	v_fmac_f32_e32 v186, v9, v166
	v_fma_f32 v166, v8, v166, -v187
	s_clause 0x4
	buffer_load_dword v175, off, s[0:3], 0 offset:276
	buffer_load_dword v187, off, s[0:3], 0 offset:296
	;; [unrolled: 1-line block ×5, first 2 shown]
	s_waitcnt vmcnt(30) lgkmcnt(2)
	v_mul_f32_e32 v200, v142, v161
	v_mul_f32_e32 v6, v143, v161
	s_waitcnt vmcnt(29)
	v_mul_f32_e32 v7, v145, v159
	v_mul_f32_e32 v161, v144, v159
	v_fmac_f32_e32 v200, v143, v151
	v_fma_f32 v142, v142, v151, -v6
	s_waitcnt vmcnt(25)
	v_fma_f32 v143, v144, v167, -v7
	ds_read2_b64 v[6:9], v1 offset0:91 offset1:92
	v_fmac_f32_e32 v161, v145, v167
	s_waitcnt vmcnt(24) lgkmcnt(2)
	v_mul_f32_e32 v144, v2, v164
	v_mul_f32_e32 v145, v3, v164
	s_waitcnt vmcnt(23)
	v_mul_f32_e32 v151, v4, v163
	v_mul_f32_e32 v159, v5, v163
	v_fmac_f32_e32 v144, v3, v156
	v_fma_f32 v145, v2, v156, -v145
	s_waitcnt vmcnt(22) lgkmcnt(1)
	v_mul_f32_e32 v156, v169, v160
	v_mul_f32_e32 v2, v170, v160
	v_fmac_f32_e32 v151, v5, v152
	v_fma_f32 v152, v4, v152, -v159
	s_waitcnt vmcnt(21)
	v_mul_f32_e32 v159, v171, v154
	v_mul_f32_e32 v3, v172, v154
	s_clause 0x1
	buffer_load_dword v154, off, s[0:3], 0 offset:284
	buffer_load_dword v160, off, s[0:3], 0 offset:292
	v_fmac_f32_e32 v156, v170, v147
	v_fma_f32 v147, v169, v147, -v2
	s_waitcnt vmcnt(19)
	v_fmac_f32_e32 v159, v172, v162
	v_fma_f32 v162, v171, v162, -v3
	ds_read2_b64 v[2:5], v1 offset0:93 offset1:94
	s_waitcnt vmcnt(18) lgkmcnt(1)
	v_mul_f32_e32 v163, v6, v158
	v_mul_f32_e32 v158, v7, v158
	s_waitcnt vmcnt(17)
	v_mul_f32_e32 v164, v8, v157
	v_mul_f32_e32 v157, v9, v157
	buffer_load_dword v172, off, s[0:3], 0 offset:308
	v_fmac_f32_e32 v163, v7, v153
	v_fma_f32 v153, v6, v153, -v158
	v_fmac_f32_e32 v164, v9, v148
	v_fma_f32 v148, v8, v148, -v157
	ds_read2_b64 v[6:9], v1 offset0:95 offset1:96
	buffer_load_dword v157, off, s[0:3], 0 offset:300
	s_waitcnt vmcnt(18) lgkmcnt(1)
	v_mul_f32_e32 v158, v2, v150
	v_mul_f32_e32 v150, v3, v150
	s_waitcnt vmcnt(17)
	v_mul_f32_e32 v167, v4, v149
	v_mul_f32_e32 v149, v5, v149
	v_fmac_f32_e32 v158, v3, v146
	v_fma_f32 v146, v2, v146, -v150
	s_waitcnt vmcnt(13)
	v_fmac_f32_e32 v167, v5, v183
	v_fma_f32 v149, v4, v183, -v149
	ds_read2_b64 v[2:5], v1 offset0:97 offset1:98
	s_waitcnt vmcnt(12) lgkmcnt(1)
	v_mul_f32_e32 v150, v6, v182
	v_mul_f32_e32 v169, v7, v182
	s_waitcnt vmcnt(11)
	v_mul_f32_e32 v170, v8, v181
	v_mul_f32_e32 v171, v9, v181
	v_fmac_f32_e32 v150, v7, v180
	v_fma_f32 v169, v6, v180, -v169
	v_fmac_f32_e32 v170, v9, v179
	v_fma_f32 v171, v8, v179, -v171
	s_clause 0x4
	buffer_load_dword v179, off, s[0:3], 0 offset:328
	buffer_load_dword v180, off, s[0:3], 0 offset:320
	;; [unrolled: 1-line block ×5, first 2 shown]
	v_add_f32_e32 v6, 0, v201
	v_add_f32_e32 v7, 0, v203
	buffer_load_dword v201, off, s[0:3], 0 offset:324
	v_add_f32_e32 v6, v6, v202
	v_add_f32_e32 v7, v7, v204
	;; [unrolled: 1-line block ×4, first 2 shown]
	s_clause 0x1
	buffer_load_dword v189, off, s[0:3], 0 offset:332
	buffer_load_dword v202, off, s[0:3], 0 offset:340
	v_add_f32_e32 v6, v6, v206
	v_add_f32_e32 v7, v7, v190
	s_clause 0x3
	buffer_load_dword v190, off, s[0:3], 0 offset:360
	buffer_load_dword v203, off, s[0:3], 0 offset:352
	;; [unrolled: 1-line block ×4, first 2 shown]
	v_add_f32_e32 v6, v6, v207
	v_add_f32_e32 v7, v7, v191
	;; [unrolled: 1-line block ×4, first 2 shown]
	s_clause 0x3
	buffer_load_dword v10, off, s[0:3], 0 offset:348
	buffer_load_dword v191, off, s[0:3], 0 offset:356
	;; [unrolled: 1-line block ×4, first 2 shown]
	v_add_f32_e32 v6, v6, v193
	v_add_f32_e32 v7, v7, v11
	;; [unrolled: 1-line block ×13, first 2 shown]
	s_waitcnt vmcnt(25) lgkmcnt(0)
	v_mul_f32_e32 v193, v2, v195
	v_mul_f32_e32 v8, v3, v195
	v_fmac_f32_e32 v193, v3, v178
	s_waitcnt vmcnt(24)
	v_mul_f32_e32 v11, v4, v175
	v_mul_f32_e32 v9, v5, v175
	v_fma_f32 v175, v2, v178, -v8
	s_waitcnt vmcnt(20)
	v_fmac_f32_e32 v11, v5, v199
	v_fma_f32 v12, v4, v199, -v9
	ds_read2_b64 v[2:5], v1 offset0:99 offset1:100
	s_clause 0x6
	buffer_load_dword v176, off, s[0:3], 0 offset:392
	buffer_load_dword v177, off, s[0:3], 0 offset:384
	;; [unrolled: 1-line block ×7, first 2 shown]
	ds_read2_b64 v[6:9], v1 offset0:101 offset1:102
	s_waitcnt vmcnt(26) lgkmcnt(1)
	v_mul_f32_e32 v185, v2, v154
	v_mul_f32_e32 v154, v3, v154
	s_waitcnt vmcnt(25)
	v_mul_f32_e32 v174, v4, v160
	v_mul_f32_e32 v160, v5, v160
	v_fmac_f32_e32 v185, v3, v198
	v_add_f32_e32 v3, v155, v173
	v_add_f32_e32 v155, v168, v166
	v_fma_f32 v154, v2, v198, -v154
	v_fmac_f32_e32 v174, v5, v188
	v_fma_f32 v160, v4, v188, -v160
	v_add_f32_e32 v2, v3, v186
	v_add_f32_e32 v3, v155, v142
	s_clause 0x7
	buffer_load_dword v166, off, s[0:3], 0 offset:404
	buffer_load_dword v168, off, s[0:3], 0 offset:412
	;; [unrolled: 1-line block ×8, first 2 shown]
	v_add_f32_e32 v2, v2, v200
	v_add_f32_e32 v3, v3, v143
	s_waitcnt vmcnt(31) lgkmcnt(0)
	v_mul_f32_e32 v155, v6, v157
	v_mul_f32_e32 v4, v7, v157
	s_clause 0x1
	buffer_load_dword v200, off, s[0:3], 0 offset:436
	buffer_load_dword v207, off, s[0:3], 0 offset:444
	v_add_f32_e32 v2, v2, v161
	v_add_f32_e32 v3, v3, v145
	v_fmac_f32_e32 v155, v7, v187
	v_fma_f32 v157, v6, v187, -v4
	s_clause 0x1
	buffer_load_dword v208, off, s[0:3], 0 offset:452
	buffer_load_dword v209, off, s[0:3], 0 offset:460
	v_add_f32_e32 v2, v2, v144
	v_add_f32_e32 v3, v3, v152
	s_clause 0x4
	buffer_load_dword v187, off, s[0:3], 0 offset:468
	buffer_load_dword v210, off, s[0:3], 0 offset:476
	;; [unrolled: 1-line block ×5, first 2 shown]
	v_add_f32_e32 v2, v2, v151
	v_add_f32_e32 v6, v3, v147
	v_mul_f32_e32 v3, v9, v172
	v_mul_f32_e32 v151, v8, v172
	buffer_load_dword v172, off, s[0:3], 0 offset:508
	v_add_f32_e32 v7, v2, v156
	v_add_f32_e32 v6, v6, v162
	;; [unrolled: 1-line block ×4, first 2 shown]
	s_waitcnt vmcnt(37)
	v_fma_f32 v152, v8, v182, -v3
	ds_read2_b64 v[2:5], v1 offset0:103 offset1:104
	v_fmac_f32_e32 v151, v9, v182
	v_add_f32_e32 v7, v7, v163
	s_clause 0x3
	buffer_load_dword v162, off, s[0:3], 0 offset:456
	buffer_load_dword v163, off, s[0:3], 0 offset:448
	;; [unrolled: 1-line block ×4, first 2 shown]
	v_add_f32_e32 v6, v6, v148
	v_add_f32_e32 v142, v7, v164
	;; [unrolled: 1-line block ×3, first 2 shown]
	ds_read2_b64 v[6:9], v1 offset0:105 offset1:106
	v_add_f32_e32 v142, v142, v158
	v_add_f32_e32 v143, v143, v149
	s_waitcnt vmcnt(40) lgkmcnt(1)
	v_mul_f32_e32 v153, v2, v183
	v_mul_f32_e32 v144, v3, v183
	s_waitcnt vmcnt(39)
	v_mul_f32_e32 v158, v4, v201
	v_fmac_f32_e32 v153, v3, v181
	v_fma_f32 v156, v2, v181, -v144
	v_add_f32_e32 v2, v142, v167
	v_add_f32_e32 v3, v143, v169
	s_clause 0x3
	buffer_load_dword v164, off, s[0:3], 0 offset:488
	buffer_load_dword v167, off, s[0:3], 0 offset:480
	;; [unrolled: 1-line block ×4, first 2 shown]
	v_mul_f32_e32 v142, v5, v201
	s_waitcnt vmcnt(42) lgkmcnt(0)
	v_mul_f32_e32 v161, v6, v189
	v_add_f32_e32 v2, v2, v150
	v_add_f32_e32 v3, v3, v171
	s_clause 0x1
	buffer_load_dword v171, off, s[0:3], 0 offset:504
	buffer_load_dword v183, off, s[0:3], 0 offset:496
	v_mul_f32_e32 v146, v7, v189
	s_waitcnt vmcnt(43)
	v_mul_f32_e32 v147, v9, v202
	v_add_f32_e32 v2, v2, v170
	buffer_load_dword v170, off, s[0:3], 0 offset:48
	v_add_f32_e32 v3, v3, v175
	v_mul_f32_e32 v175, v8, v202
	v_fmac_f32_e32 v158, v5, v180
	v_add_f32_e32 v143, v2, v193
	v_fma_f32 v159, v4, v180, -v142
	v_add_f32_e32 v12, v3, v12
	ds_read2_b64 v[2:5], v1 offset0:107 offset1:108
	v_fmac_f32_e32 v161, v7, v179
	v_add_f32_e32 v11, v143, v11
	ds_read2_b64 v[142:145], v1 offset0:109 offset1:110
	v_add_f32_e32 v12, v12, v154
	v_fma_f32 v179, v6, v179, -v146
	s_waitcnt vmcnt(40)
	v_fmac_f32_e32 v175, v9, v205
	v_add_f32_e32 v11, v11, v185
	v_add_f32_e32 v12, v12, v160
	v_fma_f32 v160, v8, v205, -v147
	ds_read2_b64 v[6:9], v1 offset0:111 offset1:112
	ds_read2_b64 v[146:149], v1 offset0:113 offset1:114
	v_add_f32_e32 v11, v11, v174
	v_add_f32_e32 v12, v12, v157
	;; [unrolled: 1-line block ×4, first 2 shown]
	s_waitcnt vmcnt(39) lgkmcnt(3)
	v_mul_f32_e32 v174, v2, v10
	v_mul_f32_e32 v10, v3, v10
	v_add_f32_e32 v11, v11, v151
	s_waitcnt vmcnt(38)
	v_mul_f32_e32 v150, v5, v191
	v_add_f32_e32 v12, v12, v156
	v_mul_f32_e32 v180, v4, v191
	v_fma_f32 v10, v2, v204, -v10
	v_add_f32_e32 v11, v11, v153
	v_fmac_f32_e32 v174, v3, v204
	v_add_f32_e32 v12, v12, v159
	s_waitcnt vmcnt(37) lgkmcnt(2)
	v_mul_f32_e32 v185, v142, v206
	v_mul_f32_e32 v154, v143, v206
	v_add_f32_e32 v11, v11, v158
	v_fma_f32 v191, v4, v203, -v150
	v_add_f32_e32 v12, v12, v179
	v_fmac_f32_e32 v180, v5, v203
	s_waitcnt vmcnt(36)
	v_mul_f32_e32 v155, v145, v192
	v_add_f32_e32 v11, v11, v161
	v_fmac_f32_e32 v185, v143, v190
	v_fma_f32 v190, v142, v190, -v154
	v_mul_f32_e32 v189, v144, v192
	ds_read2_b64 v[2:5], v1 offset0:115 offset1:116
	ds_read2_b64 v[150:153], v1 offset0:117 offset1:118
	v_add_f32_e32 v11, v11, v175
	v_add_f32_e32 v174, v11, v174
	;; [unrolled: 1-line block ×4, first 2 shown]
	s_waitcnt vmcnt(31) lgkmcnt(3)
	v_mul_f32_e32 v179, v6, v165
	v_mul_f32_e32 v158, v7, v165
	v_fma_f32 v192, v144, v194, -v155
	v_fmac_f32_e32 v189, v145, v194
	s_waitcnt vmcnt(30)
	v_mul_f32_e32 v159, v9, v195
	v_fmac_f32_e32 v179, v7, v178
	v_add_f32_e32 v7, v12, v160
	v_fma_f32 v12, v6, v178, -v158
	v_mul_f32_e32 v193, v8, v195
	v_add_f32_e32 v174, v174, v189
	v_fma_f32 v165, v8, v177, -v159
	v_add_f32_e32 v175, v7, v10
	s_waitcnt vmcnt(29) lgkmcnt(2)
	v_mul_f32_e32 v180, v147, v196
	v_fmac_f32_e32 v193, v9, v177
	v_mul_f32_e32 v177, v146, v196
	v_add_f32_e32 v174, v174, v179
	v_add_f32_e32 v175, v175, v191
	v_fma_f32 v146, v146, v176, -v180
	ds_read2_b64 v[142:145], v1 offset0:119 offset1:120
	ds_read2_b64 v[154:157], v1 offset0:121 offset1:122
	v_fmac_f32_e32 v177, v147, v176
	ds_read2_b64 v[6:9], v1 offset0:123 offset1:124
	ds_read2_b64 v[158:161], v1 offset0:125 offset1:126
	ds_read_b64 v[10:11], v1 offset:1016
	v_add_f32_e32 v175, v175, v190
	v_add_f32_e32 v175, v175, v192
	s_waitcnt vmcnt(28)
	v_mul_f32_e32 v178, v148, v166
	v_mul_f32_e32 v166, v149, v166
	v_add_f32_e32 v12, v175, v12
	s_waitcnt vmcnt(27) lgkmcnt(6)
	v_mul_f32_e32 v190, v2, v168
	v_mul_f32_e32 v168, v3, v168
	s_waitcnt vmcnt(26)
	v_mul_f32_e32 v185, v4, v173
	v_mul_f32_e32 v173, v5, v173
	v_add_f32_e32 v12, v12, v165
	v_add_f32_e32 v165, v174, v193
	s_waitcnt vmcnt(21)
	v_fma_f32 v148, v148, v199, -v166
	v_fmac_f32_e32 v178, v149, v199
	v_fmac_f32_e32 v190, v3, v198
	v_add_f32_e32 v12, v12, v146
	v_add_f32_e32 v146, v165, v177
	v_fma_f32 v2, v2, v198, -v168
	v_fma_f32 v4, v4, v197, -v173
	s_waitcnt lgkmcnt(5)
	v_mul_f32_e32 v147, v150, v186
	v_add_f32_e32 v3, v12, v148
	v_add_f32_e32 v12, v146, v178
	v_mul_f32_e32 v146, v151, v186
	v_fmac_f32_e32 v185, v5, v197
	s_waitcnt vmcnt(20)
	v_mul_f32_e32 v5, v153, v200
	v_add_f32_e32 v2, v3, v2
	v_add_f32_e32 v3, v12, v190
	v_fma_f32 v12, v150, v188, -v146
	v_mul_f32_e32 v176, v152, v200
	v_fmac_f32_e32 v147, v151, v188
	v_add_f32_e32 v2, v2, v4
	v_add_f32_e32 v3, v3, v185
	s_waitcnt vmcnt(19) lgkmcnt(4)
	v_mul_f32_e32 v4, v143, v207
	v_mul_f32_e32 v180, v142, v207
	s_waitcnt vmcnt(18)
	v_mul_f32_e32 v149, v144, v208
	v_add_f32_e32 v2, v2, v12
	v_add_f32_e32 v3, v3, v147
	v_mul_f32_e32 v12, v145, v208
	s_waitcnt vmcnt(17) lgkmcnt(3)
	v_mul_f32_e32 v166, v154, v209
	s_waitcnt vmcnt(16)
	v_mul_f32_e32 v175, v156, v187
	s_waitcnt vmcnt(15) lgkmcnt(2)
	v_mul_f32_e32 v179, v6, v210
	s_waitcnt vmcnt(14)
	;; [unrolled: 4-line block ×3, first 2 shown]
	v_fma_f32 v12, v144, v163, -v12
	s_waitcnt vmcnt(8)
	v_fma_f32 v4, v142, v182, -v4
	s_waitcnt vmcnt(7)
	v_fma_f32 v5, v152, v214, -v5
	v_fmac_f32_e32 v176, v153, v214
	v_fmac_f32_e32 v180, v143, v182
	;; [unrolled: 1-line block ×4, first 2 shown]
	v_add_f32_e32 v2, v2, v5
	v_add_f32_e32 v3, v3, v176
	v_mul_f32_e32 v5, v155, v209
	v_mul_f32_e32 v191, v160, v213
	s_waitcnt lgkmcnt(0)
	v_mul_f32_e32 v165, v10, v172
	v_add_f32_e32 v2, v2, v4
	v_add_f32_e32 v3, v3, v180
	v_mul_f32_e32 v4, v157, v187
	v_fma_f32 v5, v154, v162, -v5
	v_add_f32_e32 v2, v2, v12
	v_add_f32_e32 v3, v3, v149
	v_mul_f32_e32 v12, v7, v210
	v_add_f32_e32 v2, v2, v5
	v_add_f32_e32 v3, v3, v166
	v_mul_f32_e32 v5, v9, v211
	s_waitcnt vmcnt(6)
	v_fmac_f32_e32 v174, v159, v164
	s_waitcnt vmcnt(5)
	v_fmac_f32_e32 v189, v9, v167
	s_waitcnt vmcnt(4)
	v_fma_f32 v6, v6, v169, -v12
	s_waitcnt vmcnt(3)
	v_fma_f32 v4, v156, v181, -v4
	v_fmac_f32_e32 v175, v157, v181
	v_fmac_f32_e32 v179, v7, v169
	v_fma_f32 v5, v8, v167, -v5
	s_waitcnt vmcnt(2)
	v_fmac_f32_e32 v165, v11, v171
	v_add_f32_e32 v2, v2, v4
	v_add_f32_e32 v3, v3, v175
	v_mul_f32_e32 v4, v159, v212
	s_waitcnt vmcnt(1)
	v_fmac_f32_e32 v191, v161, v183
	v_add_f32_e32 v2, v2, v6
	v_add_f32_e32 v3, v3, v179
	v_mul_f32_e32 v6, v161, v213
	v_fma_f32 v4, v158, v164, -v4
	v_add_f32_e32 v2, v2, v5
	v_add_f32_e32 v3, v3, v189
	v_mul_f32_e32 v5, v11, v172
	v_fma_f32 v6, v160, v183, -v6
	v_add_f32_e32 v2, v2, v4
	v_add_f32_e32 v3, v3, v174
	v_fma_f32 v4, v10, v171, -v5
	v_add_f32_e32 v2, v2, v6
	v_add_f32_e32 v3, v3, v191
	;; [unrolled: 1-line block ×4, first 2 shown]
	s_waitcnt vmcnt(0)
	v_sub_f32_e32 v2, v170, v2
	v_sub_f32_e32 v3, v184, v3
	buffer_store_dword v2, off, s[0:3], 0 offset:48
	buffer_store_dword v3, off, s[0:3], 0 offset:52
	v_cmpx_lt_u32_e32 5, v0
	s_cbranch_execz .LBB63_387
; %bb.386:
	s_clause 0x1
	buffer_load_dword v2, off, s[0:3], 0 offset:40
	buffer_load_dword v3, off, s[0:3], 0 offset:44
	buffer_store_dword v1, off, s[0:3], 0 offset:40
	buffer_store_dword v1, off, s[0:3], 0 offset:44
	s_waitcnt vmcnt(0)
	ds_write_b64 v141, v[2:3]
.LBB63_387:
	s_or_b32 exec_lo, exec_lo, s4
	s_waitcnt lgkmcnt(0)
	s_waitcnt_vscnt null, 0x0
	s_barrier
	buffer_gl0_inv
	s_clause 0x3c
	buffer_load_dword v176, off, s[0:3], 0 offset:52
	buffer_load_dword v177, off, s[0:3], 0 offset:60
	;; [unrolled: 1-line block ×61, first 2 shown]
	ds_read_b128 v[190:193], v1 offset:560
	ds_read_b128 v[194:197], v1 offset:576
	s_mov_b32 s4, exec_lo
	s_waitcnt vmcnt(60) lgkmcnt(1)
	v_mul_f32_e32 v186, v190, v176
	v_mul_f32_e32 v201, v191, v176
	s_waitcnt vmcnt(59)
	v_mul_f32_e32 v176, v192, v177
	v_mul_f32_e32 v202, v193, v177
	buffer_load_dword v177, off, s[0:3], 0 offset:44
	s_waitcnt vmcnt(57)
	v_fmac_f32_e32 v186, v191, v6
	v_fma_f32 v201, v190, v6, -v201
	v_fmac_f32_e32 v176, v193, v5
	v_fma_f32 v202, v192, v5, -v202
	ds_read_b128 v[190:193], v1 offset:592
	s_waitcnt vmcnt(56) lgkmcnt(1)
	v_mul_f32_e32 v203, v194, v4
	v_mul_f32_e32 v4, v195, v4
	s_waitcnt vmcnt(55)
	v_mul_f32_e32 v204, v196, v3
	v_mul_f32_e32 v3, v197, v3
	v_fmac_f32_e32 v203, v195, v2
	v_fma_f32 v194, v194, v2, -v4
	s_waitcnt vmcnt(51)
	v_fmac_f32_e32 v204, v197, v143
	v_fma_f32 v143, v196, v143, -v3
	ds_read_b128 v[2:5], v1 offset:608
	s_waitcnt vmcnt(50) lgkmcnt(1)
	v_mul_f32_e32 v195, v190, v142
	v_mul_f32_e32 v6, v191, v142
	s_waitcnt vmcnt(49)
	v_mul_f32_e32 v142, v192, v12
	v_mul_f32_e32 v12, v193, v12
	v_fmac_f32_e32 v195, v191, v11
	v_fma_f32 v11, v190, v11, -v6
	v_fmac_f32_e32 v142, v193, v8
	v_fma_f32 v12, v192, v8, -v12
	ds_read_b128 v[190:193], v1 offset:624
	s_waitcnt vmcnt(48) lgkmcnt(1)
	v_mul_f32_e32 v196, v2, v10
	v_mul_f32_e32 v6, v3, v10
	s_waitcnt vmcnt(47)
	v_mul_f32_e32 v10, v4, v9
	v_mul_f32_e32 v8, v5, v9
	v_fmac_f32_e32 v196, v3, v7
	v_fma_f32 v197, v2, v7, -v6
	s_waitcnt vmcnt(43)
	v_fmac_f32_e32 v10, v5, v175
	v_fma_f32 v175, v4, v175, -v8
	ds_read_b128 v[2:5], v1 offset:640
	s_waitcnt vmcnt(42) lgkmcnt(1)
	v_mul_f32_e32 v205, v190, v174
	v_mul_f32_e32 v6, v191, v174
	s_waitcnt vmcnt(41)
	v_mul_f32_e32 v174, v192, v173
	v_mul_f32_e32 v7, v193, v173
	v_fmac_f32_e32 v205, v191, v168
	v_fma_f32 v168, v190, v168, -v6
	v_fmac_f32_e32 v174, v193, v163
	v_fma_f32 v163, v192, v163, -v7
	ds_read_b128 v[6:9], v1 offset:656
	s_waitcnt vmcnt(40) lgkmcnt(1)
	v_mul_f32_e32 v173, v2, v167
	v_mul_f32_e32 v167, v3, v167
	s_waitcnt vmcnt(39)
	v_mul_f32_e32 v190, v4, v165
	v_mul_f32_e32 v165, v5, v165
	buffer_load_dword v191, off, s[0:3], 0 offset:292
	v_fmac_f32_e32 v173, v3, v151
	v_fma_f32 v151, v2, v151, -v167
	s_waitcnt vmcnt(36)
	v_fmac_f32_e32 v190, v5, v172
	v_fma_f32 v165, v4, v172, -v165
	ds_read_b128 v[2:5], v1 offset:672
	s_waitcnt vmcnt(35) lgkmcnt(1)
	v_mul_f32_e32 v167, v6, v171
	v_mul_f32_e32 v171, v7, v171
	s_waitcnt vmcnt(34)
	v_mul_f32_e32 v172, v8, v170
	v_mul_f32_e32 v170, v9, v170
	v_fmac_f32_e32 v167, v7, v161
	v_fma_f32 v161, v6, v161, -v171
	v_fmac_f32_e32 v172, v9, v156
	v_fma_f32 v156, v8, v156, -v170
	ds_read_b128 v[6:9], v1 offset:688
	s_waitcnt vmcnt(33) lgkmcnt(1)
	v_mul_f32_e32 v170, v2, v160
	v_mul_f32_e32 v160, v3, v160
	s_waitcnt vmcnt(32)
	v_mul_f32_e32 v171, v4, v158
	v_mul_f32_e32 v158, v5, v158
	v_fmac_f32_e32 v170, v3, v146
	v_fma_f32 v146, v2, v146, -v160
	s_waitcnt vmcnt(28)
	v_fmac_f32_e32 v171, v5, v169
	v_fma_f32 v158, v4, v169, -v158
	ds_read_b128 v[2:5], v1 offset:704
	s_waitcnt vmcnt(27) lgkmcnt(1)
	v_mul_f32_e32 v160, v6, v166
	v_mul_f32_e32 v166, v7, v166
	s_waitcnt vmcnt(26)
	v_mul_f32_e32 v169, v8, v164
	v_mul_f32_e32 v164, v9, v164
	v_fmac_f32_e32 v160, v7, v155
	v_fma_f32 v155, v6, v155, -v166
	v_fmac_f32_e32 v169, v9, v152
	v_fma_f32 v152, v8, v152, -v164
	ds_read_b128 v[6:9], v1 offset:720
	s_waitcnt vmcnt(25) lgkmcnt(1)
	v_mul_f32_e32 v164, v2, v154
	v_mul_f32_e32 v154, v3, v154
	s_waitcnt vmcnt(24)
	v_mul_f32_e32 v166, v4, v153
	v_mul_f32_e32 v153, v5, v153
	v_fmac_f32_e32 v164, v3, v145
	v_fma_f32 v145, v2, v145, -v154
	s_waitcnt vmcnt(20)
	v_fmac_f32_e32 v166, v5, v162
	v_fma_f32 v153, v4, v162, -v153
	ds_read_b128 v[2:5], v1 offset:736
	s_waitcnt vmcnt(19) lgkmcnt(1)
	v_mul_f32_e32 v154, v6, v159
	v_mul_f32_e32 v159, v7, v159
	s_waitcnt vmcnt(18)
	v_mul_f32_e32 v162, v8, v157
	v_mul_f32_e32 v157, v9, v157
	v_fmac_f32_e32 v154, v7, v150
	v_fma_f32 v150, v6, v150, -v159
	v_fmac_f32_e32 v162, v9, v147
	v_fma_f32 v147, v8, v147, -v157
	ds_read_b128 v[6:9], v1 offset:752
	s_waitcnt vmcnt(17) lgkmcnt(1)
	v_mul_f32_e32 v157, v2, v149
	v_mul_f32_e32 v149, v3, v149
	s_waitcnt vmcnt(16)
	v_mul_f32_e32 v159, v4, v148
	v_mul_f32_e32 v148, v5, v148
	v_fmac_f32_e32 v157, v3, v144
	v_fma_f32 v144, v2, v144, -v149
	s_waitcnt vmcnt(12)
	v_fmac_f32_e32 v159, v5, v185
	v_fma_f32 v148, v4, v185, -v148
	ds_read_b128 v[2:5], v1 offset:768
	s_waitcnt vmcnt(11) lgkmcnt(1)
	v_mul_f32_e32 v149, v6, v184
	v_mul_f32_e32 v184, v7, v184
	s_waitcnt vmcnt(10)
	v_mul_f32_e32 v185, v8, v183
	v_mul_f32_e32 v183, v9, v183
	v_fmac_f32_e32 v149, v7, v182
	v_fma_f32 v182, v6, v182, -v184
	v_fmac_f32_e32 v185, v9, v179
	v_fma_f32 v179, v8, v179, -v183
	ds_read_b128 v[6:9], v1 offset:784
	s_waitcnt vmcnt(9) lgkmcnt(1)
	v_mul_f32_e32 v183, v2, v181
	v_mul_f32_e32 v181, v3, v181
	s_waitcnt vmcnt(8)
	v_mul_f32_e32 v184, v4, v180
	v_mul_f32_e32 v180, v5, v180
	v_fmac_f32_e32 v183, v3, v178
	v_fma_f32 v178, v2, v178, -v181
	s_waitcnt vmcnt(4)
	v_fmac_f32_e32 v184, v5, v198
	v_fma_f32 v180, v4, v198, -v180
	ds_read_b128 v[2:5], v1 offset:800
	s_waitcnt vmcnt(3) lgkmcnt(1)
	v_mul_f32_e32 v181, v6, v199
	v_mul_f32_e32 v192, v7, v199
	buffer_load_dword v199, off, s[0:3], 0 offset:300
	s_waitcnt vmcnt(3)
	v_mul_f32_e32 v193, v8, v200
	v_mul_f32_e32 v198, v9, v200
	v_fmac_f32_e32 v181, v7, v189
	v_fma_f32 v189, v6, v189, -v192
	v_fmac_f32_e32 v193, v9, v188
	v_fma_f32 v188, v8, v188, -v198
	s_clause 0x4
	buffer_load_dword v192, off, s[0:3], 0 offset:320
	buffer_load_dword v198, off, s[0:3], 0 offset:312
	;; [unrolled: 1-line block ×5, first 2 shown]
	s_waitcnt vmcnt(6) lgkmcnt(0)
	v_mul_f32_e32 v207, v2, v191
	v_mul_f32_e32 v7, v3, v191
	v_fmac_f32_e32 v207, v3, v187
	v_fma_f32 v187, v2, v187, -v7
	s_waitcnt vmcnt(5)
	v_mul_f32_e32 v191, v4, v199
	v_mul_f32_e32 v2, v5, v199
	s_waitcnt vmcnt(1)
	v_fmac_f32_e32 v191, v5, v6
	v_fma_f32 v199, v4, v6, -v2
	ds_read_b128 v[2:5], v1 offset:816
	ds_read_b128 v[6:9], v1 offset:832
	s_waitcnt vmcnt(0) lgkmcnt(1)
	v_mul_f32_e32 v208, v2, v206
	v_mul_f32_e32 v206, v3, v206
	v_fmac_f32_e32 v208, v3, v200
	v_fma_f32 v200, v2, v200, -v206
	s_clause 0x1
	buffer_load_dword v2, off, s[0:3], 0 offset:316
	buffer_load_dword v3, off, s[0:3], 0 offset:324
	s_waitcnt vmcnt(1)
	v_mul_f32_e32 v206, v4, v2
	v_mul_f32_e32 v2, v5, v2
	v_fmac_f32_e32 v206, v5, v198
	v_fma_f32 v198, v4, v198, -v2
	v_add_f32_e32 v2, 0, v201
	v_add_f32_e32 v4, 0, v186
	;; [unrolled: 1-line block ×4, first 2 shown]
	buffer_load_dword v176, off, s[0:3], 0 offset:332
	v_add_f32_e32 v2, v2, v194
	v_add_f32_e32 v4, v4, v203
	v_add_f32_e32 v2, v2, v143
	s_clause 0x3
	buffer_load_dword v186, off, s[0:3], 0 offset:352
	buffer_load_dword v194, off, s[0:3], 0 offset:344
	;; [unrolled: 1-line block ×4, first 2 shown]
	v_add_f32_e32 v4, v4, v204
	v_add_f32_e32 v2, v2, v11
	buffer_load_dword v11, off, s[0:3], 0 offset:340
	v_add_f32_e32 v4, v4, v195
	v_add_f32_e32 v2, v2, v12
	s_clause 0x1
	buffer_load_dword v12, off, s[0:3], 0 offset:348
	buffer_load_dword v195, off, s[0:3], 0 offset:356
	v_add_f32_e32 v4, v4, v142
	v_add_f32_e32 v2, v2, v197
	s_clause 0x1
	buffer_load_dword v197, off, s[0:3], 0 offset:364
	buffer_load_dword v202, off, s[0:3], 0 offset:372
	v_add_f32_e32 v4, v4, v196
	v_add_f32_e32 v2, v2, v175
	v_add_f32_e32 v4, v4, v10
	v_add_f32_e32 v2, v2, v168
	s_clause 0x3
	buffer_load_dword v10, off, s[0:3], 0 offset:384
	buffer_load_dword v168, off, s[0:3], 0 offset:376
	buffer_load_dword v175, off, s[0:3], 0 offset:368
	buffer_load_dword v196, off, s[0:3], 0 offset:360
	v_add_f32_e32 v4, v4, v205
	v_add_f32_e32 v2, v2, v163
	buffer_load_dword v163, off, s[0:3], 0 offset:380
	v_add_f32_e32 v4, v4, v174
	s_clause 0x1
	buffer_load_dword v174, off, s[0:3], 0 offset:388
	buffer_load_dword v203, off, s[0:3], 0 offset:396
	v_add_f32_e32 v2, v2, v151
	v_add_f32_e32 v4, v4, v173
	;; [unrolled: 1-line block ×4, first 2 shown]
	s_clause 0x3
	buffer_load_dword v165, off, s[0:3], 0 offset:416
	buffer_load_dword v173, off, s[0:3], 0 offset:408
	;; [unrolled: 1-line block ×4, first 2 shown]
	v_add_f32_e32 v2, v2, v161
	v_add_f32_e32 v4, v4, v167
	buffer_load_dword v167, off, s[0:3], 0 offset:404
	v_add_f32_e32 v2, v2, v156
	v_add_f32_e32 v4, v4, v172
	buffer_load_dword v172, off, s[0:3], 0 offset:412
	v_add_f32_e32 v2, v2, v146
	v_add_f32_e32 v4, v4, v170
	s_clause 0x2
	buffer_load_dword v170, off, s[0:3], 0 offset:420
	buffer_load_dword v205, off, s[0:3], 0 offset:428
	;; [unrolled: 1-line block ×3, first 2 shown]
	v_add_f32_e32 v2, v2, v158
	v_add_f32_e32 v4, v4, v171
	s_clause 0x2
	buffer_load_dword v171, off, s[0:3], 0 offset:444
	buffer_load_dword v210, off, s[0:3], 0 offset:452
	;; [unrolled: 1-line block ×3, first 2 shown]
	v_add_f32_e32 v2, v2, v155
	buffer_load_dword v212, off, s[0:3], 0 offset:468
	v_add_f32_e32 v4, v4, v160
	s_clause 0x2
	buffer_load_dword v213, off, s[0:3], 0 offset:476
	buffer_load_dword v214, off, s[0:3], 0 offset:484
	;; [unrolled: 1-line block ×3, first 2 shown]
	v_add_f32_e32 v2, v2, v152
	v_add_f32_e32 v4, v4, v169
	buffer_load_dword v169, off, s[0:3], 0 offset:492
	v_add_f32_e32 v2, v2, v145
	v_add_f32_e32 v4, v4, v164
	buffer_load_dword v164, off, s[0:3], 0 offset:508
	v_add_f32_e32 v2, v2, v153
	v_add_f32_e32 v4, v4, v166
	s_clause 0x3
	buffer_load_dword v166, off, s[0:3], 0 offset:448
	buffer_load_dword v216, off, s[0:3], 0 offset:440
	;; [unrolled: 1-line block ×4, first 2 shown]
	v_add_f32_e32 v2, v2, v150
	v_add_f32_e32 v4, v4, v154
	s_waitcnt vmcnt(39) lgkmcnt(0)
	v_mul_f32_e32 v154, v6, v3
	v_mul_f32_e32 v3, v7, v3
	v_add_f32_e32 v2, v2, v147
	v_add_f32_e32 v4, v4, v162
	s_clause 0x3
	buffer_load_dword v162, off, s[0:3], 0 offset:480
	buffer_load_dword v219, off, s[0:3], 0 offset:472
	;; [unrolled: 1-line block ×4, first 2 shown]
	v_fmac_f32_e32 v154, v7, v192
	v_add_f32_e32 v2, v2, v144
	v_fma_f32 v155, v6, v192, -v3
	v_add_f32_e32 v4, v4, v157
	v_add_f32_e32 v2, v2, v148
	;; [unrolled: 1-line block ×4, first 2 shown]
	s_clause 0x3
	buffer_load_dword v182, off, s[0:3], 0 offset:504
	buffer_load_dword v222, off, s[0:3], 0 offset:496
	;; [unrolled: 1-line block ×4, first 2 shown]
	v_add_f32_e32 v4, v4, v149
	v_add_f32_e32 v2, v2, v179
	;; [unrolled: 1-line block ×5, first 2 shown]
	ds_read_b128 v[2:5], v1 offset:848
	v_add_f32_e32 v142, v6, v180
	v_add_f32_e32 v146, v142, v189
	v_add_f32_e32 v146, v146, v188
	v_add_f32_e32 v150, v146, v187
	s_waitcnt vmcnt(46)
	v_mul_f32_e32 v158, v8, v176
	v_mul_f32_e32 v6, v9, v176
	s_waitcnt vmcnt(42)
	v_fmac_f32_e32 v158, v9, v143
	v_fma_f32 v159, v8, v143, -v6
	v_add_f32_e32 v143, v7, v184
	ds_read_b128 v[6:9], v1 offset:864
	s_waitcnt vmcnt(41) lgkmcnt(1)
	v_mul_f32_e32 v160, v2, v11
	v_mul_f32_e32 v11, v3, v11
	v_add_f32_e32 v147, v143, v181
	ds_read_b128 v[142:145], v1 offset:880
	s_waitcnt vmcnt(40)
	v_mul_f32_e32 v176, v4, v12
	v_fmac_f32_e32 v160, v3, v201
	v_fma_f32 v11, v2, v201, -v11
	v_add_f32_e32 v147, v147, v193
	v_add_f32_e32 v3, v150, v199
	v_mul_f32_e32 v12, v5, v12
	v_fmac_f32_e32 v176, v5, v194
	v_add_f32_e32 v2, v147, v207
	ds_read_b128 v[146:149], v1 offset:896
	v_add_f32_e32 v3, v3, v200
	v_fma_f32 v12, v4, v194, -v12
	v_add_f32_e32 v2, v2, v191
	s_waitcnt vmcnt(39) lgkmcnt(2)
	v_mul_f32_e32 v150, v7, v195
	v_mul_f32_e32 v178, v6, v195
	s_waitcnt vmcnt(38)
	v_mul_f32_e32 v156, v9, v197
	v_mul_f32_e32 v179, v8, v197
	v_add_f32_e32 v2, v2, v208
	s_waitcnt vmcnt(37) lgkmcnt(1)
	v_mul_f32_e32 v180, v142, v202
	v_fma_f32 v181, v6, v186, -v150
	v_add_f32_e32 v6, v3, v198
	v_fmac_f32_e32 v178, v7, v186
	v_add_f32_e32 v7, v2, v206
	v_mul_f32_e32 v157, v143, v202
	s_waitcnt vmcnt(34)
	v_fmac_f32_e32 v180, v143, v175
	v_add_f32_e32 v143, v6, v155
	s_waitcnt vmcnt(32)
	v_mul_f32_e32 v184, v144, v163
	v_fma_f32 v183, v8, v196, -v156
	v_fma_f32 v175, v142, v175, -v157
	v_add_f32_e32 v142, v7, v154
	v_add_f32_e32 v143, v143, v159
	v_mul_f32_e32 v159, v145, v163
	s_waitcnt vmcnt(31) lgkmcnt(0)
	v_mul_f32_e32 v163, v146, v174
	ds_read_b128 v[2:5], v1 offset:912
	ds_read_b128 v[150:153], v1 offset:928
	v_add_f32_e32 v142, v142, v158
	v_add_f32_e32 v11, v143, v11
	v_mul_f32_e32 v143, v147, v174
	s_waitcnt vmcnt(30)
	v_mul_f32_e32 v174, v149, v203
	v_fmac_f32_e32 v163, v147, v10
	v_fmac_f32_e32 v179, v9, v196
	v_add_f32_e32 v11, v11, v12
	v_fma_f32 v10, v146, v10, -v143
	v_add_f32_e32 v146, v142, v160
	s_waitcnt vmcnt(26)
	v_fma_f32 v12, v148, v204, -v174
	v_fmac_f32_e32 v184, v145, v168
	v_add_f32_e32 v11, v11, v181
	v_fma_f32 v168, v144, v168, -v159
	v_add_f32_e32 v174, v146, v176
	v_mul_f32_e32 v185, v148, v203
	ds_read_b128 v[6:9], v1 offset:944
	ds_read_b128 v[154:157], v1 offset:960
	v_add_f32_e32 v11, v11, v183
	ds_read_b128 v[142:145], v1 offset:976
	ds_read_b128 v[158:161], v1 offset:992
	v_add_f32_e32 v174, v174, v178
	v_fmac_f32_e32 v185, v149, v204
	ds_read_b128 v[146:149], v1 offset:1008
	v_add_f32_e32 v11, v11, v175
	s_waitcnt vmcnt(25) lgkmcnt(6)
	v_mul_f32_e32 v1, v2, v167
	v_add_f32_e32 v174, v174, v179
	v_mul_f32_e32 v167, v3, v167
	s_waitcnt vmcnt(24)
	v_mul_f32_e32 v176, v4, v172
	v_add_f32_e32 v11, v11, v168
	v_mul_f32_e32 v172, v5, v172
	v_add_f32_e32 v174, v174, v180
	v_fma_f32 v2, v2, v190, -v167
	v_fmac_f32_e32 v1, v3, v190
	v_add_f32_e32 v10, v11, v10
	v_fma_f32 v4, v4, v173, -v172
	v_add_f32_e32 v174, v174, v184
	s_waitcnt vmcnt(23) lgkmcnt(5)
	v_mul_f32_e32 v178, v150, v170
	v_fmac_f32_e32 v176, v5, v173
	v_add_f32_e32 v10, v10, v12
	s_waitcnt vmcnt(22)
	v_mul_f32_e32 v5, v153, v205
	v_add_f32_e32 v163, v174, v163
	v_mul_f32_e32 v179, v152, v205
	v_fmac_f32_e32 v178, v151, v165
	v_add_f32_e32 v2, v10, v2
	s_waitcnt vmcnt(8)
	v_fma_f32 v5, v152, v218, -v5
	v_add_f32_e32 v12, v163, v185
	v_mul_f32_e32 v163, v151, v170
	s_waitcnt lgkmcnt(4)
	v_mul_f32_e32 v181, v6, v209
	v_add_f32_e32 v2, v2, v4
	v_mul_f32_e32 v4, v7, v209
	v_add_f32_e32 v1, v12, v1
	v_fma_f32 v10, v150, v165, -v163
	v_fmac_f32_e32 v179, v153, v218
	v_mul_f32_e32 v175, v8, v171
	v_fma_f32 v4, v6, v217, -v4
	v_add_f32_e32 v1, v1, v176
	v_add_f32_e32 v2, v2, v10
	v_mul_f32_e32 v10, v9, v171
	v_fmac_f32_e32 v181, v7, v217
	s_waitcnt lgkmcnt(3)
	v_mul_f32_e32 v180, v154, v210
	v_add_f32_e32 v1, v1, v178
	v_add_f32_e32 v2, v2, v5
	v_mul_f32_e32 v5, v155, v210
	v_fma_f32 v6, v8, v216, -v10
	v_fmac_f32_e32 v175, v9, v216
	v_add_f32_e32 v1, v1, v179
	v_add_f32_e32 v2, v2, v4
	v_mul_f32_e32 v4, v157, v211
	v_fma_f32 v5, v154, v166, -v5
	v_mul_f32_e32 v183, v156, v211
	v_add_f32_e32 v1, v1, v181
	v_add_f32_e32 v2, v2, v6
	v_fmac_f32_e32 v180, v155, v166
	s_waitcnt lgkmcnt(2)
	v_mul_f32_e32 v6, v143, v212
	s_waitcnt vmcnt(4)
	v_fma_f32 v4, v156, v221, -v4
	v_add_f32_e32 v1, v1, v175
	v_add_f32_e32 v2, v2, v5
	v_mul_f32_e32 v168, v142, v212
	v_fmac_f32_e32 v183, v157, v221
	v_mul_f32_e32 v5, v145, v213
	v_add_f32_e32 v1, v1, v180
	v_fma_f32 v6, v142, v220, -v6
	v_add_f32_e32 v2, v2, v4
	v_mul_f32_e32 v184, v144, v213
	v_fmac_f32_e32 v168, v143, v220
	v_add_f32_e32 v1, v1, v183
	s_waitcnt lgkmcnt(1)
	v_mul_f32_e32 v4, v159, v214
	v_fma_f32 v5, v144, v219, -v5
	v_add_f32_e32 v2, v2, v6
	v_mul_f32_e32 v186, v158, v214
	v_fmac_f32_e32 v184, v145, v219
	v_add_f32_e32 v1, v1, v168
	v_mul_f32_e32 v6, v161, v169
	v_fma_f32 v4, v158, v162, -v4
	v_add_f32_e32 v2, v2, v5
	v_mul_f32_e32 v11, v160, v169
	v_fmac_f32_e32 v186, v159, v162
	v_add_f32_e32 v1, v1, v184
	s_waitcnt lgkmcnt(0)
	v_mul_f32_e32 v5, v147, v215
	s_waitcnt vmcnt(1)
	v_fma_f32 v6, v160, v223, -v6
	v_add_f32_e32 v2, v2, v4
	v_mul_f32_e32 v174, v146, v215
	v_fmac_f32_e32 v11, v161, v223
	v_add_f32_e32 v1, v1, v186
	v_mul_f32_e32 v4, v149, v164
	v_fma_f32 v5, v146, v222, -v5
	v_add_f32_e32 v2, v2, v6
	v_mul_f32_e32 v3, v148, v164
	v_fmac_f32_e32 v174, v147, v222
	v_add_f32_e32 v1, v1, v11
	v_fma_f32 v4, v148, v182, -v4
	v_add_f32_e32 v2, v2, v5
	v_fmac_f32_e32 v3, v149, v182
	v_add_f32_e32 v1, v1, v174
	v_add_f32_e32 v2, v2, v4
	;; [unrolled: 1-line block ×3, first 2 shown]
	s_waitcnt vmcnt(0)
	v_sub_f32_e32 v2, v224, v2
	v_sub_f32_e32 v1, v177, v1
	buffer_store_dword v2, off, s[0:3], 0 offset:40
	buffer_store_dword v1, off, s[0:3], 0 offset:44
	v_cmpx_lt_u32_e32 4, v0
	s_cbranch_execz .LBB63_389
; %bb.388:
	s_clause 0x1
	buffer_load_dword v1, off, s[0:3], 0 offset:32
	buffer_load_dword v2, off, s[0:3], 0 offset:36
	v_mov_b32_e32 v3, 0
	buffer_store_dword v3, off, s[0:3], 0 offset:32
	buffer_store_dword v3, off, s[0:3], 0 offset:36
	s_waitcnt vmcnt(0)
	ds_write_b64 v141, v[1:2]
.LBB63_389:
	s_or_b32 exec_lo, exec_lo, s4
	s_waitcnt lgkmcnt(0)
	s_waitcnt_vscnt null, 0x0
	s_barrier
	buffer_gl0_inv
	s_clause 0x34
	buffer_load_dword v11, off, s[0:3], 0 offset:44
	buffer_load_dword v10, off, s[0:3], 0 offset:52
	buffer_load_dword v12, off, s[0:3], 0 offset:56
	buffer_load_dword v142, off, s[0:3], 0 offset:48
	buffer_load_dword v145, off, s[0:3], 0 offset:40
	buffer_load_dword v144, off, s[0:3], 0 offset:60
	buffer_load_dword v143, off, s[0:3], 0 offset:68
	buffer_load_dword v146, off, s[0:3], 0 offset:76
	buffer_load_dword v147, off, s[0:3], 0 offset:88
	buffer_load_dword v149, off, s[0:3], 0 offset:80
	buffer_load_dword v151, off, s[0:3], 0 offset:72
	buffer_load_dword v154, off, s[0:3], 0 offset:64
	buffer_load_dword v153, off, s[0:3], 0 offset:84
	buffer_load_dword v152, off, s[0:3], 0 offset:92
	buffer_load_dword v150, off, s[0:3], 0 offset:100
	buffer_load_dword v148, off, s[0:3], 0 offset:108
	buffer_load_dword v160, off, s[0:3], 0 offset:120
	buffer_load_dword v168, off, s[0:3], 0 offset:112
	buffer_load_dword v176, off, s[0:3], 0 offset:104
	buffer_load_dword v183, off, s[0:3], 0 offset:96
	buffer_load_dword v182, off, s[0:3], 0 offset:116
	buffer_load_dword v177, off, s[0:3], 0 offset:124
	buffer_load_dword v171, off, s[0:3], 0 offset:132
	buffer_load_dword v179, off, s[0:3], 0 offset:140
	buffer_load_dword v164, off, s[0:3], 0 offset:152
	buffer_load_dword v172, off, s[0:3], 0 offset:144
	buffer_load_dword v178, off, s[0:3], 0 offset:136
	buffer_load_dword v185, off, s[0:3], 0 offset:128
	buffer_load_dword v184, off, s[0:3], 0 offset:148
	buffer_load_dword v180, off, s[0:3], 0 offset:156
	buffer_load_dword v175, off, s[0:3], 0 offset:164
	buffer_load_dword v173, off, s[0:3], 0 offset:172
	buffer_load_dword v156, off, s[0:3], 0 offset:184
	buffer_load_dword v161, off, s[0:3], 0 offset:176
	buffer_load_dword v167, off, s[0:3], 0 offset:168
	buffer_load_dword v181, off, s[0:3], 0 offset:160
	buffer_load_dword v174, off, s[0:3], 0 offset:180
	buffer_load_dword v169, off, s[0:3], 0 offset:188
	buffer_load_dword v165, off, s[0:3], 0 offset:196
	buffer_load_dword v163, off, s[0:3], 0 offset:204
	buffer_load_dword v155, off, s[0:3], 0 offset:216
	buffer_load_dword v157, off, s[0:3], 0 offset:208
	buffer_load_dword v162, off, s[0:3], 0 offset:200
	buffer_load_dword v170, off, s[0:3], 0 offset:192
	buffer_load_dword v166, off, s[0:3], 0 offset:212
	buffer_load_dword v159, off, s[0:3], 0 offset:220
	buffer_load_dword v158, off, s[0:3], 0 offset:228
	buffer_load_dword v186, off, s[0:3], 0 offset:248
	buffer_load_dword v189, off, s[0:3], 0 offset:240
	buffer_load_dword v190, off, s[0:3], 0 offset:232
	buffer_load_dword v193, off, s[0:3], 0 offset:224
	buffer_load_dword v192, off, s[0:3], 0 offset:236
	buffer_load_dword v191, off, s[0:3], 0 offset:244
	v_mov_b32_e32 v9, 0
	ds_read2_b64 v[195:198], v9 offset0:69 offset1:70
	ds_read2_b64 v[5:8], v9 offset0:71 offset1:72
	;; [unrolled: 1-line block ×3, first 2 shown]
	s_clause 0x2
	buffer_load_dword v188, off, s[0:3], 0 offset:252
	buffer_load_dword v187, off, s[0:3], 0 offset:260
	;; [unrolled: 1-line block ×3, first 2 shown]
	ds_read2_b64 v[199:202], v9 offset0:75 offset1:76
	s_mov_b32 s4, exec_lo
	s_waitcnt vmcnt(55) lgkmcnt(3)
	v_mul_f32_e32 v203, v195, v11
	v_mul_f32_e32 v11, v196, v11
	s_waitcnt vmcnt(54)
	v_mul_f32_e32 v204, v197, v10
	v_mul_f32_e32 v10, v198, v10
	s_waitcnt vmcnt(51)
	v_fmac_f32_e32 v203, v196, v145
	v_fma_f32 v11, v195, v145, -v11
	v_fmac_f32_e32 v204, v198, v142
	v_fma_f32 v10, v197, v142, -v10
	ds_read2_b64 v[195:198], v9 offset0:77 offset1:78
	s_waitcnt vmcnt(50) lgkmcnt(3)
	v_mul_f32_e32 v205, v5, v144
	v_mul_f32_e32 v144, v6, v144
	s_waitcnt vmcnt(49)
	v_mul_f32_e32 v206, v7, v143
	v_mul_f32_e32 v142, v8, v143
	s_waitcnt vmcnt(48) lgkmcnt(2)
	v_mul_f32_e32 v207, v1, v146
	v_fmac_f32_e32 v205, v6, v12
	v_fma_f32 v12, v5, v12, -v144
	v_mul_f32_e32 v143, v2, v146
	s_waitcnt vmcnt(44)
	v_fmac_f32_e32 v206, v8, v154
	v_fma_f32 v154, v7, v154, -v142
	ds_read2_b64 v[5:8], v9 offset0:79 offset1:80
	s_waitcnt vmcnt(43)
	v_mul_f32_e32 v208, v3, v153
	v_mul_f32_e32 v142, v4, v153
	v_fmac_f32_e32 v207, v2, v151
	v_fma_f32 v151, v1, v151, -v143
	s_waitcnt vmcnt(42) lgkmcnt(2)
	v_mul_f32_e32 v153, v199, v152
	v_mul_f32_e32 v143, v200, v152
	v_fmac_f32_e32 v208, v4, v149
	v_fma_f32 v152, v3, v149, -v142
	ds_read2_b64 v[1:4], v9 offset0:81 offset1:82
	s_waitcnt vmcnt(41)
	v_mul_f32_e32 v209, v201, v150
	v_mul_f32_e32 v142, v202, v150
	v_fmac_f32_e32 v153, v200, v147
	v_fma_f32 v150, v199, v147, -v143
	s_waitcnt vmcnt(40) lgkmcnt(2)
	v_mul_f32_e32 v199, v195, v148
	v_mul_f32_e32 v146, v196, v148
	s_waitcnt vmcnt(36)
	v_fmac_f32_e32 v209, v202, v183
	v_fma_f32 v183, v201, v183, -v142
	ds_read2_b64 v[142:145], v9 offset0:83 offset1:84
	s_waitcnt vmcnt(35)
	v_mul_f32_e32 v200, v197, v182
	v_mul_f32_e32 v147, v198, v182
	v_fmac_f32_e32 v199, v196, v176
	v_fma_f32 v176, v195, v176, -v146
	s_waitcnt vmcnt(34) lgkmcnt(2)
	v_mul_f32_e32 v182, v5, v177
	v_fmac_f32_e32 v200, v198, v168
	v_fma_f32 v168, v197, v168, -v147
	ds_read2_b64 v[146:149], v9 offset0:85 offset1:86
	v_mul_f32_e32 v177, v6, v177
	s_waitcnt vmcnt(33)
	v_mul_f32_e32 v195, v7, v171
	v_mul_f32_e32 v171, v8, v171
	v_fmac_f32_e32 v182, v6, v160
	v_fma_f32 v160, v5, v160, -v177
	s_waitcnt vmcnt(32) lgkmcnt(2)
	v_mul_f32_e32 v177, v1, v179
	v_mul_f32_e32 v179, v2, v179
	s_waitcnt vmcnt(28)
	v_fmac_f32_e32 v195, v8, v185
	v_fma_f32 v171, v7, v185, -v171
	s_waitcnt vmcnt(27)
	v_mul_f32_e32 v185, v3, v184
	v_mul_f32_e32 v184, v4, v184
	ds_read2_b64 v[5:8], v9 offset0:87 offset1:88
	v_fmac_f32_e32 v177, v2, v178
	v_fma_f32 v178, v1, v178, -v179
	s_waitcnt vmcnt(26) lgkmcnt(2)
	v_mul_f32_e32 v179, v142, v180
	v_mul_f32_e32 v180, v143, v180
	v_fmac_f32_e32 v185, v4, v172
	v_fma_f32 v172, v3, v172, -v184
	s_waitcnt vmcnt(25)
	v_mul_f32_e32 v184, v144, v175
	v_mul_f32_e32 v175, v145, v175
	ds_read2_b64 v[1:4], v9 offset0:89 offset1:90
	v_fmac_f32_e32 v179, v143, v164
	v_fma_f32 v164, v142, v164, -v180
	s_waitcnt vmcnt(24) lgkmcnt(2)
	v_mul_f32_e32 v180, v146, v173
	v_mul_f32_e32 v142, v147, v173
	s_waitcnt vmcnt(20)
	v_fmac_f32_e32 v184, v145, v181
	v_fma_f32 v173, v144, v181, -v175
	s_clause 0x3
	buffer_load_dword v175, off, s[0:3], 0 offset:280
	buffer_load_dword v181, off, s[0:3], 0 offset:272
	;; [unrolled: 1-line block ×4, first 2 shown]
	v_fmac_f32_e32 v180, v147, v167
	v_fma_f32 v146, v146, v167, -v142
	s_waitcnt vmcnt(23)
	v_mul_f32_e32 v198, v148, v174
	s_waitcnt vmcnt(22) lgkmcnt(1)
	v_mul_f32_e32 v147, v5, v169
	v_mul_f32_e32 v167, v6, v169
	;; [unrolled: 1-line block ×3, first 2 shown]
	buffer_load_dword v174, off, s[0:3], 0 offset:292
	v_fmac_f32_e32 v198, v149, v161
	v_fmac_f32_e32 v147, v6, v156
	v_fma_f32 v156, v5, v156, -v167
	v_fma_f32 v148, v148, v161, -v143
	ds_read2_b64 v[142:145], v9 offset0:91 offset1:92
	s_waitcnt vmcnt(16) lgkmcnt(1)
	v_mul_f32_e32 v167, v3, v166
	v_mul_f32_e32 v166, v4, v166
	;; [unrolled: 1-line block ×6, first 2 shown]
	buffer_load_dword v163, off, s[0:3], 0 offset:268
	v_fmac_f32_e32 v167, v4, v157
	v_fma_f32 v157, v3, v157, -v166
	buffer_load_dword v166, off, s[0:3], 0 offset:276
	v_fmac_f32_e32 v149, v8, v170
	v_fma_f32 v161, v7, v170, -v161
	v_fmac_f32_e32 v165, v2, v162
	v_fma_f32 v162, v1, v162, -v5
	ds_read2_b64 v[5:8], v9 offset0:93 offset1:94
	s_waitcnt vmcnt(17) lgkmcnt(1)
	v_mul_f32_e32 v169, v142, v159
	v_mul_f32_e32 v1, v143, v159
	s_waitcnt vmcnt(16)
	v_mul_f32_e32 v159, v144, v158
	v_mul_f32_e32 v2, v145, v158
	buffer_load_dword v158, off, s[0:3], 0 offset:284
	v_fmac_f32_e32 v169, v143, v155
	v_fma_f32 v142, v142, v155, -v1
	s_waitcnt vmcnt(13)
	v_fmac_f32_e32 v159, v145, v193
	v_fma_f32 v143, v144, v193, -v2
	ds_read2_b64 v[1:4], v9 offset0:95 offset1:96
	s_waitcnt vmcnt(12) lgkmcnt(1)
	v_mul_f32_e32 v144, v5, v192
	v_mul_f32_e32 v145, v6, v192
	s_waitcnt vmcnt(11)
	v_mul_f32_e32 v155, v7, v191
	v_mul_f32_e32 v170, v8, v191
	v_fmac_f32_e32 v144, v6, v190
	v_fma_f32 v145, v5, v190, -v145
	v_fmac_f32_e32 v155, v8, v189
	v_fma_f32 v170, v7, v189, -v170
	s_clause 0x5
	buffer_load_dword v189, off, s[0:3], 0 offset:312
	buffer_load_dword v190, off, s[0:3], 0 offset:304
	buffer_load_dword v191, off, s[0:3], 0 offset:296
	buffer_load_dword v192, off, s[0:3], 0 offset:288
	buffer_load_dword v193, off, s[0:3], 0 offset:300
	buffer_load_dword v201, off, s[0:3], 0 offset:308
	v_add_f32_e32 v5, 0, v11
	v_add_f32_e32 v6, 0, v203
	buffer_load_dword v11, off, s[0:3], 0 offset:324
	s_waitcnt vmcnt(17) lgkmcnt(0)
	v_mul_f32_e32 v7, v2, v188
	v_add_f32_e32 v5, v5, v10
	buffer_load_dword v10, off, s[0:3], 0 offset:316
	v_add_f32_e32 v6, v6, v204
	s_waitcnt vmcnt(17)
	v_mul_f32_e32 v8, v4, v187
	v_add_f32_e32 v5, v5, v12
	v_mul_f32_e32 v12, v1, v188
	v_add_f32_e32 v6, v6, v205
	;; [unrolled: 2-line block ×3, first 2 shown]
	v_fmac_f32_e32 v12, v2, v186
	v_fma_f32 v154, v1, v186, -v7
	v_add_f32_e32 v6, v6, v206
	v_add_f32_e32 v5, v5, v151
	s_clause 0x3
	buffer_load_dword v151, off, s[0:3], 0 offset:344
	buffer_load_dword v186, off, s[0:3], 0 offset:336
	;; [unrolled: 1-line block ×4, first 2 shown]
	v_add_f32_e32 v6, v6, v207
	v_add_f32_e32 v5, v5, v152
	buffer_load_dword v152, off, s[0:3], 0 offset:332
	v_add_f32_e32 v6, v6, v208
	v_add_f32_e32 v5, v5, v150
	;; [unrolled: 1-line block ×8, first 2 shown]
	s_waitcnt vmcnt(17)
	v_fmac_f32_e32 v188, v4, v197
	v_fma_f32 v197, v3, v197, -v8
	ds_read2_b64 v[1:4], v9 offset0:97 offset1:98
	s_clause 0x2
	buffer_load_dword v153, off, s[0:3], 0 offset:340
	buffer_load_dword v183, off, s[0:3], 0 offset:348
	;; [unrolled: 1-line block ×3, first 2 shown]
	ds_read2_b64 v[5:8], v9 offset0:99 offset1:100
	buffer_load_dword v168, off, s[0:3], 0 offset:364
	s_waitcnt vmcnt(19) lgkmcnt(1)
	v_mul_f32_e32 v176, v1, v163
	v_mul_f32_e32 v163, v2, v163
	s_waitcnt vmcnt(18)
	v_mul_f32_e32 v204, v3, v166
	v_mul_f32_e32 v166, v4, v166
	v_fmac_f32_e32 v176, v2, v196
	v_fma_f32 v163, v1, v196, -v163
	v_add_f32_e32 v1, v199, v200
	v_fmac_f32_e32 v204, v4, v181
	v_fma_f32 v166, v3, v181, -v166
	v_add_f32_e32 v2, v150, v160
	s_clause 0x3
	buffer_load_dword v160, off, s[0:3], 0 offset:376
	buffer_load_dword v181, off, s[0:3], 0 offset:368
	;; [unrolled: 1-line block ×4, first 2 shown]
	v_add_f32_e32 v1, v1, v182
	v_add_f32_e32 v150, v2, v171
	s_clause 0x2
	buffer_load_dword v171, off, s[0:3], 0 offset:372
	buffer_load_dword v182, off, s[0:3], 0 offset:380
	;; [unrolled: 1-line block ×3, first 2 shown]
	v_add_f32_e32 v195, v1, v195
	ds_read2_b64 v[1:4], v9 offset0:101 offset1:102
	v_add_f32_e32 v150, v150, v178
	s_waitcnt vmcnt(24) lgkmcnt(1)
	v_mul_f32_e32 v178, v5, v158
	v_mul_f32_e32 v158, v6, v158
	v_add_f32_e32 v177, v195, v177
	v_mul_f32_e32 v195, v7, v174
	v_mul_f32_e32 v174, v8, v174
	v_fmac_f32_e32 v178, v6, v175
	v_add_f32_e32 v6, v150, v172
	v_fma_f32 v150, v5, v175, -v158
	v_add_f32_e32 v5, v177, v185
	v_add_f32_e32 v164, v6, v164
	s_waitcnt vmcnt(20)
	v_fmac_f32_e32 v195, v8, v192
	v_add_f32_e32 v179, v5, v179
	v_fma_f32 v158, v7, v192, -v174
	s_clause 0x4
	buffer_load_dword v172, off, s[0:3], 0 offset:408
	buffer_load_dword v174, off, s[0:3], 0 offset:400
	;; [unrolled: 1-line block ×5, first 2 shown]
	v_add_f32_e32 v164, v164, v173
	s_waitcnt vmcnt(24) lgkmcnt(0)
	v_mul_f32_e32 v173, v2, v193
	v_add_f32_e32 v179, v179, v184
	v_mul_f32_e32 v192, v1, v193
	ds_read2_b64 v[5:8], v9 offset0:103 offset1:104
	v_add_f32_e32 v146, v164, v146
	v_fma_f32 v173, v1, v191, -v173
	v_add_f32_e32 v1, v179, v180
	v_fmac_f32_e32 v192, v2, v191
	s_clause 0x1
	buffer_load_dword v184, off, s[0:3], 0 offset:404
	buffer_load_dword v193, off, s[0:3], 0 offset:412
	v_add_f32_e32 v2, v146, v148
	buffer_load_dword v164, off, s[0:3], 0 offset:420
	v_add_f32_e32 v1, v1, v198
	s_waitcnt vmcnt(26)
	v_mul_f32_e32 v191, v3, v201
	v_mul_f32_e32 v146, v4, v201
	v_add_f32_e32 v2, v2, v156
	s_clause 0x1
	buffer_load_dword v179, off, s[0:3], 0 offset:428
	buffer_load_dword v180, off, s[0:3], 0 offset:436
	v_add_f32_e32 v1, v1, v147
	buffer_load_dword v198, off, s[0:3], 0 offset:444
	v_fmac_f32_e32 v191, v4, v190
	v_add_f32_e32 v2, v2, v161
	v_fma_f32 v156, v3, v190, -v146
	v_add_f32_e32 v1, v1, v149
	s_clause 0x4
	buffer_load_dword v190, off, s[0:3], 0 offset:452
	buffer_load_dword v201, off, s[0:3], 0 offset:460
	;; [unrolled: 1-line block ×5, first 2 shown]
	v_add_f32_e32 v2, v2, v162
	s_clause 0x2
	buffer_load_dword v162, off, s[0:3], 0 offset:492
	buffer_load_dword v208, off, s[0:3], 0 offset:500
	;; [unrolled: 1-line block ×3, first 2 shown]
	v_add_f32_e32 v1, v1, v165
	s_clause 0x3
	buffer_load_dword v165, off, s[0:3], 0 offset:440
	buffer_load_dword v210, off, s[0:3], 0 offset:432
	;; [unrolled: 1-line block ×4, first 2 shown]
	s_waitcnt vmcnt(39) lgkmcnt(0)
	v_mul_f32_e32 v3, v6, v10
	v_add_f32_e32 v2, v2, v157
	v_add_f32_e32 v1, v1, v167
	;; [unrolled: 1-line block ×4, first 2 shown]
	s_clause 0x3
	buffer_load_dword v167, off, s[0:3], 0 offset:472
	buffer_load_dword v169, off, s[0:3], 0 offset:464
	;; [unrolled: 1-line block ×4, first 2 shown]
	v_add_f32_e32 v2, v2, v143
	v_add_f32_e32 v1, v1, v159
	;; [unrolled: 1-line block ×5, first 2 shown]
	s_clause 0x4
	buffer_load_dword v170, off, s[0:3], 0 offset:504
	buffer_load_dword v215, off, s[0:3], 0 offset:496
	;; [unrolled: 1-line block ×5, first 2 shown]
	v_add_f32_e32 v1, v1, v155
	v_mul_f32_e32 v155, v7, v11
	v_add_f32_e32 v2, v2, v154
	v_mul_f32_e32 v154, v5, v10
	v_fma_f32 v10, v5, v189, -v3
	v_add_f32_e32 v1, v1, v12
	s_waitcnt vmcnt(44)
	v_fmac_f32_e32 v155, v8, v202
	v_add_f32_e32 v5, v2, v197
	v_fmac_f32_e32 v154, v6, v189
	v_add_f32_e32 v6, v1, v188
	ds_read2_b64 v[1:4], v9 offset0:105 offset1:106
	v_add_f32_e32 v12, v5, v163
	v_mul_f32_e32 v5, v8, v11
	v_add_f32_e32 v142, v6, v176
	v_add_f32_e32 v12, v12, v166
	v_fma_f32 v11, v7, v202, -v5
	ds_read2_b64 v[5:8], v9 offset0:107 offset1:108
	v_add_f32_e32 v146, v142, v204
	ds_read2_b64 v[142:145], v9 offset0:109 offset1:110
	v_add_f32_e32 v12, v12, v150
	v_add_f32_e32 v146, v146, v178
	;; [unrolled: 1-line block ×3, first 2 shown]
	s_waitcnt vmcnt(43) lgkmcnt(2)
	v_mul_f32_e32 v147, v2, v152
	v_mul_f32_e32 v159, v1, v152
	v_fma_f32 v158, v1, v187, -v147
	v_add_f32_e32 v1, v146, v195
	v_fmac_f32_e32 v159, v2, v187
	v_add_f32_e32 v2, v12, v173
	ds_read2_b64 v[146:149], v9 offset0:111 offset1:112
	v_add_f32_e32 v1, v1, v192
	v_add_f32_e32 v2, v2, v156
	;; [unrolled: 1-line block ×3, first 2 shown]
	s_waitcnt vmcnt(42)
	v_mul_f32_e32 v150, v4, v153
	s_waitcnt vmcnt(41) lgkmcnt(2)
	v_mul_f32_e32 v152, v6, v183
	v_mul_f32_e32 v163, v5, v183
	;; [unrolled: 1-line block ×3, first 2 shown]
	s_waitcnt vmcnt(40)
	v_mul_f32_e32 v156, v8, v203
	v_fma_f32 v161, v3, v186, -v150
	v_fma_f32 v176, v5, v151, -v152
	v_add_f32_e32 v5, v2, v10
	v_fmac_f32_e32 v163, v6, v151
	v_add_f32_e32 v6, v1, v154
	s_waitcnt vmcnt(39) lgkmcnt(1)
	v_mul_f32_e32 v10, v143, v168
	v_fmac_f32_e32 v12, v4, v186
	v_add_f32_e32 v11, v5, v11
	v_mul_f32_e32 v166, v7, v203
	v_mul_f32_e32 v173, v142, v168
	ds_read2_b64 v[1:4], v9 offset0:113 offset1:114
	ds_read2_b64 v[150:153], v9 offset0:115 offset1:116
	v_add_f32_e32 v11, v11, v158
	v_add_f32_e32 v11, v11, v161
	s_waitcnt vmcnt(36)
	v_fma_f32 v178, v142, v196, -v10
	v_add_f32_e32 v10, v6, v155
	s_waitcnt vmcnt(35)
	v_fma_f32 v168, v7, v199, -v156
	v_fmac_f32_e32 v166, v8, v199
	s_waitcnt vmcnt(34)
	v_mul_f32_e32 v183, v144, v171
	v_mul_f32_e32 v142, v145, v171
	v_add_f32_e32 v10, v10, v159
	v_fmac_f32_e32 v173, v143, v196
	s_waitcnt vmcnt(33) lgkmcnt(2)
	v_mul_f32_e32 v143, v147, v182
	v_fmac_f32_e32 v183, v145, v181
	v_fma_f32 v181, v144, v181, -v142
	v_add_f32_e32 v10, v10, v12
	v_add_f32_e32 v12, v11, v176
	v_mul_f32_e32 v171, v146, v182
	s_waitcnt vmcnt(32)
	v_mul_f32_e32 v186, v148, v200
	v_mul_f32_e32 v182, v149, v200
	v_add_f32_e32 v163, v10, v163
	v_add_f32_e32 v12, v12, v168
	v_fma_f32 v187, v146, v160, -v143
	v_fmac_f32_e32 v171, v147, v160
	ds_read2_b64 v[5:8], v9 offset0:117 offset1:118
	ds_read2_b64 v[154:157], v9 offset0:119 offset1:120
	v_add_f32_e32 v163, v163, v166
	v_add_f32_e32 v12, v12, v178
	ds_read2_b64 v[142:145], v9 offset0:121 offset1:122
	ds_read2_b64 v[158:161], v9 offset0:123 offset1:124
	s_waitcnt vmcnt(28)
	v_fmac_f32_e32 v186, v149, v177
	v_add_f32_e32 v163, v163, v173
	v_add_f32_e32 v12, v12, v181
	v_fma_f32 v176, v148, v177, -v182
	s_waitcnt vmcnt(27) lgkmcnt(5)
	v_mul_f32_e32 v177, v2, v185
	v_mul_f32_e32 v168, v1, v185
	v_add_f32_e32 v163, v163, v183
	v_add_f32_e32 v12, v12, v187
	ds_read2_b64 v[146:149], v9 offset0:125 offset1:126
	ds_read_b64 v[10:11], v9 offset:1016
	v_fma_f32 v1, v1, v175, -v177
	s_waitcnt vmcnt(26)
	v_mul_f32_e32 v182, v4, v184
	v_add_f32_e32 v163, v163, v171
	v_add_f32_e32 v12, v12, v176
	v_mul_f32_e32 v166, v3, v184
	v_fmac_f32_e32 v168, v2, v175
	s_waitcnt vmcnt(25) lgkmcnt(6)
	v_mul_f32_e32 v181, v151, v193
	v_add_f32_e32 v163, v163, v186
	v_fma_f32 v3, v3, v174, -v182
	v_add_f32_e32 v1, v12, v1
	v_mul_f32_e32 v178, v150, v193
	v_fmac_f32_e32 v166, v4, v174
	v_add_f32_e32 v12, v163, v168
	s_waitcnt vmcnt(24)
	v_mul_f32_e32 v173, v152, v164
	v_mul_f32_e32 v164, v153, v164
	v_fma_f32 v150, v150, v172, -v181
	v_add_f32_e32 v1, v1, v3
	v_fmac_f32_e32 v178, v151, v172
	v_add_f32_e32 v3, v12, v166
	s_waitcnt vmcnt(23) lgkmcnt(5)
	v_mul_f32_e32 v12, v6, v179
	v_mul_f32_e32 v2, v5, v179
	s_waitcnt vmcnt(9)
	v_fma_f32 v151, v152, v212, -v164
	v_add_f32_e32 v1, v1, v150
	v_fmac_f32_e32 v173, v153, v212
	v_add_f32_e32 v3, v3, v178
	v_mul_f32_e32 v150, v8, v180
	v_fma_f32 v5, v5, v211, -v12
	v_add_f32_e32 v1, v1, v151
	v_mul_f32_e32 v175, v7, v180
	v_fmac_f32_e32 v2, v6, v211
	v_add_f32_e32 v3, v3, v173
	s_waitcnt lgkmcnt(4)
	v_mul_f32_e32 v6, v155, v198
	v_fma_f32 v7, v7, v210, -v150
	v_add_f32_e32 v1, v1, v5
	v_mul_f32_e32 v177, v154, v198
	v_fmac_f32_e32 v175, v8, v210
	v_add_f32_e32 v2, v3, v2
	v_mul_f32_e32 v3, v157, v190
	v_fma_f32 v5, v154, v165, -v6
	v_add_f32_e32 v1, v1, v7
	v_mul_f32_e32 v4, v156, v190
	v_fmac_f32_e32 v177, v155, v165
	v_add_f32_e32 v2, v2, v175
	s_waitcnt lgkmcnt(3)
	v_mul_f32_e32 v6, v143, v201
	s_waitcnt vmcnt(5)
	v_fma_f32 v3, v156, v214, -v3
	v_add_f32_e32 v1, v1, v5
	v_mul_f32_e32 v174, v142, v201
	v_fmac_f32_e32 v4, v157, v214
	v_add_f32_e32 v2, v2, v177
	v_mul_f32_e32 v5, v145, v205
	v_fma_f32 v6, v142, v213, -v6
	v_add_f32_e32 v1, v1, v3
	v_mul_f32_e32 v171, v144, v205
	v_fmac_f32_e32 v174, v143, v213
	v_add_f32_e32 v2, v2, v4
	s_waitcnt lgkmcnt(2)
	v_mul_f32_e32 v3, v159, v206
	v_fma_f32 v4, v144, v169, -v5
	v_add_f32_e32 v1, v1, v6
	v_mul_f32_e32 v182, v158, v206
	v_fmac_f32_e32 v171, v145, v169
	v_add_f32_e32 v2, v2, v174
	v_mul_f32_e32 v5, v161, v207
	v_fma_f32 v3, v158, v167, -v3
	v_add_f32_e32 v1, v1, v4
	v_mul_f32_e32 v183, v160, v207
	v_fmac_f32_e32 v182, v159, v167
	v_add_f32_e32 v2, v2, v171
	s_waitcnt lgkmcnt(1)
	v_mul_f32_e32 v4, v147, v162
	s_waitcnt vmcnt(1)
	v_fma_f32 v5, v160, v217, -v5
	v_add_f32_e32 v1, v1, v3
	v_mul_f32_e32 v176, v146, v162
	v_fmac_f32_e32 v183, v161, v217
	v_add_f32_e32 v2, v2, v182
	v_mul_f32_e32 v3, v149, v208
	v_fma_f32 v4, v146, v216, -v4
	v_add_f32_e32 v1, v1, v5
	v_mul_f32_e32 v184, v148, v208
	v_fmac_f32_e32 v176, v147, v216
	v_add_f32_e32 v2, v2, v183
	s_waitcnt lgkmcnt(0)
	v_mul_f32_e32 v5, v11, v209
	v_fma_f32 v3, v148, v215, -v3
	v_add_f32_e32 v1, v1, v4
	v_mul_f32_e32 v163, v10, v209
	v_fmac_f32_e32 v184, v149, v215
	v_add_f32_e32 v2, v2, v176
	v_fma_f32 v4, v10, v170, -v5
	v_add_f32_e32 v1, v1, v3
	v_fmac_f32_e32 v163, v11, v170
	v_add_f32_e32 v2, v2, v184
	v_add_f32_e32 v1, v1, v4
	;; [unrolled: 1-line block ×3, first 2 shown]
	s_waitcnt vmcnt(0)
	v_sub_f32_e32 v1, v218, v1
	v_sub_f32_e32 v2, v194, v2
	buffer_store_dword v1, off, s[0:3], 0 offset:32
	buffer_store_dword v2, off, s[0:3], 0 offset:36
	v_cmpx_lt_u32_e32 3, v0
	s_cbranch_execz .LBB63_391
; %bb.390:
	s_clause 0x1
	buffer_load_dword v1, off, s[0:3], 0 offset:24
	buffer_load_dword v2, off, s[0:3], 0 offset:28
	buffer_store_dword v9, off, s[0:3], 0 offset:24
	buffer_store_dword v9, off, s[0:3], 0 offset:28
	s_waitcnt vmcnt(0)
	ds_write_b64 v141, v[1:2]
.LBB63_391:
	s_or_b32 exec_lo, exec_lo, s4
	s_waitcnt lgkmcnt(0)
	s_waitcnt_vscnt null, 0x0
	s_barrier
	buffer_gl0_inv
	s_clause 0x3c
	buffer_load_dword v176, off, s[0:3], 0 offset:36
	buffer_load_dword v177, off, s[0:3], 0 offset:44
	;; [unrolled: 1-line block ×61, first 2 shown]
	ds_read_b128 v[193:196], v9 offset:544
	ds_read_b128 v[197:200], v9 offset:560
	s_mov_b32 s4, exec_lo
	s_waitcnt vmcnt(60) lgkmcnt(1)
	v_mul_f32_e32 v187, v193, v176
	v_mul_f32_e32 v201, v194, v176
	s_waitcnt vmcnt(59)
	v_mul_f32_e32 v176, v195, v177
	v_mul_f32_e32 v202, v196, v177
	buffer_load_dword v177, off, s[0:3], 0 offset:28
	s_waitcnt vmcnt(57)
	v_fmac_f32_e32 v187, v194, v5
	v_fma_f32 v201, v193, v5, -v201
	v_fmac_f32_e32 v176, v196, v4
	v_fma_f32 v202, v195, v4, -v202
	ds_read_b128 v[193:196], v9 offset:576
	s_waitcnt vmcnt(56) lgkmcnt(1)
	v_mul_f32_e32 v203, v197, v3
	v_mul_f32_e32 v3, v198, v3
	s_waitcnt vmcnt(55)
	v_mul_f32_e32 v204, v199, v2
	v_mul_f32_e32 v2, v200, v2
	v_fmac_f32_e32 v203, v198, v1
	v_fma_f32 v197, v197, v1, -v3
	s_waitcnt vmcnt(51)
	v_fmac_f32_e32 v204, v200, v143
	v_fma_f32 v143, v199, v143, -v2
	ds_read_b128 v[1:4], v9 offset:592
	s_waitcnt vmcnt(50) lgkmcnt(1)
	v_mul_f32_e32 v198, v193, v142
	v_mul_f32_e32 v5, v194, v142
	s_waitcnt vmcnt(49)
	v_mul_f32_e32 v142, v195, v12
	v_mul_f32_e32 v12, v196, v12
	v_fmac_f32_e32 v198, v194, v11
	v_fma_f32 v11, v193, v11, -v5
	v_fmac_f32_e32 v142, v196, v7
	v_fma_f32 v12, v195, v7, -v12
	ds_read_b128 v[193:196], v9 offset:608
	s_waitcnt vmcnt(48) lgkmcnt(1)
	v_mul_f32_e32 v199, v1, v10
	v_mul_f32_e32 v5, v2, v10
	s_waitcnt vmcnt(47)
	v_mul_f32_e32 v10, v3, v8
	v_mul_f32_e32 v7, v4, v8
	v_fmac_f32_e32 v199, v2, v6
	v_fma_f32 v200, v1, v6, -v5
	s_waitcnt vmcnt(43)
	v_fmac_f32_e32 v10, v4, v151
	v_fma_f32 v151, v3, v151, -v7
	ds_read_b128 v[1:4], v9 offset:624
	s_waitcnt vmcnt(42) lgkmcnt(1)
	v_mul_f32_e32 v205, v193, v150
	v_mul_f32_e32 v5, v194, v150
	s_waitcnt vmcnt(41)
	v_mul_f32_e32 v150, v195, v149
	v_mul_f32_e32 v6, v196, v149
	v_fmac_f32_e32 v205, v194, v148
	v_fma_f32 v148, v193, v148, -v5
	v_fmac_f32_e32 v150, v196, v145
	v_fma_f32 v145, v195, v145, -v6
	ds_read_b128 v[5:8], v9 offset:640
	s_waitcnt vmcnt(40) lgkmcnt(1)
	v_mul_f32_e32 v149, v1, v147
	v_mul_f32_e32 v147, v2, v147
	s_waitcnt vmcnt(39)
	v_mul_f32_e32 v193, v3, v146
	v_mul_f32_e32 v146, v4, v146
	s_clause 0x1
	buffer_load_dword v194, off, s[0:3], 0 offset:276
	buffer_load_dword v195, off, s[0:3], 0 offset:284
	v_fmac_f32_e32 v149, v2, v144
	v_fma_f32 v144, v1, v144, -v147
	s_waitcnt vmcnt(37)
	v_fmac_f32_e32 v193, v4, v175
	v_fma_f32 v146, v3, v175, -v146
	ds_read_b128 v[1:4], v9 offset:656
	s_waitcnt vmcnt(36) lgkmcnt(1)
	v_mul_f32_e32 v147, v5, v174
	v_mul_f32_e32 v174, v6, v174
	s_waitcnt vmcnt(35)
	v_mul_f32_e32 v175, v7, v173
	v_mul_f32_e32 v173, v8, v173
	v_fmac_f32_e32 v147, v6, v168
	v_fma_f32 v168, v5, v168, -v174
	v_fmac_f32_e32 v175, v8, v163
	v_fma_f32 v163, v7, v163, -v173
	ds_read_b128 v[5:8], v9 offset:672
	s_waitcnt vmcnt(34) lgkmcnt(1)
	v_mul_f32_e32 v173, v1, v167
	v_mul_f32_e32 v167, v2, v167
	s_waitcnt vmcnt(33)
	v_mul_f32_e32 v174, v3, v165
	v_mul_f32_e32 v165, v4, v165
	v_fmac_f32_e32 v173, v2, v154
	v_fma_f32 v154, v1, v154, -v167
	s_waitcnt vmcnt(29)
	v_fmac_f32_e32 v174, v4, v172
	v_fma_f32 v165, v3, v172, -v165
	ds_read_b128 v[1:4], v9 offset:688
	s_waitcnt vmcnt(28) lgkmcnt(1)
	v_mul_f32_e32 v167, v5, v171
	v_mul_f32_e32 v171, v6, v171
	s_waitcnt vmcnt(27)
	v_mul_f32_e32 v172, v7, v170
	v_mul_f32_e32 v170, v8, v170
	v_fmac_f32_e32 v167, v6, v162
	v_fma_f32 v162, v5, v162, -v171
	v_fmac_f32_e32 v172, v8, v159
	v_fma_f32 v159, v7, v159, -v170
	ds_read_b128 v[5:8], v9 offset:704
	s_waitcnt vmcnt(26) lgkmcnt(1)
	v_mul_f32_e32 v170, v1, v161
	v_mul_f32_e32 v161, v2, v161
	s_waitcnt vmcnt(25)
	v_mul_f32_e32 v171, v3, v160
	v_mul_f32_e32 v160, v4, v160
	;; [unrolled: 23-line block ×4, first 2 shown]
	v_fmac_f32_e32 v183, v2, v178
	v_fma_f32 v178, v1, v178, -v181
	s_waitcnt vmcnt(5)
	v_fmac_f32_e32 v184, v4, v192
	v_fma_f32 v180, v3, v192, -v180
	ds_read_b128 v[1:4], v9 offset:784
	s_waitcnt vmcnt(4) lgkmcnt(1)
	v_mul_f32_e32 v181, v5, v191
	v_mul_f32_e32 v191, v6, v191
	s_waitcnt vmcnt(3)
	v_mul_f32_e32 v192, v7, v190
	v_mul_f32_e32 v190, v8, v190
	v_fmac_f32_e32 v181, v6, v189
	v_fma_f32 v189, v5, v189, -v191
	v_fmac_f32_e32 v192, v8, v188
	v_fma_f32 v188, v7, v188, -v190
	s_clause 0x5
	buffer_load_dword v190, off, s[0:3], 0 offset:304
	buffer_load_dword v191, off, s[0:3], 0 offset:296
	;; [unrolled: 1-line block ×6, first 2 shown]
	v_add_f32_e32 v6, 0, v201
	buffer_load_dword v201, off, s[0:3], 0 offset:308
	v_add_f32_e32 v7, 0, v187
	v_add_f32_e32 v6, v6, v202
	;; [unrolled: 1-line block ×3, first 2 shown]
	buffer_load_dword v176, off, s[0:3], 0 offset:316
	v_add_f32_e32 v6, v6, v197
	v_add_f32_e32 v7, v7, v203
	;; [unrolled: 1-line block ×3, first 2 shown]
	s_clause 0x3
	buffer_load_dword v187, off, s[0:3], 0 offset:336
	buffer_load_dword v143, off, s[0:3], 0 offset:328
	buffer_load_dword v197, off, s[0:3], 0 offset:320
	buffer_load_dword v202, off, s[0:3], 0 offset:312
	v_add_f32_e32 v7, v7, v204
	v_add_f32_e32 v6, v6, v11
	buffer_load_dword v11, off, s[0:3], 0 offset:324
	v_add_f32_e32 v7, v7, v198
	buffer_load_dword v198, off, s[0:3], 0 offset:332
	v_add_f32_e32 v6, v6, v12
	v_add_f32_e32 v7, v7, v142
	;; [unrolled: 1-line block ×5, first 2 shown]
	s_clause 0x1
	buffer_load_dword v12, off, s[0:3], 0 offset:340
	buffer_load_dword v151, off, s[0:3], 0 offset:348
	v_add_f32_e32 v7, v7, v10
	v_add_f32_e32 v6, v6, v148
	s_clause 0x3
	buffer_load_dword v10, off, s[0:3], 0 offset:368
	buffer_load_dword v199, off, s[0:3], 0 offset:360
	;; [unrolled: 1-line block ×4, first 2 shown]
	v_add_f32_e32 v7, v7, v205
	s_clause 0x3
	buffer_load_dword v203, off, s[0:3], 0 offset:356
	buffer_load_dword v204, off, s[0:3], 0 offset:364
	;; [unrolled: 1-line block ×4, first 2 shown]
	v_add_f32_e32 v6, v6, v145
	v_add_f32_e32 v7, v7, v150
	v_add_f32_e32 v6, v6, v144
	v_add_f32_e32 v7, v7, v149
	v_add_f32_e32 v6, v6, v146
	v_add_f32_e32 v7, v7, v193
	s_waitcnt vmcnt(25) lgkmcnt(0)
	v_mul_f32_e32 v142, v1, v194
	s_waitcnt vmcnt(24)
	v_mul_f32_e32 v149, v3, v195
	v_mul_f32_e32 v144, v4, v195
	;; [unrolled: 1-line block ×3, first 2 shown]
	v_fmac_f32_e32 v142, v2, v186
	v_fma_f32 v145, v1, v186, -v8
	s_waitcnt vmcnt(20)
	v_fmac_f32_e32 v149, v4, v5
	v_fma_f32 v146, v3, v5, -v144
	v_add_f32_e32 v5, v6, v168
	v_add_f32_e32 v6, v7, v147
	ds_read_b128 v[1:4], v9 offset:800
	s_clause 0x3
	buffer_load_dword v168, off, s[0:3], 0 offset:400
	buffer_load_dword v186, off, s[0:3], 0 offset:392
	;; [unrolled: 1-line block ×4, first 2 shown]
	v_add_f32_e32 v5, v5, v163
	v_add_f32_e32 v6, v6, v175
	;; [unrolled: 1-line block ×4, first 2 shown]
	s_clause 0x2
	buffer_load_dword v163, off, s[0:3], 0 offset:388
	buffer_load_dword v173, off, s[0:3], 0 offset:396
	;; [unrolled: 1-line block ×3, first 2 shown]
	v_add_f32_e32 v147, v5, v165
	v_add_f32_e32 v144, v144, v174
	ds_read_b128 v[5:8], v9 offset:816
	v_add_f32_e32 v147, v147, v162
	v_add_f32_e32 v144, v144, v167
	s_waitcnt vmcnt(26) lgkmcnt(1)
	v_mul_f32_e32 v150, v1, v206
	v_mul_f32_e32 v154, v2, v206
	s_waitcnt vmcnt(25)
	v_mul_f32_e32 v165, v4, v207
	v_mul_f32_e32 v162, v3, v207
	v_fmac_f32_e32 v150, v2, v196
	v_add_f32_e32 v2, v144, v172
	v_fma_f32 v154, v1, v196, -v154
	v_add_f32_e32 v1, v147, v159
	v_fma_f32 v165, v3, v191, -v165
	s_clause 0x3
	buffer_load_dword v159, off, s[0:3], 0 offset:412
	buffer_load_dword v167, off, s[0:3], 0 offset:420
	;; [unrolled: 1-line block ×4, first 2 shown]
	v_add_f32_e32 v2, v2, v170
	v_fmac_f32_e32 v162, v4, v191
	v_add_f32_e32 v1, v1, v153
	s_clause 0x3
	buffer_load_dword v170, off, s[0:3], 0 offset:444
	buffer_load_dword v191, off, s[0:3], 0 offset:452
	;; [unrolled: 1-line block ×4, first 2 shown]
	s_waitcnt vmcnt(32) lgkmcnt(0)
	v_mul_f32_e32 v153, v5, v201
	v_add_f32_e32 v2, v2, v171
	v_mul_f32_e32 v3, v6, v201
	v_add_f32_e32 v1, v1, v160
	s_clause 0x3
	buffer_load_dword v160, off, s[0:3], 0 offset:476
	buffer_load_dword v171, off, s[0:3], 0 offset:484
	;; [unrolled: 1-line block ×4, first 2 shown]
	v_fmac_f32_e32 v153, v6, v190
	v_add_f32_e32 v2, v2, v161
	v_fma_f32 v161, v5, v190, -v3
	v_add_f32_e32 v1, v1, v158
	buffer_load_dword v158, off, s[0:3], 0 offset:508
	v_add_f32_e32 v5, v2, v169
	s_clause 0x3
	buffer_load_dword v169, off, s[0:3], 0 offset:432
	buffer_load_dword v190, off, s[0:3], 0 offset:424
	;; [unrolled: 1-line block ×4, first 2 shown]
	v_add_f32_e32 v1, v1, v155
	v_add_f32_e32 v5, v5, v164
	;; [unrolled: 1-line block ×3, first 2 shown]
	s_waitcnt vmcnt(40)
	v_mul_f32_e32 v1, v8, v176
	v_mul_f32_e32 v152, v7, v176
	v_add_f32_e32 v5, v5, v166
	v_add_f32_e32 v6, v6, v156
	s_waitcnt vmcnt(36)
	v_fma_f32 v155, v7, v202, -v1
	ds_read_b128 v[1:4], v9 offset:832
	v_add_f32_e32 v5, v5, v157
	v_fmac_f32_e32 v152, v8, v202
	v_add_f32_e32 v6, v6, v182
	s_clause 0x3
	buffer_load_dword v164, off, s[0:3], 0 offset:464
	buffer_load_dword v166, off, s[0:3], 0 offset:456
	;; [unrolled: 1-line block ×4, first 2 shown]
	v_add_f32_e32 v147, v5, v185
	v_add_f32_e32 v144, v6, v179
	ds_read_b128 v[5:8], v9 offset:848
	v_add_f32_e32 v147, v147, v183
	v_add_f32_e32 v144, v144, v178
	s_waitcnt vmcnt(39) lgkmcnt(1)
	v_mul_f32_e32 v156, v1, v11
	v_mul_f32_e32 v11, v2, v11
	s_waitcnt vmcnt(38)
	v_mul_f32_e32 v185, v3, v198
	v_fmac_f32_e32 v156, v2, v197
	v_fma_f32 v11, v1, v197, -v11
	v_add_f32_e32 v1, v144, v180
	s_clause 0x3
	buffer_load_dword v178, off, s[0:3], 0 offset:496
	buffer_load_dword v179, off, s[0:3], 0 offset:488
	;; [unrolled: 1-line block ×4, first 2 shown]
	v_add_f32_e32 v2, v147, v184
	buffer_load_dword v184, off, s[0:3], 0 offset:504
	v_mul_f32_e32 v144, v4, v198
	v_add_f32_e32 v1, v1, v189
	v_fmac_f32_e32 v185, v4, v143
	v_add_f32_e32 v2, v2, v181
	buffer_load_dword v181, off, s[0:3], 0 offset:24
	s_waitcnt vmcnt(43) lgkmcnt(0)
	v_mul_f32_e32 v189, v5, v12
	v_add_f32_e32 v1, v1, v188
	v_fma_f32 v188, v3, v143, -v144
	v_add_f32_e32 v147, v2, v192
	s_waitcnt vmcnt(42)
	v_mul_f32_e32 v192, v7, v151
	v_mul_f32_e32 v12, v6, v12
	v_add_f32_e32 v157, v1, v145
	ds_read_b128 v[1:4], v9 offset:864
	v_add_f32_e32 v147, v147, v142
	ds_read_b128 v[142:145], v9 offset:880
	v_fmac_f32_e32 v189, v6, v187
	v_add_f32_e32 v146, v157, v146
	v_fma_f32 v12, v5, v187, -v12
	v_add_f32_e32 v147, v147, v149
	v_mul_f32_e32 v149, v8, v151
	s_waitcnt vmcnt(38)
	v_fmac_f32_e32 v192, v8, v148
	v_add_f32_e32 v151, v146, v154
	v_add_f32_e32 v150, v147, v150
	v_fma_f32 v187, v7, v148, -v149
	ds_read_b128 v[5:8], v9 offset:896
	ds_read_b128 v[146:149], v9 offset:912
	v_add_f32_e32 v151, v151, v165
	v_add_f32_e32 v150, v150, v162
	;; [unrolled: 1-line block ×3, first 2 shown]
	s_waitcnt vmcnt(37) lgkmcnt(3)
	v_mul_f32_e32 v165, v1, v203
	v_mul_f32_e32 v154, v2, v203
	v_add_f32_e32 v150, v150, v153
	s_waitcnt vmcnt(35) lgkmcnt(2)
	v_mul_f32_e32 v161, v142, v205
	v_mul_f32_e32 v197, v143, v205
	v_fmac_f32_e32 v165, v2, v200
	v_fma_f32 v200, v1, v200, -v154
	v_add_f32_e32 v154, v151, v155
	v_add_f32_e32 v155, v150, v152
	v_fmac_f32_e32 v161, v143, v10
	v_fma_f32 v197, v142, v10, -v197
	v_mul_f32_e32 v162, v3, v204
	v_add_f32_e32 v10, v154, v11
	v_add_f32_e32 v11, v155, v156
	v_mul_f32_e32 v157, v4, v204
	s_waitcnt vmcnt(34)
	v_mul_f32_e32 v198, v144, v208
	v_fmac_f32_e32 v162, v4, v199
	v_add_f32_e32 v10, v10, v188
	v_add_f32_e32 v11, v11, v185
	v_fma_f32 v199, v3, v199, -v157
	v_mul_f32_e32 v157, v145, v208
	ds_read_b128 v[1:4], v9 offset:928
	ds_read_b128 v[150:153], v9 offset:944
	s_waitcnt vmcnt(30)
	v_fmac_f32_e32 v198, v145, v194
	v_fma_f32 v194, v144, v194, -v157
	ds_read_b128 v[142:145], v9 offset:960
	ds_read_b128 v[154:157], v9 offset:976
	s_waitcnt vmcnt(29) lgkmcnt(5)
	v_mul_f32_e32 v188, v5, v163
	s_waitcnt vmcnt(28)
	v_mul_f32_e32 v185, v7, v173
	v_mul_f32_e32 v163, v6, v163
	;; [unrolled: 1-line block ×3, first 2 shown]
	v_fmac_f32_e32 v188, v6, v193
	v_add_f32_e32 v6, v10, v12
	v_add_f32_e32 v10, v11, v189
	v_fmac_f32_e32 v185, v8, v186
	v_fma_f32 v173, v7, v186, -v173
	v_fma_f32 v163, v5, v193, -v163
	v_add_f32_e32 v186, v6, v187
	v_add_f32_e32 v187, v10, v192
	s_waitcnt vmcnt(27) lgkmcnt(4)
	v_mul_f32_e32 v189, v146, v175
	v_mul_f32_e32 v175, v147, v175
	ds_read_b128 v[5:8], v9 offset:992
	ds_read_b128 v[9:12], v9 offset:1008
	v_add_f32_e32 v186, v186, v200
	v_add_f32_e32 v165, v187, v165
	v_fmac_f32_e32 v189, v147, v168
	s_waitcnt vmcnt(26)
	v_mul_f32_e32 v187, v148, v159
	v_mul_f32_e32 v159, v149, v159
	v_add_f32_e32 v186, v186, v199
	v_add_f32_e32 v162, v165, v162
	v_fma_f32 v146, v146, v168, -v175
	s_waitcnt vmcnt(25) lgkmcnt(5)
	v_mul_f32_e32 v192, v1, v167
	v_mul_f32_e32 v167, v2, v167
	v_add_f32_e32 v186, v186, v197
	v_add_f32_e32 v161, v162, v161
	s_waitcnt vmcnt(24)
	v_mul_f32_e32 v165, v3, v172
	s_waitcnt vmcnt(23) lgkmcnt(4)
	v_mul_f32_e32 v193, v150, v174
	s_waitcnt vmcnt(22)
	v_mul_f32_e32 v197, v152, v170
	v_add_f32_e32 v186, v186, v194
	v_add_f32_e32 v161, v161, v198
	s_waitcnt vmcnt(21) lgkmcnt(3)
	v_mul_f32_e32 v162, v142, v191
	s_waitcnt vmcnt(20)
	v_mul_f32_e32 v199, v144, v195
	s_waitcnt vmcnt(19) lgkmcnt(2)
	v_mul_f32_e32 v194, v154, v196
	v_add_f32_e32 v163, v186, v163
	v_add_f32_e32 v161, v161, v188
	s_waitcnt vmcnt(11)
	v_fmac_f32_e32 v192, v2, v201
	s_waitcnt vmcnt(10)
	v_fma_f32 v148, v148, v209, -v159
	v_fmac_f32_e32 v187, v149, v209
	v_add_f32_e32 v163, v163, v173
	v_add_f32_e32 v161, v161, v185
	v_mul_f32_e32 v159, v4, v172
	v_fma_f32 v1, v1, v201, -v167
	v_fmac_f32_e32 v165, v4, v190
	v_add_f32_e32 v146, v163, v146
	v_add_f32_e32 v149, v161, v189
	v_fma_f32 v3, v3, v190, -v159
	v_mul_f32_e32 v4, v153, v170
	v_fmac_f32_e32 v193, v151, v169
	v_add_f32_e32 v2, v146, v148
	v_add_f32_e32 v146, v149, v187
	v_mul_f32_e32 v148, v151, v174
	s_waitcnt vmcnt(8)
	v_fmac_f32_e32 v199, v145, v166
	s_waitcnt vmcnt(7)
	v_fmac_f32_e32 v162, v143, v176
	v_add_f32_e32 v1, v2, v1
	v_add_f32_e32 v2, v146, v192
	v_fma_f32 v146, v150, v169, -v148
	s_waitcnt vmcnt(6)
	v_fma_f32 v4, v152, v182, -v4
	v_fmac_f32_e32 v197, v153, v182
	v_add_f32_e32 v1, v1, v3
	v_add_f32_e32 v2, v2, v165
	v_mul_f32_e32 v3, v143, v191
	v_mul_f32_e32 v198, v156, v160
	v_fmac_f32_e32 v194, v155, v164
	v_add_f32_e32 v1, v1, v146
	v_add_f32_e32 v2, v2, v193
	v_mul_f32_e32 v146, v145, v195
	v_fma_f32 v3, v142, v176, -v3
	s_waitcnt lgkmcnt(1)
	v_mul_f32_e32 v200, v5, v171
	v_add_f32_e32 v1, v1, v4
	v_add_f32_e32 v2, v2, v197
	v_mul_f32_e32 v4, v155, v196
	v_fma_f32 v142, v144, v166, -v146
	v_mul_f32_e32 v186, v7, v206
	v_add_f32_e32 v1, v1, v3
	v_add_f32_e32 v2, v2, v162
	v_mul_f32_e32 v3, v157, v160
	v_fma_f32 v4, v154, v164, -v4
	s_waitcnt vmcnt(2)
	v_fmac_f32_e32 v198, v157, v183
	v_add_f32_e32 v1, v1, v142
	v_add_f32_e32 v2, v2, v199
	v_mul_f32_e32 v142, v6, v171
	v_fma_f32 v3, v156, v183, -v3
	v_fmac_f32_e32 v200, v6, v180
	v_add_f32_e32 v1, v1, v4
	v_add_f32_e32 v2, v2, v194
	v_mul_f32_e32 v4, v8, v206
	v_fma_f32 v5, v5, v180, -v142
	s_waitcnt lgkmcnt(0)
	v_mul_f32_e32 v188, v9, v207
	v_add_f32_e32 v1, v1, v3
	v_add_f32_e32 v2, v2, v198
	v_mul_f32_e32 v3, v10, v207
	v_fma_f32 v4, v7, v179, -v4
	v_fmac_f32_e32 v186, v8, v179
	v_add_f32_e32 v1, v1, v5
	v_add_f32_e32 v2, v2, v200
	v_mul_f32_e32 v5, v12, v158
	v_fma_f32 v3, v9, v178, -v3
	v_mul_f32_e32 v147, v11, v158
	v_add_f32_e32 v1, v1, v4
	v_fmac_f32_e32 v188, v10, v178
	v_add_f32_e32 v2, v2, v186
	s_waitcnt vmcnt(1)
	v_fma_f32 v4, v11, v184, -v5
	v_fmac_f32_e32 v147, v12, v184
	v_add_f32_e32 v1, v1, v3
	v_add_f32_e32 v2, v2, v188
	;; [unrolled: 1-line block ×4, first 2 shown]
	s_waitcnt vmcnt(0)
	v_sub_f32_e32 v1, v181, v1
	v_sub_f32_e32 v2, v177, v2
	buffer_store_dword v1, off, s[0:3], 0 offset:24
	buffer_store_dword v2, off, s[0:3], 0 offset:28
	v_cmpx_lt_u32_e32 2, v0
	s_cbranch_execz .LBB63_393
; %bb.392:
	s_clause 0x1
	buffer_load_dword v1, off, s[0:3], 0 offset:16
	buffer_load_dword v2, off, s[0:3], 0 offset:20
	v_mov_b32_e32 v3, 0
	buffer_store_dword v3, off, s[0:3], 0 offset:16
	buffer_store_dword v3, off, s[0:3], 0 offset:20
	s_waitcnt vmcnt(0)
	ds_write_b64 v141, v[1:2]
.LBB63_393:
	s_or_b32 exec_lo, exec_lo, s4
	s_waitcnt lgkmcnt(0)
	s_waitcnt_vscnt null, 0x0
	s_barrier
	buffer_gl0_inv
	s_clause 0x3c
	buffer_load_dword v176, off, s[0:3], 0 offset:28
	buffer_load_dword v177, off, s[0:3], 0 offset:36
	buffer_load_dword v2, off, s[0:3], 0 offset:40
	buffer_load_dword v5, off, s[0:3], 0 offset:32
	buffer_load_dword v6, off, s[0:3], 0 offset:24
	buffer_load_dword v4, off, s[0:3], 0 offset:44
	buffer_load_dword v3, off, s[0:3], 0 offset:52
	buffer_load_dword v7, off, s[0:3], 0 offset:72
	buffer_load_dword v8, off, s[0:3], 0 offset:64
	buffer_load_dword v11, off, s[0:3], 0 offset:56
	buffer_load_dword v143, off, s[0:3], 0 offset:48
	buffer_load_dword v142, off, s[0:3], 0 offset:60
	buffer_load_dword v12, off, s[0:3], 0 offset:68
	buffer_load_dword v10, off, s[0:3], 0 offset:76
	buffer_load_dword v9, off, s[0:3], 0 offset:84
	buffer_load_dword v144, off, s[0:3], 0 offset:104
	buffer_load_dword v145, off, s[0:3], 0 offset:96
	buffer_load_dword v148, off, s[0:3], 0 offset:88
	buffer_load_dword v151, off, s[0:3], 0 offset:80
	buffer_load_dword v150, off, s[0:3], 0 offset:92
	buffer_load_dword v149, off, s[0:3], 0 offset:100
	buffer_load_dword v147, off, s[0:3], 0 offset:108
	buffer_load_dword v146, off, s[0:3], 0 offset:116
	buffer_load_dword v154, off, s[0:3], 0 offset:136
	buffer_load_dword v163, off, s[0:3], 0 offset:128
	buffer_load_dword v168, off, s[0:3], 0 offset:120
	buffer_load_dword v175, off, s[0:3], 0 offset:112
	buffer_load_dword v174, off, s[0:3], 0 offset:124
	buffer_load_dword v173, off, s[0:3], 0 offset:132
	buffer_load_dword v167, off, s[0:3], 0 offset:140
	buffer_load_dword v165, off, s[0:3], 0 offset:148
	buffer_load_dword v153, off, s[0:3], 0 offset:168
	buffer_load_dword v159, off, s[0:3], 0 offset:160
	buffer_load_dword v162, off, s[0:3], 0 offset:152
	buffer_load_dword v172, off, s[0:3], 0 offset:144
	buffer_load_dword v171, off, s[0:3], 0 offset:156
	buffer_load_dword v170, off, s[0:3], 0 offset:164
	buffer_load_dword v161, off, s[0:3], 0 offset:172
	buffer_load_dword v160, off, s[0:3], 0 offset:180
	buffer_load_dword v152, off, s[0:3], 0 offset:200
	buffer_load_dword v155, off, s[0:3], 0 offset:192
	buffer_load_dword v158, off, s[0:3], 0 offset:184
	buffer_load_dword v169, off, s[0:3], 0 offset:176
	buffer_load_dword v166, off, s[0:3], 0 offset:188
	buffer_load_dword v164, off, s[0:3], 0 offset:196
	buffer_load_dword v157, off, s[0:3], 0 offset:204
	buffer_load_dword v156, off, s[0:3], 0 offset:212
	buffer_load_dword v178, off, s[0:3], 0 offset:232
	buffer_load_dword v179, off, s[0:3], 0 offset:224
	buffer_load_dword v182, off, s[0:3], 0 offset:216
	buffer_load_dword v185, off, s[0:3], 0 offset:208
	buffer_load_dword v184, off, s[0:3], 0 offset:220
	buffer_load_dword v183, off, s[0:3], 0 offset:228
	buffer_load_dword v181, off, s[0:3], 0 offset:236
	buffer_load_dword v180, off, s[0:3], 0 offset:244
	buffer_load_dword v186, off, s[0:3], 0 offset:264
	buffer_load_dword v187, off, s[0:3], 0 offset:256
	buffer_load_dword v189, off, s[0:3], 0 offset:248
	buffer_load_dword v192, off, s[0:3], 0 offset:240
	buffer_load_dword v191, off, s[0:3], 0 offset:252
	buffer_load_dword v190, off, s[0:3], 0 offset:260
	v_mov_b32_e32 v1, 0
	ds_read2_b64 v[193:196], v1 offset0:67 offset1:68
	ds_read2_b64 v[197:200], v1 offset0:69 offset1:70
	s_mov_b32 s4, exec_lo
	s_waitcnt vmcnt(60) lgkmcnt(1)
	v_mul_f32_e32 v188, v193, v176
	v_mul_f32_e32 v201, v194, v176
	s_waitcnt vmcnt(59)
	v_mul_f32_e32 v176, v195, v177
	v_mul_f32_e32 v202, v196, v177
	buffer_load_dword v177, off, s[0:3], 0 offset:20
	s_waitcnt vmcnt(57)
	v_fmac_f32_e32 v188, v194, v6
	v_fma_f32 v201, v193, v6, -v201
	v_fmac_f32_e32 v176, v196, v5
	v_fma_f32 v202, v195, v5, -v202
	ds_read2_b64 v[193:196], v1 offset0:71 offset1:72
	s_waitcnt vmcnt(56) lgkmcnt(1)
	v_mul_f32_e32 v203, v197, v4
	v_mul_f32_e32 v4, v198, v4
	s_waitcnt vmcnt(55)
	v_mul_f32_e32 v204, v199, v3
	v_mul_f32_e32 v3, v200, v3
	v_fmac_f32_e32 v203, v198, v2
	v_fma_f32 v197, v197, v2, -v4
	s_waitcnt vmcnt(51)
	v_fmac_f32_e32 v204, v200, v143
	v_fma_f32 v143, v199, v143, -v3
	ds_read2_b64 v[2:5], v1 offset0:73 offset1:74
	s_waitcnt vmcnt(50) lgkmcnt(1)
	v_mul_f32_e32 v198, v193, v142
	v_mul_f32_e32 v6, v194, v142
	s_waitcnt vmcnt(49)
	v_mul_f32_e32 v142, v195, v12
	v_mul_f32_e32 v12, v196, v12
	v_fmac_f32_e32 v198, v194, v11
	v_fma_f32 v11, v193, v11, -v6
	v_fmac_f32_e32 v142, v196, v8
	v_fma_f32 v12, v195, v8, -v12
	ds_read2_b64 v[193:196], v1 offset0:75 offset1:76
	s_waitcnt vmcnt(48) lgkmcnt(1)
	v_mul_f32_e32 v199, v2, v10
	v_mul_f32_e32 v6, v3, v10
	s_waitcnt vmcnt(47)
	v_mul_f32_e32 v10, v4, v9
	v_mul_f32_e32 v8, v5, v9
	v_fmac_f32_e32 v199, v3, v7
	v_fma_f32 v200, v2, v7, -v6
	s_waitcnt vmcnt(43)
	v_fmac_f32_e32 v10, v5, v151
	v_fma_f32 v151, v4, v151, -v8
	ds_read2_b64 v[2:5], v1 offset0:77 offset1:78
	s_waitcnt vmcnt(42) lgkmcnt(1)
	v_mul_f32_e32 v205, v193, v150
	v_mul_f32_e32 v6, v194, v150
	s_waitcnt vmcnt(41)
	v_mul_f32_e32 v150, v195, v149
	v_mul_f32_e32 v7, v196, v149
	v_fmac_f32_e32 v205, v194, v148
	v_fma_f32 v148, v193, v148, -v6
	v_fmac_f32_e32 v150, v196, v145
	v_fma_f32 v145, v195, v145, -v7
	ds_read2_b64 v[6:9], v1 offset0:79 offset1:80
	s_waitcnt vmcnt(40) lgkmcnt(1)
	v_mul_f32_e32 v149, v2, v147
	v_mul_f32_e32 v147, v3, v147
	s_waitcnt vmcnt(39)
	v_mul_f32_e32 v193, v4, v146
	v_mul_f32_e32 v146, v5, v146
	s_clause 0x1
	buffer_load_dword v194, off, s[0:3], 0 offset:268
	buffer_load_dword v195, off, s[0:3], 0 offset:276
	v_fmac_f32_e32 v149, v3, v144
	v_fma_f32 v144, v2, v144, -v147
	s_waitcnt vmcnt(37)
	v_fmac_f32_e32 v193, v5, v175
	v_fma_f32 v146, v4, v175, -v146
	ds_read2_b64 v[2:5], v1 offset0:81 offset1:82
	s_waitcnt vmcnt(36) lgkmcnt(1)
	v_mul_f32_e32 v147, v6, v174
	v_mul_f32_e32 v174, v7, v174
	s_waitcnt vmcnt(35)
	v_mul_f32_e32 v175, v8, v173
	v_mul_f32_e32 v173, v9, v173
	v_fmac_f32_e32 v147, v7, v168
	v_fma_f32 v168, v6, v168, -v174
	v_fmac_f32_e32 v175, v9, v163
	v_fma_f32 v163, v8, v163, -v173
	ds_read2_b64 v[6:9], v1 offset0:83 offset1:84
	s_waitcnt vmcnt(34) lgkmcnt(1)
	v_mul_f32_e32 v173, v2, v167
	v_mul_f32_e32 v167, v3, v167
	s_waitcnt vmcnt(33)
	v_mul_f32_e32 v174, v4, v165
	v_mul_f32_e32 v165, v5, v165
	v_fmac_f32_e32 v173, v3, v154
	v_fma_f32 v154, v2, v154, -v167
	s_waitcnt vmcnt(29)
	v_fmac_f32_e32 v174, v5, v172
	v_fma_f32 v165, v4, v172, -v165
	ds_read2_b64 v[2:5], v1 offset0:85 offset1:86
	s_waitcnt vmcnt(28) lgkmcnt(1)
	v_mul_f32_e32 v167, v6, v171
	v_mul_f32_e32 v171, v7, v171
	s_waitcnt vmcnt(27)
	v_mul_f32_e32 v172, v8, v170
	v_mul_f32_e32 v170, v9, v170
	v_fmac_f32_e32 v167, v7, v162
	v_fma_f32 v162, v6, v162, -v171
	v_fmac_f32_e32 v172, v9, v159
	v_fma_f32 v159, v8, v159, -v170
	ds_read2_b64 v[6:9], v1 offset0:87 offset1:88
	s_waitcnt vmcnt(26) lgkmcnt(1)
	v_mul_f32_e32 v170, v2, v161
	v_mul_f32_e32 v161, v3, v161
	s_waitcnt vmcnt(25)
	v_mul_f32_e32 v171, v4, v160
	v_mul_f32_e32 v160, v5, v160
	;; [unrolled: 23-line block ×4, first 2 shown]
	v_fmac_f32_e32 v183, v3, v178
	v_fma_f32 v178, v2, v178, -v181
	s_waitcnt vmcnt(5)
	v_fmac_f32_e32 v184, v5, v192
	v_fma_f32 v180, v4, v192, -v180
	ds_read2_b64 v[2:5], v1 offset0:97 offset1:98
	s_waitcnt vmcnt(4) lgkmcnt(1)
	v_mul_f32_e32 v181, v6, v191
	v_mul_f32_e32 v191, v7, v191
	s_waitcnt vmcnt(3)
	v_mul_f32_e32 v192, v8, v190
	v_mul_f32_e32 v190, v9, v190
	v_fmac_f32_e32 v181, v7, v189
	v_fma_f32 v189, v6, v189, -v191
	v_fmac_f32_e32 v192, v9, v187
	v_fma_f32 v187, v8, v187, -v190
	s_clause 0x5
	buffer_load_dword v190, off, s[0:3], 0 offset:296
	buffer_load_dword v191, off, s[0:3], 0 offset:288
	;; [unrolled: 1-line block ×6, first 2 shown]
	v_add_f32_e32 v7, 0, v188
	v_add_f32_e32 v8, 0, v201
	buffer_load_dword v188, off, s[0:3], 0 offset:308
	v_add_f32_e32 v7, v7, v176
	buffer_load_dword v176, off, s[0:3], 0 offset:300
	v_add_f32_e32 v8, v8, v202
	v_add_f32_e32 v7, v7, v203
	;; [unrolled: 1-line block ×5, first 2 shown]
	s_clause 0x3
	buffer_load_dword v197, off, s[0:3], 0 offset:328
	buffer_load_dword v143, off, s[0:3], 0 offset:320
	;; [unrolled: 1-line block ×4, first 2 shown]
	v_add_f32_e32 v7, v7, v198
	buffer_load_dword v198, off, s[0:3], 0 offset:316
	v_add_f32_e32 v8, v8, v11
	buffer_load_dword v11, off, s[0:3], 0 offset:324
	v_add_f32_e32 v7, v7, v142
	v_add_f32_e32 v8, v8, v12
	;; [unrolled: 1-line block ×5, first 2 shown]
	s_clause 0x1
	buffer_load_dword v10, off, s[0:3], 0 offset:332
	buffer_load_dword v12, off, s[0:3], 0 offset:340
	v_add_f32_e32 v8, v8, v151
	s_clause 0x3
	buffer_load_dword v199, off, s[0:3], 0 offset:360
	buffer_load_dword v151, off, s[0:3], 0 offset:352
	;; [unrolled: 1-line block ×4, first 2 shown]
	v_add_f32_e32 v7, v7, v205
	v_add_f32_e32 v8, v8, v148
	;; [unrolled: 1-line block ×3, first 2 shown]
	s_clause 0x2
	buffer_load_dword v150, off, s[0:3], 0 offset:348
	buffer_load_dword v204, off, s[0:3], 0 offset:356
	;; [unrolled: 1-line block ×3, first 2 shown]
	v_add_f32_e32 v8, v8, v145
	buffer_load_dword v208, off, s[0:3], 0 offset:372
	v_add_f32_e32 v7, v7, v149
	v_add_f32_e32 v8, v8, v144
	;; [unrolled: 1-line block ×8, first 2 shown]
	s_waitcnt vmcnt(25) lgkmcnt(0)
	v_mul_f32_e32 v142, v2, v194
	v_mul_f32_e32 v9, v3, v194
	s_waitcnt vmcnt(24)
	v_mul_f32_e32 v144, v4, v195
	v_mul_f32_e32 v145, v5, v195
	v_fmac_f32_e32 v142, v3, v186
	v_fma_f32 v148, v2, v186, -v9
	s_waitcnt vmcnt(20)
	v_fmac_f32_e32 v144, v5, v6
	v_fma_f32 v145, v4, v6, -v145
	ds_read2_b64 v[2:5], v1 offset0:99 offset1:100
	v_add_f32_e32 v6, v8, v168
	s_clause 0x3
	buffer_load_dword v168, off, s[0:3], 0 offset:392
	buffer_load_dword v186, off, s[0:3], 0 offset:384
	;; [unrolled: 1-line block ×4, first 2 shown]
	v_add_f32_e32 v6, v6, v163
	s_clause 0x2
	buffer_load_dword v163, off, s[0:3], 0 offset:380
	buffer_load_dword v173, off, s[0:3], 0 offset:388
	;; [unrolled: 1-line block ×3, first 2 shown]
	v_add_f32_e32 v6, v6, v154
	v_add_f32_e32 v147, v6, v165
	ds_read2_b64 v[6:9], v1 offset0:101 offset1:102
	s_waitcnt vmcnt(26) lgkmcnt(1)
	v_mul_f32_e32 v149, v2, v206
	v_add_f32_e32 v147, v147, v162
	v_mul_f32_e32 v154, v3, v206
	s_waitcnt vmcnt(25)
	v_mul_f32_e32 v162, v4, v207
	v_mul_f32_e32 v165, v5, v207
	v_fmac_f32_e32 v149, v3, v196
	v_add_f32_e32 v3, v146, v167
	v_add_f32_e32 v146, v147, v159
	v_fma_f32 v147, v2, v196, -v154
	v_fmac_f32_e32 v162, v5, v191
	v_fma_f32 v154, v4, v191, -v165
	v_add_f32_e32 v2, v3, v172
	v_add_f32_e32 v3, v146, v153
	s_clause 0x7
	buffer_load_dword v165, off, s[0:3], 0 offset:404
	buffer_load_dword v167, off, s[0:3], 0 offset:412
	;; [unrolled: 1-line block ×8, first 2 shown]
	v_add_f32_e32 v2, v2, v170
	v_add_f32_e32 v3, v3, v160
	s_waitcnt vmcnt(31) lgkmcnt(0)
	v_mul_f32_e32 v4, v7, v176
	v_mul_f32_e32 v153, v6, v176
	s_clause 0x1
	buffer_load_dword v170, off, s[0:3], 0 offset:436
	buffer_load_dword v207, off, s[0:3], 0 offset:444
	v_add_f32_e32 v2, v2, v171
	v_add_f32_e32 v3, v3, v158
	v_fma_f32 v158, v6, v190, -v4
	v_fmac_f32_e32 v153, v7, v190
	s_clause 0x1
	buffer_load_dword v171, off, s[0:3], 0 offset:452
	buffer_load_dword v176, off, s[0:3], 0 offset:460
	v_add_f32_e32 v2, v2, v161
	v_add_f32_e32 v3, v3, v155
	s_clause 0x3
	buffer_load_dword v190, off, s[0:3], 0 offset:468
	buffer_load_dword v209, off, s[0:3], 0 offset:476
	buffer_load_dword v210, off, s[0:3], 0 offset:484
	buffer_load_dword v211, off, s[0:3], 0 offset:492
	v_add_f32_e32 v2, v2, v169
	v_add_f32_e32 v6, v3, v152
	v_mul_f32_e32 v152, v8, v188
	v_mul_f32_e32 v3, v9, v188
	buffer_load_dword v169, off, s[0:3], 0 offset:500
	v_add_f32_e32 v7, v2, v164
	v_add_f32_e32 v6, v6, v156
	buffer_load_dword v164, off, s[0:3], 0 offset:508
	s_waitcnt vmcnt(37)
	v_fmac_f32_e32 v152, v9, v202
	v_fma_f32 v155, v8, v202, -v3
	ds_read2_b64 v[2:5], v1 offset0:103 offset1:104
	v_add_f32_e32 v7, v7, v166
	v_add_f32_e32 v6, v6, v182
	s_clause 0x3
	buffer_load_dword v166, off, s[0:3], 0 offset:456
	buffer_load_dword v182, off, s[0:3], 0 offset:448
	;; [unrolled: 1-line block ×4, first 2 shown]
	v_add_f32_e32 v7, v7, v157
	v_add_f32_e32 v6, v6, v179
	;; [unrolled: 1-line block ×4, first 2 shown]
	ds_read2_b64 v[6:9], v1 offset0:105 offset1:106
	v_add_f32_e32 v146, v146, v183
	v_add_f32_e32 v156, v156, v180
	s_clause 0x3
	buffer_load_dword v178, off, s[0:3], 0 offset:488
	buffer_load_dword v179, off, s[0:3], 0 offset:480
	;; [unrolled: 1-line block ×4, first 2 shown]
	s_waitcnt vmcnt(44) lgkmcnt(1)
	v_mul_f32_e32 v159, v3, v198
	v_mul_f32_e32 v157, v2, v198
	v_fma_f32 v159, v2, v201, -v159
	v_add_f32_e32 v2, v146, v184
	v_fmac_f32_e32 v157, v3, v201
	v_add_f32_e32 v3, v156, v189
	s_waitcnt vmcnt(43)
	v_mul_f32_e32 v156, v4, v11
	v_mul_f32_e32 v11, v5, v11
	v_add_f32_e32 v2, v2, v181
	s_clause 0x2
	buffer_load_dword v181, off, s[0:3], 0 offset:504
	buffer_load_dword v184, off, s[0:3], 0 offset:496
	;; [unrolled: 1-line block ×3, first 2 shown]
	v_add_f32_e32 v3, v3, v187
	v_fmac_f32_e32 v156, v5, v143
	v_add_f32_e32 v2, v2, v192
	v_fma_f32 v11, v4, v143, -v11
	s_waitcnt vmcnt(45) lgkmcnt(0)
	v_mul_f32_e32 v160, v6, v10
	v_add_f32_e32 v3, v3, v148
	v_mul_f32_e32 v10, v7, v10
	v_add_f32_e32 v142, v2, v142
	s_waitcnt vmcnt(44)
	v_mul_f32_e32 v161, v8, v12
	v_mul_f32_e32 v12, v9, v12
	v_add_f32_e32 v146, v3, v145
	ds_read2_b64 v[2:5], v1 offset0:107 offset1:108
	v_add_f32_e32 v148, v142, v144
	ds_read2_b64 v[142:145], v1 offset0:109 offset1:110
	v_fmac_f32_e32 v160, v7, v197
	v_add_f32_e32 v146, v146, v147
	v_fma_f32 v10, v6, v197, -v10
	v_add_f32_e32 v147, v148, v149
	s_waitcnt vmcnt(40)
	v_fmac_f32_e32 v161, v9, v203
	v_fma_f32 v12, v8, v203, -v12
	v_add_f32_e32 v154, v146, v154
	v_add_f32_e32 v162, v147, v162
	ds_read2_b64 v[6:9], v1 offset0:111 offset1:112
	ds_read2_b64 v[146:149], v1 offset0:113 offset1:114
	v_add_f32_e32 v154, v154, v158
	v_add_f32_e32 v153, v162, v153
	;; [unrolled: 1-line block ×3, first 2 shown]
	s_waitcnt vmcnt(39) lgkmcnt(3)
	v_mul_f32_e32 v158, v2, v150
	v_add_f32_e32 v152, v153, v152
	s_waitcnt vmcnt(36) lgkmcnt(2)
	v_mul_f32_e32 v192, v144, v208
	v_mul_f32_e32 v189, v142, v205
	v_add_f32_e32 v154, v154, v159
	v_mul_f32_e32 v159, v145, v208
	v_add_f32_e32 v157, v152, v157
	v_mul_f32_e32 v155, v143, v205
	v_mul_f32_e32 v150, v3, v150
	v_add_f32_e32 v11, v154, v11
	v_fmac_f32_e32 v189, v143, v199
	v_mul_f32_e32 v187, v5, v204
	v_fma_f32 v198, v142, v199, -v155
	v_fma_f32 v197, v2, v200, -v150
	v_add_f32_e32 v10, v11, v10
	v_mul_f32_e32 v162, v4, v204
	v_fmac_f32_e32 v158, v3, v200
	v_fma_f32 v187, v4, v151, -v187
	v_fmac_f32_e32 v162, v5, v151
	ds_read2_b64 v[2:5], v1 offset0:115 offset1:116
	ds_read2_b64 v[150:153], v1 offset0:117 offset1:118
	s_waitcnt vmcnt(32)
	v_fmac_f32_e32 v192, v145, v194
	v_fma_f32 v194, v144, v194, -v159
	v_add_f32_e32 v159, v157, v156
	s_waitcnt vmcnt(31) lgkmcnt(3)
	v_mul_f32_e32 v199, v6, v163
	s_waitcnt vmcnt(30)
	v_mul_f32_e32 v200, v8, v173
	ds_read2_b64 v[142:145], v1 offset0:119 offset1:120
	ds_read2_b64 v[154:157], v1 offset0:121 offset1:122
	v_add_f32_e32 v11, v159, v160
	v_mul_f32_e32 v159, v7, v163
	v_fmac_f32_e32 v199, v7, v193
	v_add_f32_e32 v7, v10, v12
	v_mul_f32_e32 v160, v9, v173
	v_add_f32_e32 v10, v11, v161
	v_fmac_f32_e32 v200, v9, v186
	v_fma_f32 v12, v6, v193, -v159
	v_add_f32_e32 v173, v7, v197
	v_fma_f32 v163, v8, v186, -v160
	v_add_f32_e32 v186, v10, v158
	ds_read2_b64 v[6:9], v1 offset0:123 offset1:124
	ds_read2_b64 v[158:161], v1 offset0:125 offset1:126
	ds_read_b64 v[10:11], v1 offset:1016
	v_add_f32_e32 v173, v173, v187
	s_waitcnt vmcnt(29) lgkmcnt(7)
	v_mul_f32_e32 v187, v146, v175
	v_add_f32_e32 v162, v186, v162
	v_mul_f32_e32 v175, v147, v175
	s_waitcnt vmcnt(28)
	v_mul_f32_e32 v186, v148, v165
	v_add_f32_e32 v173, v173, v198
	v_fmac_f32_e32 v187, v147, v168
	v_add_f32_e32 v162, v162, v189
	v_fma_f32 v146, v146, v168, -v175
	v_mul_f32_e32 v165, v149, v165
	v_add_f32_e32 v168, v173, v194
	s_waitcnt vmcnt(27) lgkmcnt(6)
	v_mul_f32_e32 v193, v2, v167
	v_add_f32_e32 v162, v162, v192
	v_mul_f32_e32 v167, v3, v167
	s_waitcnt vmcnt(21)
	v_fma_f32 v148, v148, v206, -v165
	v_add_f32_e32 v12, v168, v12
	v_fmac_f32_e32 v186, v149, v206
	v_add_f32_e32 v162, v162, v199
	v_fmac_f32_e32 v193, v3, v196
	v_fma_f32 v2, v2, v196, -v167
	v_add_f32_e32 v12, v12, v163
	v_mul_f32_e32 v163, v5, v172
	v_add_f32_e32 v162, v162, v200
	v_mul_f32_e32 v189, v4, v172
	s_waitcnt lgkmcnt(5)
	v_mul_f32_e32 v147, v150, v174
	v_add_f32_e32 v12, v12, v146
	v_fma_f32 v4, v4, v195, -v163
	v_add_f32_e32 v146, v162, v187
	v_fmac_f32_e32 v189, v5, v195
	s_waitcnt vmcnt(20)
	v_mul_f32_e32 v5, v153, v170
	v_add_f32_e32 v3, v12, v148
	v_mul_f32_e32 v173, v152, v170
	v_add_f32_e32 v12, v146, v186
	v_mul_f32_e32 v146, v151, v174
	v_fmac_f32_e32 v147, v151, v191
	v_add_f32_e32 v2, v3, v2
	s_waitcnt vmcnt(19) lgkmcnt(4)
	v_mul_f32_e32 v175, v142, v207
	v_add_f32_e32 v3, v12, v193
	v_fma_f32 v12, v150, v191, -v146
	s_waitcnt vmcnt(18)
	v_mul_f32_e32 v149, v144, v171
	v_add_f32_e32 v2, v2, v4
	v_mul_f32_e32 v4, v143, v207
	v_add_f32_e32 v3, v3, v189
	s_waitcnt vmcnt(7)
	v_fma_f32 v5, v152, v202, -v5
	v_fmac_f32_e32 v173, v153, v202
	v_add_f32_e32 v2, v2, v12
	v_mul_f32_e32 v12, v145, v171
	v_add_f32_e32 v3, v3, v147
	v_fma_f32 v4, v142, v188, -v4
	v_fmac_f32_e32 v175, v143, v188
	v_add_f32_e32 v2, v2, v5
	s_waitcnt lgkmcnt(3)
	v_mul_f32_e32 v5, v155, v176
	v_add_f32_e32 v3, v3, v173
	v_fma_f32 v12, v144, v182, -v12
	v_mul_f32_e32 v165, v154, v176
	v_add_f32_e32 v2, v2, v4
	v_fmac_f32_e32 v149, v145, v182
	v_add_f32_e32 v3, v3, v175
	v_mul_f32_e32 v4, v157, v190
	v_fma_f32 v5, v154, v166, -v5
	v_add_f32_e32 v2, v2, v12
	v_mul_f32_e32 v168, v156, v190
	v_fmac_f32_e32 v165, v155, v166
	v_add_f32_e32 v3, v3, v149
	s_waitcnt lgkmcnt(2)
	v_mul_f32_e32 v12, v7, v209
	s_waitcnt vmcnt(3)
	v_fma_f32 v4, v156, v183, -v4
	v_add_f32_e32 v2, v2, v5
	v_mul_f32_e32 v192, v6, v209
	v_fmac_f32_e32 v168, v157, v183
	v_add_f32_e32 v3, v3, v165
	v_mul_f32_e32 v5, v9, v210
	v_fma_f32 v6, v6, v180, -v12
	v_add_f32_e32 v2, v2, v4
	v_mul_f32_e32 v194, v8, v210
	v_fmac_f32_e32 v192, v7, v180
	v_add_f32_e32 v3, v3, v168
	s_waitcnt lgkmcnt(1)
	v_mul_f32_e32 v4, v159, v211
	v_fma_f32 v5, v8, v179, -v5
	v_add_f32_e32 v2, v2, v6
	v_mul_f32_e32 v172, v158, v211
	v_fmac_f32_e32 v194, v9, v179
	v_add_f32_e32 v3, v3, v192
	v_mul_f32_e32 v6, v161, v169
	v_fma_f32 v4, v158, v178, -v4
	v_add_f32_e32 v2, v2, v5
	v_mul_f32_e32 v197, v160, v169
	v_fmac_f32_e32 v172, v159, v178
	v_add_f32_e32 v3, v3, v194
	s_waitcnt lgkmcnt(0)
	v_mul_f32_e32 v5, v11, v164
	s_waitcnt vmcnt(1)
	v_fma_f32 v6, v160, v184, -v6
	v_add_f32_e32 v2, v2, v4
	v_mul_f32_e32 v162, v10, v164
	v_fmac_f32_e32 v197, v161, v184
	v_add_f32_e32 v3, v3, v172
	v_fma_f32 v4, v10, v181, -v5
	v_add_f32_e32 v2, v2, v6
	v_fmac_f32_e32 v162, v11, v181
	v_add_f32_e32 v3, v3, v197
	v_add_f32_e32 v2, v2, v4
	;; [unrolled: 1-line block ×3, first 2 shown]
	s_waitcnt vmcnt(0)
	v_sub_f32_e32 v2, v185, v2
	v_sub_f32_e32 v3, v177, v3
	buffer_store_dword v2, off, s[0:3], 0 offset:16
	buffer_store_dword v3, off, s[0:3], 0 offset:20
	v_cmpx_lt_u32_e32 1, v0
	s_cbranch_execz .LBB63_395
; %bb.394:
	s_clause 0x1
	buffer_load_dword v2, off, s[0:3], 0 offset:8
	buffer_load_dword v3, off, s[0:3], 0 offset:12
	buffer_store_dword v1, off, s[0:3], 0 offset:8
	buffer_store_dword v1, off, s[0:3], 0 offset:12
	s_waitcnt vmcnt(0)
	ds_write_b64 v141, v[2:3]
.LBB63_395:
	s_or_b32 exec_lo, exec_lo, s4
	s_waitcnt lgkmcnt(0)
	s_waitcnt_vscnt null, 0x0
	s_barrier
	buffer_gl0_inv
	s_clause 0x3c
	buffer_load_dword v176, off, s[0:3], 0 offset:20
	buffer_load_dword v177, off, s[0:3], 0 offset:28
	;; [unrolled: 1-line block ×61, first 2 shown]
	ds_read_b128 v[193:196], v1 offset:528
	ds_read_b128 v[197:200], v1 offset:544
	s_mov_b32 s4, exec_lo
	s_waitcnt vmcnt(60) lgkmcnt(1)
	v_mul_f32_e32 v186, v193, v176
	v_mul_f32_e32 v201, v194, v176
	s_waitcnt vmcnt(59)
	v_mul_f32_e32 v176, v195, v177
	v_mul_f32_e32 v202, v196, v177
	buffer_load_dword v177, off, s[0:3], 0 offset:12
	s_waitcnt vmcnt(57)
	v_fmac_f32_e32 v186, v194, v6
	v_fma_f32 v201, v193, v6, -v201
	v_fmac_f32_e32 v176, v196, v5
	v_fma_f32 v202, v195, v5, -v202
	ds_read_b128 v[193:196], v1 offset:560
	s_waitcnt vmcnt(56) lgkmcnt(1)
	v_mul_f32_e32 v203, v197, v4
	v_mul_f32_e32 v4, v198, v4
	s_waitcnt vmcnt(55)
	v_mul_f32_e32 v204, v199, v3
	v_mul_f32_e32 v3, v200, v3
	v_fmac_f32_e32 v203, v198, v2
	v_fma_f32 v197, v197, v2, -v4
	s_waitcnt vmcnt(51)
	v_fmac_f32_e32 v204, v200, v143
	v_fma_f32 v143, v199, v143, -v3
	ds_read_b128 v[2:5], v1 offset:576
	s_waitcnt vmcnt(50) lgkmcnt(1)
	v_mul_f32_e32 v198, v193, v142
	v_mul_f32_e32 v6, v194, v142
	s_waitcnt vmcnt(49)
	v_mul_f32_e32 v142, v195, v12
	v_mul_f32_e32 v12, v196, v12
	v_fmac_f32_e32 v198, v194, v11
	v_fma_f32 v11, v193, v11, -v6
	v_fmac_f32_e32 v142, v196, v8
	v_fma_f32 v12, v195, v8, -v12
	ds_read_b128 v[193:196], v1 offset:592
	s_waitcnt vmcnt(48) lgkmcnt(1)
	v_mul_f32_e32 v199, v2, v10
	v_mul_f32_e32 v6, v3, v10
	s_waitcnt vmcnt(47)
	v_mul_f32_e32 v10, v4, v9
	v_mul_f32_e32 v8, v5, v9
	v_fmac_f32_e32 v199, v3, v7
	v_fma_f32 v200, v2, v7, -v6
	s_waitcnt vmcnt(43)
	v_fmac_f32_e32 v10, v5, v151
	v_fma_f32 v151, v4, v151, -v8
	ds_read_b128 v[2:5], v1 offset:608
	s_waitcnt vmcnt(42) lgkmcnt(1)
	v_mul_f32_e32 v205, v193, v150
	v_mul_f32_e32 v6, v194, v150
	s_waitcnt vmcnt(41)
	v_mul_f32_e32 v150, v195, v149
	v_mul_f32_e32 v7, v196, v149
	v_fmac_f32_e32 v205, v194, v148
	v_fma_f32 v148, v193, v148, -v6
	v_fmac_f32_e32 v150, v196, v145
	v_fma_f32 v145, v195, v145, -v7
	ds_read_b128 v[6:9], v1 offset:624
	s_waitcnt vmcnt(40) lgkmcnt(1)
	v_mul_f32_e32 v149, v2, v147
	v_mul_f32_e32 v147, v3, v147
	s_waitcnt vmcnt(39)
	v_mul_f32_e32 v193, v4, v146
	v_mul_f32_e32 v146, v5, v146
	s_clause 0x1
	buffer_load_dword v194, off, s[0:3], 0 offset:260
	buffer_load_dword v195, off, s[0:3], 0 offset:268
	v_fmac_f32_e32 v149, v3, v144
	v_fma_f32 v144, v2, v144, -v147
	s_waitcnt vmcnt(37)
	v_fmac_f32_e32 v193, v5, v175
	v_fma_f32 v146, v4, v175, -v146
	ds_read_b128 v[2:5], v1 offset:640
	s_waitcnt vmcnt(36) lgkmcnt(1)
	v_mul_f32_e32 v147, v6, v174
	v_mul_f32_e32 v174, v7, v174
	s_waitcnt vmcnt(35)
	v_mul_f32_e32 v175, v8, v173
	v_mul_f32_e32 v173, v9, v173
	v_fmac_f32_e32 v147, v7, v168
	v_fma_f32 v168, v6, v168, -v174
	v_fmac_f32_e32 v175, v9, v163
	v_fma_f32 v163, v8, v163, -v173
	ds_read_b128 v[6:9], v1 offset:656
	s_waitcnt vmcnt(34) lgkmcnt(1)
	v_mul_f32_e32 v173, v2, v167
	v_mul_f32_e32 v167, v3, v167
	s_waitcnt vmcnt(33)
	v_mul_f32_e32 v174, v4, v165
	v_mul_f32_e32 v165, v5, v165
	v_fmac_f32_e32 v173, v3, v154
	v_fma_f32 v154, v2, v154, -v167
	s_waitcnt vmcnt(29)
	v_fmac_f32_e32 v174, v5, v172
	v_fma_f32 v165, v4, v172, -v165
	ds_read_b128 v[2:5], v1 offset:672
	s_waitcnt vmcnt(28) lgkmcnt(1)
	v_mul_f32_e32 v167, v6, v171
	v_mul_f32_e32 v171, v7, v171
	s_waitcnt vmcnt(27)
	v_mul_f32_e32 v172, v8, v170
	v_mul_f32_e32 v170, v9, v170
	v_fmac_f32_e32 v167, v7, v162
	v_fma_f32 v162, v6, v162, -v171
	v_fmac_f32_e32 v172, v9, v159
	v_fma_f32 v159, v8, v159, -v170
	ds_read_b128 v[6:9], v1 offset:688
	s_waitcnt vmcnt(26) lgkmcnt(1)
	v_mul_f32_e32 v170, v2, v161
	v_mul_f32_e32 v161, v3, v161
	s_waitcnt vmcnt(25)
	v_mul_f32_e32 v171, v4, v160
	v_mul_f32_e32 v160, v5, v160
	;; [unrolled: 23-line block ×4, first 2 shown]
	v_fmac_f32_e32 v183, v3, v178
	v_fma_f32 v178, v2, v178, -v181
	s_waitcnt vmcnt(5)
	v_fmac_f32_e32 v184, v5, v192
	v_fma_f32 v180, v4, v192, -v180
	ds_read_b128 v[2:5], v1 offset:768
	s_waitcnt vmcnt(4) lgkmcnt(1)
	v_mul_f32_e32 v181, v6, v191
	v_mul_f32_e32 v191, v7, v191
	s_waitcnt vmcnt(3)
	v_mul_f32_e32 v192, v8, v190
	v_mul_f32_e32 v190, v9, v190
	v_fmac_f32_e32 v181, v7, v189
	v_fma_f32 v189, v6, v189, -v191
	v_fmac_f32_e32 v192, v9, v188
	v_fma_f32 v188, v8, v188, -v190
	s_clause 0x4
	buffer_load_dword v190, off, s[0:3], 0 offset:288
	buffer_load_dword v191, off, s[0:3], 0 offset:280
	;; [unrolled: 1-line block ×5, first 2 shown]
	s_waitcnt vmcnt(6) lgkmcnt(0)
	v_mul_f32_e32 v207, v2, v194
	v_mul_f32_e32 v7, v3, v194
	s_waitcnt vmcnt(5)
	v_mul_f32_e32 v194, v4, v195
	v_fmac_f32_e32 v207, v3, v187
	v_fma_f32 v187, v2, v187, -v7
	v_mul_f32_e32 v2, v5, v195
	s_waitcnt vmcnt(1)
	v_fmac_f32_e32 v194, v5, v6
	v_fma_f32 v195, v4, v6, -v2
	ds_read_b128 v[2:5], v1 offset:784
	ds_read_b128 v[6:9], v1 offset:800
	s_waitcnt vmcnt(0) lgkmcnt(1)
	v_mul_f32_e32 v208, v2, v206
	v_mul_f32_e32 v206, v3, v206
	v_fmac_f32_e32 v208, v3, v196
	v_fma_f32 v196, v2, v196, -v206
	buffer_load_dword v2, off, s[0:3], 0 offset:284
	s_waitcnt vmcnt(0)
	v_mul_f32_e32 v206, v4, v2
	v_mul_f32_e32 v2, v5, v2
	v_fmac_f32_e32 v206, v5, v191
	v_fma_f32 v191, v4, v191, -v2
	buffer_load_dword v2, off, s[0:3], 0 offset:292
	s_waitcnt vmcnt(0) lgkmcnt(0)
	v_mul_f32_e32 v209, v6, v2
	v_mul_f32_e32 v2, v7, v2
	v_fmac_f32_e32 v209, v7, v190
	v_fma_f32 v190, v6, v190, -v2
	s_clause 0x5
	buffer_load_dword v2, off, s[0:3], 0 offset:300
	buffer_load_dword v210, off, s[0:3], 0 offset:320
	;; [unrolled: 1-line block ×6, first 2 shown]
	s_waitcnt vmcnt(5)
	v_mul_f32_e32 v213, v8, v2
	v_mul_f32_e32 v2, v9, v2
	s_waitcnt vmcnt(1)
	v_fmac_f32_e32 v213, v9, v3
	v_fma_f32 v214, v8, v3, -v2
	ds_read_b128 v[2:5], v1 offset:816
	ds_read_b128 v[6:9], v1 offset:832
	s_waitcnt vmcnt(0) lgkmcnt(1)
	v_mul_f32_e32 v216, v2, v215
	v_mul_f32_e32 v215, v3, v215
	v_fmac_f32_e32 v216, v3, v212
	v_fma_f32 v212, v2, v212, -v215
	buffer_load_dword v2, off, s[0:3], 0 offset:316
	v_add_f32_e32 v3, 0, v186
	v_add_f32_e32 v3, v3, v176
	;; [unrolled: 1-line block ×30, first 2 shown]
	s_waitcnt vmcnt(0)
	v_mul_f32_e32 v215, v4, v2
	v_mul_f32_e32 v2, v5, v2
	v_fmac_f32_e32 v215, v5, v211
	v_fma_f32 v211, v4, v211, -v2
	v_add_f32_e32 v2, 0, v201
	buffer_load_dword v4, off, s[0:3], 0 offset:324
	v_add_f32_e32 v2, v2, v202
	v_add_f32_e32 v2, v2, v197
	;; [unrolled: 1-line block ×4, first 2 shown]
	buffer_load_dword v11, off, s[0:3], 0 offset:332
	v_add_f32_e32 v2, v2, v12
	v_add_f32_e32 v2, v2, v200
	;; [unrolled: 1-line block ×3, first 2 shown]
	s_clause 0x3
	buffer_load_dword v10, off, s[0:3], 0 offset:352
	buffer_load_dword v12, off, s[0:3], 0 offset:344
	buffer_load_dword v151, off, s[0:3], 0 offset:336
	buffer_load_dword v142, off, s[0:3], 0 offset:328
	v_add_f32_e32 v2, v2, v148
	s_clause 0x4
	buffer_load_dword v148, off, s[0:3], 0 offset:340
	buffer_load_dword v176, off, s[0:3], 0 offset:348
	;; [unrolled: 1-line block ×5, first 2 shown]
	v_add_f32_e32 v2, v2, v145
	v_add_f32_e32 v2, v2, v144
	v_add_f32_e32 v2, v2, v146
	v_add_f32_e32 v2, v2, v168
	s_clause 0x3
	buffer_load_dword v168, off, s[0:3], 0 offset:384
	buffer_load_dword v193, off, s[0:3], 0 offset:376
	;; [unrolled: 1-line block ×4, first 2 shown]
	v_add_f32_e32 v2, v2, v163
	s_clause 0x2
	buffer_load_dword v163, off, s[0:3], 0 offset:380
	buffer_load_dword v175, off, s[0:3], 0 offset:388
	;; [unrolled: 1-line block ×3, first 2 shown]
	v_add_f32_e32 v2, v2, v154
	v_add_f32_e32 v2, v2, v165
	;; [unrolled: 1-line block ×3, first 2 shown]
	s_clause 0x6
	buffer_load_dword v162, off, s[0:3], 0 offset:416
	buffer_load_dword v165, off, s[0:3], 0 offset:408
	;; [unrolled: 1-line block ×7, first 2 shown]
	v_add_f32_e32 v2, v2, v159
	s_clause 0x5
	buffer_load_dword v201, off, s[0:3], 0 offset:428
	buffer_load_dword v202, off, s[0:3], 0 offset:436
	;; [unrolled: 1-line block ×6, first 2 shown]
	v_add_f32_e32 v2, v2, v153
	s_clause 0x4
	buffer_load_dword v217, off, s[0:3], 0 offset:476
	buffer_load_dword v218, off, s[0:3], 0 offset:484
	;; [unrolled: 1-line block ×5, first 2 shown]
	v_add_f32_e32 v2, v2, v160
	v_add_f32_e32 v2, v2, v158
	;; [unrolled: 1-line block ×6, first 2 shown]
	s_clause 0x3
	buffer_load_dword v166, off, s[0:3], 0 offset:448
	buffer_load_dword v182, off, s[0:3], 0 offset:440
	;; [unrolled: 1-line block ×4, first 2 shown]
	v_add_f32_e32 v2, v2, v179
	v_add_f32_e32 v2, v2, v178
	s_clause 0x3
	buffer_load_dword v178, off, s[0:3], 0 offset:480
	buffer_load_dword v179, off, s[0:3], 0 offset:472
	;; [unrolled: 1-line block ×4, first 2 shown]
	v_add_f32_e32 v2, v2, v180
	v_add_f32_e32 v2, v2, v189
	s_clause 0x3
	buffer_load_dword v180, off, s[0:3], 0 offset:504
	buffer_load_dword v184, off, s[0:3], 0 offset:496
	;; [unrolled: 1-line block ×4, first 2 shown]
	v_add_f32_e32 v2, v2, v188
	s_waitcnt vmcnt(47) lgkmcnt(0)
	v_mul_f32_e32 v154, v6, v4
	v_mul_f32_e32 v4, v7, v4
	v_fmac_f32_e32 v154, v7, v210
	v_fma_f32 v155, v6, v210, -v4
	v_add_f32_e32 v6, v2, v187
	v_add_f32_e32 v7, v3, v207
	ds_read_b128 v[2:5], v1 offset:848
	v_add_f32_e32 v143, v6, v195
	v_add_f32_e32 v146, v143, v196
	s_waitcnt vmcnt(46)
	v_mul_f32_e32 v158, v8, v11
	v_mul_f32_e32 v6, v9, v11
	v_add_f32_e32 v146, v146, v191
	v_add_f32_e32 v152, v146, v190
	s_waitcnt vmcnt(42)
	v_fmac_f32_e32 v158, v9, v142
	v_fma_f32 v11, v8, v142, -v6
	v_add_f32_e32 v142, v7, v194
	ds_read_b128 v[6:9], v1 offset:864
	s_waitcnt vmcnt(41) lgkmcnt(1)
	v_mul_f32_e32 v159, v2, v148
	v_mul_f32_e32 v148, v3, v148
	v_add_f32_e32 v147, v142, v208
	ds_read_b128 v[142:145], v1 offset:880
	s_waitcnt vmcnt(40)
	v_mul_f32_e32 v187, v4, v176
	v_fmac_f32_e32 v159, v3, v151
	v_fma_f32 v160, v2, v151, -v148
	v_add_f32_e32 v147, v147, v206
	v_add_f32_e32 v3, v152, v214
	v_mul_f32_e32 v151, v5, v176
	v_fmac_f32_e32 v187, v5, v12
	v_add_f32_e32 v2, v147, v209
	ds_read_b128 v[146:149], v1 offset:896
	v_add_f32_e32 v3, v3, v212
	v_fma_f32 v12, v4, v12, -v151
	v_add_f32_e32 v2, v2, v213
	s_waitcnt vmcnt(39) lgkmcnt(2)
	v_mul_f32_e32 v176, v6, v186
	v_mul_f32_e32 v152, v7, v186
	s_waitcnt vmcnt(38)
	v_mul_f32_e32 v186, v8, v150
	v_mul_f32_e32 v156, v9, v150
	v_add_f32_e32 v2, v2, v216
	s_waitcnt vmcnt(37) lgkmcnt(1)
	v_mul_f32_e32 v188, v142, v197
	v_fmac_f32_e32 v176, v7, v10
	v_fma_f32 v10, v6, v10, -v152
	v_add_f32_e32 v6, v3, v211
	v_add_f32_e32 v7, v2, v215
	v_mul_f32_e32 v157, v143, v197
	s_waitcnt vmcnt(34)
	v_fmac_f32_e32 v188, v143, v198
	ds_read_b128 v[2:5], v1 offset:912
	ds_read_b128 v[150:153], v1 offset:928
	v_add_f32_e32 v143, v6, v155
	s_waitcnt vmcnt(32)
	v_mul_f32_e32 v192, v144, v163
	v_fma_f32 v191, v142, v198, -v157
	v_add_f32_e32 v142, v7, v154
	s_waitcnt vmcnt(30) lgkmcnt(2)
	v_mul_f32_e32 v194, v148, v200
	v_add_f32_e32 v11, v143, v11
	v_mul_f32_e32 v143, v145, v163
	v_mul_f32_e32 v163, v146, v175
	v_add_f32_e32 v142, v142, v158
	v_mul_f32_e32 v158, v147, v175
	v_add_f32_e32 v11, v11, v160
	v_mul_f32_e32 v175, v149, v200
	v_fmac_f32_e32 v163, v147, v168
	s_waitcnt vmcnt(26)
	v_fmac_f32_e32 v194, v149, v174
	v_fma_f32 v168, v146, v168, -v158
	v_add_f32_e32 v146, v142, v159
	v_add_f32_e32 v11, v11, v12
	v_fma_f32 v12, v148, v174, -v175
	v_fma_f32 v190, v8, v199, -v156
	v_fmac_f32_e32 v186, v9, v199
	v_add_f32_e32 v174, v146, v187
	v_add_f32_e32 v10, v11, v10
	ds_read_b128 v[6:9], v1 offset:944
	ds_read_b128 v[154:157], v1 offset:960
	v_fmac_f32_e32 v192, v145, v193
	v_fma_f32 v193, v144, v193, -v143
	ds_read_b128 v[142:145], v1 offset:976
	ds_read_b128 v[158:161], v1 offset:992
	;; [unrolled: 1-line block ×3, first 2 shown]
	s_waitcnt vmcnt(25) lgkmcnt(6)
	v_mul_f32_e32 v1, v2, v167
	v_mul_f32_e32 v11, v3, v167
	v_add_f32_e32 v167, v174, v176
	v_add_f32_e32 v10, v10, v190
	s_waitcnt vmcnt(24)
	v_mul_f32_e32 v174, v4, v172
	v_mul_f32_e32 v172, v5, v172
	v_fma_f32 v2, v2, v173, -v11
	v_add_f32_e32 v167, v167, v186
	v_add_f32_e32 v10, v10, v191
	v_fmac_f32_e32 v1, v3, v173
	v_fma_f32 v4, v4, v165, -v172
	s_waitcnt vmcnt(23) lgkmcnt(5)
	v_mul_f32_e32 v175, v150, v170
	v_add_f32_e32 v167, v167, v188
	v_add_f32_e32 v10, v10, v193
	v_fmac_f32_e32 v174, v5, v165
	s_waitcnt vmcnt(22)
	v_mul_f32_e32 v5, v153, v201
	v_mul_f32_e32 v176, v152, v201
	v_add_f32_e32 v167, v167, v192
	v_add_f32_e32 v10, v10, v168
	v_fmac_f32_e32 v175, v151, v162
	s_waitcnt vmcnt(21) lgkmcnt(4)
	v_mul_f32_e32 v186, v6, v202
	s_waitcnt vmcnt(20)
	v_mul_f32_e32 v187, v8, v171
	v_add_f32_e32 v163, v167, v163
	v_add_f32_e32 v10, v10, v12
	v_mul_f32_e32 v12, v151, v170
	s_waitcnt vmcnt(8)
	v_fma_f32 v5, v152, v221, -v5
	v_fmac_f32_e32 v176, v153, v221
	v_add_f32_e32 v11, v163, v194
	v_add_f32_e32 v2, v10, v2
	v_fma_f32 v10, v150, v162, -v12
	v_fmac_f32_e32 v186, v7, v220
	s_waitcnt lgkmcnt(3)
	v_mul_f32_e32 v188, v154, v203
	v_add_f32_e32 v1, v11, v1
	v_add_f32_e32 v2, v2, v4
	v_mul_f32_e32 v4, v7, v202
	v_fmac_f32_e32 v187, v9, v182
	v_mul_f32_e32 v190, v156, v204
	v_add_f32_e32 v1, v1, v174
	v_add_f32_e32 v2, v2, v10
	v_mul_f32_e32 v10, v9, v171
	v_fma_f32 v4, v6, v220, -v4
	v_fmac_f32_e32 v188, v155, v166
	v_add_f32_e32 v1, v1, v175
	v_add_f32_e32 v2, v2, v5
	v_mul_f32_e32 v5, v155, v203
	v_fma_f32 v6, v8, v182, -v10
	s_waitcnt lgkmcnt(2)
	v_mul_f32_e32 v191, v142, v205
	v_add_f32_e32 v1, v1, v176
	v_add_f32_e32 v2, v2, v4
	v_mul_f32_e32 v4, v157, v204
	v_fma_f32 v5, v154, v166, -v5
	s_waitcnt vmcnt(4)
	v_fmac_f32_e32 v190, v157, v185
	v_add_f32_e32 v1, v1, v186
	v_add_f32_e32 v2, v2, v6
	v_mul_f32_e32 v6, v143, v205
	v_fma_f32 v4, v156, v185, -v4
	v_mul_f32_e32 v192, v144, v217
	v_add_f32_e32 v1, v1, v187
	v_add_f32_e32 v2, v2, v5
	v_mul_f32_e32 v5, v145, v217
	v_fma_f32 v6, v142, v183, -v6
	v_fmac_f32_e32 v191, v143, v183
	v_add_f32_e32 v1, v1, v188
	v_add_f32_e32 v2, v2, v4
	s_waitcnt lgkmcnt(1)
	v_mul_f32_e32 v4, v159, v218
	v_fma_f32 v5, v144, v179, -v5
	v_mul_f32_e32 v193, v158, v218
	v_add_f32_e32 v1, v1, v190
	v_add_f32_e32 v2, v2, v6
	v_fmac_f32_e32 v192, v145, v179
	v_mul_f32_e32 v6, v161, v169
	v_fma_f32 v4, v158, v178, -v4
	v_add_f32_e32 v1, v1, v191
	v_add_f32_e32 v2, v2, v5
	v_mul_f32_e32 v168, v160, v169
	v_fmac_f32_e32 v193, v159, v178
	s_waitcnt lgkmcnt(0)
	v_mul_f32_e32 v5, v147, v219
	v_add_f32_e32 v1, v1, v192
	s_waitcnt vmcnt(1)
	v_fma_f32 v6, v160, v189, -v6
	v_add_f32_e32 v2, v2, v4
	v_mul_f32_e32 v167, v146, v219
	v_fmac_f32_e32 v168, v161, v189
	v_add_f32_e32 v1, v1, v193
	v_mul_f32_e32 v4, v149, v164
	v_fma_f32 v5, v146, v184, -v5
	v_add_f32_e32 v2, v2, v6
	v_mul_f32_e32 v3, v148, v164
	v_fmac_f32_e32 v167, v147, v184
	v_add_f32_e32 v1, v1, v168
	v_fma_f32 v4, v148, v180, -v4
	v_add_f32_e32 v2, v2, v5
	v_fmac_f32_e32 v3, v149, v180
	v_add_f32_e32 v1, v1, v167
	v_add_f32_e32 v2, v2, v4
	;; [unrolled: 1-line block ×3, first 2 shown]
	s_waitcnt vmcnt(0)
	v_sub_f32_e32 v2, v181, v2
	v_sub_f32_e32 v1, v177, v1
	buffer_store_dword v2, off, s[0:3], 0 offset:8
	buffer_store_dword v1, off, s[0:3], 0 offset:12
	v_cmpx_ne_u32_e32 0, v0
	s_cbranch_execz .LBB63_397
; %bb.396:
	s_clause 0x1
	buffer_load_dword v0, off, s[0:3], 0
	buffer_load_dword v1, off, s[0:3], 0 offset:4
	v_mov_b32_e32 v2, 0
	buffer_store_dword v2, off, s[0:3], 0
	buffer_store_dword v2, off, s[0:3], 0 offset:4
	s_waitcnt vmcnt(0)
	ds_write_b64 v141, v[0:1]
.LBB63_397:
	s_or_b32 exec_lo, exec_lo, s4
	s_waitcnt lgkmcnt(0)
	s_waitcnt_vscnt null, 0x0
	s_barrier
	buffer_gl0_inv
	s_clause 0x3c
	buffer_load_dword v181, off, s[0:3], 0 offset:12
	buffer_load_dword v0, off, s[0:3], 0 offset:24
	;; [unrolled: 1-line block ×61, first 2 shown]
	v_mov_b32_e32 v142, 0
	ds_read2_b64 v[191:194], v142 offset0:65 offset1:66
	ds_read2_b64 v[195:198], v142 offset0:67 offset1:68
	;; [unrolled: 1-line block ×3, first 2 shown]
	s_and_b32 vcc_lo, exec_lo, s22
	s_waitcnt vmcnt(60) lgkmcnt(2)
	v_mul_f32_e32 v184, v191, v181
	v_mul_f32_e32 v203, v192, v181
	buffer_load_dword v181, off, s[0:3], 0 offset:4
	s_waitcnt vmcnt(57)
	v_mul_f32_e32 v204, v193, v4
	v_mul_f32_e32 v4, v194, v4
	v_fmac_f32_e32 v184, v192, v5
	v_fma_f32 v203, v191, v5, -v203
	s_waitcnt vmcnt(56) lgkmcnt(1)
	v_mul_f32_e32 v206, v195, v3
	v_fmac_f32_e32 v204, v194, v2
	v_fma_f32 v205, v193, v2, -v4
	v_mul_f32_e32 v191, v196, v3
	ds_read2_b64 v[2:5], v142 offset0:71 offset1:72
	v_fmac_f32_e32 v206, v196, v0
	s_waitcnt vmcnt(55)
	v_mul_f32_e32 v196, v197, v1
	v_fma_f32 v195, v195, v0, -v191
	v_mul_f32_e32 v0, v198, v1
	ds_read2_b64 v[191:194], v142 offset0:73 offset1:74
	s_waitcnt vmcnt(51)
	v_fmac_f32_e32 v196, v198, v141
	s_waitcnt vmcnt(49) lgkmcnt(2)
	v_mul_f32_e32 v198, v201, v11
	v_fma_f32 v141, v197, v141, -v0
	v_mul_f32_e32 v0, v200, v12
	v_mul_f32_e32 v197, v199, v12
	v_fmac_f32_e32 v198, v202, v8
	v_fma_f32 v12, v199, v10, -v0
	v_mul_f32_e32 v0, v202, v11
	v_fmac_f32_e32 v197, v200, v10
	s_waitcnt vmcnt(48) lgkmcnt(1)
	v_mul_f32_e32 v200, v2, v9
	s_waitcnt vmcnt(47)
	v_mul_f32_e32 v202, v4, v7
	v_fma_f32 v199, v201, v8, -v0
	v_mul_f32_e32 v0, v3, v9
	ds_read2_b64 v[8:11], v142 offset0:75 offset1:76
	v_fmac_f32_e32 v200, v3, v6
	s_waitcnt vmcnt(43)
	v_fmac_f32_e32 v202, v5, v150
	s_waitcnt vmcnt(42) lgkmcnt(1)
	v_mul_f32_e32 v207, v191, v149
	v_fma_f32 v201, v2, v6, -v0
	v_mul_f32_e32 v0, v5, v7
	v_fmac_f32_e32 v207, v192, v147
	v_fma_f32 v150, v4, v150, -v0
	v_mul_f32_e32 v4, v192, v149
	ds_read2_b64 v[0:3], v142 offset0:77 offset1:78
	s_waitcnt vmcnt(41)
	v_mul_f32_e32 v149, v193, v148
	v_fma_f32 v147, v191, v147, -v4
	v_mul_f32_e32 v4, v194, v148
	v_fmac_f32_e32 v149, v194, v145
	s_waitcnt vmcnt(40) lgkmcnt(1)
	v_mul_f32_e32 v148, v8, v146
	v_mul_f32_e32 v146, v9, v146
	v_fma_f32 v145, v193, v145, -v4
	ds_read2_b64 v[4:7], v142 offset0:79 offset1:80
	v_fmac_f32_e32 v148, v9, v143
	v_fma_f32 v143, v8, v143, -v146
	s_waitcnt vmcnt(39)
	v_mul_f32_e32 v146, v10, v144
	v_mul_f32_e32 v8, v11, v144
	s_waitcnt vmcnt(35)
	v_fmac_f32_e32 v146, v11, v174
	v_fma_f32 v144, v10, v174, -v8
	ds_read2_b64 v[8:11], v142 offset0:81 offset1:82
	s_waitcnt vmcnt(34) lgkmcnt(2)
	v_mul_f32_e32 v174, v0, v173
	v_mul_f32_e32 v173, v1, v173
	v_fmac_f32_e32 v174, v1, v169
	v_fma_f32 v169, v0, v169, -v173
	s_waitcnt vmcnt(33)
	v_mul_f32_e32 v173, v2, v170
	v_mul_f32_e32 v0, v3, v170
	s_waitcnt vmcnt(32) lgkmcnt(1)
	v_mul_f32_e32 v170, v4, v167
	v_mul_f32_e32 v167, v5, v167
	v_fmac_f32_e32 v173, v3, v163
	v_fma_f32 v163, v2, v163, -v0
	ds_read2_b64 v[0:3], v142 offset0:83 offset1:84
	v_fmac_f32_e32 v170, v5, v155
	v_fma_f32 v155, v4, v155, -v167
	s_waitcnt vmcnt(31)
	v_mul_f32_e32 v167, v6, v161
	v_mul_f32_e32 v4, v7, v161
	s_waitcnt vmcnt(27)
	v_fmac_f32_e32 v167, v7, v172
	v_fma_f32 v161, v6, v172, -v4
	s_waitcnt vmcnt(26) lgkmcnt(1)
	v_mul_f32_e32 v172, v8, v171
	v_mul_f32_e32 v171, v9, v171
	ds_read2_b64 v[4:7], v142 offset0:85 offset1:86
	v_fmac_f32_e32 v172, v9, v164
	v_fma_f32 v164, v8, v164, -v171
	s_waitcnt vmcnt(25)
	v_mul_f32_e32 v171, v10, v165
	v_mul_f32_e32 v8, v11, v165
	s_waitcnt vmcnt(24) lgkmcnt(1)
	v_mul_f32_e32 v165, v0, v162
	v_mul_f32_e32 v162, v1, v162
	v_fmac_f32_e32 v171, v11, v158
	v_fma_f32 v158, v10, v158, -v8
	ds_read2_b64 v[8:11], v142 offset0:87 offset1:88
	v_fmac_f32_e32 v165, v1, v152
	v_fma_f32 v152, v0, v152, -v162
	s_waitcnt vmcnt(23)
	v_mul_f32_e32 v162, v2, v156
	v_mul_f32_e32 v0, v3, v156
	s_waitcnt vmcnt(19)
	v_fmac_f32_e32 v162, v3, v168
	v_fma_f32 v156, v2, v168, -v0
	s_waitcnt vmcnt(18) lgkmcnt(1)
	v_mul_f32_e32 v168, v4, v166
	v_mul_f32_e32 v166, v5, v166
	ds_read2_b64 v[0:3], v142 offset0:89 offset1:90
	v_fmac_f32_e32 v168, v5, v159
	v_fma_f32 v159, v4, v159, -v166
	s_waitcnt vmcnt(17)
	v_mul_f32_e32 v166, v6, v160
	v_mul_f32_e32 v4, v7, v160
	s_waitcnt vmcnt(16) lgkmcnt(1)
	v_mul_f32_e32 v160, v8, v157
	v_mul_f32_e32 v157, v9, v157
	v_fmac_f32_e32 v166, v7, v154
	v_fma_f32 v154, v6, v154, -v4
	ds_read2_b64 v[4:7], v142 offset0:91 offset1:92
	v_fmac_f32_e32 v160, v9, v151
	v_fma_f32 v151, v8, v151, -v157
	s_waitcnt vmcnt(15)
	v_mul_f32_e32 v157, v10, v153
	v_mul_f32_e32 v8, v11, v153
	s_waitcnt vmcnt(11)
	v_fmac_f32_e32 v157, v11, v183
	v_fma_f32 v153, v10, v183, -v8
	ds_read2_b64 v[8:11], v142 offset0:93 offset1:94
	s_waitcnt vmcnt(10) lgkmcnt(2)
	v_mul_f32_e32 v183, v0, v182
	v_mul_f32_e32 v182, v1, v182
	v_fmac_f32_e32 v183, v1, v179
	v_fma_f32 v179, v0, v179, -v182
	s_waitcnt vmcnt(9)
	v_mul_f32_e32 v182, v2, v180
	v_mul_f32_e32 v0, v3, v180
	s_waitcnt vmcnt(8) lgkmcnt(1)
	v_mul_f32_e32 v180, v4, v178
	s_waitcnt vmcnt(7)
	v_mul_f32_e32 v1, v7, v177
	v_fmac_f32_e32 v182, v3, v176
	v_fma_f32 v176, v2, v176, -v0
	v_mul_f32_e32 v0, v5, v178
	v_mul_f32_e32 v178, v6, v177
	buffer_load_dword v177, off, s[0:3], 0 offset:252
	v_fmac_f32_e32 v180, v5, v175
	v_fma_f32 v175, v4, v175, -v0
	s_waitcnt vmcnt(4)
	v_fmac_f32_e32 v178, v7, v190
	v_fma_f32 v190, v6, v190, -v1
	buffer_load_dword v6, off, s[0:3], 0 offset:260
	ds_read2_b64 v[0:3], v142 offset0:95 offset1:96
	s_waitcnt vmcnt(4) lgkmcnt(1)
	v_mul_f32_e32 v191, v8, v189
	v_mul_f32_e32 v4, v9, v189
	s_waitcnt vmcnt(3)
	v_mul_f32_e32 v189, v10, v188
	v_mul_f32_e32 v5, v11, v188
	v_fmac_f32_e32 v191, v9, v187
	v_fma_f32 v8, v8, v187, -v4
	v_fmac_f32_e32 v189, v11, v186
	v_fma_f32 v9, v10, v186, -v5
	s_clause 0x4
	buffer_load_dword v10, off, s[0:3], 0 offset:280
	buffer_load_dword v11, off, s[0:3], 0 offset:272
	buffer_load_dword v186, off, s[0:3], 0 offset:264
	buffer_load_dword v4, off, s[0:3], 0 offset:256
	buffer_load_dword v187, off, s[0:3], 0 offset:268
	s_waitcnt vmcnt(6) lgkmcnt(0)
	v_mul_f32_e32 v188, v0, v177
	v_mul_f32_e32 v5, v1, v177
	v_fmac_f32_e32 v188, v1, v185
	s_waitcnt vmcnt(5)
	v_mul_f32_e32 v177, v2, v6
	v_mul_f32_e32 v6, v3, v6
	v_fma_f32 v185, v0, v185, -v5
	s_waitcnt vmcnt(1)
	v_fmac_f32_e32 v177, v3, v4
	v_fma_f32 v192, v2, v4, -v6
	ds_read2_b64 v[0:3], v142 offset0:97 offset1:98
	ds_read2_b64 v[4:7], v142 offset0:99 offset1:100
	s_waitcnt vmcnt(0) lgkmcnt(1)
	v_mul_f32_e32 v193, v0, v187
	v_mul_f32_e32 v187, v1, v187
	v_fmac_f32_e32 v193, v1, v186
	v_fma_f32 v186, v0, v186, -v187
	buffer_load_dword v0, off, s[0:3], 0 offset:276
	v_add_f32_e32 v1, 0, v203
	v_add_f32_e32 v1, v1, v205
	;; [unrolled: 1-line block ×11, first 2 shown]
	s_waitcnt vmcnt(0)
	v_mul_f32_e32 v187, v2, v0
	v_mul_f32_e32 v0, v3, v0
	v_fmac_f32_e32 v187, v3, v11
	v_fma_f32 v11, v2, v11, -v0
	v_add_f32_e32 v0, 0, v184
	s_clause 0x1
	buffer_load_dword v2, off, s[0:3], 0 offset:284
	buffer_load_dword v3, off, s[0:3], 0 offset:292
	v_add_f32_e32 v0, v0, v204
	v_add_f32_e32 v0, v0, v206
	v_add_f32_e32 v0, v0, v196
	s_clause 0x5
	buffer_load_dword v184, off, s[0:3], 0 offset:312
	buffer_load_dword v194, off, s[0:3], 0 offset:304
	;; [unrolled: 1-line block ×6, first 2 shown]
	v_add_f32_e32 v0, v0, v197
	buffer_load_dword v197, off, s[0:3], 0 offset:308
	v_add_f32_e32 v0, v0, v198
	buffer_load_dword v198, off, s[0:3], 0 offset:324
	v_add_f32_e32 v0, v0, v200
	v_add_f32_e32 v0, v0, v202
	s_clause 0x6
	buffer_load_dword v199, off, s[0:3], 0 offset:344
	buffer_load_dword v200, off, s[0:3], 0 offset:336
	;; [unrolled: 1-line block ×7, first 2 shown]
	v_add_f32_e32 v0, v0, v207
	v_add_f32_e32 v0, v0, v149
	;; [unrolled: 1-line block ×3, first 2 shown]
	s_clause 0x1
	buffer_load_dword v148, off, s[0:3], 0 offset:356
	buffer_load_dword v205, off, s[0:3], 0 offset:364
	s_waitcnt vmcnt(18) lgkmcnt(0)
	v_mul_f32_e32 v149, v4, v2
	v_mul_f32_e32 v2, v5, v2
	s_waitcnt vmcnt(17)
	v_mul_f32_e32 v204, v6, v3
	v_mul_f32_e32 v3, v7, v3
	v_fmac_f32_e32 v149, v5, v10
	v_fma_f32 v143, v4, v10, -v2
	v_add_f32_e32 v4, v0, v146
	v_add_f32_e32 v5, v1, v144
	;; [unrolled: 1-line block ×4, first 2 shown]
	s_waitcnt vmcnt(13)
	v_fma_f32 v145, v6, v196, -v3
	ds_read2_b64 v[0:3], v142 offset0:101 offset1:102
	v_fmac_f32_e32 v204, v7, v196
	s_clause 0x3
	buffer_load_dword v169, off, s[0:3], 0 offset:376
	buffer_load_dword v174, off, s[0:3], 0 offset:368
	;; [unrolled: 1-line block ×4, first 2 shown]
	v_add_f32_e32 v5, v5, v163
	v_add_f32_e32 v4, v4, v173
	v_add_f32_e32 v10, v5, v155
	s_clause 0x1
	buffer_load_dword v155, off, s[0:3], 0 offset:372
	buffer_load_dword v163, off, s[0:3], 0 offset:380
	v_add_f32_e32 v144, v4, v170
	ds_read2_b64 v[4:7], v142 offset0:103 offset1:104
	v_add_f32_e32 v10, v10, v161
	v_add_f32_e32 v144, v144, v167
	buffer_load_dword v167, off, s[0:3], 0 offset:388
	v_add_f32_e32 v10, v10, v164
	s_waitcnt vmcnt(19) lgkmcnt(1)
	v_mul_f32_e32 v161, v0, v141
	v_mul_f32_e32 v141, v1, v141
	v_fmac_f32_e32 v161, v1, v195
	v_fma_f32 v141, v0, v195, -v141
	v_add_f32_e32 v0, v144, v172
	v_add_f32_e32 v1, v10, v158
	s_clause 0x3
	buffer_load_dword v164, off, s[0:3], 0 offset:408
	buffer_load_dword v170, off, s[0:3], 0 offset:400
	;; [unrolled: 1-line block ×4, first 2 shown]
	s_waitcnt vmcnt(21)
	v_mul_f32_e32 v10, v3, v197
	v_add_f32_e32 v0, v0, v171
	v_add_f32_e32 v1, v1, v152
	buffer_load_dword v171, off, s[0:3], 0 offset:396
	v_mul_f32_e32 v152, v2, v197
	v_fma_f32 v158, v2, v194, -v10
	v_add_f32_e32 v0, v0, v165
	v_add_f32_e32 v1, v1, v156
	buffer_load_dword v165, off, s[0:3], 0 offset:404
	v_fmac_f32_e32 v152, v3, v194
	s_clause 0x1
	buffer_load_dword v194, off, s[0:3], 0 offset:412
	buffer_load_dword v195, off, s[0:3], 0 offset:420
	v_add_f32_e32 v0, v0, v162
	v_add_f32_e32 v1, v1, v159
	s_clause 0x2
	buffer_load_dword v162, off, s[0:3], 0 offset:428
	buffer_load_dword v197, off, s[0:3], 0 offset:436
	;; [unrolled: 1-line block ×3, first 2 shown]
	s_waitcnt lgkmcnt(0)
	v_mul_f32_e32 v2, v5, v12
	s_waitcnt vmcnt(27)
	v_mul_f32_e32 v156, v6, v198
	v_add_f32_e32 v0, v0, v168
	v_add_f32_e32 v1, v1, v154
	s_clause 0x1
	buffer_load_dword v168, off, s[0:3], 0 offset:452
	buffer_load_dword v208, off, s[0:3], 0 offset:460
	s_waitcnt vmcnt(25)
	v_fmac_f32_e32 v156, v7, v202
	v_add_f32_e32 v0, v0, v166
	v_add_f32_e32 v1, v1, v151
	s_clause 0x5
	buffer_load_dword v166, off, s[0:3], 0 offset:468
	buffer_load_dword v209, off, s[0:3], 0 offset:476
	;; [unrolled: 1-line block ×6, first 2 shown]
	v_add_f32_e32 v0, v0, v160
	v_add_f32_e32 v1, v1, v153
	v_mul_f32_e32 v151, v4, v12
	v_fma_f32 v12, v4, v184, -v2
	v_add_f32_e32 v0, v0, v157
	v_add_f32_e32 v1, v1, v179
	v_fmac_f32_e32 v151, v5, v184
	v_add_f32_e32 v0, v0, v183
	s_clause 0x3
	buffer_load_dword v179, off, s[0:3], 0 offset:440
	buffer_load_dword v183, off, s[0:3], 0 offset:432
	;; [unrolled: 1-line block ×4, first 2 shown]
	v_add_f32_e32 v1, v1, v176
	v_add_f32_e32 v0, v0, v182
	;; [unrolled: 1-line block ×4, first 2 shown]
	s_clause 0x3
	buffer_load_dword v175, off, s[0:3], 0 offset:472
	buffer_load_dword v176, off, s[0:3], 0 offset:464
	;; [unrolled: 1-line block ×4, first 2 shown]
	v_add_f32_e32 v1, v1, v190
	v_add_f32_e32 v0, v0, v178
	;; [unrolled: 1-line block ×4, first 2 shown]
	s_clause 0x4
	buffer_load_dword v178, off, s[0:3], 0 offset:504
	buffer_load_dword v190, off, s[0:3], 0 offset:496
	buffer_load_dword v191, off, s[0:3], 0 offset:488
	buffer_load_dword v216, off, s[0:3], 0 offset:480
	buffer_load_dword v217, off, s[0:3], 0
	v_add_f32_e32 v1, v1, v9
	v_add_f32_e32 v0, v0, v189
	;; [unrolled: 1-line block ×5, first 2 shown]
	ds_read2_b64 v[0:3], v142 offset0:105 offset1:106
	v_add_f32_e32 v8, v4, v177
	v_mul_f32_e32 v4, v7, v198
	v_add_f32_e32 v9, v5, v186
	v_add_f32_e32 v144, v8, v193
	v_fma_f32 v153, v6, v202, -v4
	ds_read2_b64 v[4:7], v142 offset0:107 offset1:108
	v_add_f32_e32 v146, v9, v11
	ds_read2_b64 v[8:11], v142 offset0:109 offset1:110
	v_add_f32_e32 v144, v144, v187
	v_add_f32_e32 v143, v146, v143
	;; [unrolled: 1-line block ×3, first 2 shown]
	s_waitcnt vmcnt(43) lgkmcnt(2)
	v_mul_f32_e32 v157, v0, v150
	v_mul_f32_e32 v150, v1, v150
	s_waitcnt vmcnt(42)
	v_mul_f32_e32 v160, v2, v147
	v_mul_f32_e32 v147, v3, v147
	v_fmac_f32_e32 v157, v1, v201
	v_fma_f32 v159, v0, v201, -v150
	v_add_f32_e32 v0, v143, v145
	v_add_f32_e32 v1, v149, v204
	ds_read2_b64 v[143:146], v142 offset0:111 offset1:112
	s_waitcnt vmcnt(41) lgkmcnt(2)
	v_mul_f32_e32 v149, v5, v203
	s_waitcnt vmcnt(39) lgkmcnt(1)
	v_mul_f32_e32 v177, v8, v205
	v_add_f32_e32 v0, v0, v141
	v_add_f32_e32 v1, v1, v161
	v_mul_f32_e32 v141, v4, v203
	v_fma_f32 v184, v4, v199, -v149
	v_fmac_f32_e32 v160, v3, v200
	v_add_f32_e32 v0, v0, v158
	v_add_f32_e32 v4, v1, v152
	v_fmac_f32_e32 v141, v5, v199
	v_fma_f32 v158, v2, v200, -v147
	v_mul_f32_e32 v154, v7, v148
	v_add_f32_e32 v5, v0, v12
	v_mul_f32_e32 v12, v9, v205
	v_mul_f32_e32 v161, v6, v148
	ds_read2_b64 v[0:3], v142 offset0:113 offset1:114
	ds_read2_b64 v[147:150], v142 offset0:115 offset1:116
	s_waitcnt vmcnt(36)
	v_fmac_f32_e32 v177, v9, v196
	v_add_f32_e32 v9, v4, v151
	v_fma_f32 v12, v8, v196, -v12
	v_add_f32_e32 v8, v5, v153
	s_waitcnt vmcnt(35)
	v_fma_f32 v185, v6, v206, -v154
	v_fmac_f32_e32 v161, v7, v206
	v_add_f32_e32 v9, v9, v156
	s_waitcnt vmcnt(34)
	v_mul_f32_e32 v186, v10, v155
	v_add_f32_e32 v8, v8, v159
	s_waitcnt vmcnt(33) lgkmcnt(2)
	v_mul_f32_e32 v187, v143, v163
	v_mul_f32_e32 v156, v144, v163
	;; [unrolled: 1-line block ×3, first 2 shown]
	v_add_f32_e32 v9, v9, v157
	v_fmac_f32_e32 v186, v11, v174
	v_fmac_f32_e32 v187, v144, v169
	v_fma_f32 v169, v143, v169, -v156
	v_add_f32_e32 v143, v8, v158
	s_waitcnt vmcnt(32)
	v_mul_f32_e32 v163, v145, v167
	v_mul_f32_e32 v159, v146, v167
	v_fma_f32 v167, v10, v174, -v155
	v_add_f32_e32 v174, v9, v160
	v_add_f32_e32 v184, v143, v184
	ds_read2_b64 v[4:7], v142 offset0:117 offset1:118
	ds_read2_b64 v[151:154], v142 offset0:119 offset1:120
	;; [unrolled: 1-line block ×4, first 2 shown]
	v_add_f32_e32 v141, v174, v141
	v_add_f32_e32 v184, v184, v185
	s_waitcnt vmcnt(28)
	v_fmac_f32_e32 v163, v146, v173
	v_fma_f32 v173, v145, v173, -v159
	v_add_f32_e32 v141, v141, v161
	v_add_f32_e32 v12, v184, v12
	ds_read2_b64 v[143:146], v142 offset0:125 offset1:126
	ds_read_b64 v[159:160], v142 offset:1016
	s_waitcnt vmcnt(27) lgkmcnt(7)
	v_mul_f32_e32 v174, v0, v171
	v_mul_f32_e32 v171, v1, v171
	v_add_f32_e32 v141, v141, v177
	v_add_f32_e32 v12, v12, v167
	s_waitcnt vmcnt(26)
	v_mul_f32_e32 v161, v3, v165
	v_fma_f32 v0, v0, v172, -v171
	v_add_f32_e32 v141, v141, v186
	v_add_f32_e32 v12, v12, v169
	v_mul_f32_e32 v185, v2, v165
	v_fmac_f32_e32 v174, v1, v172
	s_waitcnt vmcnt(25) lgkmcnt(6)
	v_mul_f32_e32 v172, v148, v194
	v_add_f32_e32 v141, v141, v187
	v_add_f32_e32 v12, v12, v173
	v_fma_f32 v2, v2, v170, -v161
	v_mul_f32_e32 v165, v147, v194
	v_fmac_f32_e32 v185, v3, v170
	v_add_f32_e32 v141, v141, v163
	v_add_f32_e32 v0, v12, v0
	s_waitcnt vmcnt(24)
	v_mul_f32_e32 v173, v150, v195
	v_fma_f32 v147, v147, v164, -v172
	v_mul_f32_e32 v184, v149, v195
	v_add_f32_e32 v12, v141, v174
	v_add_f32_e32 v0, v0, v2
	v_fmac_f32_e32 v165, v148, v164
	s_waitcnt vmcnt(23) lgkmcnt(5)
	v_mul_f32_e32 v177, v4, v162
	s_waitcnt vmcnt(22)
	v_mul_f32_e32 v167, v6, v197
	v_add_f32_e32 v2, v12, v185
	v_mul_f32_e32 v12, v5, v162
	v_add_f32_e32 v0, v0, v147
	v_mul_f32_e32 v147, v7, v197
	s_waitcnt vmcnt(21) lgkmcnt(4)
	v_mul_f32_e32 v1, v151, v207
	v_add_f32_e32 v2, v2, v165
	s_waitcnt vmcnt(10)
	v_fma_f32 v4, v4, v214, -v12
	s_waitcnt vmcnt(9)
	v_fma_f32 v148, v149, v215, -v173
	v_fmac_f32_e32 v184, v150, v215
	v_fmac_f32_e32 v177, v5, v214
	v_mul_f32_e32 v5, v152, v207
	v_fma_f32 v6, v6, v183, -v147
	v_add_f32_e32 v0, v0, v148
	v_add_f32_e32 v2, v2, v184
	v_fmac_f32_e32 v167, v7, v183
	v_fma_f32 v5, v151, v179, -v5
	v_mul_f32_e32 v171, v153, v168
	v_add_f32_e32 v0, v0, v4
	v_add_f32_e32 v2, v2, v177
	v_mul_f32_e32 v4, v154, v168
	v_fmac_f32_e32 v1, v152, v179
	s_waitcnt lgkmcnt(3)
	v_mul_f32_e32 v169, v8, v208
	v_add_f32_e32 v0, v0, v6
	v_add_f32_e32 v2, v2, v167
	v_mul_f32_e32 v6, v9, v208
	s_waitcnt vmcnt(5)
	v_fma_f32 v4, v153, v182, -v4
	v_fmac_f32_e32 v171, v154, v182
	v_add_f32_e32 v0, v0, v5
	v_add_f32_e32 v1, v2, v1
	v_mul_f32_e32 v2, v11, v166
	v_fma_f32 v5, v8, v180, -v6
	v_mul_f32_e32 v186, v10, v166
	v_add_f32_e32 v0, v0, v4
	v_fmac_f32_e32 v169, v9, v180
	v_add_f32_e32 v1, v1, v171
	s_waitcnt lgkmcnt(2)
	v_mul_f32_e32 v4, v156, v209
	v_fma_f32 v2, v10, v176, -v2
	v_add_f32_e32 v0, v0, v5
	v_mul_f32_e32 v3, v155, v209
	v_fmac_f32_e32 v186, v11, v176
	v_add_f32_e32 v1, v1, v169
	v_mul_f32_e32 v5, v158, v210
	v_fma_f32 v4, v155, v175, -v4
	v_add_f32_e32 v0, v0, v2
	v_mul_f32_e32 v161, v157, v210
	v_fmac_f32_e32 v3, v156, v175
	v_add_f32_e32 v1, v1, v186
	s_waitcnt lgkmcnt(1)
	v_mul_f32_e32 v2, v144, v211
	s_waitcnt vmcnt(1)
	v_fma_f32 v5, v157, v216, -v5
	v_add_f32_e32 v0, v0, v4
	v_mul_f32_e32 v163, v143, v211
	v_fmac_f32_e32 v161, v158, v216
	v_add_f32_e32 v1, v1, v3
	v_mul_f32_e32 v3, v146, v212
	v_fma_f32 v2, v143, v191, -v2
	v_add_f32_e32 v0, v0, v5
	v_mul_f32_e32 v170, v145, v212
	v_fmac_f32_e32 v163, v144, v191
	v_add_f32_e32 v1, v1, v161
	s_waitcnt lgkmcnt(0)
	v_mul_f32_e32 v4, v160, v213
	v_fma_f32 v3, v145, v190, -v3
	v_add_f32_e32 v0, v0, v2
	v_mul_f32_e32 v141, v159, v213
	v_fmac_f32_e32 v170, v146, v190
	v_add_f32_e32 v1, v1, v163
	v_fma_f32 v2, v159, v178, -v4
	v_add_f32_e32 v0, v0, v3
	v_fmac_f32_e32 v141, v160, v178
	v_add_f32_e32 v1, v1, v170
	v_add_f32_e32 v0, v0, v2
	;; [unrolled: 1-line block ×3, first 2 shown]
	s_waitcnt vmcnt(0)
	v_sub_f32_e32 v0, v217, v0
	v_sub_f32_e32 v1, v181, v1
	buffer_store_dword v0, off, s[0:3], 0
	buffer_store_dword v1, off, s[0:3], 0 offset:4
	s_cbranch_vccz .LBB63_524
; %bb.398:
	global_load_dword v0, v142, s[20:21] offset:248
	s_waitcnt vmcnt(0)
	v_add_nc_u32_e32 v0, -1, v0
	v_cmp_ne_u32_e32 vcc_lo, 62, v0
	s_cbranch_vccz .LBB63_400
; %bb.399:
	v_lshlrev_b32_e32 v0, 3, v0
	s_clause 0x3
	buffer_load_dword v1, v0, s[0:3], 0 offen
	buffer_load_dword v2, v0, s[0:3], 0 offen offset:4
	buffer_load_dword v3, off, s[0:3], 0 offset:500
	buffer_load_dword v4, off, s[0:3], 0 offset:496
	s_waitcnt vmcnt(3)
	buffer_store_dword v1, off, s[0:3], 0 offset:496
	s_waitcnt vmcnt(2)
	buffer_store_dword v2, off, s[0:3], 0 offset:500
	s_waitcnt vmcnt(1)
	buffer_store_dword v3, v0, s[0:3], 0 offen offset:4
	s_waitcnt vmcnt(0)
	buffer_store_dword v4, v0, s[0:3], 0 offen
.LBB63_400:
	v_mov_b32_e32 v0, 0
	global_load_dword v1, v0, s[20:21] offset:244
	s_waitcnt vmcnt(0)
	v_add_nc_u32_e32 v1, -1, v1
	v_cmp_eq_u32_e32 vcc_lo, 61, v1
	s_cbranch_vccnz .LBB63_402
; %bb.401:
	v_lshlrev_b32_e32 v1, 3, v1
	s_clause 0x3
	buffer_load_dword v2, v1, s[0:3], 0 offen
	buffer_load_dword v3, v1, s[0:3], 0 offen offset:4
	buffer_load_dword v4, off, s[0:3], 0 offset:488
	buffer_load_dword v5, off, s[0:3], 0 offset:492
	s_waitcnt vmcnt(3)
	buffer_store_dword v2, off, s[0:3], 0 offset:488
	s_waitcnt vmcnt(2)
	buffer_store_dword v3, off, s[0:3], 0 offset:492
	s_waitcnt vmcnt(1)
	buffer_store_dword v4, v1, s[0:3], 0 offen
	s_waitcnt vmcnt(0)
	buffer_store_dword v5, v1, s[0:3], 0 offen offset:4
.LBB63_402:
	global_load_dword v0, v0, s[20:21] offset:240
	s_waitcnt vmcnt(0)
	v_add_nc_u32_e32 v0, -1, v0
	v_cmp_eq_u32_e32 vcc_lo, 60, v0
	s_cbranch_vccnz .LBB63_404
; %bb.403:
	v_lshlrev_b32_e32 v0, 3, v0
	s_clause 0x3
	buffer_load_dword v1, v0, s[0:3], 0 offen
	buffer_load_dword v2, v0, s[0:3], 0 offen offset:4
	buffer_load_dword v3, off, s[0:3], 0 offset:484
	buffer_load_dword v4, off, s[0:3], 0 offset:480
	s_waitcnt vmcnt(3)
	buffer_store_dword v1, off, s[0:3], 0 offset:480
	s_waitcnt vmcnt(2)
	buffer_store_dword v2, off, s[0:3], 0 offset:484
	s_waitcnt vmcnt(1)
	buffer_store_dword v3, v0, s[0:3], 0 offen offset:4
	s_waitcnt vmcnt(0)
	buffer_store_dword v4, v0, s[0:3], 0 offen
.LBB63_404:
	v_mov_b32_e32 v0, 0
	global_load_dword v1, v0, s[20:21] offset:236
	s_waitcnt vmcnt(0)
	v_add_nc_u32_e32 v1, -1, v1
	v_cmp_eq_u32_e32 vcc_lo, 59, v1
	s_cbranch_vccnz .LBB63_406
; %bb.405:
	v_lshlrev_b32_e32 v1, 3, v1
	s_clause 0x3
	buffer_load_dword v2, v1, s[0:3], 0 offen
	buffer_load_dword v3, v1, s[0:3], 0 offen offset:4
	buffer_load_dword v4, off, s[0:3], 0 offset:472
	buffer_load_dword v5, off, s[0:3], 0 offset:476
	s_waitcnt vmcnt(3)
	buffer_store_dword v2, off, s[0:3], 0 offset:472
	s_waitcnt vmcnt(2)
	buffer_store_dword v3, off, s[0:3], 0 offset:476
	s_waitcnt vmcnt(1)
	buffer_store_dword v4, v1, s[0:3], 0 offen
	s_waitcnt vmcnt(0)
	buffer_store_dword v5, v1, s[0:3], 0 offen offset:4
.LBB63_406:
	global_load_dword v0, v0, s[20:21] offset:232
	s_waitcnt vmcnt(0)
	v_add_nc_u32_e32 v0, -1, v0
	v_cmp_eq_u32_e32 vcc_lo, 58, v0
	s_cbranch_vccnz .LBB63_408
; %bb.407:
	v_lshlrev_b32_e32 v0, 3, v0
	s_clause 0x3
	buffer_load_dword v1, v0, s[0:3], 0 offen
	buffer_load_dword v2, v0, s[0:3], 0 offen offset:4
	buffer_load_dword v3, off, s[0:3], 0 offset:468
	buffer_load_dword v4, off, s[0:3], 0 offset:464
	s_waitcnt vmcnt(3)
	buffer_store_dword v1, off, s[0:3], 0 offset:464
	s_waitcnt vmcnt(2)
	buffer_store_dword v2, off, s[0:3], 0 offset:468
	s_waitcnt vmcnt(1)
	buffer_store_dword v3, v0, s[0:3], 0 offen offset:4
	s_waitcnt vmcnt(0)
	buffer_store_dword v4, v0, s[0:3], 0 offen
.LBB63_408:
	;; [unrolled: 43-line block ×30, first 2 shown]
	v_mov_b32_e32 v0, 0
	global_load_dword v1, v0, s[20:21] offset:4
	s_waitcnt vmcnt(0)
	v_add_nc_u32_e32 v1, -1, v1
	v_cmp_eq_u32_e32 vcc_lo, 1, v1
	s_cbranch_vccnz .LBB63_522
; %bb.521:
	v_lshlrev_b32_e32 v1, 3, v1
	s_clause 0x3
	buffer_load_dword v2, v1, s[0:3], 0 offen
	buffer_load_dword v3, v1, s[0:3], 0 offen offset:4
	buffer_load_dword v4, off, s[0:3], 0 offset:8
	buffer_load_dword v5, off, s[0:3], 0 offset:12
	s_waitcnt vmcnt(3)
	buffer_store_dword v2, off, s[0:3], 0 offset:8
	s_waitcnt vmcnt(2)
	buffer_store_dword v3, off, s[0:3], 0 offset:12
	s_waitcnt vmcnt(1)
	buffer_store_dword v4, v1, s[0:3], 0 offen
	s_waitcnt vmcnt(0)
	buffer_store_dword v5, v1, s[0:3], 0 offen offset:4
.LBB63_522:
	global_load_dword v0, v0, s[20:21]
	s_waitcnt vmcnt(0)
	v_add_nc_u32_e32 v0, -1, v0
	v_cmp_eq_u32_e32 vcc_lo, 0, v0
	s_cbranch_vccnz .LBB63_524
; %bb.523:
	v_lshlrev_b32_e32 v0, 3, v0
	s_clause 0x3
	buffer_load_dword v1, v0, s[0:3], 0 offen
	buffer_load_dword v2, v0, s[0:3], 0 offen offset:4
	buffer_load_dword v3, off, s[0:3], 0 offset:4
	buffer_load_dword v4, off, s[0:3], 0
	s_waitcnt vmcnt(3)
	buffer_store_dword v1, off, s[0:3], 0
	s_waitcnt vmcnt(2)
	buffer_store_dword v2, off, s[0:3], 0 offset:4
	s_waitcnt vmcnt(1)
	buffer_store_dword v3, v0, s[0:3], 0 offen offset:4
	s_waitcnt vmcnt(0)
	buffer_store_dword v4, v0, s[0:3], 0 offen
.LBB63_524:
	s_clause 0x3e
	buffer_load_dword v0, off, s[0:3], 0
	buffer_load_dword v1, off, s[0:3], 0 offset:4
	buffer_load_dword v2, off, s[0:3], 0 offset:8
	;; [unrolled: 1-line block ×62, first 2 shown]
	s_clause 0x38
	buffer_load_dword v192, off, s[0:3], 0 offset:252
	buffer_load_dword v193, off, s[0:3], 0 offset:256
	;; [unrolled: 1-line block ×57, first 2 shown]
	s_waitcnt vmcnt(62)
	global_store_dwordx2 v[21:22], v[0:1], off
	s_clause 0x7
	buffer_load_dword v0, off, s[0:3], 0 offset:480
	buffer_load_dword v1, off, s[0:3], 0 offset:484
	;; [unrolled: 1-line block ×8, first 2 shown]
	global_store_dwordx2 v[13:14], v[2:3], off
	global_store_dwordx2 v[15:16], v[4:5], off
	;; [unrolled: 1-line block ×28, first 2 shown]
	s_waitcnt vmcnt(62)
	global_store_dwordx2 v[71:72], v[187:188], off
	global_store_dwordx2 v[73:74], v[189:190], off
	;; [unrolled: 1-line block ×4, first 2 shown]
	s_waitcnt vmcnt(60)
	global_store_dwordx2 v[79:80], v[195:196], off
	s_waitcnt vmcnt(58)
	global_store_dwordx2 v[81:82], v[197:198], off
	;; [unrolled: 2-line block ×31, first 2 shown]
	s_endpgm
	.section	.rodata,"a",@progbits
	.p2align	6, 0x0
	.amdhsa_kernel _ZN9rocsolver6v33100L18getri_kernel_smallILi64E19rocblas_complex_numIfEPS3_EEvT1_iilPiilS6_bb
		.amdhsa_group_segment_fixed_size 1028
		.amdhsa_private_segment_fixed_size 528
		.amdhsa_kernarg_size 60
		.amdhsa_user_sgpr_count 6
		.amdhsa_user_sgpr_private_segment_buffer 1
		.amdhsa_user_sgpr_dispatch_ptr 0
		.amdhsa_user_sgpr_queue_ptr 0
		.amdhsa_user_sgpr_kernarg_segment_ptr 1
		.amdhsa_user_sgpr_dispatch_id 0
		.amdhsa_user_sgpr_flat_scratch_init 0
		.amdhsa_user_sgpr_private_segment_size 0
		.amdhsa_wavefront_size32 1
		.amdhsa_uses_dynamic_stack 0
		.amdhsa_system_sgpr_private_segment_wavefront_offset 1
		.amdhsa_system_sgpr_workgroup_id_x 1
		.amdhsa_system_sgpr_workgroup_id_y 0
		.amdhsa_system_sgpr_workgroup_id_z 0
		.amdhsa_system_sgpr_workgroup_info 0
		.amdhsa_system_vgpr_workitem_id 0
		.amdhsa_next_free_vgpr 253
		.amdhsa_next_free_sgpr 23
		.amdhsa_reserve_vcc 1
		.amdhsa_reserve_flat_scratch 0
		.amdhsa_float_round_mode_32 0
		.amdhsa_float_round_mode_16_64 0
		.amdhsa_float_denorm_mode_32 3
		.amdhsa_float_denorm_mode_16_64 3
		.amdhsa_dx10_clamp 1
		.amdhsa_ieee_mode 1
		.amdhsa_fp16_overflow 0
		.amdhsa_workgroup_processor_mode 1
		.amdhsa_memory_ordered 1
		.amdhsa_forward_progress 1
		.amdhsa_shared_vgpr_count 0
		.amdhsa_exception_fp_ieee_invalid_op 0
		.amdhsa_exception_fp_denorm_src 0
		.amdhsa_exception_fp_ieee_div_zero 0
		.amdhsa_exception_fp_ieee_overflow 0
		.amdhsa_exception_fp_ieee_underflow 0
		.amdhsa_exception_fp_ieee_inexact 0
		.amdhsa_exception_int_div_zero 0
	.end_amdhsa_kernel
	.section	.text._ZN9rocsolver6v33100L18getri_kernel_smallILi64E19rocblas_complex_numIfEPS3_EEvT1_iilPiilS6_bb,"axG",@progbits,_ZN9rocsolver6v33100L18getri_kernel_smallILi64E19rocblas_complex_numIfEPS3_EEvT1_iilPiilS6_bb,comdat
.Lfunc_end63:
	.size	_ZN9rocsolver6v33100L18getri_kernel_smallILi64E19rocblas_complex_numIfEPS3_EEvT1_iilPiilS6_bb, .Lfunc_end63-_ZN9rocsolver6v33100L18getri_kernel_smallILi64E19rocblas_complex_numIfEPS3_EEvT1_iilPiilS6_bb
                                        ; -- End function
	.set _ZN9rocsolver6v33100L18getri_kernel_smallILi64E19rocblas_complex_numIfEPS3_EEvT1_iilPiilS6_bb.num_vgpr, 253
	.set _ZN9rocsolver6v33100L18getri_kernel_smallILi64E19rocblas_complex_numIfEPS3_EEvT1_iilPiilS6_bb.num_agpr, 0
	.set _ZN9rocsolver6v33100L18getri_kernel_smallILi64E19rocblas_complex_numIfEPS3_EEvT1_iilPiilS6_bb.numbered_sgpr, 23
	.set _ZN9rocsolver6v33100L18getri_kernel_smallILi64E19rocblas_complex_numIfEPS3_EEvT1_iilPiilS6_bb.num_named_barrier, 0
	.set _ZN9rocsolver6v33100L18getri_kernel_smallILi64E19rocblas_complex_numIfEPS3_EEvT1_iilPiilS6_bb.private_seg_size, 528
	.set _ZN9rocsolver6v33100L18getri_kernel_smallILi64E19rocblas_complex_numIfEPS3_EEvT1_iilPiilS6_bb.uses_vcc, 1
	.set _ZN9rocsolver6v33100L18getri_kernel_smallILi64E19rocblas_complex_numIfEPS3_EEvT1_iilPiilS6_bb.uses_flat_scratch, 0
	.set _ZN9rocsolver6v33100L18getri_kernel_smallILi64E19rocblas_complex_numIfEPS3_EEvT1_iilPiilS6_bb.has_dyn_sized_stack, 0
	.set _ZN9rocsolver6v33100L18getri_kernel_smallILi64E19rocblas_complex_numIfEPS3_EEvT1_iilPiilS6_bb.has_recursion, 0
	.set _ZN9rocsolver6v33100L18getri_kernel_smallILi64E19rocblas_complex_numIfEPS3_EEvT1_iilPiilS6_bb.has_indirect_call, 0
	.section	.AMDGPU.csdata,"",@progbits
; Kernel info:
; codeLenInByte = 146936
; TotalNumSgprs: 25
; NumVgprs: 253
; ScratchSize: 528
; MemoryBound: 0
; FloatMode: 240
; IeeeMode: 1
; LDSByteSize: 1028 bytes/workgroup (compile time only)
; SGPRBlocks: 0
; VGPRBlocks: 31
; NumSGPRsForWavesPerEU: 25
; NumVGPRsForWavesPerEU: 253
; Occupancy: 4
; WaveLimiterHint : 1
; COMPUTE_PGM_RSRC2:SCRATCH_EN: 1
; COMPUTE_PGM_RSRC2:USER_SGPR: 6
; COMPUTE_PGM_RSRC2:TRAP_HANDLER: 0
; COMPUTE_PGM_RSRC2:TGID_X_EN: 1
; COMPUTE_PGM_RSRC2:TGID_Y_EN: 0
; COMPUTE_PGM_RSRC2:TGID_Z_EN: 0
; COMPUTE_PGM_RSRC2:TIDIG_COMP_CNT: 0
	.section	.text._ZN9rocsolver6v33100L18getri_kernel_smallILi1E19rocblas_complex_numIfEPKPS3_EEvT1_iilPiilS8_bb,"axG",@progbits,_ZN9rocsolver6v33100L18getri_kernel_smallILi1E19rocblas_complex_numIfEPKPS3_EEvT1_iilPiilS8_bb,comdat
	.globl	_ZN9rocsolver6v33100L18getri_kernel_smallILi1E19rocblas_complex_numIfEPKPS3_EEvT1_iilPiilS8_bb ; -- Begin function _ZN9rocsolver6v33100L18getri_kernel_smallILi1E19rocblas_complex_numIfEPKPS3_EEvT1_iilPiilS8_bb
	.p2align	8
	.type	_ZN9rocsolver6v33100L18getri_kernel_smallILi1E19rocblas_complex_numIfEPKPS3_EEvT1_iilPiilS8_bb,@function
_ZN9rocsolver6v33100L18getri_kernel_smallILi1E19rocblas_complex_numIfEPKPS3_EEvT1_iilPiilS8_bb: ; @_ZN9rocsolver6v33100L18getri_kernel_smallILi1E19rocblas_complex_numIfEPKPS3_EEvT1_iilPiilS8_bb
; %bb.0:
	s_mov_b32 s1, 0
	s_mov_b32 s0, exec_lo
	v_cmpx_eq_u32_e32 0, v0
	s_cbranch_execz .LBB64_16
; %bb.1:
	s_clause 0x3
	s_load_dword s2, s[4:5], 0x8
	s_load_dword s0, s[4:5], 0x38
	s_load_dwordx2 s[8:9], s[4:5], 0x0
	s_load_dwordx2 s[4:5], s[4:5], 0x30
	s_waitcnt lgkmcnt(0)
	s_ashr_i32 s3, s2, 31
	s_bitcmp1_b32 s0, 0
	s_cselect_b32 s0, -1, 0
	s_ashr_i32 s7, s6, 31
	s_lshl_b64 s[10:11], s[6:7], 3
	s_add_u32 s8, s8, s10
	s_addc_u32 s9, s9, s11
	s_lshl_b64 s[2:3], s[2:3], 3
	s_load_dwordx2 s[8:9], s[8:9], 0x0
	s_waitcnt lgkmcnt(0)
	s_add_u32 s2, s8, s2
	s_addc_u32 s3, s9, s3
	v_mov_b32_e32 v0, s2
	v_mov_b32_e32 v1, s3
	s_and_b32 vcc_lo, exec_lo, s0
	s_mov_b32 s0, -1
	flat_load_dwordx2 v[0:1], v[0:1]
	s_cbranch_vccnz .LBB64_3
; %bb.2:
	s_lshl_b64 s[0:1], s[6:7], 2
	s_add_u32 s0, s4, s0
	s_addc_u32 s1, s5, s1
	s_load_dword s0, s[0:1], 0x0
	s_waitcnt lgkmcnt(0)
	s_cmp_eq_u32 s0, 0
	s_mov_b32 s0, 0
	s_cselect_b32 s1, -1, 0
.LBB64_3:
	s_andn2_b32 vcc_lo, exec_lo, s0
	s_cbranch_vccnz .LBB64_14
; %bb.4:
	s_waitcnt vmcnt(0) lgkmcnt(0)
	v_cmp_eq_f32_e32 vcc_lo, 0, v0
	v_cmp_eq_f32_e64 s0, 0, v1
	v_mov_b32_e32 v2, 0
	s_and_b32 s0, vcc_lo, s0
	ds_write_b32 v2, v2
	s_waitcnt lgkmcnt(0)
	s_barrier
	buffer_gl0_inv
	s_and_saveexec_b32 s8, s0
	s_cbranch_execz .LBB64_8
; %bb.5:
	ds_read_b32 v3, v2
	s_waitcnt lgkmcnt(0)
	v_cmp_ne_u32_e32 vcc_lo, 0, v3
	v_cmp_gt_i32_e64 s0, 2, v3
	s_and_b32 s0, vcc_lo, s0
	s_and_b32 vcc_lo, exec_lo, s0
	s_cbranch_vccnz .LBB64_8
; %bb.6:
	v_mov_b32_e32 v4, 1
	v_mov_b32_e32 v5, 0
	s_mov_b32 s9, 0
.LBB64_7:                               ; =>This Inner Loop Header: Depth=1
	ds_cmpst_rtn_b32 v3, v5, v3, v4
	s_waitcnt lgkmcnt(0)
	v_cmp_ne_u32_e32 vcc_lo, 0, v3
	v_cmp_gt_i32_e64 s0, 2, v3
	s_and_b32 s0, vcc_lo, s0
	s_and_b32 s0, exec_lo, s0
	s_or_b32 s9, s0, s9
	s_andn2_b32 exec_lo, exec_lo, s9
	s_cbranch_execnz .LBB64_7
.LBB64_8:
	s_or_b32 exec_lo, exec_lo, s8
	s_barrier
	buffer_gl0_inv
	ds_read_b32 v3, v2
	s_lshl_b64 s[6:7], s[6:7], 2
	s_add_u32 s4, s4, s6
	s_addc_u32 s5, s5, s7
	s_waitcnt lgkmcnt(0)
	v_cmp_ne_u32_e32 vcc_lo, 0, v3
	global_store_dword v2, v3, s[4:5]
	s_cbranch_vccnz .LBB64_14
; %bb.9:
	v_cmp_ngt_f32_e64 s0, |v0|, |v1|
	s_and_saveexec_b32 s1, s0
	s_xor_b32 s0, exec_lo, s1
	s_cbranch_execz .LBB64_11
; %bb.10:
	v_div_scale_f32 v2, null, v1, v1, v0
	v_div_scale_f32 v5, vcc_lo, v0, v1, v0
	v_rcp_f32_e32 v3, v2
	v_fma_f32 v4, -v2, v3, 1.0
	v_fmac_f32_e32 v3, v4, v3
	v_mul_f32_e32 v4, v5, v3
	v_fma_f32 v6, -v2, v4, v5
	v_fmac_f32_e32 v4, v6, v3
	v_fma_f32 v2, -v2, v4, v5
	v_div_fmas_f32 v2, v2, v3, v4
	v_div_fixup_f32 v2, v2, v1, v0
	v_fmac_f32_e32 v1, v0, v2
	v_div_scale_f32 v0, null, v1, v1, 1.0
	v_div_scale_f32 v5, vcc_lo, 1.0, v1, 1.0
	v_rcp_f32_e32 v3, v0
	v_fma_f32 v4, -v0, v3, 1.0
	v_fmac_f32_e32 v3, v4, v3
	v_mul_f32_e32 v4, v5, v3
	v_fma_f32 v6, -v0, v4, v5
	v_fmac_f32_e32 v4, v6, v3
	v_fma_f32 v0, -v0, v4, v5
	v_div_fmas_f32 v0, v0, v3, v4
	v_div_fixup_f32 v1, v0, v1, 1.0
	v_mul_f32_e32 v0, v2, v1
	v_xor_b32_e32 v1, 0x80000000, v1
.LBB64_11:
	s_andn2_saveexec_b32 s0, s0
	s_cbranch_execz .LBB64_13
; %bb.12:
	v_div_scale_f32 v2, null, v0, v0, v1
	v_div_scale_f32 v5, vcc_lo, v1, v0, v1
	v_rcp_f32_e32 v3, v2
	v_fma_f32 v4, -v2, v3, 1.0
	v_fmac_f32_e32 v3, v4, v3
	v_mul_f32_e32 v4, v5, v3
	v_fma_f32 v6, -v2, v4, v5
	v_fmac_f32_e32 v4, v6, v3
	v_fma_f32 v2, -v2, v4, v5
	v_div_fmas_f32 v2, v2, v3, v4
	v_div_fixup_f32 v2, v2, v0, v1
	v_fmac_f32_e32 v0, v1, v2
	v_div_scale_f32 v1, null, v0, v0, 1.0
	v_rcp_f32_e32 v3, v1
	v_fma_f32 v4, -v1, v3, 1.0
	v_fmac_f32_e32 v3, v4, v3
	v_div_scale_f32 v4, vcc_lo, 1.0, v0, 1.0
	v_mul_f32_e32 v5, v4, v3
	v_fma_f32 v6, -v1, v5, v4
	v_fmac_f32_e32 v5, v6, v3
	v_fma_f32 v1, -v1, v5, v4
	v_div_fmas_f32 v1, v1, v3, v5
	v_div_fixup_f32 v0, v1, v0, 1.0
	v_mul_f32_e64 v1, v2, -v0
.LBB64_13:
	s_or_b32 exec_lo, exec_lo, s0
	s_mov_b32 s1, -1
.LBB64_14:
	s_and_b32 vcc_lo, exec_lo, s1
	s_cbranch_vccz .LBB64_16
; %bb.15:
	v_mov_b32_e32 v2, s2
	v_mov_b32_e32 v3, s3
	s_waitcnt vmcnt(0) lgkmcnt(0)
	flat_store_dwordx2 v[2:3], v[0:1]
.LBB64_16:
	s_endpgm
	.section	.rodata,"a",@progbits
	.p2align	6, 0x0
	.amdhsa_kernel _ZN9rocsolver6v33100L18getri_kernel_smallILi1E19rocblas_complex_numIfEPKPS3_EEvT1_iilPiilS8_bb
		.amdhsa_group_segment_fixed_size 4
		.amdhsa_private_segment_fixed_size 0
		.amdhsa_kernarg_size 60
		.amdhsa_user_sgpr_count 6
		.amdhsa_user_sgpr_private_segment_buffer 1
		.amdhsa_user_sgpr_dispatch_ptr 0
		.amdhsa_user_sgpr_queue_ptr 0
		.amdhsa_user_sgpr_kernarg_segment_ptr 1
		.amdhsa_user_sgpr_dispatch_id 0
		.amdhsa_user_sgpr_flat_scratch_init 0
		.amdhsa_user_sgpr_private_segment_size 0
		.amdhsa_wavefront_size32 1
		.amdhsa_uses_dynamic_stack 0
		.amdhsa_system_sgpr_private_segment_wavefront_offset 0
		.amdhsa_system_sgpr_workgroup_id_x 1
		.amdhsa_system_sgpr_workgroup_id_y 0
		.amdhsa_system_sgpr_workgroup_id_z 0
		.amdhsa_system_sgpr_workgroup_info 0
		.amdhsa_system_vgpr_workitem_id 0
		.amdhsa_next_free_vgpr 7
		.amdhsa_next_free_sgpr 12
		.amdhsa_reserve_vcc 1
		.amdhsa_reserve_flat_scratch 0
		.amdhsa_float_round_mode_32 0
		.amdhsa_float_round_mode_16_64 0
		.amdhsa_float_denorm_mode_32 3
		.amdhsa_float_denorm_mode_16_64 3
		.amdhsa_dx10_clamp 1
		.amdhsa_ieee_mode 1
		.amdhsa_fp16_overflow 0
		.amdhsa_workgroup_processor_mode 1
		.amdhsa_memory_ordered 1
		.amdhsa_forward_progress 1
		.amdhsa_shared_vgpr_count 0
		.amdhsa_exception_fp_ieee_invalid_op 0
		.amdhsa_exception_fp_denorm_src 0
		.amdhsa_exception_fp_ieee_div_zero 0
		.amdhsa_exception_fp_ieee_overflow 0
		.amdhsa_exception_fp_ieee_underflow 0
		.amdhsa_exception_fp_ieee_inexact 0
		.amdhsa_exception_int_div_zero 0
	.end_amdhsa_kernel
	.section	.text._ZN9rocsolver6v33100L18getri_kernel_smallILi1E19rocblas_complex_numIfEPKPS3_EEvT1_iilPiilS8_bb,"axG",@progbits,_ZN9rocsolver6v33100L18getri_kernel_smallILi1E19rocblas_complex_numIfEPKPS3_EEvT1_iilPiilS8_bb,comdat
.Lfunc_end64:
	.size	_ZN9rocsolver6v33100L18getri_kernel_smallILi1E19rocblas_complex_numIfEPKPS3_EEvT1_iilPiilS8_bb, .Lfunc_end64-_ZN9rocsolver6v33100L18getri_kernel_smallILi1E19rocblas_complex_numIfEPKPS3_EEvT1_iilPiilS8_bb
                                        ; -- End function
	.set _ZN9rocsolver6v33100L18getri_kernel_smallILi1E19rocblas_complex_numIfEPKPS3_EEvT1_iilPiilS8_bb.num_vgpr, 7
	.set _ZN9rocsolver6v33100L18getri_kernel_smallILi1E19rocblas_complex_numIfEPKPS3_EEvT1_iilPiilS8_bb.num_agpr, 0
	.set _ZN9rocsolver6v33100L18getri_kernel_smallILi1E19rocblas_complex_numIfEPKPS3_EEvT1_iilPiilS8_bb.numbered_sgpr, 12
	.set _ZN9rocsolver6v33100L18getri_kernel_smallILi1E19rocblas_complex_numIfEPKPS3_EEvT1_iilPiilS8_bb.num_named_barrier, 0
	.set _ZN9rocsolver6v33100L18getri_kernel_smallILi1E19rocblas_complex_numIfEPKPS3_EEvT1_iilPiilS8_bb.private_seg_size, 0
	.set _ZN9rocsolver6v33100L18getri_kernel_smallILi1E19rocblas_complex_numIfEPKPS3_EEvT1_iilPiilS8_bb.uses_vcc, 1
	.set _ZN9rocsolver6v33100L18getri_kernel_smallILi1E19rocblas_complex_numIfEPKPS3_EEvT1_iilPiilS8_bb.uses_flat_scratch, 0
	.set _ZN9rocsolver6v33100L18getri_kernel_smallILi1E19rocblas_complex_numIfEPKPS3_EEvT1_iilPiilS8_bb.has_dyn_sized_stack, 0
	.set _ZN9rocsolver6v33100L18getri_kernel_smallILi1E19rocblas_complex_numIfEPKPS3_EEvT1_iilPiilS8_bb.has_recursion, 0
	.set _ZN9rocsolver6v33100L18getri_kernel_smallILi1E19rocblas_complex_numIfEPKPS3_EEvT1_iilPiilS8_bb.has_indirect_call, 0
	.section	.AMDGPU.csdata,"",@progbits
; Kernel info:
; codeLenInByte = 768
; TotalNumSgprs: 14
; NumVgprs: 7
; ScratchSize: 0
; MemoryBound: 0
; FloatMode: 240
; IeeeMode: 1
; LDSByteSize: 4 bytes/workgroup (compile time only)
; SGPRBlocks: 0
; VGPRBlocks: 0
; NumSGPRsForWavesPerEU: 14
; NumVGPRsForWavesPerEU: 7
; Occupancy: 16
; WaveLimiterHint : 1
; COMPUTE_PGM_RSRC2:SCRATCH_EN: 0
; COMPUTE_PGM_RSRC2:USER_SGPR: 6
; COMPUTE_PGM_RSRC2:TRAP_HANDLER: 0
; COMPUTE_PGM_RSRC2:TGID_X_EN: 1
; COMPUTE_PGM_RSRC2:TGID_Y_EN: 0
; COMPUTE_PGM_RSRC2:TGID_Z_EN: 0
; COMPUTE_PGM_RSRC2:TIDIG_COMP_CNT: 0
	.section	.text._ZN9rocsolver6v33100L18getri_kernel_smallILi2E19rocblas_complex_numIfEPKPS3_EEvT1_iilPiilS8_bb,"axG",@progbits,_ZN9rocsolver6v33100L18getri_kernel_smallILi2E19rocblas_complex_numIfEPKPS3_EEvT1_iilPiilS8_bb,comdat
	.globl	_ZN9rocsolver6v33100L18getri_kernel_smallILi2E19rocblas_complex_numIfEPKPS3_EEvT1_iilPiilS8_bb ; -- Begin function _ZN9rocsolver6v33100L18getri_kernel_smallILi2E19rocblas_complex_numIfEPKPS3_EEvT1_iilPiilS8_bb
	.p2align	8
	.type	_ZN9rocsolver6v33100L18getri_kernel_smallILi2E19rocblas_complex_numIfEPKPS3_EEvT1_iilPiilS8_bb,@function
_ZN9rocsolver6v33100L18getri_kernel_smallILi2E19rocblas_complex_numIfEPKPS3_EEvT1_iilPiilS8_bb: ; @_ZN9rocsolver6v33100L18getri_kernel_smallILi2E19rocblas_complex_numIfEPKPS3_EEvT1_iilPiilS8_bb
; %bb.0:
	s_add_u32 s0, s0, s7
	s_addc_u32 s1, s1, 0
	s_mov_b32 s7, exec_lo
	v_cmpx_gt_u32_e32 2, v0
	s_cbranch_execz .LBB65_22
; %bb.1:
	s_clause 0x2
	s_load_dword s17, s[4:5], 0x38
	s_load_dwordx2 s[12:13], s[4:5], 0x0
	s_load_dwordx4 s[8:11], s[4:5], 0x28
	s_waitcnt lgkmcnt(0)
	s_bitcmp1_b32 s17, 8
	s_cselect_b32 s16, -1, 0
	s_ashr_i32 s7, s6, 31
	s_lshl_b64 s[14:15], s[6:7], 3
	s_add_u32 s12, s12, s14
	s_addc_u32 s13, s13, s15
	s_load_dwordx2 s[14:15], s[12:13], 0x0
	s_bfe_u32 s12, s17, 0x10008
	s_cmp_eq_u32 s12, 0
                                        ; implicit-def: $sgpr12_sgpr13
	s_cbranch_scc1 .LBB65_3
; %bb.2:
	s_clause 0x1
	s_load_dword s12, s[4:5], 0x20
	s_load_dwordx2 s[18:19], s[4:5], 0x18
	s_mul_i32 s13, s8, s7
	s_mul_hi_u32 s17, s8, s6
	s_mul_i32 s9, s9, s6
	s_add_i32 s13, s17, s13
	s_mul_i32 s8, s8, s6
	s_add_i32 s9, s13, s9
	s_lshl_b64 s[8:9], s[8:9], 2
	s_waitcnt lgkmcnt(0)
	s_ashr_i32 s13, s12, 31
	s_add_u32 s17, s18, s8
	s_addc_u32 s18, s19, s9
	s_lshl_b64 s[8:9], s[12:13], 2
	s_add_u32 s12, s17, s8
	s_addc_u32 s13, s18, s9
.LBB65_3:
	s_clause 0x1
	s_load_dwordx2 s[8:9], s[4:5], 0x8
	s_load_dword s17, s[4:5], 0x38
	v_lshlrev_b32_e32 v7, 3, v0
	s_waitcnt lgkmcnt(0)
	s_ashr_i32 s5, s8, 31
	s_mov_b32 s4, s8
	s_mov_b32 s8, s9
	s_lshl_b64 s[4:5], s[4:5], 3
	s_add_u32 s4, s14, s4
	s_addc_u32 s5, s15, s5
	v_add_co_u32 v1, s4, s4, v7
	s_ashr_i32 s9, s9, 31
	v_add_co_ci_u32_e64 v2, null, s5, 0, s4
	s_lshl_b64 s[4:5], s[8:9], 3
	s_bitcmp0_b32 s17, 0
	v_add_co_u32 v3, vcc_lo, v1, s4
	v_add_co_ci_u32_e64 v4, null, s5, v2, vcc_lo
	s_clause 0x1
	flat_load_dwordx2 v[5:6], v[1:2]
	flat_load_dwordx2 v[8:9], v[3:4]
	s_mov_b32 s5, -1
	s_waitcnt vmcnt(1) lgkmcnt(1)
	buffer_store_dword v6, off, s[0:3], 0 offset:4
	buffer_store_dword v5, off, s[0:3], 0
	s_waitcnt vmcnt(0) lgkmcnt(0)
	buffer_store_dword v9, off, s[0:3], 0 offset:12
	buffer_store_dword v8, off, s[0:3], 0 offset:8
	s_cbranch_scc1 .LBB65_20
; %bb.4:
	v_cmp_eq_u32_e64 s4, 0, v0
	s_and_saveexec_b32 s5, s4
; %bb.5:
	v_mov_b32_e32 v5, 0
	ds_write_b32 v5, v5 offset:32
; %bb.6:
	s_or_b32 exec_lo, exec_lo, s5
	v_lshl_add_u32 v6, v0, 3, 0
	s_waitcnt lgkmcnt(0)
	s_waitcnt_vscnt null, 0x0
	s_barrier
	buffer_gl0_inv
	s_clause 0x1
	buffer_load_dword v5, v6, s[0:3], 0 offen
	buffer_load_dword v8, v6, s[0:3], 0 offen offset:4
	s_waitcnt vmcnt(1)
	v_cmp_eq_f32_e32 vcc_lo, 0, v5
	s_waitcnt vmcnt(0)
	v_cmp_eq_f32_e64 s5, 0, v8
	s_and_b32 s5, vcc_lo, s5
	s_and_saveexec_b32 s8, s5
	s_cbranch_execz .LBB65_10
; %bb.7:
	v_mov_b32_e32 v5, 0
	s_mov_b32 s9, 0
	ds_read_b32 v8, v5 offset:32
	s_waitcnt lgkmcnt(0)
	v_readfirstlane_b32 s5, v8
	v_add_nc_u32_e32 v8, 1, v0
	s_cmp_eq_u32 s5, 0
	v_cmp_gt_i32_e32 vcc_lo, s5, v8
	s_cselect_b32 s14, -1, 0
	s_or_b32 s14, s14, vcc_lo
	s_and_b32 exec_lo, exec_lo, s14
	s_cbranch_execz .LBB65_10
; %bb.8:
	v_mov_b32_e32 v9, s5
.LBB65_9:                               ; =>This Inner Loop Header: Depth=1
	ds_cmpst_rtn_b32 v9, v5, v9, v8 offset:32
	s_waitcnt lgkmcnt(0)
	v_cmp_ne_u32_e32 vcc_lo, 0, v9
	v_cmp_le_i32_e64 s5, v9, v8
	s_and_b32 s5, vcc_lo, s5
	s_and_b32 s5, exec_lo, s5
	s_or_b32 s9, s5, s9
	s_andn2_b32 exec_lo, exec_lo, s9
	s_cbranch_execnz .LBB65_9
.LBB65_10:
	s_or_b32 exec_lo, exec_lo, s8
	v_mov_b32_e32 v5, 0
	s_barrier
	buffer_gl0_inv
	ds_read_b32 v8, v5 offset:32
	s_and_saveexec_b32 s5, s4
	s_cbranch_execz .LBB65_12
; %bb.11:
	s_lshl_b64 s[8:9], s[6:7], 2
	s_add_u32 s8, s10, s8
	s_addc_u32 s9, s11, s9
	s_waitcnt lgkmcnt(0)
	global_store_dword v5, v8, s[8:9]
.LBB65_12:
	s_or_b32 exec_lo, exec_lo, s5
	s_waitcnt lgkmcnt(0)
	v_cmp_ne_u32_e32 vcc_lo, 0, v8
	s_mov_b32 s5, 0
	s_cbranch_vccnz .LBB65_20
; %bb.13:
	s_clause 0x1
	buffer_load_dword v8, v6, s[0:3], 0 offen
	buffer_load_dword v9, v6, s[0:3], 0 offen offset:4
                                        ; implicit-def: $vgpr11
                                        ; implicit-def: $vgpr10
                                        ; implicit-def: $vgpr5
	s_waitcnt vmcnt(0)
	v_cmp_ngt_f32_e64 s5, |v8|, |v9|
	s_and_saveexec_b32 s8, s5
	s_xor_b32 s5, exec_lo, s8
	s_cbranch_execz .LBB65_15
; %bb.14:
	v_div_scale_f32 v5, null, v9, v9, v8
	v_div_scale_f32 v12, vcc_lo, v8, v9, v8
	v_rcp_f32_e32 v10, v5
	v_fma_f32 v11, -v5, v10, 1.0
	v_fmac_f32_e32 v10, v11, v10
	v_mul_f32_e32 v11, v12, v10
	v_fma_f32 v13, -v5, v11, v12
	v_fmac_f32_e32 v11, v13, v10
	v_fma_f32 v5, -v5, v11, v12
	v_div_fmas_f32 v5, v5, v10, v11
	v_div_fixup_f32 v5, v5, v9, v8
	v_fmac_f32_e32 v9, v8, v5
	v_div_scale_f32 v8, null, v9, v9, 1.0
	v_rcp_f32_e32 v10, v8
	v_fma_f32 v11, -v8, v10, 1.0
	v_fmac_f32_e32 v10, v11, v10
	v_div_scale_f32 v11, vcc_lo, 1.0, v9, 1.0
	v_mul_f32_e32 v12, v11, v10
	v_fma_f32 v13, -v8, v12, v11
	v_fmac_f32_e32 v12, v13, v10
	v_fma_f32 v8, -v8, v12, v11
	v_div_fmas_f32 v8, v8, v10, v12
	v_div_fixup_f32 v8, v8, v9, 1.0
                                        ; implicit-def: $vgpr9
	v_mul_f32_e32 v11, v5, v8
	v_xor_b32_e32 v10, 0x80000000, v8
                                        ; implicit-def: $vgpr8
	v_xor_b32_e32 v5, 0x80000000, v11
.LBB65_15:
	s_andn2_saveexec_b32 s5, s5
	s_cbranch_execz .LBB65_17
; %bb.16:
	v_div_scale_f32 v5, null, v8, v8, v9
	v_div_scale_f32 v12, vcc_lo, v9, v8, v9
	v_rcp_f32_e32 v10, v5
	v_fma_f32 v11, -v5, v10, 1.0
	v_fmac_f32_e32 v10, v11, v10
	v_mul_f32_e32 v11, v12, v10
	v_fma_f32 v13, -v5, v11, v12
	v_fmac_f32_e32 v11, v13, v10
	v_fma_f32 v5, -v5, v11, v12
	v_div_fmas_f32 v5, v5, v10, v11
	v_div_fixup_f32 v10, v5, v8, v9
	v_fmac_f32_e32 v8, v9, v10
	v_div_scale_f32 v5, null, v8, v8, 1.0
	v_div_scale_f32 v12, vcc_lo, 1.0, v8, 1.0
	v_rcp_f32_e32 v9, v5
	v_fma_f32 v11, -v5, v9, 1.0
	v_fmac_f32_e32 v9, v11, v9
	v_mul_f32_e32 v11, v12, v9
	v_fma_f32 v13, -v5, v11, v12
	v_fmac_f32_e32 v11, v13, v9
	v_fma_f32 v5, -v5, v11, v12
	v_div_fmas_f32 v5, v5, v9, v11
	v_div_fixup_f32 v11, v5, v8, 1.0
	v_xor_b32_e32 v5, 0x80000000, v11
	v_mul_f32_e64 v10, v10, -v11
.LBB65_17:
	s_or_b32 exec_lo, exec_lo, s5
	buffer_store_dword v11, v6, s[0:3], 0 offen
	buffer_store_dword v10, v6, s[0:3], 0 offen offset:4
	s_clause 0x1
	buffer_load_dword v9, off, s[0:3], 0 offset:12
	buffer_load_dword v8, off, s[0:3], 0 offset:8
	v_xor_b32_e32 v6, 0x80000000, v10
	s_waitcnt vmcnt(0)
	ds_write2_b64 v7, v[5:6], v[8:9] offset1:2
	s_waitcnt lgkmcnt(0)
	s_waitcnt_vscnt null, 0x0
	s_barrier
	buffer_gl0_inv
	s_and_saveexec_b32 s5, s4
	s_cbranch_execz .LBB65_19
; %bb.18:
	s_clause 0x1
	buffer_load_dword v9, off, s[0:3], 0 offset:4
	buffer_load_dword v10, off, s[0:3], 0
	v_mov_b32_e32 v5, 0
	ds_read2_b64 v[5:8], v5 offset0:1 offset1:2
	s_waitcnt vmcnt(1) lgkmcnt(0)
	v_mul_f32_e32 v11, v7, v9
	v_mul_f32_e32 v9, v8, v9
	s_waitcnt vmcnt(0)
	v_fmac_f32_e32 v11, v8, v10
	v_fma_f32 v7, v7, v10, -v9
	v_add_f32_e32 v8, 0, v11
	v_add_f32_e32 v7, 0, v7
	v_mul_f32_e32 v9, v8, v6
	v_mul_f32_e32 v6, v7, v6
	v_fma_f32 v7, v7, v5, -v9
	v_fmac_f32_e32 v6, v8, v5
	buffer_store_dword v7, off, s[0:3], 0 offset:8
	buffer_store_dword v6, off, s[0:3], 0 offset:12
.LBB65_19:
	s_or_b32 exec_lo, exec_lo, s5
	s_mov_b32 s5, -1
	s_waitcnt_vscnt null, 0x0
	s_barrier
	buffer_gl0_inv
.LBB65_20:
	s_and_b32 vcc_lo, exec_lo, s5
	s_cbranch_vccz .LBB65_22
; %bb.21:
	s_lshl_b64 s[4:5], s[6:7], 2
	v_mov_b32_e32 v5, 0
	s_add_u32 s4, s10, s4
	s_addc_u32 s5, s11, s5
	global_load_dword v5, v5, s[4:5]
	s_waitcnt vmcnt(0)
	v_cmp_ne_u32_e32 vcc_lo, 0, v5
	s_cbranch_vccz .LBB65_23
.LBB65_22:
	s_endpgm
.LBB65_23:
	s_mov_b32 s4, exec_lo
	v_cmpx_eq_u32_e32 1, v0
	s_cbranch_execz .LBB65_25
; %bb.24:
	s_clause 0x1
	buffer_load_dword v5, off, s[0:3], 0
	buffer_load_dword v6, off, s[0:3], 0 offset:4
	v_mov_b32_e32 v0, 0
	buffer_store_dword v0, off, s[0:3], 0
	buffer_store_dword v0, off, s[0:3], 0 offset:4
	s_waitcnt vmcnt(0)
	ds_write_b64 v0, v[5:6] offset:24
.LBB65_25:
	s_or_b32 exec_lo, exec_lo, s4
	s_waitcnt lgkmcnt(0)
	s_waitcnt_vscnt null, 0x0
	s_barrier
	buffer_gl0_inv
	s_clause 0x3
	buffer_load_dword v6, off, s[0:3], 0 offset:12
	buffer_load_dword v5, off, s[0:3], 0 offset:8
	buffer_load_dword v9, off, s[0:3], 0
	buffer_load_dword v10, off, s[0:3], 0 offset:4
	v_mov_b32_e32 v0, 0
	s_and_b32 vcc_lo, exec_lo, s16
	ds_read_b64 v[7:8], v0 offset:24
	s_waitcnt vmcnt(3) lgkmcnt(0)
	v_mul_f32_e32 v11, v8, v6
	v_mul_f32_e32 v12, v7, v6
	s_waitcnt vmcnt(2)
	v_fma_f32 v7, v7, v5, -v11
	v_fmac_f32_e32 v12, v8, v5
	v_add_f32_e32 v7, 0, v7
	v_add_f32_e32 v8, 0, v12
	s_waitcnt vmcnt(1)
	v_sub_f32_e32 v7, v9, v7
	s_waitcnt vmcnt(0)
	v_sub_f32_e32 v8, v10, v8
	buffer_store_dword v7, off, s[0:3], 0
	buffer_store_dword v8, off, s[0:3], 0 offset:4
	s_cbranch_vccz .LBB65_28
; %bb.26:
	global_load_dword v0, v0, s[12:13]
	s_waitcnt vmcnt(0)
	v_add_nc_u32_e32 v0, -1, v0
	v_cmp_ne_u32_e32 vcc_lo, 0, v0
	s_cbranch_vccz .LBB65_28
; %bb.27:
	v_lshlrev_b32_e32 v0, 3, v0
	s_clause 0x3
	buffer_load_dword v5, v0, s[0:3], 0 offen
	buffer_load_dword v6, v0, s[0:3], 0 offen offset:4
	buffer_load_dword v7, off, s[0:3], 0 offset:4
	buffer_load_dword v8, off, s[0:3], 0
	s_waitcnt vmcnt(3)
	buffer_store_dword v5, off, s[0:3], 0
	s_waitcnt vmcnt(2)
	buffer_store_dword v6, off, s[0:3], 0 offset:4
	s_waitcnt vmcnt(1)
	buffer_store_dword v7, v0, s[0:3], 0 offen offset:4
	s_waitcnt vmcnt(0)
	buffer_store_dword v8, v0, s[0:3], 0 offen
	s_clause 0x1
	buffer_load_dword v6, off, s[0:3], 0 offset:12
	buffer_load_dword v5, off, s[0:3], 0 offset:8
.LBB65_28:
	s_clause 0x1
	buffer_load_dword v7, off, s[0:3], 0
	buffer_load_dword v8, off, s[0:3], 0 offset:4
	s_waitcnt vmcnt(0)
	flat_store_dwordx2 v[1:2], v[7:8]
	flat_store_dwordx2 v[3:4], v[5:6]
	s_endpgm
	.section	.rodata,"a",@progbits
	.p2align	6, 0x0
	.amdhsa_kernel _ZN9rocsolver6v33100L18getri_kernel_smallILi2E19rocblas_complex_numIfEPKPS3_EEvT1_iilPiilS8_bb
		.amdhsa_group_segment_fixed_size 36
		.amdhsa_private_segment_fixed_size 32
		.amdhsa_kernarg_size 60
		.amdhsa_user_sgpr_count 6
		.amdhsa_user_sgpr_private_segment_buffer 1
		.amdhsa_user_sgpr_dispatch_ptr 0
		.amdhsa_user_sgpr_queue_ptr 0
		.amdhsa_user_sgpr_kernarg_segment_ptr 1
		.amdhsa_user_sgpr_dispatch_id 0
		.amdhsa_user_sgpr_flat_scratch_init 0
		.amdhsa_user_sgpr_private_segment_size 0
		.amdhsa_wavefront_size32 1
		.amdhsa_uses_dynamic_stack 0
		.amdhsa_system_sgpr_private_segment_wavefront_offset 1
		.amdhsa_system_sgpr_workgroup_id_x 1
		.amdhsa_system_sgpr_workgroup_id_y 0
		.amdhsa_system_sgpr_workgroup_id_z 0
		.amdhsa_system_sgpr_workgroup_info 0
		.amdhsa_system_vgpr_workitem_id 0
		.amdhsa_next_free_vgpr 14
		.amdhsa_next_free_sgpr 20
		.amdhsa_reserve_vcc 1
		.amdhsa_reserve_flat_scratch 1
		.amdhsa_float_round_mode_32 0
		.amdhsa_float_round_mode_16_64 0
		.amdhsa_float_denorm_mode_32 3
		.amdhsa_float_denorm_mode_16_64 3
		.amdhsa_dx10_clamp 1
		.amdhsa_ieee_mode 1
		.amdhsa_fp16_overflow 0
		.amdhsa_workgroup_processor_mode 1
		.amdhsa_memory_ordered 1
		.amdhsa_forward_progress 1
		.amdhsa_shared_vgpr_count 0
		.amdhsa_exception_fp_ieee_invalid_op 0
		.amdhsa_exception_fp_denorm_src 0
		.amdhsa_exception_fp_ieee_div_zero 0
		.amdhsa_exception_fp_ieee_overflow 0
		.amdhsa_exception_fp_ieee_underflow 0
		.amdhsa_exception_fp_ieee_inexact 0
		.amdhsa_exception_int_div_zero 0
	.end_amdhsa_kernel
	.section	.text._ZN9rocsolver6v33100L18getri_kernel_smallILi2E19rocblas_complex_numIfEPKPS3_EEvT1_iilPiilS8_bb,"axG",@progbits,_ZN9rocsolver6v33100L18getri_kernel_smallILi2E19rocblas_complex_numIfEPKPS3_EEvT1_iilPiilS8_bb,comdat
.Lfunc_end65:
	.size	_ZN9rocsolver6v33100L18getri_kernel_smallILi2E19rocblas_complex_numIfEPKPS3_EEvT1_iilPiilS8_bb, .Lfunc_end65-_ZN9rocsolver6v33100L18getri_kernel_smallILi2E19rocblas_complex_numIfEPKPS3_EEvT1_iilPiilS8_bb
                                        ; -- End function
	.set _ZN9rocsolver6v33100L18getri_kernel_smallILi2E19rocblas_complex_numIfEPKPS3_EEvT1_iilPiilS8_bb.num_vgpr, 14
	.set _ZN9rocsolver6v33100L18getri_kernel_smallILi2E19rocblas_complex_numIfEPKPS3_EEvT1_iilPiilS8_bb.num_agpr, 0
	.set _ZN9rocsolver6v33100L18getri_kernel_smallILi2E19rocblas_complex_numIfEPKPS3_EEvT1_iilPiilS8_bb.numbered_sgpr, 20
	.set _ZN9rocsolver6v33100L18getri_kernel_smallILi2E19rocblas_complex_numIfEPKPS3_EEvT1_iilPiilS8_bb.num_named_barrier, 0
	.set _ZN9rocsolver6v33100L18getri_kernel_smallILi2E19rocblas_complex_numIfEPKPS3_EEvT1_iilPiilS8_bb.private_seg_size, 32
	.set _ZN9rocsolver6v33100L18getri_kernel_smallILi2E19rocblas_complex_numIfEPKPS3_EEvT1_iilPiilS8_bb.uses_vcc, 1
	.set _ZN9rocsolver6v33100L18getri_kernel_smallILi2E19rocblas_complex_numIfEPKPS3_EEvT1_iilPiilS8_bb.uses_flat_scratch, 1
	.set _ZN9rocsolver6v33100L18getri_kernel_smallILi2E19rocblas_complex_numIfEPKPS3_EEvT1_iilPiilS8_bb.has_dyn_sized_stack, 0
	.set _ZN9rocsolver6v33100L18getri_kernel_smallILi2E19rocblas_complex_numIfEPKPS3_EEvT1_iilPiilS8_bb.has_recursion, 0
	.set _ZN9rocsolver6v33100L18getri_kernel_smallILi2E19rocblas_complex_numIfEPKPS3_EEvT1_iilPiilS8_bb.has_indirect_call, 0
	.section	.AMDGPU.csdata,"",@progbits
; Kernel info:
; codeLenInByte = 1664
; TotalNumSgprs: 22
; NumVgprs: 14
; ScratchSize: 32
; MemoryBound: 0
; FloatMode: 240
; IeeeMode: 1
; LDSByteSize: 36 bytes/workgroup (compile time only)
; SGPRBlocks: 0
; VGPRBlocks: 1
; NumSGPRsForWavesPerEU: 22
; NumVGPRsForWavesPerEU: 14
; Occupancy: 16
; WaveLimiterHint : 1
; COMPUTE_PGM_RSRC2:SCRATCH_EN: 1
; COMPUTE_PGM_RSRC2:USER_SGPR: 6
; COMPUTE_PGM_RSRC2:TRAP_HANDLER: 0
; COMPUTE_PGM_RSRC2:TGID_X_EN: 1
; COMPUTE_PGM_RSRC2:TGID_Y_EN: 0
; COMPUTE_PGM_RSRC2:TGID_Z_EN: 0
; COMPUTE_PGM_RSRC2:TIDIG_COMP_CNT: 0
	.section	.text._ZN9rocsolver6v33100L18getri_kernel_smallILi3E19rocblas_complex_numIfEPKPS3_EEvT1_iilPiilS8_bb,"axG",@progbits,_ZN9rocsolver6v33100L18getri_kernel_smallILi3E19rocblas_complex_numIfEPKPS3_EEvT1_iilPiilS8_bb,comdat
	.globl	_ZN9rocsolver6v33100L18getri_kernel_smallILi3E19rocblas_complex_numIfEPKPS3_EEvT1_iilPiilS8_bb ; -- Begin function _ZN9rocsolver6v33100L18getri_kernel_smallILi3E19rocblas_complex_numIfEPKPS3_EEvT1_iilPiilS8_bb
	.p2align	8
	.type	_ZN9rocsolver6v33100L18getri_kernel_smallILi3E19rocblas_complex_numIfEPKPS3_EEvT1_iilPiilS8_bb,@function
_ZN9rocsolver6v33100L18getri_kernel_smallILi3E19rocblas_complex_numIfEPKPS3_EEvT1_iilPiilS8_bb: ; @_ZN9rocsolver6v33100L18getri_kernel_smallILi3E19rocblas_complex_numIfEPKPS3_EEvT1_iilPiilS8_bb
; %bb.0:
	s_add_u32 s0, s0, s7
	s_addc_u32 s1, s1, 0
	s_mov_b32 s7, exec_lo
	v_cmpx_gt_u32_e32 3, v0
	s_cbranch_execz .LBB66_26
; %bb.1:
	s_clause 0x2
	s_load_dword s17, s[4:5], 0x38
	s_load_dwordx2 s[12:13], s[4:5], 0x0
	s_load_dwordx4 s[8:11], s[4:5], 0x28
	s_waitcnt lgkmcnt(0)
	s_bitcmp1_b32 s17, 8
	s_cselect_b32 s16, -1, 0
	s_ashr_i32 s7, s6, 31
	s_lshl_b64 s[14:15], s[6:7], 3
	s_add_u32 s12, s12, s14
	s_addc_u32 s13, s13, s15
	s_load_dwordx2 s[14:15], s[12:13], 0x0
	s_bfe_u32 s12, s17, 0x10008
	s_cmp_eq_u32 s12, 0
                                        ; implicit-def: $sgpr12_sgpr13
	s_cbranch_scc1 .LBB66_3
; %bb.2:
	s_clause 0x1
	s_load_dword s12, s[4:5], 0x20
	s_load_dwordx2 s[18:19], s[4:5], 0x18
	s_mul_i32 s13, s8, s7
	s_mul_hi_u32 s17, s8, s6
	s_mul_i32 s9, s9, s6
	s_add_i32 s13, s17, s13
	s_mul_i32 s8, s8, s6
	s_add_i32 s9, s13, s9
	s_lshl_b64 s[8:9], s[8:9], 2
	s_waitcnt lgkmcnt(0)
	s_ashr_i32 s13, s12, 31
	s_add_u32 s17, s18, s8
	s_addc_u32 s18, s19, s9
	s_lshl_b64 s[8:9], s[12:13], 2
	s_add_u32 s12, s17, s8
	s_addc_u32 s13, s18, s9
.LBB66_3:
	s_clause 0x1
	s_load_dwordx2 s[8:9], s[4:5], 0x8
	s_load_dword s17, s[4:5], 0x38
	v_lshlrev_b32_e32 v9, 3, v0
	s_waitcnt lgkmcnt(0)
	v_add3_u32 v3, s9, s9, v0
	s_ashr_i32 s5, s8, 31
	s_mov_b32 s4, s8
	s_mov_b32 s8, s9
	s_lshl_b64 s[4:5], s[4:5], 3
	v_ashrrev_i32_e32 v4, 31, v3
	s_add_u32 s14, s14, s4
	s_addc_u32 s15, s15, s5
	v_add_co_u32 v1, s4, s14, v9
	s_ashr_i32 s9, s9, 31
	v_lshlrev_b64 v[3:4], 3, v[3:4]
	v_add_co_ci_u32_e64 v2, null, s15, 0, s4
	s_lshl_b64 s[4:5], s[8:9], 3
	s_bitcmp0_b32 s17, 0
	v_add_co_u32 v5, vcc_lo, v1, s4
	v_add_co_ci_u32_e64 v6, null, s5, v2, vcc_lo
	v_add_co_u32 v3, vcc_lo, s14, v3
	v_add_co_ci_u32_e64 v4, null, s15, v4, vcc_lo
	s_clause 0x2
	flat_load_dwordx2 v[7:8], v[1:2]
	flat_load_dwordx2 v[10:11], v[5:6]
	;; [unrolled: 1-line block ×3, first 2 shown]
	s_mov_b32 s5, -1
	s_waitcnt vmcnt(2) lgkmcnt(2)
	buffer_store_dword v8, off, s[0:3], 0 offset:4
	buffer_store_dword v7, off, s[0:3], 0
	s_waitcnt vmcnt(1) lgkmcnt(1)
	buffer_store_dword v11, off, s[0:3], 0 offset:12
	buffer_store_dword v10, off, s[0:3], 0 offset:8
	s_waitcnt vmcnt(0) lgkmcnt(0)
	buffer_store_dword v13, off, s[0:3], 0 offset:20
	buffer_store_dword v12, off, s[0:3], 0 offset:16
	s_cbranch_scc1 .LBB66_24
; %bb.4:
	v_cmp_eq_u32_e64 s4, 0, v0
	s_and_saveexec_b32 s5, s4
; %bb.5:
	v_mov_b32_e32 v7, 0
	ds_write_b32 v7, v7 offset:24
; %bb.6:
	s_or_b32 exec_lo, exec_lo, s5
	v_lshl_add_u32 v10, v0, 3, 0
	s_waitcnt lgkmcnt(0)
	s_waitcnt_vscnt null, 0x0
	s_barrier
	buffer_gl0_inv
	s_clause 0x1
	buffer_load_dword v7, v10, s[0:3], 0 offen
	buffer_load_dword v8, v10, s[0:3], 0 offen offset:4
	s_waitcnt vmcnt(1)
	v_cmp_eq_f32_e32 vcc_lo, 0, v7
	s_waitcnt vmcnt(0)
	v_cmp_eq_f32_e64 s5, 0, v8
	s_and_b32 s5, vcc_lo, s5
	s_and_saveexec_b32 s8, s5
	s_cbranch_execz .LBB66_10
; %bb.7:
	v_mov_b32_e32 v7, 0
	s_mov_b32 s9, 0
	ds_read_b32 v8, v7 offset:24
	s_waitcnt lgkmcnt(0)
	v_readfirstlane_b32 s5, v8
	v_add_nc_u32_e32 v8, 1, v0
	s_cmp_eq_u32 s5, 0
	v_cmp_gt_i32_e32 vcc_lo, s5, v8
	s_cselect_b32 s14, -1, 0
	s_or_b32 s14, s14, vcc_lo
	s_and_b32 exec_lo, exec_lo, s14
	s_cbranch_execz .LBB66_10
; %bb.8:
	v_mov_b32_e32 v11, s5
.LBB66_9:                               ; =>This Inner Loop Header: Depth=1
	ds_cmpst_rtn_b32 v11, v7, v11, v8 offset:24
	s_waitcnt lgkmcnt(0)
	v_cmp_ne_u32_e32 vcc_lo, 0, v11
	v_cmp_le_i32_e64 s5, v11, v8
	s_and_b32 s5, vcc_lo, s5
	s_and_b32 s5, exec_lo, s5
	s_or_b32 s9, s5, s9
	s_andn2_b32 exec_lo, exec_lo, s9
	s_cbranch_execnz .LBB66_9
.LBB66_10:
	s_or_b32 exec_lo, exec_lo, s8
	v_mov_b32_e32 v7, 0
	s_barrier
	buffer_gl0_inv
	ds_read_b32 v8, v7 offset:24
	s_and_saveexec_b32 s5, s4
	s_cbranch_execz .LBB66_12
; %bb.11:
	s_lshl_b64 s[8:9], s[6:7], 2
	s_add_u32 s8, s10, s8
	s_addc_u32 s9, s11, s9
	s_waitcnt lgkmcnt(0)
	global_store_dword v7, v8, s[8:9]
.LBB66_12:
	s_or_b32 exec_lo, exec_lo, s5
	s_waitcnt lgkmcnt(0)
	v_cmp_ne_u32_e32 vcc_lo, 0, v8
	s_mov_b32 s5, 0
	s_cbranch_vccnz .LBB66_24
; %bb.13:
	s_clause 0x1
	buffer_load_dword v8, v10, s[0:3], 0 offen
	buffer_load_dword v11, v10, s[0:3], 0 offen offset:4
                                        ; implicit-def: $vgpr13
                                        ; implicit-def: $vgpr12
                                        ; implicit-def: $vgpr7
	s_waitcnt vmcnt(0)
	v_cmp_ngt_f32_e64 s5, |v8|, |v11|
	s_and_saveexec_b32 s8, s5
	s_xor_b32 s5, exec_lo, s8
	s_cbranch_execz .LBB66_15
; %bb.14:
	v_div_scale_f32 v7, null, v11, v11, v8
	v_div_scale_f32 v14, vcc_lo, v8, v11, v8
	v_rcp_f32_e32 v12, v7
	v_fma_f32 v13, -v7, v12, 1.0
	v_fmac_f32_e32 v12, v13, v12
	v_mul_f32_e32 v13, v14, v12
	v_fma_f32 v15, -v7, v13, v14
	v_fmac_f32_e32 v13, v15, v12
	v_fma_f32 v7, -v7, v13, v14
	v_div_fmas_f32 v7, v7, v12, v13
	v_div_fixup_f32 v7, v7, v11, v8
	v_fmac_f32_e32 v11, v8, v7
	v_div_scale_f32 v8, null, v11, v11, 1.0
	v_rcp_f32_e32 v12, v8
	v_fma_f32 v13, -v8, v12, 1.0
	v_fmac_f32_e32 v12, v13, v12
	v_div_scale_f32 v13, vcc_lo, 1.0, v11, 1.0
	v_mul_f32_e32 v14, v13, v12
	v_fma_f32 v15, -v8, v14, v13
	v_fmac_f32_e32 v14, v15, v12
	v_fma_f32 v8, -v8, v14, v13
	v_div_fmas_f32 v8, v8, v12, v14
	v_div_fixup_f32 v8, v8, v11, 1.0
                                        ; implicit-def: $vgpr11
	v_mul_f32_e32 v13, v7, v8
	v_xor_b32_e32 v12, 0x80000000, v8
                                        ; implicit-def: $vgpr8
	v_xor_b32_e32 v7, 0x80000000, v13
.LBB66_15:
	s_andn2_saveexec_b32 s5, s5
	s_cbranch_execz .LBB66_17
; %bb.16:
	v_div_scale_f32 v7, null, v8, v8, v11
	v_div_scale_f32 v14, vcc_lo, v11, v8, v11
	v_rcp_f32_e32 v12, v7
	v_fma_f32 v13, -v7, v12, 1.0
	v_fmac_f32_e32 v12, v13, v12
	v_mul_f32_e32 v13, v14, v12
	v_fma_f32 v15, -v7, v13, v14
	v_fmac_f32_e32 v13, v15, v12
	v_fma_f32 v7, -v7, v13, v14
	v_div_fmas_f32 v7, v7, v12, v13
	v_div_fixup_f32 v12, v7, v8, v11
	v_fmac_f32_e32 v8, v11, v12
	v_div_scale_f32 v7, null, v8, v8, 1.0
	v_div_scale_f32 v14, vcc_lo, 1.0, v8, 1.0
	v_rcp_f32_e32 v11, v7
	v_fma_f32 v13, -v7, v11, 1.0
	v_fmac_f32_e32 v11, v13, v11
	v_mul_f32_e32 v13, v14, v11
	v_fma_f32 v15, -v7, v13, v14
	v_fmac_f32_e32 v13, v15, v11
	v_fma_f32 v7, -v7, v13, v14
	v_div_fmas_f32 v7, v7, v11, v13
	v_div_fixup_f32 v13, v7, v8, 1.0
	v_xor_b32_e32 v7, 0x80000000, v13
	v_mul_f32_e64 v12, v12, -v13
.LBB66_17:
	s_or_b32 exec_lo, exec_lo, s5
	buffer_store_dword v13, v10, s[0:3], 0 offen
	buffer_store_dword v12, v10, s[0:3], 0 offen offset:4
	s_clause 0x1
	buffer_load_dword v14, off, s[0:3], 0 offset:12
	buffer_load_dword v13, off, s[0:3], 0 offset:8
	v_xor_b32_e32 v8, 0x80000000, v12
	v_add_nc_u32_e32 v11, 32, v9
	s_waitcnt vmcnt(0)
	ds_write2_b64 v9, v[7:8], v[13:14] offset1:4
	s_waitcnt lgkmcnt(0)
	s_waitcnt_vscnt null, 0x0
	s_barrier
	buffer_gl0_inv
	s_and_saveexec_b32 s5, s4
	s_cbranch_execz .LBB66_19
; %bb.18:
	s_clause 0x1
	buffer_load_dword v9, v10, s[0:3], 0 offen offset:4
	buffer_load_dword v14, v10, s[0:3], 0 offen
	ds_read_b64 v[7:8], v11
	v_mov_b32_e32 v12, 0
	ds_read_b64 v[12:13], v12 offset:8
	s_waitcnt vmcnt(1) lgkmcnt(1)
	v_mul_f32_e32 v15, v7, v9
	v_mul_f32_e32 v9, v8, v9
	s_waitcnt vmcnt(0)
	v_fmac_f32_e32 v15, v8, v14
	v_fma_f32 v7, v7, v14, -v9
	v_add_f32_e32 v8, 0, v15
	v_add_f32_e32 v7, 0, v7
	s_waitcnt lgkmcnt(0)
	v_mul_f32_e32 v9, v8, v13
	v_mul_f32_e32 v13, v7, v13
	v_fma_f32 v7, v7, v12, -v9
	v_fmac_f32_e32 v13, v8, v12
	buffer_store_dword v7, off, s[0:3], 0 offset:8
	buffer_store_dword v13, off, s[0:3], 0 offset:12
.LBB66_19:
	s_or_b32 exec_lo, exec_lo, s5
	s_waitcnt_vscnt null, 0x0
	s_barrier
	buffer_gl0_inv
	s_clause 0x1
	buffer_load_dword v7, off, s[0:3], 0 offset:16
	buffer_load_dword v8, off, s[0:3], 0 offset:20
	s_mov_b32 s5, exec_lo
	s_waitcnt vmcnt(0)
	ds_write_b64 v11, v[7:8]
	s_waitcnt lgkmcnt(0)
	s_barrier
	buffer_gl0_inv
	v_cmpx_ne_u32_e32 2, v0
	s_cbranch_execz .LBB66_23
; %bb.20:
	s_clause 0x1
	buffer_load_dword v9, v10, s[0:3], 0 offen offset:4
	buffer_load_dword v10, v10, s[0:3], 0 offen
	ds_read_b64 v[7:8], v11
	s_waitcnt vmcnt(1) lgkmcnt(0)
	v_mul_f32_e32 v11, v8, v9
	v_mul_f32_e32 v9, v7, v9
	s_waitcnt vmcnt(0)
	v_fma_f32 v7, v7, v10, -v11
	v_fmac_f32_e32 v9, v8, v10
	v_add_f32_e32 v8, 0, v7
	v_add_f32_e32 v7, 0, v9
	s_and_saveexec_b32 s8, s4
	s_cbranch_execz .LBB66_22
; %bb.21:
	s_clause 0x1
	buffer_load_dword v11, off, s[0:3], 0 offset:12
	buffer_load_dword v12, off, s[0:3], 0 offset:8
	v_mov_b32_e32 v9, 0
	ds_read_b64 v[9:10], v9 offset:40
	s_waitcnt vmcnt(1) lgkmcnt(0)
	v_mul_f32_e32 v13, v9, v11
	v_mul_f32_e32 v11, v10, v11
	s_waitcnt vmcnt(0)
	v_fmac_f32_e32 v13, v10, v12
	v_fma_f32 v9, v9, v12, -v11
	v_add_f32_e32 v7, v7, v13
	v_add_f32_e32 v8, v8, v9
.LBB66_22:
	s_or_b32 exec_lo, exec_lo, s8
	v_mov_b32_e32 v9, 0
	ds_read_b64 v[9:10], v9 offset:16
	s_waitcnt lgkmcnt(0)
	v_mul_f32_e32 v11, v7, v10
	v_mul_f32_e32 v10, v8, v10
	v_fma_f32 v8, v8, v9, -v11
	v_fmac_f32_e32 v10, v7, v9
	buffer_store_dword v8, off, s[0:3], 0 offset:16
	buffer_store_dword v10, off, s[0:3], 0 offset:20
.LBB66_23:
	s_or_b32 exec_lo, exec_lo, s5
	s_mov_b32 s5, -1
	s_waitcnt_vscnt null, 0x0
	s_barrier
	buffer_gl0_inv
.LBB66_24:
	s_and_b32 vcc_lo, exec_lo, s5
	s_cbranch_vccz .LBB66_26
; %bb.25:
	s_lshl_b64 s[4:5], s[6:7], 2
	v_mov_b32_e32 v7, 0
	s_add_u32 s4, s10, s4
	s_addc_u32 s5, s11, s5
	global_load_dword v7, v7, s[4:5]
	s_waitcnt vmcnt(0)
	v_cmp_ne_u32_e32 vcc_lo, 0, v7
	s_cbranch_vccz .LBB66_27
.LBB66_26:
	s_endpgm
.LBB66_27:
	v_lshl_add_u32 v7, v0, 3, 32
	s_mov_b32 s4, exec_lo
	v_cmpx_eq_u32_e32 2, v0
	s_cbranch_execz .LBB66_29
; %bb.28:
	s_clause 0x1
	buffer_load_dword v8, off, s[0:3], 0 offset:8
	buffer_load_dword v9, off, s[0:3], 0 offset:12
	v_mov_b32_e32 v10, 0
	buffer_store_dword v10, off, s[0:3], 0 offset:8
	buffer_store_dword v10, off, s[0:3], 0 offset:12
	s_waitcnt vmcnt(0)
	ds_write_b64 v7, v[8:9]
.LBB66_29:
	s_or_b32 exec_lo, exec_lo, s4
	s_waitcnt lgkmcnt(0)
	s_waitcnt_vscnt null, 0x0
	s_barrier
	buffer_gl0_inv
	s_clause 0x3
	buffer_load_dword v11, off, s[0:3], 0 offset:20
	buffer_load_dword v12, off, s[0:3], 0 offset:16
	;; [unrolled: 1-line block ×4, first 2 shown]
	v_mov_b32_e32 v8, 0
	s_mov_b32 s4, exec_lo
	ds_read_b64 v[9:10], v8 offset:48
	s_waitcnt vmcnt(3) lgkmcnt(0)
	v_mul_f32_e32 v15, v10, v11
	v_mul_f32_e32 v11, v9, v11
	s_waitcnt vmcnt(2)
	v_fma_f32 v9, v9, v12, -v15
	v_fmac_f32_e32 v11, v10, v12
	v_add_f32_e32 v9, 0, v9
	v_add_f32_e32 v10, 0, v11
	s_waitcnt vmcnt(1)
	v_sub_f32_e32 v9, v13, v9
	s_waitcnt vmcnt(0)
	v_sub_f32_e32 v10, v14, v10
	buffer_store_dword v9, off, s[0:3], 0 offset:8
	buffer_store_dword v10, off, s[0:3], 0 offset:12
	v_cmpx_ne_u32_e32 0, v0
	s_cbranch_execz .LBB66_31
; %bb.30:
	s_clause 0x1
	buffer_load_dword v9, off, s[0:3], 0
	buffer_load_dword v10, off, s[0:3], 0 offset:4
	buffer_store_dword v8, off, s[0:3], 0
	buffer_store_dword v8, off, s[0:3], 0 offset:4
	s_waitcnt vmcnt(0)
	ds_write_b64 v7, v[9:10]
.LBB66_31:
	s_or_b32 exec_lo, exec_lo, s4
	s_waitcnt lgkmcnt(0)
	s_waitcnt_vscnt null, 0x0
	s_barrier
	buffer_gl0_inv
	s_clause 0x5
	buffer_load_dword v0, off, s[0:3], 0 offset:12
	buffer_load_dword v12, off, s[0:3], 0 offset:20
	;; [unrolled: 1-line block ×4, first 2 shown]
	buffer_load_dword v14, off, s[0:3], 0
	buffer_load_dword v15, off, s[0:3], 0 offset:4
	ds_read2_b64 v[8:11], v8 offset0:5 offset1:6
	s_and_b32 vcc_lo, exec_lo, s16
	s_waitcnt vmcnt(5) lgkmcnt(0)
	v_mul_f32_e32 v16, v9, v0
	v_mul_f32_e32 v17, v8, v0
	s_waitcnt vmcnt(4)
	v_mul_f32_e32 v18, v10, v12
	v_mul_f32_e32 v12, v11, v12
	s_waitcnt vmcnt(3)
	v_fma_f32 v8, v8, v7, -v16
	v_fmac_f32_e32 v17, v9, v7
	s_waitcnt vmcnt(2)
	v_fmac_f32_e32 v18, v11, v13
	v_fma_f32 v9, v10, v13, -v12
	v_add_f32_e32 v8, 0, v8
	v_add_f32_e32 v10, 0, v17
	;; [unrolled: 1-line block ×4, first 2 shown]
	s_waitcnt vmcnt(1)
	v_sub_f32_e32 v8, v14, v8
	s_waitcnt vmcnt(0)
	v_sub_f32_e32 v9, v15, v9
	buffer_store_dword v8, off, s[0:3], 0
	buffer_store_dword v9, off, s[0:3], 0 offset:4
	s_cbranch_vccz .LBB66_36
; %bb.32:
	v_mov_b32_e32 v8, 0
	global_load_dword v9, v8, s[12:13] offset:4
	s_waitcnt vmcnt(0)
	v_add_nc_u32_e32 v9, -1, v9
	v_cmp_ne_u32_e32 vcc_lo, 1, v9
	s_cbranch_vccz .LBB66_34
; %bb.33:
	v_lshlrev_b32_e32 v9, 3, v9
	s_clause 0x1
	buffer_load_dword v10, v9, s[0:3], 0 offen
	buffer_load_dword v11, v9, s[0:3], 0 offen offset:4
	s_waitcnt vmcnt(1)
	buffer_store_dword v10, off, s[0:3], 0 offset:8
	s_waitcnt vmcnt(0)
	buffer_store_dword v11, off, s[0:3], 0 offset:12
	buffer_store_dword v7, v9, s[0:3], 0 offen
	buffer_store_dword v0, v9, s[0:3], 0 offen offset:4
.LBB66_34:
	global_load_dword v0, v8, s[12:13]
	s_waitcnt vmcnt(0)
	v_add_nc_u32_e32 v0, -1, v0
	v_cmp_eq_u32_e32 vcc_lo, 0, v0
	s_cbranch_vccnz .LBB66_36
; %bb.35:
	v_lshlrev_b32_e32 v0, 3, v0
	s_clause 0x3
	buffer_load_dword v7, v0, s[0:3], 0 offen
	buffer_load_dword v8, v0, s[0:3], 0 offen offset:4
	buffer_load_dword v9, off, s[0:3], 0 offset:4
	buffer_load_dword v10, off, s[0:3], 0
	s_waitcnt vmcnt(3)
	buffer_store_dword v7, off, s[0:3], 0
	s_waitcnt vmcnt(2)
	buffer_store_dword v8, off, s[0:3], 0 offset:4
	s_waitcnt vmcnt(1)
	buffer_store_dword v9, v0, s[0:3], 0 offen offset:4
	s_waitcnt vmcnt(0)
	buffer_store_dword v10, v0, s[0:3], 0 offen
.LBB66_36:
	s_clause 0x5
	buffer_load_dword v7, off, s[0:3], 0
	buffer_load_dword v8, off, s[0:3], 0 offset:4
	buffer_load_dword v9, off, s[0:3], 0 offset:8
	buffer_load_dword v10, off, s[0:3], 0 offset:12
	buffer_load_dword v11, off, s[0:3], 0 offset:16
	buffer_load_dword v12, off, s[0:3], 0 offset:20
	s_waitcnt vmcnt(4)
	flat_store_dwordx2 v[1:2], v[7:8]
	s_waitcnt vmcnt(2)
	flat_store_dwordx2 v[5:6], v[9:10]
	;; [unrolled: 2-line block ×3, first 2 shown]
	s_endpgm
	.section	.rodata,"a",@progbits
	.p2align	6, 0x0
	.amdhsa_kernel _ZN9rocsolver6v33100L18getri_kernel_smallILi3E19rocblas_complex_numIfEPKPS3_EEvT1_iilPiilS8_bb
		.amdhsa_group_segment_fixed_size 56
		.amdhsa_private_segment_fixed_size 32
		.amdhsa_kernarg_size 60
		.amdhsa_user_sgpr_count 6
		.amdhsa_user_sgpr_private_segment_buffer 1
		.amdhsa_user_sgpr_dispatch_ptr 0
		.amdhsa_user_sgpr_queue_ptr 0
		.amdhsa_user_sgpr_kernarg_segment_ptr 1
		.amdhsa_user_sgpr_dispatch_id 0
		.amdhsa_user_sgpr_flat_scratch_init 0
		.amdhsa_user_sgpr_private_segment_size 0
		.amdhsa_wavefront_size32 1
		.amdhsa_uses_dynamic_stack 0
		.amdhsa_system_sgpr_private_segment_wavefront_offset 1
		.amdhsa_system_sgpr_workgroup_id_x 1
		.amdhsa_system_sgpr_workgroup_id_y 0
		.amdhsa_system_sgpr_workgroup_id_z 0
		.amdhsa_system_sgpr_workgroup_info 0
		.amdhsa_system_vgpr_workitem_id 0
		.amdhsa_next_free_vgpr 19
		.amdhsa_next_free_sgpr 20
		.amdhsa_reserve_vcc 1
		.amdhsa_reserve_flat_scratch 1
		.amdhsa_float_round_mode_32 0
		.amdhsa_float_round_mode_16_64 0
		.amdhsa_float_denorm_mode_32 3
		.amdhsa_float_denorm_mode_16_64 3
		.amdhsa_dx10_clamp 1
		.amdhsa_ieee_mode 1
		.amdhsa_fp16_overflow 0
		.amdhsa_workgroup_processor_mode 1
		.amdhsa_memory_ordered 1
		.amdhsa_forward_progress 1
		.amdhsa_shared_vgpr_count 0
		.amdhsa_exception_fp_ieee_invalid_op 0
		.amdhsa_exception_fp_denorm_src 0
		.amdhsa_exception_fp_ieee_div_zero 0
		.amdhsa_exception_fp_ieee_overflow 0
		.amdhsa_exception_fp_ieee_underflow 0
		.amdhsa_exception_fp_ieee_inexact 0
		.amdhsa_exception_int_div_zero 0
	.end_amdhsa_kernel
	.section	.text._ZN9rocsolver6v33100L18getri_kernel_smallILi3E19rocblas_complex_numIfEPKPS3_EEvT1_iilPiilS8_bb,"axG",@progbits,_ZN9rocsolver6v33100L18getri_kernel_smallILi3E19rocblas_complex_numIfEPKPS3_EEvT1_iilPiilS8_bb,comdat
.Lfunc_end66:
	.size	_ZN9rocsolver6v33100L18getri_kernel_smallILi3E19rocblas_complex_numIfEPKPS3_EEvT1_iilPiilS8_bb, .Lfunc_end66-_ZN9rocsolver6v33100L18getri_kernel_smallILi3E19rocblas_complex_numIfEPKPS3_EEvT1_iilPiilS8_bb
                                        ; -- End function
	.set _ZN9rocsolver6v33100L18getri_kernel_smallILi3E19rocblas_complex_numIfEPKPS3_EEvT1_iilPiilS8_bb.num_vgpr, 19
	.set _ZN9rocsolver6v33100L18getri_kernel_smallILi3E19rocblas_complex_numIfEPKPS3_EEvT1_iilPiilS8_bb.num_agpr, 0
	.set _ZN9rocsolver6v33100L18getri_kernel_smallILi3E19rocblas_complex_numIfEPKPS3_EEvT1_iilPiilS8_bb.numbered_sgpr, 20
	.set _ZN9rocsolver6v33100L18getri_kernel_smallILi3E19rocblas_complex_numIfEPKPS3_EEvT1_iilPiilS8_bb.num_named_barrier, 0
	.set _ZN9rocsolver6v33100L18getri_kernel_smallILi3E19rocblas_complex_numIfEPKPS3_EEvT1_iilPiilS8_bb.private_seg_size, 32
	.set _ZN9rocsolver6v33100L18getri_kernel_smallILi3E19rocblas_complex_numIfEPKPS3_EEvT1_iilPiilS8_bb.uses_vcc, 1
	.set _ZN9rocsolver6v33100L18getri_kernel_smallILi3E19rocblas_complex_numIfEPKPS3_EEvT1_iilPiilS8_bb.uses_flat_scratch, 1
	.set _ZN9rocsolver6v33100L18getri_kernel_smallILi3E19rocblas_complex_numIfEPKPS3_EEvT1_iilPiilS8_bb.has_dyn_sized_stack, 0
	.set _ZN9rocsolver6v33100L18getri_kernel_smallILi3E19rocblas_complex_numIfEPKPS3_EEvT1_iilPiilS8_bb.has_recursion, 0
	.set _ZN9rocsolver6v33100L18getri_kernel_smallILi3E19rocblas_complex_numIfEPKPS3_EEvT1_iilPiilS8_bb.has_indirect_call, 0
	.section	.AMDGPU.csdata,"",@progbits
; Kernel info:
; codeLenInByte = 2396
; TotalNumSgprs: 22
; NumVgprs: 19
; ScratchSize: 32
; MemoryBound: 0
; FloatMode: 240
; IeeeMode: 1
; LDSByteSize: 56 bytes/workgroup (compile time only)
; SGPRBlocks: 0
; VGPRBlocks: 2
; NumSGPRsForWavesPerEU: 22
; NumVGPRsForWavesPerEU: 19
; Occupancy: 16
; WaveLimiterHint : 1
; COMPUTE_PGM_RSRC2:SCRATCH_EN: 1
; COMPUTE_PGM_RSRC2:USER_SGPR: 6
; COMPUTE_PGM_RSRC2:TRAP_HANDLER: 0
; COMPUTE_PGM_RSRC2:TGID_X_EN: 1
; COMPUTE_PGM_RSRC2:TGID_Y_EN: 0
; COMPUTE_PGM_RSRC2:TGID_Z_EN: 0
; COMPUTE_PGM_RSRC2:TIDIG_COMP_CNT: 0
	.section	.text._ZN9rocsolver6v33100L18getri_kernel_smallILi4E19rocblas_complex_numIfEPKPS3_EEvT1_iilPiilS8_bb,"axG",@progbits,_ZN9rocsolver6v33100L18getri_kernel_smallILi4E19rocblas_complex_numIfEPKPS3_EEvT1_iilPiilS8_bb,comdat
	.globl	_ZN9rocsolver6v33100L18getri_kernel_smallILi4E19rocblas_complex_numIfEPKPS3_EEvT1_iilPiilS8_bb ; -- Begin function _ZN9rocsolver6v33100L18getri_kernel_smallILi4E19rocblas_complex_numIfEPKPS3_EEvT1_iilPiilS8_bb
	.p2align	8
	.type	_ZN9rocsolver6v33100L18getri_kernel_smallILi4E19rocblas_complex_numIfEPKPS3_EEvT1_iilPiilS8_bb,@function
_ZN9rocsolver6v33100L18getri_kernel_smallILi4E19rocblas_complex_numIfEPKPS3_EEvT1_iilPiilS8_bb: ; @_ZN9rocsolver6v33100L18getri_kernel_smallILi4E19rocblas_complex_numIfEPKPS3_EEvT1_iilPiilS8_bb
; %bb.0:
	s_add_u32 s0, s0, s7
	s_addc_u32 s1, s1, 0
	s_mov_b32 s7, exec_lo
	v_cmpx_gt_u32_e32 4, v0
	s_cbranch_execz .LBB67_30
; %bb.1:
	s_clause 0x2
	s_load_dword s17, s[4:5], 0x38
	s_load_dwordx2 s[12:13], s[4:5], 0x0
	s_load_dwordx4 s[8:11], s[4:5], 0x28
	s_waitcnt lgkmcnt(0)
	s_bitcmp1_b32 s17, 8
	s_cselect_b32 s16, -1, 0
	s_ashr_i32 s7, s6, 31
	s_lshl_b64 s[14:15], s[6:7], 3
	s_add_u32 s12, s12, s14
	s_addc_u32 s13, s13, s15
	s_load_dwordx2 s[14:15], s[12:13], 0x0
	s_bfe_u32 s12, s17, 0x10008
	s_cmp_eq_u32 s12, 0
                                        ; implicit-def: $sgpr12_sgpr13
	s_cbranch_scc1 .LBB67_3
; %bb.2:
	s_clause 0x1
	s_load_dword s12, s[4:5], 0x20
	s_load_dwordx2 s[18:19], s[4:5], 0x18
	s_mul_i32 s13, s8, s7
	s_mul_hi_u32 s17, s8, s6
	s_mul_i32 s9, s9, s6
	s_add_i32 s13, s17, s13
	s_mul_i32 s8, s8, s6
	s_add_i32 s9, s13, s9
	s_lshl_b64 s[8:9], s[8:9], 2
	s_waitcnt lgkmcnt(0)
	s_ashr_i32 s13, s12, 31
	s_add_u32 s17, s18, s8
	s_addc_u32 s18, s19, s9
	s_lshl_b64 s[8:9], s[12:13], 2
	s_add_u32 s12, s17, s8
	s_addc_u32 s13, s18, s9
.LBB67_3:
	s_clause 0x1
	s_load_dwordx2 s[8:9], s[4:5], 0x8
	s_load_dword s17, s[4:5], 0x38
	v_lshlrev_b32_e32 v11, 3, v0
	s_waitcnt lgkmcnt(0)
	s_ashr_i32 s5, s8, 31
	s_mov_b32 s4, s8
	v_add3_u32 v9, s9, s9, v0
	s_lshl_b64 s[4:5], s[4:5], 3
	s_add_u32 s8, s14, s4
	s_addc_u32 s14, s15, s5
	v_add_co_u32 v1, s4, s8, v11
	v_add_co_ci_u32_e64 v2, null, s14, 0, s4
	s_mov_b32 s4, s9
	s_ashr_i32 s5, s9, 31
	v_ashrrev_i32_e32 v10, 31, v9
	flat_load_dwordx2 v[5:6], v[1:2]
	s_lshl_b64 s[4:5], s[4:5], 3
	s_bitcmp0_b32 s17, 0
	v_add_co_u32 v3, vcc_lo, v1, s4
	v_add_co_ci_u32_e64 v4, null, s5, v2, vcc_lo
	s_mov_b32 s5, -1
	s_waitcnt vmcnt(0) lgkmcnt(0)
	buffer_store_dword v6, off, s[0:3], 0 offset:4
	buffer_store_dword v5, off, s[0:3], 0
	flat_load_dwordx2 v[7:8], v[3:4]
	v_lshlrev_b64 v[5:6], 3, v[9:10]
	s_waitcnt vmcnt(0) lgkmcnt(0)
	buffer_store_dword v8, off, s[0:3], 0 offset:12
	buffer_store_dword v7, off, s[0:3], 0 offset:8
	v_add_co_u32 v5, vcc_lo, s8, v5
	v_add_co_ci_u32_e64 v6, null, s14, v6, vcc_lo
	v_add_nc_u32_e32 v7, s9, v9
	flat_load_dwordx2 v[12:13], v[5:6]
	s_waitcnt vmcnt(0) lgkmcnt(0)
	buffer_store_dword v13, off, s[0:3], 0 offset:20
	buffer_store_dword v12, off, s[0:3], 0 offset:16
	v_ashrrev_i32_e32 v8, 31, v7
	v_lshlrev_b64 v[7:8], 3, v[7:8]
	v_add_co_u32 v7, vcc_lo, s8, v7
	v_add_co_ci_u32_e64 v8, null, s14, v8, vcc_lo
	flat_load_dwordx2 v[9:10], v[7:8]
	s_waitcnt vmcnt(0) lgkmcnt(0)
	buffer_store_dword v10, off, s[0:3], 0 offset:28
	buffer_store_dword v9, off, s[0:3], 0 offset:24
	s_cbranch_scc1 .LBB67_28
; %bb.4:
	v_cmp_eq_u32_e64 s4, 0, v0
	s_and_saveexec_b32 s5, s4
; %bb.5:
	v_mov_b32_e32 v9, 0
	ds_write_b32 v9, v9 offset:64
; %bb.6:
	s_or_b32 exec_lo, exec_lo, s5
	v_lshl_add_u32 v12, v0, 3, 0
	s_waitcnt lgkmcnt(0)
	s_waitcnt_vscnt null, 0x0
	s_barrier
	buffer_gl0_inv
	s_clause 0x1
	buffer_load_dword v9, v12, s[0:3], 0 offen
	buffer_load_dword v10, v12, s[0:3], 0 offen offset:4
	s_waitcnt vmcnt(1)
	v_cmp_eq_f32_e32 vcc_lo, 0, v9
	s_waitcnt vmcnt(0)
	v_cmp_eq_f32_e64 s5, 0, v10
	s_and_b32 s5, vcc_lo, s5
	s_and_saveexec_b32 s8, s5
	s_cbranch_execz .LBB67_10
; %bb.7:
	v_mov_b32_e32 v9, 0
	s_mov_b32 s9, 0
	ds_read_b32 v10, v9 offset:64
	s_waitcnt lgkmcnt(0)
	v_readfirstlane_b32 s5, v10
	v_add_nc_u32_e32 v10, 1, v0
	s_cmp_eq_u32 s5, 0
	v_cmp_gt_i32_e32 vcc_lo, s5, v10
	s_cselect_b32 s14, -1, 0
	s_or_b32 s14, s14, vcc_lo
	s_and_b32 exec_lo, exec_lo, s14
	s_cbranch_execz .LBB67_10
; %bb.8:
	v_mov_b32_e32 v13, s5
.LBB67_9:                               ; =>This Inner Loop Header: Depth=1
	ds_cmpst_rtn_b32 v13, v9, v13, v10 offset:64
	s_waitcnt lgkmcnt(0)
	v_cmp_ne_u32_e32 vcc_lo, 0, v13
	v_cmp_le_i32_e64 s5, v13, v10
	s_and_b32 s5, vcc_lo, s5
	s_and_b32 s5, exec_lo, s5
	s_or_b32 s9, s5, s9
	s_andn2_b32 exec_lo, exec_lo, s9
	s_cbranch_execnz .LBB67_9
.LBB67_10:
	s_or_b32 exec_lo, exec_lo, s8
	v_mov_b32_e32 v9, 0
	s_barrier
	buffer_gl0_inv
	ds_read_b32 v10, v9 offset:64
	s_and_saveexec_b32 s5, s4
	s_cbranch_execz .LBB67_12
; %bb.11:
	s_lshl_b64 s[8:9], s[6:7], 2
	s_add_u32 s8, s10, s8
	s_addc_u32 s9, s11, s9
	s_waitcnt lgkmcnt(0)
	global_store_dword v9, v10, s[8:9]
.LBB67_12:
	s_or_b32 exec_lo, exec_lo, s5
	s_waitcnt lgkmcnt(0)
	v_cmp_ne_u32_e32 vcc_lo, 0, v10
	s_mov_b32 s5, 0
	s_cbranch_vccnz .LBB67_28
; %bb.13:
	s_clause 0x1
	buffer_load_dword v10, v12, s[0:3], 0 offen
	buffer_load_dword v13, v12, s[0:3], 0 offen offset:4
                                        ; implicit-def: $vgpr15
                                        ; implicit-def: $vgpr14
                                        ; implicit-def: $vgpr9
	s_waitcnt vmcnt(0)
	v_cmp_ngt_f32_e64 s5, |v10|, |v13|
	s_and_saveexec_b32 s8, s5
	s_xor_b32 s5, exec_lo, s8
	s_cbranch_execz .LBB67_15
; %bb.14:
	v_div_scale_f32 v9, null, v13, v13, v10
	v_div_scale_f32 v16, vcc_lo, v10, v13, v10
	v_rcp_f32_e32 v14, v9
	v_fma_f32 v15, -v9, v14, 1.0
	v_fmac_f32_e32 v14, v15, v14
	v_mul_f32_e32 v15, v16, v14
	v_fma_f32 v17, -v9, v15, v16
	v_fmac_f32_e32 v15, v17, v14
	v_fma_f32 v9, -v9, v15, v16
	v_div_fmas_f32 v9, v9, v14, v15
	v_div_fixup_f32 v9, v9, v13, v10
	v_fmac_f32_e32 v13, v10, v9
	v_div_scale_f32 v10, null, v13, v13, 1.0
	v_rcp_f32_e32 v14, v10
	v_fma_f32 v15, -v10, v14, 1.0
	v_fmac_f32_e32 v14, v15, v14
	v_div_scale_f32 v15, vcc_lo, 1.0, v13, 1.0
	v_mul_f32_e32 v16, v15, v14
	v_fma_f32 v17, -v10, v16, v15
	v_fmac_f32_e32 v16, v17, v14
	v_fma_f32 v10, -v10, v16, v15
	v_div_fmas_f32 v10, v10, v14, v16
	v_div_fixup_f32 v10, v10, v13, 1.0
                                        ; implicit-def: $vgpr13
	v_mul_f32_e32 v15, v9, v10
	v_xor_b32_e32 v14, 0x80000000, v10
                                        ; implicit-def: $vgpr10
	v_xor_b32_e32 v9, 0x80000000, v15
.LBB67_15:
	s_andn2_saveexec_b32 s5, s5
	s_cbranch_execz .LBB67_17
; %bb.16:
	v_div_scale_f32 v9, null, v10, v10, v13
	v_div_scale_f32 v16, vcc_lo, v13, v10, v13
	v_rcp_f32_e32 v14, v9
	v_fma_f32 v15, -v9, v14, 1.0
	v_fmac_f32_e32 v14, v15, v14
	v_mul_f32_e32 v15, v16, v14
	v_fma_f32 v17, -v9, v15, v16
	v_fmac_f32_e32 v15, v17, v14
	v_fma_f32 v9, -v9, v15, v16
	v_div_fmas_f32 v9, v9, v14, v15
	v_div_fixup_f32 v14, v9, v10, v13
	v_fmac_f32_e32 v10, v13, v14
	v_div_scale_f32 v9, null, v10, v10, 1.0
	v_div_scale_f32 v16, vcc_lo, 1.0, v10, 1.0
	v_rcp_f32_e32 v13, v9
	v_fma_f32 v15, -v9, v13, 1.0
	v_fmac_f32_e32 v13, v15, v13
	v_mul_f32_e32 v15, v16, v13
	v_fma_f32 v17, -v9, v15, v16
	v_fmac_f32_e32 v15, v17, v13
	v_fma_f32 v9, -v9, v15, v16
	v_div_fmas_f32 v9, v9, v13, v15
	v_div_fixup_f32 v15, v9, v10, 1.0
	v_xor_b32_e32 v9, 0x80000000, v15
	v_mul_f32_e64 v14, v14, -v15
.LBB67_17:
	s_or_b32 exec_lo, exec_lo, s5
	buffer_store_dword v15, v12, s[0:3], 0 offen
	buffer_store_dword v14, v12, s[0:3], 0 offen offset:4
	s_clause 0x1
	buffer_load_dword v16, off, s[0:3], 0 offset:12
	buffer_load_dword v15, off, s[0:3], 0 offset:8
	v_xor_b32_e32 v10, 0x80000000, v14
	v_add_nc_u32_e32 v13, 32, v11
	s_waitcnt vmcnt(0)
	ds_write2_b64 v11, v[9:10], v[15:16] offset1:4
	s_waitcnt lgkmcnt(0)
	s_waitcnt_vscnt null, 0x0
	s_barrier
	buffer_gl0_inv
	s_and_saveexec_b32 s5, s4
	s_cbranch_execz .LBB67_19
; %bb.18:
	s_clause 0x1
	buffer_load_dword v16, v12, s[0:3], 0 offen offset:4
	buffer_load_dword v17, v12, s[0:3], 0 offen
	ds_read_b64 v[9:10], v13
	v_mov_b32_e32 v14, 0
	ds_read_b64 v[14:15], v14 offset:8
	s_waitcnt vmcnt(1) lgkmcnt(1)
	v_mul_f32_e32 v18, v9, v16
	v_mul_f32_e32 v16, v10, v16
	s_waitcnt vmcnt(0)
	v_fmac_f32_e32 v18, v10, v17
	v_fma_f32 v9, v9, v17, -v16
	v_add_f32_e32 v10, 0, v18
	v_add_f32_e32 v9, 0, v9
	s_waitcnt lgkmcnt(0)
	v_mul_f32_e32 v16, v10, v15
	v_mul_f32_e32 v15, v9, v15
	v_fma_f32 v9, v9, v14, -v16
	v_fmac_f32_e32 v15, v10, v14
	buffer_store_dword v9, off, s[0:3], 0 offset:8
	buffer_store_dword v15, off, s[0:3], 0 offset:12
.LBB67_19:
	s_or_b32 exec_lo, exec_lo, s5
	s_waitcnt_vscnt null, 0x0
	s_barrier
	buffer_gl0_inv
	s_clause 0x1
	buffer_load_dword v9, off, s[0:3], 0 offset:16
	buffer_load_dword v10, off, s[0:3], 0 offset:20
	s_mov_b32 s5, exec_lo
	s_waitcnt vmcnt(0)
	ds_write_b64 v13, v[9:10]
	s_waitcnt lgkmcnt(0)
	s_barrier
	buffer_gl0_inv
	v_cmpx_gt_u32_e32 2, v0
	s_cbranch_execz .LBB67_23
; %bb.20:
	s_clause 0x1
	buffer_load_dword v14, v12, s[0:3], 0 offen offset:4
	buffer_load_dword v12, v12, s[0:3], 0 offen
	ds_read_b64 v[9:10], v13
	s_waitcnt vmcnt(1) lgkmcnt(0)
	v_mul_f32_e32 v15, v10, v14
	v_mul_f32_e32 v14, v9, v14
	s_waitcnt vmcnt(0)
	v_fma_f32 v9, v9, v12, -v15
	v_fmac_f32_e32 v14, v10, v12
	v_add_f32_e32 v10, 0, v9
	v_add_f32_e32 v9, 0, v14
	s_and_saveexec_b32 s8, s4
	s_cbranch_execz .LBB67_22
; %bb.21:
	s_clause 0x1
	buffer_load_dword v12, off, s[0:3], 0 offset:12
	buffer_load_dword v16, off, s[0:3], 0 offset:8
	v_mov_b32_e32 v14, 0
	ds_read_b64 v[14:15], v14 offset:40
	s_waitcnt vmcnt(1) lgkmcnt(0)
	v_mul_f32_e32 v17, v14, v12
	v_mul_f32_e32 v12, v15, v12
	s_waitcnt vmcnt(0)
	v_fmac_f32_e32 v17, v15, v16
	v_fma_f32 v12, v14, v16, -v12
	v_add_f32_e32 v9, v9, v17
	v_add_f32_e32 v10, v10, v12
.LBB67_22:
	s_or_b32 exec_lo, exec_lo, s8
	v_mov_b32_e32 v12, 0
	ds_read_b64 v[14:15], v12 offset:16
	s_waitcnt lgkmcnt(0)
	v_mul_f32_e32 v12, v9, v15
	v_mul_f32_e32 v15, v10, v15
	v_fma_f32 v10, v10, v14, -v12
	v_fmac_f32_e32 v15, v9, v14
	buffer_store_dword v10, off, s[0:3], 0 offset:16
	buffer_store_dword v15, off, s[0:3], 0 offset:20
.LBB67_23:
	s_or_b32 exec_lo, exec_lo, s5
	s_waitcnt_vscnt null, 0x0
	s_barrier
	buffer_gl0_inv
	s_clause 0x1
	buffer_load_dword v9, off, s[0:3], 0 offset:24
	buffer_load_dword v10, off, s[0:3], 0 offset:28
	s_mov_b32 s4, exec_lo
	s_waitcnt vmcnt(0)
	ds_write_b64 v13, v[9:10]
	s_waitcnt lgkmcnt(0)
	s_barrier
	buffer_gl0_inv
	v_cmpx_ne_u32_e32 3, v0
	s_cbranch_execz .LBB67_27
; %bb.24:
	v_add_nc_u32_e32 v10, -1, v0
	v_mov_b32_e32 v9, 0
	v_mov_b32_e32 v12, 0
	s_mov_b32 s5, 0
	.p2align	6
.LBB67_25:                              ; =>This Inner Loop Header: Depth=1
	s_clause 0x1
	buffer_load_dword v16, v11, s[0:3], 0 offen offset:4
	buffer_load_dword v17, v11, s[0:3], 0 offen
	ds_read_b64 v[14:15], v13
	v_add_nc_u32_e32 v10, 1, v10
	v_add_nc_u32_e32 v13, 8, v13
	;; [unrolled: 1-line block ×3, first 2 shown]
	v_cmp_lt_u32_e32 vcc_lo, 1, v10
	s_or_b32 s5, vcc_lo, s5
	s_waitcnt vmcnt(1) lgkmcnt(0)
	v_mul_f32_e32 v18, v15, v16
	v_mul_f32_e32 v16, v14, v16
	s_waitcnt vmcnt(0)
	v_fma_f32 v14, v14, v17, -v18
	v_fmac_f32_e32 v16, v15, v17
	v_add_f32_e32 v12, v12, v14
	v_add_f32_e32 v9, v9, v16
	s_andn2_b32 exec_lo, exec_lo, s5
	s_cbranch_execnz .LBB67_25
; %bb.26:
	s_or_b32 exec_lo, exec_lo, s5
	v_mov_b32_e32 v10, 0
	ds_read_b64 v[10:11], v10 offset:24
	s_waitcnt lgkmcnt(0)
	v_mul_f32_e32 v13, v9, v11
	v_mul_f32_e32 v11, v12, v11
	v_fma_f32 v12, v12, v10, -v13
	v_fmac_f32_e32 v11, v9, v10
	buffer_store_dword v12, off, s[0:3], 0 offset:24
	buffer_store_dword v11, off, s[0:3], 0 offset:28
.LBB67_27:
	s_or_b32 exec_lo, exec_lo, s4
	s_mov_b32 s5, -1
	s_waitcnt_vscnt null, 0x0
	s_barrier
	buffer_gl0_inv
.LBB67_28:
	s_and_b32 vcc_lo, exec_lo, s5
	s_cbranch_vccz .LBB67_30
; %bb.29:
	s_lshl_b64 s[4:5], s[6:7], 2
	v_mov_b32_e32 v9, 0
	s_add_u32 s4, s10, s4
	s_addc_u32 s5, s11, s5
	global_load_dword v9, v9, s[4:5]
	s_waitcnt vmcnt(0)
	v_cmp_ne_u32_e32 vcc_lo, 0, v9
	s_cbranch_vccz .LBB67_31
.LBB67_30:
	s_endpgm
.LBB67_31:
	v_lshl_add_u32 v9, v0, 3, 32
	s_mov_b32 s4, exec_lo
	v_cmpx_eq_u32_e32 3, v0
	s_cbranch_execz .LBB67_33
; %bb.32:
	s_clause 0x1
	buffer_load_dword v10, off, s[0:3], 0 offset:16
	buffer_load_dword v11, off, s[0:3], 0 offset:20
	v_mov_b32_e32 v12, 0
	buffer_store_dword v12, off, s[0:3], 0 offset:16
	buffer_store_dword v12, off, s[0:3], 0 offset:20
	s_waitcnt vmcnt(0)
	ds_write_b64 v9, v[10:11]
.LBB67_33:
	s_or_b32 exec_lo, exec_lo, s4
	s_waitcnt lgkmcnt(0)
	s_waitcnt_vscnt null, 0x0
	s_barrier
	buffer_gl0_inv
	s_clause 0x3
	buffer_load_dword v13, off, s[0:3], 0 offset:28
	buffer_load_dword v14, off, s[0:3], 0 offset:24
	;; [unrolled: 1-line block ×4, first 2 shown]
	v_mov_b32_e32 v10, 0
	s_mov_b32 s4, exec_lo
	ds_read_b64 v[11:12], v10 offset:56
	s_waitcnt vmcnt(3) lgkmcnt(0)
	v_mul_f32_e32 v17, v12, v13
	v_mul_f32_e32 v13, v11, v13
	s_waitcnt vmcnt(2)
	v_fma_f32 v11, v11, v14, -v17
	v_fmac_f32_e32 v13, v12, v14
	v_add_f32_e32 v11, 0, v11
	v_add_f32_e32 v12, 0, v13
	s_waitcnt vmcnt(1)
	v_sub_f32_e32 v11, v15, v11
	s_waitcnt vmcnt(0)
	v_sub_f32_e32 v12, v16, v12
	buffer_store_dword v11, off, s[0:3], 0 offset:16
	buffer_store_dword v12, off, s[0:3], 0 offset:20
	v_cmpx_lt_u32_e32 1, v0
	s_cbranch_execz .LBB67_35
; %bb.34:
	s_clause 0x1
	buffer_load_dword v11, off, s[0:3], 0 offset:8
	buffer_load_dword v12, off, s[0:3], 0 offset:12
	buffer_store_dword v10, off, s[0:3], 0 offset:8
	buffer_store_dword v10, off, s[0:3], 0 offset:12
	s_waitcnt vmcnt(0)
	ds_write_b64 v9, v[11:12]
.LBB67_35:
	s_or_b32 exec_lo, exec_lo, s4
	s_waitcnt lgkmcnt(0)
	s_waitcnt_vscnt null, 0x0
	s_barrier
	buffer_gl0_inv
	s_clause 0x5
	buffer_load_dword v14, off, s[0:3], 0 offset:20
	buffer_load_dword v15, off, s[0:3], 0 offset:28
	;; [unrolled: 1-line block ×6, first 2 shown]
	ds_read_b128 v[10:13], v10 offset:48
	s_mov_b32 s4, exec_lo
	s_waitcnt vmcnt(5) lgkmcnt(0)
	v_mul_f32_e32 v20, v11, v14
	v_mul_f32_e32 v14, v10, v14
	s_waitcnt vmcnt(4)
	v_mul_f32_e32 v21, v12, v15
	v_mul_f32_e32 v15, v13, v15
	s_waitcnt vmcnt(3)
	v_fma_f32 v10, v10, v16, -v20
	v_fmac_f32_e32 v14, v11, v16
	s_waitcnt vmcnt(2)
	v_fmac_f32_e32 v21, v13, v17
	v_fma_f32 v11, v12, v17, -v15
	v_add_f32_e32 v10, 0, v10
	v_add_f32_e32 v12, 0, v14
	;; [unrolled: 1-line block ×4, first 2 shown]
	s_waitcnt vmcnt(1)
	v_sub_f32_e32 v10, v18, v10
	s_waitcnt vmcnt(0)
	v_sub_f32_e32 v11, v19, v11
	buffer_store_dword v10, off, s[0:3], 0 offset:8
	buffer_store_dword v11, off, s[0:3], 0 offset:12
	v_cmpx_ne_u32_e32 0, v0
	s_cbranch_execz .LBB67_37
; %bb.36:
	s_clause 0x1
	buffer_load_dword v10, off, s[0:3], 0
	buffer_load_dword v11, off, s[0:3], 0 offset:4
	v_mov_b32_e32 v0, 0
	buffer_store_dword v0, off, s[0:3], 0
	buffer_store_dword v0, off, s[0:3], 0 offset:4
	s_waitcnt vmcnt(0)
	ds_write_b64 v9, v[10:11]
.LBB67_37:
	s_or_b32 exec_lo, exec_lo, s4
	s_waitcnt lgkmcnt(0)
	s_waitcnt_vscnt null, 0x0
	s_barrier
	buffer_gl0_inv
	s_clause 0x7
	buffer_load_dword v17, off, s[0:3], 0 offset:12
	buffer_load_dword v0, off, s[0:3], 0 offset:20
	;; [unrolled: 1-line block ×6, first 2 shown]
	buffer_load_dword v21, off, s[0:3], 0
	buffer_load_dword v22, off, s[0:3], 0 offset:4
	v_mov_b32_e32 v10, 0
	ds_read2_b64 v[11:14], v10 offset0:5 offset1:6
	ds_read_b64 v[15:16], v10 offset:56
	s_and_b32 vcc_lo, exec_lo, s16
	s_waitcnt vmcnt(7) lgkmcnt(1)
	v_mul_f32_e32 v23, v12, v17
	v_mul_f32_e32 v17, v11, v17
	s_waitcnt vmcnt(6)
	v_mul_f32_e32 v26, v14, v0
	v_mul_f32_e32 v24, v13, v0
	s_waitcnt vmcnt(5) lgkmcnt(0)
	v_mul_f32_e32 v25, v15, v18
	s_waitcnt vmcnt(4)
	v_fma_f32 v11, v11, v19, -v23
	v_fmac_f32_e32 v17, v12, v19
	v_mul_f32_e32 v12, v16, v18
	s_waitcnt vmcnt(3)
	v_fma_f32 v13, v13, v9, -v26
	v_fmac_f32_e32 v24, v14, v9
	v_add_f32_e32 v11, 0, v11
	v_add_f32_e32 v14, 0, v17
	s_waitcnt vmcnt(2)
	v_fma_f32 v12, v15, v20, -v12
	v_fmac_f32_e32 v25, v16, v20
	v_add_f32_e32 v11, v11, v13
	v_add_f32_e32 v13, v14, v24
	;; [unrolled: 1-line block ×4, first 2 shown]
	s_waitcnt vmcnt(1)
	v_sub_f32_e32 v11, v21, v11
	s_waitcnt vmcnt(0)
	v_sub_f32_e32 v12, v22, v12
	buffer_store_dword v11, off, s[0:3], 0
	buffer_store_dword v12, off, s[0:3], 0 offset:4
	s_cbranch_vccz .LBB67_44
; %bb.38:
	global_load_dword v10, v10, s[12:13] offset:8
	s_waitcnt vmcnt(0)
	v_add_nc_u32_e32 v10, -1, v10
	v_cmp_ne_u32_e32 vcc_lo, 2, v10
	s_cbranch_vccz .LBB67_40
; %bb.39:
	v_lshlrev_b32_e32 v10, 3, v10
	s_clause 0x1
	buffer_load_dword v11, v10, s[0:3], 0 offen offset:4
	buffer_load_dword v12, v10, s[0:3], 0 offen
	s_waitcnt vmcnt(1)
	buffer_store_dword v11, off, s[0:3], 0 offset:20
	s_waitcnt vmcnt(0)
	buffer_store_dword v12, off, s[0:3], 0 offset:16
	buffer_store_dword v0, v10, s[0:3], 0 offen offset:4
	buffer_store_dword v9, v10, s[0:3], 0 offen
.LBB67_40:
	v_mov_b32_e32 v0, 0
	global_load_dword v9, v0, s[12:13] offset:4
	s_waitcnt vmcnt(0)
	v_add_nc_u32_e32 v9, -1, v9
	v_cmp_eq_u32_e32 vcc_lo, 1, v9
	s_cbranch_vccnz .LBB67_42
; %bb.41:
	v_lshlrev_b32_e32 v9, 3, v9
	s_clause 0x3
	buffer_load_dword v10, v9, s[0:3], 0 offen
	buffer_load_dword v11, v9, s[0:3], 0 offen offset:4
	buffer_load_dword v12, off, s[0:3], 0 offset:8
	buffer_load_dword v13, off, s[0:3], 0 offset:12
	s_waitcnt vmcnt(3)
	buffer_store_dword v10, off, s[0:3], 0 offset:8
	s_waitcnt vmcnt(2)
	buffer_store_dword v11, off, s[0:3], 0 offset:12
	s_waitcnt vmcnt(1)
	buffer_store_dword v12, v9, s[0:3], 0 offen
	s_waitcnt vmcnt(0)
	buffer_store_dword v13, v9, s[0:3], 0 offen offset:4
.LBB67_42:
	global_load_dword v0, v0, s[12:13]
	s_waitcnt vmcnt(0)
	v_add_nc_u32_e32 v0, -1, v0
	v_cmp_eq_u32_e32 vcc_lo, 0, v0
	s_cbranch_vccnz .LBB67_44
; %bb.43:
	v_lshlrev_b32_e32 v0, 3, v0
	s_clause 0x3
	buffer_load_dword v9, v0, s[0:3], 0 offen
	buffer_load_dword v10, v0, s[0:3], 0 offen offset:4
	buffer_load_dword v11, off, s[0:3], 0 offset:4
	buffer_load_dword v12, off, s[0:3], 0
	s_waitcnt vmcnt(3)
	buffer_store_dword v9, off, s[0:3], 0
	s_waitcnt vmcnt(2)
	buffer_store_dword v10, off, s[0:3], 0 offset:4
	s_waitcnt vmcnt(1)
	buffer_store_dword v11, v0, s[0:3], 0 offen offset:4
	s_waitcnt vmcnt(0)
	buffer_store_dword v12, v0, s[0:3], 0 offen
.LBB67_44:
	s_clause 0x1
	buffer_load_dword v9, off, s[0:3], 0
	buffer_load_dword v10, off, s[0:3], 0 offset:4
	s_waitcnt vmcnt(0)
	flat_store_dwordx2 v[1:2], v[9:10]
	s_clause 0x1
	buffer_load_dword v0, off, s[0:3], 0 offset:8
	buffer_load_dword v1, off, s[0:3], 0 offset:12
	s_waitcnt vmcnt(0)
	flat_store_dwordx2 v[3:4], v[0:1]
	s_clause 0x1
	buffer_load_dword v0, off, s[0:3], 0 offset:16
	;; [unrolled: 5-line block ×3, first 2 shown]
	buffer_load_dword v1, off, s[0:3], 0 offset:28
	s_waitcnt vmcnt(0)
	flat_store_dwordx2 v[7:8], v[0:1]
	s_endpgm
	.section	.rodata,"a",@progbits
	.p2align	6, 0x0
	.amdhsa_kernel _ZN9rocsolver6v33100L18getri_kernel_smallILi4E19rocblas_complex_numIfEPKPS3_EEvT1_iilPiilS8_bb
		.amdhsa_group_segment_fixed_size 68
		.amdhsa_private_segment_fixed_size 48
		.amdhsa_kernarg_size 60
		.amdhsa_user_sgpr_count 6
		.amdhsa_user_sgpr_private_segment_buffer 1
		.amdhsa_user_sgpr_dispatch_ptr 0
		.amdhsa_user_sgpr_queue_ptr 0
		.amdhsa_user_sgpr_kernarg_segment_ptr 1
		.amdhsa_user_sgpr_dispatch_id 0
		.amdhsa_user_sgpr_flat_scratch_init 0
		.amdhsa_user_sgpr_private_segment_size 0
		.amdhsa_wavefront_size32 1
		.amdhsa_uses_dynamic_stack 0
		.amdhsa_system_sgpr_private_segment_wavefront_offset 1
		.amdhsa_system_sgpr_workgroup_id_x 1
		.amdhsa_system_sgpr_workgroup_id_y 0
		.amdhsa_system_sgpr_workgroup_id_z 0
		.amdhsa_system_sgpr_workgroup_info 0
		.amdhsa_system_vgpr_workitem_id 0
		.amdhsa_next_free_vgpr 27
		.amdhsa_next_free_sgpr 20
		.amdhsa_reserve_vcc 1
		.amdhsa_reserve_flat_scratch 0
		.amdhsa_float_round_mode_32 0
		.amdhsa_float_round_mode_16_64 0
		.amdhsa_float_denorm_mode_32 3
		.amdhsa_float_denorm_mode_16_64 3
		.amdhsa_dx10_clamp 1
		.amdhsa_ieee_mode 1
		.amdhsa_fp16_overflow 0
		.amdhsa_workgroup_processor_mode 1
		.amdhsa_memory_ordered 1
		.amdhsa_forward_progress 1
		.amdhsa_shared_vgpr_count 0
		.amdhsa_exception_fp_ieee_invalid_op 0
		.amdhsa_exception_fp_denorm_src 0
		.amdhsa_exception_fp_ieee_div_zero 0
		.amdhsa_exception_fp_ieee_overflow 0
		.amdhsa_exception_fp_ieee_underflow 0
		.amdhsa_exception_fp_ieee_inexact 0
		.amdhsa_exception_int_div_zero 0
	.end_amdhsa_kernel
	.section	.text._ZN9rocsolver6v33100L18getri_kernel_smallILi4E19rocblas_complex_numIfEPKPS3_EEvT1_iilPiilS8_bb,"axG",@progbits,_ZN9rocsolver6v33100L18getri_kernel_smallILi4E19rocblas_complex_numIfEPKPS3_EEvT1_iilPiilS8_bb,comdat
.Lfunc_end67:
	.size	_ZN9rocsolver6v33100L18getri_kernel_smallILi4E19rocblas_complex_numIfEPKPS3_EEvT1_iilPiilS8_bb, .Lfunc_end67-_ZN9rocsolver6v33100L18getri_kernel_smallILi4E19rocblas_complex_numIfEPKPS3_EEvT1_iilPiilS8_bb
                                        ; -- End function
	.set _ZN9rocsolver6v33100L18getri_kernel_smallILi4E19rocblas_complex_numIfEPKPS3_EEvT1_iilPiilS8_bb.num_vgpr, 27
	.set _ZN9rocsolver6v33100L18getri_kernel_smallILi4E19rocblas_complex_numIfEPKPS3_EEvT1_iilPiilS8_bb.num_agpr, 0
	.set _ZN9rocsolver6v33100L18getri_kernel_smallILi4E19rocblas_complex_numIfEPKPS3_EEvT1_iilPiilS8_bb.numbered_sgpr, 20
	.set _ZN9rocsolver6v33100L18getri_kernel_smallILi4E19rocblas_complex_numIfEPKPS3_EEvT1_iilPiilS8_bb.num_named_barrier, 0
	.set _ZN9rocsolver6v33100L18getri_kernel_smallILi4E19rocblas_complex_numIfEPKPS3_EEvT1_iilPiilS8_bb.private_seg_size, 48
	.set _ZN9rocsolver6v33100L18getri_kernel_smallILi4E19rocblas_complex_numIfEPKPS3_EEvT1_iilPiilS8_bb.uses_vcc, 1
	.set _ZN9rocsolver6v33100L18getri_kernel_smallILi4E19rocblas_complex_numIfEPKPS3_EEvT1_iilPiilS8_bb.uses_flat_scratch, 0
	.set _ZN9rocsolver6v33100L18getri_kernel_smallILi4E19rocblas_complex_numIfEPKPS3_EEvT1_iilPiilS8_bb.has_dyn_sized_stack, 0
	.set _ZN9rocsolver6v33100L18getri_kernel_smallILi4E19rocblas_complex_numIfEPKPS3_EEvT1_iilPiilS8_bb.has_recursion, 0
	.set _ZN9rocsolver6v33100L18getri_kernel_smallILi4E19rocblas_complex_numIfEPKPS3_EEvT1_iilPiilS8_bb.has_indirect_call, 0
	.section	.AMDGPU.csdata,"",@progbits
; Kernel info:
; codeLenInByte = 3180
; TotalNumSgprs: 22
; NumVgprs: 27
; ScratchSize: 48
; MemoryBound: 0
; FloatMode: 240
; IeeeMode: 1
; LDSByteSize: 68 bytes/workgroup (compile time only)
; SGPRBlocks: 0
; VGPRBlocks: 3
; NumSGPRsForWavesPerEU: 22
; NumVGPRsForWavesPerEU: 27
; Occupancy: 16
; WaveLimiterHint : 1
; COMPUTE_PGM_RSRC2:SCRATCH_EN: 1
; COMPUTE_PGM_RSRC2:USER_SGPR: 6
; COMPUTE_PGM_RSRC2:TRAP_HANDLER: 0
; COMPUTE_PGM_RSRC2:TGID_X_EN: 1
; COMPUTE_PGM_RSRC2:TGID_Y_EN: 0
; COMPUTE_PGM_RSRC2:TGID_Z_EN: 0
; COMPUTE_PGM_RSRC2:TIDIG_COMP_CNT: 0
	.section	.text._ZN9rocsolver6v33100L18getri_kernel_smallILi5E19rocblas_complex_numIfEPKPS3_EEvT1_iilPiilS8_bb,"axG",@progbits,_ZN9rocsolver6v33100L18getri_kernel_smallILi5E19rocblas_complex_numIfEPKPS3_EEvT1_iilPiilS8_bb,comdat
	.globl	_ZN9rocsolver6v33100L18getri_kernel_smallILi5E19rocblas_complex_numIfEPKPS3_EEvT1_iilPiilS8_bb ; -- Begin function _ZN9rocsolver6v33100L18getri_kernel_smallILi5E19rocblas_complex_numIfEPKPS3_EEvT1_iilPiilS8_bb
	.p2align	8
	.type	_ZN9rocsolver6v33100L18getri_kernel_smallILi5E19rocblas_complex_numIfEPKPS3_EEvT1_iilPiilS8_bb,@function
_ZN9rocsolver6v33100L18getri_kernel_smallILi5E19rocblas_complex_numIfEPKPS3_EEvT1_iilPiilS8_bb: ; @_ZN9rocsolver6v33100L18getri_kernel_smallILi5E19rocblas_complex_numIfEPKPS3_EEvT1_iilPiilS8_bb
; %bb.0:
	s_add_u32 s0, s0, s7
	s_addc_u32 s1, s1, 0
	s_mov_b32 s7, exec_lo
	v_cmpx_gt_u32_e32 5, v0
	s_cbranch_execz .LBB68_34
; %bb.1:
	s_clause 0x2
	s_load_dword s17, s[4:5], 0x38
	s_load_dwordx2 s[12:13], s[4:5], 0x0
	s_load_dwordx4 s[8:11], s[4:5], 0x28
	s_waitcnt lgkmcnt(0)
	s_bitcmp1_b32 s17, 8
	s_cselect_b32 s16, -1, 0
	s_ashr_i32 s7, s6, 31
	s_lshl_b64 s[14:15], s[6:7], 3
	s_add_u32 s12, s12, s14
	s_addc_u32 s13, s13, s15
	s_load_dwordx2 s[14:15], s[12:13], 0x0
	s_bfe_u32 s12, s17, 0x10008
	s_cmp_eq_u32 s12, 0
                                        ; implicit-def: $sgpr12_sgpr13
	s_cbranch_scc1 .LBB68_3
; %bb.2:
	s_clause 0x1
	s_load_dword s12, s[4:5], 0x20
	s_load_dwordx2 s[18:19], s[4:5], 0x18
	s_mul_i32 s13, s8, s7
	s_mul_hi_u32 s17, s8, s6
	s_mul_i32 s9, s9, s6
	s_add_i32 s13, s17, s13
	s_mul_i32 s8, s8, s6
	s_add_i32 s9, s13, s9
	s_lshl_b64 s[8:9], s[8:9], 2
	s_waitcnt lgkmcnt(0)
	s_ashr_i32 s13, s12, 31
	s_add_u32 s17, s18, s8
	s_addc_u32 s18, s19, s9
	s_lshl_b64 s[8:9], s[12:13], 2
	s_add_u32 s12, s17, s8
	s_addc_u32 s13, s18, s9
.LBB68_3:
	s_clause 0x1
	s_load_dwordx2 s[8:9], s[4:5], 0x8
	s_load_dword s17, s[4:5], 0x38
	v_lshlrev_b32_e32 v13, 3, v0
	s_waitcnt lgkmcnt(0)
	s_ashr_i32 s5, s8, 31
	s_mov_b32 s4, s8
	v_add3_u32 v9, s9, s9, v0
	s_lshl_b64 s[4:5], s[4:5], 3
	s_add_u32 s8, s14, s4
	s_addc_u32 s14, s15, s5
	v_add_co_u32 v1, s4, s8, v13
	v_add_co_ci_u32_e64 v2, null, s14, 0, s4
	s_mov_b32 s4, s9
	s_ashr_i32 s5, s9, 31
	v_ashrrev_i32_e32 v10, 31, v9
	flat_load_dwordx2 v[5:6], v[1:2]
	s_lshl_b64 s[4:5], s[4:5], 3
	v_add_nc_u32_e32 v14, s9, v9
	v_add_co_u32 v3, vcc_lo, v1, s4
	v_add_co_ci_u32_e64 v4, null, s5, v2, vcc_lo
	v_ashrrev_i32_e32 v15, 31, v14
	s_mov_b32 s5, -1
	s_bitcmp0_b32 s17, 0
	s_waitcnt vmcnt(0) lgkmcnt(0)
	buffer_store_dword v6, off, s[0:3], 0 offset:4
	buffer_store_dword v5, off, s[0:3], 0
	flat_load_dwordx2 v[7:8], v[3:4]
	v_lshlrev_b64 v[5:6], 3, v[9:10]
	v_add_nc_u32_e32 v9, s9, v14
	s_waitcnt vmcnt(0) lgkmcnt(0)
	buffer_store_dword v8, off, s[0:3], 0 offset:12
	buffer_store_dword v7, off, s[0:3], 0 offset:8
	v_add_co_u32 v5, vcc_lo, s8, v5
	v_add_co_ci_u32_e64 v6, null, s14, v6, vcc_lo
	v_lshlrev_b64 v[7:8], 3, v[14:15]
	flat_load_dwordx2 v[10:11], v[5:6]
	s_waitcnt vmcnt(0) lgkmcnt(0)
	buffer_store_dword v11, off, s[0:3], 0 offset:20
	buffer_store_dword v10, off, s[0:3], 0 offset:16
	v_add_co_u32 v7, vcc_lo, s8, v7
	v_add_co_ci_u32_e64 v8, null, s14, v8, vcc_lo
	v_ashrrev_i32_e32 v10, 31, v9
	flat_load_dwordx2 v[11:12], v[7:8]
	s_waitcnt vmcnt(0) lgkmcnt(0)
	buffer_store_dword v12, off, s[0:3], 0 offset:28
	buffer_store_dword v11, off, s[0:3], 0 offset:24
	v_lshlrev_b64 v[9:10], 3, v[9:10]
	v_add_co_u32 v9, vcc_lo, s8, v9
	v_add_co_ci_u32_e64 v10, null, s14, v10, vcc_lo
	flat_load_dwordx2 v[11:12], v[9:10]
	s_waitcnt vmcnt(0) lgkmcnt(0)
	buffer_store_dword v12, off, s[0:3], 0 offset:36
	buffer_store_dword v11, off, s[0:3], 0 offset:32
	s_cbranch_scc1 .LBB68_32
; %bb.4:
	v_cmp_eq_u32_e64 s4, 0, v0
	s_and_saveexec_b32 s5, s4
; %bb.5:
	v_mov_b32_e32 v11, 0
	ds_write_b32 v11, v11 offset:40
; %bb.6:
	s_or_b32 exec_lo, exec_lo, s5
	v_lshl_add_u32 v15, v0, 3, 0
	s_waitcnt lgkmcnt(0)
	s_waitcnt_vscnt null, 0x0
	s_barrier
	buffer_gl0_inv
	s_clause 0x1
	buffer_load_dword v11, v15, s[0:3], 0 offen
	buffer_load_dword v12, v15, s[0:3], 0 offen offset:4
	s_waitcnt vmcnt(1)
	v_cmp_eq_f32_e32 vcc_lo, 0, v11
	s_waitcnt vmcnt(0)
	v_cmp_eq_f32_e64 s5, 0, v12
	s_and_b32 s5, vcc_lo, s5
	s_and_saveexec_b32 s8, s5
	s_cbranch_execz .LBB68_10
; %bb.7:
	v_mov_b32_e32 v11, 0
	s_mov_b32 s9, 0
	ds_read_b32 v12, v11 offset:40
	s_waitcnt lgkmcnt(0)
	v_readfirstlane_b32 s5, v12
	v_add_nc_u32_e32 v12, 1, v0
	s_cmp_eq_u32 s5, 0
	v_cmp_gt_i32_e32 vcc_lo, s5, v12
	s_cselect_b32 s14, -1, 0
	s_or_b32 s14, s14, vcc_lo
	s_and_b32 exec_lo, exec_lo, s14
	s_cbranch_execz .LBB68_10
; %bb.8:
	v_mov_b32_e32 v14, s5
.LBB68_9:                               ; =>This Inner Loop Header: Depth=1
	ds_cmpst_rtn_b32 v14, v11, v14, v12 offset:40
	s_waitcnt lgkmcnt(0)
	v_cmp_ne_u32_e32 vcc_lo, 0, v14
	v_cmp_le_i32_e64 s5, v14, v12
	s_and_b32 s5, vcc_lo, s5
	s_and_b32 s5, exec_lo, s5
	s_or_b32 s9, s5, s9
	s_andn2_b32 exec_lo, exec_lo, s9
	s_cbranch_execnz .LBB68_9
.LBB68_10:
	s_or_b32 exec_lo, exec_lo, s8
	v_mov_b32_e32 v11, 0
	s_barrier
	buffer_gl0_inv
	ds_read_b32 v12, v11 offset:40
	s_and_saveexec_b32 s5, s4
	s_cbranch_execz .LBB68_12
; %bb.11:
	s_lshl_b64 s[8:9], s[6:7], 2
	s_add_u32 s8, s10, s8
	s_addc_u32 s9, s11, s9
	s_waitcnt lgkmcnt(0)
	global_store_dword v11, v12, s[8:9]
.LBB68_12:
	s_or_b32 exec_lo, exec_lo, s5
	s_waitcnt lgkmcnt(0)
	v_cmp_ne_u32_e32 vcc_lo, 0, v12
	s_mov_b32 s5, 0
	s_cbranch_vccnz .LBB68_32
; %bb.13:
	s_clause 0x1
	buffer_load_dword v12, v15, s[0:3], 0 offen
	buffer_load_dword v14, v15, s[0:3], 0 offen offset:4
                                        ; implicit-def: $vgpr17
                                        ; implicit-def: $vgpr16
                                        ; implicit-def: $vgpr11
	s_waitcnt vmcnt(0)
	v_cmp_ngt_f32_e64 s5, |v12|, |v14|
	s_and_saveexec_b32 s8, s5
	s_xor_b32 s5, exec_lo, s8
	s_cbranch_execz .LBB68_15
; %bb.14:
	v_div_scale_f32 v11, null, v14, v14, v12
	v_div_scale_f32 v18, vcc_lo, v12, v14, v12
	v_rcp_f32_e32 v16, v11
	v_fma_f32 v17, -v11, v16, 1.0
	v_fmac_f32_e32 v16, v17, v16
	v_mul_f32_e32 v17, v18, v16
	v_fma_f32 v19, -v11, v17, v18
	v_fmac_f32_e32 v17, v19, v16
	v_fma_f32 v11, -v11, v17, v18
	v_div_fmas_f32 v11, v11, v16, v17
	v_div_fixup_f32 v11, v11, v14, v12
	v_fmac_f32_e32 v14, v12, v11
	v_div_scale_f32 v12, null, v14, v14, 1.0
	v_rcp_f32_e32 v16, v12
	v_fma_f32 v17, -v12, v16, 1.0
	v_fmac_f32_e32 v16, v17, v16
	v_div_scale_f32 v17, vcc_lo, 1.0, v14, 1.0
	v_mul_f32_e32 v18, v17, v16
	v_fma_f32 v19, -v12, v18, v17
	v_fmac_f32_e32 v18, v19, v16
	v_fma_f32 v12, -v12, v18, v17
	v_div_fmas_f32 v12, v12, v16, v18
	v_div_fixup_f32 v12, v12, v14, 1.0
                                        ; implicit-def: $vgpr14
	v_mul_f32_e32 v17, v11, v12
	v_xor_b32_e32 v16, 0x80000000, v12
                                        ; implicit-def: $vgpr12
	v_xor_b32_e32 v11, 0x80000000, v17
.LBB68_15:
	s_andn2_saveexec_b32 s5, s5
	s_cbranch_execz .LBB68_17
; %bb.16:
	v_div_scale_f32 v11, null, v12, v12, v14
	v_div_scale_f32 v18, vcc_lo, v14, v12, v14
	v_rcp_f32_e32 v16, v11
	v_fma_f32 v17, -v11, v16, 1.0
	v_fmac_f32_e32 v16, v17, v16
	v_mul_f32_e32 v17, v18, v16
	v_fma_f32 v19, -v11, v17, v18
	v_fmac_f32_e32 v17, v19, v16
	v_fma_f32 v11, -v11, v17, v18
	v_div_fmas_f32 v11, v11, v16, v17
	v_div_fixup_f32 v16, v11, v12, v14
	v_fmac_f32_e32 v12, v14, v16
	v_div_scale_f32 v11, null, v12, v12, 1.0
	v_div_scale_f32 v18, vcc_lo, 1.0, v12, 1.0
	v_rcp_f32_e32 v14, v11
	v_fma_f32 v17, -v11, v14, 1.0
	v_fmac_f32_e32 v14, v17, v14
	v_mul_f32_e32 v17, v18, v14
	v_fma_f32 v19, -v11, v17, v18
	v_fmac_f32_e32 v17, v19, v14
	v_fma_f32 v11, -v11, v17, v18
	v_div_fmas_f32 v11, v11, v14, v17
	v_div_fixup_f32 v17, v11, v12, 1.0
	v_xor_b32_e32 v11, 0x80000000, v17
	v_mul_f32_e64 v16, v16, -v17
.LBB68_17:
	s_or_b32 exec_lo, exec_lo, s5
	buffer_store_dword v17, v15, s[0:3], 0 offen
	buffer_store_dword v16, v15, s[0:3], 0 offen offset:4
	s_clause 0x1
	buffer_load_dword v18, off, s[0:3], 0 offset:12
	buffer_load_dword v17, off, s[0:3], 0 offset:8
	v_xor_b32_e32 v12, 0x80000000, v16
	v_add_nc_u32_e32 v14, 48, v13
	s_waitcnt vmcnt(0)
	ds_write2_b64 v13, v[11:12], v[17:18] offset1:6
	s_waitcnt lgkmcnt(0)
	s_waitcnt_vscnt null, 0x0
	s_barrier
	buffer_gl0_inv
	s_and_saveexec_b32 s5, s4
	s_cbranch_execz .LBB68_19
; %bb.18:
	s_clause 0x1
	buffer_load_dword v18, v15, s[0:3], 0 offen offset:4
	buffer_load_dword v19, v15, s[0:3], 0 offen
	ds_read_b64 v[11:12], v14
	v_mov_b32_e32 v16, 0
	ds_read_b64 v[16:17], v16 offset:8
	s_waitcnt vmcnt(1) lgkmcnt(1)
	v_mul_f32_e32 v20, v11, v18
	v_mul_f32_e32 v18, v12, v18
	s_waitcnt vmcnt(0)
	v_fmac_f32_e32 v20, v12, v19
	v_fma_f32 v11, v11, v19, -v18
	v_add_f32_e32 v12, 0, v20
	v_add_f32_e32 v11, 0, v11
	s_waitcnt lgkmcnt(0)
	v_mul_f32_e32 v18, v12, v17
	v_mul_f32_e32 v17, v11, v17
	v_fma_f32 v11, v11, v16, -v18
	v_fmac_f32_e32 v17, v12, v16
	buffer_store_dword v11, off, s[0:3], 0 offset:8
	buffer_store_dword v17, off, s[0:3], 0 offset:12
.LBB68_19:
	s_or_b32 exec_lo, exec_lo, s5
	s_waitcnt_vscnt null, 0x0
	s_barrier
	buffer_gl0_inv
	s_clause 0x1
	buffer_load_dword v11, off, s[0:3], 0 offset:16
	buffer_load_dword v12, off, s[0:3], 0 offset:20
	s_mov_b32 s5, exec_lo
	s_waitcnt vmcnt(0)
	ds_write_b64 v14, v[11:12]
	s_waitcnt lgkmcnt(0)
	s_barrier
	buffer_gl0_inv
	v_cmpx_gt_u32_e32 2, v0
	s_cbranch_execz .LBB68_23
; %bb.20:
	s_clause 0x1
	buffer_load_dword v16, v15, s[0:3], 0 offen offset:4
	buffer_load_dword v15, v15, s[0:3], 0 offen
	ds_read_b64 v[11:12], v14
	s_waitcnt vmcnt(1) lgkmcnt(0)
	v_mul_f32_e32 v17, v12, v16
	v_mul_f32_e32 v16, v11, v16
	s_waitcnt vmcnt(0)
	v_fma_f32 v11, v11, v15, -v17
	v_fmac_f32_e32 v16, v12, v15
	v_add_f32_e32 v12, 0, v11
	v_add_f32_e32 v11, 0, v16
	s_and_saveexec_b32 s8, s4
	s_cbranch_execz .LBB68_22
; %bb.21:
	s_clause 0x1
	buffer_load_dword v17, off, s[0:3], 0 offset:12
	buffer_load_dword v18, off, s[0:3], 0 offset:8
	v_mov_b32_e32 v15, 0
	ds_read_b64 v[15:16], v15 offset:56
	s_waitcnt vmcnt(1) lgkmcnt(0)
	v_mul_f32_e32 v19, v15, v17
	v_mul_f32_e32 v17, v16, v17
	s_waitcnt vmcnt(0)
	v_fmac_f32_e32 v19, v16, v18
	v_fma_f32 v15, v15, v18, -v17
	v_add_f32_e32 v11, v11, v19
	v_add_f32_e32 v12, v12, v15
.LBB68_22:
	s_or_b32 exec_lo, exec_lo, s8
	v_mov_b32_e32 v15, 0
	ds_read_b64 v[15:16], v15 offset:16
	s_waitcnt lgkmcnt(0)
	v_mul_f32_e32 v17, v11, v16
	v_mul_f32_e32 v16, v12, v16
	v_fma_f32 v12, v12, v15, -v17
	v_fmac_f32_e32 v16, v11, v15
	buffer_store_dword v12, off, s[0:3], 0 offset:16
	buffer_store_dword v16, off, s[0:3], 0 offset:20
.LBB68_23:
	s_or_b32 exec_lo, exec_lo, s5
	s_waitcnt_vscnt null, 0x0
	s_barrier
	buffer_gl0_inv
	s_clause 0x1
	buffer_load_dword v15, off, s[0:3], 0 offset:24
	buffer_load_dword v16, off, s[0:3], 0 offset:28
	v_add_nc_u32_e32 v11, -1, v0
	s_mov_b32 s4, exec_lo
	s_waitcnt vmcnt(0)
	ds_write_b64 v14, v[15:16]
	s_waitcnt lgkmcnt(0)
	s_barrier
	buffer_gl0_inv
	v_cmpx_gt_u32_e32 3, v0
	s_cbranch_execz .LBB68_27
; %bb.24:
	v_add_nc_u32_e32 v15, -1, v0
	v_add_nc_u32_e32 v16, 48, v13
	v_mov_b32_e32 v17, v13
	v_mov_b32_e32 v12, 0
	;; [unrolled: 1-line block ×3, first 2 shown]
	s_mov_b32 s5, 0
	.p2align	6
.LBB68_25:                              ; =>This Inner Loop Header: Depth=1
	s_clause 0x1
	buffer_load_dword v21, v17, s[0:3], 0 offen offset:4
	buffer_load_dword v22, v17, s[0:3], 0 offen
	ds_read_b64 v[19:20], v16
	v_add_nc_u32_e32 v15, 1, v15
	v_add_nc_u32_e32 v16, 8, v16
	;; [unrolled: 1-line block ×3, first 2 shown]
	v_cmp_lt_u32_e32 vcc_lo, 1, v15
	s_or_b32 s5, vcc_lo, s5
	s_waitcnt vmcnt(1) lgkmcnt(0)
	v_mul_f32_e32 v23, v20, v21
	v_mul_f32_e32 v21, v19, v21
	s_waitcnt vmcnt(0)
	v_fma_f32 v19, v19, v22, -v23
	v_fmac_f32_e32 v21, v20, v22
	v_add_f32_e32 v18, v18, v19
	v_add_f32_e32 v12, v12, v21
	s_andn2_b32 exec_lo, exec_lo, s5
	s_cbranch_execnz .LBB68_25
; %bb.26:
	s_or_b32 exec_lo, exec_lo, s5
	v_mov_b32_e32 v15, 0
	ds_read_b64 v[15:16], v15 offset:24
	s_waitcnt lgkmcnt(0)
	v_mul_f32_e32 v17, v12, v16
	v_mul_f32_e32 v16, v18, v16
	v_fma_f32 v17, v18, v15, -v17
	v_fmac_f32_e32 v16, v12, v15
	buffer_store_dword v17, off, s[0:3], 0 offset:24
	buffer_store_dword v16, off, s[0:3], 0 offset:28
.LBB68_27:
	s_or_b32 exec_lo, exec_lo, s4
	s_waitcnt_vscnt null, 0x0
	s_barrier
	buffer_gl0_inv
	s_clause 0x1
	buffer_load_dword v15, off, s[0:3], 0 offset:32
	buffer_load_dword v16, off, s[0:3], 0 offset:36
	s_mov_b32 s4, exec_lo
	s_waitcnt vmcnt(0)
	ds_write_b64 v14, v[15:16]
	s_waitcnt lgkmcnt(0)
	s_barrier
	buffer_gl0_inv
	v_cmpx_ne_u32_e32 4, v0
	s_cbranch_execz .LBB68_31
; %bb.28:
	v_mov_b32_e32 v12, 0
	v_mov_b32_e32 v15, 0
	s_mov_b32 s5, 0
	.p2align	6
.LBB68_29:                              ; =>This Inner Loop Header: Depth=1
	s_clause 0x1
	buffer_load_dword v18, v13, s[0:3], 0 offen offset:4
	buffer_load_dword v19, v13, s[0:3], 0 offen
	ds_read_b64 v[16:17], v14
	v_add_nc_u32_e32 v11, 1, v11
	v_add_nc_u32_e32 v14, 8, v14
	;; [unrolled: 1-line block ×3, first 2 shown]
	v_cmp_lt_u32_e32 vcc_lo, 2, v11
	s_or_b32 s5, vcc_lo, s5
	s_waitcnt vmcnt(1) lgkmcnt(0)
	v_mul_f32_e32 v20, v17, v18
	v_mul_f32_e32 v18, v16, v18
	s_waitcnt vmcnt(0)
	v_fma_f32 v16, v16, v19, -v20
	v_fmac_f32_e32 v18, v17, v19
	v_add_f32_e32 v15, v15, v16
	v_add_f32_e32 v12, v12, v18
	s_andn2_b32 exec_lo, exec_lo, s5
	s_cbranch_execnz .LBB68_29
; %bb.30:
	s_or_b32 exec_lo, exec_lo, s5
	v_mov_b32_e32 v11, 0
	ds_read_b64 v[13:14], v11 offset:32
	s_waitcnt lgkmcnt(0)
	v_mul_f32_e32 v11, v12, v14
	v_mul_f32_e32 v14, v15, v14
	v_fma_f32 v11, v15, v13, -v11
	v_fmac_f32_e32 v14, v12, v13
	buffer_store_dword v11, off, s[0:3], 0 offset:32
	buffer_store_dword v14, off, s[0:3], 0 offset:36
.LBB68_31:
	s_or_b32 exec_lo, exec_lo, s4
	s_mov_b32 s5, -1
	s_waitcnt_vscnt null, 0x0
	s_barrier
	buffer_gl0_inv
.LBB68_32:
	s_and_b32 vcc_lo, exec_lo, s5
	s_cbranch_vccz .LBB68_34
; %bb.33:
	s_lshl_b64 s[4:5], s[6:7], 2
	v_mov_b32_e32 v11, 0
	s_add_u32 s4, s10, s4
	s_addc_u32 s5, s11, s5
	global_load_dword v11, v11, s[4:5]
	s_waitcnt vmcnt(0)
	v_cmp_ne_u32_e32 vcc_lo, 0, v11
	s_cbranch_vccz .LBB68_35
.LBB68_34:
	s_endpgm
.LBB68_35:
	v_lshl_add_u32 v11, v0, 3, 48
	s_mov_b32 s4, exec_lo
	v_cmpx_eq_u32_e32 4, v0
	s_cbranch_execz .LBB68_37
; %bb.36:
	s_clause 0x1
	buffer_load_dword v12, off, s[0:3], 0 offset:24
	buffer_load_dword v13, off, s[0:3], 0 offset:28
	v_mov_b32_e32 v14, 0
	buffer_store_dword v14, off, s[0:3], 0 offset:24
	buffer_store_dword v14, off, s[0:3], 0 offset:28
	s_waitcnt vmcnt(0)
	ds_write_b64 v11, v[12:13]
.LBB68_37:
	s_or_b32 exec_lo, exec_lo, s4
	s_waitcnt lgkmcnt(0)
	s_waitcnt_vscnt null, 0x0
	s_barrier
	buffer_gl0_inv
	s_clause 0x3
	buffer_load_dword v15, off, s[0:3], 0 offset:36
	buffer_load_dword v16, off, s[0:3], 0 offset:32
	;; [unrolled: 1-line block ×4, first 2 shown]
	v_mov_b32_e32 v12, 0
	s_mov_b32 s4, exec_lo
	ds_read_b64 v[13:14], v12 offset:80
	s_waitcnt vmcnt(3) lgkmcnt(0)
	v_mul_f32_e32 v19, v14, v15
	v_mul_f32_e32 v15, v13, v15
	s_waitcnt vmcnt(2)
	v_fma_f32 v13, v13, v16, -v19
	v_fmac_f32_e32 v15, v14, v16
	v_add_f32_e32 v13, 0, v13
	v_add_f32_e32 v14, 0, v15
	s_waitcnt vmcnt(1)
	v_sub_f32_e32 v13, v17, v13
	s_waitcnt vmcnt(0)
	v_sub_f32_e32 v14, v18, v14
	buffer_store_dword v13, off, s[0:3], 0 offset:24
	buffer_store_dword v14, off, s[0:3], 0 offset:28
	v_cmpx_lt_u32_e32 2, v0
	s_cbranch_execz .LBB68_39
; %bb.38:
	s_clause 0x1
	buffer_load_dword v13, off, s[0:3], 0 offset:16
	buffer_load_dword v14, off, s[0:3], 0 offset:20
	buffer_store_dword v12, off, s[0:3], 0 offset:16
	buffer_store_dword v12, off, s[0:3], 0 offset:20
	s_waitcnt vmcnt(0)
	ds_write_b64 v11, v[13:14]
.LBB68_39:
	s_or_b32 exec_lo, exec_lo, s4
	s_waitcnt lgkmcnt(0)
	s_waitcnt_vscnt null, 0x0
	s_barrier
	buffer_gl0_inv
	s_clause 0x5
	buffer_load_dword v16, off, s[0:3], 0 offset:28
	buffer_load_dword v17, off, s[0:3], 0 offset:36
	;; [unrolled: 1-line block ×6, first 2 shown]
	ds_read2_b64 v[12:15], v12 offset0:9 offset1:10
	s_mov_b32 s4, exec_lo
	s_waitcnt vmcnt(5) lgkmcnt(0)
	v_mul_f32_e32 v22, v13, v16
	v_mul_f32_e32 v16, v12, v16
	s_waitcnt vmcnt(4)
	v_mul_f32_e32 v23, v14, v17
	v_mul_f32_e32 v17, v15, v17
	s_waitcnt vmcnt(3)
	v_fma_f32 v12, v12, v18, -v22
	v_fmac_f32_e32 v16, v13, v18
	s_waitcnt vmcnt(2)
	v_fmac_f32_e32 v23, v15, v19
	v_fma_f32 v13, v14, v19, -v17
	v_add_f32_e32 v12, 0, v12
	v_add_f32_e32 v14, 0, v16
	;; [unrolled: 1-line block ×4, first 2 shown]
	s_waitcnt vmcnt(1)
	v_sub_f32_e32 v12, v20, v12
	s_waitcnt vmcnt(0)
	v_sub_f32_e32 v13, v21, v13
	buffer_store_dword v12, off, s[0:3], 0 offset:16
	buffer_store_dword v13, off, s[0:3], 0 offset:20
	v_cmpx_lt_u32_e32 1, v0
	s_cbranch_execz .LBB68_41
; %bb.40:
	s_clause 0x1
	buffer_load_dword v12, off, s[0:3], 0 offset:8
	buffer_load_dword v13, off, s[0:3], 0 offset:12
	v_mov_b32_e32 v14, 0
	buffer_store_dword v14, off, s[0:3], 0 offset:8
	buffer_store_dword v14, off, s[0:3], 0 offset:12
	s_waitcnt vmcnt(0)
	ds_write_b64 v11, v[12:13]
.LBB68_41:
	s_or_b32 exec_lo, exec_lo, s4
	s_waitcnt lgkmcnt(0)
	s_waitcnt_vscnt null, 0x0
	s_barrier
	buffer_gl0_inv
	s_clause 0x7
	buffer_load_dword v19, off, s[0:3], 0 offset:20
	buffer_load_dword v20, off, s[0:3], 0 offset:28
	;; [unrolled: 1-line block ×8, first 2 shown]
	v_mov_b32_e32 v12, 0
	ds_read_b128 v[13:16], v12 offset:64
	ds_read_b64 v[17:18], v12 offset:80
	s_mov_b32 s4, exec_lo
	s_waitcnt vmcnt(7) lgkmcnt(1)
	v_mul_f32_e32 v27, v14, v19
	v_mul_f32_e32 v19, v13, v19
	s_waitcnt vmcnt(6)
	v_mul_f32_e32 v28, v15, v20
	v_mul_f32_e32 v20, v16, v20
	s_waitcnt vmcnt(5) lgkmcnt(0)
	v_mul_f32_e32 v29, v17, v21
	s_waitcnt vmcnt(4)
	v_fma_f32 v13, v13, v22, -v27
	v_fmac_f32_e32 v19, v14, v22
	v_mul_f32_e32 v14, v18, v21
	s_waitcnt vmcnt(3)
	v_fma_f32 v15, v15, v23, -v20
	v_fmac_f32_e32 v28, v16, v23
	v_add_f32_e32 v13, 0, v13
	v_add_f32_e32 v16, 0, v19
	s_waitcnt vmcnt(2)
	v_fma_f32 v14, v17, v24, -v14
	v_fmac_f32_e32 v29, v18, v24
	v_add_f32_e32 v13, v13, v15
	v_add_f32_e32 v15, v16, v28
	;; [unrolled: 1-line block ×4, first 2 shown]
	s_waitcnt vmcnt(1)
	v_sub_f32_e32 v13, v25, v13
	s_waitcnt vmcnt(0)
	v_sub_f32_e32 v14, v26, v14
	buffer_store_dword v13, off, s[0:3], 0 offset:8
	buffer_store_dword v14, off, s[0:3], 0 offset:12
	v_cmpx_ne_u32_e32 0, v0
	s_cbranch_execz .LBB68_43
; %bb.42:
	s_clause 0x1
	buffer_load_dword v13, off, s[0:3], 0
	buffer_load_dword v14, off, s[0:3], 0 offset:4
	buffer_store_dword v12, off, s[0:3], 0
	buffer_store_dword v12, off, s[0:3], 0 offset:4
	s_waitcnt vmcnt(0)
	ds_write_b64 v11, v[13:14]
.LBB68_43:
	s_or_b32 exec_lo, exec_lo, s4
	s_waitcnt lgkmcnt(0)
	s_waitcnt_vscnt null, 0x0
	s_barrier
	buffer_gl0_inv
	s_clause 0x9
	buffer_load_dword v21, off, s[0:3], 0 offset:12
	buffer_load_dword v22, off, s[0:3], 0 offset:20
	;; [unrolled: 1-line block ×8, first 2 shown]
	buffer_load_dword v27, off, s[0:3], 0
	buffer_load_dword v28, off, s[0:3], 0 offset:4
	ds_read2_b64 v[13:16], v12 offset0:7 offset1:8
	ds_read2_b64 v[17:20], v12 offset0:9 offset1:10
	s_and_b32 vcc_lo, exec_lo, s16
	s_waitcnt vmcnt(9) lgkmcnt(1)
	v_mul_f32_e32 v12, v13, v21
	v_mul_f32_e32 v21, v14, v21
	s_waitcnt vmcnt(8)
	v_mul_f32_e32 v29, v15, v22
	v_mul_f32_e32 v22, v16, v22
	s_waitcnt vmcnt(7) lgkmcnt(0)
	v_mul_f32_e32 v30, v17, v0
	s_waitcnt vmcnt(5)
	v_fmac_f32_e32 v12, v14, v24
	v_fma_f32 v13, v13, v24, -v21
	v_mul_f32_e32 v14, v18, v0
	s_waitcnt vmcnt(4)
	v_fma_f32 v15, v15, v25, -v22
	v_fmac_f32_e32 v29, v16, v25
	v_add_f32_e32 v12, 0, v12
	v_add_f32_e32 v13, 0, v13
	v_mul_f32_e32 v16, v20, v23
	s_waitcnt vmcnt(3)
	v_fma_f32 v14, v17, v11, -v14
	v_mul_f32_e32 v31, v19, v23
	v_fmac_f32_e32 v30, v18, v11
	v_add_f32_e32 v13, v13, v15
	v_add_f32_e32 v12, v12, v29
	s_waitcnt vmcnt(2)
	v_fma_f32 v15, v19, v26, -v16
	v_fmac_f32_e32 v31, v20, v26
	v_add_f32_e32 v13, v13, v14
	v_add_f32_e32 v12, v12, v30
	;; [unrolled: 1-line block ×4, first 2 shown]
	s_waitcnt vmcnt(1)
	v_sub_f32_e32 v13, v27, v13
	s_waitcnt vmcnt(0)
	v_sub_f32_e32 v12, v28, v12
	buffer_store_dword v13, off, s[0:3], 0
	buffer_store_dword v12, off, s[0:3], 0 offset:4
	s_cbranch_vccz .LBB68_52
; %bb.44:
	v_mov_b32_e32 v12, 0
	global_load_dword v13, v12, s[12:13] offset:12
	s_waitcnt vmcnt(0)
	v_add_nc_u32_e32 v13, -1, v13
	v_cmp_ne_u32_e32 vcc_lo, 3, v13
	s_cbranch_vccz .LBB68_46
; %bb.45:
	v_lshlrev_b32_e32 v13, 3, v13
	s_clause 0x1
	buffer_load_dword v14, v13, s[0:3], 0 offen
	buffer_load_dword v15, v13, s[0:3], 0 offen offset:4
	s_waitcnt vmcnt(1)
	buffer_store_dword v14, off, s[0:3], 0 offset:24
	s_waitcnt vmcnt(0)
	buffer_store_dword v15, off, s[0:3], 0 offset:28
	buffer_store_dword v11, v13, s[0:3], 0 offen
	buffer_store_dword v0, v13, s[0:3], 0 offen offset:4
.LBB68_46:
	global_load_dword v0, v12, s[12:13] offset:8
	s_waitcnt vmcnt(0)
	v_add_nc_u32_e32 v0, -1, v0
	v_cmp_eq_u32_e32 vcc_lo, 2, v0
	s_cbranch_vccnz .LBB68_48
; %bb.47:
	v_lshlrev_b32_e32 v0, 3, v0
	s_clause 0x3
	buffer_load_dword v11, v0, s[0:3], 0 offen
	buffer_load_dword v12, v0, s[0:3], 0 offen offset:4
	buffer_load_dword v13, off, s[0:3], 0 offset:20
	buffer_load_dword v14, off, s[0:3], 0 offset:16
	s_waitcnt vmcnt(3)
	buffer_store_dword v11, off, s[0:3], 0 offset:16
	s_waitcnt vmcnt(2)
	buffer_store_dword v12, off, s[0:3], 0 offset:20
	s_waitcnt vmcnt(1)
	buffer_store_dword v13, v0, s[0:3], 0 offen offset:4
	s_waitcnt vmcnt(0)
	buffer_store_dword v14, v0, s[0:3], 0 offen
.LBB68_48:
	v_mov_b32_e32 v0, 0
	global_load_dword v11, v0, s[12:13] offset:4
	s_waitcnt vmcnt(0)
	v_add_nc_u32_e32 v11, -1, v11
	v_cmp_eq_u32_e32 vcc_lo, 1, v11
	s_cbranch_vccnz .LBB68_50
; %bb.49:
	v_lshlrev_b32_e32 v11, 3, v11
	s_clause 0x3
	buffer_load_dword v12, v11, s[0:3], 0 offen
	buffer_load_dword v13, v11, s[0:3], 0 offen offset:4
	buffer_load_dword v14, off, s[0:3], 0 offset:8
	buffer_load_dword v15, off, s[0:3], 0 offset:12
	s_waitcnt vmcnt(3)
	buffer_store_dword v12, off, s[0:3], 0 offset:8
	s_waitcnt vmcnt(2)
	buffer_store_dword v13, off, s[0:3], 0 offset:12
	s_waitcnt vmcnt(1)
	buffer_store_dword v14, v11, s[0:3], 0 offen
	s_waitcnt vmcnt(0)
	buffer_store_dword v15, v11, s[0:3], 0 offen offset:4
.LBB68_50:
	global_load_dword v0, v0, s[12:13]
	s_waitcnt vmcnt(0)
	v_add_nc_u32_e32 v0, -1, v0
	v_cmp_eq_u32_e32 vcc_lo, 0, v0
	s_cbranch_vccnz .LBB68_52
; %bb.51:
	v_lshlrev_b32_e32 v0, 3, v0
	s_clause 0x3
	buffer_load_dword v11, v0, s[0:3], 0 offen
	buffer_load_dword v12, v0, s[0:3], 0 offen offset:4
	buffer_load_dword v13, off, s[0:3], 0 offset:4
	buffer_load_dword v14, off, s[0:3], 0
	s_waitcnt vmcnt(3)
	buffer_store_dword v11, off, s[0:3], 0
	s_waitcnt vmcnt(2)
	buffer_store_dword v12, off, s[0:3], 0 offset:4
	s_waitcnt vmcnt(1)
	buffer_store_dword v13, v0, s[0:3], 0 offen offset:4
	s_waitcnt vmcnt(0)
	buffer_store_dword v14, v0, s[0:3], 0 offen
.LBB68_52:
	s_clause 0x1
	buffer_load_dword v11, off, s[0:3], 0
	buffer_load_dword v12, off, s[0:3], 0 offset:4
	s_waitcnt vmcnt(0)
	flat_store_dwordx2 v[1:2], v[11:12]
	s_clause 0x1
	buffer_load_dword v0, off, s[0:3], 0 offset:8
	buffer_load_dword v1, off, s[0:3], 0 offset:12
	s_waitcnt vmcnt(0)
	flat_store_dwordx2 v[3:4], v[0:1]
	s_clause 0x1
	buffer_load_dword v0, off, s[0:3], 0 offset:16
	;; [unrolled: 5-line block ×4, first 2 shown]
	buffer_load_dword v1, off, s[0:3], 0 offset:36
	s_waitcnt vmcnt(0)
	flat_store_dwordx2 v[9:10], v[0:1]
	s_endpgm
	.section	.rodata,"a",@progbits
	.p2align	6, 0x0
	.amdhsa_kernel _ZN9rocsolver6v33100L18getri_kernel_smallILi5E19rocblas_complex_numIfEPKPS3_EEvT1_iilPiilS8_bb
		.amdhsa_group_segment_fixed_size 88
		.amdhsa_private_segment_fixed_size 48
		.amdhsa_kernarg_size 60
		.amdhsa_user_sgpr_count 6
		.amdhsa_user_sgpr_private_segment_buffer 1
		.amdhsa_user_sgpr_dispatch_ptr 0
		.amdhsa_user_sgpr_queue_ptr 0
		.amdhsa_user_sgpr_kernarg_segment_ptr 1
		.amdhsa_user_sgpr_dispatch_id 0
		.amdhsa_user_sgpr_flat_scratch_init 0
		.amdhsa_user_sgpr_private_segment_size 0
		.amdhsa_wavefront_size32 1
		.amdhsa_uses_dynamic_stack 0
		.amdhsa_system_sgpr_private_segment_wavefront_offset 1
		.amdhsa_system_sgpr_workgroup_id_x 1
		.amdhsa_system_sgpr_workgroup_id_y 0
		.amdhsa_system_sgpr_workgroup_id_z 0
		.amdhsa_system_sgpr_workgroup_info 0
		.amdhsa_system_vgpr_workitem_id 0
		.amdhsa_next_free_vgpr 32
		.amdhsa_next_free_sgpr 20
		.amdhsa_reserve_vcc 1
		.amdhsa_reserve_flat_scratch 0
		.amdhsa_float_round_mode_32 0
		.amdhsa_float_round_mode_16_64 0
		.amdhsa_float_denorm_mode_32 3
		.amdhsa_float_denorm_mode_16_64 3
		.amdhsa_dx10_clamp 1
		.amdhsa_ieee_mode 1
		.amdhsa_fp16_overflow 0
		.amdhsa_workgroup_processor_mode 1
		.amdhsa_memory_ordered 1
		.amdhsa_forward_progress 1
		.amdhsa_shared_vgpr_count 0
		.amdhsa_exception_fp_ieee_invalid_op 0
		.amdhsa_exception_fp_denorm_src 0
		.amdhsa_exception_fp_ieee_div_zero 0
		.amdhsa_exception_fp_ieee_overflow 0
		.amdhsa_exception_fp_ieee_underflow 0
		.amdhsa_exception_fp_ieee_inexact 0
		.amdhsa_exception_int_div_zero 0
	.end_amdhsa_kernel
	.section	.text._ZN9rocsolver6v33100L18getri_kernel_smallILi5E19rocblas_complex_numIfEPKPS3_EEvT1_iilPiilS8_bb,"axG",@progbits,_ZN9rocsolver6v33100L18getri_kernel_smallILi5E19rocblas_complex_numIfEPKPS3_EEvT1_iilPiilS8_bb,comdat
.Lfunc_end68:
	.size	_ZN9rocsolver6v33100L18getri_kernel_smallILi5E19rocblas_complex_numIfEPKPS3_EEvT1_iilPiilS8_bb, .Lfunc_end68-_ZN9rocsolver6v33100L18getri_kernel_smallILi5E19rocblas_complex_numIfEPKPS3_EEvT1_iilPiilS8_bb
                                        ; -- End function
	.set _ZN9rocsolver6v33100L18getri_kernel_smallILi5E19rocblas_complex_numIfEPKPS3_EEvT1_iilPiilS8_bb.num_vgpr, 32
	.set _ZN9rocsolver6v33100L18getri_kernel_smallILi5E19rocblas_complex_numIfEPKPS3_EEvT1_iilPiilS8_bb.num_agpr, 0
	.set _ZN9rocsolver6v33100L18getri_kernel_smallILi5E19rocblas_complex_numIfEPKPS3_EEvT1_iilPiilS8_bb.numbered_sgpr, 20
	.set _ZN9rocsolver6v33100L18getri_kernel_smallILi5E19rocblas_complex_numIfEPKPS3_EEvT1_iilPiilS8_bb.num_named_barrier, 0
	.set _ZN9rocsolver6v33100L18getri_kernel_smallILi5E19rocblas_complex_numIfEPKPS3_EEvT1_iilPiilS8_bb.private_seg_size, 48
	.set _ZN9rocsolver6v33100L18getri_kernel_smallILi5E19rocblas_complex_numIfEPKPS3_EEvT1_iilPiilS8_bb.uses_vcc, 1
	.set _ZN9rocsolver6v33100L18getri_kernel_smallILi5E19rocblas_complex_numIfEPKPS3_EEvT1_iilPiilS8_bb.uses_flat_scratch, 0
	.set _ZN9rocsolver6v33100L18getri_kernel_smallILi5E19rocblas_complex_numIfEPKPS3_EEvT1_iilPiilS8_bb.has_dyn_sized_stack, 0
	.set _ZN9rocsolver6v33100L18getri_kernel_smallILi5E19rocblas_complex_numIfEPKPS3_EEvT1_iilPiilS8_bb.has_recursion, 0
	.set _ZN9rocsolver6v33100L18getri_kernel_smallILi5E19rocblas_complex_numIfEPKPS3_EEvT1_iilPiilS8_bb.has_indirect_call, 0
	.section	.AMDGPU.csdata,"",@progbits
; Kernel info:
; codeLenInByte = 4004
; TotalNumSgprs: 22
; NumVgprs: 32
; ScratchSize: 48
; MemoryBound: 0
; FloatMode: 240
; IeeeMode: 1
; LDSByteSize: 88 bytes/workgroup (compile time only)
; SGPRBlocks: 0
; VGPRBlocks: 3
; NumSGPRsForWavesPerEU: 22
; NumVGPRsForWavesPerEU: 32
; Occupancy: 16
; WaveLimiterHint : 1
; COMPUTE_PGM_RSRC2:SCRATCH_EN: 1
; COMPUTE_PGM_RSRC2:USER_SGPR: 6
; COMPUTE_PGM_RSRC2:TRAP_HANDLER: 0
; COMPUTE_PGM_RSRC2:TGID_X_EN: 1
; COMPUTE_PGM_RSRC2:TGID_Y_EN: 0
; COMPUTE_PGM_RSRC2:TGID_Z_EN: 0
; COMPUTE_PGM_RSRC2:TIDIG_COMP_CNT: 0
	.section	.text._ZN9rocsolver6v33100L18getri_kernel_smallILi6E19rocblas_complex_numIfEPKPS3_EEvT1_iilPiilS8_bb,"axG",@progbits,_ZN9rocsolver6v33100L18getri_kernel_smallILi6E19rocblas_complex_numIfEPKPS3_EEvT1_iilPiilS8_bb,comdat
	.globl	_ZN9rocsolver6v33100L18getri_kernel_smallILi6E19rocblas_complex_numIfEPKPS3_EEvT1_iilPiilS8_bb ; -- Begin function _ZN9rocsolver6v33100L18getri_kernel_smallILi6E19rocblas_complex_numIfEPKPS3_EEvT1_iilPiilS8_bb
	.p2align	8
	.type	_ZN9rocsolver6v33100L18getri_kernel_smallILi6E19rocblas_complex_numIfEPKPS3_EEvT1_iilPiilS8_bb,@function
_ZN9rocsolver6v33100L18getri_kernel_smallILi6E19rocblas_complex_numIfEPKPS3_EEvT1_iilPiilS8_bb: ; @_ZN9rocsolver6v33100L18getri_kernel_smallILi6E19rocblas_complex_numIfEPKPS3_EEvT1_iilPiilS8_bb
; %bb.0:
	s_add_u32 s0, s0, s7
	s_addc_u32 s1, s1, 0
	s_mov_b32 s7, exec_lo
	v_cmpx_gt_u32_e32 6, v0
	s_cbranch_execz .LBB69_38
; %bb.1:
	s_clause 0x2
	s_load_dword s17, s[4:5], 0x38
	s_load_dwordx2 s[12:13], s[4:5], 0x0
	s_load_dwordx4 s[8:11], s[4:5], 0x28
	s_waitcnt lgkmcnt(0)
	s_bitcmp1_b32 s17, 8
	s_cselect_b32 s16, -1, 0
	s_ashr_i32 s7, s6, 31
	s_lshl_b64 s[14:15], s[6:7], 3
	s_add_u32 s12, s12, s14
	s_addc_u32 s13, s13, s15
	s_load_dwordx2 s[14:15], s[12:13], 0x0
	s_bfe_u32 s12, s17, 0x10008
	s_cmp_eq_u32 s12, 0
                                        ; implicit-def: $sgpr12_sgpr13
	s_cbranch_scc1 .LBB69_3
; %bb.2:
	s_clause 0x1
	s_load_dword s12, s[4:5], 0x20
	s_load_dwordx2 s[18:19], s[4:5], 0x18
	s_mul_i32 s13, s8, s7
	s_mul_hi_u32 s17, s8, s6
	s_mul_i32 s9, s9, s6
	s_add_i32 s13, s17, s13
	s_mul_i32 s8, s8, s6
	s_add_i32 s9, s13, s9
	s_lshl_b64 s[8:9], s[8:9], 2
	s_waitcnt lgkmcnt(0)
	s_ashr_i32 s13, s12, 31
	s_add_u32 s17, s18, s8
	s_addc_u32 s18, s19, s9
	s_lshl_b64 s[8:9], s[12:13], 2
	s_add_u32 s12, s17, s8
	s_addc_u32 s13, s18, s9
.LBB69_3:
	s_clause 0x1
	s_load_dwordx2 s[8:9], s[4:5], 0x8
	s_load_dword s17, s[4:5], 0x38
	v_lshlrev_b32_e32 v15, 3, v0
	s_waitcnt lgkmcnt(0)
	s_ashr_i32 s5, s8, 31
	s_mov_b32 s4, s8
	v_add3_u32 v9, s9, s9, v0
	s_lshl_b64 s[4:5], s[4:5], 3
	s_add_u32 s8, s14, s4
	s_addc_u32 s14, s15, s5
	v_add_co_u32 v1, s4, s8, v15
	v_add_co_ci_u32_e64 v2, null, s14, 0, s4
	s_mov_b32 s4, s9
	s_ashr_i32 s5, s9, 31
	v_ashrrev_i32_e32 v10, 31, v9
	flat_load_dwordx2 v[5:6], v[1:2]
	s_lshl_b64 s[4:5], s[4:5], 3
	v_add_nc_u32_e32 v12, s9, v9
	v_add_co_u32 v3, vcc_lo, v1, s4
	v_add_co_ci_u32_e64 v4, null, s5, v2, vcc_lo
	v_ashrrev_i32_e32 v13, 31, v12
	s_mov_b32 s5, -1
	s_bitcmp0_b32 s17, 0
	s_waitcnt vmcnt(0) lgkmcnt(0)
	buffer_store_dword v6, off, s[0:3], 0 offset:4
	buffer_store_dword v5, off, s[0:3], 0
	flat_load_dwordx2 v[7:8], v[3:4]
	v_lshlrev_b64 v[5:6], 3, v[9:10]
	s_waitcnt vmcnt(0) lgkmcnt(0)
	buffer_store_dword v8, off, s[0:3], 0 offset:12
	buffer_store_dword v7, off, s[0:3], 0 offset:8
	v_add_co_u32 v5, vcc_lo, s8, v5
	v_add_co_ci_u32_e64 v6, null, s14, v6, vcc_lo
	v_lshlrev_b64 v[7:8], 3, v[12:13]
	flat_load_dwordx2 v[10:11], v[5:6]
	s_waitcnt vmcnt(0) lgkmcnt(0)
	buffer_store_dword v11, off, s[0:3], 0 offset:20
	buffer_store_dword v10, off, s[0:3], 0 offset:16
	v_add_co_u32 v7, vcc_lo, s8, v7
	v_add_co_ci_u32_e64 v8, null, s14, v8, vcc_lo
	v_add_nc_u32_e32 v11, s9, v12
	flat_load_dwordx2 v[13:14], v[7:8]
	s_waitcnt vmcnt(0) lgkmcnt(0)
	buffer_store_dword v14, off, s[0:3], 0 offset:28
	buffer_store_dword v13, off, s[0:3], 0 offset:24
	v_ashrrev_i32_e32 v12, 31, v11
	v_lshlrev_b64 v[9:10], 3, v[11:12]
	v_add_nc_u32_e32 v11, s9, v11
	v_add_co_u32 v9, vcc_lo, s8, v9
	v_add_co_ci_u32_e64 v10, null, s14, v10, vcc_lo
	v_ashrrev_i32_e32 v12, 31, v11
	flat_load_dwordx2 v[13:14], v[9:10]
	s_waitcnt vmcnt(0) lgkmcnt(0)
	buffer_store_dword v14, off, s[0:3], 0 offset:36
	buffer_store_dword v13, off, s[0:3], 0 offset:32
	v_lshlrev_b64 v[11:12], 3, v[11:12]
	v_add_co_u32 v11, vcc_lo, s8, v11
	v_add_co_ci_u32_e64 v12, null, s14, v12, vcc_lo
	flat_load_dwordx2 v[13:14], v[11:12]
	s_waitcnt vmcnt(0) lgkmcnt(0)
	buffer_store_dword v14, off, s[0:3], 0 offset:44
	buffer_store_dword v13, off, s[0:3], 0 offset:40
	s_cbranch_scc1 .LBB69_36
; %bb.4:
	v_cmp_eq_u32_e64 s4, 0, v0
	s_and_saveexec_b32 s5, s4
; %bb.5:
	v_mov_b32_e32 v13, 0
	ds_write_b32 v13, v13 offset:96
; %bb.6:
	s_or_b32 exec_lo, exec_lo, s5
	v_lshl_add_u32 v17, v0, 3, 0
	s_waitcnt lgkmcnt(0)
	s_waitcnt_vscnt null, 0x0
	s_barrier
	buffer_gl0_inv
	s_clause 0x1
	buffer_load_dword v13, v17, s[0:3], 0 offen
	buffer_load_dword v14, v17, s[0:3], 0 offen offset:4
	s_waitcnt vmcnt(1)
	v_cmp_eq_f32_e32 vcc_lo, 0, v13
	s_waitcnt vmcnt(0)
	v_cmp_eq_f32_e64 s5, 0, v14
	s_and_b32 s5, vcc_lo, s5
	s_and_saveexec_b32 s8, s5
	s_cbranch_execz .LBB69_10
; %bb.7:
	v_mov_b32_e32 v13, 0
	s_mov_b32 s9, 0
	ds_read_b32 v14, v13 offset:96
	s_waitcnt lgkmcnt(0)
	v_readfirstlane_b32 s5, v14
	v_add_nc_u32_e32 v14, 1, v0
	s_cmp_eq_u32 s5, 0
	v_cmp_gt_i32_e32 vcc_lo, s5, v14
	s_cselect_b32 s14, -1, 0
	s_or_b32 s14, s14, vcc_lo
	s_and_b32 exec_lo, exec_lo, s14
	s_cbranch_execz .LBB69_10
; %bb.8:
	v_mov_b32_e32 v16, s5
.LBB69_9:                               ; =>This Inner Loop Header: Depth=1
	ds_cmpst_rtn_b32 v16, v13, v16, v14 offset:96
	s_waitcnt lgkmcnt(0)
	v_cmp_ne_u32_e32 vcc_lo, 0, v16
	v_cmp_le_i32_e64 s5, v16, v14
	s_and_b32 s5, vcc_lo, s5
	s_and_b32 s5, exec_lo, s5
	s_or_b32 s9, s5, s9
	s_andn2_b32 exec_lo, exec_lo, s9
	s_cbranch_execnz .LBB69_9
.LBB69_10:
	s_or_b32 exec_lo, exec_lo, s8
	v_mov_b32_e32 v13, 0
	s_barrier
	buffer_gl0_inv
	ds_read_b32 v14, v13 offset:96
	s_and_saveexec_b32 s5, s4
	s_cbranch_execz .LBB69_12
; %bb.11:
	s_lshl_b64 s[8:9], s[6:7], 2
	s_add_u32 s8, s10, s8
	s_addc_u32 s9, s11, s9
	s_waitcnt lgkmcnt(0)
	global_store_dword v13, v14, s[8:9]
.LBB69_12:
	s_or_b32 exec_lo, exec_lo, s5
	s_waitcnt lgkmcnt(0)
	v_cmp_ne_u32_e32 vcc_lo, 0, v14
	s_mov_b32 s5, 0
	s_cbranch_vccnz .LBB69_36
; %bb.13:
	s_clause 0x1
	buffer_load_dword v14, v17, s[0:3], 0 offen
	buffer_load_dword v16, v17, s[0:3], 0 offen offset:4
                                        ; implicit-def: $vgpr19
                                        ; implicit-def: $vgpr18
                                        ; implicit-def: $vgpr13
	s_waitcnt vmcnt(0)
	v_cmp_ngt_f32_e64 s5, |v14|, |v16|
	s_and_saveexec_b32 s8, s5
	s_xor_b32 s5, exec_lo, s8
	s_cbranch_execz .LBB69_15
; %bb.14:
	v_div_scale_f32 v13, null, v16, v16, v14
	v_div_scale_f32 v20, vcc_lo, v14, v16, v14
	v_rcp_f32_e32 v18, v13
	v_fma_f32 v19, -v13, v18, 1.0
	v_fmac_f32_e32 v18, v19, v18
	v_mul_f32_e32 v19, v20, v18
	v_fma_f32 v21, -v13, v19, v20
	v_fmac_f32_e32 v19, v21, v18
	v_fma_f32 v13, -v13, v19, v20
	v_div_fmas_f32 v13, v13, v18, v19
	v_div_fixup_f32 v13, v13, v16, v14
	v_fmac_f32_e32 v16, v14, v13
	v_div_scale_f32 v14, null, v16, v16, 1.0
	v_rcp_f32_e32 v18, v14
	v_fma_f32 v19, -v14, v18, 1.0
	v_fmac_f32_e32 v18, v19, v18
	v_div_scale_f32 v19, vcc_lo, 1.0, v16, 1.0
	v_mul_f32_e32 v20, v19, v18
	v_fma_f32 v21, -v14, v20, v19
	v_fmac_f32_e32 v20, v21, v18
	v_fma_f32 v14, -v14, v20, v19
	v_div_fmas_f32 v14, v14, v18, v20
	v_div_fixup_f32 v14, v14, v16, 1.0
                                        ; implicit-def: $vgpr16
	v_mul_f32_e32 v19, v13, v14
	v_xor_b32_e32 v18, 0x80000000, v14
                                        ; implicit-def: $vgpr14
	v_xor_b32_e32 v13, 0x80000000, v19
.LBB69_15:
	s_andn2_saveexec_b32 s5, s5
	s_cbranch_execz .LBB69_17
; %bb.16:
	v_div_scale_f32 v13, null, v14, v14, v16
	v_div_scale_f32 v20, vcc_lo, v16, v14, v16
	v_rcp_f32_e32 v18, v13
	v_fma_f32 v19, -v13, v18, 1.0
	v_fmac_f32_e32 v18, v19, v18
	v_mul_f32_e32 v19, v20, v18
	v_fma_f32 v21, -v13, v19, v20
	v_fmac_f32_e32 v19, v21, v18
	v_fma_f32 v13, -v13, v19, v20
	v_div_fmas_f32 v13, v13, v18, v19
	v_div_fixup_f32 v18, v13, v14, v16
	v_fmac_f32_e32 v14, v16, v18
	v_div_scale_f32 v13, null, v14, v14, 1.0
	v_div_scale_f32 v20, vcc_lo, 1.0, v14, 1.0
	v_rcp_f32_e32 v16, v13
	v_fma_f32 v19, -v13, v16, 1.0
	v_fmac_f32_e32 v16, v19, v16
	v_mul_f32_e32 v19, v20, v16
	v_fma_f32 v21, -v13, v19, v20
	v_fmac_f32_e32 v19, v21, v16
	v_fma_f32 v13, -v13, v19, v20
	v_div_fmas_f32 v13, v13, v16, v19
	v_div_fixup_f32 v19, v13, v14, 1.0
	v_xor_b32_e32 v13, 0x80000000, v19
	v_mul_f32_e64 v18, v18, -v19
.LBB69_17:
	s_or_b32 exec_lo, exec_lo, s5
	buffer_store_dword v19, v17, s[0:3], 0 offen
	buffer_store_dword v18, v17, s[0:3], 0 offen offset:4
	s_clause 0x1
	buffer_load_dword v20, off, s[0:3], 0 offset:12
	buffer_load_dword v19, off, s[0:3], 0 offset:8
	v_xor_b32_e32 v14, 0x80000000, v18
	v_add_nc_u32_e32 v16, 48, v15
	s_waitcnt vmcnt(0)
	ds_write2_b64 v15, v[13:14], v[19:20] offset1:6
	s_waitcnt lgkmcnt(0)
	s_waitcnt_vscnt null, 0x0
	s_barrier
	buffer_gl0_inv
	s_and_saveexec_b32 s5, s4
	s_cbranch_execz .LBB69_19
; %bb.18:
	s_clause 0x1
	buffer_load_dword v20, v17, s[0:3], 0 offen offset:4
	buffer_load_dword v21, v17, s[0:3], 0 offen
	ds_read_b64 v[13:14], v16
	v_mov_b32_e32 v18, 0
	ds_read_b64 v[18:19], v18 offset:8
	s_waitcnt vmcnt(1) lgkmcnt(1)
	v_mul_f32_e32 v22, v13, v20
	v_mul_f32_e32 v20, v14, v20
	s_waitcnt vmcnt(0)
	v_fmac_f32_e32 v22, v14, v21
	v_fma_f32 v13, v13, v21, -v20
	v_add_f32_e32 v14, 0, v22
	v_add_f32_e32 v13, 0, v13
	s_waitcnt lgkmcnt(0)
	v_mul_f32_e32 v20, v14, v19
	v_mul_f32_e32 v19, v13, v19
	v_fma_f32 v13, v13, v18, -v20
	v_fmac_f32_e32 v19, v14, v18
	buffer_store_dword v13, off, s[0:3], 0 offset:8
	buffer_store_dword v19, off, s[0:3], 0 offset:12
.LBB69_19:
	s_or_b32 exec_lo, exec_lo, s5
	s_waitcnt_vscnt null, 0x0
	s_barrier
	buffer_gl0_inv
	s_clause 0x1
	buffer_load_dword v13, off, s[0:3], 0 offset:16
	buffer_load_dword v14, off, s[0:3], 0 offset:20
	s_mov_b32 s5, exec_lo
	s_waitcnt vmcnt(0)
	ds_write_b64 v16, v[13:14]
	s_waitcnt lgkmcnt(0)
	s_barrier
	buffer_gl0_inv
	v_cmpx_gt_u32_e32 2, v0
	s_cbranch_execz .LBB69_23
; %bb.20:
	s_clause 0x1
	buffer_load_dword v18, v17, s[0:3], 0 offen offset:4
	buffer_load_dword v17, v17, s[0:3], 0 offen
	ds_read_b64 v[13:14], v16
	s_waitcnt vmcnt(1) lgkmcnt(0)
	v_mul_f32_e32 v19, v14, v18
	v_mul_f32_e32 v18, v13, v18
	s_waitcnt vmcnt(0)
	v_fma_f32 v13, v13, v17, -v19
	v_fmac_f32_e32 v18, v14, v17
	v_add_f32_e32 v14, 0, v13
	v_add_f32_e32 v13, 0, v18
	s_and_saveexec_b32 s8, s4
	s_cbranch_execz .LBB69_22
; %bb.21:
	s_clause 0x1
	buffer_load_dword v19, off, s[0:3], 0 offset:12
	buffer_load_dword v20, off, s[0:3], 0 offset:8
	v_mov_b32_e32 v17, 0
	ds_read_b64 v[17:18], v17 offset:56
	s_waitcnt vmcnt(1) lgkmcnt(0)
	v_mul_f32_e32 v21, v17, v19
	v_mul_f32_e32 v19, v18, v19
	s_waitcnt vmcnt(0)
	v_fmac_f32_e32 v21, v18, v20
	v_fma_f32 v17, v17, v20, -v19
	v_add_f32_e32 v13, v13, v21
	v_add_f32_e32 v14, v14, v17
.LBB69_22:
	s_or_b32 exec_lo, exec_lo, s8
	v_mov_b32_e32 v17, 0
	ds_read_b64 v[17:18], v17 offset:16
	s_waitcnt lgkmcnt(0)
	v_mul_f32_e32 v19, v13, v18
	v_mul_f32_e32 v18, v14, v18
	v_fma_f32 v14, v14, v17, -v19
	v_fmac_f32_e32 v18, v13, v17
	buffer_store_dword v14, off, s[0:3], 0 offset:16
	buffer_store_dword v18, off, s[0:3], 0 offset:20
.LBB69_23:
	s_or_b32 exec_lo, exec_lo, s5
	s_waitcnt_vscnt null, 0x0
	s_barrier
	buffer_gl0_inv
	s_clause 0x1
	buffer_load_dword v17, off, s[0:3], 0 offset:24
	buffer_load_dword v18, off, s[0:3], 0 offset:28
	v_add_nc_u32_e32 v13, -1, v0
	s_mov_b32 s4, exec_lo
	s_waitcnt vmcnt(0)
	ds_write_b64 v16, v[17:18]
	s_waitcnt lgkmcnt(0)
	s_barrier
	buffer_gl0_inv
	v_cmpx_gt_u32_e32 3, v0
	s_cbranch_execz .LBB69_27
; %bb.24:
	v_add_nc_u32_e32 v17, -1, v0
	v_add_nc_u32_e32 v18, 48, v15
	v_mov_b32_e32 v19, v15
	v_mov_b32_e32 v14, 0
	;; [unrolled: 1-line block ×3, first 2 shown]
	s_mov_b32 s5, 0
	.p2align	6
.LBB69_25:                              ; =>This Inner Loop Header: Depth=1
	s_clause 0x1
	buffer_load_dword v23, v19, s[0:3], 0 offen offset:4
	buffer_load_dword v24, v19, s[0:3], 0 offen
	ds_read_b64 v[21:22], v18
	v_add_nc_u32_e32 v17, 1, v17
	v_add_nc_u32_e32 v18, 8, v18
	;; [unrolled: 1-line block ×3, first 2 shown]
	v_cmp_lt_u32_e32 vcc_lo, 1, v17
	s_or_b32 s5, vcc_lo, s5
	s_waitcnt vmcnt(1) lgkmcnt(0)
	v_mul_f32_e32 v25, v22, v23
	v_mul_f32_e32 v23, v21, v23
	s_waitcnt vmcnt(0)
	v_fma_f32 v21, v21, v24, -v25
	v_fmac_f32_e32 v23, v22, v24
	v_add_f32_e32 v20, v20, v21
	v_add_f32_e32 v14, v14, v23
	s_andn2_b32 exec_lo, exec_lo, s5
	s_cbranch_execnz .LBB69_25
; %bb.26:
	s_or_b32 exec_lo, exec_lo, s5
	v_mov_b32_e32 v17, 0
	ds_read_b64 v[17:18], v17 offset:24
	s_waitcnt lgkmcnt(0)
	v_mul_f32_e32 v19, v14, v18
	v_mul_f32_e32 v18, v20, v18
	v_fma_f32 v19, v20, v17, -v19
	v_fmac_f32_e32 v18, v14, v17
	buffer_store_dword v19, off, s[0:3], 0 offset:24
	buffer_store_dword v18, off, s[0:3], 0 offset:28
.LBB69_27:
	s_or_b32 exec_lo, exec_lo, s4
	s_waitcnt_vscnt null, 0x0
	s_barrier
	buffer_gl0_inv
	s_clause 0x1
	buffer_load_dword v17, off, s[0:3], 0 offset:32
	buffer_load_dword v18, off, s[0:3], 0 offset:36
	s_mov_b32 s4, exec_lo
	s_waitcnt vmcnt(0)
	ds_write_b64 v16, v[17:18]
	s_waitcnt lgkmcnt(0)
	s_barrier
	buffer_gl0_inv
	v_cmpx_gt_u32_e32 4, v0
	s_cbranch_execz .LBB69_31
; %bb.28:
	v_add_nc_u32_e32 v17, -1, v0
	v_add_nc_u32_e32 v18, 48, v15
	v_mov_b32_e32 v19, v15
	v_mov_b32_e32 v14, 0
	;; [unrolled: 1-line block ×3, first 2 shown]
	s_mov_b32 s5, 0
	.p2align	6
.LBB69_29:                              ; =>This Inner Loop Header: Depth=1
	s_clause 0x1
	buffer_load_dword v23, v19, s[0:3], 0 offen offset:4
	buffer_load_dword v24, v19, s[0:3], 0 offen
	ds_read_b64 v[21:22], v18
	v_add_nc_u32_e32 v17, 1, v17
	v_add_nc_u32_e32 v18, 8, v18
	;; [unrolled: 1-line block ×3, first 2 shown]
	v_cmp_lt_u32_e32 vcc_lo, 2, v17
	s_or_b32 s5, vcc_lo, s5
	s_waitcnt vmcnt(1) lgkmcnt(0)
	v_mul_f32_e32 v25, v22, v23
	v_mul_f32_e32 v23, v21, v23
	s_waitcnt vmcnt(0)
	v_fma_f32 v21, v21, v24, -v25
	v_fmac_f32_e32 v23, v22, v24
	v_add_f32_e32 v20, v20, v21
	v_add_f32_e32 v14, v14, v23
	s_andn2_b32 exec_lo, exec_lo, s5
	s_cbranch_execnz .LBB69_29
; %bb.30:
	s_or_b32 exec_lo, exec_lo, s5
	v_mov_b32_e32 v17, 0
	ds_read_b64 v[17:18], v17 offset:32
	s_waitcnt lgkmcnt(0)
	v_mul_f32_e32 v19, v14, v18
	v_mul_f32_e32 v18, v20, v18
	v_fma_f32 v19, v20, v17, -v19
	v_fmac_f32_e32 v18, v14, v17
	buffer_store_dword v19, off, s[0:3], 0 offset:32
	buffer_store_dword v18, off, s[0:3], 0 offset:36
.LBB69_31:
	s_or_b32 exec_lo, exec_lo, s4
	s_waitcnt_vscnt null, 0x0
	s_barrier
	buffer_gl0_inv
	s_clause 0x1
	buffer_load_dword v17, off, s[0:3], 0 offset:40
	buffer_load_dword v18, off, s[0:3], 0 offset:44
	s_mov_b32 s4, exec_lo
	s_waitcnt vmcnt(0)
	ds_write_b64 v16, v[17:18]
	s_waitcnt lgkmcnt(0)
	s_barrier
	buffer_gl0_inv
	v_cmpx_ne_u32_e32 5, v0
	s_cbranch_execz .LBB69_35
; %bb.32:
	v_mov_b32_e32 v14, 0
	v_mov_b32_e32 v17, 0
	s_mov_b32 s5, 0
	.p2align	6
.LBB69_33:                              ; =>This Inner Loop Header: Depth=1
	s_clause 0x1
	buffer_load_dword v20, v15, s[0:3], 0 offen offset:4
	buffer_load_dword v21, v15, s[0:3], 0 offen
	ds_read_b64 v[18:19], v16
	v_add_nc_u32_e32 v13, 1, v13
	v_add_nc_u32_e32 v16, 8, v16
	;; [unrolled: 1-line block ×3, first 2 shown]
	v_cmp_lt_u32_e32 vcc_lo, 3, v13
	s_or_b32 s5, vcc_lo, s5
	s_waitcnt vmcnt(1) lgkmcnt(0)
	v_mul_f32_e32 v22, v19, v20
	v_mul_f32_e32 v20, v18, v20
	s_waitcnt vmcnt(0)
	v_fma_f32 v18, v18, v21, -v22
	v_fmac_f32_e32 v20, v19, v21
	v_add_f32_e32 v17, v17, v18
	v_add_f32_e32 v14, v14, v20
	s_andn2_b32 exec_lo, exec_lo, s5
	s_cbranch_execnz .LBB69_33
; %bb.34:
	s_or_b32 exec_lo, exec_lo, s5
	v_mov_b32_e32 v13, 0
	ds_read_b64 v[15:16], v13 offset:40
	s_waitcnt lgkmcnt(0)
	v_mul_f32_e32 v13, v14, v16
	v_mul_f32_e32 v16, v17, v16
	v_fma_f32 v13, v17, v15, -v13
	v_fmac_f32_e32 v16, v14, v15
	buffer_store_dword v13, off, s[0:3], 0 offset:40
	buffer_store_dword v16, off, s[0:3], 0 offset:44
.LBB69_35:
	s_or_b32 exec_lo, exec_lo, s4
	s_mov_b32 s5, -1
	s_waitcnt_vscnt null, 0x0
	s_barrier
	buffer_gl0_inv
.LBB69_36:
	s_and_b32 vcc_lo, exec_lo, s5
	s_cbranch_vccz .LBB69_38
; %bb.37:
	s_lshl_b64 s[4:5], s[6:7], 2
	v_mov_b32_e32 v13, 0
	s_add_u32 s4, s10, s4
	s_addc_u32 s5, s11, s5
	global_load_dword v13, v13, s[4:5]
	s_waitcnt vmcnt(0)
	v_cmp_ne_u32_e32 vcc_lo, 0, v13
	s_cbranch_vccz .LBB69_39
.LBB69_38:
	s_endpgm
.LBB69_39:
	v_lshl_add_u32 v13, v0, 3, 48
	s_mov_b32 s4, exec_lo
	v_cmpx_eq_u32_e32 5, v0
	s_cbranch_execz .LBB69_41
; %bb.40:
	s_clause 0x1
	buffer_load_dword v14, off, s[0:3], 0 offset:32
	buffer_load_dword v15, off, s[0:3], 0 offset:36
	v_mov_b32_e32 v16, 0
	buffer_store_dword v16, off, s[0:3], 0 offset:32
	buffer_store_dword v16, off, s[0:3], 0 offset:36
	s_waitcnt vmcnt(0)
	ds_write_b64 v13, v[14:15]
.LBB69_41:
	s_or_b32 exec_lo, exec_lo, s4
	s_waitcnt lgkmcnt(0)
	s_waitcnt_vscnt null, 0x0
	s_barrier
	buffer_gl0_inv
	s_clause 0x3
	buffer_load_dword v17, off, s[0:3], 0 offset:44
	buffer_load_dword v18, off, s[0:3], 0 offset:40
	;; [unrolled: 1-line block ×4, first 2 shown]
	v_mov_b32_e32 v14, 0
	s_mov_b32 s4, exec_lo
	ds_read_b64 v[15:16], v14 offset:88
	s_waitcnt vmcnt(3) lgkmcnt(0)
	v_mul_f32_e32 v21, v16, v17
	v_mul_f32_e32 v17, v15, v17
	s_waitcnt vmcnt(2)
	v_fma_f32 v15, v15, v18, -v21
	v_fmac_f32_e32 v17, v16, v18
	v_add_f32_e32 v15, 0, v15
	v_add_f32_e32 v16, 0, v17
	s_waitcnt vmcnt(1)
	v_sub_f32_e32 v15, v19, v15
	s_waitcnt vmcnt(0)
	v_sub_f32_e32 v16, v20, v16
	buffer_store_dword v15, off, s[0:3], 0 offset:32
	buffer_store_dword v16, off, s[0:3], 0 offset:36
	v_cmpx_lt_u32_e32 3, v0
	s_cbranch_execz .LBB69_43
; %bb.42:
	s_clause 0x1
	buffer_load_dword v15, off, s[0:3], 0 offset:24
	buffer_load_dword v16, off, s[0:3], 0 offset:28
	buffer_store_dword v14, off, s[0:3], 0 offset:24
	buffer_store_dword v14, off, s[0:3], 0 offset:28
	s_waitcnt vmcnt(0)
	ds_write_b64 v13, v[15:16]
.LBB69_43:
	s_or_b32 exec_lo, exec_lo, s4
	s_waitcnt lgkmcnt(0)
	s_waitcnt_vscnt null, 0x0
	s_barrier
	buffer_gl0_inv
	s_clause 0x5
	buffer_load_dword v18, off, s[0:3], 0 offset:36
	buffer_load_dword v19, off, s[0:3], 0 offset:44
	;; [unrolled: 1-line block ×6, first 2 shown]
	ds_read_b128 v[14:17], v14 offset:80
	s_mov_b32 s4, exec_lo
	s_waitcnt vmcnt(5) lgkmcnt(0)
	v_mul_f32_e32 v24, v15, v18
	v_mul_f32_e32 v18, v14, v18
	s_waitcnt vmcnt(4)
	v_mul_f32_e32 v25, v16, v19
	v_mul_f32_e32 v19, v17, v19
	s_waitcnt vmcnt(3)
	v_fma_f32 v14, v14, v20, -v24
	v_fmac_f32_e32 v18, v15, v20
	s_waitcnt vmcnt(2)
	v_fmac_f32_e32 v25, v17, v21
	v_fma_f32 v15, v16, v21, -v19
	v_add_f32_e32 v14, 0, v14
	v_add_f32_e32 v16, 0, v18
	;; [unrolled: 1-line block ×4, first 2 shown]
	s_waitcnt vmcnt(1)
	v_sub_f32_e32 v14, v22, v14
	s_waitcnt vmcnt(0)
	v_sub_f32_e32 v15, v23, v15
	buffer_store_dword v14, off, s[0:3], 0 offset:24
	buffer_store_dword v15, off, s[0:3], 0 offset:28
	v_cmpx_lt_u32_e32 2, v0
	s_cbranch_execz .LBB69_45
; %bb.44:
	s_clause 0x1
	buffer_load_dword v14, off, s[0:3], 0 offset:16
	buffer_load_dword v15, off, s[0:3], 0 offset:20
	v_mov_b32_e32 v16, 0
	buffer_store_dword v16, off, s[0:3], 0 offset:16
	buffer_store_dword v16, off, s[0:3], 0 offset:20
	s_waitcnt vmcnt(0)
	ds_write_b64 v13, v[14:15]
.LBB69_45:
	s_or_b32 exec_lo, exec_lo, s4
	s_waitcnt lgkmcnt(0)
	s_waitcnt_vscnt null, 0x0
	s_barrier
	buffer_gl0_inv
	s_clause 0x7
	buffer_load_dword v21, off, s[0:3], 0 offset:28
	buffer_load_dword v22, off, s[0:3], 0 offset:36
	;; [unrolled: 1-line block ×8, first 2 shown]
	v_mov_b32_e32 v14, 0
	ds_read2_b64 v[15:18], v14 offset0:9 offset1:10
	ds_read_b64 v[19:20], v14 offset:88
	s_mov_b32 s4, exec_lo
	s_waitcnt vmcnt(7) lgkmcnt(1)
	v_mul_f32_e32 v29, v16, v21
	v_mul_f32_e32 v21, v15, v21
	s_waitcnt vmcnt(6)
	v_mul_f32_e32 v30, v17, v22
	v_mul_f32_e32 v22, v18, v22
	s_waitcnt vmcnt(5) lgkmcnt(0)
	v_mul_f32_e32 v31, v19, v23
	s_waitcnt vmcnt(4)
	v_fma_f32 v15, v15, v24, -v29
	v_fmac_f32_e32 v21, v16, v24
	v_mul_f32_e32 v16, v20, v23
	s_waitcnt vmcnt(3)
	v_fma_f32 v17, v17, v25, -v22
	v_fmac_f32_e32 v30, v18, v25
	v_add_f32_e32 v15, 0, v15
	v_add_f32_e32 v18, 0, v21
	s_waitcnt vmcnt(2)
	v_fma_f32 v16, v19, v26, -v16
	v_fmac_f32_e32 v31, v20, v26
	v_add_f32_e32 v15, v15, v17
	v_add_f32_e32 v17, v18, v30
	v_add_f32_e32 v15, v15, v16
	v_add_f32_e32 v16, v17, v31
	s_waitcnt vmcnt(1)
	v_sub_f32_e32 v15, v27, v15
	s_waitcnt vmcnt(0)
	v_sub_f32_e32 v16, v28, v16
	buffer_store_dword v15, off, s[0:3], 0 offset:16
	buffer_store_dword v16, off, s[0:3], 0 offset:20
	v_cmpx_lt_u32_e32 1, v0
	s_cbranch_execz .LBB69_47
; %bb.46:
	s_clause 0x1
	buffer_load_dword v15, off, s[0:3], 0 offset:8
	buffer_load_dword v16, off, s[0:3], 0 offset:12
	buffer_store_dword v14, off, s[0:3], 0 offset:8
	buffer_store_dword v14, off, s[0:3], 0 offset:12
	s_waitcnt vmcnt(0)
	ds_write_b64 v13, v[15:16]
.LBB69_47:
	s_or_b32 exec_lo, exec_lo, s4
	s_waitcnt lgkmcnt(0)
	s_waitcnt_vscnt null, 0x0
	s_barrier
	buffer_gl0_inv
	s_clause 0x9
	buffer_load_dword v23, off, s[0:3], 0 offset:20
	buffer_load_dword v24, off, s[0:3], 0 offset:28
	;; [unrolled: 1-line block ×10, first 2 shown]
	ds_read_b128 v[15:18], v14 offset:64
	ds_read_b128 v[19:22], v14 offset:80
	s_mov_b32 s4, exec_lo
	s_waitcnt vmcnt(9) lgkmcnt(1)
	v_mul_f32_e32 v14, v15, v23
	v_mul_f32_e32 v23, v16, v23
	s_waitcnt vmcnt(8)
	v_mul_f32_e32 v33, v17, v24
	v_mul_f32_e32 v24, v18, v24
	s_waitcnt vmcnt(7) lgkmcnt(0)
	v_mul_f32_e32 v34, v19, v25
	s_waitcnt vmcnt(5)
	v_fmac_f32_e32 v14, v16, v27
	v_fma_f32 v15, v15, v27, -v23
	v_mul_f32_e32 v16, v20, v25
	s_waitcnt vmcnt(4)
	v_fma_f32 v17, v17, v28, -v24
	v_fmac_f32_e32 v33, v18, v28
	v_add_f32_e32 v14, 0, v14
	v_add_f32_e32 v15, 0, v15
	v_mul_f32_e32 v18, v22, v26
	s_waitcnt vmcnt(3)
	v_fma_f32 v16, v19, v29, -v16
	v_mul_f32_e32 v35, v21, v26
	v_fmac_f32_e32 v34, v20, v29
	v_add_f32_e32 v15, v15, v17
	v_add_f32_e32 v14, v14, v33
	s_waitcnt vmcnt(2)
	v_fma_f32 v17, v21, v30, -v18
	v_fmac_f32_e32 v35, v22, v30
	v_add_f32_e32 v15, v15, v16
	v_add_f32_e32 v14, v14, v34
	;; [unrolled: 1-line block ×4, first 2 shown]
	s_waitcnt vmcnt(1)
	v_sub_f32_e32 v15, v31, v15
	s_waitcnt vmcnt(0)
	v_sub_f32_e32 v14, v32, v14
	buffer_store_dword v15, off, s[0:3], 0 offset:8
	buffer_store_dword v14, off, s[0:3], 0 offset:12
	v_cmpx_ne_u32_e32 0, v0
	s_cbranch_execz .LBB69_49
; %bb.48:
	s_clause 0x1
	buffer_load_dword v14, off, s[0:3], 0
	buffer_load_dword v15, off, s[0:3], 0 offset:4
	v_mov_b32_e32 v0, 0
	buffer_store_dword v0, off, s[0:3], 0
	buffer_store_dword v0, off, s[0:3], 0 offset:4
	s_waitcnt vmcnt(0)
	ds_write_b64 v13, v[14:15]
.LBB69_49:
	s_or_b32 exec_lo, exec_lo, s4
	s_waitcnt lgkmcnt(0)
	s_waitcnt_vscnt null, 0x0
	s_barrier
	buffer_gl0_inv
	s_clause 0xb
	buffer_load_dword v25, off, s[0:3], 0 offset:12
	buffer_load_dword v26, off, s[0:3], 0 offset:20
	;; [unrolled: 1-line block ×10, first 2 shown]
	buffer_load_dword v33, off, s[0:3], 0
	buffer_load_dword v34, off, s[0:3], 0 offset:4
	v_mov_b32_e32 v14, 0
	ds_read2_b64 v[15:18], v14 offset0:7 offset1:8
	ds_read2_b64 v[19:22], v14 offset0:9 offset1:10
	ds_read_b64 v[23:24], v14 offset:88
	s_and_b32 vcc_lo, exec_lo, s16
	s_waitcnt vmcnt(11) lgkmcnt(2)
	v_mul_f32_e32 v35, v15, v25
	v_mul_f32_e32 v25, v16, v25
	s_waitcnt vmcnt(10)
	v_mul_f32_e32 v36, v17, v26
	v_mul_f32_e32 v26, v18, v26
	s_waitcnt vmcnt(9) lgkmcnt(1)
	v_mul_f32_e32 v37, v19, v27
	s_waitcnt vmcnt(6)
	v_fmac_f32_e32 v35, v16, v29
	v_fma_f32 v15, v15, v29, -v25
	v_mul_f32_e32 v16, v20, v27
	s_waitcnt vmcnt(5)
	v_fma_f32 v17, v17, v30, -v26
	v_fmac_f32_e32 v36, v18, v30
	v_add_f32_e32 v18, 0, v35
	v_add_f32_e32 v15, 0, v15
	v_mul_f32_e32 v25, v22, v0
	s_waitcnt vmcnt(4)
	v_fma_f32 v16, v19, v31, -v16
	v_mul_f32_e32 v38, v21, v0
	v_fmac_f32_e32 v37, v20, v31
	v_add_f32_e32 v15, v15, v17
	v_add_f32_e32 v17, v18, v36
	s_waitcnt lgkmcnt(0)
	v_mul_f32_e32 v18, v24, v28
	s_waitcnt vmcnt(3)
	v_fma_f32 v19, v21, v13, -v25
	v_mul_f32_e32 v39, v23, v28
	v_add_f32_e32 v15, v15, v16
	v_fmac_f32_e32 v38, v22, v13
	v_add_f32_e32 v16, v17, v37
	s_waitcnt vmcnt(2)
	v_fma_f32 v17, v23, v32, -v18
	v_fmac_f32_e32 v39, v24, v32
	v_add_f32_e32 v15, v15, v19
	v_add_f32_e32 v16, v16, v38
	;; [unrolled: 1-line block ×4, first 2 shown]
	s_waitcnt vmcnt(1)
	v_sub_f32_e32 v15, v33, v15
	s_waitcnt vmcnt(0)
	v_sub_f32_e32 v16, v34, v16
	buffer_store_dword v15, off, s[0:3], 0
	buffer_store_dword v16, off, s[0:3], 0 offset:4
	s_cbranch_vccz .LBB69_60
; %bb.50:
	global_load_dword v14, v14, s[12:13] offset:16
	s_waitcnt vmcnt(0)
	v_add_nc_u32_e32 v14, -1, v14
	v_cmp_ne_u32_e32 vcc_lo, 4, v14
	s_cbranch_vccz .LBB69_52
; %bb.51:
	v_lshlrev_b32_e32 v14, 3, v14
	s_clause 0x1
	buffer_load_dword v15, v14, s[0:3], 0 offen offset:4
	buffer_load_dword v16, v14, s[0:3], 0 offen
	s_waitcnt vmcnt(1)
	buffer_store_dword v15, off, s[0:3], 0 offset:36
	s_waitcnt vmcnt(0)
	buffer_store_dword v16, off, s[0:3], 0 offset:32
	buffer_store_dword v0, v14, s[0:3], 0 offen offset:4
	buffer_store_dword v13, v14, s[0:3], 0 offen
.LBB69_52:
	v_mov_b32_e32 v0, 0
	global_load_dword v13, v0, s[12:13] offset:12
	s_waitcnt vmcnt(0)
	v_add_nc_u32_e32 v13, -1, v13
	v_cmp_eq_u32_e32 vcc_lo, 3, v13
	s_cbranch_vccnz .LBB69_54
; %bb.53:
	v_lshlrev_b32_e32 v13, 3, v13
	s_clause 0x3
	buffer_load_dword v14, v13, s[0:3], 0 offen
	buffer_load_dword v15, v13, s[0:3], 0 offen offset:4
	buffer_load_dword v16, off, s[0:3], 0 offset:24
	buffer_load_dword v17, off, s[0:3], 0 offset:28
	s_waitcnt vmcnt(3)
	buffer_store_dword v14, off, s[0:3], 0 offset:24
	s_waitcnt vmcnt(2)
	buffer_store_dword v15, off, s[0:3], 0 offset:28
	s_waitcnt vmcnt(1)
	buffer_store_dword v16, v13, s[0:3], 0 offen
	s_waitcnt vmcnt(0)
	buffer_store_dword v17, v13, s[0:3], 0 offen offset:4
.LBB69_54:
	global_load_dword v0, v0, s[12:13] offset:8
	s_waitcnt vmcnt(0)
	v_add_nc_u32_e32 v0, -1, v0
	v_cmp_eq_u32_e32 vcc_lo, 2, v0
	s_cbranch_vccnz .LBB69_56
; %bb.55:
	v_lshlrev_b32_e32 v0, 3, v0
	s_clause 0x3
	buffer_load_dword v13, v0, s[0:3], 0 offen
	buffer_load_dword v14, v0, s[0:3], 0 offen offset:4
	buffer_load_dword v15, off, s[0:3], 0 offset:20
	buffer_load_dword v16, off, s[0:3], 0 offset:16
	s_waitcnt vmcnt(3)
	buffer_store_dword v13, off, s[0:3], 0 offset:16
	s_waitcnt vmcnt(2)
	buffer_store_dword v14, off, s[0:3], 0 offset:20
	s_waitcnt vmcnt(1)
	buffer_store_dword v15, v0, s[0:3], 0 offen offset:4
	s_waitcnt vmcnt(0)
	buffer_store_dword v16, v0, s[0:3], 0 offen
.LBB69_56:
	v_mov_b32_e32 v0, 0
	global_load_dword v13, v0, s[12:13] offset:4
	s_waitcnt vmcnt(0)
	v_add_nc_u32_e32 v13, -1, v13
	v_cmp_eq_u32_e32 vcc_lo, 1, v13
	s_cbranch_vccnz .LBB69_58
; %bb.57:
	v_lshlrev_b32_e32 v13, 3, v13
	s_clause 0x3
	buffer_load_dword v14, v13, s[0:3], 0 offen
	buffer_load_dword v15, v13, s[0:3], 0 offen offset:4
	buffer_load_dword v16, off, s[0:3], 0 offset:8
	buffer_load_dword v17, off, s[0:3], 0 offset:12
	s_waitcnt vmcnt(3)
	buffer_store_dword v14, off, s[0:3], 0 offset:8
	s_waitcnt vmcnt(2)
	buffer_store_dword v15, off, s[0:3], 0 offset:12
	s_waitcnt vmcnt(1)
	buffer_store_dword v16, v13, s[0:3], 0 offen
	s_waitcnt vmcnt(0)
	buffer_store_dword v17, v13, s[0:3], 0 offen offset:4
.LBB69_58:
	global_load_dword v0, v0, s[12:13]
	s_waitcnt vmcnt(0)
	v_add_nc_u32_e32 v0, -1, v0
	v_cmp_eq_u32_e32 vcc_lo, 0, v0
	s_cbranch_vccnz .LBB69_60
; %bb.59:
	v_lshlrev_b32_e32 v0, 3, v0
	s_clause 0x3
	buffer_load_dword v13, v0, s[0:3], 0 offen
	buffer_load_dword v14, v0, s[0:3], 0 offen offset:4
	buffer_load_dword v15, off, s[0:3], 0 offset:4
	buffer_load_dword v16, off, s[0:3], 0
	s_waitcnt vmcnt(3)
	buffer_store_dword v13, off, s[0:3], 0
	s_waitcnt vmcnt(2)
	buffer_store_dword v14, off, s[0:3], 0 offset:4
	s_waitcnt vmcnt(1)
	buffer_store_dword v15, v0, s[0:3], 0 offen offset:4
	s_waitcnt vmcnt(0)
	buffer_store_dword v16, v0, s[0:3], 0 offen
.LBB69_60:
	s_clause 0x1
	buffer_load_dword v13, off, s[0:3], 0
	buffer_load_dword v14, off, s[0:3], 0 offset:4
	s_waitcnt vmcnt(0)
	flat_store_dwordx2 v[1:2], v[13:14]
	s_clause 0x1
	buffer_load_dword v0, off, s[0:3], 0 offset:8
	buffer_load_dword v1, off, s[0:3], 0 offset:12
	s_waitcnt vmcnt(0)
	flat_store_dwordx2 v[3:4], v[0:1]
	s_clause 0x1
	buffer_load_dword v0, off, s[0:3], 0 offset:16
	;; [unrolled: 5-line block ×5, first 2 shown]
	buffer_load_dword v1, off, s[0:3], 0 offset:44
	s_waitcnt vmcnt(0)
	flat_store_dwordx2 v[11:12], v[0:1]
	s_endpgm
	.section	.rodata,"a",@progbits
	.p2align	6, 0x0
	.amdhsa_kernel _ZN9rocsolver6v33100L18getri_kernel_smallILi6E19rocblas_complex_numIfEPKPS3_EEvT1_iilPiilS8_bb
		.amdhsa_group_segment_fixed_size 100
		.amdhsa_private_segment_fixed_size 64
		.amdhsa_kernarg_size 60
		.amdhsa_user_sgpr_count 6
		.amdhsa_user_sgpr_private_segment_buffer 1
		.amdhsa_user_sgpr_dispatch_ptr 0
		.amdhsa_user_sgpr_queue_ptr 0
		.amdhsa_user_sgpr_kernarg_segment_ptr 1
		.amdhsa_user_sgpr_dispatch_id 0
		.amdhsa_user_sgpr_flat_scratch_init 0
		.amdhsa_user_sgpr_private_segment_size 0
		.amdhsa_wavefront_size32 1
		.amdhsa_uses_dynamic_stack 0
		.amdhsa_system_sgpr_private_segment_wavefront_offset 1
		.amdhsa_system_sgpr_workgroup_id_x 1
		.amdhsa_system_sgpr_workgroup_id_y 0
		.amdhsa_system_sgpr_workgroup_id_z 0
		.amdhsa_system_sgpr_workgroup_info 0
		.amdhsa_system_vgpr_workitem_id 0
		.amdhsa_next_free_vgpr 40
		.amdhsa_next_free_sgpr 20
		.amdhsa_reserve_vcc 1
		.amdhsa_reserve_flat_scratch 0
		.amdhsa_float_round_mode_32 0
		.amdhsa_float_round_mode_16_64 0
		.amdhsa_float_denorm_mode_32 3
		.amdhsa_float_denorm_mode_16_64 3
		.amdhsa_dx10_clamp 1
		.amdhsa_ieee_mode 1
		.amdhsa_fp16_overflow 0
		.amdhsa_workgroup_processor_mode 1
		.amdhsa_memory_ordered 1
		.amdhsa_forward_progress 1
		.amdhsa_shared_vgpr_count 0
		.amdhsa_exception_fp_ieee_invalid_op 0
		.amdhsa_exception_fp_denorm_src 0
		.amdhsa_exception_fp_ieee_div_zero 0
		.amdhsa_exception_fp_ieee_overflow 0
		.amdhsa_exception_fp_ieee_underflow 0
		.amdhsa_exception_fp_ieee_inexact 0
		.amdhsa_exception_int_div_zero 0
	.end_amdhsa_kernel
	.section	.text._ZN9rocsolver6v33100L18getri_kernel_smallILi6E19rocblas_complex_numIfEPKPS3_EEvT1_iilPiilS8_bb,"axG",@progbits,_ZN9rocsolver6v33100L18getri_kernel_smallILi6E19rocblas_complex_numIfEPKPS3_EEvT1_iilPiilS8_bb,comdat
.Lfunc_end69:
	.size	_ZN9rocsolver6v33100L18getri_kernel_smallILi6E19rocblas_complex_numIfEPKPS3_EEvT1_iilPiilS8_bb, .Lfunc_end69-_ZN9rocsolver6v33100L18getri_kernel_smallILi6E19rocblas_complex_numIfEPKPS3_EEvT1_iilPiilS8_bb
                                        ; -- End function
	.set _ZN9rocsolver6v33100L18getri_kernel_smallILi6E19rocblas_complex_numIfEPKPS3_EEvT1_iilPiilS8_bb.num_vgpr, 40
	.set _ZN9rocsolver6v33100L18getri_kernel_smallILi6E19rocblas_complex_numIfEPKPS3_EEvT1_iilPiilS8_bb.num_agpr, 0
	.set _ZN9rocsolver6v33100L18getri_kernel_smallILi6E19rocblas_complex_numIfEPKPS3_EEvT1_iilPiilS8_bb.numbered_sgpr, 20
	.set _ZN9rocsolver6v33100L18getri_kernel_smallILi6E19rocblas_complex_numIfEPKPS3_EEvT1_iilPiilS8_bb.num_named_barrier, 0
	.set _ZN9rocsolver6v33100L18getri_kernel_smallILi6E19rocblas_complex_numIfEPKPS3_EEvT1_iilPiilS8_bb.private_seg_size, 64
	.set _ZN9rocsolver6v33100L18getri_kernel_smallILi6E19rocblas_complex_numIfEPKPS3_EEvT1_iilPiilS8_bb.uses_vcc, 1
	.set _ZN9rocsolver6v33100L18getri_kernel_smallILi6E19rocblas_complex_numIfEPKPS3_EEvT1_iilPiilS8_bb.uses_flat_scratch, 0
	.set _ZN9rocsolver6v33100L18getri_kernel_smallILi6E19rocblas_complex_numIfEPKPS3_EEvT1_iilPiilS8_bb.has_dyn_sized_stack, 0
	.set _ZN9rocsolver6v33100L18getri_kernel_smallILi6E19rocblas_complex_numIfEPKPS3_EEvT1_iilPiilS8_bb.has_recursion, 0
	.set _ZN9rocsolver6v33100L18getri_kernel_smallILi6E19rocblas_complex_numIfEPKPS3_EEvT1_iilPiilS8_bb.has_indirect_call, 0
	.section	.AMDGPU.csdata,"",@progbits
; Kernel info:
; codeLenInByte = 4892
; TotalNumSgprs: 22
; NumVgprs: 40
; ScratchSize: 64
; MemoryBound: 0
; FloatMode: 240
; IeeeMode: 1
; LDSByteSize: 100 bytes/workgroup (compile time only)
; SGPRBlocks: 0
; VGPRBlocks: 4
; NumSGPRsForWavesPerEU: 22
; NumVGPRsForWavesPerEU: 40
; Occupancy: 16
; WaveLimiterHint : 1
; COMPUTE_PGM_RSRC2:SCRATCH_EN: 1
; COMPUTE_PGM_RSRC2:USER_SGPR: 6
; COMPUTE_PGM_RSRC2:TRAP_HANDLER: 0
; COMPUTE_PGM_RSRC2:TGID_X_EN: 1
; COMPUTE_PGM_RSRC2:TGID_Y_EN: 0
; COMPUTE_PGM_RSRC2:TGID_Z_EN: 0
; COMPUTE_PGM_RSRC2:TIDIG_COMP_CNT: 0
	.section	.text._ZN9rocsolver6v33100L18getri_kernel_smallILi7E19rocblas_complex_numIfEPKPS3_EEvT1_iilPiilS8_bb,"axG",@progbits,_ZN9rocsolver6v33100L18getri_kernel_smallILi7E19rocblas_complex_numIfEPKPS3_EEvT1_iilPiilS8_bb,comdat
	.globl	_ZN9rocsolver6v33100L18getri_kernel_smallILi7E19rocblas_complex_numIfEPKPS3_EEvT1_iilPiilS8_bb ; -- Begin function _ZN9rocsolver6v33100L18getri_kernel_smallILi7E19rocblas_complex_numIfEPKPS3_EEvT1_iilPiilS8_bb
	.p2align	8
	.type	_ZN9rocsolver6v33100L18getri_kernel_smallILi7E19rocblas_complex_numIfEPKPS3_EEvT1_iilPiilS8_bb,@function
_ZN9rocsolver6v33100L18getri_kernel_smallILi7E19rocblas_complex_numIfEPKPS3_EEvT1_iilPiilS8_bb: ; @_ZN9rocsolver6v33100L18getri_kernel_smallILi7E19rocblas_complex_numIfEPKPS3_EEvT1_iilPiilS8_bb
; %bb.0:
	s_add_u32 s0, s0, s7
	s_addc_u32 s1, s1, 0
	s_mov_b32 s7, exec_lo
	v_cmpx_gt_u32_e32 7, v0
	s_cbranch_execz .LBB70_42
; %bb.1:
	s_clause 0x2
	s_load_dword s17, s[4:5], 0x38
	s_load_dwordx2 s[12:13], s[4:5], 0x0
	s_load_dwordx4 s[8:11], s[4:5], 0x28
	s_waitcnt lgkmcnt(0)
	s_bitcmp1_b32 s17, 8
	s_cselect_b32 s16, -1, 0
	s_ashr_i32 s7, s6, 31
	s_lshl_b64 s[14:15], s[6:7], 3
	s_add_u32 s12, s12, s14
	s_addc_u32 s13, s13, s15
	s_load_dwordx2 s[14:15], s[12:13], 0x0
	s_bfe_u32 s12, s17, 0x10008
	s_cmp_eq_u32 s12, 0
                                        ; implicit-def: $sgpr12_sgpr13
	s_cbranch_scc1 .LBB70_3
; %bb.2:
	s_clause 0x1
	s_load_dword s12, s[4:5], 0x20
	s_load_dwordx2 s[18:19], s[4:5], 0x18
	s_mul_i32 s13, s8, s7
	s_mul_hi_u32 s17, s8, s6
	s_mul_i32 s9, s9, s6
	s_add_i32 s13, s17, s13
	s_mul_i32 s8, s8, s6
	s_add_i32 s9, s13, s9
	s_lshl_b64 s[8:9], s[8:9], 2
	s_waitcnt lgkmcnt(0)
	s_ashr_i32 s13, s12, 31
	s_add_u32 s17, s18, s8
	s_addc_u32 s18, s19, s9
	s_lshl_b64 s[8:9], s[12:13], 2
	s_add_u32 s12, s17, s8
	s_addc_u32 s13, s18, s9
.LBB70_3:
	s_clause 0x1
	s_load_dwordx2 s[8:9], s[4:5], 0x8
	s_load_dword s17, s[4:5], 0x38
	v_lshlrev_b32_e32 v17, 3, v0
	s_waitcnt lgkmcnt(0)
	s_ashr_i32 s5, s8, 31
	s_mov_b32 s4, s8
	v_add3_u32 v9, s9, s9, v0
	s_lshl_b64 s[4:5], s[4:5], 3
	s_add_u32 s8, s14, s4
	s_addc_u32 s14, s15, s5
	v_add_co_u32 v1, s4, s8, v17
	v_add_co_ci_u32_e64 v2, null, s14, 0, s4
	s_mov_b32 s4, s9
	s_ashr_i32 s5, s9, 31
	v_ashrrev_i32_e32 v10, 31, v9
	flat_load_dwordx2 v[5:6], v[1:2]
	s_lshl_b64 s[4:5], s[4:5], 3
	v_add_nc_u32_e32 v12, s9, v9
	v_add_co_u32 v3, vcc_lo, v1, s4
	v_add_co_ci_u32_e64 v4, null, s5, v2, vcc_lo
	v_ashrrev_i32_e32 v13, 31, v12
	s_mov_b32 s5, -1
	s_bitcmp0_b32 s17, 0
	s_waitcnt vmcnt(0) lgkmcnt(0)
	buffer_store_dword v6, off, s[0:3], 0 offset:4
	buffer_store_dword v5, off, s[0:3], 0
	flat_load_dwordx2 v[7:8], v[3:4]
	v_lshlrev_b64 v[5:6], 3, v[9:10]
	s_waitcnt vmcnt(0) lgkmcnt(0)
	buffer_store_dword v8, off, s[0:3], 0 offset:12
	buffer_store_dword v7, off, s[0:3], 0 offset:8
	v_add_co_u32 v5, vcc_lo, s8, v5
	v_add_co_ci_u32_e64 v6, null, s14, v6, vcc_lo
	v_lshlrev_b64 v[7:8], 3, v[12:13]
	flat_load_dwordx2 v[10:11], v[5:6]
	s_waitcnt vmcnt(0) lgkmcnt(0)
	buffer_store_dword v11, off, s[0:3], 0 offset:20
	buffer_store_dword v10, off, s[0:3], 0 offset:16
	v_add_co_u32 v7, vcc_lo, s8, v7
	v_add_co_ci_u32_e64 v8, null, s14, v8, vcc_lo
	v_add_nc_u32_e32 v11, s9, v12
	flat_load_dwordx2 v[13:14], v[7:8]
	s_waitcnt vmcnt(0) lgkmcnt(0)
	buffer_store_dword v14, off, s[0:3], 0 offset:28
	buffer_store_dword v13, off, s[0:3], 0 offset:24
	v_ashrrev_i32_e32 v12, 31, v11
	v_add_nc_u32_e32 v15, s9, v11
	v_lshlrev_b64 v[9:10], 3, v[11:12]
	v_ashrrev_i32_e32 v16, 31, v15
	v_add_co_u32 v9, vcc_lo, s8, v9
	v_add_co_ci_u32_e64 v10, null, s14, v10, vcc_lo
	v_lshlrev_b64 v[11:12], 3, v[15:16]
	flat_load_dwordx2 v[13:14], v[9:10]
	s_waitcnt vmcnt(0) lgkmcnt(0)
	buffer_store_dword v14, off, s[0:3], 0 offset:36
	buffer_store_dword v13, off, s[0:3], 0 offset:32
	v_add_co_u32 v11, vcc_lo, s8, v11
	v_add_co_ci_u32_e64 v12, null, s14, v12, vcc_lo
	v_add_nc_u32_e32 v13, s9, v15
	flat_load_dwordx2 v[18:19], v[11:12]
	s_waitcnt vmcnt(0) lgkmcnt(0)
	buffer_store_dword v19, off, s[0:3], 0 offset:44
	buffer_store_dword v18, off, s[0:3], 0 offset:40
	v_ashrrev_i32_e32 v14, 31, v13
	v_lshlrev_b64 v[13:14], 3, v[13:14]
	v_add_co_u32 v13, vcc_lo, s8, v13
	v_add_co_ci_u32_e64 v14, null, s14, v14, vcc_lo
	flat_load_dwordx2 v[15:16], v[13:14]
	s_waitcnt vmcnt(0) lgkmcnt(0)
	buffer_store_dword v16, off, s[0:3], 0 offset:52
	buffer_store_dword v15, off, s[0:3], 0 offset:48
	s_cbranch_scc1 .LBB70_40
; %bb.4:
	v_cmp_eq_u32_e64 s4, 0, v0
	s_and_saveexec_b32 s5, s4
; %bb.5:
	v_mov_b32_e32 v15, 0
	ds_write_b32 v15, v15 offset:56
; %bb.6:
	s_or_b32 exec_lo, exec_lo, s5
	v_lshl_add_u32 v19, v0, 3, 0
	s_waitcnt lgkmcnt(0)
	s_waitcnt_vscnt null, 0x0
	s_barrier
	buffer_gl0_inv
	s_clause 0x1
	buffer_load_dword v15, v19, s[0:3], 0 offen
	buffer_load_dword v16, v19, s[0:3], 0 offen offset:4
	s_waitcnt vmcnt(1)
	v_cmp_eq_f32_e32 vcc_lo, 0, v15
	s_waitcnt vmcnt(0)
	v_cmp_eq_f32_e64 s5, 0, v16
	s_and_b32 s5, vcc_lo, s5
	s_and_saveexec_b32 s8, s5
	s_cbranch_execz .LBB70_10
; %bb.7:
	v_mov_b32_e32 v15, 0
	s_mov_b32 s9, 0
	ds_read_b32 v16, v15 offset:56
	s_waitcnt lgkmcnt(0)
	v_readfirstlane_b32 s5, v16
	v_add_nc_u32_e32 v16, 1, v0
	s_cmp_eq_u32 s5, 0
	v_cmp_gt_i32_e32 vcc_lo, s5, v16
	s_cselect_b32 s14, -1, 0
	s_or_b32 s14, s14, vcc_lo
	s_and_b32 exec_lo, exec_lo, s14
	s_cbranch_execz .LBB70_10
; %bb.8:
	v_mov_b32_e32 v18, s5
.LBB70_9:                               ; =>This Inner Loop Header: Depth=1
	ds_cmpst_rtn_b32 v18, v15, v18, v16 offset:56
	s_waitcnt lgkmcnt(0)
	v_cmp_ne_u32_e32 vcc_lo, 0, v18
	v_cmp_le_i32_e64 s5, v18, v16
	s_and_b32 s5, vcc_lo, s5
	s_and_b32 s5, exec_lo, s5
	s_or_b32 s9, s5, s9
	s_andn2_b32 exec_lo, exec_lo, s9
	s_cbranch_execnz .LBB70_9
.LBB70_10:
	s_or_b32 exec_lo, exec_lo, s8
	v_mov_b32_e32 v15, 0
	s_barrier
	buffer_gl0_inv
	ds_read_b32 v16, v15 offset:56
	s_and_saveexec_b32 s5, s4
	s_cbranch_execz .LBB70_12
; %bb.11:
	s_lshl_b64 s[8:9], s[6:7], 2
	s_add_u32 s8, s10, s8
	s_addc_u32 s9, s11, s9
	s_waitcnt lgkmcnt(0)
	global_store_dword v15, v16, s[8:9]
.LBB70_12:
	s_or_b32 exec_lo, exec_lo, s5
	s_waitcnt lgkmcnt(0)
	v_cmp_ne_u32_e32 vcc_lo, 0, v16
	s_mov_b32 s5, 0
	s_cbranch_vccnz .LBB70_40
; %bb.13:
	s_clause 0x1
	buffer_load_dword v16, v19, s[0:3], 0 offen
	buffer_load_dword v18, v19, s[0:3], 0 offen offset:4
                                        ; implicit-def: $vgpr21
                                        ; implicit-def: $vgpr20
                                        ; implicit-def: $vgpr15
	s_waitcnt vmcnt(0)
	v_cmp_ngt_f32_e64 s5, |v16|, |v18|
	s_and_saveexec_b32 s8, s5
	s_xor_b32 s5, exec_lo, s8
	s_cbranch_execz .LBB70_15
; %bb.14:
	v_div_scale_f32 v15, null, v18, v18, v16
	v_div_scale_f32 v22, vcc_lo, v16, v18, v16
	v_rcp_f32_e32 v20, v15
	v_fma_f32 v21, -v15, v20, 1.0
	v_fmac_f32_e32 v20, v21, v20
	v_mul_f32_e32 v21, v22, v20
	v_fma_f32 v23, -v15, v21, v22
	v_fmac_f32_e32 v21, v23, v20
	v_fma_f32 v15, -v15, v21, v22
	v_div_fmas_f32 v15, v15, v20, v21
	v_div_fixup_f32 v15, v15, v18, v16
	v_fmac_f32_e32 v18, v16, v15
	v_div_scale_f32 v16, null, v18, v18, 1.0
	v_rcp_f32_e32 v20, v16
	v_fma_f32 v21, -v16, v20, 1.0
	v_fmac_f32_e32 v20, v21, v20
	v_div_scale_f32 v21, vcc_lo, 1.0, v18, 1.0
	v_mul_f32_e32 v22, v21, v20
	v_fma_f32 v23, -v16, v22, v21
	v_fmac_f32_e32 v22, v23, v20
	v_fma_f32 v16, -v16, v22, v21
	v_div_fmas_f32 v16, v16, v20, v22
	v_div_fixup_f32 v16, v16, v18, 1.0
                                        ; implicit-def: $vgpr18
	v_mul_f32_e32 v21, v15, v16
	v_xor_b32_e32 v20, 0x80000000, v16
                                        ; implicit-def: $vgpr16
	v_xor_b32_e32 v15, 0x80000000, v21
.LBB70_15:
	s_andn2_saveexec_b32 s5, s5
	s_cbranch_execz .LBB70_17
; %bb.16:
	v_div_scale_f32 v15, null, v16, v16, v18
	v_div_scale_f32 v22, vcc_lo, v18, v16, v18
	v_rcp_f32_e32 v20, v15
	v_fma_f32 v21, -v15, v20, 1.0
	v_fmac_f32_e32 v20, v21, v20
	v_mul_f32_e32 v21, v22, v20
	v_fma_f32 v23, -v15, v21, v22
	v_fmac_f32_e32 v21, v23, v20
	v_fma_f32 v15, -v15, v21, v22
	v_div_fmas_f32 v15, v15, v20, v21
	v_div_fixup_f32 v20, v15, v16, v18
	v_fmac_f32_e32 v16, v18, v20
	v_div_scale_f32 v15, null, v16, v16, 1.0
	v_div_scale_f32 v22, vcc_lo, 1.0, v16, 1.0
	v_rcp_f32_e32 v18, v15
	v_fma_f32 v21, -v15, v18, 1.0
	v_fmac_f32_e32 v18, v21, v18
	v_mul_f32_e32 v21, v22, v18
	v_fma_f32 v23, -v15, v21, v22
	v_fmac_f32_e32 v21, v23, v18
	v_fma_f32 v15, -v15, v21, v22
	v_div_fmas_f32 v15, v15, v18, v21
	v_div_fixup_f32 v21, v15, v16, 1.0
	v_xor_b32_e32 v15, 0x80000000, v21
	v_mul_f32_e64 v20, v20, -v21
.LBB70_17:
	s_or_b32 exec_lo, exec_lo, s5
	buffer_store_dword v21, v19, s[0:3], 0 offen
	buffer_store_dword v20, v19, s[0:3], 0 offen offset:4
	s_clause 0x1
	buffer_load_dword v22, off, s[0:3], 0 offset:12
	buffer_load_dword v21, off, s[0:3], 0 offset:8
	v_xor_b32_e32 v16, 0x80000000, v20
	v_add_nc_u32_e32 v18, 64, v17
	s_waitcnt vmcnt(0)
	ds_write2_b64 v17, v[15:16], v[21:22] offset1:8
	s_waitcnt lgkmcnt(0)
	s_waitcnt_vscnt null, 0x0
	s_barrier
	buffer_gl0_inv
	s_and_saveexec_b32 s5, s4
	s_cbranch_execz .LBB70_19
; %bb.18:
	s_clause 0x1
	buffer_load_dword v22, v19, s[0:3], 0 offen offset:4
	buffer_load_dword v23, v19, s[0:3], 0 offen
	ds_read_b64 v[15:16], v18
	v_mov_b32_e32 v20, 0
	ds_read_b64 v[20:21], v20 offset:8
	s_waitcnt vmcnt(1) lgkmcnt(1)
	v_mul_f32_e32 v24, v15, v22
	v_mul_f32_e32 v22, v16, v22
	s_waitcnt vmcnt(0)
	v_fmac_f32_e32 v24, v16, v23
	v_fma_f32 v15, v15, v23, -v22
	v_add_f32_e32 v16, 0, v24
	v_add_f32_e32 v15, 0, v15
	s_waitcnt lgkmcnt(0)
	v_mul_f32_e32 v22, v16, v21
	v_mul_f32_e32 v21, v15, v21
	v_fma_f32 v15, v15, v20, -v22
	v_fmac_f32_e32 v21, v16, v20
	buffer_store_dword v15, off, s[0:3], 0 offset:8
	buffer_store_dword v21, off, s[0:3], 0 offset:12
.LBB70_19:
	s_or_b32 exec_lo, exec_lo, s5
	s_waitcnt_vscnt null, 0x0
	s_barrier
	buffer_gl0_inv
	s_clause 0x1
	buffer_load_dword v15, off, s[0:3], 0 offset:16
	buffer_load_dword v16, off, s[0:3], 0 offset:20
	s_mov_b32 s5, exec_lo
	s_waitcnt vmcnt(0)
	ds_write_b64 v18, v[15:16]
	s_waitcnt lgkmcnt(0)
	s_barrier
	buffer_gl0_inv
	v_cmpx_gt_u32_e32 2, v0
	s_cbranch_execz .LBB70_23
; %bb.20:
	s_clause 0x1
	buffer_load_dword v20, v19, s[0:3], 0 offen offset:4
	buffer_load_dword v19, v19, s[0:3], 0 offen
	ds_read_b64 v[15:16], v18
	s_waitcnt vmcnt(1) lgkmcnt(0)
	v_mul_f32_e32 v21, v16, v20
	v_mul_f32_e32 v20, v15, v20
	s_waitcnt vmcnt(0)
	v_fma_f32 v15, v15, v19, -v21
	v_fmac_f32_e32 v20, v16, v19
	v_add_f32_e32 v16, 0, v15
	v_add_f32_e32 v15, 0, v20
	s_and_saveexec_b32 s8, s4
	s_cbranch_execz .LBB70_22
; %bb.21:
	s_clause 0x1
	buffer_load_dword v21, off, s[0:3], 0 offset:12
	buffer_load_dword v22, off, s[0:3], 0 offset:8
	v_mov_b32_e32 v19, 0
	ds_read_b64 v[19:20], v19 offset:72
	s_waitcnt vmcnt(1) lgkmcnt(0)
	v_mul_f32_e32 v23, v19, v21
	v_mul_f32_e32 v21, v20, v21
	s_waitcnt vmcnt(0)
	v_fmac_f32_e32 v23, v20, v22
	v_fma_f32 v19, v19, v22, -v21
	v_add_f32_e32 v15, v15, v23
	v_add_f32_e32 v16, v16, v19
.LBB70_22:
	s_or_b32 exec_lo, exec_lo, s8
	v_mov_b32_e32 v19, 0
	ds_read_b64 v[19:20], v19 offset:16
	s_waitcnt lgkmcnt(0)
	v_mul_f32_e32 v21, v15, v20
	v_mul_f32_e32 v20, v16, v20
	v_fma_f32 v16, v16, v19, -v21
	v_fmac_f32_e32 v20, v15, v19
	buffer_store_dword v16, off, s[0:3], 0 offset:16
	buffer_store_dword v20, off, s[0:3], 0 offset:20
.LBB70_23:
	s_or_b32 exec_lo, exec_lo, s5
	s_waitcnt_vscnt null, 0x0
	s_barrier
	buffer_gl0_inv
	s_clause 0x1
	buffer_load_dword v19, off, s[0:3], 0 offset:24
	buffer_load_dword v20, off, s[0:3], 0 offset:28
	v_add_nc_u32_e32 v15, -1, v0
	s_mov_b32 s4, exec_lo
	s_waitcnt vmcnt(0)
	ds_write_b64 v18, v[19:20]
	s_waitcnt lgkmcnt(0)
	s_barrier
	buffer_gl0_inv
	v_cmpx_gt_u32_e32 3, v0
	s_cbranch_execz .LBB70_27
; %bb.24:
	v_add_nc_u32_e32 v19, -1, v0
	v_add_nc_u32_e32 v20, 64, v17
	v_mov_b32_e32 v21, v17
	v_mov_b32_e32 v16, 0
	;; [unrolled: 1-line block ×3, first 2 shown]
	s_mov_b32 s5, 0
	.p2align	6
.LBB70_25:                              ; =>This Inner Loop Header: Depth=1
	s_clause 0x1
	buffer_load_dword v25, v21, s[0:3], 0 offen offset:4
	buffer_load_dword v26, v21, s[0:3], 0 offen
	ds_read_b64 v[23:24], v20
	v_add_nc_u32_e32 v19, 1, v19
	v_add_nc_u32_e32 v20, 8, v20
	;; [unrolled: 1-line block ×3, first 2 shown]
	v_cmp_lt_u32_e32 vcc_lo, 1, v19
	s_or_b32 s5, vcc_lo, s5
	s_waitcnt vmcnt(1) lgkmcnt(0)
	v_mul_f32_e32 v27, v24, v25
	v_mul_f32_e32 v25, v23, v25
	s_waitcnt vmcnt(0)
	v_fma_f32 v23, v23, v26, -v27
	v_fmac_f32_e32 v25, v24, v26
	v_add_f32_e32 v22, v22, v23
	v_add_f32_e32 v16, v16, v25
	s_andn2_b32 exec_lo, exec_lo, s5
	s_cbranch_execnz .LBB70_25
; %bb.26:
	s_or_b32 exec_lo, exec_lo, s5
	v_mov_b32_e32 v19, 0
	ds_read_b64 v[19:20], v19 offset:24
	s_waitcnt lgkmcnt(0)
	v_mul_f32_e32 v21, v16, v20
	v_mul_f32_e32 v20, v22, v20
	v_fma_f32 v21, v22, v19, -v21
	v_fmac_f32_e32 v20, v16, v19
	buffer_store_dword v21, off, s[0:3], 0 offset:24
	buffer_store_dword v20, off, s[0:3], 0 offset:28
.LBB70_27:
	s_or_b32 exec_lo, exec_lo, s4
	s_waitcnt_vscnt null, 0x0
	s_barrier
	buffer_gl0_inv
	s_clause 0x1
	buffer_load_dword v19, off, s[0:3], 0 offset:32
	buffer_load_dword v20, off, s[0:3], 0 offset:36
	s_mov_b32 s4, exec_lo
	s_waitcnt vmcnt(0)
	ds_write_b64 v18, v[19:20]
	s_waitcnt lgkmcnt(0)
	s_barrier
	buffer_gl0_inv
	v_cmpx_gt_u32_e32 4, v0
	s_cbranch_execz .LBB70_31
; %bb.28:
	v_add_nc_u32_e32 v19, -1, v0
	v_add_nc_u32_e32 v20, 64, v17
	v_mov_b32_e32 v21, v17
	v_mov_b32_e32 v16, 0
	;; [unrolled: 1-line block ×3, first 2 shown]
	s_mov_b32 s5, 0
	.p2align	6
.LBB70_29:                              ; =>This Inner Loop Header: Depth=1
	s_clause 0x1
	buffer_load_dword v25, v21, s[0:3], 0 offen offset:4
	buffer_load_dword v26, v21, s[0:3], 0 offen
	ds_read_b64 v[23:24], v20
	v_add_nc_u32_e32 v19, 1, v19
	v_add_nc_u32_e32 v20, 8, v20
	;; [unrolled: 1-line block ×3, first 2 shown]
	v_cmp_lt_u32_e32 vcc_lo, 2, v19
	s_or_b32 s5, vcc_lo, s5
	s_waitcnt vmcnt(1) lgkmcnt(0)
	v_mul_f32_e32 v27, v24, v25
	v_mul_f32_e32 v25, v23, v25
	s_waitcnt vmcnt(0)
	v_fma_f32 v23, v23, v26, -v27
	v_fmac_f32_e32 v25, v24, v26
	v_add_f32_e32 v22, v22, v23
	v_add_f32_e32 v16, v16, v25
	s_andn2_b32 exec_lo, exec_lo, s5
	s_cbranch_execnz .LBB70_29
; %bb.30:
	s_or_b32 exec_lo, exec_lo, s5
	v_mov_b32_e32 v19, 0
	ds_read_b64 v[19:20], v19 offset:32
	s_waitcnt lgkmcnt(0)
	v_mul_f32_e32 v21, v16, v20
	v_mul_f32_e32 v20, v22, v20
	v_fma_f32 v21, v22, v19, -v21
	v_fmac_f32_e32 v20, v16, v19
	buffer_store_dword v21, off, s[0:3], 0 offset:32
	buffer_store_dword v20, off, s[0:3], 0 offset:36
.LBB70_31:
	s_or_b32 exec_lo, exec_lo, s4
	s_waitcnt_vscnt null, 0x0
	s_barrier
	buffer_gl0_inv
	s_clause 0x1
	buffer_load_dword v19, off, s[0:3], 0 offset:40
	buffer_load_dword v20, off, s[0:3], 0 offset:44
	s_mov_b32 s4, exec_lo
	s_waitcnt vmcnt(0)
	ds_write_b64 v18, v[19:20]
	s_waitcnt lgkmcnt(0)
	s_barrier
	buffer_gl0_inv
	v_cmpx_gt_u32_e32 5, v0
	s_cbranch_execz .LBB70_35
; %bb.32:
	v_add_nc_u32_e32 v19, -1, v0
	v_add_nc_u32_e32 v20, 64, v17
	v_mov_b32_e32 v21, v17
	v_mov_b32_e32 v16, 0
	;; [unrolled: 1-line block ×3, first 2 shown]
	s_mov_b32 s5, 0
	.p2align	6
.LBB70_33:                              ; =>This Inner Loop Header: Depth=1
	s_clause 0x1
	buffer_load_dword v25, v21, s[0:3], 0 offen offset:4
	buffer_load_dword v26, v21, s[0:3], 0 offen
	ds_read_b64 v[23:24], v20
	v_add_nc_u32_e32 v19, 1, v19
	v_add_nc_u32_e32 v20, 8, v20
	;; [unrolled: 1-line block ×3, first 2 shown]
	v_cmp_lt_u32_e32 vcc_lo, 3, v19
	s_or_b32 s5, vcc_lo, s5
	s_waitcnt vmcnt(1) lgkmcnt(0)
	v_mul_f32_e32 v27, v24, v25
	v_mul_f32_e32 v25, v23, v25
	s_waitcnt vmcnt(0)
	v_fma_f32 v23, v23, v26, -v27
	v_fmac_f32_e32 v25, v24, v26
	v_add_f32_e32 v22, v22, v23
	v_add_f32_e32 v16, v16, v25
	s_andn2_b32 exec_lo, exec_lo, s5
	s_cbranch_execnz .LBB70_33
; %bb.34:
	s_or_b32 exec_lo, exec_lo, s5
	v_mov_b32_e32 v19, 0
	ds_read_b64 v[19:20], v19 offset:40
	s_waitcnt lgkmcnt(0)
	v_mul_f32_e32 v21, v16, v20
	v_mul_f32_e32 v20, v22, v20
	v_fma_f32 v21, v22, v19, -v21
	v_fmac_f32_e32 v20, v16, v19
	buffer_store_dword v21, off, s[0:3], 0 offset:40
	buffer_store_dword v20, off, s[0:3], 0 offset:44
.LBB70_35:
	s_or_b32 exec_lo, exec_lo, s4
	s_waitcnt_vscnt null, 0x0
	s_barrier
	buffer_gl0_inv
	s_clause 0x1
	buffer_load_dword v19, off, s[0:3], 0 offset:48
	buffer_load_dword v20, off, s[0:3], 0 offset:52
	s_mov_b32 s4, exec_lo
	s_waitcnt vmcnt(0)
	ds_write_b64 v18, v[19:20]
	s_waitcnt lgkmcnt(0)
	s_barrier
	buffer_gl0_inv
	v_cmpx_ne_u32_e32 6, v0
	s_cbranch_execz .LBB70_39
; %bb.36:
	v_mov_b32_e32 v16, 0
	v_mov_b32_e32 v19, 0
	s_mov_b32 s5, 0
	.p2align	6
.LBB70_37:                              ; =>This Inner Loop Header: Depth=1
	s_clause 0x1
	buffer_load_dword v22, v17, s[0:3], 0 offen offset:4
	buffer_load_dword v23, v17, s[0:3], 0 offen
	ds_read_b64 v[20:21], v18
	v_add_nc_u32_e32 v15, 1, v15
	v_add_nc_u32_e32 v18, 8, v18
	;; [unrolled: 1-line block ×3, first 2 shown]
	v_cmp_lt_u32_e32 vcc_lo, 4, v15
	s_or_b32 s5, vcc_lo, s5
	s_waitcnt vmcnt(1) lgkmcnt(0)
	v_mul_f32_e32 v24, v21, v22
	v_mul_f32_e32 v22, v20, v22
	s_waitcnt vmcnt(0)
	v_fma_f32 v20, v20, v23, -v24
	v_fmac_f32_e32 v22, v21, v23
	v_add_f32_e32 v19, v19, v20
	v_add_f32_e32 v16, v16, v22
	s_andn2_b32 exec_lo, exec_lo, s5
	s_cbranch_execnz .LBB70_37
; %bb.38:
	s_or_b32 exec_lo, exec_lo, s5
	v_mov_b32_e32 v15, 0
	ds_read_b64 v[17:18], v15 offset:48
	s_waitcnt lgkmcnt(0)
	v_mul_f32_e32 v15, v16, v18
	v_mul_f32_e32 v18, v19, v18
	v_fma_f32 v15, v19, v17, -v15
	v_fmac_f32_e32 v18, v16, v17
	buffer_store_dword v15, off, s[0:3], 0 offset:48
	buffer_store_dword v18, off, s[0:3], 0 offset:52
.LBB70_39:
	s_or_b32 exec_lo, exec_lo, s4
	s_mov_b32 s5, -1
	s_waitcnt_vscnt null, 0x0
	s_barrier
	buffer_gl0_inv
.LBB70_40:
	s_and_b32 vcc_lo, exec_lo, s5
	s_cbranch_vccz .LBB70_42
; %bb.41:
	s_lshl_b64 s[4:5], s[6:7], 2
	v_mov_b32_e32 v15, 0
	s_add_u32 s4, s10, s4
	s_addc_u32 s5, s11, s5
	global_load_dword v15, v15, s[4:5]
	s_waitcnt vmcnt(0)
	v_cmp_ne_u32_e32 vcc_lo, 0, v15
	s_cbranch_vccz .LBB70_43
.LBB70_42:
	s_endpgm
.LBB70_43:
	v_lshl_add_u32 v15, v0, 3, 64
	s_mov_b32 s4, exec_lo
	v_cmpx_eq_u32_e32 6, v0
	s_cbranch_execz .LBB70_45
; %bb.44:
	s_clause 0x1
	buffer_load_dword v16, off, s[0:3], 0 offset:40
	buffer_load_dword v17, off, s[0:3], 0 offset:44
	v_mov_b32_e32 v18, 0
	buffer_store_dword v18, off, s[0:3], 0 offset:40
	buffer_store_dword v18, off, s[0:3], 0 offset:44
	s_waitcnt vmcnt(0)
	ds_write_b64 v15, v[16:17]
.LBB70_45:
	s_or_b32 exec_lo, exec_lo, s4
	s_waitcnt lgkmcnt(0)
	s_waitcnt_vscnt null, 0x0
	s_barrier
	buffer_gl0_inv
	s_clause 0x3
	buffer_load_dword v19, off, s[0:3], 0 offset:52
	buffer_load_dword v20, off, s[0:3], 0 offset:48
	;; [unrolled: 1-line block ×4, first 2 shown]
	v_mov_b32_e32 v16, 0
	s_mov_b32 s4, exec_lo
	ds_read_b64 v[17:18], v16 offset:112
	s_waitcnt vmcnt(3) lgkmcnt(0)
	v_mul_f32_e32 v23, v18, v19
	v_mul_f32_e32 v19, v17, v19
	s_waitcnt vmcnt(2)
	v_fma_f32 v17, v17, v20, -v23
	v_fmac_f32_e32 v19, v18, v20
	v_add_f32_e32 v17, 0, v17
	v_add_f32_e32 v18, 0, v19
	s_waitcnt vmcnt(1)
	v_sub_f32_e32 v17, v21, v17
	s_waitcnt vmcnt(0)
	v_sub_f32_e32 v18, v22, v18
	buffer_store_dword v17, off, s[0:3], 0 offset:40
	buffer_store_dword v18, off, s[0:3], 0 offset:44
	v_cmpx_lt_u32_e32 4, v0
	s_cbranch_execz .LBB70_47
; %bb.46:
	s_clause 0x1
	buffer_load_dword v17, off, s[0:3], 0 offset:32
	buffer_load_dword v18, off, s[0:3], 0 offset:36
	buffer_store_dword v16, off, s[0:3], 0 offset:32
	buffer_store_dword v16, off, s[0:3], 0 offset:36
	s_waitcnt vmcnt(0)
	ds_write_b64 v15, v[17:18]
.LBB70_47:
	s_or_b32 exec_lo, exec_lo, s4
	s_waitcnt lgkmcnt(0)
	s_waitcnt_vscnt null, 0x0
	s_barrier
	buffer_gl0_inv
	s_clause 0x5
	buffer_load_dword v20, off, s[0:3], 0 offset:44
	buffer_load_dword v21, off, s[0:3], 0 offset:52
	;; [unrolled: 1-line block ×6, first 2 shown]
	ds_read2_b64 v[16:19], v16 offset0:13 offset1:14
	s_mov_b32 s4, exec_lo
	s_waitcnt vmcnt(5) lgkmcnt(0)
	v_mul_f32_e32 v26, v17, v20
	v_mul_f32_e32 v20, v16, v20
	s_waitcnt vmcnt(4)
	v_mul_f32_e32 v27, v18, v21
	v_mul_f32_e32 v21, v19, v21
	s_waitcnt vmcnt(3)
	v_fma_f32 v16, v16, v22, -v26
	v_fmac_f32_e32 v20, v17, v22
	s_waitcnt vmcnt(2)
	v_fmac_f32_e32 v27, v19, v23
	v_fma_f32 v17, v18, v23, -v21
	v_add_f32_e32 v16, 0, v16
	v_add_f32_e32 v18, 0, v20
	;; [unrolled: 1-line block ×4, first 2 shown]
	s_waitcnt vmcnt(1)
	v_sub_f32_e32 v16, v24, v16
	s_waitcnt vmcnt(0)
	v_sub_f32_e32 v17, v25, v17
	buffer_store_dword v16, off, s[0:3], 0 offset:32
	buffer_store_dword v17, off, s[0:3], 0 offset:36
	v_cmpx_lt_u32_e32 3, v0
	s_cbranch_execz .LBB70_49
; %bb.48:
	s_clause 0x1
	buffer_load_dword v16, off, s[0:3], 0 offset:24
	buffer_load_dword v17, off, s[0:3], 0 offset:28
	v_mov_b32_e32 v18, 0
	buffer_store_dword v18, off, s[0:3], 0 offset:24
	buffer_store_dword v18, off, s[0:3], 0 offset:28
	s_waitcnt vmcnt(0)
	ds_write_b64 v15, v[16:17]
.LBB70_49:
	s_or_b32 exec_lo, exec_lo, s4
	s_waitcnt lgkmcnt(0)
	s_waitcnt_vscnt null, 0x0
	s_barrier
	buffer_gl0_inv
	s_clause 0x7
	buffer_load_dword v23, off, s[0:3], 0 offset:36
	buffer_load_dword v24, off, s[0:3], 0 offset:44
	;; [unrolled: 1-line block ×8, first 2 shown]
	v_mov_b32_e32 v16, 0
	ds_read_b128 v[17:20], v16 offset:96
	ds_read_b64 v[21:22], v16 offset:112
	s_mov_b32 s4, exec_lo
	s_waitcnt vmcnt(7) lgkmcnt(1)
	v_mul_f32_e32 v31, v18, v23
	v_mul_f32_e32 v23, v17, v23
	s_waitcnt vmcnt(6)
	v_mul_f32_e32 v32, v19, v24
	v_mul_f32_e32 v24, v20, v24
	s_waitcnt vmcnt(5) lgkmcnt(0)
	v_mul_f32_e32 v33, v21, v25
	s_waitcnt vmcnt(4)
	v_fma_f32 v17, v17, v26, -v31
	v_fmac_f32_e32 v23, v18, v26
	v_mul_f32_e32 v18, v22, v25
	s_waitcnt vmcnt(3)
	v_fma_f32 v19, v19, v27, -v24
	v_fmac_f32_e32 v32, v20, v27
	v_add_f32_e32 v17, 0, v17
	v_add_f32_e32 v20, 0, v23
	s_waitcnt vmcnt(2)
	v_fma_f32 v18, v21, v28, -v18
	v_fmac_f32_e32 v33, v22, v28
	v_add_f32_e32 v17, v17, v19
	v_add_f32_e32 v19, v20, v32
	;; [unrolled: 1-line block ×4, first 2 shown]
	s_waitcnt vmcnt(1)
	v_sub_f32_e32 v17, v29, v17
	s_waitcnt vmcnt(0)
	v_sub_f32_e32 v18, v30, v18
	buffer_store_dword v17, off, s[0:3], 0 offset:24
	buffer_store_dword v18, off, s[0:3], 0 offset:28
	v_cmpx_lt_u32_e32 2, v0
	s_cbranch_execz .LBB70_51
; %bb.50:
	s_clause 0x1
	buffer_load_dword v17, off, s[0:3], 0 offset:16
	buffer_load_dword v18, off, s[0:3], 0 offset:20
	buffer_store_dword v16, off, s[0:3], 0 offset:16
	buffer_store_dword v16, off, s[0:3], 0 offset:20
	s_waitcnt vmcnt(0)
	ds_write_b64 v15, v[17:18]
.LBB70_51:
	s_or_b32 exec_lo, exec_lo, s4
	s_waitcnt lgkmcnt(0)
	s_waitcnt_vscnt null, 0x0
	s_barrier
	buffer_gl0_inv
	s_clause 0x9
	buffer_load_dword v25, off, s[0:3], 0 offset:28
	buffer_load_dword v26, off, s[0:3], 0 offset:36
	;; [unrolled: 1-line block ×10, first 2 shown]
	ds_read2_b64 v[17:20], v16 offset0:11 offset1:12
	ds_read2_b64 v[21:24], v16 offset0:13 offset1:14
	s_mov_b32 s4, exec_lo
	s_waitcnt vmcnt(9) lgkmcnt(1)
	v_mul_f32_e32 v16, v17, v25
	v_mul_f32_e32 v25, v18, v25
	s_waitcnt vmcnt(8)
	v_mul_f32_e32 v35, v19, v26
	v_mul_f32_e32 v26, v20, v26
	s_waitcnt vmcnt(7) lgkmcnt(0)
	v_mul_f32_e32 v36, v21, v27
	s_waitcnt vmcnt(5)
	v_fmac_f32_e32 v16, v18, v29
	v_fma_f32 v17, v17, v29, -v25
	v_mul_f32_e32 v18, v22, v27
	s_waitcnt vmcnt(4)
	v_fma_f32 v19, v19, v30, -v26
	v_fmac_f32_e32 v35, v20, v30
	v_add_f32_e32 v16, 0, v16
	v_add_f32_e32 v17, 0, v17
	v_mul_f32_e32 v20, v24, v28
	s_waitcnt vmcnt(3)
	v_fma_f32 v18, v21, v31, -v18
	v_mul_f32_e32 v37, v23, v28
	v_fmac_f32_e32 v36, v22, v31
	v_add_f32_e32 v17, v17, v19
	v_add_f32_e32 v16, v16, v35
	s_waitcnt vmcnt(2)
	v_fma_f32 v19, v23, v32, -v20
	v_fmac_f32_e32 v37, v24, v32
	v_add_f32_e32 v17, v17, v18
	v_add_f32_e32 v16, v16, v36
	;; [unrolled: 1-line block ×4, first 2 shown]
	s_waitcnt vmcnt(1)
	v_sub_f32_e32 v17, v33, v17
	s_waitcnt vmcnt(0)
	v_sub_f32_e32 v16, v34, v16
	buffer_store_dword v17, off, s[0:3], 0 offset:16
	buffer_store_dword v16, off, s[0:3], 0 offset:20
	v_cmpx_lt_u32_e32 1, v0
	s_cbranch_execz .LBB70_53
; %bb.52:
	s_clause 0x1
	buffer_load_dword v16, off, s[0:3], 0 offset:8
	buffer_load_dword v17, off, s[0:3], 0 offset:12
	v_mov_b32_e32 v18, 0
	buffer_store_dword v18, off, s[0:3], 0 offset:8
	buffer_store_dword v18, off, s[0:3], 0 offset:12
	s_waitcnt vmcnt(0)
	ds_write_b64 v15, v[16:17]
.LBB70_53:
	s_or_b32 exec_lo, exec_lo, s4
	s_waitcnt lgkmcnt(0)
	s_waitcnt_vscnt null, 0x0
	s_barrier
	buffer_gl0_inv
	s_clause 0xb
	buffer_load_dword v27, off, s[0:3], 0 offset:20
	buffer_load_dword v28, off, s[0:3], 0 offset:28
	;; [unrolled: 1-line block ×12, first 2 shown]
	v_mov_b32_e32 v16, 0
	ds_read_b128 v[17:20], v16 offset:80
	ds_read_b128 v[21:24], v16 offset:96
	ds_read_b64 v[25:26], v16 offset:112
	s_mov_b32 s4, exec_lo
	s_waitcnt vmcnt(11) lgkmcnt(2)
	v_mul_f32_e32 v39, v17, v27
	v_mul_f32_e32 v27, v18, v27
	s_waitcnt vmcnt(10)
	v_mul_f32_e32 v40, v19, v28
	v_mul_f32_e32 v28, v20, v28
	s_waitcnt vmcnt(9) lgkmcnt(1)
	v_mul_f32_e32 v41, v21, v29
	s_waitcnt vmcnt(6)
	v_fmac_f32_e32 v39, v18, v32
	v_fma_f32 v17, v17, v32, -v27
	v_mul_f32_e32 v18, v22, v29
	s_waitcnt vmcnt(5)
	v_fma_f32 v19, v19, v33, -v28
	v_fmac_f32_e32 v40, v20, v33
	v_add_f32_e32 v20, 0, v39
	v_add_f32_e32 v17, 0, v17
	v_mul_f32_e32 v27, v24, v30
	s_waitcnt vmcnt(4)
	v_fma_f32 v18, v21, v34, -v18
	v_mul_f32_e32 v42, v23, v30
	v_fmac_f32_e32 v41, v22, v34
	v_add_f32_e32 v17, v17, v19
	v_add_f32_e32 v19, v20, v40
	s_waitcnt lgkmcnt(0)
	v_mul_f32_e32 v20, v26, v31
	s_waitcnt vmcnt(3)
	v_fma_f32 v21, v23, v35, -v27
	v_mul_f32_e32 v43, v25, v31
	v_add_f32_e32 v17, v17, v18
	v_fmac_f32_e32 v42, v24, v35
	v_add_f32_e32 v18, v19, v41
	s_waitcnt vmcnt(2)
	v_fma_f32 v19, v25, v36, -v20
	v_fmac_f32_e32 v43, v26, v36
	v_add_f32_e32 v17, v17, v21
	v_add_f32_e32 v18, v18, v42
	;; [unrolled: 1-line block ×4, first 2 shown]
	s_waitcnt vmcnt(1)
	v_sub_f32_e32 v17, v37, v17
	s_waitcnt vmcnt(0)
	v_sub_f32_e32 v18, v38, v18
	buffer_store_dword v17, off, s[0:3], 0 offset:8
	buffer_store_dword v18, off, s[0:3], 0 offset:12
	v_cmpx_ne_u32_e32 0, v0
	s_cbranch_execz .LBB70_55
; %bb.54:
	s_clause 0x1
	buffer_load_dword v17, off, s[0:3], 0
	buffer_load_dword v18, off, s[0:3], 0 offset:4
	buffer_store_dword v16, off, s[0:3], 0
	buffer_store_dword v16, off, s[0:3], 0 offset:4
	s_waitcnt vmcnt(0)
	ds_write_b64 v15, v[17:18]
.LBB70_55:
	s_or_b32 exec_lo, exec_lo, s4
	s_waitcnt lgkmcnt(0)
	s_waitcnt_vscnt null, 0x0
	s_barrier
	buffer_gl0_inv
	s_clause 0xd
	buffer_load_dword v29, off, s[0:3], 0 offset:12
	buffer_load_dword v30, off, s[0:3], 0 offset:20
	;; [unrolled: 1-line block ×12, first 2 shown]
	buffer_load_dword v39, off, s[0:3], 0
	buffer_load_dword v40, off, s[0:3], 0 offset:4
	ds_read2_b64 v[17:20], v16 offset0:9 offset1:10
	ds_read2_b64 v[21:24], v16 offset0:11 offset1:12
	;; [unrolled: 1-line block ×3, first 2 shown]
	s_and_b32 vcc_lo, exec_lo, s16
	s_waitcnt vmcnt(13) lgkmcnt(2)
	v_mul_f32_e32 v16, v17, v29
	v_mul_f32_e32 v29, v18, v29
	s_waitcnt vmcnt(12)
	v_mul_f32_e32 v41, v19, v30
	v_mul_f32_e32 v30, v20, v30
	s_waitcnt vmcnt(11) lgkmcnt(1)
	v_mul_f32_e32 v42, v21, v31
	s_waitcnt vmcnt(10)
	v_mul_f32_e32 v43, v23, v32
	s_waitcnt vmcnt(7)
	v_fma_f32 v17, v17, v34, -v29
	v_fmac_f32_e32 v16, v18, v34
	v_mul_f32_e32 v18, v22, v31
	s_waitcnt vmcnt(6)
	v_fma_f32 v19, v19, v35, -v30
	v_fmac_f32_e32 v41, v20, v35
	v_add_f32_e32 v17, 0, v17
	v_add_f32_e32 v16, 0, v16
	v_mul_f32_e32 v20, v24, v32
	s_waitcnt vmcnt(5)
	v_fma_f32 v18, v21, v36, -v18
	v_fmac_f32_e32 v42, v22, v36
	v_add_f32_e32 v17, v17, v19
	v_add_f32_e32 v16, v16, v41
	s_waitcnt lgkmcnt(0)
	v_mul_f32_e32 v19, v26, v0
	s_waitcnt vmcnt(4)
	v_fma_f32 v20, v23, v37, -v20
	v_mul_f32_e32 v44, v25, v0
	v_add_f32_e32 v17, v17, v18
	v_fmac_f32_e32 v43, v24, v37
	v_add_f32_e32 v16, v16, v42
	v_mul_f32_e32 v18, v28, v33
	s_waitcnt vmcnt(3)
	v_fma_f32 v19, v25, v15, -v19
	v_add_f32_e32 v17, v17, v20
	v_mul_f32_e32 v45, v27, v33
	v_fmac_f32_e32 v44, v26, v15
	v_add_f32_e32 v16, v16, v43
	s_waitcnt vmcnt(2)
	v_fma_f32 v18, v27, v38, -v18
	v_add_f32_e32 v17, v17, v19
	v_fmac_f32_e32 v45, v28, v38
	v_add_f32_e32 v16, v16, v44
	v_add_f32_e32 v17, v17, v18
	;; [unrolled: 1-line block ×3, first 2 shown]
	s_waitcnt vmcnt(1)
	v_sub_f32_e32 v17, v39, v17
	s_waitcnt vmcnt(0)
	v_sub_f32_e32 v16, v40, v16
	buffer_store_dword v17, off, s[0:3], 0
	buffer_store_dword v16, off, s[0:3], 0 offset:4
	s_cbranch_vccz .LBB70_68
; %bb.56:
	v_mov_b32_e32 v16, 0
	global_load_dword v17, v16, s[12:13] offset:20
	s_waitcnt vmcnt(0)
	v_add_nc_u32_e32 v17, -1, v17
	v_cmp_ne_u32_e32 vcc_lo, 5, v17
	s_cbranch_vccz .LBB70_58
; %bb.57:
	v_lshlrev_b32_e32 v17, 3, v17
	s_clause 0x1
	buffer_load_dword v18, v17, s[0:3], 0 offen
	buffer_load_dword v19, v17, s[0:3], 0 offen offset:4
	s_waitcnt vmcnt(1)
	buffer_store_dword v18, off, s[0:3], 0 offset:40
	s_waitcnt vmcnt(0)
	buffer_store_dword v19, off, s[0:3], 0 offset:44
	buffer_store_dword v15, v17, s[0:3], 0 offen
	buffer_store_dword v0, v17, s[0:3], 0 offen offset:4
.LBB70_58:
	global_load_dword v0, v16, s[12:13] offset:16
	s_waitcnt vmcnt(0)
	v_add_nc_u32_e32 v0, -1, v0
	v_cmp_eq_u32_e32 vcc_lo, 4, v0
	s_cbranch_vccnz .LBB70_60
; %bb.59:
	v_lshlrev_b32_e32 v0, 3, v0
	s_clause 0x3
	buffer_load_dword v15, v0, s[0:3], 0 offen
	buffer_load_dword v16, v0, s[0:3], 0 offen offset:4
	buffer_load_dword v17, off, s[0:3], 0 offset:36
	buffer_load_dword v18, off, s[0:3], 0 offset:32
	s_waitcnt vmcnt(3)
	buffer_store_dword v15, off, s[0:3], 0 offset:32
	s_waitcnt vmcnt(2)
	buffer_store_dword v16, off, s[0:3], 0 offset:36
	s_waitcnt vmcnt(1)
	buffer_store_dword v17, v0, s[0:3], 0 offen offset:4
	s_waitcnt vmcnt(0)
	buffer_store_dword v18, v0, s[0:3], 0 offen
.LBB70_60:
	v_mov_b32_e32 v0, 0
	global_load_dword v15, v0, s[12:13] offset:12
	s_waitcnt vmcnt(0)
	v_add_nc_u32_e32 v15, -1, v15
	v_cmp_eq_u32_e32 vcc_lo, 3, v15
	s_cbranch_vccnz .LBB70_62
; %bb.61:
	v_lshlrev_b32_e32 v15, 3, v15
	s_clause 0x3
	buffer_load_dword v16, v15, s[0:3], 0 offen
	buffer_load_dword v17, v15, s[0:3], 0 offen offset:4
	buffer_load_dword v18, off, s[0:3], 0 offset:24
	buffer_load_dword v19, off, s[0:3], 0 offset:28
	s_waitcnt vmcnt(3)
	buffer_store_dword v16, off, s[0:3], 0 offset:24
	s_waitcnt vmcnt(2)
	buffer_store_dword v17, off, s[0:3], 0 offset:28
	s_waitcnt vmcnt(1)
	buffer_store_dword v18, v15, s[0:3], 0 offen
	s_waitcnt vmcnt(0)
	buffer_store_dword v19, v15, s[0:3], 0 offen offset:4
.LBB70_62:
	global_load_dword v0, v0, s[12:13] offset:8
	s_waitcnt vmcnt(0)
	v_add_nc_u32_e32 v0, -1, v0
	v_cmp_eq_u32_e32 vcc_lo, 2, v0
	s_cbranch_vccnz .LBB70_64
; %bb.63:
	v_lshlrev_b32_e32 v0, 3, v0
	s_clause 0x3
	buffer_load_dword v15, v0, s[0:3], 0 offen
	buffer_load_dword v16, v0, s[0:3], 0 offen offset:4
	buffer_load_dword v17, off, s[0:3], 0 offset:20
	buffer_load_dword v18, off, s[0:3], 0 offset:16
	s_waitcnt vmcnt(3)
	buffer_store_dword v15, off, s[0:3], 0 offset:16
	s_waitcnt vmcnt(2)
	buffer_store_dword v16, off, s[0:3], 0 offset:20
	s_waitcnt vmcnt(1)
	buffer_store_dword v17, v0, s[0:3], 0 offen offset:4
	s_waitcnt vmcnt(0)
	buffer_store_dword v18, v0, s[0:3], 0 offen
.LBB70_64:
	v_mov_b32_e32 v0, 0
	global_load_dword v15, v0, s[12:13] offset:4
	s_waitcnt vmcnt(0)
	v_add_nc_u32_e32 v15, -1, v15
	v_cmp_eq_u32_e32 vcc_lo, 1, v15
	s_cbranch_vccnz .LBB70_66
; %bb.65:
	v_lshlrev_b32_e32 v15, 3, v15
	s_clause 0x3
	buffer_load_dword v16, v15, s[0:3], 0 offen
	buffer_load_dword v17, v15, s[0:3], 0 offen offset:4
	buffer_load_dword v18, off, s[0:3], 0 offset:8
	buffer_load_dword v19, off, s[0:3], 0 offset:12
	s_waitcnt vmcnt(3)
	buffer_store_dword v16, off, s[0:3], 0 offset:8
	s_waitcnt vmcnt(2)
	buffer_store_dword v17, off, s[0:3], 0 offset:12
	s_waitcnt vmcnt(1)
	buffer_store_dword v18, v15, s[0:3], 0 offen
	s_waitcnt vmcnt(0)
	buffer_store_dword v19, v15, s[0:3], 0 offen offset:4
.LBB70_66:
	global_load_dword v0, v0, s[12:13]
	s_waitcnt vmcnt(0)
	v_add_nc_u32_e32 v0, -1, v0
	v_cmp_eq_u32_e32 vcc_lo, 0, v0
	s_cbranch_vccnz .LBB70_68
; %bb.67:
	v_lshlrev_b32_e32 v0, 3, v0
	s_clause 0x3
	buffer_load_dword v15, v0, s[0:3], 0 offen
	buffer_load_dword v16, v0, s[0:3], 0 offen offset:4
	buffer_load_dword v17, off, s[0:3], 0 offset:4
	buffer_load_dword v18, off, s[0:3], 0
	s_waitcnt vmcnt(3)
	buffer_store_dword v15, off, s[0:3], 0
	s_waitcnt vmcnt(2)
	buffer_store_dword v16, off, s[0:3], 0 offset:4
	s_waitcnt vmcnt(1)
	buffer_store_dword v17, v0, s[0:3], 0 offen offset:4
	s_waitcnt vmcnt(0)
	buffer_store_dword v18, v0, s[0:3], 0 offen
.LBB70_68:
	s_clause 0x1
	buffer_load_dword v15, off, s[0:3], 0
	buffer_load_dword v16, off, s[0:3], 0 offset:4
	s_waitcnt vmcnt(0)
	flat_store_dwordx2 v[1:2], v[15:16]
	s_clause 0x1
	buffer_load_dword v0, off, s[0:3], 0 offset:8
	buffer_load_dword v1, off, s[0:3], 0 offset:12
	s_waitcnt vmcnt(0)
	flat_store_dwordx2 v[3:4], v[0:1]
	s_clause 0x1
	buffer_load_dword v0, off, s[0:3], 0 offset:16
	;; [unrolled: 5-line block ×6, first 2 shown]
	buffer_load_dword v1, off, s[0:3], 0 offset:52
	s_waitcnt vmcnt(0)
	flat_store_dwordx2 v[13:14], v[0:1]
	s_endpgm
	.section	.rodata,"a",@progbits
	.p2align	6, 0x0
	.amdhsa_kernel _ZN9rocsolver6v33100L18getri_kernel_smallILi7E19rocblas_complex_numIfEPKPS3_EEvT1_iilPiilS8_bb
		.amdhsa_group_segment_fixed_size 120
		.amdhsa_private_segment_fixed_size 64
		.amdhsa_kernarg_size 60
		.amdhsa_user_sgpr_count 6
		.amdhsa_user_sgpr_private_segment_buffer 1
		.amdhsa_user_sgpr_dispatch_ptr 0
		.amdhsa_user_sgpr_queue_ptr 0
		.amdhsa_user_sgpr_kernarg_segment_ptr 1
		.amdhsa_user_sgpr_dispatch_id 0
		.amdhsa_user_sgpr_flat_scratch_init 0
		.amdhsa_user_sgpr_private_segment_size 0
		.amdhsa_wavefront_size32 1
		.amdhsa_uses_dynamic_stack 0
		.amdhsa_system_sgpr_private_segment_wavefront_offset 1
		.amdhsa_system_sgpr_workgroup_id_x 1
		.amdhsa_system_sgpr_workgroup_id_y 0
		.amdhsa_system_sgpr_workgroup_id_z 0
		.amdhsa_system_sgpr_workgroup_info 0
		.amdhsa_system_vgpr_workitem_id 0
		.amdhsa_next_free_vgpr 46
		.amdhsa_next_free_sgpr 20
		.amdhsa_reserve_vcc 1
		.amdhsa_reserve_flat_scratch 0
		.amdhsa_float_round_mode_32 0
		.amdhsa_float_round_mode_16_64 0
		.amdhsa_float_denorm_mode_32 3
		.amdhsa_float_denorm_mode_16_64 3
		.amdhsa_dx10_clamp 1
		.amdhsa_ieee_mode 1
		.amdhsa_fp16_overflow 0
		.amdhsa_workgroup_processor_mode 1
		.amdhsa_memory_ordered 1
		.amdhsa_forward_progress 1
		.amdhsa_shared_vgpr_count 0
		.amdhsa_exception_fp_ieee_invalid_op 0
		.amdhsa_exception_fp_denorm_src 0
		.amdhsa_exception_fp_ieee_div_zero 0
		.amdhsa_exception_fp_ieee_overflow 0
		.amdhsa_exception_fp_ieee_underflow 0
		.amdhsa_exception_fp_ieee_inexact 0
		.amdhsa_exception_int_div_zero 0
	.end_amdhsa_kernel
	.section	.text._ZN9rocsolver6v33100L18getri_kernel_smallILi7E19rocblas_complex_numIfEPKPS3_EEvT1_iilPiilS8_bb,"axG",@progbits,_ZN9rocsolver6v33100L18getri_kernel_smallILi7E19rocblas_complex_numIfEPKPS3_EEvT1_iilPiilS8_bb,comdat
.Lfunc_end70:
	.size	_ZN9rocsolver6v33100L18getri_kernel_smallILi7E19rocblas_complex_numIfEPKPS3_EEvT1_iilPiilS8_bb, .Lfunc_end70-_ZN9rocsolver6v33100L18getri_kernel_smallILi7E19rocblas_complex_numIfEPKPS3_EEvT1_iilPiilS8_bb
                                        ; -- End function
	.set _ZN9rocsolver6v33100L18getri_kernel_smallILi7E19rocblas_complex_numIfEPKPS3_EEvT1_iilPiilS8_bb.num_vgpr, 46
	.set _ZN9rocsolver6v33100L18getri_kernel_smallILi7E19rocblas_complex_numIfEPKPS3_EEvT1_iilPiilS8_bb.num_agpr, 0
	.set _ZN9rocsolver6v33100L18getri_kernel_smallILi7E19rocblas_complex_numIfEPKPS3_EEvT1_iilPiilS8_bb.numbered_sgpr, 20
	.set _ZN9rocsolver6v33100L18getri_kernel_smallILi7E19rocblas_complex_numIfEPKPS3_EEvT1_iilPiilS8_bb.num_named_barrier, 0
	.set _ZN9rocsolver6v33100L18getri_kernel_smallILi7E19rocblas_complex_numIfEPKPS3_EEvT1_iilPiilS8_bb.private_seg_size, 64
	.set _ZN9rocsolver6v33100L18getri_kernel_smallILi7E19rocblas_complex_numIfEPKPS3_EEvT1_iilPiilS8_bb.uses_vcc, 1
	.set _ZN9rocsolver6v33100L18getri_kernel_smallILi7E19rocblas_complex_numIfEPKPS3_EEvT1_iilPiilS8_bb.uses_flat_scratch, 0
	.set _ZN9rocsolver6v33100L18getri_kernel_smallILi7E19rocblas_complex_numIfEPKPS3_EEvT1_iilPiilS8_bb.has_dyn_sized_stack, 0
	.set _ZN9rocsolver6v33100L18getri_kernel_smallILi7E19rocblas_complex_numIfEPKPS3_EEvT1_iilPiilS8_bb.has_recursion, 0
	.set _ZN9rocsolver6v33100L18getri_kernel_smallILi7E19rocblas_complex_numIfEPKPS3_EEvT1_iilPiilS8_bb.has_indirect_call, 0
	.section	.AMDGPU.csdata,"",@progbits
; Kernel info:
; codeLenInByte = 5828
; TotalNumSgprs: 22
; NumVgprs: 46
; ScratchSize: 64
; MemoryBound: 0
; FloatMode: 240
; IeeeMode: 1
; LDSByteSize: 120 bytes/workgroup (compile time only)
; SGPRBlocks: 0
; VGPRBlocks: 5
; NumSGPRsForWavesPerEU: 22
; NumVGPRsForWavesPerEU: 46
; Occupancy: 16
; WaveLimiterHint : 1
; COMPUTE_PGM_RSRC2:SCRATCH_EN: 1
; COMPUTE_PGM_RSRC2:USER_SGPR: 6
; COMPUTE_PGM_RSRC2:TRAP_HANDLER: 0
; COMPUTE_PGM_RSRC2:TGID_X_EN: 1
; COMPUTE_PGM_RSRC2:TGID_Y_EN: 0
; COMPUTE_PGM_RSRC2:TGID_Z_EN: 0
; COMPUTE_PGM_RSRC2:TIDIG_COMP_CNT: 0
	.section	.text._ZN9rocsolver6v33100L18getri_kernel_smallILi8E19rocblas_complex_numIfEPKPS3_EEvT1_iilPiilS8_bb,"axG",@progbits,_ZN9rocsolver6v33100L18getri_kernel_smallILi8E19rocblas_complex_numIfEPKPS3_EEvT1_iilPiilS8_bb,comdat
	.globl	_ZN9rocsolver6v33100L18getri_kernel_smallILi8E19rocblas_complex_numIfEPKPS3_EEvT1_iilPiilS8_bb ; -- Begin function _ZN9rocsolver6v33100L18getri_kernel_smallILi8E19rocblas_complex_numIfEPKPS3_EEvT1_iilPiilS8_bb
	.p2align	8
	.type	_ZN9rocsolver6v33100L18getri_kernel_smallILi8E19rocblas_complex_numIfEPKPS3_EEvT1_iilPiilS8_bb,@function
_ZN9rocsolver6v33100L18getri_kernel_smallILi8E19rocblas_complex_numIfEPKPS3_EEvT1_iilPiilS8_bb: ; @_ZN9rocsolver6v33100L18getri_kernel_smallILi8E19rocblas_complex_numIfEPKPS3_EEvT1_iilPiilS8_bb
; %bb.0:
	s_add_u32 s0, s0, s7
	s_addc_u32 s1, s1, 0
	s_mov_b32 s7, exec_lo
	v_cmpx_gt_u32_e32 8, v0
	s_cbranch_execz .LBB71_46
; %bb.1:
	s_clause 0x2
	s_load_dword s17, s[4:5], 0x38
	s_load_dwordx2 s[12:13], s[4:5], 0x0
	s_load_dwordx4 s[8:11], s[4:5], 0x28
	s_waitcnt lgkmcnt(0)
	s_bitcmp1_b32 s17, 8
	s_cselect_b32 s16, -1, 0
	s_ashr_i32 s7, s6, 31
	s_lshl_b64 s[14:15], s[6:7], 3
	s_add_u32 s12, s12, s14
	s_addc_u32 s13, s13, s15
	s_load_dwordx2 s[14:15], s[12:13], 0x0
	s_bfe_u32 s12, s17, 0x10008
	s_cmp_eq_u32 s12, 0
                                        ; implicit-def: $sgpr12_sgpr13
	s_cbranch_scc1 .LBB71_3
; %bb.2:
	s_clause 0x1
	s_load_dword s12, s[4:5], 0x20
	s_load_dwordx2 s[18:19], s[4:5], 0x18
	s_mul_i32 s13, s8, s7
	s_mul_hi_u32 s17, s8, s6
	s_mul_i32 s9, s9, s6
	s_add_i32 s13, s17, s13
	s_mul_i32 s8, s8, s6
	s_add_i32 s9, s13, s9
	s_lshl_b64 s[8:9], s[8:9], 2
	s_waitcnt lgkmcnt(0)
	s_ashr_i32 s13, s12, 31
	s_add_u32 s17, s18, s8
	s_addc_u32 s18, s19, s9
	s_lshl_b64 s[8:9], s[12:13], 2
	s_add_u32 s12, s17, s8
	s_addc_u32 s13, s18, s9
.LBB71_3:
	s_clause 0x1
	s_load_dwordx2 s[8:9], s[4:5], 0x8
	s_load_dword s17, s[4:5], 0x38
	v_lshlrev_b32_e32 v19, 3, v0
	s_waitcnt lgkmcnt(0)
	s_ashr_i32 s5, s8, 31
	s_mov_b32 s4, s8
	v_add3_u32 v9, s9, s9, v0
	s_lshl_b64 s[4:5], s[4:5], 3
	s_add_u32 s8, s14, s4
	s_addc_u32 s14, s15, s5
	v_add_co_u32 v1, s4, s8, v19
	v_add_co_ci_u32_e64 v2, null, s14, 0, s4
	s_mov_b32 s4, s9
	s_ashr_i32 s5, s9, 31
	v_ashrrev_i32_e32 v10, 31, v9
	flat_load_dwordx2 v[5:6], v[1:2]
	s_lshl_b64 s[4:5], s[4:5], 3
	v_add_nc_u32_e32 v12, s9, v9
	v_add_co_u32 v3, vcc_lo, v1, s4
	v_add_co_ci_u32_e64 v4, null, s5, v2, vcc_lo
	v_ashrrev_i32_e32 v13, 31, v12
	s_mov_b32 s5, -1
	s_bitcmp0_b32 s17, 0
	s_waitcnt vmcnt(0) lgkmcnt(0)
	buffer_store_dword v6, off, s[0:3], 0 offset:4
	buffer_store_dword v5, off, s[0:3], 0
	flat_load_dwordx2 v[7:8], v[3:4]
	v_lshlrev_b64 v[5:6], 3, v[9:10]
	s_waitcnt vmcnt(0) lgkmcnt(0)
	buffer_store_dword v8, off, s[0:3], 0 offset:12
	buffer_store_dword v7, off, s[0:3], 0 offset:8
	v_add_co_u32 v5, vcc_lo, s8, v5
	v_add_co_ci_u32_e64 v6, null, s14, v6, vcc_lo
	v_lshlrev_b64 v[7:8], 3, v[12:13]
	flat_load_dwordx2 v[10:11], v[5:6]
	s_waitcnt vmcnt(0) lgkmcnt(0)
	buffer_store_dword v11, off, s[0:3], 0 offset:20
	buffer_store_dword v10, off, s[0:3], 0 offset:16
	v_add_co_u32 v7, vcc_lo, s8, v7
	v_add_co_ci_u32_e64 v8, null, s14, v8, vcc_lo
	v_add_nc_u32_e32 v11, s9, v12
	flat_load_dwordx2 v[13:14], v[7:8]
	s_waitcnt vmcnt(0) lgkmcnt(0)
	buffer_store_dword v14, off, s[0:3], 0 offset:28
	buffer_store_dword v13, off, s[0:3], 0 offset:24
	v_ashrrev_i32_e32 v12, 31, v11
	v_add_nc_u32_e32 v15, s9, v11
	v_lshlrev_b64 v[9:10], 3, v[11:12]
	v_ashrrev_i32_e32 v16, 31, v15
	v_add_nc_u32_e32 v20, s9, v15
	v_add_co_u32 v9, vcc_lo, s8, v9
	v_add_co_ci_u32_e64 v10, null, s14, v10, vcc_lo
	v_lshlrev_b64 v[11:12], 3, v[15:16]
	v_ashrrev_i32_e32 v21, 31, v20
	v_add_nc_u32_e32 v15, s9, v20
	flat_load_dwordx2 v[13:14], v[9:10]
	s_waitcnt vmcnt(0) lgkmcnt(0)
	buffer_store_dword v14, off, s[0:3], 0 offset:36
	buffer_store_dword v13, off, s[0:3], 0 offset:32
	v_add_co_u32 v11, vcc_lo, s8, v11
	v_add_co_ci_u32_e64 v12, null, s14, v12, vcc_lo
	v_lshlrev_b64 v[13:14], 3, v[20:21]
	flat_load_dwordx2 v[16:17], v[11:12]
	s_waitcnt vmcnt(0) lgkmcnt(0)
	buffer_store_dword v17, off, s[0:3], 0 offset:44
	buffer_store_dword v16, off, s[0:3], 0 offset:40
	v_add_co_u32 v13, vcc_lo, s8, v13
	v_add_co_ci_u32_e64 v14, null, s14, v14, vcc_lo
	v_ashrrev_i32_e32 v16, 31, v15
	flat_load_dwordx2 v[17:18], v[13:14]
	s_waitcnt vmcnt(0) lgkmcnt(0)
	buffer_store_dword v18, off, s[0:3], 0 offset:52
	buffer_store_dword v17, off, s[0:3], 0 offset:48
	v_lshlrev_b64 v[15:16], 3, v[15:16]
	v_add_co_u32 v15, vcc_lo, s8, v15
	v_add_co_ci_u32_e64 v16, null, s14, v16, vcc_lo
	flat_load_dwordx2 v[17:18], v[15:16]
	s_waitcnt vmcnt(0) lgkmcnt(0)
	buffer_store_dword v18, off, s[0:3], 0 offset:60
	buffer_store_dword v17, off, s[0:3], 0 offset:56
	s_cbranch_scc1 .LBB71_44
; %bb.4:
	v_cmp_eq_u32_e64 s4, 0, v0
	s_and_saveexec_b32 s5, s4
; %bb.5:
	v_mov_b32_e32 v17, 0
	ds_write_b32 v17, v17 offset:128
; %bb.6:
	s_or_b32 exec_lo, exec_lo, s5
	v_lshl_add_u32 v21, v0, 3, 0
	s_waitcnt lgkmcnt(0)
	s_waitcnt_vscnt null, 0x0
	s_barrier
	buffer_gl0_inv
	s_clause 0x1
	buffer_load_dword v17, v21, s[0:3], 0 offen
	buffer_load_dword v18, v21, s[0:3], 0 offen offset:4
	s_waitcnt vmcnt(1)
	v_cmp_eq_f32_e32 vcc_lo, 0, v17
	s_waitcnt vmcnt(0)
	v_cmp_eq_f32_e64 s5, 0, v18
	s_and_b32 s5, vcc_lo, s5
	s_and_saveexec_b32 s8, s5
	s_cbranch_execz .LBB71_10
; %bb.7:
	v_mov_b32_e32 v17, 0
	s_mov_b32 s9, 0
	ds_read_b32 v18, v17 offset:128
	s_waitcnt lgkmcnt(0)
	v_readfirstlane_b32 s5, v18
	v_add_nc_u32_e32 v18, 1, v0
	s_cmp_eq_u32 s5, 0
	v_cmp_gt_i32_e32 vcc_lo, s5, v18
	s_cselect_b32 s14, -1, 0
	s_or_b32 s14, s14, vcc_lo
	s_and_b32 exec_lo, exec_lo, s14
	s_cbranch_execz .LBB71_10
; %bb.8:
	v_mov_b32_e32 v20, s5
.LBB71_9:                               ; =>This Inner Loop Header: Depth=1
	ds_cmpst_rtn_b32 v20, v17, v20, v18 offset:128
	s_waitcnt lgkmcnt(0)
	v_cmp_ne_u32_e32 vcc_lo, 0, v20
	v_cmp_le_i32_e64 s5, v20, v18
	s_and_b32 s5, vcc_lo, s5
	s_and_b32 s5, exec_lo, s5
	s_or_b32 s9, s5, s9
	s_andn2_b32 exec_lo, exec_lo, s9
	s_cbranch_execnz .LBB71_9
.LBB71_10:
	s_or_b32 exec_lo, exec_lo, s8
	v_mov_b32_e32 v17, 0
	s_barrier
	buffer_gl0_inv
	ds_read_b32 v18, v17 offset:128
	s_and_saveexec_b32 s5, s4
	s_cbranch_execz .LBB71_12
; %bb.11:
	s_lshl_b64 s[8:9], s[6:7], 2
	s_add_u32 s8, s10, s8
	s_addc_u32 s9, s11, s9
	s_waitcnt lgkmcnt(0)
	global_store_dword v17, v18, s[8:9]
.LBB71_12:
	s_or_b32 exec_lo, exec_lo, s5
	s_waitcnt lgkmcnt(0)
	v_cmp_ne_u32_e32 vcc_lo, 0, v18
	s_mov_b32 s5, 0
	s_cbranch_vccnz .LBB71_44
; %bb.13:
	s_clause 0x1
	buffer_load_dword v18, v21, s[0:3], 0 offen
	buffer_load_dword v20, v21, s[0:3], 0 offen offset:4
                                        ; implicit-def: $vgpr23
                                        ; implicit-def: $vgpr22
                                        ; implicit-def: $vgpr17
	s_waitcnt vmcnt(0)
	v_cmp_ngt_f32_e64 s5, |v18|, |v20|
	s_and_saveexec_b32 s8, s5
	s_xor_b32 s5, exec_lo, s8
	s_cbranch_execz .LBB71_15
; %bb.14:
	v_div_scale_f32 v17, null, v20, v20, v18
	v_div_scale_f32 v24, vcc_lo, v18, v20, v18
	v_rcp_f32_e32 v22, v17
	v_fma_f32 v23, -v17, v22, 1.0
	v_fmac_f32_e32 v22, v23, v22
	v_mul_f32_e32 v23, v24, v22
	v_fma_f32 v25, -v17, v23, v24
	v_fmac_f32_e32 v23, v25, v22
	v_fma_f32 v17, -v17, v23, v24
	v_div_fmas_f32 v17, v17, v22, v23
	v_div_fixup_f32 v17, v17, v20, v18
	v_fmac_f32_e32 v20, v18, v17
	v_div_scale_f32 v18, null, v20, v20, 1.0
	v_rcp_f32_e32 v22, v18
	v_fma_f32 v23, -v18, v22, 1.0
	v_fmac_f32_e32 v22, v23, v22
	v_div_scale_f32 v23, vcc_lo, 1.0, v20, 1.0
	v_mul_f32_e32 v24, v23, v22
	v_fma_f32 v25, -v18, v24, v23
	v_fmac_f32_e32 v24, v25, v22
	v_fma_f32 v18, -v18, v24, v23
	v_div_fmas_f32 v18, v18, v22, v24
	v_div_fixup_f32 v18, v18, v20, 1.0
                                        ; implicit-def: $vgpr20
	v_mul_f32_e32 v23, v17, v18
	v_xor_b32_e32 v22, 0x80000000, v18
                                        ; implicit-def: $vgpr18
	v_xor_b32_e32 v17, 0x80000000, v23
.LBB71_15:
	s_andn2_saveexec_b32 s5, s5
	s_cbranch_execz .LBB71_17
; %bb.16:
	v_div_scale_f32 v17, null, v18, v18, v20
	v_div_scale_f32 v24, vcc_lo, v20, v18, v20
	v_rcp_f32_e32 v22, v17
	v_fma_f32 v23, -v17, v22, 1.0
	v_fmac_f32_e32 v22, v23, v22
	v_mul_f32_e32 v23, v24, v22
	v_fma_f32 v25, -v17, v23, v24
	v_fmac_f32_e32 v23, v25, v22
	v_fma_f32 v17, -v17, v23, v24
	v_div_fmas_f32 v17, v17, v22, v23
	v_div_fixup_f32 v22, v17, v18, v20
	v_fmac_f32_e32 v18, v20, v22
	v_div_scale_f32 v17, null, v18, v18, 1.0
	v_div_scale_f32 v24, vcc_lo, 1.0, v18, 1.0
	v_rcp_f32_e32 v20, v17
	v_fma_f32 v23, -v17, v20, 1.0
	v_fmac_f32_e32 v20, v23, v20
	v_mul_f32_e32 v23, v24, v20
	v_fma_f32 v25, -v17, v23, v24
	v_fmac_f32_e32 v23, v25, v20
	v_fma_f32 v17, -v17, v23, v24
	v_div_fmas_f32 v17, v17, v20, v23
	v_div_fixup_f32 v23, v17, v18, 1.0
	v_xor_b32_e32 v17, 0x80000000, v23
	v_mul_f32_e64 v22, v22, -v23
.LBB71_17:
	s_or_b32 exec_lo, exec_lo, s5
	buffer_store_dword v23, v21, s[0:3], 0 offen
	buffer_store_dword v22, v21, s[0:3], 0 offen offset:4
	s_clause 0x1
	buffer_load_dword v24, off, s[0:3], 0 offset:12
	buffer_load_dword v23, off, s[0:3], 0 offset:8
	v_xor_b32_e32 v18, 0x80000000, v22
	v_add_nc_u32_e32 v20, 64, v19
	s_waitcnt vmcnt(0)
	ds_write2_b64 v19, v[17:18], v[23:24] offset1:8
	s_waitcnt lgkmcnt(0)
	s_waitcnt_vscnt null, 0x0
	s_barrier
	buffer_gl0_inv
	s_and_saveexec_b32 s5, s4
	s_cbranch_execz .LBB71_19
; %bb.18:
	s_clause 0x1
	buffer_load_dword v24, v21, s[0:3], 0 offen offset:4
	buffer_load_dword v25, v21, s[0:3], 0 offen
	ds_read_b64 v[17:18], v20
	v_mov_b32_e32 v22, 0
	ds_read_b64 v[22:23], v22 offset:8
	s_waitcnt vmcnt(1) lgkmcnt(1)
	v_mul_f32_e32 v26, v17, v24
	v_mul_f32_e32 v24, v18, v24
	s_waitcnt vmcnt(0)
	v_fmac_f32_e32 v26, v18, v25
	v_fma_f32 v17, v17, v25, -v24
	v_add_f32_e32 v18, 0, v26
	v_add_f32_e32 v17, 0, v17
	s_waitcnt lgkmcnt(0)
	v_mul_f32_e32 v24, v18, v23
	v_mul_f32_e32 v23, v17, v23
	v_fma_f32 v17, v17, v22, -v24
	v_fmac_f32_e32 v23, v18, v22
	buffer_store_dword v17, off, s[0:3], 0 offset:8
	buffer_store_dword v23, off, s[0:3], 0 offset:12
.LBB71_19:
	s_or_b32 exec_lo, exec_lo, s5
	s_waitcnt_vscnt null, 0x0
	s_barrier
	buffer_gl0_inv
	s_clause 0x1
	buffer_load_dword v17, off, s[0:3], 0 offset:16
	buffer_load_dword v18, off, s[0:3], 0 offset:20
	s_mov_b32 s5, exec_lo
	s_waitcnt vmcnt(0)
	ds_write_b64 v20, v[17:18]
	s_waitcnt lgkmcnt(0)
	s_barrier
	buffer_gl0_inv
	v_cmpx_gt_u32_e32 2, v0
	s_cbranch_execz .LBB71_23
; %bb.20:
	s_clause 0x1
	buffer_load_dword v22, v21, s[0:3], 0 offen offset:4
	buffer_load_dword v21, v21, s[0:3], 0 offen
	ds_read_b64 v[17:18], v20
	s_waitcnt vmcnt(1) lgkmcnt(0)
	v_mul_f32_e32 v23, v18, v22
	v_mul_f32_e32 v22, v17, v22
	s_waitcnt vmcnt(0)
	v_fma_f32 v17, v17, v21, -v23
	v_fmac_f32_e32 v22, v18, v21
	v_add_f32_e32 v18, 0, v17
	v_add_f32_e32 v17, 0, v22
	s_and_saveexec_b32 s8, s4
	s_cbranch_execz .LBB71_22
; %bb.21:
	s_clause 0x1
	buffer_load_dword v23, off, s[0:3], 0 offset:12
	buffer_load_dword v24, off, s[0:3], 0 offset:8
	v_mov_b32_e32 v21, 0
	ds_read_b64 v[21:22], v21 offset:72
	s_waitcnt vmcnt(1) lgkmcnt(0)
	v_mul_f32_e32 v25, v21, v23
	v_mul_f32_e32 v23, v22, v23
	s_waitcnt vmcnt(0)
	v_fmac_f32_e32 v25, v22, v24
	v_fma_f32 v21, v21, v24, -v23
	v_add_f32_e32 v17, v17, v25
	v_add_f32_e32 v18, v18, v21
.LBB71_22:
	s_or_b32 exec_lo, exec_lo, s8
	v_mov_b32_e32 v21, 0
	ds_read_b64 v[21:22], v21 offset:16
	s_waitcnt lgkmcnt(0)
	v_mul_f32_e32 v23, v17, v22
	v_mul_f32_e32 v22, v18, v22
	v_fma_f32 v18, v18, v21, -v23
	v_fmac_f32_e32 v22, v17, v21
	buffer_store_dword v18, off, s[0:3], 0 offset:16
	buffer_store_dword v22, off, s[0:3], 0 offset:20
.LBB71_23:
	s_or_b32 exec_lo, exec_lo, s5
	s_waitcnt_vscnt null, 0x0
	s_barrier
	buffer_gl0_inv
	s_clause 0x1
	buffer_load_dword v21, off, s[0:3], 0 offset:24
	buffer_load_dword v22, off, s[0:3], 0 offset:28
	v_add_nc_u32_e32 v17, -1, v0
	s_mov_b32 s4, exec_lo
	s_waitcnt vmcnt(0)
	ds_write_b64 v20, v[21:22]
	s_waitcnt lgkmcnt(0)
	s_barrier
	buffer_gl0_inv
	v_cmpx_gt_u32_e32 3, v0
	s_cbranch_execz .LBB71_27
; %bb.24:
	v_add_nc_u32_e32 v21, -1, v0
	v_add_nc_u32_e32 v22, 64, v19
	v_mov_b32_e32 v23, v19
	v_mov_b32_e32 v18, 0
	;; [unrolled: 1-line block ×3, first 2 shown]
	s_mov_b32 s5, 0
	.p2align	6
.LBB71_25:                              ; =>This Inner Loop Header: Depth=1
	s_clause 0x1
	buffer_load_dword v27, v23, s[0:3], 0 offen offset:4
	buffer_load_dword v28, v23, s[0:3], 0 offen
	ds_read_b64 v[25:26], v22
	v_add_nc_u32_e32 v21, 1, v21
	v_add_nc_u32_e32 v22, 8, v22
	;; [unrolled: 1-line block ×3, first 2 shown]
	v_cmp_lt_u32_e32 vcc_lo, 1, v21
	s_or_b32 s5, vcc_lo, s5
	s_waitcnt vmcnt(1) lgkmcnt(0)
	v_mul_f32_e32 v29, v26, v27
	v_mul_f32_e32 v27, v25, v27
	s_waitcnt vmcnt(0)
	v_fma_f32 v25, v25, v28, -v29
	v_fmac_f32_e32 v27, v26, v28
	v_add_f32_e32 v24, v24, v25
	v_add_f32_e32 v18, v18, v27
	s_andn2_b32 exec_lo, exec_lo, s5
	s_cbranch_execnz .LBB71_25
; %bb.26:
	s_or_b32 exec_lo, exec_lo, s5
	v_mov_b32_e32 v21, 0
	ds_read_b64 v[21:22], v21 offset:24
	s_waitcnt lgkmcnt(0)
	v_mul_f32_e32 v23, v18, v22
	v_mul_f32_e32 v22, v24, v22
	v_fma_f32 v23, v24, v21, -v23
	v_fmac_f32_e32 v22, v18, v21
	buffer_store_dword v23, off, s[0:3], 0 offset:24
	buffer_store_dword v22, off, s[0:3], 0 offset:28
.LBB71_27:
	s_or_b32 exec_lo, exec_lo, s4
	s_waitcnt_vscnt null, 0x0
	s_barrier
	buffer_gl0_inv
	s_clause 0x1
	buffer_load_dword v21, off, s[0:3], 0 offset:32
	buffer_load_dword v22, off, s[0:3], 0 offset:36
	s_mov_b32 s4, exec_lo
	s_waitcnt vmcnt(0)
	ds_write_b64 v20, v[21:22]
	s_waitcnt lgkmcnt(0)
	s_barrier
	buffer_gl0_inv
	v_cmpx_gt_u32_e32 4, v0
	s_cbranch_execz .LBB71_31
; %bb.28:
	v_add_nc_u32_e32 v21, -1, v0
	v_add_nc_u32_e32 v22, 64, v19
	v_mov_b32_e32 v23, v19
	v_mov_b32_e32 v18, 0
	;; [unrolled: 1-line block ×3, first 2 shown]
	s_mov_b32 s5, 0
	.p2align	6
.LBB71_29:                              ; =>This Inner Loop Header: Depth=1
	s_clause 0x1
	buffer_load_dword v27, v23, s[0:3], 0 offen offset:4
	buffer_load_dword v28, v23, s[0:3], 0 offen
	ds_read_b64 v[25:26], v22
	v_add_nc_u32_e32 v21, 1, v21
	v_add_nc_u32_e32 v22, 8, v22
	;; [unrolled: 1-line block ×3, first 2 shown]
	v_cmp_lt_u32_e32 vcc_lo, 2, v21
	s_or_b32 s5, vcc_lo, s5
	s_waitcnt vmcnt(1) lgkmcnt(0)
	v_mul_f32_e32 v29, v26, v27
	v_mul_f32_e32 v27, v25, v27
	s_waitcnt vmcnt(0)
	v_fma_f32 v25, v25, v28, -v29
	v_fmac_f32_e32 v27, v26, v28
	v_add_f32_e32 v24, v24, v25
	v_add_f32_e32 v18, v18, v27
	s_andn2_b32 exec_lo, exec_lo, s5
	s_cbranch_execnz .LBB71_29
; %bb.30:
	s_or_b32 exec_lo, exec_lo, s5
	v_mov_b32_e32 v21, 0
	ds_read_b64 v[21:22], v21 offset:32
	s_waitcnt lgkmcnt(0)
	v_mul_f32_e32 v23, v18, v22
	v_mul_f32_e32 v22, v24, v22
	v_fma_f32 v23, v24, v21, -v23
	v_fmac_f32_e32 v22, v18, v21
	buffer_store_dword v23, off, s[0:3], 0 offset:32
	buffer_store_dword v22, off, s[0:3], 0 offset:36
.LBB71_31:
	s_or_b32 exec_lo, exec_lo, s4
	s_waitcnt_vscnt null, 0x0
	s_barrier
	buffer_gl0_inv
	s_clause 0x1
	buffer_load_dword v21, off, s[0:3], 0 offset:40
	buffer_load_dword v22, off, s[0:3], 0 offset:44
	s_mov_b32 s4, exec_lo
	s_waitcnt vmcnt(0)
	ds_write_b64 v20, v[21:22]
	s_waitcnt lgkmcnt(0)
	s_barrier
	buffer_gl0_inv
	v_cmpx_gt_u32_e32 5, v0
	s_cbranch_execz .LBB71_35
; %bb.32:
	v_add_nc_u32_e32 v21, -1, v0
	v_add_nc_u32_e32 v22, 64, v19
	v_mov_b32_e32 v23, v19
	v_mov_b32_e32 v18, 0
	;; [unrolled: 1-line block ×3, first 2 shown]
	s_mov_b32 s5, 0
	.p2align	6
.LBB71_33:                              ; =>This Inner Loop Header: Depth=1
	s_clause 0x1
	buffer_load_dword v27, v23, s[0:3], 0 offen offset:4
	buffer_load_dword v28, v23, s[0:3], 0 offen
	ds_read_b64 v[25:26], v22
	v_add_nc_u32_e32 v21, 1, v21
	v_add_nc_u32_e32 v22, 8, v22
	;; [unrolled: 1-line block ×3, first 2 shown]
	v_cmp_lt_u32_e32 vcc_lo, 3, v21
	s_or_b32 s5, vcc_lo, s5
	s_waitcnt vmcnt(1) lgkmcnt(0)
	v_mul_f32_e32 v29, v26, v27
	v_mul_f32_e32 v27, v25, v27
	s_waitcnt vmcnt(0)
	v_fma_f32 v25, v25, v28, -v29
	v_fmac_f32_e32 v27, v26, v28
	v_add_f32_e32 v24, v24, v25
	v_add_f32_e32 v18, v18, v27
	s_andn2_b32 exec_lo, exec_lo, s5
	s_cbranch_execnz .LBB71_33
; %bb.34:
	s_or_b32 exec_lo, exec_lo, s5
	v_mov_b32_e32 v21, 0
	ds_read_b64 v[21:22], v21 offset:40
	s_waitcnt lgkmcnt(0)
	v_mul_f32_e32 v23, v18, v22
	v_mul_f32_e32 v22, v24, v22
	v_fma_f32 v23, v24, v21, -v23
	v_fmac_f32_e32 v22, v18, v21
	buffer_store_dword v23, off, s[0:3], 0 offset:40
	buffer_store_dword v22, off, s[0:3], 0 offset:44
.LBB71_35:
	s_or_b32 exec_lo, exec_lo, s4
	s_waitcnt_vscnt null, 0x0
	s_barrier
	buffer_gl0_inv
	s_clause 0x1
	buffer_load_dword v21, off, s[0:3], 0 offset:48
	buffer_load_dword v22, off, s[0:3], 0 offset:52
	s_mov_b32 s4, exec_lo
	s_waitcnt vmcnt(0)
	ds_write_b64 v20, v[21:22]
	s_waitcnt lgkmcnt(0)
	s_barrier
	buffer_gl0_inv
	v_cmpx_gt_u32_e32 6, v0
	s_cbranch_execz .LBB71_39
; %bb.36:
	v_add_nc_u32_e32 v21, -1, v0
	v_add_nc_u32_e32 v22, 64, v19
	v_mov_b32_e32 v23, v19
	v_mov_b32_e32 v18, 0
	;; [unrolled: 1-line block ×3, first 2 shown]
	s_mov_b32 s5, 0
	.p2align	6
.LBB71_37:                              ; =>This Inner Loop Header: Depth=1
	s_clause 0x1
	buffer_load_dword v27, v23, s[0:3], 0 offen offset:4
	buffer_load_dword v28, v23, s[0:3], 0 offen
	ds_read_b64 v[25:26], v22
	v_add_nc_u32_e32 v21, 1, v21
	v_add_nc_u32_e32 v22, 8, v22
	;; [unrolled: 1-line block ×3, first 2 shown]
	v_cmp_lt_u32_e32 vcc_lo, 4, v21
	s_or_b32 s5, vcc_lo, s5
	s_waitcnt vmcnt(1) lgkmcnt(0)
	v_mul_f32_e32 v29, v26, v27
	v_mul_f32_e32 v27, v25, v27
	s_waitcnt vmcnt(0)
	v_fma_f32 v25, v25, v28, -v29
	v_fmac_f32_e32 v27, v26, v28
	v_add_f32_e32 v24, v24, v25
	v_add_f32_e32 v18, v18, v27
	s_andn2_b32 exec_lo, exec_lo, s5
	s_cbranch_execnz .LBB71_37
; %bb.38:
	s_or_b32 exec_lo, exec_lo, s5
	v_mov_b32_e32 v21, 0
	ds_read_b64 v[21:22], v21 offset:48
	s_waitcnt lgkmcnt(0)
	v_mul_f32_e32 v23, v18, v22
	v_mul_f32_e32 v22, v24, v22
	v_fma_f32 v23, v24, v21, -v23
	v_fmac_f32_e32 v22, v18, v21
	buffer_store_dword v23, off, s[0:3], 0 offset:48
	buffer_store_dword v22, off, s[0:3], 0 offset:52
.LBB71_39:
	s_or_b32 exec_lo, exec_lo, s4
	s_waitcnt_vscnt null, 0x0
	s_barrier
	buffer_gl0_inv
	s_clause 0x1
	buffer_load_dword v21, off, s[0:3], 0 offset:56
	buffer_load_dword v22, off, s[0:3], 0 offset:60
	s_mov_b32 s4, exec_lo
	s_waitcnt vmcnt(0)
	ds_write_b64 v20, v[21:22]
	s_waitcnt lgkmcnt(0)
	s_barrier
	buffer_gl0_inv
	v_cmpx_ne_u32_e32 7, v0
	s_cbranch_execz .LBB71_43
; %bb.40:
	v_mov_b32_e32 v18, 0
	v_mov_b32_e32 v21, 0
	s_mov_b32 s5, 0
	.p2align	6
.LBB71_41:                              ; =>This Inner Loop Header: Depth=1
	s_clause 0x1
	buffer_load_dword v24, v19, s[0:3], 0 offen offset:4
	buffer_load_dword v25, v19, s[0:3], 0 offen
	ds_read_b64 v[22:23], v20
	v_add_nc_u32_e32 v17, 1, v17
	v_add_nc_u32_e32 v20, 8, v20
	;; [unrolled: 1-line block ×3, first 2 shown]
	v_cmp_lt_u32_e32 vcc_lo, 5, v17
	s_or_b32 s5, vcc_lo, s5
	s_waitcnt vmcnt(1) lgkmcnt(0)
	v_mul_f32_e32 v26, v23, v24
	v_mul_f32_e32 v24, v22, v24
	s_waitcnt vmcnt(0)
	v_fma_f32 v22, v22, v25, -v26
	v_fmac_f32_e32 v24, v23, v25
	v_add_f32_e32 v21, v21, v22
	v_add_f32_e32 v18, v18, v24
	s_andn2_b32 exec_lo, exec_lo, s5
	s_cbranch_execnz .LBB71_41
; %bb.42:
	s_or_b32 exec_lo, exec_lo, s5
	v_mov_b32_e32 v17, 0
	ds_read_b64 v[19:20], v17 offset:56
	s_waitcnt lgkmcnt(0)
	v_mul_f32_e32 v17, v18, v20
	v_mul_f32_e32 v20, v21, v20
	v_fma_f32 v17, v21, v19, -v17
	v_fmac_f32_e32 v20, v18, v19
	buffer_store_dword v17, off, s[0:3], 0 offset:56
	buffer_store_dword v20, off, s[0:3], 0 offset:60
.LBB71_43:
	s_or_b32 exec_lo, exec_lo, s4
	s_mov_b32 s5, -1
	s_waitcnt_vscnt null, 0x0
	s_barrier
	buffer_gl0_inv
.LBB71_44:
	s_and_b32 vcc_lo, exec_lo, s5
	s_cbranch_vccz .LBB71_46
; %bb.45:
	s_lshl_b64 s[4:5], s[6:7], 2
	v_mov_b32_e32 v17, 0
	s_add_u32 s4, s10, s4
	s_addc_u32 s5, s11, s5
	global_load_dword v17, v17, s[4:5]
	s_waitcnt vmcnt(0)
	v_cmp_ne_u32_e32 vcc_lo, 0, v17
	s_cbranch_vccz .LBB71_47
.LBB71_46:
	s_endpgm
.LBB71_47:
	v_lshl_add_u32 v17, v0, 3, 64
	s_mov_b32 s4, exec_lo
	v_cmpx_eq_u32_e32 7, v0
	s_cbranch_execz .LBB71_49
; %bb.48:
	s_clause 0x1
	buffer_load_dword v18, off, s[0:3], 0 offset:48
	buffer_load_dword v19, off, s[0:3], 0 offset:52
	v_mov_b32_e32 v20, 0
	buffer_store_dword v20, off, s[0:3], 0 offset:48
	buffer_store_dword v20, off, s[0:3], 0 offset:52
	s_waitcnt vmcnt(0)
	ds_write_b64 v17, v[18:19]
.LBB71_49:
	s_or_b32 exec_lo, exec_lo, s4
	s_waitcnt lgkmcnt(0)
	s_waitcnt_vscnt null, 0x0
	s_barrier
	buffer_gl0_inv
	s_clause 0x3
	buffer_load_dword v21, off, s[0:3], 0 offset:60
	buffer_load_dword v22, off, s[0:3], 0 offset:56
	;; [unrolled: 1-line block ×4, first 2 shown]
	v_mov_b32_e32 v18, 0
	s_mov_b32 s4, exec_lo
	ds_read_b64 v[19:20], v18 offset:120
	s_waitcnt vmcnt(3) lgkmcnt(0)
	v_mul_f32_e32 v25, v20, v21
	v_mul_f32_e32 v21, v19, v21
	s_waitcnt vmcnt(2)
	v_fma_f32 v19, v19, v22, -v25
	v_fmac_f32_e32 v21, v20, v22
	v_add_f32_e32 v19, 0, v19
	v_add_f32_e32 v20, 0, v21
	s_waitcnt vmcnt(1)
	v_sub_f32_e32 v19, v23, v19
	s_waitcnt vmcnt(0)
	v_sub_f32_e32 v20, v24, v20
	buffer_store_dword v19, off, s[0:3], 0 offset:48
	buffer_store_dword v20, off, s[0:3], 0 offset:52
	v_cmpx_lt_u32_e32 5, v0
	s_cbranch_execz .LBB71_51
; %bb.50:
	s_clause 0x1
	buffer_load_dword v19, off, s[0:3], 0 offset:40
	buffer_load_dword v20, off, s[0:3], 0 offset:44
	buffer_store_dword v18, off, s[0:3], 0 offset:40
	buffer_store_dword v18, off, s[0:3], 0 offset:44
	s_waitcnt vmcnt(0)
	ds_write_b64 v17, v[19:20]
.LBB71_51:
	s_or_b32 exec_lo, exec_lo, s4
	s_waitcnt lgkmcnt(0)
	s_waitcnt_vscnt null, 0x0
	s_barrier
	buffer_gl0_inv
	s_clause 0x5
	buffer_load_dword v22, off, s[0:3], 0 offset:52
	buffer_load_dword v23, off, s[0:3], 0 offset:60
	;; [unrolled: 1-line block ×6, first 2 shown]
	ds_read_b128 v[18:21], v18 offset:112
	s_mov_b32 s4, exec_lo
	s_waitcnt vmcnt(5) lgkmcnt(0)
	v_mul_f32_e32 v28, v19, v22
	v_mul_f32_e32 v22, v18, v22
	s_waitcnt vmcnt(4)
	v_mul_f32_e32 v29, v20, v23
	v_mul_f32_e32 v23, v21, v23
	s_waitcnt vmcnt(3)
	v_fma_f32 v18, v18, v24, -v28
	v_fmac_f32_e32 v22, v19, v24
	s_waitcnt vmcnt(2)
	v_fmac_f32_e32 v29, v21, v25
	v_fma_f32 v19, v20, v25, -v23
	v_add_f32_e32 v18, 0, v18
	v_add_f32_e32 v20, 0, v22
	;; [unrolled: 1-line block ×4, first 2 shown]
	s_waitcnt vmcnt(1)
	v_sub_f32_e32 v18, v26, v18
	s_waitcnt vmcnt(0)
	v_sub_f32_e32 v19, v27, v19
	buffer_store_dword v18, off, s[0:3], 0 offset:40
	buffer_store_dword v19, off, s[0:3], 0 offset:44
	v_cmpx_lt_u32_e32 4, v0
	s_cbranch_execz .LBB71_53
; %bb.52:
	s_clause 0x1
	buffer_load_dword v18, off, s[0:3], 0 offset:32
	buffer_load_dword v19, off, s[0:3], 0 offset:36
	v_mov_b32_e32 v20, 0
	buffer_store_dword v20, off, s[0:3], 0 offset:32
	buffer_store_dword v20, off, s[0:3], 0 offset:36
	s_waitcnt vmcnt(0)
	ds_write_b64 v17, v[18:19]
.LBB71_53:
	s_or_b32 exec_lo, exec_lo, s4
	s_waitcnt lgkmcnt(0)
	s_waitcnt_vscnt null, 0x0
	s_barrier
	buffer_gl0_inv
	s_clause 0x7
	buffer_load_dword v25, off, s[0:3], 0 offset:44
	buffer_load_dword v26, off, s[0:3], 0 offset:52
	;; [unrolled: 1-line block ×8, first 2 shown]
	v_mov_b32_e32 v18, 0
	ds_read2_b64 v[19:22], v18 offset0:13 offset1:14
	ds_read_b64 v[23:24], v18 offset:120
	s_mov_b32 s4, exec_lo
	s_waitcnt vmcnt(7) lgkmcnt(1)
	v_mul_f32_e32 v33, v20, v25
	v_mul_f32_e32 v25, v19, v25
	s_waitcnt vmcnt(6)
	v_mul_f32_e32 v34, v21, v26
	v_mul_f32_e32 v26, v22, v26
	s_waitcnt vmcnt(5) lgkmcnt(0)
	v_mul_f32_e32 v35, v23, v27
	s_waitcnt vmcnt(4)
	v_fma_f32 v19, v19, v28, -v33
	v_fmac_f32_e32 v25, v20, v28
	v_mul_f32_e32 v20, v24, v27
	s_waitcnt vmcnt(3)
	v_fma_f32 v21, v21, v29, -v26
	v_fmac_f32_e32 v34, v22, v29
	v_add_f32_e32 v19, 0, v19
	v_add_f32_e32 v22, 0, v25
	s_waitcnt vmcnt(2)
	v_fma_f32 v20, v23, v30, -v20
	v_fmac_f32_e32 v35, v24, v30
	v_add_f32_e32 v19, v19, v21
	v_add_f32_e32 v21, v22, v34
	;; [unrolled: 1-line block ×4, first 2 shown]
	s_waitcnt vmcnt(1)
	v_sub_f32_e32 v19, v31, v19
	s_waitcnt vmcnt(0)
	v_sub_f32_e32 v20, v32, v20
	buffer_store_dword v19, off, s[0:3], 0 offset:32
	buffer_store_dword v20, off, s[0:3], 0 offset:36
	v_cmpx_lt_u32_e32 3, v0
	s_cbranch_execz .LBB71_55
; %bb.54:
	s_clause 0x1
	buffer_load_dword v19, off, s[0:3], 0 offset:24
	buffer_load_dword v20, off, s[0:3], 0 offset:28
	buffer_store_dword v18, off, s[0:3], 0 offset:24
	buffer_store_dword v18, off, s[0:3], 0 offset:28
	s_waitcnt vmcnt(0)
	ds_write_b64 v17, v[19:20]
.LBB71_55:
	s_or_b32 exec_lo, exec_lo, s4
	s_waitcnt lgkmcnt(0)
	s_waitcnt_vscnt null, 0x0
	s_barrier
	buffer_gl0_inv
	s_clause 0x9
	buffer_load_dword v27, off, s[0:3], 0 offset:36
	buffer_load_dword v28, off, s[0:3], 0 offset:44
	;; [unrolled: 1-line block ×10, first 2 shown]
	ds_read_b128 v[19:22], v18 offset:96
	ds_read_b128 v[23:26], v18 offset:112
	s_mov_b32 s4, exec_lo
	s_waitcnt vmcnt(9) lgkmcnt(1)
	v_mul_f32_e32 v18, v19, v27
	v_mul_f32_e32 v27, v20, v27
	s_waitcnt vmcnt(8)
	v_mul_f32_e32 v37, v21, v28
	v_mul_f32_e32 v28, v22, v28
	s_waitcnt vmcnt(7) lgkmcnt(0)
	v_mul_f32_e32 v38, v23, v29
	s_waitcnt vmcnt(5)
	v_fmac_f32_e32 v18, v20, v31
	v_fma_f32 v19, v19, v31, -v27
	v_mul_f32_e32 v20, v24, v29
	s_waitcnt vmcnt(4)
	v_fma_f32 v21, v21, v32, -v28
	v_fmac_f32_e32 v37, v22, v32
	v_add_f32_e32 v18, 0, v18
	v_add_f32_e32 v19, 0, v19
	v_mul_f32_e32 v22, v26, v30
	s_waitcnt vmcnt(3)
	v_fma_f32 v20, v23, v33, -v20
	v_mul_f32_e32 v39, v25, v30
	v_fmac_f32_e32 v38, v24, v33
	v_add_f32_e32 v19, v19, v21
	v_add_f32_e32 v18, v18, v37
	s_waitcnt vmcnt(2)
	v_fma_f32 v21, v25, v34, -v22
	v_fmac_f32_e32 v39, v26, v34
	v_add_f32_e32 v19, v19, v20
	v_add_f32_e32 v18, v18, v38
	;; [unrolled: 1-line block ×4, first 2 shown]
	s_waitcnt vmcnt(1)
	v_sub_f32_e32 v19, v35, v19
	s_waitcnt vmcnt(0)
	v_sub_f32_e32 v18, v36, v18
	buffer_store_dword v19, off, s[0:3], 0 offset:24
	buffer_store_dword v18, off, s[0:3], 0 offset:28
	v_cmpx_lt_u32_e32 2, v0
	s_cbranch_execz .LBB71_57
; %bb.56:
	s_clause 0x1
	buffer_load_dword v18, off, s[0:3], 0 offset:16
	buffer_load_dword v19, off, s[0:3], 0 offset:20
	v_mov_b32_e32 v20, 0
	buffer_store_dword v20, off, s[0:3], 0 offset:16
	buffer_store_dword v20, off, s[0:3], 0 offset:20
	s_waitcnt vmcnt(0)
	ds_write_b64 v17, v[18:19]
.LBB71_57:
	s_or_b32 exec_lo, exec_lo, s4
	s_waitcnt lgkmcnt(0)
	s_waitcnt_vscnt null, 0x0
	s_barrier
	buffer_gl0_inv
	s_clause 0xb
	buffer_load_dword v29, off, s[0:3], 0 offset:28
	buffer_load_dword v30, off, s[0:3], 0 offset:36
	;; [unrolled: 1-line block ×12, first 2 shown]
	v_mov_b32_e32 v18, 0
	ds_read2_b64 v[19:22], v18 offset0:11 offset1:12
	ds_read2_b64 v[23:26], v18 offset0:13 offset1:14
	ds_read_b64 v[27:28], v18 offset:120
	s_mov_b32 s4, exec_lo
	s_waitcnt vmcnt(11) lgkmcnt(2)
	v_mul_f32_e32 v41, v19, v29
	v_mul_f32_e32 v29, v20, v29
	s_waitcnt vmcnt(10)
	v_mul_f32_e32 v42, v21, v30
	v_mul_f32_e32 v30, v22, v30
	s_waitcnt vmcnt(9) lgkmcnt(1)
	v_mul_f32_e32 v43, v23, v31
	s_waitcnt vmcnt(6)
	v_fmac_f32_e32 v41, v20, v34
	v_fma_f32 v19, v19, v34, -v29
	v_mul_f32_e32 v20, v24, v31
	s_waitcnt vmcnt(5)
	v_fma_f32 v21, v21, v35, -v30
	v_fmac_f32_e32 v42, v22, v35
	v_add_f32_e32 v22, 0, v41
	v_add_f32_e32 v19, 0, v19
	v_mul_f32_e32 v29, v26, v32
	s_waitcnt vmcnt(4)
	v_fma_f32 v20, v23, v36, -v20
	v_mul_f32_e32 v44, v25, v32
	v_fmac_f32_e32 v43, v24, v36
	v_add_f32_e32 v19, v19, v21
	v_add_f32_e32 v21, v22, v42
	s_waitcnt lgkmcnt(0)
	v_mul_f32_e32 v22, v28, v33
	s_waitcnt vmcnt(3)
	v_fma_f32 v23, v25, v37, -v29
	v_mul_f32_e32 v45, v27, v33
	v_add_f32_e32 v19, v19, v20
	v_fmac_f32_e32 v44, v26, v37
	v_add_f32_e32 v20, v21, v43
	s_waitcnt vmcnt(2)
	v_fma_f32 v21, v27, v38, -v22
	v_fmac_f32_e32 v45, v28, v38
	v_add_f32_e32 v19, v19, v23
	v_add_f32_e32 v20, v20, v44
	v_add_f32_e32 v19, v19, v21
	v_add_f32_e32 v20, v20, v45
	s_waitcnt vmcnt(1)
	v_sub_f32_e32 v19, v39, v19
	s_waitcnt vmcnt(0)
	v_sub_f32_e32 v20, v40, v20
	buffer_store_dword v19, off, s[0:3], 0 offset:16
	buffer_store_dword v20, off, s[0:3], 0 offset:20
	v_cmpx_lt_u32_e32 1, v0
	s_cbranch_execz .LBB71_59
; %bb.58:
	s_clause 0x1
	buffer_load_dword v19, off, s[0:3], 0 offset:8
	buffer_load_dword v20, off, s[0:3], 0 offset:12
	buffer_store_dword v18, off, s[0:3], 0 offset:8
	buffer_store_dword v18, off, s[0:3], 0 offset:12
	s_waitcnt vmcnt(0)
	ds_write_b64 v17, v[19:20]
.LBB71_59:
	s_or_b32 exec_lo, exec_lo, s4
	s_waitcnt lgkmcnt(0)
	s_waitcnt_vscnt null, 0x0
	s_barrier
	buffer_gl0_inv
	s_clause 0xd
	buffer_load_dword v31, off, s[0:3], 0 offset:20
	buffer_load_dword v32, off, s[0:3], 0 offset:28
	;; [unrolled: 1-line block ×14, first 2 shown]
	ds_read_b128 v[19:22], v18 offset:80
	ds_read_b128 v[23:26], v18 offset:96
	;; [unrolled: 1-line block ×3, first 2 shown]
	s_mov_b32 s4, exec_lo
	s_waitcnt vmcnt(13) lgkmcnt(2)
	v_mul_f32_e32 v18, v19, v31
	v_mul_f32_e32 v31, v20, v31
	s_waitcnt vmcnt(12)
	v_mul_f32_e32 v45, v21, v32
	v_mul_f32_e32 v32, v22, v32
	s_waitcnt vmcnt(11) lgkmcnt(1)
	v_mul_f32_e32 v46, v23, v33
	s_waitcnt vmcnt(10)
	v_mul_f32_e32 v47, v25, v34
	s_waitcnt vmcnt(7)
	v_fma_f32 v19, v19, v37, -v31
	v_fmac_f32_e32 v18, v20, v37
	v_mul_f32_e32 v20, v24, v33
	s_waitcnt vmcnt(6)
	v_fma_f32 v21, v21, v38, -v32
	v_fmac_f32_e32 v45, v22, v38
	v_add_f32_e32 v19, 0, v19
	v_add_f32_e32 v18, 0, v18
	v_mul_f32_e32 v22, v26, v34
	s_waitcnt vmcnt(5)
	v_fma_f32 v20, v23, v39, -v20
	v_fmac_f32_e32 v46, v24, v39
	v_add_f32_e32 v19, v19, v21
	v_add_f32_e32 v18, v18, v45
	s_waitcnt lgkmcnt(0)
	v_mul_f32_e32 v21, v28, v35
	s_waitcnt vmcnt(4)
	v_fma_f32 v22, v25, v40, -v22
	v_mul_f32_e32 v48, v27, v35
	v_add_f32_e32 v19, v19, v20
	v_fmac_f32_e32 v47, v26, v40
	v_add_f32_e32 v18, v18, v46
	v_mul_f32_e32 v20, v30, v36
	s_waitcnt vmcnt(3)
	v_fma_f32 v21, v27, v41, -v21
	v_add_f32_e32 v19, v19, v22
	v_mul_f32_e32 v49, v29, v36
	v_fmac_f32_e32 v48, v28, v41
	v_add_f32_e32 v18, v18, v47
	s_waitcnt vmcnt(2)
	v_fma_f32 v20, v29, v42, -v20
	v_add_f32_e32 v19, v19, v21
	v_fmac_f32_e32 v49, v30, v42
	v_add_f32_e32 v18, v18, v48
	v_add_f32_e32 v19, v19, v20
	;; [unrolled: 1-line block ×3, first 2 shown]
	s_waitcnt vmcnt(1)
	v_sub_f32_e32 v19, v43, v19
	s_waitcnt vmcnt(0)
	v_sub_f32_e32 v18, v44, v18
	buffer_store_dword v19, off, s[0:3], 0 offset:8
	buffer_store_dword v18, off, s[0:3], 0 offset:12
	v_cmpx_ne_u32_e32 0, v0
	s_cbranch_execz .LBB71_61
; %bb.60:
	s_clause 0x1
	buffer_load_dword v18, off, s[0:3], 0
	buffer_load_dword v19, off, s[0:3], 0 offset:4
	v_mov_b32_e32 v0, 0
	buffer_store_dword v0, off, s[0:3], 0
	buffer_store_dword v0, off, s[0:3], 0 offset:4
	s_waitcnt vmcnt(0)
	ds_write_b64 v17, v[18:19]
.LBB71_61:
	s_or_b32 exec_lo, exec_lo, s4
	s_waitcnt lgkmcnt(0)
	s_waitcnt_vscnt null, 0x0
	s_barrier
	buffer_gl0_inv
	s_clause 0xf
	buffer_load_dword v33, off, s[0:3], 0 offset:12
	buffer_load_dword v34, off, s[0:3], 0 offset:20
	;; [unrolled: 1-line block ×14, first 2 shown]
	buffer_load_dword v45, off, s[0:3], 0
	buffer_load_dword v46, off, s[0:3], 0 offset:4
	v_mov_b32_e32 v18, 0
	ds_read2_b64 v[19:22], v18 offset0:9 offset1:10
	ds_read2_b64 v[23:26], v18 offset0:11 offset1:12
	;; [unrolled: 1-line block ×3, first 2 shown]
	ds_read_b64 v[31:32], v18 offset:120
	s_and_b32 vcc_lo, exec_lo, s16
	s_waitcnt vmcnt(15) lgkmcnt(3)
	v_mul_f32_e32 v47, v19, v33
	v_mul_f32_e32 v33, v20, v33
	s_waitcnt vmcnt(14)
	v_mul_f32_e32 v48, v21, v34
	v_mul_f32_e32 v34, v22, v34
	s_waitcnt vmcnt(13) lgkmcnt(2)
	v_mul_f32_e32 v49, v23, v35
	s_waitcnt vmcnt(12)
	v_mul_f32_e32 v50, v25, v36
	s_waitcnt vmcnt(11) lgkmcnt(1)
	v_mul_f32_e32 v51, v27, v37
	s_waitcnt vmcnt(8)
	v_fma_f32 v19, v19, v39, -v33
	v_fmac_f32_e32 v47, v20, v39
	v_mul_f32_e32 v20, v24, v35
	s_waitcnt vmcnt(7)
	v_fma_f32 v21, v21, v40, -v34
	v_fmac_f32_e32 v48, v22, v40
	v_add_f32_e32 v19, 0, v19
	v_add_f32_e32 v22, 0, v47
	v_mul_f32_e32 v33, v26, v36
	s_waitcnt vmcnt(6)
	v_fma_f32 v20, v23, v41, -v20
	v_fmac_f32_e32 v49, v24, v41
	v_add_f32_e32 v19, v19, v21
	v_add_f32_e32 v21, v22, v48
	;; [unrolled: 6-line block ×3, first 2 shown]
	v_mul_f32_e32 v21, v30, v0
	s_waitcnt vmcnt(4)
	v_fma_f32 v22, v27, v43, -v22
	v_mul_f32_e32 v52, v29, v0
	v_add_f32_e32 v19, v19, v23
	v_fmac_f32_e32 v51, v28, v43
	v_add_f32_e32 v20, v20, v50
	s_waitcnt lgkmcnt(0)
	v_mul_f32_e32 v23, v32, v38
	s_waitcnt vmcnt(3)
	v_fma_f32 v21, v29, v17, -v21
	v_add_f32_e32 v19, v19, v22
	v_mul_f32_e32 v53, v31, v38
	v_fmac_f32_e32 v52, v30, v17
	v_add_f32_e32 v20, v20, v51
	s_waitcnt vmcnt(2)
	v_fma_f32 v22, v31, v44, -v23
	v_add_f32_e32 v19, v19, v21
	v_fmac_f32_e32 v53, v32, v44
	v_add_f32_e32 v20, v20, v52
	v_add_f32_e32 v19, v19, v22
	;; [unrolled: 1-line block ×3, first 2 shown]
	s_waitcnt vmcnt(1)
	v_sub_f32_e32 v19, v45, v19
	s_waitcnt vmcnt(0)
	v_sub_f32_e32 v20, v46, v20
	buffer_store_dword v19, off, s[0:3], 0
	buffer_store_dword v20, off, s[0:3], 0 offset:4
	s_cbranch_vccz .LBB71_76
; %bb.62:
	global_load_dword v18, v18, s[12:13] offset:24
	s_waitcnt vmcnt(0)
	v_add_nc_u32_e32 v18, -1, v18
	v_cmp_ne_u32_e32 vcc_lo, 6, v18
	s_cbranch_vccz .LBB71_64
; %bb.63:
	v_lshlrev_b32_e32 v18, 3, v18
	s_clause 0x1
	buffer_load_dword v19, v18, s[0:3], 0 offen offset:4
	buffer_load_dword v20, v18, s[0:3], 0 offen
	s_waitcnt vmcnt(1)
	buffer_store_dword v19, off, s[0:3], 0 offset:52
	s_waitcnt vmcnt(0)
	buffer_store_dword v20, off, s[0:3], 0 offset:48
	buffer_store_dword v0, v18, s[0:3], 0 offen offset:4
	buffer_store_dword v17, v18, s[0:3], 0 offen
.LBB71_64:
	v_mov_b32_e32 v0, 0
	global_load_dword v17, v0, s[12:13] offset:20
	s_waitcnt vmcnt(0)
	v_add_nc_u32_e32 v17, -1, v17
	v_cmp_eq_u32_e32 vcc_lo, 5, v17
	s_cbranch_vccnz .LBB71_66
; %bb.65:
	v_lshlrev_b32_e32 v17, 3, v17
	s_clause 0x3
	buffer_load_dword v18, v17, s[0:3], 0 offen
	buffer_load_dword v19, v17, s[0:3], 0 offen offset:4
	buffer_load_dword v20, off, s[0:3], 0 offset:40
	buffer_load_dword v21, off, s[0:3], 0 offset:44
	s_waitcnt vmcnt(3)
	buffer_store_dword v18, off, s[0:3], 0 offset:40
	s_waitcnt vmcnt(2)
	buffer_store_dword v19, off, s[0:3], 0 offset:44
	s_waitcnt vmcnt(1)
	buffer_store_dword v20, v17, s[0:3], 0 offen
	s_waitcnt vmcnt(0)
	buffer_store_dword v21, v17, s[0:3], 0 offen offset:4
.LBB71_66:
	global_load_dword v0, v0, s[12:13] offset:16
	s_waitcnt vmcnt(0)
	v_add_nc_u32_e32 v0, -1, v0
	v_cmp_eq_u32_e32 vcc_lo, 4, v0
	s_cbranch_vccnz .LBB71_68
; %bb.67:
	v_lshlrev_b32_e32 v0, 3, v0
	s_clause 0x3
	buffer_load_dword v17, v0, s[0:3], 0 offen
	buffer_load_dword v18, v0, s[0:3], 0 offen offset:4
	buffer_load_dword v19, off, s[0:3], 0 offset:36
	buffer_load_dword v20, off, s[0:3], 0 offset:32
	s_waitcnt vmcnt(3)
	buffer_store_dword v17, off, s[0:3], 0 offset:32
	s_waitcnt vmcnt(2)
	buffer_store_dword v18, off, s[0:3], 0 offset:36
	s_waitcnt vmcnt(1)
	buffer_store_dword v19, v0, s[0:3], 0 offen offset:4
	s_waitcnt vmcnt(0)
	buffer_store_dword v20, v0, s[0:3], 0 offen
.LBB71_68:
	v_mov_b32_e32 v0, 0
	global_load_dword v17, v0, s[12:13] offset:12
	s_waitcnt vmcnt(0)
	v_add_nc_u32_e32 v17, -1, v17
	v_cmp_eq_u32_e32 vcc_lo, 3, v17
	s_cbranch_vccnz .LBB71_70
; %bb.69:
	v_lshlrev_b32_e32 v17, 3, v17
	s_clause 0x3
	buffer_load_dword v18, v17, s[0:3], 0 offen
	buffer_load_dword v19, v17, s[0:3], 0 offen offset:4
	buffer_load_dword v20, off, s[0:3], 0 offset:24
	buffer_load_dword v21, off, s[0:3], 0 offset:28
	s_waitcnt vmcnt(3)
	buffer_store_dword v18, off, s[0:3], 0 offset:24
	s_waitcnt vmcnt(2)
	buffer_store_dword v19, off, s[0:3], 0 offset:28
	s_waitcnt vmcnt(1)
	buffer_store_dword v20, v17, s[0:3], 0 offen
	s_waitcnt vmcnt(0)
	buffer_store_dword v21, v17, s[0:3], 0 offen offset:4
.LBB71_70:
	global_load_dword v0, v0, s[12:13] offset:8
	s_waitcnt vmcnt(0)
	v_add_nc_u32_e32 v0, -1, v0
	v_cmp_eq_u32_e32 vcc_lo, 2, v0
	s_cbranch_vccnz .LBB71_72
; %bb.71:
	v_lshlrev_b32_e32 v0, 3, v0
	s_clause 0x3
	buffer_load_dword v17, v0, s[0:3], 0 offen
	buffer_load_dword v18, v0, s[0:3], 0 offen offset:4
	buffer_load_dword v19, off, s[0:3], 0 offset:20
	buffer_load_dword v20, off, s[0:3], 0 offset:16
	s_waitcnt vmcnt(3)
	buffer_store_dword v17, off, s[0:3], 0 offset:16
	s_waitcnt vmcnt(2)
	buffer_store_dword v18, off, s[0:3], 0 offset:20
	s_waitcnt vmcnt(1)
	buffer_store_dword v19, v0, s[0:3], 0 offen offset:4
	s_waitcnt vmcnt(0)
	buffer_store_dword v20, v0, s[0:3], 0 offen
.LBB71_72:
	v_mov_b32_e32 v0, 0
	global_load_dword v17, v0, s[12:13] offset:4
	s_waitcnt vmcnt(0)
	v_add_nc_u32_e32 v17, -1, v17
	v_cmp_eq_u32_e32 vcc_lo, 1, v17
	s_cbranch_vccnz .LBB71_74
; %bb.73:
	v_lshlrev_b32_e32 v17, 3, v17
	s_clause 0x3
	buffer_load_dword v18, v17, s[0:3], 0 offen
	buffer_load_dword v19, v17, s[0:3], 0 offen offset:4
	buffer_load_dword v20, off, s[0:3], 0 offset:8
	buffer_load_dword v21, off, s[0:3], 0 offset:12
	s_waitcnt vmcnt(3)
	buffer_store_dword v18, off, s[0:3], 0 offset:8
	s_waitcnt vmcnt(2)
	buffer_store_dword v19, off, s[0:3], 0 offset:12
	s_waitcnt vmcnt(1)
	buffer_store_dword v20, v17, s[0:3], 0 offen
	s_waitcnt vmcnt(0)
	buffer_store_dword v21, v17, s[0:3], 0 offen offset:4
.LBB71_74:
	global_load_dword v0, v0, s[12:13]
	s_waitcnt vmcnt(0)
	v_add_nc_u32_e32 v0, -1, v0
	v_cmp_eq_u32_e32 vcc_lo, 0, v0
	s_cbranch_vccnz .LBB71_76
; %bb.75:
	v_lshlrev_b32_e32 v0, 3, v0
	s_clause 0x3
	buffer_load_dword v17, v0, s[0:3], 0 offen
	buffer_load_dword v18, v0, s[0:3], 0 offen offset:4
	buffer_load_dword v19, off, s[0:3], 0 offset:4
	buffer_load_dword v20, off, s[0:3], 0
	s_waitcnt vmcnt(3)
	buffer_store_dword v17, off, s[0:3], 0
	s_waitcnt vmcnt(2)
	buffer_store_dword v18, off, s[0:3], 0 offset:4
	s_waitcnt vmcnt(1)
	buffer_store_dword v19, v0, s[0:3], 0 offen offset:4
	s_waitcnt vmcnt(0)
	buffer_store_dword v20, v0, s[0:3], 0 offen
.LBB71_76:
	s_clause 0x1
	buffer_load_dword v17, off, s[0:3], 0
	buffer_load_dword v18, off, s[0:3], 0 offset:4
	s_waitcnt vmcnt(0)
	flat_store_dwordx2 v[1:2], v[17:18]
	s_clause 0x1
	buffer_load_dword v0, off, s[0:3], 0 offset:8
	buffer_load_dword v1, off, s[0:3], 0 offset:12
	s_waitcnt vmcnt(0)
	flat_store_dwordx2 v[3:4], v[0:1]
	s_clause 0x1
	buffer_load_dword v0, off, s[0:3], 0 offset:16
	;; [unrolled: 5-line block ×7, first 2 shown]
	buffer_load_dword v1, off, s[0:3], 0 offset:60
	s_waitcnt vmcnt(0)
	flat_store_dwordx2 v[15:16], v[0:1]
	s_endpgm
	.section	.rodata,"a",@progbits
	.p2align	6, 0x0
	.amdhsa_kernel _ZN9rocsolver6v33100L18getri_kernel_smallILi8E19rocblas_complex_numIfEPKPS3_EEvT1_iilPiilS8_bb
		.amdhsa_group_segment_fixed_size 132
		.amdhsa_private_segment_fixed_size 80
		.amdhsa_kernarg_size 60
		.amdhsa_user_sgpr_count 6
		.amdhsa_user_sgpr_private_segment_buffer 1
		.amdhsa_user_sgpr_dispatch_ptr 0
		.amdhsa_user_sgpr_queue_ptr 0
		.amdhsa_user_sgpr_kernarg_segment_ptr 1
		.amdhsa_user_sgpr_dispatch_id 0
		.amdhsa_user_sgpr_flat_scratch_init 0
		.amdhsa_user_sgpr_private_segment_size 0
		.amdhsa_wavefront_size32 1
		.amdhsa_uses_dynamic_stack 0
		.amdhsa_system_sgpr_private_segment_wavefront_offset 1
		.amdhsa_system_sgpr_workgroup_id_x 1
		.amdhsa_system_sgpr_workgroup_id_y 0
		.amdhsa_system_sgpr_workgroup_id_z 0
		.amdhsa_system_sgpr_workgroup_info 0
		.amdhsa_system_vgpr_workitem_id 0
		.amdhsa_next_free_vgpr 54
		.amdhsa_next_free_sgpr 20
		.amdhsa_reserve_vcc 1
		.amdhsa_reserve_flat_scratch 0
		.amdhsa_float_round_mode_32 0
		.amdhsa_float_round_mode_16_64 0
		.amdhsa_float_denorm_mode_32 3
		.amdhsa_float_denorm_mode_16_64 3
		.amdhsa_dx10_clamp 1
		.amdhsa_ieee_mode 1
		.amdhsa_fp16_overflow 0
		.amdhsa_workgroup_processor_mode 1
		.amdhsa_memory_ordered 1
		.amdhsa_forward_progress 1
		.amdhsa_shared_vgpr_count 0
		.amdhsa_exception_fp_ieee_invalid_op 0
		.amdhsa_exception_fp_denorm_src 0
		.amdhsa_exception_fp_ieee_div_zero 0
		.amdhsa_exception_fp_ieee_overflow 0
		.amdhsa_exception_fp_ieee_underflow 0
		.amdhsa_exception_fp_ieee_inexact 0
		.amdhsa_exception_int_div_zero 0
	.end_amdhsa_kernel
	.section	.text._ZN9rocsolver6v33100L18getri_kernel_smallILi8E19rocblas_complex_numIfEPKPS3_EEvT1_iilPiilS8_bb,"axG",@progbits,_ZN9rocsolver6v33100L18getri_kernel_smallILi8E19rocblas_complex_numIfEPKPS3_EEvT1_iilPiilS8_bb,comdat
.Lfunc_end71:
	.size	_ZN9rocsolver6v33100L18getri_kernel_smallILi8E19rocblas_complex_numIfEPKPS3_EEvT1_iilPiilS8_bb, .Lfunc_end71-_ZN9rocsolver6v33100L18getri_kernel_smallILi8E19rocblas_complex_numIfEPKPS3_EEvT1_iilPiilS8_bb
                                        ; -- End function
	.set _ZN9rocsolver6v33100L18getri_kernel_smallILi8E19rocblas_complex_numIfEPKPS3_EEvT1_iilPiilS8_bb.num_vgpr, 54
	.set _ZN9rocsolver6v33100L18getri_kernel_smallILi8E19rocblas_complex_numIfEPKPS3_EEvT1_iilPiilS8_bb.num_agpr, 0
	.set _ZN9rocsolver6v33100L18getri_kernel_smallILi8E19rocblas_complex_numIfEPKPS3_EEvT1_iilPiilS8_bb.numbered_sgpr, 20
	.set _ZN9rocsolver6v33100L18getri_kernel_smallILi8E19rocblas_complex_numIfEPKPS3_EEvT1_iilPiilS8_bb.num_named_barrier, 0
	.set _ZN9rocsolver6v33100L18getri_kernel_smallILi8E19rocblas_complex_numIfEPKPS3_EEvT1_iilPiilS8_bb.private_seg_size, 80
	.set _ZN9rocsolver6v33100L18getri_kernel_smallILi8E19rocblas_complex_numIfEPKPS3_EEvT1_iilPiilS8_bb.uses_vcc, 1
	.set _ZN9rocsolver6v33100L18getri_kernel_smallILi8E19rocblas_complex_numIfEPKPS3_EEvT1_iilPiilS8_bb.uses_flat_scratch, 0
	.set _ZN9rocsolver6v33100L18getri_kernel_smallILi8E19rocblas_complex_numIfEPKPS3_EEvT1_iilPiilS8_bb.has_dyn_sized_stack, 0
	.set _ZN9rocsolver6v33100L18getri_kernel_smallILi8E19rocblas_complex_numIfEPKPS3_EEvT1_iilPiilS8_bb.has_recursion, 0
	.set _ZN9rocsolver6v33100L18getri_kernel_smallILi8E19rocblas_complex_numIfEPKPS3_EEvT1_iilPiilS8_bb.has_indirect_call, 0
	.section	.AMDGPU.csdata,"",@progbits
; Kernel info:
; codeLenInByte = 6828
; TotalNumSgprs: 22
; NumVgprs: 54
; ScratchSize: 80
; MemoryBound: 0
; FloatMode: 240
; IeeeMode: 1
; LDSByteSize: 132 bytes/workgroup (compile time only)
; SGPRBlocks: 0
; VGPRBlocks: 6
; NumSGPRsForWavesPerEU: 22
; NumVGPRsForWavesPerEU: 54
; Occupancy: 16
; WaveLimiterHint : 1
; COMPUTE_PGM_RSRC2:SCRATCH_EN: 1
; COMPUTE_PGM_RSRC2:USER_SGPR: 6
; COMPUTE_PGM_RSRC2:TRAP_HANDLER: 0
; COMPUTE_PGM_RSRC2:TGID_X_EN: 1
; COMPUTE_PGM_RSRC2:TGID_Y_EN: 0
; COMPUTE_PGM_RSRC2:TGID_Z_EN: 0
; COMPUTE_PGM_RSRC2:TIDIG_COMP_CNT: 0
	.section	.text._ZN9rocsolver6v33100L18getri_kernel_smallILi9E19rocblas_complex_numIfEPKPS3_EEvT1_iilPiilS8_bb,"axG",@progbits,_ZN9rocsolver6v33100L18getri_kernel_smallILi9E19rocblas_complex_numIfEPKPS3_EEvT1_iilPiilS8_bb,comdat
	.globl	_ZN9rocsolver6v33100L18getri_kernel_smallILi9E19rocblas_complex_numIfEPKPS3_EEvT1_iilPiilS8_bb ; -- Begin function _ZN9rocsolver6v33100L18getri_kernel_smallILi9E19rocblas_complex_numIfEPKPS3_EEvT1_iilPiilS8_bb
	.p2align	8
	.type	_ZN9rocsolver6v33100L18getri_kernel_smallILi9E19rocblas_complex_numIfEPKPS3_EEvT1_iilPiilS8_bb,@function
_ZN9rocsolver6v33100L18getri_kernel_smallILi9E19rocblas_complex_numIfEPKPS3_EEvT1_iilPiilS8_bb: ; @_ZN9rocsolver6v33100L18getri_kernel_smallILi9E19rocblas_complex_numIfEPKPS3_EEvT1_iilPiilS8_bb
; %bb.0:
	s_add_u32 s0, s0, s7
	s_addc_u32 s1, s1, 0
	s_mov_b32 s7, exec_lo
	v_cmpx_gt_u32_e32 9, v0
	s_cbranch_execz .LBB72_50
; %bb.1:
	s_clause 0x2
	s_load_dword s17, s[4:5], 0x38
	s_load_dwordx2 s[12:13], s[4:5], 0x0
	s_load_dwordx4 s[8:11], s[4:5], 0x28
	s_waitcnt lgkmcnt(0)
	s_bitcmp1_b32 s17, 8
	s_cselect_b32 s16, -1, 0
	s_ashr_i32 s7, s6, 31
	s_lshl_b64 s[14:15], s[6:7], 3
	s_add_u32 s12, s12, s14
	s_addc_u32 s13, s13, s15
	s_load_dwordx2 s[14:15], s[12:13], 0x0
	s_bfe_u32 s12, s17, 0x10008
	s_cmp_eq_u32 s12, 0
                                        ; implicit-def: $sgpr12_sgpr13
	s_cbranch_scc1 .LBB72_3
; %bb.2:
	s_clause 0x1
	s_load_dword s12, s[4:5], 0x20
	s_load_dwordx2 s[18:19], s[4:5], 0x18
	s_mul_i32 s13, s8, s7
	s_mul_hi_u32 s17, s8, s6
	s_mul_i32 s9, s9, s6
	s_add_i32 s13, s17, s13
	s_mul_i32 s8, s8, s6
	s_add_i32 s9, s13, s9
	s_lshl_b64 s[8:9], s[8:9], 2
	s_waitcnt lgkmcnt(0)
	s_ashr_i32 s13, s12, 31
	s_add_u32 s17, s18, s8
	s_addc_u32 s18, s19, s9
	s_lshl_b64 s[8:9], s[12:13], 2
	s_add_u32 s12, s17, s8
	s_addc_u32 s13, s18, s9
.LBB72_3:
	s_clause 0x1
	s_load_dwordx2 s[8:9], s[4:5], 0x8
	s_load_dword s17, s[4:5], 0x38
	v_lshlrev_b32_e32 v21, 3, v0
	s_waitcnt lgkmcnt(0)
	s_ashr_i32 s5, s8, 31
	s_mov_b32 s4, s8
	v_add3_u32 v9, s9, s9, v0
	s_lshl_b64 s[4:5], s[4:5], 3
	s_add_u32 s8, s14, s4
	s_addc_u32 s14, s15, s5
	v_add_co_u32 v1, s4, s8, v21
	v_add_co_ci_u32_e64 v2, null, s14, 0, s4
	s_mov_b32 s4, s9
	s_ashr_i32 s5, s9, 31
	v_ashrrev_i32_e32 v10, 31, v9
	flat_load_dwordx2 v[5:6], v[1:2]
	s_lshl_b64 s[4:5], s[4:5], 3
	v_add_nc_u32_e32 v12, s9, v9
	v_add_co_u32 v3, vcc_lo, v1, s4
	v_add_co_ci_u32_e64 v4, null, s5, v2, vcc_lo
	v_ashrrev_i32_e32 v13, 31, v12
	s_mov_b32 s5, -1
	s_bitcmp0_b32 s17, 0
	s_waitcnt vmcnt(0) lgkmcnt(0)
	buffer_store_dword v6, off, s[0:3], 0 offset:4
	buffer_store_dword v5, off, s[0:3], 0
	flat_load_dwordx2 v[7:8], v[3:4]
	v_lshlrev_b64 v[5:6], 3, v[9:10]
	s_waitcnt vmcnt(0) lgkmcnt(0)
	buffer_store_dword v8, off, s[0:3], 0 offset:12
	buffer_store_dword v7, off, s[0:3], 0 offset:8
	v_add_co_u32 v5, vcc_lo, s8, v5
	v_add_co_ci_u32_e64 v6, null, s14, v6, vcc_lo
	v_lshlrev_b64 v[7:8], 3, v[12:13]
	flat_load_dwordx2 v[10:11], v[5:6]
	s_waitcnt vmcnt(0) lgkmcnt(0)
	buffer_store_dword v11, off, s[0:3], 0 offset:20
	buffer_store_dword v10, off, s[0:3], 0 offset:16
	v_add_co_u32 v7, vcc_lo, s8, v7
	v_add_co_ci_u32_e64 v8, null, s14, v8, vcc_lo
	v_add_nc_u32_e32 v11, s9, v12
	flat_load_dwordx2 v[13:14], v[7:8]
	s_waitcnt vmcnt(0) lgkmcnt(0)
	buffer_store_dword v14, off, s[0:3], 0 offset:28
	buffer_store_dword v13, off, s[0:3], 0 offset:24
	v_ashrrev_i32_e32 v12, 31, v11
	v_add_nc_u32_e32 v15, s9, v11
	v_lshlrev_b64 v[9:10], 3, v[11:12]
	v_ashrrev_i32_e32 v16, 31, v15
	v_add_nc_u32_e32 v18, s9, v15
	v_add_co_u32 v9, vcc_lo, s8, v9
	v_add_co_ci_u32_e64 v10, null, s14, v10, vcc_lo
	v_lshlrev_b64 v[11:12], 3, v[15:16]
	v_ashrrev_i32_e32 v19, 31, v18
	flat_load_dwordx2 v[13:14], v[9:10]
	s_waitcnt vmcnt(0) lgkmcnt(0)
	buffer_store_dword v14, off, s[0:3], 0 offset:36
	buffer_store_dword v13, off, s[0:3], 0 offset:32
	v_add_co_u32 v11, vcc_lo, s8, v11
	v_add_co_ci_u32_e64 v12, null, s14, v12, vcc_lo
	v_lshlrev_b64 v[13:14], 3, v[18:19]
	flat_load_dwordx2 v[16:17], v[11:12]
	s_waitcnt vmcnt(0) lgkmcnt(0)
	buffer_store_dword v17, off, s[0:3], 0 offset:44
	buffer_store_dword v16, off, s[0:3], 0 offset:40
	v_add_co_u32 v13, vcc_lo, s8, v13
	v_add_co_ci_u32_e64 v14, null, s14, v14, vcc_lo
	v_add_nc_u32_e32 v17, s9, v18
	flat_load_dwordx2 v[19:20], v[13:14]
	s_waitcnt vmcnt(0) lgkmcnt(0)
	buffer_store_dword v20, off, s[0:3], 0 offset:52
	buffer_store_dword v19, off, s[0:3], 0 offset:48
	v_ashrrev_i32_e32 v18, 31, v17
	v_lshlrev_b64 v[15:16], 3, v[17:18]
	v_add_nc_u32_e32 v17, s9, v17
	v_add_co_u32 v15, vcc_lo, s8, v15
	v_add_co_ci_u32_e64 v16, null, s14, v16, vcc_lo
	v_ashrrev_i32_e32 v18, 31, v17
	flat_load_dwordx2 v[19:20], v[15:16]
	s_waitcnt vmcnt(0) lgkmcnt(0)
	buffer_store_dword v20, off, s[0:3], 0 offset:60
	buffer_store_dword v19, off, s[0:3], 0 offset:56
	v_lshlrev_b64 v[17:18], 3, v[17:18]
	v_add_co_u32 v17, vcc_lo, s8, v17
	v_add_co_ci_u32_e64 v18, null, s14, v18, vcc_lo
	flat_load_dwordx2 v[19:20], v[17:18]
	s_waitcnt vmcnt(0) lgkmcnt(0)
	buffer_store_dword v20, off, s[0:3], 0 offset:68
	buffer_store_dword v19, off, s[0:3], 0 offset:64
	s_cbranch_scc1 .LBB72_48
; %bb.4:
	v_cmp_eq_u32_e64 s4, 0, v0
	s_and_saveexec_b32 s5, s4
; %bb.5:
	v_mov_b32_e32 v19, 0
	ds_write_b32 v19, v19 offset:72
; %bb.6:
	s_or_b32 exec_lo, exec_lo, s5
	v_lshl_add_u32 v23, v0, 3, 0
	s_waitcnt lgkmcnt(0)
	s_waitcnt_vscnt null, 0x0
	s_barrier
	buffer_gl0_inv
	s_clause 0x1
	buffer_load_dword v19, v23, s[0:3], 0 offen
	buffer_load_dword v20, v23, s[0:3], 0 offen offset:4
	s_waitcnt vmcnt(1)
	v_cmp_eq_f32_e32 vcc_lo, 0, v19
	s_waitcnt vmcnt(0)
	v_cmp_eq_f32_e64 s5, 0, v20
	s_and_b32 s5, vcc_lo, s5
	s_and_saveexec_b32 s8, s5
	s_cbranch_execz .LBB72_10
; %bb.7:
	v_mov_b32_e32 v19, 0
	s_mov_b32 s9, 0
	ds_read_b32 v20, v19 offset:72
	s_waitcnt lgkmcnt(0)
	v_readfirstlane_b32 s5, v20
	v_add_nc_u32_e32 v20, 1, v0
	s_cmp_eq_u32 s5, 0
	v_cmp_gt_i32_e32 vcc_lo, s5, v20
	s_cselect_b32 s14, -1, 0
	s_or_b32 s14, s14, vcc_lo
	s_and_b32 exec_lo, exec_lo, s14
	s_cbranch_execz .LBB72_10
; %bb.8:
	v_mov_b32_e32 v22, s5
.LBB72_9:                               ; =>This Inner Loop Header: Depth=1
	ds_cmpst_rtn_b32 v22, v19, v22, v20 offset:72
	s_waitcnt lgkmcnt(0)
	v_cmp_ne_u32_e32 vcc_lo, 0, v22
	v_cmp_le_i32_e64 s5, v22, v20
	s_and_b32 s5, vcc_lo, s5
	s_and_b32 s5, exec_lo, s5
	s_or_b32 s9, s5, s9
	s_andn2_b32 exec_lo, exec_lo, s9
	s_cbranch_execnz .LBB72_9
.LBB72_10:
	s_or_b32 exec_lo, exec_lo, s8
	v_mov_b32_e32 v19, 0
	s_barrier
	buffer_gl0_inv
	ds_read_b32 v20, v19 offset:72
	s_and_saveexec_b32 s5, s4
	s_cbranch_execz .LBB72_12
; %bb.11:
	s_lshl_b64 s[8:9], s[6:7], 2
	s_add_u32 s8, s10, s8
	s_addc_u32 s9, s11, s9
	s_waitcnt lgkmcnt(0)
	global_store_dword v19, v20, s[8:9]
.LBB72_12:
	s_or_b32 exec_lo, exec_lo, s5
	s_waitcnt lgkmcnt(0)
	v_cmp_ne_u32_e32 vcc_lo, 0, v20
	s_mov_b32 s5, 0
	s_cbranch_vccnz .LBB72_48
; %bb.13:
	s_clause 0x1
	buffer_load_dword v20, v23, s[0:3], 0 offen
	buffer_load_dword v22, v23, s[0:3], 0 offen offset:4
                                        ; implicit-def: $vgpr25
                                        ; implicit-def: $vgpr24
                                        ; implicit-def: $vgpr19
	s_waitcnt vmcnt(0)
	v_cmp_ngt_f32_e64 s5, |v20|, |v22|
	s_and_saveexec_b32 s8, s5
	s_xor_b32 s5, exec_lo, s8
	s_cbranch_execz .LBB72_15
; %bb.14:
	v_div_scale_f32 v19, null, v22, v22, v20
	v_div_scale_f32 v26, vcc_lo, v20, v22, v20
	v_rcp_f32_e32 v24, v19
	v_fma_f32 v25, -v19, v24, 1.0
	v_fmac_f32_e32 v24, v25, v24
	v_mul_f32_e32 v25, v26, v24
	v_fma_f32 v27, -v19, v25, v26
	v_fmac_f32_e32 v25, v27, v24
	v_fma_f32 v19, -v19, v25, v26
	v_div_fmas_f32 v19, v19, v24, v25
	v_div_fixup_f32 v19, v19, v22, v20
	v_fmac_f32_e32 v22, v20, v19
	v_div_scale_f32 v20, null, v22, v22, 1.0
	v_rcp_f32_e32 v24, v20
	v_fma_f32 v25, -v20, v24, 1.0
	v_fmac_f32_e32 v24, v25, v24
	v_div_scale_f32 v25, vcc_lo, 1.0, v22, 1.0
	v_mul_f32_e32 v26, v25, v24
	v_fma_f32 v27, -v20, v26, v25
	v_fmac_f32_e32 v26, v27, v24
	v_fma_f32 v20, -v20, v26, v25
	v_div_fmas_f32 v20, v20, v24, v26
	v_div_fixup_f32 v20, v20, v22, 1.0
                                        ; implicit-def: $vgpr22
	v_mul_f32_e32 v25, v19, v20
	v_xor_b32_e32 v24, 0x80000000, v20
                                        ; implicit-def: $vgpr20
	v_xor_b32_e32 v19, 0x80000000, v25
.LBB72_15:
	s_andn2_saveexec_b32 s5, s5
	s_cbranch_execz .LBB72_17
; %bb.16:
	v_div_scale_f32 v19, null, v20, v20, v22
	v_div_scale_f32 v26, vcc_lo, v22, v20, v22
	v_rcp_f32_e32 v24, v19
	v_fma_f32 v25, -v19, v24, 1.0
	v_fmac_f32_e32 v24, v25, v24
	v_mul_f32_e32 v25, v26, v24
	v_fma_f32 v27, -v19, v25, v26
	v_fmac_f32_e32 v25, v27, v24
	v_fma_f32 v19, -v19, v25, v26
	v_div_fmas_f32 v19, v19, v24, v25
	v_div_fixup_f32 v24, v19, v20, v22
	v_fmac_f32_e32 v20, v22, v24
	v_div_scale_f32 v19, null, v20, v20, 1.0
	v_div_scale_f32 v26, vcc_lo, 1.0, v20, 1.0
	v_rcp_f32_e32 v22, v19
	v_fma_f32 v25, -v19, v22, 1.0
	v_fmac_f32_e32 v22, v25, v22
	v_mul_f32_e32 v25, v26, v22
	v_fma_f32 v27, -v19, v25, v26
	v_fmac_f32_e32 v25, v27, v22
	v_fma_f32 v19, -v19, v25, v26
	v_div_fmas_f32 v19, v19, v22, v25
	v_div_fixup_f32 v25, v19, v20, 1.0
	v_xor_b32_e32 v19, 0x80000000, v25
	v_mul_f32_e64 v24, v24, -v25
.LBB72_17:
	s_or_b32 exec_lo, exec_lo, s5
	buffer_store_dword v25, v23, s[0:3], 0 offen
	buffer_store_dword v24, v23, s[0:3], 0 offen offset:4
	s_clause 0x1
	buffer_load_dword v26, off, s[0:3], 0 offset:12
	buffer_load_dword v25, off, s[0:3], 0 offset:8
	v_xor_b32_e32 v20, 0x80000000, v24
	v_add_nc_u32_e32 v22, 0x50, v21
	s_waitcnt vmcnt(0)
	ds_write2_b64 v21, v[19:20], v[25:26] offset1:10
	s_waitcnt lgkmcnt(0)
	s_waitcnt_vscnt null, 0x0
	s_barrier
	buffer_gl0_inv
	s_and_saveexec_b32 s5, s4
	s_cbranch_execz .LBB72_19
; %bb.18:
	s_clause 0x1
	buffer_load_dword v26, v23, s[0:3], 0 offen offset:4
	buffer_load_dword v27, v23, s[0:3], 0 offen
	ds_read_b64 v[19:20], v22
	v_mov_b32_e32 v24, 0
	ds_read_b64 v[24:25], v24 offset:8
	s_waitcnt vmcnt(1) lgkmcnt(1)
	v_mul_f32_e32 v28, v19, v26
	v_mul_f32_e32 v26, v20, v26
	s_waitcnt vmcnt(0)
	v_fmac_f32_e32 v28, v20, v27
	v_fma_f32 v19, v19, v27, -v26
	v_add_f32_e32 v20, 0, v28
	v_add_f32_e32 v19, 0, v19
	s_waitcnt lgkmcnt(0)
	v_mul_f32_e32 v26, v20, v25
	v_mul_f32_e32 v25, v19, v25
	v_fma_f32 v19, v19, v24, -v26
	v_fmac_f32_e32 v25, v20, v24
	buffer_store_dword v19, off, s[0:3], 0 offset:8
	buffer_store_dword v25, off, s[0:3], 0 offset:12
.LBB72_19:
	s_or_b32 exec_lo, exec_lo, s5
	s_waitcnt_vscnt null, 0x0
	s_barrier
	buffer_gl0_inv
	s_clause 0x1
	buffer_load_dword v19, off, s[0:3], 0 offset:16
	buffer_load_dword v20, off, s[0:3], 0 offset:20
	s_mov_b32 s5, exec_lo
	s_waitcnt vmcnt(0)
	ds_write_b64 v22, v[19:20]
	s_waitcnt lgkmcnt(0)
	s_barrier
	buffer_gl0_inv
	v_cmpx_gt_u32_e32 2, v0
	s_cbranch_execz .LBB72_23
; %bb.20:
	s_clause 0x1
	buffer_load_dword v24, v23, s[0:3], 0 offen offset:4
	buffer_load_dword v23, v23, s[0:3], 0 offen
	ds_read_b64 v[19:20], v22
	s_waitcnt vmcnt(1) lgkmcnt(0)
	v_mul_f32_e32 v25, v20, v24
	v_mul_f32_e32 v24, v19, v24
	s_waitcnt vmcnt(0)
	v_fma_f32 v19, v19, v23, -v25
	v_fmac_f32_e32 v24, v20, v23
	v_add_f32_e32 v20, 0, v19
	v_add_f32_e32 v19, 0, v24
	s_and_saveexec_b32 s8, s4
	s_cbranch_execz .LBB72_22
; %bb.21:
	s_clause 0x1
	buffer_load_dword v25, off, s[0:3], 0 offset:12
	buffer_load_dword v26, off, s[0:3], 0 offset:8
	v_mov_b32_e32 v23, 0
	ds_read_b64 v[23:24], v23 offset:88
	s_waitcnt vmcnt(1) lgkmcnt(0)
	v_mul_f32_e32 v27, v23, v25
	v_mul_f32_e32 v25, v24, v25
	s_waitcnt vmcnt(0)
	v_fmac_f32_e32 v27, v24, v26
	v_fma_f32 v23, v23, v26, -v25
	v_add_f32_e32 v19, v19, v27
	v_add_f32_e32 v20, v20, v23
.LBB72_22:
	s_or_b32 exec_lo, exec_lo, s8
	v_mov_b32_e32 v23, 0
	ds_read_b64 v[23:24], v23 offset:16
	s_waitcnt lgkmcnt(0)
	v_mul_f32_e32 v25, v19, v24
	v_mul_f32_e32 v24, v20, v24
	v_fma_f32 v20, v20, v23, -v25
	v_fmac_f32_e32 v24, v19, v23
	buffer_store_dword v20, off, s[0:3], 0 offset:16
	buffer_store_dword v24, off, s[0:3], 0 offset:20
.LBB72_23:
	s_or_b32 exec_lo, exec_lo, s5
	s_waitcnt_vscnt null, 0x0
	s_barrier
	buffer_gl0_inv
	s_clause 0x1
	buffer_load_dword v23, off, s[0:3], 0 offset:24
	buffer_load_dword v24, off, s[0:3], 0 offset:28
	v_add_nc_u32_e32 v19, -1, v0
	s_mov_b32 s4, exec_lo
	s_waitcnt vmcnt(0)
	ds_write_b64 v22, v[23:24]
	s_waitcnt lgkmcnt(0)
	s_barrier
	buffer_gl0_inv
	v_cmpx_gt_u32_e32 3, v0
	s_cbranch_execz .LBB72_27
; %bb.24:
	v_add_nc_u32_e32 v23, -1, v0
	v_add_nc_u32_e32 v24, 0x50, v21
	v_mov_b32_e32 v25, v21
	v_mov_b32_e32 v20, 0
	;; [unrolled: 1-line block ×3, first 2 shown]
	s_mov_b32 s5, 0
	.p2align	6
.LBB72_25:                              ; =>This Inner Loop Header: Depth=1
	s_clause 0x1
	buffer_load_dword v29, v25, s[0:3], 0 offen offset:4
	buffer_load_dword v30, v25, s[0:3], 0 offen
	ds_read_b64 v[27:28], v24
	v_add_nc_u32_e32 v23, 1, v23
	v_add_nc_u32_e32 v24, 8, v24
	;; [unrolled: 1-line block ×3, first 2 shown]
	v_cmp_lt_u32_e32 vcc_lo, 1, v23
	s_or_b32 s5, vcc_lo, s5
	s_waitcnt vmcnt(1) lgkmcnt(0)
	v_mul_f32_e32 v31, v28, v29
	v_mul_f32_e32 v29, v27, v29
	s_waitcnt vmcnt(0)
	v_fma_f32 v27, v27, v30, -v31
	v_fmac_f32_e32 v29, v28, v30
	v_add_f32_e32 v26, v26, v27
	v_add_f32_e32 v20, v20, v29
	s_andn2_b32 exec_lo, exec_lo, s5
	s_cbranch_execnz .LBB72_25
; %bb.26:
	s_or_b32 exec_lo, exec_lo, s5
	v_mov_b32_e32 v23, 0
	ds_read_b64 v[23:24], v23 offset:24
	s_waitcnt lgkmcnt(0)
	v_mul_f32_e32 v25, v20, v24
	v_mul_f32_e32 v24, v26, v24
	v_fma_f32 v25, v26, v23, -v25
	v_fmac_f32_e32 v24, v20, v23
	buffer_store_dword v25, off, s[0:3], 0 offset:24
	buffer_store_dword v24, off, s[0:3], 0 offset:28
.LBB72_27:
	s_or_b32 exec_lo, exec_lo, s4
	s_waitcnt_vscnt null, 0x0
	s_barrier
	buffer_gl0_inv
	s_clause 0x1
	buffer_load_dword v23, off, s[0:3], 0 offset:32
	buffer_load_dword v24, off, s[0:3], 0 offset:36
	s_mov_b32 s4, exec_lo
	s_waitcnt vmcnt(0)
	ds_write_b64 v22, v[23:24]
	s_waitcnt lgkmcnt(0)
	s_barrier
	buffer_gl0_inv
	v_cmpx_gt_u32_e32 4, v0
	s_cbranch_execz .LBB72_31
; %bb.28:
	v_add_nc_u32_e32 v23, -1, v0
	v_add_nc_u32_e32 v24, 0x50, v21
	v_mov_b32_e32 v25, v21
	v_mov_b32_e32 v20, 0
	;; [unrolled: 1-line block ×3, first 2 shown]
	s_mov_b32 s5, 0
	.p2align	6
.LBB72_29:                              ; =>This Inner Loop Header: Depth=1
	s_clause 0x1
	buffer_load_dword v29, v25, s[0:3], 0 offen offset:4
	buffer_load_dword v30, v25, s[0:3], 0 offen
	ds_read_b64 v[27:28], v24
	v_add_nc_u32_e32 v23, 1, v23
	v_add_nc_u32_e32 v24, 8, v24
	;; [unrolled: 1-line block ×3, first 2 shown]
	v_cmp_lt_u32_e32 vcc_lo, 2, v23
	s_or_b32 s5, vcc_lo, s5
	s_waitcnt vmcnt(1) lgkmcnt(0)
	v_mul_f32_e32 v31, v28, v29
	v_mul_f32_e32 v29, v27, v29
	s_waitcnt vmcnt(0)
	v_fma_f32 v27, v27, v30, -v31
	v_fmac_f32_e32 v29, v28, v30
	v_add_f32_e32 v26, v26, v27
	v_add_f32_e32 v20, v20, v29
	s_andn2_b32 exec_lo, exec_lo, s5
	s_cbranch_execnz .LBB72_29
; %bb.30:
	s_or_b32 exec_lo, exec_lo, s5
	v_mov_b32_e32 v23, 0
	ds_read_b64 v[23:24], v23 offset:32
	s_waitcnt lgkmcnt(0)
	v_mul_f32_e32 v25, v20, v24
	v_mul_f32_e32 v24, v26, v24
	v_fma_f32 v25, v26, v23, -v25
	v_fmac_f32_e32 v24, v20, v23
	buffer_store_dword v25, off, s[0:3], 0 offset:32
	buffer_store_dword v24, off, s[0:3], 0 offset:36
.LBB72_31:
	s_or_b32 exec_lo, exec_lo, s4
	s_waitcnt_vscnt null, 0x0
	s_barrier
	buffer_gl0_inv
	s_clause 0x1
	buffer_load_dword v23, off, s[0:3], 0 offset:40
	buffer_load_dword v24, off, s[0:3], 0 offset:44
	s_mov_b32 s4, exec_lo
	s_waitcnt vmcnt(0)
	ds_write_b64 v22, v[23:24]
	s_waitcnt lgkmcnt(0)
	s_barrier
	buffer_gl0_inv
	v_cmpx_gt_u32_e32 5, v0
	s_cbranch_execz .LBB72_35
; %bb.32:
	v_add_nc_u32_e32 v23, -1, v0
	v_add_nc_u32_e32 v24, 0x50, v21
	v_mov_b32_e32 v25, v21
	v_mov_b32_e32 v20, 0
	v_mov_b32_e32 v26, 0
	s_mov_b32 s5, 0
	.p2align	6
.LBB72_33:                              ; =>This Inner Loop Header: Depth=1
	s_clause 0x1
	buffer_load_dword v29, v25, s[0:3], 0 offen offset:4
	buffer_load_dword v30, v25, s[0:3], 0 offen
	ds_read_b64 v[27:28], v24
	v_add_nc_u32_e32 v23, 1, v23
	v_add_nc_u32_e32 v24, 8, v24
	;; [unrolled: 1-line block ×3, first 2 shown]
	v_cmp_lt_u32_e32 vcc_lo, 3, v23
	s_or_b32 s5, vcc_lo, s5
	s_waitcnt vmcnt(1) lgkmcnt(0)
	v_mul_f32_e32 v31, v28, v29
	v_mul_f32_e32 v29, v27, v29
	s_waitcnt vmcnt(0)
	v_fma_f32 v27, v27, v30, -v31
	v_fmac_f32_e32 v29, v28, v30
	v_add_f32_e32 v26, v26, v27
	v_add_f32_e32 v20, v20, v29
	s_andn2_b32 exec_lo, exec_lo, s5
	s_cbranch_execnz .LBB72_33
; %bb.34:
	s_or_b32 exec_lo, exec_lo, s5
	v_mov_b32_e32 v23, 0
	ds_read_b64 v[23:24], v23 offset:40
	s_waitcnt lgkmcnt(0)
	v_mul_f32_e32 v25, v20, v24
	v_mul_f32_e32 v24, v26, v24
	v_fma_f32 v25, v26, v23, -v25
	v_fmac_f32_e32 v24, v20, v23
	buffer_store_dword v25, off, s[0:3], 0 offset:40
	buffer_store_dword v24, off, s[0:3], 0 offset:44
.LBB72_35:
	s_or_b32 exec_lo, exec_lo, s4
	s_waitcnt_vscnt null, 0x0
	s_barrier
	buffer_gl0_inv
	s_clause 0x1
	buffer_load_dword v23, off, s[0:3], 0 offset:48
	buffer_load_dword v24, off, s[0:3], 0 offset:52
	s_mov_b32 s4, exec_lo
	s_waitcnt vmcnt(0)
	ds_write_b64 v22, v[23:24]
	s_waitcnt lgkmcnt(0)
	s_barrier
	buffer_gl0_inv
	v_cmpx_gt_u32_e32 6, v0
	s_cbranch_execz .LBB72_39
; %bb.36:
	v_add_nc_u32_e32 v23, -1, v0
	v_add_nc_u32_e32 v24, 0x50, v21
	v_mov_b32_e32 v25, v21
	v_mov_b32_e32 v20, 0
	;; [unrolled: 1-line block ×3, first 2 shown]
	s_mov_b32 s5, 0
	.p2align	6
.LBB72_37:                              ; =>This Inner Loop Header: Depth=1
	s_clause 0x1
	buffer_load_dword v29, v25, s[0:3], 0 offen offset:4
	buffer_load_dword v30, v25, s[0:3], 0 offen
	ds_read_b64 v[27:28], v24
	v_add_nc_u32_e32 v23, 1, v23
	v_add_nc_u32_e32 v24, 8, v24
	;; [unrolled: 1-line block ×3, first 2 shown]
	v_cmp_lt_u32_e32 vcc_lo, 4, v23
	s_or_b32 s5, vcc_lo, s5
	s_waitcnt vmcnt(1) lgkmcnt(0)
	v_mul_f32_e32 v31, v28, v29
	v_mul_f32_e32 v29, v27, v29
	s_waitcnt vmcnt(0)
	v_fma_f32 v27, v27, v30, -v31
	v_fmac_f32_e32 v29, v28, v30
	v_add_f32_e32 v26, v26, v27
	v_add_f32_e32 v20, v20, v29
	s_andn2_b32 exec_lo, exec_lo, s5
	s_cbranch_execnz .LBB72_37
; %bb.38:
	s_or_b32 exec_lo, exec_lo, s5
	v_mov_b32_e32 v23, 0
	ds_read_b64 v[23:24], v23 offset:48
	s_waitcnt lgkmcnt(0)
	v_mul_f32_e32 v25, v20, v24
	v_mul_f32_e32 v24, v26, v24
	v_fma_f32 v25, v26, v23, -v25
	v_fmac_f32_e32 v24, v20, v23
	buffer_store_dword v25, off, s[0:3], 0 offset:48
	buffer_store_dword v24, off, s[0:3], 0 offset:52
.LBB72_39:
	s_or_b32 exec_lo, exec_lo, s4
	s_waitcnt_vscnt null, 0x0
	s_barrier
	buffer_gl0_inv
	s_clause 0x1
	buffer_load_dword v23, off, s[0:3], 0 offset:56
	buffer_load_dword v24, off, s[0:3], 0 offset:60
	s_mov_b32 s4, exec_lo
	s_waitcnt vmcnt(0)
	ds_write_b64 v22, v[23:24]
	s_waitcnt lgkmcnt(0)
	s_barrier
	buffer_gl0_inv
	v_cmpx_gt_u32_e32 7, v0
	s_cbranch_execz .LBB72_43
; %bb.40:
	v_add_nc_u32_e32 v23, -1, v0
	v_add_nc_u32_e32 v24, 0x50, v21
	v_mov_b32_e32 v25, v21
	v_mov_b32_e32 v20, 0
	v_mov_b32_e32 v26, 0
	s_mov_b32 s5, 0
	.p2align	6
.LBB72_41:                              ; =>This Inner Loop Header: Depth=1
	s_clause 0x1
	buffer_load_dword v29, v25, s[0:3], 0 offen offset:4
	buffer_load_dword v30, v25, s[0:3], 0 offen
	ds_read_b64 v[27:28], v24
	v_add_nc_u32_e32 v23, 1, v23
	v_add_nc_u32_e32 v24, 8, v24
	v_add_nc_u32_e32 v25, 8, v25
	v_cmp_lt_u32_e32 vcc_lo, 5, v23
	s_or_b32 s5, vcc_lo, s5
	s_waitcnt vmcnt(1) lgkmcnt(0)
	v_mul_f32_e32 v31, v28, v29
	v_mul_f32_e32 v29, v27, v29
	s_waitcnt vmcnt(0)
	v_fma_f32 v27, v27, v30, -v31
	v_fmac_f32_e32 v29, v28, v30
	v_add_f32_e32 v26, v26, v27
	v_add_f32_e32 v20, v20, v29
	s_andn2_b32 exec_lo, exec_lo, s5
	s_cbranch_execnz .LBB72_41
; %bb.42:
	s_or_b32 exec_lo, exec_lo, s5
	v_mov_b32_e32 v23, 0
	ds_read_b64 v[23:24], v23 offset:56
	s_waitcnt lgkmcnt(0)
	v_mul_f32_e32 v25, v20, v24
	v_mul_f32_e32 v24, v26, v24
	v_fma_f32 v25, v26, v23, -v25
	v_fmac_f32_e32 v24, v20, v23
	buffer_store_dword v25, off, s[0:3], 0 offset:56
	buffer_store_dword v24, off, s[0:3], 0 offset:60
.LBB72_43:
	s_or_b32 exec_lo, exec_lo, s4
	s_waitcnt_vscnt null, 0x0
	s_barrier
	buffer_gl0_inv
	s_clause 0x1
	buffer_load_dword v23, off, s[0:3], 0 offset:64
	buffer_load_dword v24, off, s[0:3], 0 offset:68
	s_mov_b32 s4, exec_lo
	s_waitcnt vmcnt(0)
	ds_write_b64 v22, v[23:24]
	s_waitcnt lgkmcnt(0)
	s_barrier
	buffer_gl0_inv
	v_cmpx_ne_u32_e32 8, v0
	s_cbranch_execz .LBB72_47
; %bb.44:
	v_mov_b32_e32 v20, 0
	v_mov_b32_e32 v23, 0
	s_mov_b32 s5, 0
	.p2align	6
.LBB72_45:                              ; =>This Inner Loop Header: Depth=1
	s_clause 0x1
	buffer_load_dword v26, v21, s[0:3], 0 offen offset:4
	buffer_load_dword v27, v21, s[0:3], 0 offen
	ds_read_b64 v[24:25], v22
	v_add_nc_u32_e32 v19, 1, v19
	v_add_nc_u32_e32 v22, 8, v22
	;; [unrolled: 1-line block ×3, first 2 shown]
	v_cmp_lt_u32_e32 vcc_lo, 6, v19
	s_or_b32 s5, vcc_lo, s5
	s_waitcnt vmcnt(1) lgkmcnt(0)
	v_mul_f32_e32 v28, v25, v26
	v_mul_f32_e32 v26, v24, v26
	s_waitcnt vmcnt(0)
	v_fma_f32 v24, v24, v27, -v28
	v_fmac_f32_e32 v26, v25, v27
	v_add_f32_e32 v23, v23, v24
	v_add_f32_e32 v20, v20, v26
	s_andn2_b32 exec_lo, exec_lo, s5
	s_cbranch_execnz .LBB72_45
; %bb.46:
	s_or_b32 exec_lo, exec_lo, s5
	v_mov_b32_e32 v19, 0
	ds_read_b64 v[21:22], v19 offset:64
	s_waitcnt lgkmcnt(0)
	v_mul_f32_e32 v19, v20, v22
	v_mul_f32_e32 v22, v23, v22
	v_fma_f32 v19, v23, v21, -v19
	v_fmac_f32_e32 v22, v20, v21
	buffer_store_dword v19, off, s[0:3], 0 offset:64
	buffer_store_dword v22, off, s[0:3], 0 offset:68
.LBB72_47:
	s_or_b32 exec_lo, exec_lo, s4
	s_mov_b32 s5, -1
	s_waitcnt_vscnt null, 0x0
	s_barrier
	buffer_gl0_inv
.LBB72_48:
	s_and_b32 vcc_lo, exec_lo, s5
	s_cbranch_vccz .LBB72_50
; %bb.49:
	s_lshl_b64 s[4:5], s[6:7], 2
	v_mov_b32_e32 v19, 0
	s_add_u32 s4, s10, s4
	s_addc_u32 s5, s11, s5
	global_load_dword v19, v19, s[4:5]
	s_waitcnt vmcnt(0)
	v_cmp_ne_u32_e32 vcc_lo, 0, v19
	s_cbranch_vccz .LBB72_51
.LBB72_50:
	s_endpgm
.LBB72_51:
	v_lshl_add_u32 v19, v0, 3, 0x50
	s_mov_b32 s4, exec_lo
	v_cmpx_eq_u32_e32 8, v0
	s_cbranch_execz .LBB72_53
; %bb.52:
	s_clause 0x1
	buffer_load_dword v20, off, s[0:3], 0 offset:56
	buffer_load_dword v21, off, s[0:3], 0 offset:60
	v_mov_b32_e32 v22, 0
	buffer_store_dword v22, off, s[0:3], 0 offset:56
	buffer_store_dword v22, off, s[0:3], 0 offset:60
	s_waitcnt vmcnt(0)
	ds_write_b64 v19, v[20:21]
.LBB72_53:
	s_or_b32 exec_lo, exec_lo, s4
	s_waitcnt lgkmcnt(0)
	s_waitcnt_vscnt null, 0x0
	s_barrier
	buffer_gl0_inv
	s_clause 0x3
	buffer_load_dword v23, off, s[0:3], 0 offset:68
	buffer_load_dword v24, off, s[0:3], 0 offset:64
	;; [unrolled: 1-line block ×4, first 2 shown]
	v_mov_b32_e32 v20, 0
	s_mov_b32 s4, exec_lo
	ds_read_b64 v[21:22], v20 offset:144
	s_waitcnt vmcnt(3) lgkmcnt(0)
	v_mul_f32_e32 v27, v22, v23
	v_mul_f32_e32 v23, v21, v23
	s_waitcnt vmcnt(2)
	v_fma_f32 v21, v21, v24, -v27
	v_fmac_f32_e32 v23, v22, v24
	v_add_f32_e32 v21, 0, v21
	v_add_f32_e32 v22, 0, v23
	s_waitcnt vmcnt(1)
	v_sub_f32_e32 v21, v25, v21
	s_waitcnt vmcnt(0)
	v_sub_f32_e32 v22, v26, v22
	buffer_store_dword v21, off, s[0:3], 0 offset:56
	buffer_store_dword v22, off, s[0:3], 0 offset:60
	v_cmpx_lt_u32_e32 6, v0
	s_cbranch_execz .LBB72_55
; %bb.54:
	s_clause 0x1
	buffer_load_dword v21, off, s[0:3], 0 offset:48
	buffer_load_dword v22, off, s[0:3], 0 offset:52
	buffer_store_dword v20, off, s[0:3], 0 offset:48
	buffer_store_dword v20, off, s[0:3], 0 offset:52
	s_waitcnt vmcnt(0)
	ds_write_b64 v19, v[21:22]
.LBB72_55:
	s_or_b32 exec_lo, exec_lo, s4
	s_waitcnt lgkmcnt(0)
	s_waitcnt_vscnt null, 0x0
	s_barrier
	buffer_gl0_inv
	s_clause 0x5
	buffer_load_dword v24, off, s[0:3], 0 offset:60
	buffer_load_dword v25, off, s[0:3], 0 offset:68
	;; [unrolled: 1-line block ×6, first 2 shown]
	ds_read2_b64 v[20:23], v20 offset0:17 offset1:18
	s_mov_b32 s4, exec_lo
	s_waitcnt vmcnt(5) lgkmcnt(0)
	v_mul_f32_e32 v30, v21, v24
	v_mul_f32_e32 v24, v20, v24
	s_waitcnt vmcnt(4)
	v_mul_f32_e32 v31, v22, v25
	v_mul_f32_e32 v25, v23, v25
	s_waitcnt vmcnt(3)
	v_fma_f32 v20, v20, v26, -v30
	v_fmac_f32_e32 v24, v21, v26
	s_waitcnt vmcnt(2)
	v_fmac_f32_e32 v31, v23, v27
	v_fma_f32 v21, v22, v27, -v25
	v_add_f32_e32 v20, 0, v20
	v_add_f32_e32 v22, 0, v24
	;; [unrolled: 1-line block ×4, first 2 shown]
	s_waitcnt vmcnt(1)
	v_sub_f32_e32 v20, v28, v20
	s_waitcnt vmcnt(0)
	v_sub_f32_e32 v21, v29, v21
	buffer_store_dword v20, off, s[0:3], 0 offset:48
	buffer_store_dword v21, off, s[0:3], 0 offset:52
	v_cmpx_lt_u32_e32 5, v0
	s_cbranch_execz .LBB72_57
; %bb.56:
	s_clause 0x1
	buffer_load_dword v20, off, s[0:3], 0 offset:40
	buffer_load_dword v21, off, s[0:3], 0 offset:44
	v_mov_b32_e32 v22, 0
	buffer_store_dword v22, off, s[0:3], 0 offset:40
	buffer_store_dword v22, off, s[0:3], 0 offset:44
	s_waitcnt vmcnt(0)
	ds_write_b64 v19, v[20:21]
.LBB72_57:
	s_or_b32 exec_lo, exec_lo, s4
	s_waitcnt lgkmcnt(0)
	s_waitcnt_vscnt null, 0x0
	s_barrier
	buffer_gl0_inv
	s_clause 0x7
	buffer_load_dword v27, off, s[0:3], 0 offset:52
	buffer_load_dword v28, off, s[0:3], 0 offset:60
	;; [unrolled: 1-line block ×8, first 2 shown]
	v_mov_b32_e32 v20, 0
	ds_read_b128 v[21:24], v20 offset:128
	ds_read_b64 v[25:26], v20 offset:144
	s_mov_b32 s4, exec_lo
	s_waitcnt vmcnt(7) lgkmcnt(1)
	v_mul_f32_e32 v35, v22, v27
	v_mul_f32_e32 v27, v21, v27
	s_waitcnt vmcnt(6)
	v_mul_f32_e32 v36, v23, v28
	v_mul_f32_e32 v28, v24, v28
	s_waitcnt vmcnt(5) lgkmcnt(0)
	v_mul_f32_e32 v37, v25, v29
	s_waitcnt vmcnt(4)
	v_fma_f32 v21, v21, v30, -v35
	v_fmac_f32_e32 v27, v22, v30
	v_mul_f32_e32 v22, v26, v29
	s_waitcnt vmcnt(3)
	v_fma_f32 v23, v23, v31, -v28
	v_fmac_f32_e32 v36, v24, v31
	v_add_f32_e32 v21, 0, v21
	v_add_f32_e32 v24, 0, v27
	s_waitcnt vmcnt(2)
	v_fma_f32 v22, v25, v32, -v22
	v_fmac_f32_e32 v37, v26, v32
	v_add_f32_e32 v21, v21, v23
	v_add_f32_e32 v23, v24, v36
	;; [unrolled: 1-line block ×4, first 2 shown]
	s_waitcnt vmcnt(1)
	v_sub_f32_e32 v21, v33, v21
	s_waitcnt vmcnt(0)
	v_sub_f32_e32 v22, v34, v22
	buffer_store_dword v21, off, s[0:3], 0 offset:40
	buffer_store_dword v22, off, s[0:3], 0 offset:44
	v_cmpx_lt_u32_e32 4, v0
	s_cbranch_execz .LBB72_59
; %bb.58:
	s_clause 0x1
	buffer_load_dword v21, off, s[0:3], 0 offset:32
	buffer_load_dword v22, off, s[0:3], 0 offset:36
	buffer_store_dword v20, off, s[0:3], 0 offset:32
	buffer_store_dword v20, off, s[0:3], 0 offset:36
	s_waitcnt vmcnt(0)
	ds_write_b64 v19, v[21:22]
.LBB72_59:
	s_or_b32 exec_lo, exec_lo, s4
	s_waitcnt lgkmcnt(0)
	s_waitcnt_vscnt null, 0x0
	s_barrier
	buffer_gl0_inv
	s_clause 0x9
	buffer_load_dword v29, off, s[0:3], 0 offset:44
	buffer_load_dword v30, off, s[0:3], 0 offset:52
	;; [unrolled: 1-line block ×10, first 2 shown]
	ds_read2_b64 v[21:24], v20 offset0:15 offset1:16
	ds_read2_b64 v[25:28], v20 offset0:17 offset1:18
	s_mov_b32 s4, exec_lo
	s_waitcnt vmcnt(9) lgkmcnt(1)
	v_mul_f32_e32 v20, v21, v29
	v_mul_f32_e32 v29, v22, v29
	s_waitcnt vmcnt(8)
	v_mul_f32_e32 v39, v23, v30
	v_mul_f32_e32 v30, v24, v30
	s_waitcnt vmcnt(7) lgkmcnt(0)
	v_mul_f32_e32 v40, v25, v31
	s_waitcnt vmcnt(5)
	v_fmac_f32_e32 v20, v22, v33
	v_fma_f32 v21, v21, v33, -v29
	v_mul_f32_e32 v22, v26, v31
	s_waitcnt vmcnt(4)
	v_fma_f32 v23, v23, v34, -v30
	v_fmac_f32_e32 v39, v24, v34
	v_add_f32_e32 v20, 0, v20
	v_add_f32_e32 v21, 0, v21
	v_mul_f32_e32 v24, v28, v32
	s_waitcnt vmcnt(3)
	v_fma_f32 v22, v25, v35, -v22
	v_mul_f32_e32 v41, v27, v32
	v_fmac_f32_e32 v40, v26, v35
	v_add_f32_e32 v21, v21, v23
	v_add_f32_e32 v20, v20, v39
	s_waitcnt vmcnt(2)
	v_fma_f32 v23, v27, v36, -v24
	v_fmac_f32_e32 v41, v28, v36
	v_add_f32_e32 v21, v21, v22
	v_add_f32_e32 v20, v20, v40
	;; [unrolled: 1-line block ×4, first 2 shown]
	s_waitcnt vmcnt(1)
	v_sub_f32_e32 v21, v37, v21
	s_waitcnt vmcnt(0)
	v_sub_f32_e32 v20, v38, v20
	buffer_store_dword v21, off, s[0:3], 0 offset:32
	buffer_store_dword v20, off, s[0:3], 0 offset:36
	v_cmpx_lt_u32_e32 3, v0
	s_cbranch_execz .LBB72_61
; %bb.60:
	s_clause 0x1
	buffer_load_dword v20, off, s[0:3], 0 offset:24
	buffer_load_dword v21, off, s[0:3], 0 offset:28
	v_mov_b32_e32 v22, 0
	buffer_store_dword v22, off, s[0:3], 0 offset:24
	buffer_store_dword v22, off, s[0:3], 0 offset:28
	s_waitcnt vmcnt(0)
	ds_write_b64 v19, v[20:21]
.LBB72_61:
	s_or_b32 exec_lo, exec_lo, s4
	s_waitcnt lgkmcnt(0)
	s_waitcnt_vscnt null, 0x0
	s_barrier
	buffer_gl0_inv
	s_clause 0xb
	buffer_load_dword v31, off, s[0:3], 0 offset:36
	buffer_load_dword v32, off, s[0:3], 0 offset:44
	;; [unrolled: 1-line block ×12, first 2 shown]
	v_mov_b32_e32 v20, 0
	ds_read_b128 v[21:24], v20 offset:112
	ds_read_b128 v[25:28], v20 offset:128
	ds_read_b64 v[29:30], v20 offset:144
	s_mov_b32 s4, exec_lo
	s_waitcnt vmcnt(11) lgkmcnt(2)
	v_mul_f32_e32 v43, v21, v31
	v_mul_f32_e32 v31, v22, v31
	s_waitcnt vmcnt(10)
	v_mul_f32_e32 v44, v23, v32
	v_mul_f32_e32 v32, v24, v32
	s_waitcnt vmcnt(9) lgkmcnt(1)
	v_mul_f32_e32 v45, v25, v33
	s_waitcnt vmcnt(6)
	v_fmac_f32_e32 v43, v22, v36
	v_fma_f32 v21, v21, v36, -v31
	v_mul_f32_e32 v22, v26, v33
	s_waitcnt vmcnt(5)
	v_fma_f32 v23, v23, v37, -v32
	v_fmac_f32_e32 v44, v24, v37
	v_add_f32_e32 v24, 0, v43
	v_add_f32_e32 v21, 0, v21
	v_mul_f32_e32 v31, v28, v34
	s_waitcnt vmcnt(4)
	v_fma_f32 v22, v25, v38, -v22
	v_mul_f32_e32 v46, v27, v34
	v_fmac_f32_e32 v45, v26, v38
	v_add_f32_e32 v21, v21, v23
	v_add_f32_e32 v23, v24, v44
	s_waitcnt lgkmcnt(0)
	v_mul_f32_e32 v24, v30, v35
	s_waitcnt vmcnt(3)
	v_fma_f32 v25, v27, v39, -v31
	v_mul_f32_e32 v47, v29, v35
	v_add_f32_e32 v21, v21, v22
	v_fmac_f32_e32 v46, v28, v39
	v_add_f32_e32 v22, v23, v45
	s_waitcnt vmcnt(2)
	v_fma_f32 v23, v29, v40, -v24
	v_fmac_f32_e32 v47, v30, v40
	v_add_f32_e32 v21, v21, v25
	v_add_f32_e32 v22, v22, v46
	;; [unrolled: 1-line block ×4, first 2 shown]
	s_waitcnt vmcnt(1)
	v_sub_f32_e32 v21, v41, v21
	s_waitcnt vmcnt(0)
	v_sub_f32_e32 v22, v42, v22
	buffer_store_dword v21, off, s[0:3], 0 offset:24
	buffer_store_dword v22, off, s[0:3], 0 offset:28
	v_cmpx_lt_u32_e32 2, v0
	s_cbranch_execz .LBB72_63
; %bb.62:
	s_clause 0x1
	buffer_load_dword v21, off, s[0:3], 0 offset:16
	buffer_load_dword v22, off, s[0:3], 0 offset:20
	buffer_store_dword v20, off, s[0:3], 0 offset:16
	buffer_store_dword v20, off, s[0:3], 0 offset:20
	s_waitcnt vmcnt(0)
	ds_write_b64 v19, v[21:22]
.LBB72_63:
	s_or_b32 exec_lo, exec_lo, s4
	s_waitcnt lgkmcnt(0)
	s_waitcnt_vscnt null, 0x0
	s_barrier
	buffer_gl0_inv
	s_clause 0xd
	buffer_load_dword v33, off, s[0:3], 0 offset:28
	buffer_load_dword v34, off, s[0:3], 0 offset:36
	;; [unrolled: 1-line block ×14, first 2 shown]
	ds_read2_b64 v[21:24], v20 offset0:13 offset1:14
	ds_read2_b64 v[25:28], v20 offset0:15 offset1:16
	ds_read2_b64 v[29:32], v20 offset0:17 offset1:18
	s_mov_b32 s4, exec_lo
	s_waitcnt vmcnt(13) lgkmcnt(2)
	v_mul_f32_e32 v20, v21, v33
	v_mul_f32_e32 v33, v22, v33
	s_waitcnt vmcnt(12)
	v_mul_f32_e32 v47, v23, v34
	v_mul_f32_e32 v34, v24, v34
	s_waitcnt vmcnt(11) lgkmcnt(1)
	v_mul_f32_e32 v48, v25, v35
	s_waitcnt vmcnt(10)
	v_mul_f32_e32 v49, v27, v36
	s_waitcnt vmcnt(7)
	v_fma_f32 v21, v21, v39, -v33
	v_fmac_f32_e32 v20, v22, v39
	v_mul_f32_e32 v22, v26, v35
	s_waitcnt vmcnt(6)
	v_fma_f32 v23, v23, v40, -v34
	v_fmac_f32_e32 v47, v24, v40
	v_add_f32_e32 v21, 0, v21
	v_add_f32_e32 v20, 0, v20
	v_mul_f32_e32 v24, v28, v36
	s_waitcnt vmcnt(5)
	v_fma_f32 v22, v25, v41, -v22
	v_fmac_f32_e32 v48, v26, v41
	v_add_f32_e32 v21, v21, v23
	v_add_f32_e32 v20, v20, v47
	s_waitcnt lgkmcnt(0)
	v_mul_f32_e32 v23, v30, v37
	s_waitcnt vmcnt(4)
	v_fma_f32 v24, v27, v42, -v24
	v_mul_f32_e32 v50, v29, v37
	v_add_f32_e32 v21, v21, v22
	v_fmac_f32_e32 v49, v28, v42
	v_add_f32_e32 v20, v20, v48
	v_mul_f32_e32 v22, v32, v38
	s_waitcnt vmcnt(3)
	v_fma_f32 v23, v29, v43, -v23
	v_add_f32_e32 v21, v21, v24
	v_mul_f32_e32 v51, v31, v38
	v_fmac_f32_e32 v50, v30, v43
	v_add_f32_e32 v20, v20, v49
	s_waitcnt vmcnt(2)
	v_fma_f32 v22, v31, v44, -v22
	v_add_f32_e32 v21, v21, v23
	v_fmac_f32_e32 v51, v32, v44
	v_add_f32_e32 v20, v20, v50
	v_add_f32_e32 v21, v21, v22
	;; [unrolled: 1-line block ×3, first 2 shown]
	s_waitcnt vmcnt(1)
	v_sub_f32_e32 v21, v45, v21
	s_waitcnt vmcnt(0)
	v_sub_f32_e32 v20, v46, v20
	buffer_store_dword v21, off, s[0:3], 0 offset:16
	buffer_store_dword v20, off, s[0:3], 0 offset:20
	v_cmpx_lt_u32_e32 1, v0
	s_cbranch_execz .LBB72_65
; %bb.64:
	s_clause 0x1
	buffer_load_dword v20, off, s[0:3], 0 offset:8
	buffer_load_dword v21, off, s[0:3], 0 offset:12
	v_mov_b32_e32 v22, 0
	buffer_store_dword v22, off, s[0:3], 0 offset:8
	buffer_store_dword v22, off, s[0:3], 0 offset:12
	s_waitcnt vmcnt(0)
	ds_write_b64 v19, v[20:21]
.LBB72_65:
	s_or_b32 exec_lo, exec_lo, s4
	s_waitcnt lgkmcnt(0)
	s_waitcnt_vscnt null, 0x0
	s_barrier
	buffer_gl0_inv
	s_clause 0xf
	buffer_load_dword v35, off, s[0:3], 0 offset:20
	buffer_load_dword v36, off, s[0:3], 0 offset:28
	;; [unrolled: 1-line block ×16, first 2 shown]
	v_mov_b32_e32 v20, 0
	ds_read_b128 v[21:24], v20 offset:96
	ds_read_b128 v[25:28], v20 offset:112
	;; [unrolled: 1-line block ×3, first 2 shown]
	ds_read_b64 v[33:34], v20 offset:144
	s_mov_b32 s4, exec_lo
	s_waitcnt vmcnt(15) lgkmcnt(3)
	v_mul_f32_e32 v51, v21, v35
	v_mul_f32_e32 v35, v22, v35
	s_waitcnt vmcnt(14)
	v_mul_f32_e32 v52, v23, v36
	v_mul_f32_e32 v36, v24, v36
	s_waitcnt vmcnt(13) lgkmcnt(2)
	v_mul_f32_e32 v53, v25, v37
	s_waitcnt vmcnt(12)
	v_mul_f32_e32 v54, v27, v38
	s_waitcnt vmcnt(11) lgkmcnt(1)
	v_mul_f32_e32 v55, v29, v39
	s_waitcnt vmcnt(8)
	v_fma_f32 v21, v21, v42, -v35
	v_fmac_f32_e32 v51, v22, v42
	v_mul_f32_e32 v22, v26, v37
	s_waitcnt vmcnt(7)
	v_fma_f32 v23, v23, v43, -v36
	v_fmac_f32_e32 v52, v24, v43
	v_add_f32_e32 v21, 0, v21
	v_add_f32_e32 v24, 0, v51
	v_mul_f32_e32 v35, v28, v38
	s_waitcnt vmcnt(6)
	v_fma_f32 v22, v25, v44, -v22
	v_fmac_f32_e32 v53, v26, v44
	v_add_f32_e32 v21, v21, v23
	v_add_f32_e32 v23, v24, v52
	;; [unrolled: 6-line block ×3, first 2 shown]
	v_mul_f32_e32 v23, v32, v40
	s_waitcnt vmcnt(4)
	v_fma_f32 v24, v29, v46, -v24
	v_mul_f32_e32 v56, v31, v40
	v_add_f32_e32 v21, v21, v25
	v_fmac_f32_e32 v55, v30, v46
	v_add_f32_e32 v22, v22, v54
	s_waitcnt lgkmcnt(0)
	v_mul_f32_e32 v25, v34, v41
	s_waitcnt vmcnt(3)
	v_fma_f32 v23, v31, v47, -v23
	v_add_f32_e32 v21, v21, v24
	v_mul_f32_e32 v57, v33, v41
	v_fmac_f32_e32 v56, v32, v47
	v_add_f32_e32 v22, v22, v55
	s_waitcnt vmcnt(2)
	v_fma_f32 v24, v33, v48, -v25
	v_add_f32_e32 v21, v21, v23
	v_fmac_f32_e32 v57, v34, v48
	v_add_f32_e32 v22, v22, v56
	v_add_f32_e32 v21, v21, v24
	;; [unrolled: 1-line block ×3, first 2 shown]
	s_waitcnt vmcnt(1)
	v_sub_f32_e32 v21, v49, v21
	s_waitcnt vmcnt(0)
	v_sub_f32_e32 v22, v50, v22
	buffer_store_dword v21, off, s[0:3], 0 offset:8
	buffer_store_dword v22, off, s[0:3], 0 offset:12
	v_cmpx_ne_u32_e32 0, v0
	s_cbranch_execz .LBB72_67
; %bb.66:
	s_clause 0x1
	buffer_load_dword v21, off, s[0:3], 0
	buffer_load_dword v22, off, s[0:3], 0 offset:4
	buffer_store_dword v20, off, s[0:3], 0
	buffer_store_dword v20, off, s[0:3], 0 offset:4
	s_waitcnt vmcnt(0)
	ds_write_b64 v19, v[21:22]
.LBB72_67:
	s_or_b32 exec_lo, exec_lo, s4
	s_waitcnt lgkmcnt(0)
	s_waitcnt_vscnt null, 0x0
	s_barrier
	buffer_gl0_inv
	s_clause 0x11
	buffer_load_dword v37, off, s[0:3], 0 offset:12
	buffer_load_dword v38, off, s[0:3], 0 offset:20
	buffer_load_dword v39, off, s[0:3], 0 offset:28
	buffer_load_dword v40, off, s[0:3], 0 offset:36
	buffer_load_dword v41, off, s[0:3], 0 offset:44
	buffer_load_dword v42, off, s[0:3], 0 offset:52
	buffer_load_dword v0, off, s[0:3], 0 offset:60
	buffer_load_dword v43, off, s[0:3], 0 offset:68
	buffer_load_dword v44, off, s[0:3], 0 offset:8
	buffer_load_dword v45, off, s[0:3], 0 offset:16
	buffer_load_dword v46, off, s[0:3], 0 offset:24
	buffer_load_dword v47, off, s[0:3], 0 offset:32
	buffer_load_dword v48, off, s[0:3], 0 offset:40
	buffer_load_dword v49, off, s[0:3], 0 offset:48
	buffer_load_dword v19, off, s[0:3], 0 offset:56
	buffer_load_dword v50, off, s[0:3], 0 offset:64
	buffer_load_dword v51, off, s[0:3], 0
	buffer_load_dword v52, off, s[0:3], 0 offset:4
	ds_read2_b64 v[21:24], v20 offset0:11 offset1:12
	ds_read2_b64 v[25:28], v20 offset0:13 offset1:14
	;; [unrolled: 1-line block ×4, first 2 shown]
	s_and_b32 vcc_lo, exec_lo, s16
	s_waitcnt vmcnt(17) lgkmcnt(3)
	v_mul_f32_e32 v20, v21, v37
	v_mul_f32_e32 v37, v22, v37
	s_waitcnt vmcnt(16)
	v_mul_f32_e32 v53, v23, v38
	v_mul_f32_e32 v38, v24, v38
	s_waitcnt vmcnt(15) lgkmcnt(2)
	v_mul_f32_e32 v54, v25, v39
	s_waitcnt vmcnt(14)
	v_mul_f32_e32 v55, v27, v40
	s_waitcnt vmcnt(13) lgkmcnt(1)
	v_mul_f32_e32 v56, v29, v41
	s_waitcnt vmcnt(12)
	v_mul_f32_e32 v57, v31, v42
	s_waitcnt vmcnt(9)
	v_fma_f32 v21, v21, v44, -v37
	v_fmac_f32_e32 v20, v22, v44
	v_mul_f32_e32 v22, v26, v39
	s_waitcnt vmcnt(8)
	v_fma_f32 v23, v23, v45, -v38
	v_fmac_f32_e32 v53, v24, v45
	v_add_f32_e32 v21, 0, v21
	v_add_f32_e32 v20, 0, v20
	v_mul_f32_e32 v24, v28, v40
	s_waitcnt vmcnt(7)
	v_fma_f32 v22, v25, v46, -v22
	v_fmac_f32_e32 v54, v26, v46
	v_add_f32_e32 v21, v21, v23
	v_add_f32_e32 v20, v20, v53
	v_mul_f32_e32 v23, v30, v41
	s_waitcnt vmcnt(6)
	v_fma_f32 v24, v27, v47, -v24
	v_fmac_f32_e32 v55, v28, v47
	v_add_f32_e32 v21, v21, v22
	v_add_f32_e32 v20, v20, v54
	v_mul_f32_e32 v22, v32, v42
	s_waitcnt vmcnt(5)
	v_fma_f32 v23, v29, v48, -v23
	v_fmac_f32_e32 v56, v30, v48
	v_add_f32_e32 v21, v21, v24
	v_add_f32_e32 v20, v20, v55
	s_waitcnt lgkmcnt(0)
	v_mul_f32_e32 v24, v34, v0
	s_waitcnt vmcnt(4)
	v_fma_f32 v22, v31, v49, -v22
	v_mul_f32_e32 v58, v33, v0
	v_add_f32_e32 v21, v21, v23
	v_fmac_f32_e32 v57, v32, v49
	v_add_f32_e32 v20, v20, v56
	v_mul_f32_e32 v23, v36, v43
	s_waitcnt vmcnt(3)
	v_fma_f32 v24, v33, v19, -v24
	v_add_f32_e32 v21, v21, v22
	v_mul_f32_e32 v59, v35, v43
	v_fmac_f32_e32 v58, v34, v19
	v_add_f32_e32 v20, v20, v57
	s_waitcnt vmcnt(2)
	v_fma_f32 v22, v35, v50, -v23
	v_add_f32_e32 v21, v21, v24
	v_fmac_f32_e32 v59, v36, v50
	v_add_f32_e32 v20, v20, v58
	v_add_f32_e32 v21, v21, v22
	;; [unrolled: 1-line block ×3, first 2 shown]
	s_waitcnt vmcnt(1)
	v_sub_f32_e32 v21, v51, v21
	s_waitcnt vmcnt(0)
	v_sub_f32_e32 v20, v52, v20
	buffer_store_dword v21, off, s[0:3], 0
	buffer_store_dword v20, off, s[0:3], 0 offset:4
	s_cbranch_vccz .LBB72_84
; %bb.68:
	v_mov_b32_e32 v20, 0
	global_load_dword v21, v20, s[12:13] offset:28
	s_waitcnt vmcnt(0)
	v_add_nc_u32_e32 v21, -1, v21
	v_cmp_ne_u32_e32 vcc_lo, 7, v21
	s_cbranch_vccz .LBB72_70
; %bb.69:
	v_lshlrev_b32_e32 v21, 3, v21
	s_clause 0x1
	buffer_load_dword v22, v21, s[0:3], 0 offen
	buffer_load_dword v23, v21, s[0:3], 0 offen offset:4
	s_waitcnt vmcnt(1)
	buffer_store_dword v22, off, s[0:3], 0 offset:56
	s_waitcnt vmcnt(0)
	buffer_store_dword v23, off, s[0:3], 0 offset:60
	buffer_store_dword v19, v21, s[0:3], 0 offen
	buffer_store_dword v0, v21, s[0:3], 0 offen offset:4
.LBB72_70:
	global_load_dword v0, v20, s[12:13] offset:24
	s_waitcnt vmcnt(0)
	v_add_nc_u32_e32 v0, -1, v0
	v_cmp_eq_u32_e32 vcc_lo, 6, v0
	s_cbranch_vccnz .LBB72_72
; %bb.71:
	v_lshlrev_b32_e32 v0, 3, v0
	s_clause 0x3
	buffer_load_dword v19, v0, s[0:3], 0 offen
	buffer_load_dword v20, v0, s[0:3], 0 offen offset:4
	buffer_load_dword v21, off, s[0:3], 0 offset:52
	buffer_load_dword v22, off, s[0:3], 0 offset:48
	s_waitcnt vmcnt(3)
	buffer_store_dword v19, off, s[0:3], 0 offset:48
	s_waitcnt vmcnt(2)
	buffer_store_dword v20, off, s[0:3], 0 offset:52
	s_waitcnt vmcnt(1)
	buffer_store_dword v21, v0, s[0:3], 0 offen offset:4
	s_waitcnt vmcnt(0)
	buffer_store_dword v22, v0, s[0:3], 0 offen
.LBB72_72:
	v_mov_b32_e32 v0, 0
	global_load_dword v19, v0, s[12:13] offset:20
	s_waitcnt vmcnt(0)
	v_add_nc_u32_e32 v19, -1, v19
	v_cmp_eq_u32_e32 vcc_lo, 5, v19
	s_cbranch_vccnz .LBB72_74
; %bb.73:
	v_lshlrev_b32_e32 v19, 3, v19
	s_clause 0x3
	buffer_load_dword v20, v19, s[0:3], 0 offen
	buffer_load_dword v21, v19, s[0:3], 0 offen offset:4
	buffer_load_dword v22, off, s[0:3], 0 offset:40
	buffer_load_dword v23, off, s[0:3], 0 offset:44
	s_waitcnt vmcnt(3)
	buffer_store_dword v20, off, s[0:3], 0 offset:40
	s_waitcnt vmcnt(2)
	buffer_store_dword v21, off, s[0:3], 0 offset:44
	s_waitcnt vmcnt(1)
	buffer_store_dword v22, v19, s[0:3], 0 offen
	s_waitcnt vmcnt(0)
	buffer_store_dword v23, v19, s[0:3], 0 offen offset:4
.LBB72_74:
	global_load_dword v0, v0, s[12:13] offset:16
	s_waitcnt vmcnt(0)
	v_add_nc_u32_e32 v0, -1, v0
	v_cmp_eq_u32_e32 vcc_lo, 4, v0
	s_cbranch_vccnz .LBB72_76
; %bb.75:
	v_lshlrev_b32_e32 v0, 3, v0
	s_clause 0x3
	buffer_load_dword v19, v0, s[0:3], 0 offen
	buffer_load_dword v20, v0, s[0:3], 0 offen offset:4
	buffer_load_dword v21, off, s[0:3], 0 offset:36
	buffer_load_dword v22, off, s[0:3], 0 offset:32
	s_waitcnt vmcnt(3)
	buffer_store_dword v19, off, s[0:3], 0 offset:32
	s_waitcnt vmcnt(2)
	buffer_store_dword v20, off, s[0:3], 0 offset:36
	s_waitcnt vmcnt(1)
	buffer_store_dword v21, v0, s[0:3], 0 offen offset:4
	s_waitcnt vmcnt(0)
	buffer_store_dword v22, v0, s[0:3], 0 offen
.LBB72_76:
	v_mov_b32_e32 v0, 0
	global_load_dword v19, v0, s[12:13] offset:12
	s_waitcnt vmcnt(0)
	v_add_nc_u32_e32 v19, -1, v19
	v_cmp_eq_u32_e32 vcc_lo, 3, v19
	s_cbranch_vccnz .LBB72_78
; %bb.77:
	v_lshlrev_b32_e32 v19, 3, v19
	s_clause 0x3
	buffer_load_dword v20, v19, s[0:3], 0 offen
	buffer_load_dword v21, v19, s[0:3], 0 offen offset:4
	buffer_load_dword v22, off, s[0:3], 0 offset:24
	buffer_load_dword v23, off, s[0:3], 0 offset:28
	s_waitcnt vmcnt(3)
	buffer_store_dword v20, off, s[0:3], 0 offset:24
	s_waitcnt vmcnt(2)
	buffer_store_dword v21, off, s[0:3], 0 offset:28
	s_waitcnt vmcnt(1)
	buffer_store_dword v22, v19, s[0:3], 0 offen
	s_waitcnt vmcnt(0)
	buffer_store_dword v23, v19, s[0:3], 0 offen offset:4
.LBB72_78:
	;; [unrolled: 43-line block ×3, first 2 shown]
	global_load_dword v0, v0, s[12:13]
	s_waitcnt vmcnt(0)
	v_add_nc_u32_e32 v0, -1, v0
	v_cmp_eq_u32_e32 vcc_lo, 0, v0
	s_cbranch_vccnz .LBB72_84
; %bb.83:
	v_lshlrev_b32_e32 v0, 3, v0
	s_clause 0x3
	buffer_load_dword v19, v0, s[0:3], 0 offen
	buffer_load_dword v20, v0, s[0:3], 0 offen offset:4
	buffer_load_dword v21, off, s[0:3], 0 offset:4
	buffer_load_dword v22, off, s[0:3], 0
	s_waitcnt vmcnt(3)
	buffer_store_dword v19, off, s[0:3], 0
	s_waitcnt vmcnt(2)
	buffer_store_dword v20, off, s[0:3], 0 offset:4
	s_waitcnt vmcnt(1)
	buffer_store_dword v21, v0, s[0:3], 0 offen offset:4
	s_waitcnt vmcnt(0)
	buffer_store_dword v22, v0, s[0:3], 0 offen
.LBB72_84:
	s_clause 0x1
	buffer_load_dword v19, off, s[0:3], 0
	buffer_load_dword v20, off, s[0:3], 0 offset:4
	s_waitcnt vmcnt(0)
	flat_store_dwordx2 v[1:2], v[19:20]
	s_clause 0x1
	buffer_load_dword v0, off, s[0:3], 0 offset:8
	buffer_load_dword v1, off, s[0:3], 0 offset:12
	s_waitcnt vmcnt(0)
	flat_store_dwordx2 v[3:4], v[0:1]
	s_clause 0x1
	buffer_load_dword v0, off, s[0:3], 0 offset:16
	;; [unrolled: 5-line block ×8, first 2 shown]
	buffer_load_dword v1, off, s[0:3], 0 offset:68
	s_waitcnt vmcnt(0)
	flat_store_dwordx2 v[17:18], v[0:1]
	s_endpgm
	.section	.rodata,"a",@progbits
	.p2align	6, 0x0
	.amdhsa_kernel _ZN9rocsolver6v33100L18getri_kernel_smallILi9E19rocblas_complex_numIfEPKPS3_EEvT1_iilPiilS8_bb
		.amdhsa_group_segment_fixed_size 152
		.amdhsa_private_segment_fixed_size 80
		.amdhsa_kernarg_size 60
		.amdhsa_user_sgpr_count 6
		.amdhsa_user_sgpr_private_segment_buffer 1
		.amdhsa_user_sgpr_dispatch_ptr 0
		.amdhsa_user_sgpr_queue_ptr 0
		.amdhsa_user_sgpr_kernarg_segment_ptr 1
		.amdhsa_user_sgpr_dispatch_id 0
		.amdhsa_user_sgpr_flat_scratch_init 0
		.amdhsa_user_sgpr_private_segment_size 0
		.amdhsa_wavefront_size32 1
		.amdhsa_uses_dynamic_stack 0
		.amdhsa_system_sgpr_private_segment_wavefront_offset 1
		.amdhsa_system_sgpr_workgroup_id_x 1
		.amdhsa_system_sgpr_workgroup_id_y 0
		.amdhsa_system_sgpr_workgroup_id_z 0
		.amdhsa_system_sgpr_workgroup_info 0
		.amdhsa_system_vgpr_workitem_id 0
		.amdhsa_next_free_vgpr 60
		.amdhsa_next_free_sgpr 20
		.amdhsa_reserve_vcc 1
		.amdhsa_reserve_flat_scratch 0
		.amdhsa_float_round_mode_32 0
		.amdhsa_float_round_mode_16_64 0
		.amdhsa_float_denorm_mode_32 3
		.amdhsa_float_denorm_mode_16_64 3
		.amdhsa_dx10_clamp 1
		.amdhsa_ieee_mode 1
		.amdhsa_fp16_overflow 0
		.amdhsa_workgroup_processor_mode 1
		.amdhsa_memory_ordered 1
		.amdhsa_forward_progress 1
		.amdhsa_shared_vgpr_count 0
		.amdhsa_exception_fp_ieee_invalid_op 0
		.amdhsa_exception_fp_denorm_src 0
		.amdhsa_exception_fp_ieee_div_zero 0
		.amdhsa_exception_fp_ieee_overflow 0
		.amdhsa_exception_fp_ieee_underflow 0
		.amdhsa_exception_fp_ieee_inexact 0
		.amdhsa_exception_int_div_zero 0
	.end_amdhsa_kernel
	.section	.text._ZN9rocsolver6v33100L18getri_kernel_smallILi9E19rocblas_complex_numIfEPKPS3_EEvT1_iilPiilS8_bb,"axG",@progbits,_ZN9rocsolver6v33100L18getri_kernel_smallILi9E19rocblas_complex_numIfEPKPS3_EEvT1_iilPiilS8_bb,comdat
.Lfunc_end72:
	.size	_ZN9rocsolver6v33100L18getri_kernel_smallILi9E19rocblas_complex_numIfEPKPS3_EEvT1_iilPiilS8_bb, .Lfunc_end72-_ZN9rocsolver6v33100L18getri_kernel_smallILi9E19rocblas_complex_numIfEPKPS3_EEvT1_iilPiilS8_bb
                                        ; -- End function
	.set _ZN9rocsolver6v33100L18getri_kernel_smallILi9E19rocblas_complex_numIfEPKPS3_EEvT1_iilPiilS8_bb.num_vgpr, 60
	.set _ZN9rocsolver6v33100L18getri_kernel_smallILi9E19rocblas_complex_numIfEPKPS3_EEvT1_iilPiilS8_bb.num_agpr, 0
	.set _ZN9rocsolver6v33100L18getri_kernel_smallILi9E19rocblas_complex_numIfEPKPS3_EEvT1_iilPiilS8_bb.numbered_sgpr, 20
	.set _ZN9rocsolver6v33100L18getri_kernel_smallILi9E19rocblas_complex_numIfEPKPS3_EEvT1_iilPiilS8_bb.num_named_barrier, 0
	.set _ZN9rocsolver6v33100L18getri_kernel_smallILi9E19rocblas_complex_numIfEPKPS3_EEvT1_iilPiilS8_bb.private_seg_size, 80
	.set _ZN9rocsolver6v33100L18getri_kernel_smallILi9E19rocblas_complex_numIfEPKPS3_EEvT1_iilPiilS8_bb.uses_vcc, 1
	.set _ZN9rocsolver6v33100L18getri_kernel_smallILi9E19rocblas_complex_numIfEPKPS3_EEvT1_iilPiilS8_bb.uses_flat_scratch, 0
	.set _ZN9rocsolver6v33100L18getri_kernel_smallILi9E19rocblas_complex_numIfEPKPS3_EEvT1_iilPiilS8_bb.has_dyn_sized_stack, 0
	.set _ZN9rocsolver6v33100L18getri_kernel_smallILi9E19rocblas_complex_numIfEPKPS3_EEvT1_iilPiilS8_bb.has_recursion, 0
	.set _ZN9rocsolver6v33100L18getri_kernel_smallILi9E19rocblas_complex_numIfEPKPS3_EEvT1_iilPiilS8_bb.has_indirect_call, 0
	.section	.AMDGPU.csdata,"",@progbits
; Kernel info:
; codeLenInByte = 7880
; TotalNumSgprs: 22
; NumVgprs: 60
; ScratchSize: 80
; MemoryBound: 0
; FloatMode: 240
; IeeeMode: 1
; LDSByteSize: 152 bytes/workgroup (compile time only)
; SGPRBlocks: 0
; VGPRBlocks: 7
; NumSGPRsForWavesPerEU: 22
; NumVGPRsForWavesPerEU: 60
; Occupancy: 16
; WaveLimiterHint : 1
; COMPUTE_PGM_RSRC2:SCRATCH_EN: 1
; COMPUTE_PGM_RSRC2:USER_SGPR: 6
; COMPUTE_PGM_RSRC2:TRAP_HANDLER: 0
; COMPUTE_PGM_RSRC2:TGID_X_EN: 1
; COMPUTE_PGM_RSRC2:TGID_Y_EN: 0
; COMPUTE_PGM_RSRC2:TGID_Z_EN: 0
; COMPUTE_PGM_RSRC2:TIDIG_COMP_CNT: 0
	.section	.text._ZN9rocsolver6v33100L18getri_kernel_smallILi10E19rocblas_complex_numIfEPKPS3_EEvT1_iilPiilS8_bb,"axG",@progbits,_ZN9rocsolver6v33100L18getri_kernel_smallILi10E19rocblas_complex_numIfEPKPS3_EEvT1_iilPiilS8_bb,comdat
	.globl	_ZN9rocsolver6v33100L18getri_kernel_smallILi10E19rocblas_complex_numIfEPKPS3_EEvT1_iilPiilS8_bb ; -- Begin function _ZN9rocsolver6v33100L18getri_kernel_smallILi10E19rocblas_complex_numIfEPKPS3_EEvT1_iilPiilS8_bb
	.p2align	8
	.type	_ZN9rocsolver6v33100L18getri_kernel_smallILi10E19rocblas_complex_numIfEPKPS3_EEvT1_iilPiilS8_bb,@function
_ZN9rocsolver6v33100L18getri_kernel_smallILi10E19rocblas_complex_numIfEPKPS3_EEvT1_iilPiilS8_bb: ; @_ZN9rocsolver6v33100L18getri_kernel_smallILi10E19rocblas_complex_numIfEPKPS3_EEvT1_iilPiilS8_bb
; %bb.0:
	s_add_u32 s0, s0, s7
	s_addc_u32 s1, s1, 0
	s_mov_b32 s7, exec_lo
	v_cmpx_gt_u32_e32 10, v0
	s_cbranch_execz .LBB73_54
; %bb.1:
	s_clause 0x2
	s_load_dword s17, s[4:5], 0x38
	s_load_dwordx2 s[12:13], s[4:5], 0x0
	s_load_dwordx4 s[8:11], s[4:5], 0x28
	s_waitcnt lgkmcnt(0)
	s_bitcmp1_b32 s17, 8
	s_cselect_b32 s16, -1, 0
	s_ashr_i32 s7, s6, 31
	s_lshl_b64 s[14:15], s[6:7], 3
	s_add_u32 s12, s12, s14
	s_addc_u32 s13, s13, s15
	s_load_dwordx2 s[14:15], s[12:13], 0x0
	s_bfe_u32 s12, s17, 0x10008
	s_cmp_eq_u32 s12, 0
                                        ; implicit-def: $sgpr12_sgpr13
	s_cbranch_scc1 .LBB73_3
; %bb.2:
	s_clause 0x1
	s_load_dword s12, s[4:5], 0x20
	s_load_dwordx2 s[18:19], s[4:5], 0x18
	s_mul_i32 s13, s8, s7
	s_mul_hi_u32 s17, s8, s6
	s_mul_i32 s9, s9, s6
	s_add_i32 s13, s17, s13
	s_mul_i32 s8, s8, s6
	s_add_i32 s9, s13, s9
	s_lshl_b64 s[8:9], s[8:9], 2
	s_waitcnt lgkmcnt(0)
	s_ashr_i32 s13, s12, 31
	s_add_u32 s17, s18, s8
	s_addc_u32 s18, s19, s9
	s_lshl_b64 s[8:9], s[12:13], 2
	s_add_u32 s12, s17, s8
	s_addc_u32 s13, s18, s9
.LBB73_3:
	s_clause 0x1
	s_load_dwordx2 s[8:9], s[4:5], 0x8
	s_load_dword s17, s[4:5], 0x38
	v_lshlrev_b32_e32 v23, 3, v0
	s_waitcnt lgkmcnt(0)
	s_ashr_i32 s5, s8, 31
	s_mov_b32 s4, s8
	v_add3_u32 v9, s9, s9, v0
	s_lshl_b64 s[4:5], s[4:5], 3
	s_add_u32 s8, s14, s4
	s_addc_u32 s14, s15, s5
	v_add_co_u32 v1, s4, s8, v23
	v_add_co_ci_u32_e64 v2, null, s14, 0, s4
	s_mov_b32 s4, s9
	s_ashr_i32 s5, s9, 31
	v_ashrrev_i32_e32 v10, 31, v9
	flat_load_dwordx2 v[5:6], v[1:2]
	s_lshl_b64 s[4:5], s[4:5], 3
	v_add_nc_u32_e32 v12, s9, v9
	v_add_co_u32 v3, vcc_lo, v1, s4
	v_add_co_ci_u32_e64 v4, null, s5, v2, vcc_lo
	v_ashrrev_i32_e32 v13, 31, v12
	s_mov_b32 s5, -1
	s_bitcmp0_b32 s17, 0
	s_waitcnt vmcnt(0) lgkmcnt(0)
	buffer_store_dword v6, off, s[0:3], 0 offset:4
	buffer_store_dword v5, off, s[0:3], 0
	flat_load_dwordx2 v[7:8], v[3:4]
	v_lshlrev_b64 v[5:6], 3, v[9:10]
	s_waitcnt vmcnt(0) lgkmcnt(0)
	buffer_store_dword v8, off, s[0:3], 0 offset:12
	buffer_store_dword v7, off, s[0:3], 0 offset:8
	v_add_co_u32 v5, vcc_lo, s8, v5
	v_add_co_ci_u32_e64 v6, null, s14, v6, vcc_lo
	v_lshlrev_b64 v[7:8], 3, v[12:13]
	flat_load_dwordx2 v[10:11], v[5:6]
	s_waitcnt vmcnt(0) lgkmcnt(0)
	buffer_store_dword v11, off, s[0:3], 0 offset:20
	buffer_store_dword v10, off, s[0:3], 0 offset:16
	v_add_co_u32 v7, vcc_lo, s8, v7
	v_add_co_ci_u32_e64 v8, null, s14, v8, vcc_lo
	v_add_nc_u32_e32 v11, s9, v12
	flat_load_dwordx2 v[13:14], v[7:8]
	s_waitcnt vmcnt(0) lgkmcnt(0)
	buffer_store_dword v14, off, s[0:3], 0 offset:28
	buffer_store_dword v13, off, s[0:3], 0 offset:24
	v_ashrrev_i32_e32 v12, 31, v11
	v_add_nc_u32_e32 v15, s9, v11
	v_lshlrev_b64 v[9:10], 3, v[11:12]
	v_ashrrev_i32_e32 v16, 31, v15
	v_add_nc_u32_e32 v18, s9, v15
	v_add_co_u32 v9, vcc_lo, s8, v9
	v_add_co_ci_u32_e64 v10, null, s14, v10, vcc_lo
	v_lshlrev_b64 v[11:12], 3, v[15:16]
	v_ashrrev_i32_e32 v19, 31, v18
	flat_load_dwordx2 v[13:14], v[9:10]
	s_waitcnt vmcnt(0) lgkmcnt(0)
	buffer_store_dword v14, off, s[0:3], 0 offset:36
	buffer_store_dword v13, off, s[0:3], 0 offset:32
	v_add_co_u32 v11, vcc_lo, s8, v11
	v_add_co_ci_u32_e64 v12, null, s14, v12, vcc_lo
	v_lshlrev_b64 v[13:14], 3, v[18:19]
	flat_load_dwordx2 v[16:17], v[11:12]
	s_waitcnt vmcnt(0) lgkmcnt(0)
	buffer_store_dword v17, off, s[0:3], 0 offset:44
	buffer_store_dword v16, off, s[0:3], 0 offset:40
	v_add_co_u32 v13, vcc_lo, s8, v13
	v_add_co_ci_u32_e64 v14, null, s14, v14, vcc_lo
	v_add_nc_u32_e32 v17, s9, v18
	flat_load_dwordx2 v[19:20], v[13:14]
	s_waitcnt vmcnt(0) lgkmcnt(0)
	buffer_store_dword v20, off, s[0:3], 0 offset:52
	buffer_store_dword v19, off, s[0:3], 0 offset:48
	v_ashrrev_i32_e32 v18, 31, v17
	v_add_nc_u32_e32 v21, s9, v17
	v_lshlrev_b64 v[15:16], 3, v[17:18]
	v_ashrrev_i32_e32 v22, 31, v21
	v_add_co_u32 v15, vcc_lo, s8, v15
	v_add_co_ci_u32_e64 v16, null, s14, v16, vcc_lo
	v_lshlrev_b64 v[17:18], 3, v[21:22]
	flat_load_dwordx2 v[19:20], v[15:16]
	s_waitcnt vmcnt(0) lgkmcnt(0)
	buffer_store_dword v20, off, s[0:3], 0 offset:60
	buffer_store_dword v19, off, s[0:3], 0 offset:56
	v_add_co_u32 v17, vcc_lo, s8, v17
	v_add_co_ci_u32_e64 v18, null, s14, v18, vcc_lo
	v_add_nc_u32_e32 v19, s9, v21
	flat_load_dwordx2 v[24:25], v[17:18]
	s_waitcnt vmcnt(0) lgkmcnt(0)
	buffer_store_dword v25, off, s[0:3], 0 offset:68
	buffer_store_dword v24, off, s[0:3], 0 offset:64
	v_ashrrev_i32_e32 v20, 31, v19
	v_lshlrev_b64 v[19:20], 3, v[19:20]
	v_add_co_u32 v19, vcc_lo, s8, v19
	v_add_co_ci_u32_e64 v20, null, s14, v20, vcc_lo
	flat_load_dwordx2 v[21:22], v[19:20]
	s_waitcnt vmcnt(0) lgkmcnt(0)
	buffer_store_dword v22, off, s[0:3], 0 offset:76
	buffer_store_dword v21, off, s[0:3], 0 offset:72
	s_cbranch_scc1 .LBB73_52
; %bb.4:
	v_cmp_eq_u32_e64 s4, 0, v0
	s_and_saveexec_b32 s5, s4
; %bb.5:
	v_mov_b32_e32 v21, 0
	ds_write_b32 v21, v21 offset:160
; %bb.6:
	s_or_b32 exec_lo, exec_lo, s5
	v_lshl_add_u32 v25, v0, 3, 0
	s_waitcnt lgkmcnt(0)
	s_waitcnt_vscnt null, 0x0
	s_barrier
	buffer_gl0_inv
	s_clause 0x1
	buffer_load_dword v21, v25, s[0:3], 0 offen
	buffer_load_dword v22, v25, s[0:3], 0 offen offset:4
	s_waitcnt vmcnt(1)
	v_cmp_eq_f32_e32 vcc_lo, 0, v21
	s_waitcnt vmcnt(0)
	v_cmp_eq_f32_e64 s5, 0, v22
	s_and_b32 s5, vcc_lo, s5
	s_and_saveexec_b32 s8, s5
	s_cbranch_execz .LBB73_10
; %bb.7:
	v_mov_b32_e32 v21, 0
	s_mov_b32 s9, 0
	ds_read_b32 v22, v21 offset:160
	s_waitcnt lgkmcnt(0)
	v_readfirstlane_b32 s5, v22
	v_add_nc_u32_e32 v22, 1, v0
	s_cmp_eq_u32 s5, 0
	v_cmp_gt_i32_e32 vcc_lo, s5, v22
	s_cselect_b32 s14, -1, 0
	s_or_b32 s14, s14, vcc_lo
	s_and_b32 exec_lo, exec_lo, s14
	s_cbranch_execz .LBB73_10
; %bb.8:
	v_mov_b32_e32 v24, s5
.LBB73_9:                               ; =>This Inner Loop Header: Depth=1
	ds_cmpst_rtn_b32 v24, v21, v24, v22 offset:160
	s_waitcnt lgkmcnt(0)
	v_cmp_ne_u32_e32 vcc_lo, 0, v24
	v_cmp_le_i32_e64 s5, v24, v22
	s_and_b32 s5, vcc_lo, s5
	s_and_b32 s5, exec_lo, s5
	s_or_b32 s9, s5, s9
	s_andn2_b32 exec_lo, exec_lo, s9
	s_cbranch_execnz .LBB73_9
.LBB73_10:
	s_or_b32 exec_lo, exec_lo, s8
	v_mov_b32_e32 v21, 0
	s_barrier
	buffer_gl0_inv
	ds_read_b32 v22, v21 offset:160
	s_and_saveexec_b32 s5, s4
	s_cbranch_execz .LBB73_12
; %bb.11:
	s_lshl_b64 s[8:9], s[6:7], 2
	s_add_u32 s8, s10, s8
	s_addc_u32 s9, s11, s9
	s_waitcnt lgkmcnt(0)
	global_store_dword v21, v22, s[8:9]
.LBB73_12:
	s_or_b32 exec_lo, exec_lo, s5
	s_waitcnt lgkmcnt(0)
	v_cmp_ne_u32_e32 vcc_lo, 0, v22
	s_mov_b32 s5, 0
	s_cbranch_vccnz .LBB73_52
; %bb.13:
	s_clause 0x1
	buffer_load_dword v22, v25, s[0:3], 0 offen
	buffer_load_dword v24, v25, s[0:3], 0 offen offset:4
                                        ; implicit-def: $vgpr27
                                        ; implicit-def: $vgpr26
                                        ; implicit-def: $vgpr21
	s_waitcnt vmcnt(0)
	v_cmp_ngt_f32_e64 s5, |v22|, |v24|
	s_and_saveexec_b32 s8, s5
	s_xor_b32 s5, exec_lo, s8
	s_cbranch_execz .LBB73_15
; %bb.14:
	v_div_scale_f32 v21, null, v24, v24, v22
	v_div_scale_f32 v28, vcc_lo, v22, v24, v22
	v_rcp_f32_e32 v26, v21
	v_fma_f32 v27, -v21, v26, 1.0
	v_fmac_f32_e32 v26, v27, v26
	v_mul_f32_e32 v27, v28, v26
	v_fma_f32 v29, -v21, v27, v28
	v_fmac_f32_e32 v27, v29, v26
	v_fma_f32 v21, -v21, v27, v28
	v_div_fmas_f32 v21, v21, v26, v27
	v_div_fixup_f32 v21, v21, v24, v22
	v_fmac_f32_e32 v24, v22, v21
	v_div_scale_f32 v22, null, v24, v24, 1.0
	v_rcp_f32_e32 v26, v22
	v_fma_f32 v27, -v22, v26, 1.0
	v_fmac_f32_e32 v26, v27, v26
	v_div_scale_f32 v27, vcc_lo, 1.0, v24, 1.0
	v_mul_f32_e32 v28, v27, v26
	v_fma_f32 v29, -v22, v28, v27
	v_fmac_f32_e32 v28, v29, v26
	v_fma_f32 v22, -v22, v28, v27
	v_div_fmas_f32 v22, v22, v26, v28
	v_div_fixup_f32 v22, v22, v24, 1.0
                                        ; implicit-def: $vgpr24
	v_mul_f32_e32 v27, v21, v22
	v_xor_b32_e32 v26, 0x80000000, v22
                                        ; implicit-def: $vgpr22
	v_xor_b32_e32 v21, 0x80000000, v27
.LBB73_15:
	s_andn2_saveexec_b32 s5, s5
	s_cbranch_execz .LBB73_17
; %bb.16:
	v_div_scale_f32 v21, null, v22, v22, v24
	v_div_scale_f32 v28, vcc_lo, v24, v22, v24
	v_rcp_f32_e32 v26, v21
	v_fma_f32 v27, -v21, v26, 1.0
	v_fmac_f32_e32 v26, v27, v26
	v_mul_f32_e32 v27, v28, v26
	v_fma_f32 v29, -v21, v27, v28
	v_fmac_f32_e32 v27, v29, v26
	v_fma_f32 v21, -v21, v27, v28
	v_div_fmas_f32 v21, v21, v26, v27
	v_div_fixup_f32 v26, v21, v22, v24
	v_fmac_f32_e32 v22, v24, v26
	v_div_scale_f32 v21, null, v22, v22, 1.0
	v_div_scale_f32 v28, vcc_lo, 1.0, v22, 1.0
	v_rcp_f32_e32 v24, v21
	v_fma_f32 v27, -v21, v24, 1.0
	v_fmac_f32_e32 v24, v27, v24
	v_mul_f32_e32 v27, v28, v24
	v_fma_f32 v29, -v21, v27, v28
	v_fmac_f32_e32 v27, v29, v24
	v_fma_f32 v21, -v21, v27, v28
	v_div_fmas_f32 v21, v21, v24, v27
	v_div_fixup_f32 v27, v21, v22, 1.0
	v_xor_b32_e32 v21, 0x80000000, v27
	v_mul_f32_e64 v26, v26, -v27
.LBB73_17:
	s_or_b32 exec_lo, exec_lo, s5
	buffer_store_dword v27, v25, s[0:3], 0 offen
	buffer_store_dword v26, v25, s[0:3], 0 offen offset:4
	s_clause 0x1
	buffer_load_dword v28, off, s[0:3], 0 offset:12
	buffer_load_dword v27, off, s[0:3], 0 offset:8
	v_xor_b32_e32 v22, 0x80000000, v26
	v_add_nc_u32_e32 v24, 0x50, v23
	s_waitcnt vmcnt(0)
	ds_write2_b64 v23, v[21:22], v[27:28] offset1:10
	s_waitcnt lgkmcnt(0)
	s_waitcnt_vscnt null, 0x0
	s_barrier
	buffer_gl0_inv
	s_and_saveexec_b32 s5, s4
	s_cbranch_execz .LBB73_19
; %bb.18:
	s_clause 0x1
	buffer_load_dword v28, v25, s[0:3], 0 offen offset:4
	buffer_load_dword v29, v25, s[0:3], 0 offen
	ds_read_b64 v[21:22], v24
	v_mov_b32_e32 v26, 0
	ds_read_b64 v[26:27], v26 offset:8
	s_waitcnt vmcnt(1) lgkmcnt(1)
	v_mul_f32_e32 v30, v21, v28
	v_mul_f32_e32 v28, v22, v28
	s_waitcnt vmcnt(0)
	v_fmac_f32_e32 v30, v22, v29
	v_fma_f32 v21, v21, v29, -v28
	v_add_f32_e32 v22, 0, v30
	v_add_f32_e32 v21, 0, v21
	s_waitcnt lgkmcnt(0)
	v_mul_f32_e32 v28, v22, v27
	v_mul_f32_e32 v27, v21, v27
	v_fma_f32 v21, v21, v26, -v28
	v_fmac_f32_e32 v27, v22, v26
	buffer_store_dword v21, off, s[0:3], 0 offset:8
	buffer_store_dword v27, off, s[0:3], 0 offset:12
.LBB73_19:
	s_or_b32 exec_lo, exec_lo, s5
	s_waitcnt_vscnt null, 0x0
	s_barrier
	buffer_gl0_inv
	s_clause 0x1
	buffer_load_dword v21, off, s[0:3], 0 offset:16
	buffer_load_dword v22, off, s[0:3], 0 offset:20
	s_mov_b32 s5, exec_lo
	s_waitcnt vmcnt(0)
	ds_write_b64 v24, v[21:22]
	s_waitcnt lgkmcnt(0)
	s_barrier
	buffer_gl0_inv
	v_cmpx_gt_u32_e32 2, v0
	s_cbranch_execz .LBB73_23
; %bb.20:
	s_clause 0x1
	buffer_load_dword v26, v25, s[0:3], 0 offen offset:4
	buffer_load_dword v25, v25, s[0:3], 0 offen
	ds_read_b64 v[21:22], v24
	s_waitcnt vmcnt(1) lgkmcnt(0)
	v_mul_f32_e32 v27, v22, v26
	v_mul_f32_e32 v26, v21, v26
	s_waitcnt vmcnt(0)
	v_fma_f32 v21, v21, v25, -v27
	v_fmac_f32_e32 v26, v22, v25
	v_add_f32_e32 v22, 0, v21
	v_add_f32_e32 v21, 0, v26
	s_and_saveexec_b32 s8, s4
	s_cbranch_execz .LBB73_22
; %bb.21:
	s_clause 0x1
	buffer_load_dword v27, off, s[0:3], 0 offset:12
	buffer_load_dword v28, off, s[0:3], 0 offset:8
	v_mov_b32_e32 v25, 0
	ds_read_b64 v[25:26], v25 offset:88
	s_waitcnt vmcnt(1) lgkmcnt(0)
	v_mul_f32_e32 v29, v25, v27
	v_mul_f32_e32 v27, v26, v27
	s_waitcnt vmcnt(0)
	v_fmac_f32_e32 v29, v26, v28
	v_fma_f32 v25, v25, v28, -v27
	v_add_f32_e32 v21, v21, v29
	v_add_f32_e32 v22, v22, v25
.LBB73_22:
	s_or_b32 exec_lo, exec_lo, s8
	v_mov_b32_e32 v25, 0
	ds_read_b64 v[25:26], v25 offset:16
	s_waitcnt lgkmcnt(0)
	v_mul_f32_e32 v27, v21, v26
	v_mul_f32_e32 v26, v22, v26
	v_fma_f32 v22, v22, v25, -v27
	v_fmac_f32_e32 v26, v21, v25
	buffer_store_dword v22, off, s[0:3], 0 offset:16
	buffer_store_dword v26, off, s[0:3], 0 offset:20
.LBB73_23:
	s_or_b32 exec_lo, exec_lo, s5
	s_waitcnt_vscnt null, 0x0
	s_barrier
	buffer_gl0_inv
	s_clause 0x1
	buffer_load_dword v25, off, s[0:3], 0 offset:24
	buffer_load_dword v26, off, s[0:3], 0 offset:28
	v_add_nc_u32_e32 v21, -1, v0
	s_mov_b32 s4, exec_lo
	s_waitcnt vmcnt(0)
	ds_write_b64 v24, v[25:26]
	s_waitcnt lgkmcnt(0)
	s_barrier
	buffer_gl0_inv
	v_cmpx_gt_u32_e32 3, v0
	s_cbranch_execz .LBB73_27
; %bb.24:
	v_add_nc_u32_e32 v25, -1, v0
	v_add_nc_u32_e32 v26, 0x50, v23
	v_mov_b32_e32 v27, v23
	v_mov_b32_e32 v22, 0
	;; [unrolled: 1-line block ×3, first 2 shown]
	s_mov_b32 s5, 0
	.p2align	6
.LBB73_25:                              ; =>This Inner Loop Header: Depth=1
	s_clause 0x1
	buffer_load_dword v31, v27, s[0:3], 0 offen offset:4
	buffer_load_dword v32, v27, s[0:3], 0 offen
	ds_read_b64 v[29:30], v26
	v_add_nc_u32_e32 v25, 1, v25
	v_add_nc_u32_e32 v26, 8, v26
	;; [unrolled: 1-line block ×3, first 2 shown]
	v_cmp_lt_u32_e32 vcc_lo, 1, v25
	s_or_b32 s5, vcc_lo, s5
	s_waitcnt vmcnt(1) lgkmcnt(0)
	v_mul_f32_e32 v33, v30, v31
	v_mul_f32_e32 v31, v29, v31
	s_waitcnt vmcnt(0)
	v_fma_f32 v29, v29, v32, -v33
	v_fmac_f32_e32 v31, v30, v32
	v_add_f32_e32 v28, v28, v29
	v_add_f32_e32 v22, v22, v31
	s_andn2_b32 exec_lo, exec_lo, s5
	s_cbranch_execnz .LBB73_25
; %bb.26:
	s_or_b32 exec_lo, exec_lo, s5
	v_mov_b32_e32 v25, 0
	ds_read_b64 v[25:26], v25 offset:24
	s_waitcnt lgkmcnt(0)
	v_mul_f32_e32 v27, v22, v26
	v_mul_f32_e32 v26, v28, v26
	v_fma_f32 v27, v28, v25, -v27
	v_fmac_f32_e32 v26, v22, v25
	buffer_store_dword v27, off, s[0:3], 0 offset:24
	buffer_store_dword v26, off, s[0:3], 0 offset:28
.LBB73_27:
	s_or_b32 exec_lo, exec_lo, s4
	s_waitcnt_vscnt null, 0x0
	s_barrier
	buffer_gl0_inv
	s_clause 0x1
	buffer_load_dword v25, off, s[0:3], 0 offset:32
	buffer_load_dword v26, off, s[0:3], 0 offset:36
	s_mov_b32 s4, exec_lo
	s_waitcnt vmcnt(0)
	ds_write_b64 v24, v[25:26]
	s_waitcnt lgkmcnt(0)
	s_barrier
	buffer_gl0_inv
	v_cmpx_gt_u32_e32 4, v0
	s_cbranch_execz .LBB73_31
; %bb.28:
	v_add_nc_u32_e32 v25, -1, v0
	v_add_nc_u32_e32 v26, 0x50, v23
	v_mov_b32_e32 v27, v23
	v_mov_b32_e32 v22, 0
	;; [unrolled: 1-line block ×3, first 2 shown]
	s_mov_b32 s5, 0
	.p2align	6
.LBB73_29:                              ; =>This Inner Loop Header: Depth=1
	s_clause 0x1
	buffer_load_dword v31, v27, s[0:3], 0 offen offset:4
	buffer_load_dword v32, v27, s[0:3], 0 offen
	ds_read_b64 v[29:30], v26
	v_add_nc_u32_e32 v25, 1, v25
	v_add_nc_u32_e32 v26, 8, v26
	;; [unrolled: 1-line block ×3, first 2 shown]
	v_cmp_lt_u32_e32 vcc_lo, 2, v25
	s_or_b32 s5, vcc_lo, s5
	s_waitcnt vmcnt(1) lgkmcnt(0)
	v_mul_f32_e32 v33, v30, v31
	v_mul_f32_e32 v31, v29, v31
	s_waitcnt vmcnt(0)
	v_fma_f32 v29, v29, v32, -v33
	v_fmac_f32_e32 v31, v30, v32
	v_add_f32_e32 v28, v28, v29
	v_add_f32_e32 v22, v22, v31
	s_andn2_b32 exec_lo, exec_lo, s5
	s_cbranch_execnz .LBB73_29
; %bb.30:
	s_or_b32 exec_lo, exec_lo, s5
	v_mov_b32_e32 v25, 0
	ds_read_b64 v[25:26], v25 offset:32
	s_waitcnt lgkmcnt(0)
	v_mul_f32_e32 v27, v22, v26
	v_mul_f32_e32 v26, v28, v26
	v_fma_f32 v27, v28, v25, -v27
	v_fmac_f32_e32 v26, v22, v25
	buffer_store_dword v27, off, s[0:3], 0 offset:32
	buffer_store_dword v26, off, s[0:3], 0 offset:36
.LBB73_31:
	s_or_b32 exec_lo, exec_lo, s4
	s_waitcnt_vscnt null, 0x0
	s_barrier
	buffer_gl0_inv
	s_clause 0x1
	buffer_load_dword v25, off, s[0:3], 0 offset:40
	buffer_load_dword v26, off, s[0:3], 0 offset:44
	s_mov_b32 s4, exec_lo
	s_waitcnt vmcnt(0)
	ds_write_b64 v24, v[25:26]
	s_waitcnt lgkmcnt(0)
	s_barrier
	buffer_gl0_inv
	v_cmpx_gt_u32_e32 5, v0
	s_cbranch_execz .LBB73_35
; %bb.32:
	v_add_nc_u32_e32 v25, -1, v0
	v_add_nc_u32_e32 v26, 0x50, v23
	v_mov_b32_e32 v27, v23
	v_mov_b32_e32 v22, 0
	;; [unrolled: 1-line block ×3, first 2 shown]
	s_mov_b32 s5, 0
	.p2align	6
.LBB73_33:                              ; =>This Inner Loop Header: Depth=1
	s_clause 0x1
	buffer_load_dword v31, v27, s[0:3], 0 offen offset:4
	buffer_load_dword v32, v27, s[0:3], 0 offen
	ds_read_b64 v[29:30], v26
	v_add_nc_u32_e32 v25, 1, v25
	v_add_nc_u32_e32 v26, 8, v26
	;; [unrolled: 1-line block ×3, first 2 shown]
	v_cmp_lt_u32_e32 vcc_lo, 3, v25
	s_or_b32 s5, vcc_lo, s5
	s_waitcnt vmcnt(1) lgkmcnt(0)
	v_mul_f32_e32 v33, v30, v31
	v_mul_f32_e32 v31, v29, v31
	s_waitcnt vmcnt(0)
	v_fma_f32 v29, v29, v32, -v33
	v_fmac_f32_e32 v31, v30, v32
	v_add_f32_e32 v28, v28, v29
	v_add_f32_e32 v22, v22, v31
	s_andn2_b32 exec_lo, exec_lo, s5
	s_cbranch_execnz .LBB73_33
; %bb.34:
	s_or_b32 exec_lo, exec_lo, s5
	v_mov_b32_e32 v25, 0
	ds_read_b64 v[25:26], v25 offset:40
	s_waitcnt lgkmcnt(0)
	v_mul_f32_e32 v27, v22, v26
	v_mul_f32_e32 v26, v28, v26
	v_fma_f32 v27, v28, v25, -v27
	v_fmac_f32_e32 v26, v22, v25
	buffer_store_dword v27, off, s[0:3], 0 offset:40
	buffer_store_dword v26, off, s[0:3], 0 offset:44
.LBB73_35:
	s_or_b32 exec_lo, exec_lo, s4
	s_waitcnt_vscnt null, 0x0
	s_barrier
	buffer_gl0_inv
	s_clause 0x1
	buffer_load_dword v25, off, s[0:3], 0 offset:48
	buffer_load_dword v26, off, s[0:3], 0 offset:52
	s_mov_b32 s4, exec_lo
	s_waitcnt vmcnt(0)
	ds_write_b64 v24, v[25:26]
	s_waitcnt lgkmcnt(0)
	s_barrier
	buffer_gl0_inv
	v_cmpx_gt_u32_e32 6, v0
	s_cbranch_execz .LBB73_39
; %bb.36:
	v_add_nc_u32_e32 v25, -1, v0
	v_add_nc_u32_e32 v26, 0x50, v23
	v_mov_b32_e32 v27, v23
	v_mov_b32_e32 v22, 0
	;; [unrolled: 1-line block ×3, first 2 shown]
	s_mov_b32 s5, 0
	.p2align	6
.LBB73_37:                              ; =>This Inner Loop Header: Depth=1
	s_clause 0x1
	buffer_load_dword v31, v27, s[0:3], 0 offen offset:4
	buffer_load_dword v32, v27, s[0:3], 0 offen
	ds_read_b64 v[29:30], v26
	v_add_nc_u32_e32 v25, 1, v25
	v_add_nc_u32_e32 v26, 8, v26
	v_add_nc_u32_e32 v27, 8, v27
	v_cmp_lt_u32_e32 vcc_lo, 4, v25
	s_or_b32 s5, vcc_lo, s5
	s_waitcnt vmcnt(1) lgkmcnt(0)
	v_mul_f32_e32 v33, v30, v31
	v_mul_f32_e32 v31, v29, v31
	s_waitcnt vmcnt(0)
	v_fma_f32 v29, v29, v32, -v33
	v_fmac_f32_e32 v31, v30, v32
	v_add_f32_e32 v28, v28, v29
	v_add_f32_e32 v22, v22, v31
	s_andn2_b32 exec_lo, exec_lo, s5
	s_cbranch_execnz .LBB73_37
; %bb.38:
	s_or_b32 exec_lo, exec_lo, s5
	v_mov_b32_e32 v25, 0
	ds_read_b64 v[25:26], v25 offset:48
	s_waitcnt lgkmcnt(0)
	v_mul_f32_e32 v27, v22, v26
	v_mul_f32_e32 v26, v28, v26
	v_fma_f32 v27, v28, v25, -v27
	v_fmac_f32_e32 v26, v22, v25
	buffer_store_dword v27, off, s[0:3], 0 offset:48
	buffer_store_dword v26, off, s[0:3], 0 offset:52
.LBB73_39:
	s_or_b32 exec_lo, exec_lo, s4
	s_waitcnt_vscnt null, 0x0
	s_barrier
	buffer_gl0_inv
	s_clause 0x1
	buffer_load_dword v25, off, s[0:3], 0 offset:56
	buffer_load_dword v26, off, s[0:3], 0 offset:60
	s_mov_b32 s4, exec_lo
	s_waitcnt vmcnt(0)
	ds_write_b64 v24, v[25:26]
	s_waitcnt lgkmcnt(0)
	s_barrier
	buffer_gl0_inv
	v_cmpx_gt_u32_e32 7, v0
	s_cbranch_execz .LBB73_43
; %bb.40:
	v_add_nc_u32_e32 v25, -1, v0
	v_add_nc_u32_e32 v26, 0x50, v23
	v_mov_b32_e32 v27, v23
	v_mov_b32_e32 v22, 0
	;; [unrolled: 1-line block ×3, first 2 shown]
	s_mov_b32 s5, 0
	.p2align	6
.LBB73_41:                              ; =>This Inner Loop Header: Depth=1
	s_clause 0x1
	buffer_load_dword v31, v27, s[0:3], 0 offen offset:4
	buffer_load_dword v32, v27, s[0:3], 0 offen
	ds_read_b64 v[29:30], v26
	v_add_nc_u32_e32 v25, 1, v25
	v_add_nc_u32_e32 v26, 8, v26
	;; [unrolled: 1-line block ×3, first 2 shown]
	v_cmp_lt_u32_e32 vcc_lo, 5, v25
	s_or_b32 s5, vcc_lo, s5
	s_waitcnt vmcnt(1) lgkmcnt(0)
	v_mul_f32_e32 v33, v30, v31
	v_mul_f32_e32 v31, v29, v31
	s_waitcnt vmcnt(0)
	v_fma_f32 v29, v29, v32, -v33
	v_fmac_f32_e32 v31, v30, v32
	v_add_f32_e32 v28, v28, v29
	v_add_f32_e32 v22, v22, v31
	s_andn2_b32 exec_lo, exec_lo, s5
	s_cbranch_execnz .LBB73_41
; %bb.42:
	s_or_b32 exec_lo, exec_lo, s5
	v_mov_b32_e32 v25, 0
	ds_read_b64 v[25:26], v25 offset:56
	s_waitcnt lgkmcnt(0)
	v_mul_f32_e32 v27, v22, v26
	v_mul_f32_e32 v26, v28, v26
	v_fma_f32 v27, v28, v25, -v27
	v_fmac_f32_e32 v26, v22, v25
	buffer_store_dword v27, off, s[0:3], 0 offset:56
	buffer_store_dword v26, off, s[0:3], 0 offset:60
.LBB73_43:
	s_or_b32 exec_lo, exec_lo, s4
	s_waitcnt_vscnt null, 0x0
	s_barrier
	buffer_gl0_inv
	s_clause 0x1
	buffer_load_dword v25, off, s[0:3], 0 offset:64
	buffer_load_dword v26, off, s[0:3], 0 offset:68
	s_mov_b32 s4, exec_lo
	s_waitcnt vmcnt(0)
	ds_write_b64 v24, v[25:26]
	s_waitcnt lgkmcnt(0)
	s_barrier
	buffer_gl0_inv
	v_cmpx_gt_u32_e32 8, v0
	s_cbranch_execz .LBB73_47
; %bb.44:
	v_add_nc_u32_e32 v25, -1, v0
	v_add_nc_u32_e32 v26, 0x50, v23
	v_mov_b32_e32 v27, v23
	v_mov_b32_e32 v22, 0
	v_mov_b32_e32 v28, 0
	s_mov_b32 s5, 0
	.p2align	6
.LBB73_45:                              ; =>This Inner Loop Header: Depth=1
	s_clause 0x1
	buffer_load_dword v31, v27, s[0:3], 0 offen offset:4
	buffer_load_dword v32, v27, s[0:3], 0 offen
	ds_read_b64 v[29:30], v26
	v_add_nc_u32_e32 v25, 1, v25
	v_add_nc_u32_e32 v26, 8, v26
	;; [unrolled: 1-line block ×3, first 2 shown]
	v_cmp_lt_u32_e32 vcc_lo, 6, v25
	s_or_b32 s5, vcc_lo, s5
	s_waitcnt vmcnt(1) lgkmcnt(0)
	v_mul_f32_e32 v33, v30, v31
	v_mul_f32_e32 v31, v29, v31
	s_waitcnt vmcnt(0)
	v_fma_f32 v29, v29, v32, -v33
	v_fmac_f32_e32 v31, v30, v32
	v_add_f32_e32 v28, v28, v29
	v_add_f32_e32 v22, v22, v31
	s_andn2_b32 exec_lo, exec_lo, s5
	s_cbranch_execnz .LBB73_45
; %bb.46:
	s_or_b32 exec_lo, exec_lo, s5
	v_mov_b32_e32 v25, 0
	ds_read_b64 v[25:26], v25 offset:64
	s_waitcnt lgkmcnt(0)
	v_mul_f32_e32 v27, v22, v26
	v_mul_f32_e32 v26, v28, v26
	v_fma_f32 v27, v28, v25, -v27
	v_fmac_f32_e32 v26, v22, v25
	buffer_store_dword v27, off, s[0:3], 0 offset:64
	buffer_store_dword v26, off, s[0:3], 0 offset:68
.LBB73_47:
	s_or_b32 exec_lo, exec_lo, s4
	s_waitcnt_vscnt null, 0x0
	s_barrier
	buffer_gl0_inv
	s_clause 0x1
	buffer_load_dword v25, off, s[0:3], 0 offset:72
	buffer_load_dword v26, off, s[0:3], 0 offset:76
	s_mov_b32 s4, exec_lo
	s_waitcnt vmcnt(0)
	ds_write_b64 v24, v[25:26]
	s_waitcnt lgkmcnt(0)
	s_barrier
	buffer_gl0_inv
	v_cmpx_ne_u32_e32 9, v0
	s_cbranch_execz .LBB73_51
; %bb.48:
	v_mov_b32_e32 v22, 0
	v_mov_b32_e32 v25, 0
	s_mov_b32 s5, 0
	.p2align	6
.LBB73_49:                              ; =>This Inner Loop Header: Depth=1
	s_clause 0x1
	buffer_load_dword v28, v23, s[0:3], 0 offen offset:4
	buffer_load_dword v29, v23, s[0:3], 0 offen
	ds_read_b64 v[26:27], v24
	v_add_nc_u32_e32 v21, 1, v21
	v_add_nc_u32_e32 v24, 8, v24
	;; [unrolled: 1-line block ×3, first 2 shown]
	v_cmp_lt_u32_e32 vcc_lo, 7, v21
	s_or_b32 s5, vcc_lo, s5
	s_waitcnt vmcnt(1) lgkmcnt(0)
	v_mul_f32_e32 v30, v27, v28
	v_mul_f32_e32 v28, v26, v28
	s_waitcnt vmcnt(0)
	v_fma_f32 v26, v26, v29, -v30
	v_fmac_f32_e32 v28, v27, v29
	v_add_f32_e32 v25, v25, v26
	v_add_f32_e32 v22, v22, v28
	s_andn2_b32 exec_lo, exec_lo, s5
	s_cbranch_execnz .LBB73_49
; %bb.50:
	s_or_b32 exec_lo, exec_lo, s5
	v_mov_b32_e32 v21, 0
	ds_read_b64 v[23:24], v21 offset:72
	s_waitcnt lgkmcnt(0)
	v_mul_f32_e32 v21, v22, v24
	v_mul_f32_e32 v24, v25, v24
	v_fma_f32 v21, v25, v23, -v21
	v_fmac_f32_e32 v24, v22, v23
	buffer_store_dword v21, off, s[0:3], 0 offset:72
	buffer_store_dword v24, off, s[0:3], 0 offset:76
.LBB73_51:
	s_or_b32 exec_lo, exec_lo, s4
	s_mov_b32 s5, -1
	s_waitcnt_vscnt null, 0x0
	s_barrier
	buffer_gl0_inv
.LBB73_52:
	s_and_b32 vcc_lo, exec_lo, s5
	s_cbranch_vccz .LBB73_54
; %bb.53:
	s_lshl_b64 s[4:5], s[6:7], 2
	v_mov_b32_e32 v21, 0
	s_add_u32 s4, s10, s4
	s_addc_u32 s5, s11, s5
	global_load_dword v21, v21, s[4:5]
	s_waitcnt vmcnt(0)
	v_cmp_ne_u32_e32 vcc_lo, 0, v21
	s_cbranch_vccz .LBB73_55
.LBB73_54:
	s_endpgm
.LBB73_55:
	v_lshl_add_u32 v21, v0, 3, 0x50
	s_mov_b32 s4, exec_lo
	v_cmpx_eq_u32_e32 9, v0
	s_cbranch_execz .LBB73_57
; %bb.56:
	s_clause 0x1
	buffer_load_dword v22, off, s[0:3], 0 offset:64
	buffer_load_dword v23, off, s[0:3], 0 offset:68
	v_mov_b32_e32 v24, 0
	buffer_store_dword v24, off, s[0:3], 0 offset:64
	buffer_store_dword v24, off, s[0:3], 0 offset:68
	s_waitcnt vmcnt(0)
	ds_write_b64 v21, v[22:23]
.LBB73_57:
	s_or_b32 exec_lo, exec_lo, s4
	s_waitcnt lgkmcnt(0)
	s_waitcnt_vscnt null, 0x0
	s_barrier
	buffer_gl0_inv
	s_clause 0x3
	buffer_load_dword v25, off, s[0:3], 0 offset:76
	buffer_load_dword v26, off, s[0:3], 0 offset:72
	;; [unrolled: 1-line block ×4, first 2 shown]
	v_mov_b32_e32 v22, 0
	s_mov_b32 s4, exec_lo
	ds_read_b64 v[23:24], v22 offset:152
	s_waitcnt vmcnt(3) lgkmcnt(0)
	v_mul_f32_e32 v29, v24, v25
	v_mul_f32_e32 v25, v23, v25
	s_waitcnt vmcnt(2)
	v_fma_f32 v23, v23, v26, -v29
	v_fmac_f32_e32 v25, v24, v26
	v_add_f32_e32 v23, 0, v23
	v_add_f32_e32 v24, 0, v25
	s_waitcnt vmcnt(1)
	v_sub_f32_e32 v23, v27, v23
	s_waitcnt vmcnt(0)
	v_sub_f32_e32 v24, v28, v24
	buffer_store_dword v23, off, s[0:3], 0 offset:64
	buffer_store_dword v24, off, s[0:3], 0 offset:68
	v_cmpx_lt_u32_e32 7, v0
	s_cbranch_execz .LBB73_59
; %bb.58:
	s_clause 0x1
	buffer_load_dword v23, off, s[0:3], 0 offset:56
	buffer_load_dword v24, off, s[0:3], 0 offset:60
	buffer_store_dword v22, off, s[0:3], 0 offset:56
	buffer_store_dword v22, off, s[0:3], 0 offset:60
	s_waitcnt vmcnt(0)
	ds_write_b64 v21, v[23:24]
.LBB73_59:
	s_or_b32 exec_lo, exec_lo, s4
	s_waitcnt lgkmcnt(0)
	s_waitcnt_vscnt null, 0x0
	s_barrier
	buffer_gl0_inv
	s_clause 0x5
	buffer_load_dword v26, off, s[0:3], 0 offset:68
	buffer_load_dword v27, off, s[0:3], 0 offset:76
	;; [unrolled: 1-line block ×6, first 2 shown]
	ds_read_b128 v[22:25], v22 offset:144
	s_mov_b32 s4, exec_lo
	s_waitcnt vmcnt(5) lgkmcnt(0)
	v_mul_f32_e32 v32, v23, v26
	v_mul_f32_e32 v26, v22, v26
	s_waitcnt vmcnt(4)
	v_mul_f32_e32 v33, v24, v27
	v_mul_f32_e32 v27, v25, v27
	s_waitcnt vmcnt(3)
	v_fma_f32 v22, v22, v28, -v32
	v_fmac_f32_e32 v26, v23, v28
	s_waitcnt vmcnt(2)
	v_fmac_f32_e32 v33, v25, v29
	v_fma_f32 v23, v24, v29, -v27
	v_add_f32_e32 v22, 0, v22
	v_add_f32_e32 v24, 0, v26
	;; [unrolled: 1-line block ×4, first 2 shown]
	s_waitcnt vmcnt(1)
	v_sub_f32_e32 v22, v30, v22
	s_waitcnt vmcnt(0)
	v_sub_f32_e32 v23, v31, v23
	buffer_store_dword v22, off, s[0:3], 0 offset:56
	buffer_store_dword v23, off, s[0:3], 0 offset:60
	v_cmpx_lt_u32_e32 6, v0
	s_cbranch_execz .LBB73_61
; %bb.60:
	s_clause 0x1
	buffer_load_dword v22, off, s[0:3], 0 offset:48
	buffer_load_dword v23, off, s[0:3], 0 offset:52
	v_mov_b32_e32 v24, 0
	buffer_store_dword v24, off, s[0:3], 0 offset:48
	buffer_store_dword v24, off, s[0:3], 0 offset:52
	s_waitcnt vmcnt(0)
	ds_write_b64 v21, v[22:23]
.LBB73_61:
	s_or_b32 exec_lo, exec_lo, s4
	s_waitcnt lgkmcnt(0)
	s_waitcnt_vscnt null, 0x0
	s_barrier
	buffer_gl0_inv
	s_clause 0x7
	buffer_load_dword v29, off, s[0:3], 0 offset:60
	buffer_load_dword v30, off, s[0:3], 0 offset:68
	;; [unrolled: 1-line block ×8, first 2 shown]
	v_mov_b32_e32 v22, 0
	ds_read2_b64 v[23:26], v22 offset0:17 offset1:18
	ds_read_b64 v[27:28], v22 offset:152
	s_mov_b32 s4, exec_lo
	s_waitcnt vmcnt(7) lgkmcnt(1)
	v_mul_f32_e32 v37, v24, v29
	v_mul_f32_e32 v29, v23, v29
	s_waitcnt vmcnt(6)
	v_mul_f32_e32 v38, v25, v30
	v_mul_f32_e32 v30, v26, v30
	s_waitcnt vmcnt(5) lgkmcnt(0)
	v_mul_f32_e32 v39, v27, v31
	s_waitcnt vmcnt(4)
	v_fma_f32 v23, v23, v32, -v37
	v_fmac_f32_e32 v29, v24, v32
	v_mul_f32_e32 v24, v28, v31
	s_waitcnt vmcnt(3)
	v_fma_f32 v25, v25, v33, -v30
	v_fmac_f32_e32 v38, v26, v33
	v_add_f32_e32 v23, 0, v23
	v_add_f32_e32 v26, 0, v29
	s_waitcnt vmcnt(2)
	v_fma_f32 v24, v27, v34, -v24
	v_fmac_f32_e32 v39, v28, v34
	v_add_f32_e32 v23, v23, v25
	v_add_f32_e32 v25, v26, v38
	;; [unrolled: 1-line block ×4, first 2 shown]
	s_waitcnt vmcnt(1)
	v_sub_f32_e32 v23, v35, v23
	s_waitcnt vmcnt(0)
	v_sub_f32_e32 v24, v36, v24
	buffer_store_dword v23, off, s[0:3], 0 offset:48
	buffer_store_dword v24, off, s[0:3], 0 offset:52
	v_cmpx_lt_u32_e32 5, v0
	s_cbranch_execz .LBB73_63
; %bb.62:
	s_clause 0x1
	buffer_load_dword v23, off, s[0:3], 0 offset:40
	buffer_load_dword v24, off, s[0:3], 0 offset:44
	buffer_store_dword v22, off, s[0:3], 0 offset:40
	buffer_store_dword v22, off, s[0:3], 0 offset:44
	s_waitcnt vmcnt(0)
	ds_write_b64 v21, v[23:24]
.LBB73_63:
	s_or_b32 exec_lo, exec_lo, s4
	s_waitcnt lgkmcnt(0)
	s_waitcnt_vscnt null, 0x0
	s_barrier
	buffer_gl0_inv
	s_clause 0x9
	buffer_load_dword v31, off, s[0:3], 0 offset:52
	buffer_load_dword v32, off, s[0:3], 0 offset:60
	;; [unrolled: 1-line block ×10, first 2 shown]
	ds_read_b128 v[23:26], v22 offset:128
	ds_read_b128 v[27:30], v22 offset:144
	s_mov_b32 s4, exec_lo
	s_waitcnt vmcnt(9) lgkmcnt(1)
	v_mul_f32_e32 v22, v23, v31
	v_mul_f32_e32 v31, v24, v31
	s_waitcnt vmcnt(8)
	v_mul_f32_e32 v41, v25, v32
	v_mul_f32_e32 v32, v26, v32
	s_waitcnt vmcnt(7) lgkmcnt(0)
	v_mul_f32_e32 v42, v27, v33
	s_waitcnt vmcnt(5)
	v_fmac_f32_e32 v22, v24, v35
	v_fma_f32 v23, v23, v35, -v31
	v_mul_f32_e32 v24, v28, v33
	s_waitcnt vmcnt(4)
	v_fma_f32 v25, v25, v36, -v32
	v_fmac_f32_e32 v41, v26, v36
	v_add_f32_e32 v22, 0, v22
	v_add_f32_e32 v23, 0, v23
	v_mul_f32_e32 v26, v30, v34
	s_waitcnt vmcnt(3)
	v_fma_f32 v24, v27, v37, -v24
	v_mul_f32_e32 v43, v29, v34
	v_fmac_f32_e32 v42, v28, v37
	v_add_f32_e32 v23, v23, v25
	v_add_f32_e32 v22, v22, v41
	s_waitcnt vmcnt(2)
	v_fma_f32 v25, v29, v38, -v26
	v_fmac_f32_e32 v43, v30, v38
	v_add_f32_e32 v23, v23, v24
	v_add_f32_e32 v22, v22, v42
	;; [unrolled: 1-line block ×4, first 2 shown]
	s_waitcnt vmcnt(1)
	v_sub_f32_e32 v23, v39, v23
	s_waitcnt vmcnt(0)
	v_sub_f32_e32 v22, v40, v22
	buffer_store_dword v23, off, s[0:3], 0 offset:40
	buffer_store_dword v22, off, s[0:3], 0 offset:44
	v_cmpx_lt_u32_e32 4, v0
	s_cbranch_execz .LBB73_65
; %bb.64:
	s_clause 0x1
	buffer_load_dword v22, off, s[0:3], 0 offset:32
	buffer_load_dword v23, off, s[0:3], 0 offset:36
	v_mov_b32_e32 v24, 0
	buffer_store_dword v24, off, s[0:3], 0 offset:32
	buffer_store_dword v24, off, s[0:3], 0 offset:36
	s_waitcnt vmcnt(0)
	ds_write_b64 v21, v[22:23]
.LBB73_65:
	s_or_b32 exec_lo, exec_lo, s4
	s_waitcnt lgkmcnt(0)
	s_waitcnt_vscnt null, 0x0
	s_barrier
	buffer_gl0_inv
	s_clause 0xb
	buffer_load_dword v33, off, s[0:3], 0 offset:44
	buffer_load_dword v34, off, s[0:3], 0 offset:52
	;; [unrolled: 1-line block ×12, first 2 shown]
	v_mov_b32_e32 v22, 0
	ds_read2_b64 v[23:26], v22 offset0:15 offset1:16
	ds_read2_b64 v[27:30], v22 offset0:17 offset1:18
	ds_read_b64 v[31:32], v22 offset:152
	s_mov_b32 s4, exec_lo
	s_waitcnt vmcnt(11) lgkmcnt(2)
	v_mul_f32_e32 v45, v23, v33
	v_mul_f32_e32 v33, v24, v33
	s_waitcnt vmcnt(10)
	v_mul_f32_e32 v46, v25, v34
	v_mul_f32_e32 v34, v26, v34
	s_waitcnt vmcnt(9) lgkmcnt(1)
	v_mul_f32_e32 v47, v27, v35
	s_waitcnt vmcnt(6)
	v_fmac_f32_e32 v45, v24, v38
	v_fma_f32 v23, v23, v38, -v33
	v_mul_f32_e32 v24, v28, v35
	s_waitcnt vmcnt(5)
	v_fma_f32 v25, v25, v39, -v34
	v_fmac_f32_e32 v46, v26, v39
	v_add_f32_e32 v26, 0, v45
	v_add_f32_e32 v23, 0, v23
	v_mul_f32_e32 v33, v30, v36
	s_waitcnt vmcnt(4)
	v_fma_f32 v24, v27, v40, -v24
	v_mul_f32_e32 v48, v29, v36
	v_fmac_f32_e32 v47, v28, v40
	v_add_f32_e32 v23, v23, v25
	v_add_f32_e32 v25, v26, v46
	s_waitcnt lgkmcnt(0)
	v_mul_f32_e32 v26, v32, v37
	s_waitcnt vmcnt(3)
	v_fma_f32 v27, v29, v41, -v33
	v_mul_f32_e32 v49, v31, v37
	v_add_f32_e32 v23, v23, v24
	v_fmac_f32_e32 v48, v30, v41
	v_add_f32_e32 v24, v25, v47
	s_waitcnt vmcnt(2)
	v_fma_f32 v25, v31, v42, -v26
	v_fmac_f32_e32 v49, v32, v42
	v_add_f32_e32 v23, v23, v27
	v_add_f32_e32 v24, v24, v48
	;; [unrolled: 1-line block ×4, first 2 shown]
	s_waitcnt vmcnt(1)
	v_sub_f32_e32 v23, v43, v23
	s_waitcnt vmcnt(0)
	v_sub_f32_e32 v24, v44, v24
	buffer_store_dword v23, off, s[0:3], 0 offset:32
	buffer_store_dword v24, off, s[0:3], 0 offset:36
	v_cmpx_lt_u32_e32 3, v0
	s_cbranch_execz .LBB73_67
; %bb.66:
	s_clause 0x1
	buffer_load_dword v23, off, s[0:3], 0 offset:24
	buffer_load_dword v24, off, s[0:3], 0 offset:28
	buffer_store_dword v22, off, s[0:3], 0 offset:24
	buffer_store_dword v22, off, s[0:3], 0 offset:28
	s_waitcnt vmcnt(0)
	ds_write_b64 v21, v[23:24]
.LBB73_67:
	s_or_b32 exec_lo, exec_lo, s4
	s_waitcnt lgkmcnt(0)
	s_waitcnt_vscnt null, 0x0
	s_barrier
	buffer_gl0_inv
	s_clause 0xd
	buffer_load_dword v35, off, s[0:3], 0 offset:36
	buffer_load_dword v36, off, s[0:3], 0 offset:44
	;; [unrolled: 1-line block ×14, first 2 shown]
	ds_read_b128 v[23:26], v22 offset:112
	ds_read_b128 v[27:30], v22 offset:128
	;; [unrolled: 1-line block ×3, first 2 shown]
	s_mov_b32 s4, exec_lo
	s_waitcnt vmcnt(13) lgkmcnt(2)
	v_mul_f32_e32 v22, v23, v35
	v_mul_f32_e32 v35, v24, v35
	s_waitcnt vmcnt(12)
	v_mul_f32_e32 v49, v25, v36
	v_mul_f32_e32 v36, v26, v36
	s_waitcnt vmcnt(11) lgkmcnt(1)
	v_mul_f32_e32 v50, v27, v37
	s_waitcnt vmcnt(10)
	v_mul_f32_e32 v51, v29, v38
	s_waitcnt vmcnt(7)
	v_fma_f32 v23, v23, v41, -v35
	v_fmac_f32_e32 v22, v24, v41
	v_mul_f32_e32 v24, v28, v37
	s_waitcnt vmcnt(6)
	v_fma_f32 v25, v25, v42, -v36
	v_fmac_f32_e32 v49, v26, v42
	v_add_f32_e32 v23, 0, v23
	v_add_f32_e32 v22, 0, v22
	v_mul_f32_e32 v26, v30, v38
	s_waitcnt vmcnt(5)
	v_fma_f32 v24, v27, v43, -v24
	v_fmac_f32_e32 v50, v28, v43
	v_add_f32_e32 v23, v23, v25
	v_add_f32_e32 v22, v22, v49
	s_waitcnt lgkmcnt(0)
	v_mul_f32_e32 v25, v32, v39
	s_waitcnt vmcnt(4)
	v_fma_f32 v26, v29, v44, -v26
	v_mul_f32_e32 v52, v31, v39
	v_add_f32_e32 v23, v23, v24
	v_fmac_f32_e32 v51, v30, v44
	v_add_f32_e32 v22, v22, v50
	v_mul_f32_e32 v24, v34, v40
	s_waitcnt vmcnt(3)
	v_fma_f32 v25, v31, v45, -v25
	v_add_f32_e32 v23, v23, v26
	v_mul_f32_e32 v53, v33, v40
	v_fmac_f32_e32 v52, v32, v45
	v_add_f32_e32 v22, v22, v51
	s_waitcnt vmcnt(2)
	v_fma_f32 v24, v33, v46, -v24
	v_add_f32_e32 v23, v23, v25
	v_fmac_f32_e32 v53, v34, v46
	v_add_f32_e32 v22, v22, v52
	v_add_f32_e32 v23, v23, v24
	;; [unrolled: 1-line block ×3, first 2 shown]
	s_waitcnt vmcnt(1)
	v_sub_f32_e32 v23, v47, v23
	s_waitcnt vmcnt(0)
	v_sub_f32_e32 v22, v48, v22
	buffer_store_dword v23, off, s[0:3], 0 offset:24
	buffer_store_dword v22, off, s[0:3], 0 offset:28
	v_cmpx_lt_u32_e32 2, v0
	s_cbranch_execz .LBB73_69
; %bb.68:
	s_clause 0x1
	buffer_load_dword v22, off, s[0:3], 0 offset:16
	buffer_load_dword v23, off, s[0:3], 0 offset:20
	v_mov_b32_e32 v24, 0
	buffer_store_dword v24, off, s[0:3], 0 offset:16
	buffer_store_dword v24, off, s[0:3], 0 offset:20
	s_waitcnt vmcnt(0)
	ds_write_b64 v21, v[22:23]
.LBB73_69:
	s_or_b32 exec_lo, exec_lo, s4
	s_waitcnt lgkmcnt(0)
	s_waitcnt_vscnt null, 0x0
	s_barrier
	buffer_gl0_inv
	s_clause 0xf
	buffer_load_dword v37, off, s[0:3], 0 offset:28
	buffer_load_dword v38, off, s[0:3], 0 offset:36
	;; [unrolled: 1-line block ×16, first 2 shown]
	v_mov_b32_e32 v22, 0
	ds_read2_b64 v[23:26], v22 offset0:13 offset1:14
	ds_read2_b64 v[27:30], v22 offset0:15 offset1:16
	ds_read2_b64 v[31:34], v22 offset0:17 offset1:18
	ds_read_b64 v[35:36], v22 offset:152
	s_mov_b32 s4, exec_lo
	s_waitcnt vmcnt(15) lgkmcnt(3)
	v_mul_f32_e32 v53, v23, v37
	v_mul_f32_e32 v37, v24, v37
	s_waitcnt vmcnt(14)
	v_mul_f32_e32 v54, v25, v38
	v_mul_f32_e32 v38, v26, v38
	s_waitcnt vmcnt(13) lgkmcnt(2)
	v_mul_f32_e32 v55, v27, v39
	s_waitcnt vmcnt(12)
	v_mul_f32_e32 v56, v29, v40
	s_waitcnt vmcnt(11) lgkmcnt(1)
	v_mul_f32_e32 v57, v31, v41
	s_waitcnt vmcnt(8)
	v_fma_f32 v23, v23, v44, -v37
	v_fmac_f32_e32 v53, v24, v44
	v_mul_f32_e32 v24, v28, v39
	s_waitcnt vmcnt(7)
	v_fma_f32 v25, v25, v45, -v38
	v_fmac_f32_e32 v54, v26, v45
	v_add_f32_e32 v23, 0, v23
	v_add_f32_e32 v26, 0, v53
	v_mul_f32_e32 v37, v30, v40
	s_waitcnt vmcnt(6)
	v_fma_f32 v24, v27, v46, -v24
	v_fmac_f32_e32 v55, v28, v46
	v_add_f32_e32 v23, v23, v25
	v_add_f32_e32 v25, v26, v54
	;; [unrolled: 6-line block ×3, first 2 shown]
	v_mul_f32_e32 v25, v34, v42
	s_waitcnt vmcnt(4)
	v_fma_f32 v26, v31, v48, -v26
	v_mul_f32_e32 v58, v33, v42
	v_add_f32_e32 v23, v23, v27
	v_fmac_f32_e32 v57, v32, v48
	v_add_f32_e32 v24, v24, v56
	s_waitcnt lgkmcnt(0)
	v_mul_f32_e32 v27, v36, v43
	s_waitcnt vmcnt(3)
	v_fma_f32 v25, v33, v49, -v25
	v_add_f32_e32 v23, v23, v26
	v_mul_f32_e32 v59, v35, v43
	v_fmac_f32_e32 v58, v34, v49
	v_add_f32_e32 v24, v24, v57
	s_waitcnt vmcnt(2)
	v_fma_f32 v26, v35, v50, -v27
	v_add_f32_e32 v23, v23, v25
	v_fmac_f32_e32 v59, v36, v50
	v_add_f32_e32 v24, v24, v58
	v_add_f32_e32 v23, v23, v26
	;; [unrolled: 1-line block ×3, first 2 shown]
	s_waitcnt vmcnt(1)
	v_sub_f32_e32 v23, v51, v23
	s_waitcnt vmcnt(0)
	v_sub_f32_e32 v24, v52, v24
	buffer_store_dword v23, off, s[0:3], 0 offset:16
	buffer_store_dword v24, off, s[0:3], 0 offset:20
	v_cmpx_lt_u32_e32 1, v0
	s_cbranch_execz .LBB73_71
; %bb.70:
	s_clause 0x1
	buffer_load_dword v23, off, s[0:3], 0 offset:8
	buffer_load_dword v24, off, s[0:3], 0 offset:12
	buffer_store_dword v22, off, s[0:3], 0 offset:8
	buffer_store_dword v22, off, s[0:3], 0 offset:12
	s_waitcnt vmcnt(0)
	ds_write_b64 v21, v[23:24]
.LBB73_71:
	s_or_b32 exec_lo, exec_lo, s4
	s_waitcnt lgkmcnt(0)
	s_waitcnt_vscnt null, 0x0
	s_barrier
	buffer_gl0_inv
	s_clause 0x11
	buffer_load_dword v39, off, s[0:3], 0 offset:20
	buffer_load_dword v40, off, s[0:3], 0 offset:28
	buffer_load_dword v41, off, s[0:3], 0 offset:36
	buffer_load_dword v42, off, s[0:3], 0 offset:44
	buffer_load_dword v43, off, s[0:3], 0 offset:52
	buffer_load_dword v44, off, s[0:3], 0 offset:60
	buffer_load_dword v45, off, s[0:3], 0 offset:68
	buffer_load_dword v46, off, s[0:3], 0 offset:76
	buffer_load_dword v47, off, s[0:3], 0 offset:16
	buffer_load_dword v48, off, s[0:3], 0 offset:24
	buffer_load_dword v49, off, s[0:3], 0 offset:32
	buffer_load_dword v50, off, s[0:3], 0 offset:40
	buffer_load_dword v51, off, s[0:3], 0 offset:48
	buffer_load_dword v52, off, s[0:3], 0 offset:56
	buffer_load_dword v53, off, s[0:3], 0 offset:64
	buffer_load_dword v54, off, s[0:3], 0 offset:72
	buffer_load_dword v55, off, s[0:3], 0 offset:8
	buffer_load_dword v56, off, s[0:3], 0 offset:12
	ds_read_b128 v[23:26], v22 offset:96
	ds_read_b128 v[27:30], v22 offset:112
	;; [unrolled: 1-line block ×4, first 2 shown]
	s_mov_b32 s4, exec_lo
	s_waitcnt vmcnt(17) lgkmcnt(3)
	v_mul_f32_e32 v22, v23, v39
	v_mul_f32_e32 v39, v24, v39
	s_waitcnt vmcnt(16)
	v_mul_f32_e32 v57, v25, v40
	v_mul_f32_e32 v40, v26, v40
	s_waitcnt vmcnt(15) lgkmcnt(2)
	v_mul_f32_e32 v58, v27, v41
	s_waitcnt vmcnt(14)
	v_mul_f32_e32 v59, v29, v42
	s_waitcnt vmcnt(13) lgkmcnt(1)
	v_mul_f32_e32 v60, v31, v43
	s_waitcnt vmcnt(12)
	v_mul_f32_e32 v61, v33, v44
	s_waitcnt vmcnt(9)
	v_fma_f32 v23, v23, v47, -v39
	v_fmac_f32_e32 v22, v24, v47
	v_mul_f32_e32 v24, v28, v41
	s_waitcnt vmcnt(8)
	v_fma_f32 v25, v25, v48, -v40
	v_fmac_f32_e32 v57, v26, v48
	v_add_f32_e32 v23, 0, v23
	v_add_f32_e32 v22, 0, v22
	v_mul_f32_e32 v26, v30, v42
	s_waitcnt vmcnt(7)
	v_fma_f32 v24, v27, v49, -v24
	v_fmac_f32_e32 v58, v28, v49
	v_add_f32_e32 v23, v23, v25
	v_add_f32_e32 v22, v22, v57
	;; [unrolled: 6-line block ×4, first 2 shown]
	s_waitcnt lgkmcnt(0)
	v_mul_f32_e32 v26, v36, v45
	s_waitcnt vmcnt(4)
	v_fma_f32 v24, v33, v52, -v24
	v_mul_f32_e32 v62, v35, v45
	v_add_f32_e32 v23, v23, v25
	v_fmac_f32_e32 v61, v34, v52
	v_add_f32_e32 v22, v22, v60
	v_mul_f32_e32 v25, v38, v46
	s_waitcnt vmcnt(3)
	v_fma_f32 v26, v35, v53, -v26
	v_add_f32_e32 v23, v23, v24
	v_mul_f32_e32 v63, v37, v46
	v_fmac_f32_e32 v62, v36, v53
	v_add_f32_e32 v22, v22, v61
	s_waitcnt vmcnt(2)
	v_fma_f32 v24, v37, v54, -v25
	v_add_f32_e32 v23, v23, v26
	v_fmac_f32_e32 v63, v38, v54
	v_add_f32_e32 v22, v22, v62
	v_add_f32_e32 v23, v23, v24
	v_add_f32_e32 v22, v22, v63
	s_waitcnt vmcnt(1)
	v_sub_f32_e32 v23, v55, v23
	s_waitcnt vmcnt(0)
	v_sub_f32_e32 v22, v56, v22
	buffer_store_dword v23, off, s[0:3], 0 offset:8
	buffer_store_dword v22, off, s[0:3], 0 offset:12
	v_cmpx_ne_u32_e32 0, v0
	s_cbranch_execz .LBB73_73
; %bb.72:
	s_clause 0x1
	buffer_load_dword v22, off, s[0:3], 0
	buffer_load_dword v23, off, s[0:3], 0 offset:4
	v_mov_b32_e32 v0, 0
	buffer_store_dword v0, off, s[0:3], 0
	buffer_store_dword v0, off, s[0:3], 0 offset:4
	s_waitcnt vmcnt(0)
	ds_write_b64 v21, v[22:23]
.LBB73_73:
	s_or_b32 exec_lo, exec_lo, s4
	s_waitcnt lgkmcnt(0)
	s_waitcnt_vscnt null, 0x0
	s_barrier
	buffer_gl0_inv
	s_clause 0x13
	buffer_load_dword v41, off, s[0:3], 0 offset:12
	buffer_load_dword v42, off, s[0:3], 0 offset:20
	;; [unrolled: 1-line block ×18, first 2 shown]
	buffer_load_dword v57, off, s[0:3], 0
	buffer_load_dword v58, off, s[0:3], 0 offset:4
	v_mov_b32_e32 v22, 0
	ds_read2_b64 v[23:26], v22 offset0:11 offset1:12
	ds_read2_b64 v[27:30], v22 offset0:13 offset1:14
	;; [unrolled: 1-line block ×4, first 2 shown]
	ds_read_b64 v[39:40], v22 offset:152
	s_and_b32 vcc_lo, exec_lo, s16
	s_waitcnt vmcnt(19) lgkmcnt(4)
	v_mul_f32_e32 v59, v23, v41
	v_mul_f32_e32 v41, v24, v41
	s_waitcnt vmcnt(18)
	v_mul_f32_e32 v60, v25, v42
	v_mul_f32_e32 v42, v26, v42
	s_waitcnt vmcnt(17) lgkmcnt(3)
	v_mul_f32_e32 v61, v27, v43
	s_waitcnt vmcnt(16)
	v_mul_f32_e32 v62, v29, v44
	s_waitcnt vmcnt(15) lgkmcnt(2)
	v_mul_f32_e32 v63, v31, v45
	s_waitcnt vmcnt(14)
	;; [unrolled: 4-line block ×3, first 2 shown]
	v_fma_f32 v23, v23, v49, -v41
	v_fmac_f32_e32 v59, v24, v49
	v_mul_f32_e32 v24, v28, v43
	s_waitcnt vmcnt(9)
	v_fma_f32 v25, v25, v50, -v42
	v_fmac_f32_e32 v60, v26, v50
	v_add_f32_e32 v23, 0, v23
	v_add_f32_e32 v26, 0, v59
	v_mul_f32_e32 v41, v30, v44
	s_waitcnt vmcnt(8)
	v_fma_f32 v24, v27, v51, -v24
	v_fmac_f32_e32 v61, v28, v51
	v_add_f32_e32 v23, v23, v25
	v_add_f32_e32 v25, v26, v60
	;; [unrolled: 6-line block ×5, first 2 shown]
	v_mul_f32_e32 v26, v38, v0
	s_waitcnt vmcnt(4)
	v_fma_f32 v27, v35, v55, -v27
	v_mul_f32_e32 v66, v37, v0
	v_add_f32_e32 v23, v23, v25
	v_fmac_f32_e32 v65, v36, v55
	v_add_f32_e32 v24, v24, v64
	s_waitcnt lgkmcnt(0)
	v_mul_f32_e32 v25, v40, v48
	s_waitcnt vmcnt(2)
	v_fma_f32 v26, v37, v21, -v26
	v_add_f32_e32 v23, v23, v27
	v_mul_f32_e32 v67, v39, v48
	v_fmac_f32_e32 v66, v38, v21
	v_add_f32_e32 v24, v24, v65
	v_fma_f32 v25, v39, v56, -v25
	v_add_f32_e32 v23, v23, v26
	v_fmac_f32_e32 v67, v40, v56
	v_add_f32_e32 v24, v24, v66
	v_add_f32_e32 v23, v23, v25
	;; [unrolled: 1-line block ×3, first 2 shown]
	s_waitcnt vmcnt(1)
	v_sub_f32_e32 v23, v57, v23
	s_waitcnt vmcnt(0)
	v_sub_f32_e32 v24, v58, v24
	buffer_store_dword v23, off, s[0:3], 0
	buffer_store_dword v24, off, s[0:3], 0 offset:4
	s_cbranch_vccz .LBB73_92
; %bb.74:
	global_load_dword v22, v22, s[12:13] offset:32
	s_waitcnt vmcnt(0)
	v_add_nc_u32_e32 v22, -1, v22
	v_cmp_ne_u32_e32 vcc_lo, 8, v22
	s_cbranch_vccz .LBB73_76
; %bb.75:
	v_lshlrev_b32_e32 v22, 3, v22
	s_clause 0x1
	buffer_load_dword v23, v22, s[0:3], 0 offen offset:4
	buffer_load_dword v24, v22, s[0:3], 0 offen
	s_waitcnt vmcnt(1)
	buffer_store_dword v23, off, s[0:3], 0 offset:68
	s_waitcnt vmcnt(0)
	buffer_store_dword v24, off, s[0:3], 0 offset:64
	buffer_store_dword v0, v22, s[0:3], 0 offen offset:4
	buffer_store_dword v21, v22, s[0:3], 0 offen
.LBB73_76:
	v_mov_b32_e32 v0, 0
	global_load_dword v21, v0, s[12:13] offset:28
	s_waitcnt vmcnt(0)
	v_add_nc_u32_e32 v21, -1, v21
	v_cmp_eq_u32_e32 vcc_lo, 7, v21
	s_cbranch_vccnz .LBB73_78
; %bb.77:
	v_lshlrev_b32_e32 v21, 3, v21
	s_clause 0x3
	buffer_load_dword v22, v21, s[0:3], 0 offen
	buffer_load_dword v23, v21, s[0:3], 0 offen offset:4
	buffer_load_dword v24, off, s[0:3], 0 offset:56
	buffer_load_dword v25, off, s[0:3], 0 offset:60
	s_waitcnt vmcnt(3)
	buffer_store_dword v22, off, s[0:3], 0 offset:56
	s_waitcnt vmcnt(2)
	buffer_store_dword v23, off, s[0:3], 0 offset:60
	s_waitcnt vmcnt(1)
	buffer_store_dword v24, v21, s[0:3], 0 offen
	s_waitcnt vmcnt(0)
	buffer_store_dword v25, v21, s[0:3], 0 offen offset:4
.LBB73_78:
	global_load_dword v0, v0, s[12:13] offset:24
	s_waitcnt vmcnt(0)
	v_add_nc_u32_e32 v0, -1, v0
	v_cmp_eq_u32_e32 vcc_lo, 6, v0
	s_cbranch_vccnz .LBB73_80
; %bb.79:
	v_lshlrev_b32_e32 v0, 3, v0
	s_clause 0x3
	buffer_load_dword v21, v0, s[0:3], 0 offen
	buffer_load_dword v22, v0, s[0:3], 0 offen offset:4
	buffer_load_dword v23, off, s[0:3], 0 offset:52
	buffer_load_dword v24, off, s[0:3], 0 offset:48
	s_waitcnt vmcnt(3)
	buffer_store_dword v21, off, s[0:3], 0 offset:48
	s_waitcnt vmcnt(2)
	buffer_store_dword v22, off, s[0:3], 0 offset:52
	s_waitcnt vmcnt(1)
	buffer_store_dword v23, v0, s[0:3], 0 offen offset:4
	s_waitcnt vmcnt(0)
	buffer_store_dword v24, v0, s[0:3], 0 offen
.LBB73_80:
	v_mov_b32_e32 v0, 0
	global_load_dword v21, v0, s[12:13] offset:20
	s_waitcnt vmcnt(0)
	v_add_nc_u32_e32 v21, -1, v21
	v_cmp_eq_u32_e32 vcc_lo, 5, v21
	s_cbranch_vccnz .LBB73_82
; %bb.81:
	v_lshlrev_b32_e32 v21, 3, v21
	s_clause 0x3
	buffer_load_dword v22, v21, s[0:3], 0 offen
	buffer_load_dword v23, v21, s[0:3], 0 offen offset:4
	buffer_load_dword v24, off, s[0:3], 0 offset:40
	buffer_load_dword v25, off, s[0:3], 0 offset:44
	s_waitcnt vmcnt(3)
	buffer_store_dword v22, off, s[0:3], 0 offset:40
	s_waitcnt vmcnt(2)
	buffer_store_dword v23, off, s[0:3], 0 offset:44
	s_waitcnt vmcnt(1)
	buffer_store_dword v24, v21, s[0:3], 0 offen
	s_waitcnt vmcnt(0)
	buffer_store_dword v25, v21, s[0:3], 0 offen offset:4
.LBB73_82:
	global_load_dword v0, v0, s[12:13] offset:16
	s_waitcnt vmcnt(0)
	v_add_nc_u32_e32 v0, -1, v0
	v_cmp_eq_u32_e32 vcc_lo, 4, v0
	s_cbranch_vccnz .LBB73_84
; %bb.83:
	v_lshlrev_b32_e32 v0, 3, v0
	s_clause 0x3
	buffer_load_dword v21, v0, s[0:3], 0 offen
	buffer_load_dword v22, v0, s[0:3], 0 offen offset:4
	buffer_load_dword v23, off, s[0:3], 0 offset:36
	buffer_load_dword v24, off, s[0:3], 0 offset:32
	s_waitcnt vmcnt(3)
	buffer_store_dword v21, off, s[0:3], 0 offset:32
	s_waitcnt vmcnt(2)
	buffer_store_dword v22, off, s[0:3], 0 offset:36
	s_waitcnt vmcnt(1)
	buffer_store_dword v23, v0, s[0:3], 0 offen offset:4
	s_waitcnt vmcnt(0)
	buffer_store_dword v24, v0, s[0:3], 0 offen
.LBB73_84:
	;; [unrolled: 43-line block ×3, first 2 shown]
	v_mov_b32_e32 v0, 0
	global_load_dword v21, v0, s[12:13] offset:4
	s_waitcnt vmcnt(0)
	v_add_nc_u32_e32 v21, -1, v21
	v_cmp_eq_u32_e32 vcc_lo, 1, v21
	s_cbranch_vccnz .LBB73_90
; %bb.89:
	v_lshlrev_b32_e32 v21, 3, v21
	s_clause 0x3
	buffer_load_dword v22, v21, s[0:3], 0 offen
	buffer_load_dword v23, v21, s[0:3], 0 offen offset:4
	buffer_load_dword v24, off, s[0:3], 0 offset:8
	buffer_load_dword v25, off, s[0:3], 0 offset:12
	s_waitcnt vmcnt(3)
	buffer_store_dword v22, off, s[0:3], 0 offset:8
	s_waitcnt vmcnt(2)
	buffer_store_dword v23, off, s[0:3], 0 offset:12
	s_waitcnt vmcnt(1)
	buffer_store_dword v24, v21, s[0:3], 0 offen
	s_waitcnt vmcnt(0)
	buffer_store_dword v25, v21, s[0:3], 0 offen offset:4
.LBB73_90:
	global_load_dword v0, v0, s[12:13]
	s_waitcnt vmcnt(0)
	v_add_nc_u32_e32 v0, -1, v0
	v_cmp_eq_u32_e32 vcc_lo, 0, v0
	s_cbranch_vccnz .LBB73_92
; %bb.91:
	v_lshlrev_b32_e32 v0, 3, v0
	s_clause 0x3
	buffer_load_dword v21, v0, s[0:3], 0 offen
	buffer_load_dword v22, v0, s[0:3], 0 offen offset:4
	buffer_load_dword v23, off, s[0:3], 0 offset:4
	buffer_load_dword v24, off, s[0:3], 0
	s_waitcnt vmcnt(3)
	buffer_store_dword v21, off, s[0:3], 0
	s_waitcnt vmcnt(2)
	buffer_store_dword v22, off, s[0:3], 0 offset:4
	s_waitcnt vmcnt(1)
	buffer_store_dword v23, v0, s[0:3], 0 offen offset:4
	s_waitcnt vmcnt(0)
	buffer_store_dword v24, v0, s[0:3], 0 offen
.LBB73_92:
	s_clause 0x1
	buffer_load_dword v21, off, s[0:3], 0
	buffer_load_dword v22, off, s[0:3], 0 offset:4
	s_waitcnt vmcnt(0)
	flat_store_dwordx2 v[1:2], v[21:22]
	s_clause 0x1
	buffer_load_dword v0, off, s[0:3], 0 offset:8
	buffer_load_dword v1, off, s[0:3], 0 offset:12
	s_waitcnt vmcnt(0)
	flat_store_dwordx2 v[3:4], v[0:1]
	s_clause 0x1
	buffer_load_dword v0, off, s[0:3], 0 offset:16
	buffer_load_dword v1, off, s[0:3], 0 offset:20
	s_waitcnt vmcnt(0)
	flat_store_dwordx2 v[5:6], v[0:1]
	s_clause 0x1
	buffer_load_dword v0, off, s[0:3], 0 offset:24
	buffer_load_dword v1, off, s[0:3], 0 offset:28
	s_waitcnt vmcnt(0)
	flat_store_dwordx2 v[7:8], v[0:1]
	s_clause 0x1
	buffer_load_dword v0, off, s[0:3], 0 offset:32
	buffer_load_dword v1, off, s[0:3], 0 offset:36
	s_waitcnt vmcnt(0)
	flat_store_dwordx2 v[9:10], v[0:1]
	s_clause 0x1
	buffer_load_dword v0, off, s[0:3], 0 offset:40
	buffer_load_dword v1, off, s[0:3], 0 offset:44
	s_waitcnt vmcnt(0)
	flat_store_dwordx2 v[11:12], v[0:1]
	s_clause 0x1
	buffer_load_dword v0, off, s[0:3], 0 offset:48
	buffer_load_dword v1, off, s[0:3], 0 offset:52
	s_waitcnt vmcnt(0)
	flat_store_dwordx2 v[13:14], v[0:1]
	s_clause 0x1
	buffer_load_dword v0, off, s[0:3], 0 offset:56
	buffer_load_dword v1, off, s[0:3], 0 offset:60
	s_waitcnt vmcnt(0)
	flat_store_dwordx2 v[15:16], v[0:1]
	s_clause 0x1
	buffer_load_dword v0, off, s[0:3], 0 offset:64
	buffer_load_dword v1, off, s[0:3], 0 offset:68
	s_waitcnt vmcnt(0)
	flat_store_dwordx2 v[17:18], v[0:1]
	s_clause 0x1
	buffer_load_dword v0, off, s[0:3], 0 offset:72
	buffer_load_dword v1, off, s[0:3], 0 offset:76
	s_waitcnt vmcnt(0)
	flat_store_dwordx2 v[19:20], v[0:1]
	s_endpgm
	.section	.rodata,"a",@progbits
	.p2align	6, 0x0
	.amdhsa_kernel _ZN9rocsolver6v33100L18getri_kernel_smallILi10E19rocblas_complex_numIfEPKPS3_EEvT1_iilPiilS8_bb
		.amdhsa_group_segment_fixed_size 164
		.amdhsa_private_segment_fixed_size 96
		.amdhsa_kernarg_size 60
		.amdhsa_user_sgpr_count 6
		.amdhsa_user_sgpr_private_segment_buffer 1
		.amdhsa_user_sgpr_dispatch_ptr 0
		.amdhsa_user_sgpr_queue_ptr 0
		.amdhsa_user_sgpr_kernarg_segment_ptr 1
		.amdhsa_user_sgpr_dispatch_id 0
		.amdhsa_user_sgpr_flat_scratch_init 0
		.amdhsa_user_sgpr_private_segment_size 0
		.amdhsa_wavefront_size32 1
		.amdhsa_uses_dynamic_stack 0
		.amdhsa_system_sgpr_private_segment_wavefront_offset 1
		.amdhsa_system_sgpr_workgroup_id_x 1
		.amdhsa_system_sgpr_workgroup_id_y 0
		.amdhsa_system_sgpr_workgroup_id_z 0
		.amdhsa_system_sgpr_workgroup_info 0
		.amdhsa_system_vgpr_workitem_id 0
		.amdhsa_next_free_vgpr 68
		.amdhsa_next_free_sgpr 20
		.amdhsa_reserve_vcc 1
		.amdhsa_reserve_flat_scratch 0
		.amdhsa_float_round_mode_32 0
		.amdhsa_float_round_mode_16_64 0
		.amdhsa_float_denorm_mode_32 3
		.amdhsa_float_denorm_mode_16_64 3
		.amdhsa_dx10_clamp 1
		.amdhsa_ieee_mode 1
		.amdhsa_fp16_overflow 0
		.amdhsa_workgroup_processor_mode 1
		.amdhsa_memory_ordered 1
		.amdhsa_forward_progress 1
		.amdhsa_shared_vgpr_count 0
		.amdhsa_exception_fp_ieee_invalid_op 0
		.amdhsa_exception_fp_denorm_src 0
		.amdhsa_exception_fp_ieee_div_zero 0
		.amdhsa_exception_fp_ieee_overflow 0
		.amdhsa_exception_fp_ieee_underflow 0
		.amdhsa_exception_fp_ieee_inexact 0
		.amdhsa_exception_int_div_zero 0
	.end_amdhsa_kernel
	.section	.text._ZN9rocsolver6v33100L18getri_kernel_smallILi10E19rocblas_complex_numIfEPKPS3_EEvT1_iilPiilS8_bb,"axG",@progbits,_ZN9rocsolver6v33100L18getri_kernel_smallILi10E19rocblas_complex_numIfEPKPS3_EEvT1_iilPiilS8_bb,comdat
.Lfunc_end73:
	.size	_ZN9rocsolver6v33100L18getri_kernel_smallILi10E19rocblas_complex_numIfEPKPS3_EEvT1_iilPiilS8_bb, .Lfunc_end73-_ZN9rocsolver6v33100L18getri_kernel_smallILi10E19rocblas_complex_numIfEPKPS3_EEvT1_iilPiilS8_bb
                                        ; -- End function
	.set _ZN9rocsolver6v33100L18getri_kernel_smallILi10E19rocblas_complex_numIfEPKPS3_EEvT1_iilPiilS8_bb.num_vgpr, 68
	.set _ZN9rocsolver6v33100L18getri_kernel_smallILi10E19rocblas_complex_numIfEPKPS3_EEvT1_iilPiilS8_bb.num_agpr, 0
	.set _ZN9rocsolver6v33100L18getri_kernel_smallILi10E19rocblas_complex_numIfEPKPS3_EEvT1_iilPiilS8_bb.numbered_sgpr, 20
	.set _ZN9rocsolver6v33100L18getri_kernel_smallILi10E19rocblas_complex_numIfEPKPS3_EEvT1_iilPiilS8_bb.num_named_barrier, 0
	.set _ZN9rocsolver6v33100L18getri_kernel_smallILi10E19rocblas_complex_numIfEPKPS3_EEvT1_iilPiilS8_bb.private_seg_size, 96
	.set _ZN9rocsolver6v33100L18getri_kernel_smallILi10E19rocblas_complex_numIfEPKPS3_EEvT1_iilPiilS8_bb.uses_vcc, 1
	.set _ZN9rocsolver6v33100L18getri_kernel_smallILi10E19rocblas_complex_numIfEPKPS3_EEvT1_iilPiilS8_bb.uses_flat_scratch, 0
	.set _ZN9rocsolver6v33100L18getri_kernel_smallILi10E19rocblas_complex_numIfEPKPS3_EEvT1_iilPiilS8_bb.has_dyn_sized_stack, 0
	.set _ZN9rocsolver6v33100L18getri_kernel_smallILi10E19rocblas_complex_numIfEPKPS3_EEvT1_iilPiilS8_bb.has_recursion, 0
	.set _ZN9rocsolver6v33100L18getri_kernel_smallILi10E19rocblas_complex_numIfEPKPS3_EEvT1_iilPiilS8_bb.has_indirect_call, 0
	.section	.AMDGPU.csdata,"",@progbits
; Kernel info:
; codeLenInByte = 8988
; TotalNumSgprs: 22
; NumVgprs: 68
; ScratchSize: 96
; MemoryBound: 0
; FloatMode: 240
; IeeeMode: 1
; LDSByteSize: 164 bytes/workgroup (compile time only)
; SGPRBlocks: 0
; VGPRBlocks: 8
; NumSGPRsForWavesPerEU: 22
; NumVGPRsForWavesPerEU: 68
; Occupancy: 12
; WaveLimiterHint : 1
; COMPUTE_PGM_RSRC2:SCRATCH_EN: 1
; COMPUTE_PGM_RSRC2:USER_SGPR: 6
; COMPUTE_PGM_RSRC2:TRAP_HANDLER: 0
; COMPUTE_PGM_RSRC2:TGID_X_EN: 1
; COMPUTE_PGM_RSRC2:TGID_Y_EN: 0
; COMPUTE_PGM_RSRC2:TGID_Z_EN: 0
; COMPUTE_PGM_RSRC2:TIDIG_COMP_CNT: 0
	.section	.text._ZN9rocsolver6v33100L18getri_kernel_smallILi11E19rocblas_complex_numIfEPKPS3_EEvT1_iilPiilS8_bb,"axG",@progbits,_ZN9rocsolver6v33100L18getri_kernel_smallILi11E19rocblas_complex_numIfEPKPS3_EEvT1_iilPiilS8_bb,comdat
	.globl	_ZN9rocsolver6v33100L18getri_kernel_smallILi11E19rocblas_complex_numIfEPKPS3_EEvT1_iilPiilS8_bb ; -- Begin function _ZN9rocsolver6v33100L18getri_kernel_smallILi11E19rocblas_complex_numIfEPKPS3_EEvT1_iilPiilS8_bb
	.p2align	8
	.type	_ZN9rocsolver6v33100L18getri_kernel_smallILi11E19rocblas_complex_numIfEPKPS3_EEvT1_iilPiilS8_bb,@function
_ZN9rocsolver6v33100L18getri_kernel_smallILi11E19rocblas_complex_numIfEPKPS3_EEvT1_iilPiilS8_bb: ; @_ZN9rocsolver6v33100L18getri_kernel_smallILi11E19rocblas_complex_numIfEPKPS3_EEvT1_iilPiilS8_bb
; %bb.0:
	s_add_u32 s0, s0, s7
	s_addc_u32 s1, s1, 0
	s_mov_b32 s7, exec_lo
	v_cmpx_gt_u32_e32 11, v0
	s_cbranch_execz .LBB74_58
; %bb.1:
	s_clause 0x2
	s_load_dword s17, s[4:5], 0x38
	s_load_dwordx2 s[12:13], s[4:5], 0x0
	s_load_dwordx4 s[8:11], s[4:5], 0x28
	s_waitcnt lgkmcnt(0)
	s_bitcmp1_b32 s17, 8
	s_cselect_b32 s16, -1, 0
	s_ashr_i32 s7, s6, 31
	s_lshl_b64 s[14:15], s[6:7], 3
	s_add_u32 s12, s12, s14
	s_addc_u32 s13, s13, s15
	s_load_dwordx2 s[14:15], s[12:13], 0x0
	s_bfe_u32 s12, s17, 0x10008
	s_cmp_eq_u32 s12, 0
                                        ; implicit-def: $sgpr12_sgpr13
	s_cbranch_scc1 .LBB74_3
; %bb.2:
	s_clause 0x1
	s_load_dword s12, s[4:5], 0x20
	s_load_dwordx2 s[18:19], s[4:5], 0x18
	s_mul_i32 s13, s8, s7
	s_mul_hi_u32 s17, s8, s6
	s_mul_i32 s9, s9, s6
	s_add_i32 s13, s17, s13
	s_mul_i32 s8, s8, s6
	s_add_i32 s9, s13, s9
	s_lshl_b64 s[8:9], s[8:9], 2
	s_waitcnt lgkmcnt(0)
	s_ashr_i32 s13, s12, 31
	s_add_u32 s17, s18, s8
	s_addc_u32 s18, s19, s9
	s_lshl_b64 s[8:9], s[12:13], 2
	s_add_u32 s12, s17, s8
	s_addc_u32 s13, s18, s9
.LBB74_3:
	s_clause 0x1
	s_load_dwordx2 s[8:9], s[4:5], 0x8
	s_load_dword s17, s[4:5], 0x38
	v_lshlrev_b32_e32 v25, 3, v0
	s_waitcnt lgkmcnt(0)
	s_ashr_i32 s5, s8, 31
	s_mov_b32 s4, s8
	v_add3_u32 v9, s9, s9, v0
	s_lshl_b64 s[4:5], s[4:5], 3
	s_add_u32 s8, s14, s4
	s_addc_u32 s14, s15, s5
	v_add_co_u32 v1, s4, s8, v25
	v_add_co_ci_u32_e64 v2, null, s14, 0, s4
	s_mov_b32 s4, s9
	s_ashr_i32 s5, s9, 31
	v_ashrrev_i32_e32 v10, 31, v9
	flat_load_dwordx2 v[5:6], v[1:2]
	s_lshl_b64 s[4:5], s[4:5], 3
	v_add_nc_u32_e32 v12, s9, v9
	v_add_co_u32 v3, vcc_lo, v1, s4
	v_add_co_ci_u32_e64 v4, null, s5, v2, vcc_lo
	v_ashrrev_i32_e32 v13, 31, v12
	s_mov_b32 s5, -1
	s_bitcmp0_b32 s17, 0
	s_waitcnt vmcnt(0) lgkmcnt(0)
	buffer_store_dword v6, off, s[0:3], 0 offset:4
	buffer_store_dword v5, off, s[0:3], 0
	flat_load_dwordx2 v[7:8], v[3:4]
	v_lshlrev_b64 v[5:6], 3, v[9:10]
	s_waitcnt vmcnt(0) lgkmcnt(0)
	buffer_store_dword v8, off, s[0:3], 0 offset:12
	buffer_store_dword v7, off, s[0:3], 0 offset:8
	v_add_co_u32 v5, vcc_lo, s8, v5
	v_add_co_ci_u32_e64 v6, null, s14, v6, vcc_lo
	v_lshlrev_b64 v[7:8], 3, v[12:13]
	flat_load_dwordx2 v[10:11], v[5:6]
	s_waitcnt vmcnt(0) lgkmcnt(0)
	buffer_store_dword v11, off, s[0:3], 0 offset:20
	buffer_store_dword v10, off, s[0:3], 0 offset:16
	v_add_co_u32 v7, vcc_lo, s8, v7
	v_add_co_ci_u32_e64 v8, null, s14, v8, vcc_lo
	v_add_nc_u32_e32 v11, s9, v12
	flat_load_dwordx2 v[13:14], v[7:8]
	s_waitcnt vmcnt(0) lgkmcnt(0)
	buffer_store_dword v14, off, s[0:3], 0 offset:28
	buffer_store_dword v13, off, s[0:3], 0 offset:24
	v_ashrrev_i32_e32 v12, 31, v11
	v_add_nc_u32_e32 v15, s9, v11
	v_lshlrev_b64 v[9:10], 3, v[11:12]
	v_ashrrev_i32_e32 v16, 31, v15
	v_add_nc_u32_e32 v18, s9, v15
	v_add_co_u32 v9, vcc_lo, s8, v9
	v_add_co_ci_u32_e64 v10, null, s14, v10, vcc_lo
	v_lshlrev_b64 v[11:12], 3, v[15:16]
	v_ashrrev_i32_e32 v19, 31, v18
	flat_load_dwordx2 v[13:14], v[9:10]
	s_waitcnt vmcnt(0) lgkmcnt(0)
	buffer_store_dword v14, off, s[0:3], 0 offset:36
	buffer_store_dword v13, off, s[0:3], 0 offset:32
	v_add_co_u32 v11, vcc_lo, s8, v11
	v_add_co_ci_u32_e64 v12, null, s14, v12, vcc_lo
	v_lshlrev_b64 v[13:14], 3, v[18:19]
	flat_load_dwordx2 v[16:17], v[11:12]
	s_waitcnt vmcnt(0) lgkmcnt(0)
	buffer_store_dword v17, off, s[0:3], 0 offset:44
	buffer_store_dword v16, off, s[0:3], 0 offset:40
	v_add_co_u32 v13, vcc_lo, s8, v13
	v_add_co_ci_u32_e64 v14, null, s14, v14, vcc_lo
	v_add_nc_u32_e32 v17, s9, v18
	flat_load_dwordx2 v[19:20], v[13:14]
	s_waitcnt vmcnt(0) lgkmcnt(0)
	buffer_store_dword v20, off, s[0:3], 0 offset:52
	buffer_store_dword v19, off, s[0:3], 0 offset:48
	v_ashrrev_i32_e32 v18, 31, v17
	v_add_nc_u32_e32 v21, s9, v17
	v_lshlrev_b64 v[15:16], 3, v[17:18]
	v_ashrrev_i32_e32 v22, 31, v21
	v_add_nc_u32_e32 v26, s9, v21
	v_add_co_u32 v15, vcc_lo, s8, v15
	v_add_co_ci_u32_e64 v16, null, s14, v16, vcc_lo
	v_lshlrev_b64 v[17:18], 3, v[21:22]
	v_ashrrev_i32_e32 v27, 31, v26
	v_add_nc_u32_e32 v21, s9, v26
	flat_load_dwordx2 v[19:20], v[15:16]
	s_waitcnt vmcnt(0) lgkmcnt(0)
	buffer_store_dword v20, off, s[0:3], 0 offset:60
	buffer_store_dword v19, off, s[0:3], 0 offset:56
	v_add_co_u32 v17, vcc_lo, s8, v17
	v_add_co_ci_u32_e64 v18, null, s14, v18, vcc_lo
	v_lshlrev_b64 v[19:20], 3, v[26:27]
	flat_load_dwordx2 v[22:23], v[17:18]
	s_waitcnt vmcnt(0) lgkmcnt(0)
	buffer_store_dword v23, off, s[0:3], 0 offset:68
	buffer_store_dword v22, off, s[0:3], 0 offset:64
	v_add_co_u32 v19, vcc_lo, s8, v19
	v_add_co_ci_u32_e64 v20, null, s14, v20, vcc_lo
	v_ashrrev_i32_e32 v22, 31, v21
	flat_load_dwordx2 v[23:24], v[19:20]
	s_waitcnt vmcnt(0) lgkmcnt(0)
	buffer_store_dword v24, off, s[0:3], 0 offset:76
	buffer_store_dword v23, off, s[0:3], 0 offset:72
	v_lshlrev_b64 v[21:22], 3, v[21:22]
	v_add_co_u32 v21, vcc_lo, s8, v21
	v_add_co_ci_u32_e64 v22, null, s14, v22, vcc_lo
	flat_load_dwordx2 v[23:24], v[21:22]
	s_waitcnt vmcnt(0) lgkmcnt(0)
	buffer_store_dword v24, off, s[0:3], 0 offset:84
	buffer_store_dword v23, off, s[0:3], 0 offset:80
	s_cbranch_scc1 .LBB74_56
; %bb.4:
	v_cmp_eq_u32_e64 s4, 0, v0
	s_and_saveexec_b32 s5, s4
; %bb.5:
	v_mov_b32_e32 v23, 0
	ds_write_b32 v23, v23 offset:88
; %bb.6:
	s_or_b32 exec_lo, exec_lo, s5
	v_lshl_add_u32 v27, v0, 3, 0
	s_waitcnt lgkmcnt(0)
	s_waitcnt_vscnt null, 0x0
	s_barrier
	buffer_gl0_inv
	s_clause 0x1
	buffer_load_dword v23, v27, s[0:3], 0 offen
	buffer_load_dword v24, v27, s[0:3], 0 offen offset:4
	s_waitcnt vmcnt(1)
	v_cmp_eq_f32_e32 vcc_lo, 0, v23
	s_waitcnt vmcnt(0)
	v_cmp_eq_f32_e64 s5, 0, v24
	s_and_b32 s5, vcc_lo, s5
	s_and_saveexec_b32 s8, s5
	s_cbranch_execz .LBB74_10
; %bb.7:
	v_mov_b32_e32 v23, 0
	s_mov_b32 s9, 0
	ds_read_b32 v24, v23 offset:88
	s_waitcnt lgkmcnt(0)
	v_readfirstlane_b32 s5, v24
	v_add_nc_u32_e32 v24, 1, v0
	s_cmp_eq_u32 s5, 0
	v_cmp_gt_i32_e32 vcc_lo, s5, v24
	s_cselect_b32 s14, -1, 0
	s_or_b32 s14, s14, vcc_lo
	s_and_b32 exec_lo, exec_lo, s14
	s_cbranch_execz .LBB74_10
; %bb.8:
	v_mov_b32_e32 v26, s5
.LBB74_9:                               ; =>This Inner Loop Header: Depth=1
	ds_cmpst_rtn_b32 v26, v23, v26, v24 offset:88
	s_waitcnt lgkmcnt(0)
	v_cmp_ne_u32_e32 vcc_lo, 0, v26
	v_cmp_le_i32_e64 s5, v26, v24
	s_and_b32 s5, vcc_lo, s5
	s_and_b32 s5, exec_lo, s5
	s_or_b32 s9, s5, s9
	s_andn2_b32 exec_lo, exec_lo, s9
	s_cbranch_execnz .LBB74_9
.LBB74_10:
	s_or_b32 exec_lo, exec_lo, s8
	v_mov_b32_e32 v23, 0
	s_barrier
	buffer_gl0_inv
	ds_read_b32 v24, v23 offset:88
	s_and_saveexec_b32 s5, s4
	s_cbranch_execz .LBB74_12
; %bb.11:
	s_lshl_b64 s[8:9], s[6:7], 2
	s_add_u32 s8, s10, s8
	s_addc_u32 s9, s11, s9
	s_waitcnt lgkmcnt(0)
	global_store_dword v23, v24, s[8:9]
.LBB74_12:
	s_or_b32 exec_lo, exec_lo, s5
	s_waitcnt lgkmcnt(0)
	v_cmp_ne_u32_e32 vcc_lo, 0, v24
	s_mov_b32 s5, 0
	s_cbranch_vccnz .LBB74_56
; %bb.13:
	s_clause 0x1
	buffer_load_dword v24, v27, s[0:3], 0 offen
	buffer_load_dword v26, v27, s[0:3], 0 offen offset:4
                                        ; implicit-def: $vgpr29
                                        ; implicit-def: $vgpr28
                                        ; implicit-def: $vgpr23
	s_waitcnt vmcnt(0)
	v_cmp_ngt_f32_e64 s5, |v24|, |v26|
	s_and_saveexec_b32 s8, s5
	s_xor_b32 s5, exec_lo, s8
	s_cbranch_execz .LBB74_15
; %bb.14:
	v_div_scale_f32 v23, null, v26, v26, v24
	v_div_scale_f32 v30, vcc_lo, v24, v26, v24
	v_rcp_f32_e32 v28, v23
	v_fma_f32 v29, -v23, v28, 1.0
	v_fmac_f32_e32 v28, v29, v28
	v_mul_f32_e32 v29, v30, v28
	v_fma_f32 v31, -v23, v29, v30
	v_fmac_f32_e32 v29, v31, v28
	v_fma_f32 v23, -v23, v29, v30
	v_div_fmas_f32 v23, v23, v28, v29
	v_div_fixup_f32 v23, v23, v26, v24
	v_fmac_f32_e32 v26, v24, v23
	v_div_scale_f32 v24, null, v26, v26, 1.0
	v_rcp_f32_e32 v28, v24
	v_fma_f32 v29, -v24, v28, 1.0
	v_fmac_f32_e32 v28, v29, v28
	v_div_scale_f32 v29, vcc_lo, 1.0, v26, 1.0
	v_mul_f32_e32 v30, v29, v28
	v_fma_f32 v31, -v24, v30, v29
	v_fmac_f32_e32 v30, v31, v28
	v_fma_f32 v24, -v24, v30, v29
	v_div_fmas_f32 v24, v24, v28, v30
	v_div_fixup_f32 v24, v24, v26, 1.0
                                        ; implicit-def: $vgpr26
	v_mul_f32_e32 v29, v23, v24
	v_xor_b32_e32 v28, 0x80000000, v24
                                        ; implicit-def: $vgpr24
	v_xor_b32_e32 v23, 0x80000000, v29
.LBB74_15:
	s_andn2_saveexec_b32 s5, s5
	s_cbranch_execz .LBB74_17
; %bb.16:
	v_div_scale_f32 v23, null, v24, v24, v26
	v_div_scale_f32 v30, vcc_lo, v26, v24, v26
	v_rcp_f32_e32 v28, v23
	v_fma_f32 v29, -v23, v28, 1.0
	v_fmac_f32_e32 v28, v29, v28
	v_mul_f32_e32 v29, v30, v28
	v_fma_f32 v31, -v23, v29, v30
	v_fmac_f32_e32 v29, v31, v28
	v_fma_f32 v23, -v23, v29, v30
	v_div_fmas_f32 v23, v23, v28, v29
	v_div_fixup_f32 v28, v23, v24, v26
	v_fmac_f32_e32 v24, v26, v28
	v_div_scale_f32 v23, null, v24, v24, 1.0
	v_div_scale_f32 v30, vcc_lo, 1.0, v24, 1.0
	v_rcp_f32_e32 v26, v23
	v_fma_f32 v29, -v23, v26, 1.0
	v_fmac_f32_e32 v26, v29, v26
	v_mul_f32_e32 v29, v30, v26
	v_fma_f32 v31, -v23, v29, v30
	v_fmac_f32_e32 v29, v31, v26
	v_fma_f32 v23, -v23, v29, v30
	v_div_fmas_f32 v23, v23, v26, v29
	v_div_fixup_f32 v29, v23, v24, 1.0
	v_xor_b32_e32 v23, 0x80000000, v29
	v_mul_f32_e64 v28, v28, -v29
.LBB74_17:
	s_or_b32 exec_lo, exec_lo, s5
	buffer_store_dword v29, v27, s[0:3], 0 offen
	buffer_store_dword v28, v27, s[0:3], 0 offen offset:4
	s_clause 0x1
	buffer_load_dword v30, off, s[0:3], 0 offset:12
	buffer_load_dword v29, off, s[0:3], 0 offset:8
	v_xor_b32_e32 v24, 0x80000000, v28
	v_add_nc_u32_e32 v26, 0x60, v25
	s_waitcnt vmcnt(0)
	ds_write2_b64 v25, v[23:24], v[29:30] offset1:12
	s_waitcnt lgkmcnt(0)
	s_waitcnt_vscnt null, 0x0
	s_barrier
	buffer_gl0_inv
	s_and_saveexec_b32 s5, s4
	s_cbranch_execz .LBB74_19
; %bb.18:
	s_clause 0x1
	buffer_load_dword v30, v27, s[0:3], 0 offen offset:4
	buffer_load_dword v31, v27, s[0:3], 0 offen
	ds_read_b64 v[23:24], v26
	v_mov_b32_e32 v28, 0
	ds_read_b64 v[28:29], v28 offset:8
	s_waitcnt vmcnt(1) lgkmcnt(1)
	v_mul_f32_e32 v32, v23, v30
	v_mul_f32_e32 v30, v24, v30
	s_waitcnt vmcnt(0)
	v_fmac_f32_e32 v32, v24, v31
	v_fma_f32 v23, v23, v31, -v30
	v_add_f32_e32 v24, 0, v32
	v_add_f32_e32 v23, 0, v23
	s_waitcnt lgkmcnt(0)
	v_mul_f32_e32 v30, v24, v29
	v_mul_f32_e32 v29, v23, v29
	v_fma_f32 v23, v23, v28, -v30
	v_fmac_f32_e32 v29, v24, v28
	buffer_store_dword v23, off, s[0:3], 0 offset:8
	buffer_store_dword v29, off, s[0:3], 0 offset:12
.LBB74_19:
	s_or_b32 exec_lo, exec_lo, s5
	s_waitcnt_vscnt null, 0x0
	s_barrier
	buffer_gl0_inv
	s_clause 0x1
	buffer_load_dword v23, off, s[0:3], 0 offset:16
	buffer_load_dword v24, off, s[0:3], 0 offset:20
	s_mov_b32 s5, exec_lo
	s_waitcnt vmcnt(0)
	ds_write_b64 v26, v[23:24]
	s_waitcnt lgkmcnt(0)
	s_barrier
	buffer_gl0_inv
	v_cmpx_gt_u32_e32 2, v0
	s_cbranch_execz .LBB74_23
; %bb.20:
	s_clause 0x1
	buffer_load_dword v28, v27, s[0:3], 0 offen offset:4
	buffer_load_dword v27, v27, s[0:3], 0 offen
	ds_read_b64 v[23:24], v26
	s_waitcnt vmcnt(1) lgkmcnt(0)
	v_mul_f32_e32 v29, v24, v28
	v_mul_f32_e32 v28, v23, v28
	s_waitcnt vmcnt(0)
	v_fma_f32 v23, v23, v27, -v29
	v_fmac_f32_e32 v28, v24, v27
	v_add_f32_e32 v24, 0, v23
	v_add_f32_e32 v23, 0, v28
	s_and_saveexec_b32 s8, s4
	s_cbranch_execz .LBB74_22
; %bb.21:
	s_clause 0x1
	buffer_load_dword v29, off, s[0:3], 0 offset:12
	buffer_load_dword v30, off, s[0:3], 0 offset:8
	v_mov_b32_e32 v27, 0
	ds_read_b64 v[27:28], v27 offset:104
	s_waitcnt vmcnt(1) lgkmcnt(0)
	v_mul_f32_e32 v31, v27, v29
	v_mul_f32_e32 v29, v28, v29
	s_waitcnt vmcnt(0)
	v_fmac_f32_e32 v31, v28, v30
	v_fma_f32 v27, v27, v30, -v29
	v_add_f32_e32 v23, v23, v31
	v_add_f32_e32 v24, v24, v27
.LBB74_22:
	s_or_b32 exec_lo, exec_lo, s8
	v_mov_b32_e32 v27, 0
	ds_read_b64 v[27:28], v27 offset:16
	s_waitcnt lgkmcnt(0)
	v_mul_f32_e32 v29, v23, v28
	v_mul_f32_e32 v28, v24, v28
	v_fma_f32 v24, v24, v27, -v29
	v_fmac_f32_e32 v28, v23, v27
	buffer_store_dword v24, off, s[0:3], 0 offset:16
	buffer_store_dword v28, off, s[0:3], 0 offset:20
.LBB74_23:
	s_or_b32 exec_lo, exec_lo, s5
	s_waitcnt_vscnt null, 0x0
	s_barrier
	buffer_gl0_inv
	s_clause 0x1
	buffer_load_dword v27, off, s[0:3], 0 offset:24
	buffer_load_dword v28, off, s[0:3], 0 offset:28
	v_add_nc_u32_e32 v23, -1, v0
	s_mov_b32 s4, exec_lo
	s_waitcnt vmcnt(0)
	ds_write_b64 v26, v[27:28]
	s_waitcnt lgkmcnt(0)
	s_barrier
	buffer_gl0_inv
	v_cmpx_gt_u32_e32 3, v0
	s_cbranch_execz .LBB74_27
; %bb.24:
	v_add_nc_u32_e32 v27, -1, v0
	v_add_nc_u32_e32 v28, 0x60, v25
	v_mov_b32_e32 v29, v25
	v_mov_b32_e32 v24, 0
	;; [unrolled: 1-line block ×3, first 2 shown]
	s_mov_b32 s5, 0
	.p2align	6
.LBB74_25:                              ; =>This Inner Loop Header: Depth=1
	s_clause 0x1
	buffer_load_dword v33, v29, s[0:3], 0 offen offset:4
	buffer_load_dword v34, v29, s[0:3], 0 offen
	ds_read_b64 v[31:32], v28
	v_add_nc_u32_e32 v27, 1, v27
	v_add_nc_u32_e32 v28, 8, v28
	;; [unrolled: 1-line block ×3, first 2 shown]
	v_cmp_lt_u32_e32 vcc_lo, 1, v27
	s_or_b32 s5, vcc_lo, s5
	s_waitcnt vmcnt(1) lgkmcnt(0)
	v_mul_f32_e32 v35, v32, v33
	v_mul_f32_e32 v33, v31, v33
	s_waitcnt vmcnt(0)
	v_fma_f32 v31, v31, v34, -v35
	v_fmac_f32_e32 v33, v32, v34
	v_add_f32_e32 v30, v30, v31
	v_add_f32_e32 v24, v24, v33
	s_andn2_b32 exec_lo, exec_lo, s5
	s_cbranch_execnz .LBB74_25
; %bb.26:
	s_or_b32 exec_lo, exec_lo, s5
	v_mov_b32_e32 v27, 0
	ds_read_b64 v[27:28], v27 offset:24
	s_waitcnt lgkmcnt(0)
	v_mul_f32_e32 v29, v24, v28
	v_mul_f32_e32 v28, v30, v28
	v_fma_f32 v29, v30, v27, -v29
	v_fmac_f32_e32 v28, v24, v27
	buffer_store_dword v29, off, s[0:3], 0 offset:24
	buffer_store_dword v28, off, s[0:3], 0 offset:28
.LBB74_27:
	s_or_b32 exec_lo, exec_lo, s4
	s_waitcnt_vscnt null, 0x0
	s_barrier
	buffer_gl0_inv
	s_clause 0x1
	buffer_load_dword v27, off, s[0:3], 0 offset:32
	buffer_load_dword v28, off, s[0:3], 0 offset:36
	s_mov_b32 s4, exec_lo
	s_waitcnt vmcnt(0)
	ds_write_b64 v26, v[27:28]
	s_waitcnt lgkmcnt(0)
	s_barrier
	buffer_gl0_inv
	v_cmpx_gt_u32_e32 4, v0
	s_cbranch_execz .LBB74_31
; %bb.28:
	v_add_nc_u32_e32 v27, -1, v0
	v_add_nc_u32_e32 v28, 0x60, v25
	v_mov_b32_e32 v29, v25
	v_mov_b32_e32 v24, 0
	;; [unrolled: 1-line block ×3, first 2 shown]
	s_mov_b32 s5, 0
	.p2align	6
.LBB74_29:                              ; =>This Inner Loop Header: Depth=1
	s_clause 0x1
	buffer_load_dword v33, v29, s[0:3], 0 offen offset:4
	buffer_load_dword v34, v29, s[0:3], 0 offen
	ds_read_b64 v[31:32], v28
	v_add_nc_u32_e32 v27, 1, v27
	v_add_nc_u32_e32 v28, 8, v28
	;; [unrolled: 1-line block ×3, first 2 shown]
	v_cmp_lt_u32_e32 vcc_lo, 2, v27
	s_or_b32 s5, vcc_lo, s5
	s_waitcnt vmcnt(1) lgkmcnt(0)
	v_mul_f32_e32 v35, v32, v33
	v_mul_f32_e32 v33, v31, v33
	s_waitcnt vmcnt(0)
	v_fma_f32 v31, v31, v34, -v35
	v_fmac_f32_e32 v33, v32, v34
	v_add_f32_e32 v30, v30, v31
	v_add_f32_e32 v24, v24, v33
	s_andn2_b32 exec_lo, exec_lo, s5
	s_cbranch_execnz .LBB74_29
; %bb.30:
	s_or_b32 exec_lo, exec_lo, s5
	v_mov_b32_e32 v27, 0
	ds_read_b64 v[27:28], v27 offset:32
	s_waitcnt lgkmcnt(0)
	v_mul_f32_e32 v29, v24, v28
	v_mul_f32_e32 v28, v30, v28
	v_fma_f32 v29, v30, v27, -v29
	v_fmac_f32_e32 v28, v24, v27
	buffer_store_dword v29, off, s[0:3], 0 offset:32
	buffer_store_dword v28, off, s[0:3], 0 offset:36
.LBB74_31:
	s_or_b32 exec_lo, exec_lo, s4
	s_waitcnt_vscnt null, 0x0
	s_barrier
	buffer_gl0_inv
	s_clause 0x1
	buffer_load_dword v27, off, s[0:3], 0 offset:40
	buffer_load_dword v28, off, s[0:3], 0 offset:44
	s_mov_b32 s4, exec_lo
	s_waitcnt vmcnt(0)
	ds_write_b64 v26, v[27:28]
	s_waitcnt lgkmcnt(0)
	s_barrier
	buffer_gl0_inv
	v_cmpx_gt_u32_e32 5, v0
	s_cbranch_execz .LBB74_35
; %bb.32:
	v_add_nc_u32_e32 v27, -1, v0
	v_add_nc_u32_e32 v28, 0x60, v25
	v_mov_b32_e32 v29, v25
	v_mov_b32_e32 v24, 0
	;; [unrolled: 1-line block ×3, first 2 shown]
	s_mov_b32 s5, 0
	.p2align	6
.LBB74_33:                              ; =>This Inner Loop Header: Depth=1
	s_clause 0x1
	buffer_load_dword v33, v29, s[0:3], 0 offen offset:4
	buffer_load_dword v34, v29, s[0:3], 0 offen
	ds_read_b64 v[31:32], v28
	v_add_nc_u32_e32 v27, 1, v27
	v_add_nc_u32_e32 v28, 8, v28
	;; [unrolled: 1-line block ×3, first 2 shown]
	v_cmp_lt_u32_e32 vcc_lo, 3, v27
	s_or_b32 s5, vcc_lo, s5
	s_waitcnt vmcnt(1) lgkmcnt(0)
	v_mul_f32_e32 v35, v32, v33
	v_mul_f32_e32 v33, v31, v33
	s_waitcnt vmcnt(0)
	v_fma_f32 v31, v31, v34, -v35
	v_fmac_f32_e32 v33, v32, v34
	v_add_f32_e32 v30, v30, v31
	v_add_f32_e32 v24, v24, v33
	s_andn2_b32 exec_lo, exec_lo, s5
	s_cbranch_execnz .LBB74_33
; %bb.34:
	s_or_b32 exec_lo, exec_lo, s5
	v_mov_b32_e32 v27, 0
	ds_read_b64 v[27:28], v27 offset:40
	s_waitcnt lgkmcnt(0)
	v_mul_f32_e32 v29, v24, v28
	v_mul_f32_e32 v28, v30, v28
	v_fma_f32 v29, v30, v27, -v29
	v_fmac_f32_e32 v28, v24, v27
	buffer_store_dword v29, off, s[0:3], 0 offset:40
	buffer_store_dword v28, off, s[0:3], 0 offset:44
.LBB74_35:
	s_or_b32 exec_lo, exec_lo, s4
	s_waitcnt_vscnt null, 0x0
	s_barrier
	buffer_gl0_inv
	s_clause 0x1
	buffer_load_dword v27, off, s[0:3], 0 offset:48
	buffer_load_dword v28, off, s[0:3], 0 offset:52
	s_mov_b32 s4, exec_lo
	s_waitcnt vmcnt(0)
	ds_write_b64 v26, v[27:28]
	s_waitcnt lgkmcnt(0)
	s_barrier
	buffer_gl0_inv
	v_cmpx_gt_u32_e32 6, v0
	s_cbranch_execz .LBB74_39
; %bb.36:
	v_add_nc_u32_e32 v27, -1, v0
	v_add_nc_u32_e32 v28, 0x60, v25
	v_mov_b32_e32 v29, v25
	v_mov_b32_e32 v24, 0
	;; [unrolled: 1-line block ×3, first 2 shown]
	s_mov_b32 s5, 0
	.p2align	6
.LBB74_37:                              ; =>This Inner Loop Header: Depth=1
	s_clause 0x1
	buffer_load_dword v33, v29, s[0:3], 0 offen offset:4
	buffer_load_dword v34, v29, s[0:3], 0 offen
	ds_read_b64 v[31:32], v28
	v_add_nc_u32_e32 v27, 1, v27
	v_add_nc_u32_e32 v28, 8, v28
	v_add_nc_u32_e32 v29, 8, v29
	v_cmp_lt_u32_e32 vcc_lo, 4, v27
	s_or_b32 s5, vcc_lo, s5
	s_waitcnt vmcnt(1) lgkmcnt(0)
	v_mul_f32_e32 v35, v32, v33
	v_mul_f32_e32 v33, v31, v33
	s_waitcnt vmcnt(0)
	v_fma_f32 v31, v31, v34, -v35
	v_fmac_f32_e32 v33, v32, v34
	v_add_f32_e32 v30, v30, v31
	v_add_f32_e32 v24, v24, v33
	s_andn2_b32 exec_lo, exec_lo, s5
	s_cbranch_execnz .LBB74_37
; %bb.38:
	s_or_b32 exec_lo, exec_lo, s5
	v_mov_b32_e32 v27, 0
	ds_read_b64 v[27:28], v27 offset:48
	s_waitcnt lgkmcnt(0)
	v_mul_f32_e32 v29, v24, v28
	v_mul_f32_e32 v28, v30, v28
	v_fma_f32 v29, v30, v27, -v29
	v_fmac_f32_e32 v28, v24, v27
	buffer_store_dword v29, off, s[0:3], 0 offset:48
	buffer_store_dword v28, off, s[0:3], 0 offset:52
.LBB74_39:
	s_or_b32 exec_lo, exec_lo, s4
	s_waitcnt_vscnt null, 0x0
	s_barrier
	buffer_gl0_inv
	s_clause 0x1
	buffer_load_dword v27, off, s[0:3], 0 offset:56
	buffer_load_dword v28, off, s[0:3], 0 offset:60
	s_mov_b32 s4, exec_lo
	s_waitcnt vmcnt(0)
	ds_write_b64 v26, v[27:28]
	s_waitcnt lgkmcnt(0)
	s_barrier
	buffer_gl0_inv
	v_cmpx_gt_u32_e32 7, v0
	s_cbranch_execz .LBB74_43
; %bb.40:
	v_add_nc_u32_e32 v27, -1, v0
	v_add_nc_u32_e32 v28, 0x60, v25
	v_mov_b32_e32 v29, v25
	v_mov_b32_e32 v24, 0
	;; [unrolled: 1-line block ×3, first 2 shown]
	s_mov_b32 s5, 0
	.p2align	6
.LBB74_41:                              ; =>This Inner Loop Header: Depth=1
	s_clause 0x1
	buffer_load_dword v33, v29, s[0:3], 0 offen offset:4
	buffer_load_dword v34, v29, s[0:3], 0 offen
	ds_read_b64 v[31:32], v28
	v_add_nc_u32_e32 v27, 1, v27
	v_add_nc_u32_e32 v28, 8, v28
	v_add_nc_u32_e32 v29, 8, v29
	v_cmp_lt_u32_e32 vcc_lo, 5, v27
	s_or_b32 s5, vcc_lo, s5
	s_waitcnt vmcnt(1) lgkmcnt(0)
	v_mul_f32_e32 v35, v32, v33
	v_mul_f32_e32 v33, v31, v33
	s_waitcnt vmcnt(0)
	v_fma_f32 v31, v31, v34, -v35
	v_fmac_f32_e32 v33, v32, v34
	v_add_f32_e32 v30, v30, v31
	v_add_f32_e32 v24, v24, v33
	s_andn2_b32 exec_lo, exec_lo, s5
	s_cbranch_execnz .LBB74_41
; %bb.42:
	s_or_b32 exec_lo, exec_lo, s5
	v_mov_b32_e32 v27, 0
	ds_read_b64 v[27:28], v27 offset:56
	s_waitcnt lgkmcnt(0)
	v_mul_f32_e32 v29, v24, v28
	v_mul_f32_e32 v28, v30, v28
	v_fma_f32 v29, v30, v27, -v29
	v_fmac_f32_e32 v28, v24, v27
	buffer_store_dword v29, off, s[0:3], 0 offset:56
	buffer_store_dword v28, off, s[0:3], 0 offset:60
.LBB74_43:
	s_or_b32 exec_lo, exec_lo, s4
	s_waitcnt_vscnt null, 0x0
	s_barrier
	buffer_gl0_inv
	s_clause 0x1
	buffer_load_dword v27, off, s[0:3], 0 offset:64
	buffer_load_dword v28, off, s[0:3], 0 offset:68
	s_mov_b32 s4, exec_lo
	s_waitcnt vmcnt(0)
	ds_write_b64 v26, v[27:28]
	s_waitcnt lgkmcnt(0)
	s_barrier
	buffer_gl0_inv
	v_cmpx_gt_u32_e32 8, v0
	s_cbranch_execz .LBB74_47
; %bb.44:
	v_add_nc_u32_e32 v27, -1, v0
	v_add_nc_u32_e32 v28, 0x60, v25
	v_mov_b32_e32 v29, v25
	v_mov_b32_e32 v24, 0
	;; [unrolled: 1-line block ×3, first 2 shown]
	s_mov_b32 s5, 0
	.p2align	6
.LBB74_45:                              ; =>This Inner Loop Header: Depth=1
	s_clause 0x1
	buffer_load_dword v33, v29, s[0:3], 0 offen offset:4
	buffer_load_dword v34, v29, s[0:3], 0 offen
	ds_read_b64 v[31:32], v28
	v_add_nc_u32_e32 v27, 1, v27
	v_add_nc_u32_e32 v28, 8, v28
	;; [unrolled: 1-line block ×3, first 2 shown]
	v_cmp_lt_u32_e32 vcc_lo, 6, v27
	s_or_b32 s5, vcc_lo, s5
	s_waitcnt vmcnt(1) lgkmcnt(0)
	v_mul_f32_e32 v35, v32, v33
	v_mul_f32_e32 v33, v31, v33
	s_waitcnt vmcnt(0)
	v_fma_f32 v31, v31, v34, -v35
	v_fmac_f32_e32 v33, v32, v34
	v_add_f32_e32 v30, v30, v31
	v_add_f32_e32 v24, v24, v33
	s_andn2_b32 exec_lo, exec_lo, s5
	s_cbranch_execnz .LBB74_45
; %bb.46:
	s_or_b32 exec_lo, exec_lo, s5
	v_mov_b32_e32 v27, 0
	ds_read_b64 v[27:28], v27 offset:64
	s_waitcnt lgkmcnt(0)
	v_mul_f32_e32 v29, v24, v28
	v_mul_f32_e32 v28, v30, v28
	v_fma_f32 v29, v30, v27, -v29
	v_fmac_f32_e32 v28, v24, v27
	buffer_store_dword v29, off, s[0:3], 0 offset:64
	buffer_store_dword v28, off, s[0:3], 0 offset:68
.LBB74_47:
	s_or_b32 exec_lo, exec_lo, s4
	s_waitcnt_vscnt null, 0x0
	s_barrier
	buffer_gl0_inv
	s_clause 0x1
	buffer_load_dword v27, off, s[0:3], 0 offset:72
	buffer_load_dword v28, off, s[0:3], 0 offset:76
	s_mov_b32 s4, exec_lo
	s_waitcnt vmcnt(0)
	ds_write_b64 v26, v[27:28]
	s_waitcnt lgkmcnt(0)
	s_barrier
	buffer_gl0_inv
	v_cmpx_gt_u32_e32 9, v0
	s_cbranch_execz .LBB74_51
; %bb.48:
	v_add_nc_u32_e32 v27, -1, v0
	v_add_nc_u32_e32 v28, 0x60, v25
	v_mov_b32_e32 v29, v25
	v_mov_b32_e32 v24, 0
	;; [unrolled: 1-line block ×3, first 2 shown]
	s_mov_b32 s5, 0
	.p2align	6
.LBB74_49:                              ; =>This Inner Loop Header: Depth=1
	s_clause 0x1
	buffer_load_dword v33, v29, s[0:3], 0 offen offset:4
	buffer_load_dword v34, v29, s[0:3], 0 offen
	ds_read_b64 v[31:32], v28
	v_add_nc_u32_e32 v27, 1, v27
	v_add_nc_u32_e32 v28, 8, v28
	;; [unrolled: 1-line block ×3, first 2 shown]
	v_cmp_lt_u32_e32 vcc_lo, 7, v27
	s_or_b32 s5, vcc_lo, s5
	s_waitcnt vmcnt(1) lgkmcnt(0)
	v_mul_f32_e32 v35, v32, v33
	v_mul_f32_e32 v33, v31, v33
	s_waitcnt vmcnt(0)
	v_fma_f32 v31, v31, v34, -v35
	v_fmac_f32_e32 v33, v32, v34
	v_add_f32_e32 v30, v30, v31
	v_add_f32_e32 v24, v24, v33
	s_andn2_b32 exec_lo, exec_lo, s5
	s_cbranch_execnz .LBB74_49
; %bb.50:
	s_or_b32 exec_lo, exec_lo, s5
	v_mov_b32_e32 v27, 0
	ds_read_b64 v[27:28], v27 offset:72
	s_waitcnt lgkmcnt(0)
	v_mul_f32_e32 v29, v24, v28
	v_mul_f32_e32 v28, v30, v28
	v_fma_f32 v29, v30, v27, -v29
	v_fmac_f32_e32 v28, v24, v27
	buffer_store_dword v29, off, s[0:3], 0 offset:72
	buffer_store_dword v28, off, s[0:3], 0 offset:76
.LBB74_51:
	s_or_b32 exec_lo, exec_lo, s4
	s_waitcnt_vscnt null, 0x0
	s_barrier
	buffer_gl0_inv
	s_clause 0x1
	buffer_load_dword v27, off, s[0:3], 0 offset:80
	buffer_load_dword v28, off, s[0:3], 0 offset:84
	s_mov_b32 s4, exec_lo
	s_waitcnt vmcnt(0)
	ds_write_b64 v26, v[27:28]
	s_waitcnt lgkmcnt(0)
	s_barrier
	buffer_gl0_inv
	v_cmpx_ne_u32_e32 10, v0
	s_cbranch_execz .LBB74_55
; %bb.52:
	v_mov_b32_e32 v24, 0
	v_mov_b32_e32 v27, 0
	s_mov_b32 s5, 0
	.p2align	6
.LBB74_53:                              ; =>This Inner Loop Header: Depth=1
	s_clause 0x1
	buffer_load_dword v30, v25, s[0:3], 0 offen offset:4
	buffer_load_dword v31, v25, s[0:3], 0 offen
	ds_read_b64 v[28:29], v26
	v_add_nc_u32_e32 v23, 1, v23
	v_add_nc_u32_e32 v26, 8, v26
	;; [unrolled: 1-line block ×3, first 2 shown]
	v_cmp_lt_u32_e32 vcc_lo, 8, v23
	s_or_b32 s5, vcc_lo, s5
	s_waitcnt vmcnt(1) lgkmcnt(0)
	v_mul_f32_e32 v32, v29, v30
	v_mul_f32_e32 v30, v28, v30
	s_waitcnt vmcnt(0)
	v_fma_f32 v28, v28, v31, -v32
	v_fmac_f32_e32 v30, v29, v31
	v_add_f32_e32 v27, v27, v28
	v_add_f32_e32 v24, v24, v30
	s_andn2_b32 exec_lo, exec_lo, s5
	s_cbranch_execnz .LBB74_53
; %bb.54:
	s_or_b32 exec_lo, exec_lo, s5
	v_mov_b32_e32 v23, 0
	ds_read_b64 v[25:26], v23 offset:80
	s_waitcnt lgkmcnt(0)
	v_mul_f32_e32 v23, v24, v26
	v_mul_f32_e32 v26, v27, v26
	v_fma_f32 v23, v27, v25, -v23
	v_fmac_f32_e32 v26, v24, v25
	buffer_store_dword v23, off, s[0:3], 0 offset:80
	buffer_store_dword v26, off, s[0:3], 0 offset:84
.LBB74_55:
	s_or_b32 exec_lo, exec_lo, s4
	s_mov_b32 s5, -1
	s_waitcnt_vscnt null, 0x0
	s_barrier
	buffer_gl0_inv
.LBB74_56:
	s_and_b32 vcc_lo, exec_lo, s5
	s_cbranch_vccz .LBB74_58
; %bb.57:
	s_lshl_b64 s[4:5], s[6:7], 2
	v_mov_b32_e32 v23, 0
	s_add_u32 s4, s10, s4
	s_addc_u32 s5, s11, s5
	global_load_dword v23, v23, s[4:5]
	s_waitcnt vmcnt(0)
	v_cmp_ne_u32_e32 vcc_lo, 0, v23
	s_cbranch_vccz .LBB74_59
.LBB74_58:
	s_endpgm
.LBB74_59:
	v_lshl_add_u32 v23, v0, 3, 0x60
	s_mov_b32 s4, exec_lo
	v_cmpx_eq_u32_e32 10, v0
	s_cbranch_execz .LBB74_61
; %bb.60:
	s_clause 0x1
	buffer_load_dword v24, off, s[0:3], 0 offset:72
	buffer_load_dword v25, off, s[0:3], 0 offset:76
	v_mov_b32_e32 v26, 0
	buffer_store_dword v26, off, s[0:3], 0 offset:72
	buffer_store_dword v26, off, s[0:3], 0 offset:76
	s_waitcnt vmcnt(0)
	ds_write_b64 v23, v[24:25]
.LBB74_61:
	s_or_b32 exec_lo, exec_lo, s4
	s_waitcnt lgkmcnt(0)
	s_waitcnt_vscnt null, 0x0
	s_barrier
	buffer_gl0_inv
	s_clause 0x3
	buffer_load_dword v27, off, s[0:3], 0 offset:84
	buffer_load_dword v28, off, s[0:3], 0 offset:80
	;; [unrolled: 1-line block ×4, first 2 shown]
	v_mov_b32_e32 v24, 0
	s_mov_b32 s4, exec_lo
	ds_read_b64 v[25:26], v24 offset:176
	s_waitcnt vmcnt(3) lgkmcnt(0)
	v_mul_f32_e32 v31, v26, v27
	v_mul_f32_e32 v27, v25, v27
	s_waitcnt vmcnt(2)
	v_fma_f32 v25, v25, v28, -v31
	v_fmac_f32_e32 v27, v26, v28
	v_add_f32_e32 v25, 0, v25
	v_add_f32_e32 v26, 0, v27
	s_waitcnt vmcnt(1)
	v_sub_f32_e32 v25, v29, v25
	s_waitcnt vmcnt(0)
	v_sub_f32_e32 v26, v30, v26
	buffer_store_dword v25, off, s[0:3], 0 offset:72
	buffer_store_dword v26, off, s[0:3], 0 offset:76
	v_cmpx_lt_u32_e32 8, v0
	s_cbranch_execz .LBB74_63
; %bb.62:
	s_clause 0x1
	buffer_load_dword v25, off, s[0:3], 0 offset:64
	buffer_load_dword v26, off, s[0:3], 0 offset:68
	buffer_store_dword v24, off, s[0:3], 0 offset:64
	buffer_store_dword v24, off, s[0:3], 0 offset:68
	s_waitcnt vmcnt(0)
	ds_write_b64 v23, v[25:26]
.LBB74_63:
	s_or_b32 exec_lo, exec_lo, s4
	s_waitcnt lgkmcnt(0)
	s_waitcnt_vscnt null, 0x0
	s_barrier
	buffer_gl0_inv
	s_clause 0x5
	buffer_load_dword v28, off, s[0:3], 0 offset:76
	buffer_load_dword v29, off, s[0:3], 0 offset:84
	;; [unrolled: 1-line block ×6, first 2 shown]
	ds_read2_b64 v[24:27], v24 offset0:21 offset1:22
	s_mov_b32 s4, exec_lo
	s_waitcnt vmcnt(5) lgkmcnt(0)
	v_mul_f32_e32 v34, v25, v28
	v_mul_f32_e32 v28, v24, v28
	s_waitcnt vmcnt(4)
	v_mul_f32_e32 v35, v26, v29
	v_mul_f32_e32 v29, v27, v29
	s_waitcnt vmcnt(3)
	v_fma_f32 v24, v24, v30, -v34
	v_fmac_f32_e32 v28, v25, v30
	s_waitcnt vmcnt(2)
	v_fmac_f32_e32 v35, v27, v31
	v_fma_f32 v25, v26, v31, -v29
	v_add_f32_e32 v24, 0, v24
	v_add_f32_e32 v26, 0, v28
	;; [unrolled: 1-line block ×4, first 2 shown]
	s_waitcnt vmcnt(1)
	v_sub_f32_e32 v24, v32, v24
	s_waitcnt vmcnt(0)
	v_sub_f32_e32 v25, v33, v25
	buffer_store_dword v24, off, s[0:3], 0 offset:64
	buffer_store_dword v25, off, s[0:3], 0 offset:68
	v_cmpx_lt_u32_e32 7, v0
	s_cbranch_execz .LBB74_65
; %bb.64:
	s_clause 0x1
	buffer_load_dword v24, off, s[0:3], 0 offset:56
	buffer_load_dword v25, off, s[0:3], 0 offset:60
	v_mov_b32_e32 v26, 0
	buffer_store_dword v26, off, s[0:3], 0 offset:56
	buffer_store_dword v26, off, s[0:3], 0 offset:60
	s_waitcnt vmcnt(0)
	ds_write_b64 v23, v[24:25]
.LBB74_65:
	s_or_b32 exec_lo, exec_lo, s4
	s_waitcnt lgkmcnt(0)
	s_waitcnt_vscnt null, 0x0
	s_barrier
	buffer_gl0_inv
	s_clause 0x7
	buffer_load_dword v31, off, s[0:3], 0 offset:68
	buffer_load_dword v32, off, s[0:3], 0 offset:76
	;; [unrolled: 1-line block ×8, first 2 shown]
	v_mov_b32_e32 v24, 0
	ds_read_b128 v[25:28], v24 offset:160
	ds_read_b64 v[29:30], v24 offset:176
	s_mov_b32 s4, exec_lo
	s_waitcnt vmcnt(7) lgkmcnt(1)
	v_mul_f32_e32 v39, v26, v31
	v_mul_f32_e32 v31, v25, v31
	s_waitcnt vmcnt(6)
	v_mul_f32_e32 v40, v27, v32
	v_mul_f32_e32 v32, v28, v32
	s_waitcnt vmcnt(5) lgkmcnt(0)
	v_mul_f32_e32 v41, v29, v33
	s_waitcnt vmcnt(4)
	v_fma_f32 v25, v25, v34, -v39
	v_fmac_f32_e32 v31, v26, v34
	v_mul_f32_e32 v26, v30, v33
	s_waitcnt vmcnt(3)
	v_fma_f32 v27, v27, v35, -v32
	v_fmac_f32_e32 v40, v28, v35
	v_add_f32_e32 v25, 0, v25
	v_add_f32_e32 v28, 0, v31
	s_waitcnt vmcnt(2)
	v_fma_f32 v26, v29, v36, -v26
	v_fmac_f32_e32 v41, v30, v36
	v_add_f32_e32 v25, v25, v27
	v_add_f32_e32 v27, v28, v40
	;; [unrolled: 1-line block ×4, first 2 shown]
	s_waitcnt vmcnt(1)
	v_sub_f32_e32 v25, v37, v25
	s_waitcnt vmcnt(0)
	v_sub_f32_e32 v26, v38, v26
	buffer_store_dword v25, off, s[0:3], 0 offset:56
	buffer_store_dword v26, off, s[0:3], 0 offset:60
	v_cmpx_lt_u32_e32 6, v0
	s_cbranch_execz .LBB74_67
; %bb.66:
	s_clause 0x1
	buffer_load_dword v25, off, s[0:3], 0 offset:48
	buffer_load_dword v26, off, s[0:3], 0 offset:52
	buffer_store_dword v24, off, s[0:3], 0 offset:48
	buffer_store_dword v24, off, s[0:3], 0 offset:52
	s_waitcnt vmcnt(0)
	ds_write_b64 v23, v[25:26]
.LBB74_67:
	s_or_b32 exec_lo, exec_lo, s4
	s_waitcnt lgkmcnt(0)
	s_waitcnt_vscnt null, 0x0
	s_barrier
	buffer_gl0_inv
	s_clause 0x9
	buffer_load_dword v33, off, s[0:3], 0 offset:60
	buffer_load_dword v34, off, s[0:3], 0 offset:68
	;; [unrolled: 1-line block ×10, first 2 shown]
	ds_read2_b64 v[25:28], v24 offset0:19 offset1:20
	ds_read2_b64 v[29:32], v24 offset0:21 offset1:22
	s_mov_b32 s4, exec_lo
	s_waitcnt vmcnt(9) lgkmcnt(1)
	v_mul_f32_e32 v24, v25, v33
	v_mul_f32_e32 v33, v26, v33
	s_waitcnt vmcnt(8)
	v_mul_f32_e32 v43, v27, v34
	v_mul_f32_e32 v34, v28, v34
	s_waitcnt vmcnt(7) lgkmcnt(0)
	v_mul_f32_e32 v44, v29, v35
	s_waitcnt vmcnt(5)
	v_fmac_f32_e32 v24, v26, v37
	v_fma_f32 v25, v25, v37, -v33
	v_mul_f32_e32 v26, v30, v35
	s_waitcnt vmcnt(4)
	v_fma_f32 v27, v27, v38, -v34
	v_fmac_f32_e32 v43, v28, v38
	v_add_f32_e32 v24, 0, v24
	v_add_f32_e32 v25, 0, v25
	v_mul_f32_e32 v28, v32, v36
	s_waitcnt vmcnt(3)
	v_fma_f32 v26, v29, v39, -v26
	v_mul_f32_e32 v45, v31, v36
	v_fmac_f32_e32 v44, v30, v39
	v_add_f32_e32 v25, v25, v27
	v_add_f32_e32 v24, v24, v43
	s_waitcnt vmcnt(2)
	v_fma_f32 v27, v31, v40, -v28
	v_fmac_f32_e32 v45, v32, v40
	v_add_f32_e32 v25, v25, v26
	v_add_f32_e32 v24, v24, v44
	;; [unrolled: 1-line block ×4, first 2 shown]
	s_waitcnt vmcnt(1)
	v_sub_f32_e32 v25, v41, v25
	s_waitcnt vmcnt(0)
	v_sub_f32_e32 v24, v42, v24
	buffer_store_dword v25, off, s[0:3], 0 offset:48
	buffer_store_dword v24, off, s[0:3], 0 offset:52
	v_cmpx_lt_u32_e32 5, v0
	s_cbranch_execz .LBB74_69
; %bb.68:
	s_clause 0x1
	buffer_load_dword v24, off, s[0:3], 0 offset:40
	buffer_load_dword v25, off, s[0:3], 0 offset:44
	v_mov_b32_e32 v26, 0
	buffer_store_dword v26, off, s[0:3], 0 offset:40
	buffer_store_dword v26, off, s[0:3], 0 offset:44
	s_waitcnt vmcnt(0)
	ds_write_b64 v23, v[24:25]
.LBB74_69:
	s_or_b32 exec_lo, exec_lo, s4
	s_waitcnt lgkmcnt(0)
	s_waitcnt_vscnt null, 0x0
	s_barrier
	buffer_gl0_inv
	s_clause 0xb
	buffer_load_dword v35, off, s[0:3], 0 offset:52
	buffer_load_dword v36, off, s[0:3], 0 offset:60
	;; [unrolled: 1-line block ×12, first 2 shown]
	v_mov_b32_e32 v24, 0
	ds_read_b128 v[25:28], v24 offset:144
	ds_read_b128 v[29:32], v24 offset:160
	ds_read_b64 v[33:34], v24 offset:176
	s_mov_b32 s4, exec_lo
	s_waitcnt vmcnt(11) lgkmcnt(2)
	v_mul_f32_e32 v47, v25, v35
	v_mul_f32_e32 v35, v26, v35
	s_waitcnt vmcnt(10)
	v_mul_f32_e32 v48, v27, v36
	v_mul_f32_e32 v36, v28, v36
	s_waitcnt vmcnt(9) lgkmcnt(1)
	v_mul_f32_e32 v49, v29, v37
	s_waitcnt vmcnt(6)
	v_fmac_f32_e32 v47, v26, v40
	v_fma_f32 v25, v25, v40, -v35
	v_mul_f32_e32 v26, v30, v37
	s_waitcnt vmcnt(5)
	v_fma_f32 v27, v27, v41, -v36
	v_fmac_f32_e32 v48, v28, v41
	v_add_f32_e32 v28, 0, v47
	v_add_f32_e32 v25, 0, v25
	v_mul_f32_e32 v35, v32, v38
	s_waitcnt vmcnt(4)
	v_fma_f32 v26, v29, v42, -v26
	v_mul_f32_e32 v50, v31, v38
	v_fmac_f32_e32 v49, v30, v42
	v_add_f32_e32 v25, v25, v27
	v_add_f32_e32 v27, v28, v48
	s_waitcnt lgkmcnt(0)
	v_mul_f32_e32 v28, v34, v39
	s_waitcnt vmcnt(3)
	v_fma_f32 v29, v31, v43, -v35
	v_mul_f32_e32 v51, v33, v39
	v_add_f32_e32 v25, v25, v26
	v_fmac_f32_e32 v50, v32, v43
	v_add_f32_e32 v26, v27, v49
	s_waitcnt vmcnt(2)
	v_fma_f32 v27, v33, v44, -v28
	v_fmac_f32_e32 v51, v34, v44
	v_add_f32_e32 v25, v25, v29
	v_add_f32_e32 v26, v26, v50
	v_add_f32_e32 v25, v25, v27
	v_add_f32_e32 v26, v26, v51
	s_waitcnt vmcnt(1)
	v_sub_f32_e32 v25, v45, v25
	s_waitcnt vmcnt(0)
	v_sub_f32_e32 v26, v46, v26
	buffer_store_dword v25, off, s[0:3], 0 offset:40
	buffer_store_dword v26, off, s[0:3], 0 offset:44
	v_cmpx_lt_u32_e32 4, v0
	s_cbranch_execz .LBB74_71
; %bb.70:
	s_clause 0x1
	buffer_load_dword v25, off, s[0:3], 0 offset:32
	buffer_load_dword v26, off, s[0:3], 0 offset:36
	buffer_store_dword v24, off, s[0:3], 0 offset:32
	buffer_store_dword v24, off, s[0:3], 0 offset:36
	s_waitcnt vmcnt(0)
	ds_write_b64 v23, v[25:26]
.LBB74_71:
	s_or_b32 exec_lo, exec_lo, s4
	s_waitcnt lgkmcnt(0)
	s_waitcnt_vscnt null, 0x0
	s_barrier
	buffer_gl0_inv
	s_clause 0xd
	buffer_load_dword v37, off, s[0:3], 0 offset:44
	buffer_load_dword v38, off, s[0:3], 0 offset:52
	;; [unrolled: 1-line block ×14, first 2 shown]
	ds_read2_b64 v[25:28], v24 offset0:17 offset1:18
	ds_read2_b64 v[29:32], v24 offset0:19 offset1:20
	;; [unrolled: 1-line block ×3, first 2 shown]
	s_mov_b32 s4, exec_lo
	s_waitcnt vmcnt(13) lgkmcnt(2)
	v_mul_f32_e32 v24, v25, v37
	v_mul_f32_e32 v37, v26, v37
	s_waitcnt vmcnt(12)
	v_mul_f32_e32 v51, v27, v38
	v_mul_f32_e32 v38, v28, v38
	s_waitcnt vmcnt(11) lgkmcnt(1)
	v_mul_f32_e32 v52, v29, v39
	s_waitcnt vmcnt(10)
	v_mul_f32_e32 v53, v31, v40
	s_waitcnt vmcnt(7)
	v_fma_f32 v25, v25, v43, -v37
	v_fmac_f32_e32 v24, v26, v43
	v_mul_f32_e32 v26, v30, v39
	s_waitcnt vmcnt(6)
	v_fma_f32 v27, v27, v44, -v38
	v_fmac_f32_e32 v51, v28, v44
	v_add_f32_e32 v25, 0, v25
	v_add_f32_e32 v24, 0, v24
	v_mul_f32_e32 v28, v32, v40
	s_waitcnt vmcnt(5)
	v_fma_f32 v26, v29, v45, -v26
	v_fmac_f32_e32 v52, v30, v45
	v_add_f32_e32 v25, v25, v27
	v_add_f32_e32 v24, v24, v51
	s_waitcnt lgkmcnt(0)
	v_mul_f32_e32 v27, v34, v41
	s_waitcnt vmcnt(4)
	v_fma_f32 v28, v31, v46, -v28
	v_mul_f32_e32 v54, v33, v41
	v_add_f32_e32 v25, v25, v26
	v_fmac_f32_e32 v53, v32, v46
	v_add_f32_e32 v24, v24, v52
	v_mul_f32_e32 v26, v36, v42
	s_waitcnt vmcnt(3)
	v_fma_f32 v27, v33, v47, -v27
	v_add_f32_e32 v25, v25, v28
	v_mul_f32_e32 v55, v35, v42
	v_fmac_f32_e32 v54, v34, v47
	v_add_f32_e32 v24, v24, v53
	s_waitcnt vmcnt(2)
	v_fma_f32 v26, v35, v48, -v26
	v_add_f32_e32 v25, v25, v27
	v_fmac_f32_e32 v55, v36, v48
	v_add_f32_e32 v24, v24, v54
	v_add_f32_e32 v25, v25, v26
	;; [unrolled: 1-line block ×3, first 2 shown]
	s_waitcnt vmcnt(1)
	v_sub_f32_e32 v25, v49, v25
	s_waitcnt vmcnt(0)
	v_sub_f32_e32 v24, v50, v24
	buffer_store_dword v25, off, s[0:3], 0 offset:32
	buffer_store_dword v24, off, s[0:3], 0 offset:36
	v_cmpx_lt_u32_e32 3, v0
	s_cbranch_execz .LBB74_73
; %bb.72:
	s_clause 0x1
	buffer_load_dword v24, off, s[0:3], 0 offset:24
	buffer_load_dword v25, off, s[0:3], 0 offset:28
	v_mov_b32_e32 v26, 0
	buffer_store_dword v26, off, s[0:3], 0 offset:24
	buffer_store_dword v26, off, s[0:3], 0 offset:28
	s_waitcnt vmcnt(0)
	ds_write_b64 v23, v[24:25]
.LBB74_73:
	s_or_b32 exec_lo, exec_lo, s4
	s_waitcnt lgkmcnt(0)
	s_waitcnt_vscnt null, 0x0
	s_barrier
	buffer_gl0_inv
	s_clause 0xf
	buffer_load_dword v39, off, s[0:3], 0 offset:36
	buffer_load_dword v40, off, s[0:3], 0 offset:44
	;; [unrolled: 1-line block ×16, first 2 shown]
	v_mov_b32_e32 v24, 0
	ds_read_b128 v[25:28], v24 offset:128
	ds_read_b128 v[29:32], v24 offset:144
	;; [unrolled: 1-line block ×3, first 2 shown]
	ds_read_b64 v[37:38], v24 offset:176
	s_mov_b32 s4, exec_lo
	s_waitcnt vmcnt(15) lgkmcnt(3)
	v_mul_f32_e32 v55, v25, v39
	v_mul_f32_e32 v39, v26, v39
	s_waitcnt vmcnt(14)
	v_mul_f32_e32 v56, v27, v40
	v_mul_f32_e32 v40, v28, v40
	s_waitcnt vmcnt(13) lgkmcnt(2)
	v_mul_f32_e32 v57, v29, v41
	s_waitcnt vmcnt(12)
	v_mul_f32_e32 v58, v31, v42
	s_waitcnt vmcnt(11) lgkmcnt(1)
	v_mul_f32_e32 v59, v33, v43
	s_waitcnt vmcnt(8)
	v_fma_f32 v25, v25, v46, -v39
	v_fmac_f32_e32 v55, v26, v46
	v_mul_f32_e32 v26, v30, v41
	s_waitcnt vmcnt(7)
	v_fma_f32 v27, v27, v47, -v40
	v_fmac_f32_e32 v56, v28, v47
	v_add_f32_e32 v25, 0, v25
	v_add_f32_e32 v28, 0, v55
	v_mul_f32_e32 v39, v32, v42
	s_waitcnt vmcnt(6)
	v_fma_f32 v26, v29, v48, -v26
	v_fmac_f32_e32 v57, v30, v48
	v_add_f32_e32 v25, v25, v27
	v_add_f32_e32 v27, v28, v56
	v_mul_f32_e32 v28, v34, v43
	s_waitcnt vmcnt(5)
	v_fma_f32 v29, v31, v49, -v39
	v_fmac_f32_e32 v58, v32, v49
	v_add_f32_e32 v25, v25, v26
	v_add_f32_e32 v26, v27, v57
	v_mul_f32_e32 v27, v36, v44
	s_waitcnt vmcnt(4)
	v_fma_f32 v28, v33, v50, -v28
	v_mul_f32_e32 v60, v35, v44
	v_add_f32_e32 v25, v25, v29
	v_fmac_f32_e32 v59, v34, v50
	v_add_f32_e32 v26, v26, v58
	s_waitcnt lgkmcnt(0)
	v_mul_f32_e32 v29, v38, v45
	s_waitcnt vmcnt(3)
	v_fma_f32 v27, v35, v51, -v27
	v_add_f32_e32 v25, v25, v28
	v_mul_f32_e32 v61, v37, v45
	v_fmac_f32_e32 v60, v36, v51
	v_add_f32_e32 v26, v26, v59
	s_waitcnt vmcnt(2)
	v_fma_f32 v28, v37, v52, -v29
	v_add_f32_e32 v25, v25, v27
	v_fmac_f32_e32 v61, v38, v52
	v_add_f32_e32 v26, v26, v60
	v_add_f32_e32 v25, v25, v28
	;; [unrolled: 1-line block ×3, first 2 shown]
	s_waitcnt vmcnt(1)
	v_sub_f32_e32 v25, v53, v25
	s_waitcnt vmcnt(0)
	v_sub_f32_e32 v26, v54, v26
	buffer_store_dword v25, off, s[0:3], 0 offset:24
	buffer_store_dword v26, off, s[0:3], 0 offset:28
	v_cmpx_lt_u32_e32 2, v0
	s_cbranch_execz .LBB74_75
; %bb.74:
	s_clause 0x1
	buffer_load_dword v25, off, s[0:3], 0 offset:16
	buffer_load_dword v26, off, s[0:3], 0 offset:20
	buffer_store_dword v24, off, s[0:3], 0 offset:16
	buffer_store_dword v24, off, s[0:3], 0 offset:20
	s_waitcnt vmcnt(0)
	ds_write_b64 v23, v[25:26]
.LBB74_75:
	s_or_b32 exec_lo, exec_lo, s4
	s_waitcnt lgkmcnt(0)
	s_waitcnt_vscnt null, 0x0
	s_barrier
	buffer_gl0_inv
	s_clause 0x11
	buffer_load_dword v41, off, s[0:3], 0 offset:28
	buffer_load_dword v42, off, s[0:3], 0 offset:36
	;; [unrolled: 1-line block ×18, first 2 shown]
	ds_read2_b64 v[25:28], v24 offset0:15 offset1:16
	ds_read2_b64 v[29:32], v24 offset0:17 offset1:18
	;; [unrolled: 1-line block ×4, first 2 shown]
	s_mov_b32 s4, exec_lo
	s_waitcnt vmcnt(17) lgkmcnt(3)
	v_mul_f32_e32 v24, v25, v41
	v_mul_f32_e32 v41, v26, v41
	s_waitcnt vmcnt(16)
	v_mul_f32_e32 v59, v27, v42
	v_mul_f32_e32 v42, v28, v42
	s_waitcnt vmcnt(15) lgkmcnt(2)
	v_mul_f32_e32 v60, v29, v43
	s_waitcnt vmcnt(14)
	v_mul_f32_e32 v61, v31, v44
	s_waitcnt vmcnt(13) lgkmcnt(1)
	v_mul_f32_e32 v62, v33, v45
	s_waitcnt vmcnt(12)
	v_mul_f32_e32 v63, v35, v46
	s_waitcnt vmcnt(9)
	v_fma_f32 v25, v25, v49, -v41
	v_fmac_f32_e32 v24, v26, v49
	v_mul_f32_e32 v26, v30, v43
	s_waitcnt vmcnt(8)
	v_fma_f32 v27, v27, v50, -v42
	v_fmac_f32_e32 v59, v28, v50
	v_add_f32_e32 v25, 0, v25
	v_add_f32_e32 v24, 0, v24
	v_mul_f32_e32 v28, v32, v44
	s_waitcnt vmcnt(7)
	v_fma_f32 v26, v29, v51, -v26
	v_fmac_f32_e32 v60, v30, v51
	v_add_f32_e32 v25, v25, v27
	v_add_f32_e32 v24, v24, v59
	v_mul_f32_e32 v27, v34, v45
	s_waitcnt vmcnt(6)
	v_fma_f32 v28, v31, v52, -v28
	v_fmac_f32_e32 v61, v32, v52
	v_add_f32_e32 v25, v25, v26
	v_add_f32_e32 v24, v24, v60
	v_mul_f32_e32 v26, v36, v46
	s_waitcnt vmcnt(5)
	v_fma_f32 v27, v33, v53, -v27
	v_fmac_f32_e32 v62, v34, v53
	v_add_f32_e32 v25, v25, v28
	v_add_f32_e32 v24, v24, v61
	s_waitcnt lgkmcnt(0)
	v_mul_f32_e32 v28, v38, v47
	s_waitcnt vmcnt(4)
	v_fma_f32 v26, v35, v54, -v26
	v_mul_f32_e32 v64, v37, v47
	v_add_f32_e32 v25, v25, v27
	v_fmac_f32_e32 v63, v36, v54
	v_add_f32_e32 v24, v24, v62
	v_mul_f32_e32 v27, v40, v48
	s_waitcnt vmcnt(3)
	v_fma_f32 v28, v37, v55, -v28
	v_add_f32_e32 v25, v25, v26
	v_mul_f32_e32 v65, v39, v48
	v_fmac_f32_e32 v64, v38, v55
	v_add_f32_e32 v24, v24, v63
	s_waitcnt vmcnt(2)
	v_fma_f32 v26, v39, v56, -v27
	v_add_f32_e32 v25, v25, v28
	v_fmac_f32_e32 v65, v40, v56
	v_add_f32_e32 v24, v24, v64
	v_add_f32_e32 v25, v25, v26
	;; [unrolled: 1-line block ×3, first 2 shown]
	s_waitcnt vmcnt(1)
	v_sub_f32_e32 v25, v57, v25
	s_waitcnt vmcnt(0)
	v_sub_f32_e32 v24, v58, v24
	buffer_store_dword v25, off, s[0:3], 0 offset:16
	buffer_store_dword v24, off, s[0:3], 0 offset:20
	v_cmpx_lt_u32_e32 1, v0
	s_cbranch_execz .LBB74_77
; %bb.76:
	s_clause 0x1
	buffer_load_dword v24, off, s[0:3], 0 offset:8
	buffer_load_dword v25, off, s[0:3], 0 offset:12
	v_mov_b32_e32 v26, 0
	buffer_store_dword v26, off, s[0:3], 0 offset:8
	buffer_store_dword v26, off, s[0:3], 0 offset:12
	s_waitcnt vmcnt(0)
	ds_write_b64 v23, v[24:25]
.LBB74_77:
	s_or_b32 exec_lo, exec_lo, s4
	s_waitcnt lgkmcnt(0)
	s_waitcnt_vscnt null, 0x0
	s_barrier
	buffer_gl0_inv
	s_clause 0x13
	buffer_load_dword v43, off, s[0:3], 0 offset:20
	buffer_load_dword v44, off, s[0:3], 0 offset:28
	;; [unrolled: 1-line block ×20, first 2 shown]
	v_mov_b32_e32 v24, 0
	ds_read_b128 v[25:28], v24 offset:112
	ds_read_b128 v[29:32], v24 offset:128
	ds_read_b128 v[33:36], v24 offset:144
	ds_read_b128 v[37:40], v24 offset:160
	ds_read_b64 v[41:42], v24 offset:176
	s_mov_b32 s4, exec_lo
	s_waitcnt vmcnt(19) lgkmcnt(4)
	v_mul_f32_e32 v63, v25, v43
	v_mul_f32_e32 v43, v26, v43
	s_waitcnt vmcnt(18)
	v_mul_f32_e32 v64, v27, v44
	v_mul_f32_e32 v44, v28, v44
	s_waitcnt vmcnt(17) lgkmcnt(3)
	v_mul_f32_e32 v65, v29, v45
	s_waitcnt vmcnt(16)
	v_mul_f32_e32 v66, v31, v46
	s_waitcnt vmcnt(15) lgkmcnt(2)
	v_mul_f32_e32 v67, v33, v47
	s_waitcnt vmcnt(14)
	v_mul_f32_e32 v68, v35, v48
	s_waitcnt vmcnt(13) lgkmcnt(1)
	v_mul_f32_e32 v69, v37, v49
	s_waitcnt vmcnt(10)
	v_fma_f32 v25, v25, v52, -v43
	v_fmac_f32_e32 v63, v26, v52
	v_mul_f32_e32 v26, v30, v45
	s_waitcnt vmcnt(9)
	v_fma_f32 v27, v27, v53, -v44
	v_fmac_f32_e32 v64, v28, v53
	v_add_f32_e32 v25, 0, v25
	v_add_f32_e32 v28, 0, v63
	v_mul_f32_e32 v43, v32, v46
	s_waitcnt vmcnt(8)
	v_fma_f32 v26, v29, v54, -v26
	v_fmac_f32_e32 v65, v30, v54
	v_add_f32_e32 v25, v25, v27
	v_add_f32_e32 v27, v28, v64
	;; [unrolled: 6-line block ×5, first 2 shown]
	v_mul_f32_e32 v28, v40, v50
	s_waitcnt vmcnt(4)
	v_fma_f32 v29, v37, v58, -v29
	v_mul_f32_e32 v70, v39, v50
	v_add_f32_e32 v25, v25, v27
	v_fmac_f32_e32 v69, v38, v58
	v_add_f32_e32 v26, v26, v68
	s_waitcnt lgkmcnt(0)
	v_mul_f32_e32 v27, v42, v51
	s_waitcnt vmcnt(3)
	v_fma_f32 v28, v39, v59, -v28
	v_add_f32_e32 v25, v25, v29
	v_mul_f32_e32 v71, v41, v51
	v_fmac_f32_e32 v70, v40, v59
	v_add_f32_e32 v26, v26, v69
	s_waitcnt vmcnt(2)
	v_fma_f32 v27, v41, v60, -v27
	v_add_f32_e32 v25, v25, v28
	v_fmac_f32_e32 v71, v42, v60
	v_add_f32_e32 v26, v26, v70
	v_add_f32_e32 v25, v25, v27
	;; [unrolled: 1-line block ×3, first 2 shown]
	s_waitcnt vmcnt(1)
	v_sub_f32_e32 v25, v61, v25
	s_waitcnt vmcnt(0)
	v_sub_f32_e32 v26, v62, v26
	buffer_store_dword v25, off, s[0:3], 0 offset:8
	buffer_store_dword v26, off, s[0:3], 0 offset:12
	v_cmpx_ne_u32_e32 0, v0
	s_cbranch_execz .LBB74_79
; %bb.78:
	s_clause 0x1
	buffer_load_dword v25, off, s[0:3], 0
	buffer_load_dword v26, off, s[0:3], 0 offset:4
	buffer_store_dword v24, off, s[0:3], 0
	buffer_store_dword v24, off, s[0:3], 0 offset:4
	s_waitcnt vmcnt(0)
	ds_write_b64 v23, v[25:26]
.LBB74_79:
	s_or_b32 exec_lo, exec_lo, s4
	s_waitcnt lgkmcnt(0)
	s_waitcnt_vscnt null, 0x0
	s_barrier
	buffer_gl0_inv
	s_clause 0x15
	buffer_load_dword v45, off, s[0:3], 0 offset:12
	buffer_load_dword v46, off, s[0:3], 0 offset:20
	;; [unrolled: 1-line block ×20, first 2 shown]
	buffer_load_dword v63, off, s[0:3], 0
	buffer_load_dword v64, off, s[0:3], 0 offset:4
	ds_read2_b64 v[25:28], v24 offset0:13 offset1:14
	ds_read2_b64 v[29:32], v24 offset0:15 offset1:16
	;; [unrolled: 1-line block ×5, first 2 shown]
	s_and_b32 vcc_lo, exec_lo, s16
	s_waitcnt vmcnt(21) lgkmcnt(4)
	v_mul_f32_e32 v24, v25, v45
	v_mul_f32_e32 v45, v26, v45
	s_waitcnt vmcnt(20)
	v_mul_f32_e32 v65, v27, v46
	v_mul_f32_e32 v46, v28, v46
	s_waitcnt vmcnt(19) lgkmcnt(3)
	v_mul_f32_e32 v66, v29, v47
	s_waitcnt vmcnt(18)
	v_mul_f32_e32 v67, v31, v48
	s_waitcnt vmcnt(17) lgkmcnt(2)
	v_mul_f32_e32 v68, v33, v49
	s_waitcnt vmcnt(16)
	;; [unrolled: 4-line block ×3, first 2 shown]
	v_mul_f32_e32 v71, v39, v52
	s_waitcnt vmcnt(11)
	v_fma_f32 v25, v25, v54, -v45
	v_fmac_f32_e32 v24, v26, v54
	v_mul_f32_e32 v26, v30, v47
	s_waitcnt vmcnt(10)
	v_fma_f32 v27, v27, v55, -v46
	v_fmac_f32_e32 v65, v28, v55
	v_add_f32_e32 v25, 0, v25
	v_add_f32_e32 v24, 0, v24
	v_mul_f32_e32 v28, v32, v48
	s_waitcnt vmcnt(9)
	v_fma_f32 v26, v29, v56, -v26
	v_fmac_f32_e32 v66, v30, v56
	v_add_f32_e32 v25, v25, v27
	v_add_f32_e32 v24, v24, v65
	;; [unrolled: 6-line block ×6, first 2 shown]
	s_waitcnt lgkmcnt(0)
	v_mul_f32_e32 v26, v42, v0
	s_waitcnt vmcnt(4)
	v_fma_f32 v27, v39, v61, -v27
	v_mul_f32_e32 v72, v41, v0
	v_add_f32_e32 v25, v25, v28
	v_fmac_f32_e32 v71, v40, v61
	v_add_f32_e32 v24, v24, v70
	v_mul_f32_e32 v28, v44, v53
	s_waitcnt vmcnt(2)
	v_fma_f32 v26, v41, v23, -v26
	v_add_f32_e32 v25, v25, v27
	v_mul_f32_e32 v73, v43, v53
	v_fmac_f32_e32 v72, v42, v23
	v_add_f32_e32 v24, v24, v71
	v_fma_f32 v27, v43, v62, -v28
	v_add_f32_e32 v25, v25, v26
	v_fmac_f32_e32 v73, v44, v62
	v_add_f32_e32 v24, v24, v72
	v_add_f32_e32 v25, v25, v27
	;; [unrolled: 1-line block ×3, first 2 shown]
	s_waitcnt vmcnt(1)
	v_sub_f32_e32 v25, v63, v25
	s_waitcnt vmcnt(0)
	v_sub_f32_e32 v24, v64, v24
	buffer_store_dword v25, off, s[0:3], 0
	buffer_store_dword v24, off, s[0:3], 0 offset:4
	s_cbranch_vccz .LBB74_100
; %bb.80:
	v_mov_b32_e32 v24, 0
	global_load_dword v25, v24, s[12:13] offset:36
	s_waitcnt vmcnt(0)
	v_add_nc_u32_e32 v25, -1, v25
	v_cmp_ne_u32_e32 vcc_lo, 9, v25
	s_cbranch_vccz .LBB74_82
; %bb.81:
	v_lshlrev_b32_e32 v25, 3, v25
	s_clause 0x1
	buffer_load_dword v26, v25, s[0:3], 0 offen
	buffer_load_dword v27, v25, s[0:3], 0 offen offset:4
	s_waitcnt vmcnt(1)
	buffer_store_dword v26, off, s[0:3], 0 offset:72
	s_waitcnt vmcnt(0)
	buffer_store_dword v27, off, s[0:3], 0 offset:76
	buffer_store_dword v23, v25, s[0:3], 0 offen
	buffer_store_dword v0, v25, s[0:3], 0 offen offset:4
.LBB74_82:
	global_load_dword v0, v24, s[12:13] offset:32
	s_waitcnt vmcnt(0)
	v_add_nc_u32_e32 v0, -1, v0
	v_cmp_eq_u32_e32 vcc_lo, 8, v0
	s_cbranch_vccnz .LBB74_84
; %bb.83:
	v_lshlrev_b32_e32 v0, 3, v0
	s_clause 0x3
	buffer_load_dword v23, v0, s[0:3], 0 offen
	buffer_load_dword v24, v0, s[0:3], 0 offen offset:4
	buffer_load_dword v25, off, s[0:3], 0 offset:68
	buffer_load_dword v26, off, s[0:3], 0 offset:64
	s_waitcnt vmcnt(3)
	buffer_store_dword v23, off, s[0:3], 0 offset:64
	s_waitcnt vmcnt(2)
	buffer_store_dword v24, off, s[0:3], 0 offset:68
	s_waitcnt vmcnt(1)
	buffer_store_dword v25, v0, s[0:3], 0 offen offset:4
	s_waitcnt vmcnt(0)
	buffer_store_dword v26, v0, s[0:3], 0 offen
.LBB74_84:
	v_mov_b32_e32 v0, 0
	global_load_dword v23, v0, s[12:13] offset:28
	s_waitcnt vmcnt(0)
	v_add_nc_u32_e32 v23, -1, v23
	v_cmp_eq_u32_e32 vcc_lo, 7, v23
	s_cbranch_vccnz .LBB74_86
; %bb.85:
	v_lshlrev_b32_e32 v23, 3, v23
	s_clause 0x3
	buffer_load_dword v24, v23, s[0:3], 0 offen
	buffer_load_dword v25, v23, s[0:3], 0 offen offset:4
	buffer_load_dword v26, off, s[0:3], 0 offset:56
	buffer_load_dword v27, off, s[0:3], 0 offset:60
	s_waitcnt vmcnt(3)
	buffer_store_dword v24, off, s[0:3], 0 offset:56
	s_waitcnt vmcnt(2)
	buffer_store_dword v25, off, s[0:3], 0 offset:60
	s_waitcnt vmcnt(1)
	buffer_store_dword v26, v23, s[0:3], 0 offen
	s_waitcnt vmcnt(0)
	buffer_store_dword v27, v23, s[0:3], 0 offen offset:4
.LBB74_86:
	global_load_dword v0, v0, s[12:13] offset:24
	s_waitcnt vmcnt(0)
	v_add_nc_u32_e32 v0, -1, v0
	v_cmp_eq_u32_e32 vcc_lo, 6, v0
	s_cbranch_vccnz .LBB74_88
; %bb.87:
	v_lshlrev_b32_e32 v0, 3, v0
	s_clause 0x3
	buffer_load_dword v23, v0, s[0:3], 0 offen
	buffer_load_dword v24, v0, s[0:3], 0 offen offset:4
	buffer_load_dword v25, off, s[0:3], 0 offset:52
	buffer_load_dword v26, off, s[0:3], 0 offset:48
	s_waitcnt vmcnt(3)
	buffer_store_dword v23, off, s[0:3], 0 offset:48
	s_waitcnt vmcnt(2)
	buffer_store_dword v24, off, s[0:3], 0 offset:52
	s_waitcnt vmcnt(1)
	buffer_store_dword v25, v0, s[0:3], 0 offen offset:4
	s_waitcnt vmcnt(0)
	buffer_store_dword v26, v0, s[0:3], 0 offen
.LBB74_88:
	v_mov_b32_e32 v0, 0
	global_load_dword v23, v0, s[12:13] offset:20
	s_waitcnt vmcnt(0)
	v_add_nc_u32_e32 v23, -1, v23
	v_cmp_eq_u32_e32 vcc_lo, 5, v23
	s_cbranch_vccnz .LBB74_90
; %bb.89:
	v_lshlrev_b32_e32 v23, 3, v23
	s_clause 0x3
	buffer_load_dword v24, v23, s[0:3], 0 offen
	buffer_load_dword v25, v23, s[0:3], 0 offen offset:4
	buffer_load_dword v26, off, s[0:3], 0 offset:40
	buffer_load_dword v27, off, s[0:3], 0 offset:44
	s_waitcnt vmcnt(3)
	buffer_store_dword v24, off, s[0:3], 0 offset:40
	s_waitcnt vmcnt(2)
	buffer_store_dword v25, off, s[0:3], 0 offset:44
	s_waitcnt vmcnt(1)
	buffer_store_dword v26, v23, s[0:3], 0 offen
	s_waitcnt vmcnt(0)
	buffer_store_dword v27, v23, s[0:3], 0 offen offset:4
.LBB74_90:
	;; [unrolled: 43-line block ×4, first 2 shown]
	global_load_dword v0, v0, s[12:13]
	s_waitcnt vmcnt(0)
	v_add_nc_u32_e32 v0, -1, v0
	v_cmp_eq_u32_e32 vcc_lo, 0, v0
	s_cbranch_vccnz .LBB74_100
; %bb.99:
	v_lshlrev_b32_e32 v0, 3, v0
	s_clause 0x3
	buffer_load_dword v23, v0, s[0:3], 0 offen
	buffer_load_dword v24, v0, s[0:3], 0 offen offset:4
	buffer_load_dword v25, off, s[0:3], 0 offset:4
	buffer_load_dword v26, off, s[0:3], 0
	s_waitcnt vmcnt(3)
	buffer_store_dword v23, off, s[0:3], 0
	s_waitcnt vmcnt(2)
	buffer_store_dword v24, off, s[0:3], 0 offset:4
	s_waitcnt vmcnt(1)
	buffer_store_dword v25, v0, s[0:3], 0 offen offset:4
	s_waitcnt vmcnt(0)
	buffer_store_dword v26, v0, s[0:3], 0 offen
.LBB74_100:
	s_clause 0x1
	buffer_load_dword v23, off, s[0:3], 0
	buffer_load_dword v24, off, s[0:3], 0 offset:4
	s_waitcnt vmcnt(0)
	flat_store_dwordx2 v[1:2], v[23:24]
	s_clause 0x1
	buffer_load_dword v0, off, s[0:3], 0 offset:8
	buffer_load_dword v1, off, s[0:3], 0 offset:12
	s_waitcnt vmcnt(0)
	flat_store_dwordx2 v[3:4], v[0:1]
	s_clause 0x1
	buffer_load_dword v0, off, s[0:3], 0 offset:16
	;; [unrolled: 5-line block ×10, first 2 shown]
	buffer_load_dword v1, off, s[0:3], 0 offset:84
	s_waitcnt vmcnt(0)
	flat_store_dwordx2 v[21:22], v[0:1]
	s_endpgm
	.section	.rodata,"a",@progbits
	.p2align	6, 0x0
	.amdhsa_kernel _ZN9rocsolver6v33100L18getri_kernel_smallILi11E19rocblas_complex_numIfEPKPS3_EEvT1_iilPiilS8_bb
		.amdhsa_group_segment_fixed_size 184
		.amdhsa_private_segment_fixed_size 96
		.amdhsa_kernarg_size 60
		.amdhsa_user_sgpr_count 6
		.amdhsa_user_sgpr_private_segment_buffer 1
		.amdhsa_user_sgpr_dispatch_ptr 0
		.amdhsa_user_sgpr_queue_ptr 0
		.amdhsa_user_sgpr_kernarg_segment_ptr 1
		.amdhsa_user_sgpr_dispatch_id 0
		.amdhsa_user_sgpr_flat_scratch_init 0
		.amdhsa_user_sgpr_private_segment_size 0
		.amdhsa_wavefront_size32 1
		.amdhsa_uses_dynamic_stack 0
		.amdhsa_system_sgpr_private_segment_wavefront_offset 1
		.amdhsa_system_sgpr_workgroup_id_x 1
		.amdhsa_system_sgpr_workgroup_id_y 0
		.amdhsa_system_sgpr_workgroup_id_z 0
		.amdhsa_system_sgpr_workgroup_info 0
		.amdhsa_system_vgpr_workitem_id 0
		.amdhsa_next_free_vgpr 74
		.amdhsa_next_free_sgpr 20
		.amdhsa_reserve_vcc 1
		.amdhsa_reserve_flat_scratch 0
		.amdhsa_float_round_mode_32 0
		.amdhsa_float_round_mode_16_64 0
		.amdhsa_float_denorm_mode_32 3
		.amdhsa_float_denorm_mode_16_64 3
		.amdhsa_dx10_clamp 1
		.amdhsa_ieee_mode 1
		.amdhsa_fp16_overflow 0
		.amdhsa_workgroup_processor_mode 1
		.amdhsa_memory_ordered 1
		.amdhsa_forward_progress 1
		.amdhsa_shared_vgpr_count 0
		.amdhsa_exception_fp_ieee_invalid_op 0
		.amdhsa_exception_fp_denorm_src 0
		.amdhsa_exception_fp_ieee_div_zero 0
		.amdhsa_exception_fp_ieee_overflow 0
		.amdhsa_exception_fp_ieee_underflow 0
		.amdhsa_exception_fp_ieee_inexact 0
		.amdhsa_exception_int_div_zero 0
	.end_amdhsa_kernel
	.section	.text._ZN9rocsolver6v33100L18getri_kernel_smallILi11E19rocblas_complex_numIfEPKPS3_EEvT1_iilPiilS8_bb,"axG",@progbits,_ZN9rocsolver6v33100L18getri_kernel_smallILi11E19rocblas_complex_numIfEPKPS3_EEvT1_iilPiilS8_bb,comdat
.Lfunc_end74:
	.size	_ZN9rocsolver6v33100L18getri_kernel_smallILi11E19rocblas_complex_numIfEPKPS3_EEvT1_iilPiilS8_bb, .Lfunc_end74-_ZN9rocsolver6v33100L18getri_kernel_smallILi11E19rocblas_complex_numIfEPKPS3_EEvT1_iilPiilS8_bb
                                        ; -- End function
	.set _ZN9rocsolver6v33100L18getri_kernel_smallILi11E19rocblas_complex_numIfEPKPS3_EEvT1_iilPiilS8_bb.num_vgpr, 74
	.set _ZN9rocsolver6v33100L18getri_kernel_smallILi11E19rocblas_complex_numIfEPKPS3_EEvT1_iilPiilS8_bb.num_agpr, 0
	.set _ZN9rocsolver6v33100L18getri_kernel_smallILi11E19rocblas_complex_numIfEPKPS3_EEvT1_iilPiilS8_bb.numbered_sgpr, 20
	.set _ZN9rocsolver6v33100L18getri_kernel_smallILi11E19rocblas_complex_numIfEPKPS3_EEvT1_iilPiilS8_bb.num_named_barrier, 0
	.set _ZN9rocsolver6v33100L18getri_kernel_smallILi11E19rocblas_complex_numIfEPKPS3_EEvT1_iilPiilS8_bb.private_seg_size, 96
	.set _ZN9rocsolver6v33100L18getri_kernel_smallILi11E19rocblas_complex_numIfEPKPS3_EEvT1_iilPiilS8_bb.uses_vcc, 1
	.set _ZN9rocsolver6v33100L18getri_kernel_smallILi11E19rocblas_complex_numIfEPKPS3_EEvT1_iilPiilS8_bb.uses_flat_scratch, 0
	.set _ZN9rocsolver6v33100L18getri_kernel_smallILi11E19rocblas_complex_numIfEPKPS3_EEvT1_iilPiilS8_bb.has_dyn_sized_stack, 0
	.set _ZN9rocsolver6v33100L18getri_kernel_smallILi11E19rocblas_complex_numIfEPKPS3_EEvT1_iilPiilS8_bb.has_recursion, 0
	.set _ZN9rocsolver6v33100L18getri_kernel_smallILi11E19rocblas_complex_numIfEPKPS3_EEvT1_iilPiilS8_bb.has_indirect_call, 0
	.section	.AMDGPU.csdata,"",@progbits
; Kernel info:
; codeLenInByte = 10148
; TotalNumSgprs: 22
; NumVgprs: 74
; ScratchSize: 96
; MemoryBound: 0
; FloatMode: 240
; IeeeMode: 1
; LDSByteSize: 184 bytes/workgroup (compile time only)
; SGPRBlocks: 0
; VGPRBlocks: 9
; NumSGPRsForWavesPerEU: 22
; NumVGPRsForWavesPerEU: 74
; Occupancy: 12
; WaveLimiterHint : 1
; COMPUTE_PGM_RSRC2:SCRATCH_EN: 1
; COMPUTE_PGM_RSRC2:USER_SGPR: 6
; COMPUTE_PGM_RSRC2:TRAP_HANDLER: 0
; COMPUTE_PGM_RSRC2:TGID_X_EN: 1
; COMPUTE_PGM_RSRC2:TGID_Y_EN: 0
; COMPUTE_PGM_RSRC2:TGID_Z_EN: 0
; COMPUTE_PGM_RSRC2:TIDIG_COMP_CNT: 0
	.section	.text._ZN9rocsolver6v33100L18getri_kernel_smallILi12E19rocblas_complex_numIfEPKPS3_EEvT1_iilPiilS8_bb,"axG",@progbits,_ZN9rocsolver6v33100L18getri_kernel_smallILi12E19rocblas_complex_numIfEPKPS3_EEvT1_iilPiilS8_bb,comdat
	.globl	_ZN9rocsolver6v33100L18getri_kernel_smallILi12E19rocblas_complex_numIfEPKPS3_EEvT1_iilPiilS8_bb ; -- Begin function _ZN9rocsolver6v33100L18getri_kernel_smallILi12E19rocblas_complex_numIfEPKPS3_EEvT1_iilPiilS8_bb
	.p2align	8
	.type	_ZN9rocsolver6v33100L18getri_kernel_smallILi12E19rocblas_complex_numIfEPKPS3_EEvT1_iilPiilS8_bb,@function
_ZN9rocsolver6v33100L18getri_kernel_smallILi12E19rocblas_complex_numIfEPKPS3_EEvT1_iilPiilS8_bb: ; @_ZN9rocsolver6v33100L18getri_kernel_smallILi12E19rocblas_complex_numIfEPKPS3_EEvT1_iilPiilS8_bb
; %bb.0:
	s_add_u32 s0, s0, s7
	s_addc_u32 s1, s1, 0
	s_mov_b32 s7, exec_lo
	v_cmpx_gt_u32_e32 12, v0
	s_cbranch_execz .LBB75_62
; %bb.1:
	s_clause 0x2
	s_load_dword s17, s[4:5], 0x38
	s_load_dwordx2 s[12:13], s[4:5], 0x0
	s_load_dwordx4 s[8:11], s[4:5], 0x28
	s_waitcnt lgkmcnt(0)
	s_bitcmp1_b32 s17, 8
	s_cselect_b32 s16, -1, 0
	s_ashr_i32 s7, s6, 31
	s_lshl_b64 s[14:15], s[6:7], 3
	s_add_u32 s12, s12, s14
	s_addc_u32 s13, s13, s15
	s_load_dwordx2 s[14:15], s[12:13], 0x0
	s_bfe_u32 s12, s17, 0x10008
	s_cmp_eq_u32 s12, 0
                                        ; implicit-def: $sgpr12_sgpr13
	s_cbranch_scc1 .LBB75_3
; %bb.2:
	s_clause 0x1
	s_load_dword s12, s[4:5], 0x20
	s_load_dwordx2 s[18:19], s[4:5], 0x18
	s_mul_i32 s13, s8, s7
	s_mul_hi_u32 s17, s8, s6
	s_mul_i32 s9, s9, s6
	s_add_i32 s13, s17, s13
	s_mul_i32 s8, s8, s6
	s_add_i32 s9, s13, s9
	s_lshl_b64 s[8:9], s[8:9], 2
	s_waitcnt lgkmcnt(0)
	s_ashr_i32 s13, s12, 31
	s_add_u32 s17, s18, s8
	s_addc_u32 s18, s19, s9
	s_lshl_b64 s[8:9], s[12:13], 2
	s_add_u32 s12, s17, s8
	s_addc_u32 s13, s18, s9
.LBB75_3:
	s_clause 0x1
	s_load_dwordx2 s[8:9], s[4:5], 0x8
	s_load_dword s17, s[4:5], 0x38
	v_lshlrev_b32_e32 v27, 3, v0
	s_waitcnt lgkmcnt(0)
	s_ashr_i32 s5, s8, 31
	s_mov_b32 s4, s8
	v_add3_u32 v9, s9, s9, v0
	s_lshl_b64 s[4:5], s[4:5], 3
	s_add_u32 s8, s14, s4
	s_addc_u32 s14, s15, s5
	v_add_co_u32 v1, s4, s8, v27
	v_add_co_ci_u32_e64 v2, null, s14, 0, s4
	s_mov_b32 s4, s9
	s_ashr_i32 s5, s9, 31
	v_ashrrev_i32_e32 v10, 31, v9
	flat_load_dwordx2 v[5:6], v[1:2]
	s_lshl_b64 s[4:5], s[4:5], 3
	v_add_nc_u32_e32 v12, s9, v9
	v_add_co_u32 v3, vcc_lo, v1, s4
	v_add_co_ci_u32_e64 v4, null, s5, v2, vcc_lo
	v_ashrrev_i32_e32 v13, 31, v12
	s_mov_b32 s5, -1
	s_bitcmp0_b32 s17, 0
	s_waitcnt vmcnt(0) lgkmcnt(0)
	buffer_store_dword v6, off, s[0:3], 0 offset:4
	buffer_store_dword v5, off, s[0:3], 0
	flat_load_dwordx2 v[7:8], v[3:4]
	v_lshlrev_b64 v[5:6], 3, v[9:10]
	s_waitcnt vmcnt(0) lgkmcnt(0)
	buffer_store_dword v8, off, s[0:3], 0 offset:12
	buffer_store_dword v7, off, s[0:3], 0 offset:8
	v_add_co_u32 v5, vcc_lo, s8, v5
	v_add_co_ci_u32_e64 v6, null, s14, v6, vcc_lo
	v_lshlrev_b64 v[7:8], 3, v[12:13]
	flat_load_dwordx2 v[10:11], v[5:6]
	s_waitcnt vmcnt(0) lgkmcnt(0)
	buffer_store_dword v11, off, s[0:3], 0 offset:20
	buffer_store_dword v10, off, s[0:3], 0 offset:16
	v_add_co_u32 v7, vcc_lo, s8, v7
	v_add_co_ci_u32_e64 v8, null, s14, v8, vcc_lo
	v_add_nc_u32_e32 v11, s9, v12
	flat_load_dwordx2 v[13:14], v[7:8]
	s_waitcnt vmcnt(0) lgkmcnt(0)
	buffer_store_dword v14, off, s[0:3], 0 offset:28
	buffer_store_dword v13, off, s[0:3], 0 offset:24
	v_ashrrev_i32_e32 v12, 31, v11
	v_add_nc_u32_e32 v15, s9, v11
	v_lshlrev_b64 v[9:10], 3, v[11:12]
	v_ashrrev_i32_e32 v16, 31, v15
	v_add_nc_u32_e32 v18, s9, v15
	v_add_co_u32 v9, vcc_lo, s8, v9
	v_add_co_ci_u32_e64 v10, null, s14, v10, vcc_lo
	v_lshlrev_b64 v[11:12], 3, v[15:16]
	v_ashrrev_i32_e32 v19, 31, v18
	flat_load_dwordx2 v[13:14], v[9:10]
	s_waitcnt vmcnt(0) lgkmcnt(0)
	buffer_store_dword v14, off, s[0:3], 0 offset:36
	buffer_store_dword v13, off, s[0:3], 0 offset:32
	v_add_co_u32 v11, vcc_lo, s8, v11
	v_add_co_ci_u32_e64 v12, null, s14, v12, vcc_lo
	v_lshlrev_b64 v[13:14], 3, v[18:19]
	flat_load_dwordx2 v[16:17], v[11:12]
	s_waitcnt vmcnt(0) lgkmcnt(0)
	buffer_store_dword v17, off, s[0:3], 0 offset:44
	buffer_store_dword v16, off, s[0:3], 0 offset:40
	v_add_co_u32 v13, vcc_lo, s8, v13
	v_add_co_ci_u32_e64 v14, null, s14, v14, vcc_lo
	v_add_nc_u32_e32 v17, s9, v18
	flat_load_dwordx2 v[19:20], v[13:14]
	s_waitcnt vmcnt(0) lgkmcnt(0)
	buffer_store_dword v20, off, s[0:3], 0 offset:52
	buffer_store_dword v19, off, s[0:3], 0 offset:48
	v_ashrrev_i32_e32 v18, 31, v17
	v_add_nc_u32_e32 v21, s9, v17
	v_lshlrev_b64 v[15:16], 3, v[17:18]
	v_ashrrev_i32_e32 v22, 31, v21
	v_add_nc_u32_e32 v24, s9, v21
	v_add_co_u32 v15, vcc_lo, s8, v15
	v_add_co_ci_u32_e64 v16, null, s14, v16, vcc_lo
	v_lshlrev_b64 v[17:18], 3, v[21:22]
	v_ashrrev_i32_e32 v25, 31, v24
	flat_load_dwordx2 v[19:20], v[15:16]
	s_waitcnt vmcnt(0) lgkmcnt(0)
	buffer_store_dword v20, off, s[0:3], 0 offset:60
	buffer_store_dword v19, off, s[0:3], 0 offset:56
	v_add_co_u32 v17, vcc_lo, s8, v17
	v_add_co_ci_u32_e64 v18, null, s14, v18, vcc_lo
	v_lshlrev_b64 v[19:20], 3, v[24:25]
	flat_load_dwordx2 v[22:23], v[17:18]
	s_waitcnt vmcnt(0) lgkmcnt(0)
	buffer_store_dword v23, off, s[0:3], 0 offset:68
	buffer_store_dword v22, off, s[0:3], 0 offset:64
	v_add_co_u32 v19, vcc_lo, s8, v19
	v_add_co_ci_u32_e64 v20, null, s14, v20, vcc_lo
	v_add_nc_u32_e32 v23, s9, v24
	flat_load_dwordx2 v[25:26], v[19:20]
	s_waitcnt vmcnt(0) lgkmcnt(0)
	buffer_store_dword v26, off, s[0:3], 0 offset:76
	buffer_store_dword v25, off, s[0:3], 0 offset:72
	v_ashrrev_i32_e32 v24, 31, v23
	v_lshlrev_b64 v[21:22], 3, v[23:24]
	v_add_nc_u32_e32 v23, s9, v23
	v_add_co_u32 v21, vcc_lo, s8, v21
	v_add_co_ci_u32_e64 v22, null, s14, v22, vcc_lo
	v_ashrrev_i32_e32 v24, 31, v23
	flat_load_dwordx2 v[25:26], v[21:22]
	s_waitcnt vmcnt(0) lgkmcnt(0)
	buffer_store_dword v26, off, s[0:3], 0 offset:84
	buffer_store_dword v25, off, s[0:3], 0 offset:80
	v_lshlrev_b64 v[23:24], 3, v[23:24]
	v_add_co_u32 v23, vcc_lo, s8, v23
	v_add_co_ci_u32_e64 v24, null, s14, v24, vcc_lo
	flat_load_dwordx2 v[25:26], v[23:24]
	s_waitcnt vmcnt(0) lgkmcnt(0)
	buffer_store_dword v26, off, s[0:3], 0 offset:92
	buffer_store_dword v25, off, s[0:3], 0 offset:88
	s_cbranch_scc1 .LBB75_60
; %bb.4:
	v_cmp_eq_u32_e64 s4, 0, v0
	s_and_saveexec_b32 s5, s4
; %bb.5:
	v_mov_b32_e32 v25, 0
	ds_write_b32 v25, v25 offset:192
; %bb.6:
	s_or_b32 exec_lo, exec_lo, s5
	v_lshl_add_u32 v29, v0, 3, 0
	s_waitcnt lgkmcnt(0)
	s_waitcnt_vscnt null, 0x0
	s_barrier
	buffer_gl0_inv
	s_clause 0x1
	buffer_load_dword v25, v29, s[0:3], 0 offen
	buffer_load_dword v26, v29, s[0:3], 0 offen offset:4
	s_waitcnt vmcnt(1)
	v_cmp_eq_f32_e32 vcc_lo, 0, v25
	s_waitcnt vmcnt(0)
	v_cmp_eq_f32_e64 s5, 0, v26
	s_and_b32 s5, vcc_lo, s5
	s_and_saveexec_b32 s8, s5
	s_cbranch_execz .LBB75_10
; %bb.7:
	v_mov_b32_e32 v25, 0
	s_mov_b32 s9, 0
	ds_read_b32 v26, v25 offset:192
	s_waitcnt lgkmcnt(0)
	v_readfirstlane_b32 s5, v26
	v_add_nc_u32_e32 v26, 1, v0
	s_cmp_eq_u32 s5, 0
	v_cmp_gt_i32_e32 vcc_lo, s5, v26
	s_cselect_b32 s14, -1, 0
	s_or_b32 s14, s14, vcc_lo
	s_and_b32 exec_lo, exec_lo, s14
	s_cbranch_execz .LBB75_10
; %bb.8:
	v_mov_b32_e32 v28, s5
.LBB75_9:                               ; =>This Inner Loop Header: Depth=1
	ds_cmpst_rtn_b32 v28, v25, v28, v26 offset:192
	s_waitcnt lgkmcnt(0)
	v_cmp_ne_u32_e32 vcc_lo, 0, v28
	v_cmp_le_i32_e64 s5, v28, v26
	s_and_b32 s5, vcc_lo, s5
	s_and_b32 s5, exec_lo, s5
	s_or_b32 s9, s5, s9
	s_andn2_b32 exec_lo, exec_lo, s9
	s_cbranch_execnz .LBB75_9
.LBB75_10:
	s_or_b32 exec_lo, exec_lo, s8
	v_mov_b32_e32 v25, 0
	s_barrier
	buffer_gl0_inv
	ds_read_b32 v26, v25 offset:192
	s_and_saveexec_b32 s5, s4
	s_cbranch_execz .LBB75_12
; %bb.11:
	s_lshl_b64 s[8:9], s[6:7], 2
	s_add_u32 s8, s10, s8
	s_addc_u32 s9, s11, s9
	s_waitcnt lgkmcnt(0)
	global_store_dword v25, v26, s[8:9]
.LBB75_12:
	s_or_b32 exec_lo, exec_lo, s5
	s_waitcnt lgkmcnt(0)
	v_cmp_ne_u32_e32 vcc_lo, 0, v26
	s_mov_b32 s5, 0
	s_cbranch_vccnz .LBB75_60
; %bb.13:
	s_clause 0x1
	buffer_load_dword v26, v29, s[0:3], 0 offen
	buffer_load_dword v28, v29, s[0:3], 0 offen offset:4
                                        ; implicit-def: $vgpr31
                                        ; implicit-def: $vgpr30
                                        ; implicit-def: $vgpr25
	s_waitcnt vmcnt(0)
	v_cmp_ngt_f32_e64 s5, |v26|, |v28|
	s_and_saveexec_b32 s8, s5
	s_xor_b32 s5, exec_lo, s8
	s_cbranch_execz .LBB75_15
; %bb.14:
	v_div_scale_f32 v25, null, v28, v28, v26
	v_div_scale_f32 v32, vcc_lo, v26, v28, v26
	v_rcp_f32_e32 v30, v25
	v_fma_f32 v31, -v25, v30, 1.0
	v_fmac_f32_e32 v30, v31, v30
	v_mul_f32_e32 v31, v32, v30
	v_fma_f32 v33, -v25, v31, v32
	v_fmac_f32_e32 v31, v33, v30
	v_fma_f32 v25, -v25, v31, v32
	v_div_fmas_f32 v25, v25, v30, v31
	v_div_fixup_f32 v25, v25, v28, v26
	v_fmac_f32_e32 v28, v26, v25
	v_div_scale_f32 v26, null, v28, v28, 1.0
	v_rcp_f32_e32 v30, v26
	v_fma_f32 v31, -v26, v30, 1.0
	v_fmac_f32_e32 v30, v31, v30
	v_div_scale_f32 v31, vcc_lo, 1.0, v28, 1.0
	v_mul_f32_e32 v32, v31, v30
	v_fma_f32 v33, -v26, v32, v31
	v_fmac_f32_e32 v32, v33, v30
	v_fma_f32 v26, -v26, v32, v31
	v_div_fmas_f32 v26, v26, v30, v32
	v_div_fixup_f32 v26, v26, v28, 1.0
                                        ; implicit-def: $vgpr28
	v_mul_f32_e32 v31, v25, v26
	v_xor_b32_e32 v30, 0x80000000, v26
                                        ; implicit-def: $vgpr26
	v_xor_b32_e32 v25, 0x80000000, v31
.LBB75_15:
	s_andn2_saveexec_b32 s5, s5
	s_cbranch_execz .LBB75_17
; %bb.16:
	v_div_scale_f32 v25, null, v26, v26, v28
	v_div_scale_f32 v32, vcc_lo, v28, v26, v28
	v_rcp_f32_e32 v30, v25
	v_fma_f32 v31, -v25, v30, 1.0
	v_fmac_f32_e32 v30, v31, v30
	v_mul_f32_e32 v31, v32, v30
	v_fma_f32 v33, -v25, v31, v32
	v_fmac_f32_e32 v31, v33, v30
	v_fma_f32 v25, -v25, v31, v32
	v_div_fmas_f32 v25, v25, v30, v31
	v_div_fixup_f32 v30, v25, v26, v28
	v_fmac_f32_e32 v26, v28, v30
	v_div_scale_f32 v25, null, v26, v26, 1.0
	v_div_scale_f32 v32, vcc_lo, 1.0, v26, 1.0
	v_rcp_f32_e32 v28, v25
	v_fma_f32 v31, -v25, v28, 1.0
	v_fmac_f32_e32 v28, v31, v28
	v_mul_f32_e32 v31, v32, v28
	v_fma_f32 v33, -v25, v31, v32
	v_fmac_f32_e32 v31, v33, v28
	v_fma_f32 v25, -v25, v31, v32
	v_div_fmas_f32 v25, v25, v28, v31
	v_div_fixup_f32 v31, v25, v26, 1.0
	v_xor_b32_e32 v25, 0x80000000, v31
	v_mul_f32_e64 v30, v30, -v31
.LBB75_17:
	s_or_b32 exec_lo, exec_lo, s5
	buffer_store_dword v31, v29, s[0:3], 0 offen
	buffer_store_dword v30, v29, s[0:3], 0 offen offset:4
	s_clause 0x1
	buffer_load_dword v32, off, s[0:3], 0 offset:12
	buffer_load_dword v31, off, s[0:3], 0 offset:8
	v_xor_b32_e32 v26, 0x80000000, v30
	v_add_nc_u32_e32 v28, 0x60, v27
	s_waitcnt vmcnt(0)
	ds_write2_b64 v27, v[25:26], v[31:32] offset1:12
	s_waitcnt lgkmcnt(0)
	s_waitcnt_vscnt null, 0x0
	s_barrier
	buffer_gl0_inv
	s_and_saveexec_b32 s5, s4
	s_cbranch_execz .LBB75_19
; %bb.18:
	s_clause 0x1
	buffer_load_dword v32, v29, s[0:3], 0 offen offset:4
	buffer_load_dword v33, v29, s[0:3], 0 offen
	ds_read_b64 v[25:26], v28
	v_mov_b32_e32 v30, 0
	ds_read_b64 v[30:31], v30 offset:8
	s_waitcnt vmcnt(1) lgkmcnt(1)
	v_mul_f32_e32 v34, v25, v32
	v_mul_f32_e32 v32, v26, v32
	s_waitcnt vmcnt(0)
	v_fmac_f32_e32 v34, v26, v33
	v_fma_f32 v25, v25, v33, -v32
	v_add_f32_e32 v26, 0, v34
	v_add_f32_e32 v25, 0, v25
	s_waitcnt lgkmcnt(0)
	v_mul_f32_e32 v32, v26, v31
	v_mul_f32_e32 v31, v25, v31
	v_fma_f32 v25, v25, v30, -v32
	v_fmac_f32_e32 v31, v26, v30
	buffer_store_dword v25, off, s[0:3], 0 offset:8
	buffer_store_dword v31, off, s[0:3], 0 offset:12
.LBB75_19:
	s_or_b32 exec_lo, exec_lo, s5
	s_waitcnt_vscnt null, 0x0
	s_barrier
	buffer_gl0_inv
	s_clause 0x1
	buffer_load_dword v25, off, s[0:3], 0 offset:16
	buffer_load_dword v26, off, s[0:3], 0 offset:20
	s_mov_b32 s5, exec_lo
	s_waitcnt vmcnt(0)
	ds_write_b64 v28, v[25:26]
	s_waitcnt lgkmcnt(0)
	s_barrier
	buffer_gl0_inv
	v_cmpx_gt_u32_e32 2, v0
	s_cbranch_execz .LBB75_23
; %bb.20:
	s_clause 0x1
	buffer_load_dword v30, v29, s[0:3], 0 offen offset:4
	buffer_load_dword v29, v29, s[0:3], 0 offen
	ds_read_b64 v[25:26], v28
	s_waitcnt vmcnt(1) lgkmcnt(0)
	v_mul_f32_e32 v31, v26, v30
	v_mul_f32_e32 v30, v25, v30
	s_waitcnt vmcnt(0)
	v_fma_f32 v25, v25, v29, -v31
	v_fmac_f32_e32 v30, v26, v29
	v_add_f32_e32 v26, 0, v25
	v_add_f32_e32 v25, 0, v30
	s_and_saveexec_b32 s8, s4
	s_cbranch_execz .LBB75_22
; %bb.21:
	s_clause 0x1
	buffer_load_dword v31, off, s[0:3], 0 offset:12
	buffer_load_dword v32, off, s[0:3], 0 offset:8
	v_mov_b32_e32 v29, 0
	ds_read_b64 v[29:30], v29 offset:104
	s_waitcnt vmcnt(1) lgkmcnt(0)
	v_mul_f32_e32 v33, v29, v31
	v_mul_f32_e32 v31, v30, v31
	s_waitcnt vmcnt(0)
	v_fmac_f32_e32 v33, v30, v32
	v_fma_f32 v29, v29, v32, -v31
	v_add_f32_e32 v25, v25, v33
	v_add_f32_e32 v26, v26, v29
.LBB75_22:
	s_or_b32 exec_lo, exec_lo, s8
	v_mov_b32_e32 v29, 0
	ds_read_b64 v[29:30], v29 offset:16
	s_waitcnt lgkmcnt(0)
	v_mul_f32_e32 v31, v25, v30
	v_mul_f32_e32 v30, v26, v30
	v_fma_f32 v26, v26, v29, -v31
	v_fmac_f32_e32 v30, v25, v29
	buffer_store_dword v26, off, s[0:3], 0 offset:16
	buffer_store_dword v30, off, s[0:3], 0 offset:20
.LBB75_23:
	s_or_b32 exec_lo, exec_lo, s5
	s_waitcnt_vscnt null, 0x0
	s_barrier
	buffer_gl0_inv
	s_clause 0x1
	buffer_load_dword v29, off, s[0:3], 0 offset:24
	buffer_load_dword v30, off, s[0:3], 0 offset:28
	v_add_nc_u32_e32 v25, -1, v0
	s_mov_b32 s4, exec_lo
	s_waitcnt vmcnt(0)
	ds_write_b64 v28, v[29:30]
	s_waitcnt lgkmcnt(0)
	s_barrier
	buffer_gl0_inv
	v_cmpx_gt_u32_e32 3, v0
	s_cbranch_execz .LBB75_27
; %bb.24:
	v_add_nc_u32_e32 v29, -1, v0
	v_add_nc_u32_e32 v30, 0x60, v27
	v_mov_b32_e32 v31, v27
	v_mov_b32_e32 v26, 0
	;; [unrolled: 1-line block ×3, first 2 shown]
	s_mov_b32 s5, 0
	.p2align	6
.LBB75_25:                              ; =>This Inner Loop Header: Depth=1
	s_clause 0x1
	buffer_load_dword v35, v31, s[0:3], 0 offen offset:4
	buffer_load_dword v36, v31, s[0:3], 0 offen
	ds_read_b64 v[33:34], v30
	v_add_nc_u32_e32 v29, 1, v29
	v_add_nc_u32_e32 v30, 8, v30
	;; [unrolled: 1-line block ×3, first 2 shown]
	v_cmp_lt_u32_e32 vcc_lo, 1, v29
	s_or_b32 s5, vcc_lo, s5
	s_waitcnt vmcnt(1) lgkmcnt(0)
	v_mul_f32_e32 v37, v34, v35
	v_mul_f32_e32 v35, v33, v35
	s_waitcnt vmcnt(0)
	v_fma_f32 v33, v33, v36, -v37
	v_fmac_f32_e32 v35, v34, v36
	v_add_f32_e32 v32, v32, v33
	v_add_f32_e32 v26, v26, v35
	s_andn2_b32 exec_lo, exec_lo, s5
	s_cbranch_execnz .LBB75_25
; %bb.26:
	s_or_b32 exec_lo, exec_lo, s5
	v_mov_b32_e32 v29, 0
	ds_read_b64 v[29:30], v29 offset:24
	s_waitcnt lgkmcnt(0)
	v_mul_f32_e32 v31, v26, v30
	v_mul_f32_e32 v30, v32, v30
	v_fma_f32 v31, v32, v29, -v31
	v_fmac_f32_e32 v30, v26, v29
	buffer_store_dword v31, off, s[0:3], 0 offset:24
	buffer_store_dword v30, off, s[0:3], 0 offset:28
.LBB75_27:
	s_or_b32 exec_lo, exec_lo, s4
	s_waitcnt_vscnt null, 0x0
	s_barrier
	buffer_gl0_inv
	s_clause 0x1
	buffer_load_dword v29, off, s[0:3], 0 offset:32
	buffer_load_dword v30, off, s[0:3], 0 offset:36
	s_mov_b32 s4, exec_lo
	s_waitcnt vmcnt(0)
	ds_write_b64 v28, v[29:30]
	s_waitcnt lgkmcnt(0)
	s_barrier
	buffer_gl0_inv
	v_cmpx_gt_u32_e32 4, v0
	s_cbranch_execz .LBB75_31
; %bb.28:
	v_add_nc_u32_e32 v29, -1, v0
	v_add_nc_u32_e32 v30, 0x60, v27
	v_mov_b32_e32 v31, v27
	v_mov_b32_e32 v26, 0
	;; [unrolled: 1-line block ×3, first 2 shown]
	s_mov_b32 s5, 0
	.p2align	6
.LBB75_29:                              ; =>This Inner Loop Header: Depth=1
	s_clause 0x1
	buffer_load_dword v35, v31, s[0:3], 0 offen offset:4
	buffer_load_dword v36, v31, s[0:3], 0 offen
	ds_read_b64 v[33:34], v30
	v_add_nc_u32_e32 v29, 1, v29
	v_add_nc_u32_e32 v30, 8, v30
	;; [unrolled: 1-line block ×3, first 2 shown]
	v_cmp_lt_u32_e32 vcc_lo, 2, v29
	s_or_b32 s5, vcc_lo, s5
	s_waitcnt vmcnt(1) lgkmcnt(0)
	v_mul_f32_e32 v37, v34, v35
	v_mul_f32_e32 v35, v33, v35
	s_waitcnt vmcnt(0)
	v_fma_f32 v33, v33, v36, -v37
	v_fmac_f32_e32 v35, v34, v36
	v_add_f32_e32 v32, v32, v33
	v_add_f32_e32 v26, v26, v35
	s_andn2_b32 exec_lo, exec_lo, s5
	s_cbranch_execnz .LBB75_29
; %bb.30:
	s_or_b32 exec_lo, exec_lo, s5
	v_mov_b32_e32 v29, 0
	ds_read_b64 v[29:30], v29 offset:32
	s_waitcnt lgkmcnt(0)
	v_mul_f32_e32 v31, v26, v30
	v_mul_f32_e32 v30, v32, v30
	v_fma_f32 v31, v32, v29, -v31
	v_fmac_f32_e32 v30, v26, v29
	buffer_store_dword v31, off, s[0:3], 0 offset:32
	buffer_store_dword v30, off, s[0:3], 0 offset:36
.LBB75_31:
	s_or_b32 exec_lo, exec_lo, s4
	s_waitcnt_vscnt null, 0x0
	s_barrier
	buffer_gl0_inv
	s_clause 0x1
	buffer_load_dword v29, off, s[0:3], 0 offset:40
	buffer_load_dword v30, off, s[0:3], 0 offset:44
	s_mov_b32 s4, exec_lo
	s_waitcnt vmcnt(0)
	ds_write_b64 v28, v[29:30]
	s_waitcnt lgkmcnt(0)
	s_barrier
	buffer_gl0_inv
	v_cmpx_gt_u32_e32 5, v0
	s_cbranch_execz .LBB75_35
; %bb.32:
	v_add_nc_u32_e32 v29, -1, v0
	v_add_nc_u32_e32 v30, 0x60, v27
	v_mov_b32_e32 v31, v27
	v_mov_b32_e32 v26, 0
	;; [unrolled: 1-line block ×3, first 2 shown]
	s_mov_b32 s5, 0
	.p2align	6
.LBB75_33:                              ; =>This Inner Loop Header: Depth=1
	s_clause 0x1
	buffer_load_dword v35, v31, s[0:3], 0 offen offset:4
	buffer_load_dword v36, v31, s[0:3], 0 offen
	ds_read_b64 v[33:34], v30
	v_add_nc_u32_e32 v29, 1, v29
	v_add_nc_u32_e32 v30, 8, v30
	;; [unrolled: 1-line block ×3, first 2 shown]
	v_cmp_lt_u32_e32 vcc_lo, 3, v29
	s_or_b32 s5, vcc_lo, s5
	s_waitcnt vmcnt(1) lgkmcnt(0)
	v_mul_f32_e32 v37, v34, v35
	v_mul_f32_e32 v35, v33, v35
	s_waitcnt vmcnt(0)
	v_fma_f32 v33, v33, v36, -v37
	v_fmac_f32_e32 v35, v34, v36
	v_add_f32_e32 v32, v32, v33
	v_add_f32_e32 v26, v26, v35
	s_andn2_b32 exec_lo, exec_lo, s5
	s_cbranch_execnz .LBB75_33
; %bb.34:
	s_or_b32 exec_lo, exec_lo, s5
	v_mov_b32_e32 v29, 0
	ds_read_b64 v[29:30], v29 offset:40
	s_waitcnt lgkmcnt(0)
	v_mul_f32_e32 v31, v26, v30
	v_mul_f32_e32 v30, v32, v30
	v_fma_f32 v31, v32, v29, -v31
	v_fmac_f32_e32 v30, v26, v29
	buffer_store_dword v31, off, s[0:3], 0 offset:40
	buffer_store_dword v30, off, s[0:3], 0 offset:44
.LBB75_35:
	s_or_b32 exec_lo, exec_lo, s4
	s_waitcnt_vscnt null, 0x0
	s_barrier
	buffer_gl0_inv
	s_clause 0x1
	buffer_load_dword v29, off, s[0:3], 0 offset:48
	buffer_load_dword v30, off, s[0:3], 0 offset:52
	s_mov_b32 s4, exec_lo
	s_waitcnt vmcnt(0)
	ds_write_b64 v28, v[29:30]
	s_waitcnt lgkmcnt(0)
	s_barrier
	buffer_gl0_inv
	v_cmpx_gt_u32_e32 6, v0
	s_cbranch_execz .LBB75_39
; %bb.36:
	v_add_nc_u32_e32 v29, -1, v0
	v_add_nc_u32_e32 v30, 0x60, v27
	v_mov_b32_e32 v31, v27
	v_mov_b32_e32 v26, 0
	;; [unrolled: 1-line block ×3, first 2 shown]
	s_mov_b32 s5, 0
	.p2align	6
.LBB75_37:                              ; =>This Inner Loop Header: Depth=1
	s_clause 0x1
	buffer_load_dword v35, v31, s[0:3], 0 offen offset:4
	buffer_load_dword v36, v31, s[0:3], 0 offen
	ds_read_b64 v[33:34], v30
	v_add_nc_u32_e32 v29, 1, v29
	v_add_nc_u32_e32 v30, 8, v30
	;; [unrolled: 1-line block ×3, first 2 shown]
	v_cmp_lt_u32_e32 vcc_lo, 4, v29
	s_or_b32 s5, vcc_lo, s5
	s_waitcnt vmcnt(1) lgkmcnt(0)
	v_mul_f32_e32 v37, v34, v35
	v_mul_f32_e32 v35, v33, v35
	s_waitcnt vmcnt(0)
	v_fma_f32 v33, v33, v36, -v37
	v_fmac_f32_e32 v35, v34, v36
	v_add_f32_e32 v32, v32, v33
	v_add_f32_e32 v26, v26, v35
	s_andn2_b32 exec_lo, exec_lo, s5
	s_cbranch_execnz .LBB75_37
; %bb.38:
	s_or_b32 exec_lo, exec_lo, s5
	v_mov_b32_e32 v29, 0
	ds_read_b64 v[29:30], v29 offset:48
	s_waitcnt lgkmcnt(0)
	v_mul_f32_e32 v31, v26, v30
	v_mul_f32_e32 v30, v32, v30
	v_fma_f32 v31, v32, v29, -v31
	v_fmac_f32_e32 v30, v26, v29
	buffer_store_dword v31, off, s[0:3], 0 offset:48
	buffer_store_dword v30, off, s[0:3], 0 offset:52
.LBB75_39:
	s_or_b32 exec_lo, exec_lo, s4
	s_waitcnt_vscnt null, 0x0
	s_barrier
	buffer_gl0_inv
	s_clause 0x1
	buffer_load_dword v29, off, s[0:3], 0 offset:56
	buffer_load_dword v30, off, s[0:3], 0 offset:60
	s_mov_b32 s4, exec_lo
	s_waitcnt vmcnt(0)
	ds_write_b64 v28, v[29:30]
	s_waitcnt lgkmcnt(0)
	s_barrier
	buffer_gl0_inv
	v_cmpx_gt_u32_e32 7, v0
	s_cbranch_execz .LBB75_43
; %bb.40:
	v_add_nc_u32_e32 v29, -1, v0
	v_add_nc_u32_e32 v30, 0x60, v27
	v_mov_b32_e32 v31, v27
	v_mov_b32_e32 v26, 0
	;; [unrolled: 1-line block ×3, first 2 shown]
	s_mov_b32 s5, 0
	.p2align	6
.LBB75_41:                              ; =>This Inner Loop Header: Depth=1
	s_clause 0x1
	buffer_load_dword v35, v31, s[0:3], 0 offen offset:4
	buffer_load_dword v36, v31, s[0:3], 0 offen
	ds_read_b64 v[33:34], v30
	v_add_nc_u32_e32 v29, 1, v29
	v_add_nc_u32_e32 v30, 8, v30
	;; [unrolled: 1-line block ×3, first 2 shown]
	v_cmp_lt_u32_e32 vcc_lo, 5, v29
	s_or_b32 s5, vcc_lo, s5
	s_waitcnt vmcnt(1) lgkmcnt(0)
	v_mul_f32_e32 v37, v34, v35
	v_mul_f32_e32 v35, v33, v35
	s_waitcnt vmcnt(0)
	v_fma_f32 v33, v33, v36, -v37
	v_fmac_f32_e32 v35, v34, v36
	v_add_f32_e32 v32, v32, v33
	v_add_f32_e32 v26, v26, v35
	s_andn2_b32 exec_lo, exec_lo, s5
	s_cbranch_execnz .LBB75_41
; %bb.42:
	s_or_b32 exec_lo, exec_lo, s5
	v_mov_b32_e32 v29, 0
	ds_read_b64 v[29:30], v29 offset:56
	s_waitcnt lgkmcnt(0)
	v_mul_f32_e32 v31, v26, v30
	v_mul_f32_e32 v30, v32, v30
	v_fma_f32 v31, v32, v29, -v31
	v_fmac_f32_e32 v30, v26, v29
	buffer_store_dword v31, off, s[0:3], 0 offset:56
	buffer_store_dword v30, off, s[0:3], 0 offset:60
.LBB75_43:
	s_or_b32 exec_lo, exec_lo, s4
	s_waitcnt_vscnt null, 0x0
	s_barrier
	buffer_gl0_inv
	s_clause 0x1
	buffer_load_dword v29, off, s[0:3], 0 offset:64
	buffer_load_dword v30, off, s[0:3], 0 offset:68
	s_mov_b32 s4, exec_lo
	s_waitcnt vmcnt(0)
	ds_write_b64 v28, v[29:30]
	s_waitcnt lgkmcnt(0)
	s_barrier
	buffer_gl0_inv
	v_cmpx_gt_u32_e32 8, v0
	s_cbranch_execz .LBB75_47
; %bb.44:
	v_add_nc_u32_e32 v29, -1, v0
	v_add_nc_u32_e32 v30, 0x60, v27
	v_mov_b32_e32 v31, v27
	v_mov_b32_e32 v26, 0
	;; [unrolled: 1-line block ×3, first 2 shown]
	s_mov_b32 s5, 0
	.p2align	6
.LBB75_45:                              ; =>This Inner Loop Header: Depth=1
	s_clause 0x1
	buffer_load_dword v35, v31, s[0:3], 0 offen offset:4
	buffer_load_dword v36, v31, s[0:3], 0 offen
	ds_read_b64 v[33:34], v30
	v_add_nc_u32_e32 v29, 1, v29
	v_add_nc_u32_e32 v30, 8, v30
	;; [unrolled: 1-line block ×3, first 2 shown]
	v_cmp_lt_u32_e32 vcc_lo, 6, v29
	s_or_b32 s5, vcc_lo, s5
	s_waitcnt vmcnt(1) lgkmcnt(0)
	v_mul_f32_e32 v37, v34, v35
	v_mul_f32_e32 v35, v33, v35
	s_waitcnt vmcnt(0)
	v_fma_f32 v33, v33, v36, -v37
	v_fmac_f32_e32 v35, v34, v36
	v_add_f32_e32 v32, v32, v33
	v_add_f32_e32 v26, v26, v35
	s_andn2_b32 exec_lo, exec_lo, s5
	s_cbranch_execnz .LBB75_45
; %bb.46:
	s_or_b32 exec_lo, exec_lo, s5
	v_mov_b32_e32 v29, 0
	ds_read_b64 v[29:30], v29 offset:64
	s_waitcnt lgkmcnt(0)
	v_mul_f32_e32 v31, v26, v30
	v_mul_f32_e32 v30, v32, v30
	v_fma_f32 v31, v32, v29, -v31
	v_fmac_f32_e32 v30, v26, v29
	buffer_store_dword v31, off, s[0:3], 0 offset:64
	buffer_store_dword v30, off, s[0:3], 0 offset:68
.LBB75_47:
	s_or_b32 exec_lo, exec_lo, s4
	s_waitcnt_vscnt null, 0x0
	s_barrier
	buffer_gl0_inv
	s_clause 0x1
	buffer_load_dword v29, off, s[0:3], 0 offset:72
	buffer_load_dword v30, off, s[0:3], 0 offset:76
	s_mov_b32 s4, exec_lo
	s_waitcnt vmcnt(0)
	ds_write_b64 v28, v[29:30]
	s_waitcnt lgkmcnt(0)
	s_barrier
	buffer_gl0_inv
	v_cmpx_gt_u32_e32 9, v0
	s_cbranch_execz .LBB75_51
; %bb.48:
	v_add_nc_u32_e32 v29, -1, v0
	v_add_nc_u32_e32 v30, 0x60, v27
	v_mov_b32_e32 v31, v27
	v_mov_b32_e32 v26, 0
	;; [unrolled: 1-line block ×3, first 2 shown]
	s_mov_b32 s5, 0
	.p2align	6
.LBB75_49:                              ; =>This Inner Loop Header: Depth=1
	s_clause 0x1
	buffer_load_dword v35, v31, s[0:3], 0 offen offset:4
	buffer_load_dword v36, v31, s[0:3], 0 offen
	ds_read_b64 v[33:34], v30
	v_add_nc_u32_e32 v29, 1, v29
	v_add_nc_u32_e32 v30, 8, v30
	;; [unrolled: 1-line block ×3, first 2 shown]
	v_cmp_lt_u32_e32 vcc_lo, 7, v29
	s_or_b32 s5, vcc_lo, s5
	s_waitcnt vmcnt(1) lgkmcnt(0)
	v_mul_f32_e32 v37, v34, v35
	v_mul_f32_e32 v35, v33, v35
	s_waitcnt vmcnt(0)
	v_fma_f32 v33, v33, v36, -v37
	v_fmac_f32_e32 v35, v34, v36
	v_add_f32_e32 v32, v32, v33
	v_add_f32_e32 v26, v26, v35
	s_andn2_b32 exec_lo, exec_lo, s5
	s_cbranch_execnz .LBB75_49
; %bb.50:
	s_or_b32 exec_lo, exec_lo, s5
	v_mov_b32_e32 v29, 0
	ds_read_b64 v[29:30], v29 offset:72
	s_waitcnt lgkmcnt(0)
	v_mul_f32_e32 v31, v26, v30
	v_mul_f32_e32 v30, v32, v30
	v_fma_f32 v31, v32, v29, -v31
	v_fmac_f32_e32 v30, v26, v29
	buffer_store_dword v31, off, s[0:3], 0 offset:72
	buffer_store_dword v30, off, s[0:3], 0 offset:76
.LBB75_51:
	s_or_b32 exec_lo, exec_lo, s4
	s_waitcnt_vscnt null, 0x0
	s_barrier
	buffer_gl0_inv
	s_clause 0x1
	buffer_load_dword v29, off, s[0:3], 0 offset:80
	buffer_load_dword v30, off, s[0:3], 0 offset:84
	s_mov_b32 s4, exec_lo
	s_waitcnt vmcnt(0)
	ds_write_b64 v28, v[29:30]
	s_waitcnt lgkmcnt(0)
	s_barrier
	buffer_gl0_inv
	v_cmpx_gt_u32_e32 10, v0
	s_cbranch_execz .LBB75_55
; %bb.52:
	v_add_nc_u32_e32 v29, -1, v0
	v_add_nc_u32_e32 v30, 0x60, v27
	v_mov_b32_e32 v31, v27
	v_mov_b32_e32 v26, 0
	;; [unrolled: 1-line block ×3, first 2 shown]
	s_mov_b32 s5, 0
	.p2align	6
.LBB75_53:                              ; =>This Inner Loop Header: Depth=1
	s_clause 0x1
	buffer_load_dword v35, v31, s[0:3], 0 offen offset:4
	buffer_load_dword v36, v31, s[0:3], 0 offen
	ds_read_b64 v[33:34], v30
	v_add_nc_u32_e32 v29, 1, v29
	v_add_nc_u32_e32 v30, 8, v30
	;; [unrolled: 1-line block ×3, first 2 shown]
	v_cmp_lt_u32_e32 vcc_lo, 8, v29
	s_or_b32 s5, vcc_lo, s5
	s_waitcnt vmcnt(1) lgkmcnt(0)
	v_mul_f32_e32 v37, v34, v35
	v_mul_f32_e32 v35, v33, v35
	s_waitcnt vmcnt(0)
	v_fma_f32 v33, v33, v36, -v37
	v_fmac_f32_e32 v35, v34, v36
	v_add_f32_e32 v32, v32, v33
	v_add_f32_e32 v26, v26, v35
	s_andn2_b32 exec_lo, exec_lo, s5
	s_cbranch_execnz .LBB75_53
; %bb.54:
	s_or_b32 exec_lo, exec_lo, s5
	v_mov_b32_e32 v29, 0
	ds_read_b64 v[29:30], v29 offset:80
	s_waitcnt lgkmcnt(0)
	v_mul_f32_e32 v31, v26, v30
	v_mul_f32_e32 v30, v32, v30
	v_fma_f32 v31, v32, v29, -v31
	v_fmac_f32_e32 v30, v26, v29
	buffer_store_dword v31, off, s[0:3], 0 offset:80
	buffer_store_dword v30, off, s[0:3], 0 offset:84
.LBB75_55:
	s_or_b32 exec_lo, exec_lo, s4
	s_waitcnt_vscnt null, 0x0
	s_barrier
	buffer_gl0_inv
	s_clause 0x1
	buffer_load_dword v29, off, s[0:3], 0 offset:88
	buffer_load_dword v30, off, s[0:3], 0 offset:92
	s_mov_b32 s4, exec_lo
	s_waitcnt vmcnt(0)
	ds_write_b64 v28, v[29:30]
	s_waitcnt lgkmcnt(0)
	s_barrier
	buffer_gl0_inv
	v_cmpx_ne_u32_e32 11, v0
	s_cbranch_execz .LBB75_59
; %bb.56:
	v_mov_b32_e32 v26, 0
	v_mov_b32_e32 v29, 0
	s_mov_b32 s5, 0
	.p2align	6
.LBB75_57:                              ; =>This Inner Loop Header: Depth=1
	s_clause 0x1
	buffer_load_dword v32, v27, s[0:3], 0 offen offset:4
	buffer_load_dword v33, v27, s[0:3], 0 offen
	ds_read_b64 v[30:31], v28
	v_add_nc_u32_e32 v25, 1, v25
	v_add_nc_u32_e32 v28, 8, v28
	;; [unrolled: 1-line block ×3, first 2 shown]
	v_cmp_lt_u32_e32 vcc_lo, 9, v25
	s_or_b32 s5, vcc_lo, s5
	s_waitcnt vmcnt(1) lgkmcnt(0)
	v_mul_f32_e32 v34, v31, v32
	v_mul_f32_e32 v32, v30, v32
	s_waitcnt vmcnt(0)
	v_fma_f32 v30, v30, v33, -v34
	v_fmac_f32_e32 v32, v31, v33
	v_add_f32_e32 v29, v29, v30
	v_add_f32_e32 v26, v26, v32
	s_andn2_b32 exec_lo, exec_lo, s5
	s_cbranch_execnz .LBB75_57
; %bb.58:
	s_or_b32 exec_lo, exec_lo, s5
	v_mov_b32_e32 v25, 0
	ds_read_b64 v[27:28], v25 offset:88
	s_waitcnt lgkmcnt(0)
	v_mul_f32_e32 v25, v26, v28
	v_mul_f32_e32 v28, v29, v28
	v_fma_f32 v25, v29, v27, -v25
	v_fmac_f32_e32 v28, v26, v27
	buffer_store_dword v25, off, s[0:3], 0 offset:88
	buffer_store_dword v28, off, s[0:3], 0 offset:92
.LBB75_59:
	s_or_b32 exec_lo, exec_lo, s4
	s_mov_b32 s5, -1
	s_waitcnt_vscnt null, 0x0
	s_barrier
	buffer_gl0_inv
.LBB75_60:
	s_and_b32 vcc_lo, exec_lo, s5
	s_cbranch_vccz .LBB75_62
; %bb.61:
	s_lshl_b64 s[4:5], s[6:7], 2
	v_mov_b32_e32 v25, 0
	s_add_u32 s4, s10, s4
	s_addc_u32 s5, s11, s5
	global_load_dword v25, v25, s[4:5]
	s_waitcnt vmcnt(0)
	v_cmp_ne_u32_e32 vcc_lo, 0, v25
	s_cbranch_vccz .LBB75_63
.LBB75_62:
	s_endpgm
.LBB75_63:
	v_lshl_add_u32 v25, v0, 3, 0x60
	s_mov_b32 s4, exec_lo
	v_cmpx_eq_u32_e32 11, v0
	s_cbranch_execz .LBB75_65
; %bb.64:
	s_clause 0x1
	buffer_load_dword v26, off, s[0:3], 0 offset:80
	buffer_load_dword v27, off, s[0:3], 0 offset:84
	v_mov_b32_e32 v28, 0
	buffer_store_dword v28, off, s[0:3], 0 offset:80
	buffer_store_dword v28, off, s[0:3], 0 offset:84
	s_waitcnt vmcnt(0)
	ds_write_b64 v25, v[26:27]
.LBB75_65:
	s_or_b32 exec_lo, exec_lo, s4
	s_waitcnt lgkmcnt(0)
	s_waitcnt_vscnt null, 0x0
	s_barrier
	buffer_gl0_inv
	s_clause 0x3
	buffer_load_dword v29, off, s[0:3], 0 offset:92
	buffer_load_dword v30, off, s[0:3], 0 offset:88
	;; [unrolled: 1-line block ×4, first 2 shown]
	v_mov_b32_e32 v26, 0
	s_mov_b32 s4, exec_lo
	ds_read_b64 v[27:28], v26 offset:184
	s_waitcnt vmcnt(3) lgkmcnt(0)
	v_mul_f32_e32 v33, v28, v29
	v_mul_f32_e32 v29, v27, v29
	s_waitcnt vmcnt(2)
	v_fma_f32 v27, v27, v30, -v33
	v_fmac_f32_e32 v29, v28, v30
	v_add_f32_e32 v27, 0, v27
	v_add_f32_e32 v28, 0, v29
	s_waitcnt vmcnt(1)
	v_sub_f32_e32 v27, v31, v27
	s_waitcnt vmcnt(0)
	v_sub_f32_e32 v28, v32, v28
	buffer_store_dword v27, off, s[0:3], 0 offset:80
	buffer_store_dword v28, off, s[0:3], 0 offset:84
	v_cmpx_lt_u32_e32 9, v0
	s_cbranch_execz .LBB75_67
; %bb.66:
	s_clause 0x1
	buffer_load_dword v27, off, s[0:3], 0 offset:72
	buffer_load_dword v28, off, s[0:3], 0 offset:76
	buffer_store_dword v26, off, s[0:3], 0 offset:72
	buffer_store_dword v26, off, s[0:3], 0 offset:76
	s_waitcnt vmcnt(0)
	ds_write_b64 v25, v[27:28]
.LBB75_67:
	s_or_b32 exec_lo, exec_lo, s4
	s_waitcnt lgkmcnt(0)
	s_waitcnt_vscnt null, 0x0
	s_barrier
	buffer_gl0_inv
	s_clause 0x5
	buffer_load_dword v30, off, s[0:3], 0 offset:84
	buffer_load_dword v31, off, s[0:3], 0 offset:92
	;; [unrolled: 1-line block ×6, first 2 shown]
	ds_read_b128 v[26:29], v26 offset:176
	s_mov_b32 s4, exec_lo
	s_waitcnt vmcnt(5) lgkmcnt(0)
	v_mul_f32_e32 v36, v27, v30
	v_mul_f32_e32 v30, v26, v30
	s_waitcnt vmcnt(4)
	v_mul_f32_e32 v37, v28, v31
	v_mul_f32_e32 v31, v29, v31
	s_waitcnt vmcnt(3)
	v_fma_f32 v26, v26, v32, -v36
	v_fmac_f32_e32 v30, v27, v32
	s_waitcnt vmcnt(2)
	v_fmac_f32_e32 v37, v29, v33
	v_fma_f32 v27, v28, v33, -v31
	v_add_f32_e32 v26, 0, v26
	v_add_f32_e32 v28, 0, v30
	;; [unrolled: 1-line block ×4, first 2 shown]
	s_waitcnt vmcnt(1)
	v_sub_f32_e32 v26, v34, v26
	s_waitcnt vmcnt(0)
	v_sub_f32_e32 v27, v35, v27
	buffer_store_dword v26, off, s[0:3], 0 offset:72
	buffer_store_dword v27, off, s[0:3], 0 offset:76
	v_cmpx_lt_u32_e32 8, v0
	s_cbranch_execz .LBB75_69
; %bb.68:
	s_clause 0x1
	buffer_load_dword v26, off, s[0:3], 0 offset:64
	buffer_load_dword v27, off, s[0:3], 0 offset:68
	v_mov_b32_e32 v28, 0
	buffer_store_dword v28, off, s[0:3], 0 offset:64
	buffer_store_dword v28, off, s[0:3], 0 offset:68
	s_waitcnt vmcnt(0)
	ds_write_b64 v25, v[26:27]
.LBB75_69:
	s_or_b32 exec_lo, exec_lo, s4
	s_waitcnt lgkmcnt(0)
	s_waitcnt_vscnt null, 0x0
	s_barrier
	buffer_gl0_inv
	s_clause 0x7
	buffer_load_dword v33, off, s[0:3], 0 offset:76
	buffer_load_dword v34, off, s[0:3], 0 offset:84
	buffer_load_dword v35, off, s[0:3], 0 offset:92
	buffer_load_dword v36, off, s[0:3], 0 offset:72
	buffer_load_dword v37, off, s[0:3], 0 offset:80
	buffer_load_dword v38, off, s[0:3], 0 offset:88
	buffer_load_dword v39, off, s[0:3], 0 offset:64
	buffer_load_dword v40, off, s[0:3], 0 offset:68
	v_mov_b32_e32 v26, 0
	ds_read2_b64 v[27:30], v26 offset0:21 offset1:22
	ds_read_b64 v[31:32], v26 offset:184
	s_mov_b32 s4, exec_lo
	s_waitcnt vmcnt(7) lgkmcnt(1)
	v_mul_f32_e32 v41, v28, v33
	v_mul_f32_e32 v33, v27, v33
	s_waitcnt vmcnt(6)
	v_mul_f32_e32 v42, v29, v34
	v_mul_f32_e32 v34, v30, v34
	s_waitcnt vmcnt(5) lgkmcnt(0)
	v_mul_f32_e32 v43, v31, v35
	s_waitcnt vmcnt(4)
	v_fma_f32 v27, v27, v36, -v41
	v_fmac_f32_e32 v33, v28, v36
	v_mul_f32_e32 v28, v32, v35
	s_waitcnt vmcnt(3)
	v_fma_f32 v29, v29, v37, -v34
	v_fmac_f32_e32 v42, v30, v37
	v_add_f32_e32 v27, 0, v27
	v_add_f32_e32 v30, 0, v33
	s_waitcnt vmcnt(2)
	v_fma_f32 v28, v31, v38, -v28
	v_fmac_f32_e32 v43, v32, v38
	v_add_f32_e32 v27, v27, v29
	v_add_f32_e32 v29, v30, v42
	;; [unrolled: 1-line block ×4, first 2 shown]
	s_waitcnt vmcnt(1)
	v_sub_f32_e32 v27, v39, v27
	s_waitcnt vmcnt(0)
	v_sub_f32_e32 v28, v40, v28
	buffer_store_dword v27, off, s[0:3], 0 offset:64
	buffer_store_dword v28, off, s[0:3], 0 offset:68
	v_cmpx_lt_u32_e32 7, v0
	s_cbranch_execz .LBB75_71
; %bb.70:
	s_clause 0x1
	buffer_load_dword v27, off, s[0:3], 0 offset:56
	buffer_load_dword v28, off, s[0:3], 0 offset:60
	buffer_store_dword v26, off, s[0:3], 0 offset:56
	buffer_store_dword v26, off, s[0:3], 0 offset:60
	s_waitcnt vmcnt(0)
	ds_write_b64 v25, v[27:28]
.LBB75_71:
	s_or_b32 exec_lo, exec_lo, s4
	s_waitcnt lgkmcnt(0)
	s_waitcnt_vscnt null, 0x0
	s_barrier
	buffer_gl0_inv
	s_clause 0x9
	buffer_load_dword v35, off, s[0:3], 0 offset:68
	buffer_load_dword v36, off, s[0:3], 0 offset:76
	;; [unrolled: 1-line block ×10, first 2 shown]
	ds_read_b128 v[27:30], v26 offset:160
	ds_read_b128 v[31:34], v26 offset:176
	s_mov_b32 s4, exec_lo
	s_waitcnt vmcnt(9) lgkmcnt(1)
	v_mul_f32_e32 v26, v27, v35
	v_mul_f32_e32 v35, v28, v35
	s_waitcnt vmcnt(8)
	v_mul_f32_e32 v45, v29, v36
	v_mul_f32_e32 v36, v30, v36
	s_waitcnt vmcnt(7) lgkmcnt(0)
	v_mul_f32_e32 v46, v31, v37
	s_waitcnt vmcnt(5)
	v_fmac_f32_e32 v26, v28, v39
	v_fma_f32 v27, v27, v39, -v35
	v_mul_f32_e32 v28, v32, v37
	s_waitcnt vmcnt(4)
	v_fma_f32 v29, v29, v40, -v36
	v_fmac_f32_e32 v45, v30, v40
	v_add_f32_e32 v26, 0, v26
	v_add_f32_e32 v27, 0, v27
	v_mul_f32_e32 v30, v34, v38
	s_waitcnt vmcnt(3)
	v_fma_f32 v28, v31, v41, -v28
	v_mul_f32_e32 v47, v33, v38
	v_fmac_f32_e32 v46, v32, v41
	v_add_f32_e32 v27, v27, v29
	v_add_f32_e32 v26, v26, v45
	s_waitcnt vmcnt(2)
	v_fma_f32 v29, v33, v42, -v30
	v_fmac_f32_e32 v47, v34, v42
	v_add_f32_e32 v27, v27, v28
	v_add_f32_e32 v26, v26, v46
	;; [unrolled: 1-line block ×4, first 2 shown]
	s_waitcnt vmcnt(1)
	v_sub_f32_e32 v27, v43, v27
	s_waitcnt vmcnt(0)
	v_sub_f32_e32 v26, v44, v26
	buffer_store_dword v27, off, s[0:3], 0 offset:56
	buffer_store_dword v26, off, s[0:3], 0 offset:60
	v_cmpx_lt_u32_e32 6, v0
	s_cbranch_execz .LBB75_73
; %bb.72:
	s_clause 0x1
	buffer_load_dword v26, off, s[0:3], 0 offset:48
	buffer_load_dword v27, off, s[0:3], 0 offset:52
	v_mov_b32_e32 v28, 0
	buffer_store_dword v28, off, s[0:3], 0 offset:48
	buffer_store_dword v28, off, s[0:3], 0 offset:52
	s_waitcnt vmcnt(0)
	ds_write_b64 v25, v[26:27]
.LBB75_73:
	s_or_b32 exec_lo, exec_lo, s4
	s_waitcnt lgkmcnt(0)
	s_waitcnt_vscnt null, 0x0
	s_barrier
	buffer_gl0_inv
	s_clause 0xb
	buffer_load_dword v37, off, s[0:3], 0 offset:60
	buffer_load_dword v38, off, s[0:3], 0 offset:68
	;; [unrolled: 1-line block ×12, first 2 shown]
	v_mov_b32_e32 v26, 0
	ds_read2_b64 v[27:30], v26 offset0:19 offset1:20
	ds_read2_b64 v[31:34], v26 offset0:21 offset1:22
	ds_read_b64 v[35:36], v26 offset:184
	s_mov_b32 s4, exec_lo
	s_waitcnt vmcnt(11) lgkmcnt(2)
	v_mul_f32_e32 v49, v27, v37
	v_mul_f32_e32 v37, v28, v37
	s_waitcnt vmcnt(10)
	v_mul_f32_e32 v50, v29, v38
	v_mul_f32_e32 v38, v30, v38
	s_waitcnt vmcnt(9) lgkmcnt(1)
	v_mul_f32_e32 v51, v31, v39
	s_waitcnt vmcnt(6)
	v_fmac_f32_e32 v49, v28, v42
	v_fma_f32 v27, v27, v42, -v37
	v_mul_f32_e32 v28, v32, v39
	s_waitcnt vmcnt(5)
	v_fma_f32 v29, v29, v43, -v38
	v_fmac_f32_e32 v50, v30, v43
	v_add_f32_e32 v30, 0, v49
	v_add_f32_e32 v27, 0, v27
	v_mul_f32_e32 v37, v34, v40
	s_waitcnt vmcnt(4)
	v_fma_f32 v28, v31, v44, -v28
	v_mul_f32_e32 v52, v33, v40
	v_fmac_f32_e32 v51, v32, v44
	v_add_f32_e32 v27, v27, v29
	v_add_f32_e32 v29, v30, v50
	s_waitcnt lgkmcnt(0)
	v_mul_f32_e32 v30, v36, v41
	s_waitcnt vmcnt(3)
	v_fma_f32 v31, v33, v45, -v37
	v_mul_f32_e32 v53, v35, v41
	v_add_f32_e32 v27, v27, v28
	v_fmac_f32_e32 v52, v34, v45
	v_add_f32_e32 v28, v29, v51
	s_waitcnt vmcnt(2)
	v_fma_f32 v29, v35, v46, -v30
	v_fmac_f32_e32 v53, v36, v46
	v_add_f32_e32 v27, v27, v31
	v_add_f32_e32 v28, v28, v52
	;; [unrolled: 1-line block ×4, first 2 shown]
	s_waitcnt vmcnt(1)
	v_sub_f32_e32 v27, v47, v27
	s_waitcnt vmcnt(0)
	v_sub_f32_e32 v28, v48, v28
	buffer_store_dword v27, off, s[0:3], 0 offset:48
	buffer_store_dword v28, off, s[0:3], 0 offset:52
	v_cmpx_lt_u32_e32 5, v0
	s_cbranch_execz .LBB75_75
; %bb.74:
	s_clause 0x1
	buffer_load_dword v27, off, s[0:3], 0 offset:40
	buffer_load_dword v28, off, s[0:3], 0 offset:44
	buffer_store_dword v26, off, s[0:3], 0 offset:40
	buffer_store_dword v26, off, s[0:3], 0 offset:44
	s_waitcnt vmcnt(0)
	ds_write_b64 v25, v[27:28]
.LBB75_75:
	s_or_b32 exec_lo, exec_lo, s4
	s_waitcnt lgkmcnt(0)
	s_waitcnt_vscnt null, 0x0
	s_barrier
	buffer_gl0_inv
	s_clause 0xd
	buffer_load_dword v39, off, s[0:3], 0 offset:52
	buffer_load_dword v40, off, s[0:3], 0 offset:60
	;; [unrolled: 1-line block ×14, first 2 shown]
	ds_read_b128 v[27:30], v26 offset:144
	ds_read_b128 v[31:34], v26 offset:160
	ds_read_b128 v[35:38], v26 offset:176
	s_mov_b32 s4, exec_lo
	s_waitcnt vmcnt(13) lgkmcnt(2)
	v_mul_f32_e32 v26, v27, v39
	v_mul_f32_e32 v39, v28, v39
	s_waitcnt vmcnt(12)
	v_mul_f32_e32 v53, v29, v40
	v_mul_f32_e32 v40, v30, v40
	s_waitcnt vmcnt(11) lgkmcnt(1)
	v_mul_f32_e32 v54, v31, v41
	s_waitcnt vmcnt(10)
	v_mul_f32_e32 v55, v33, v42
	s_waitcnt vmcnt(7)
	v_fma_f32 v27, v27, v45, -v39
	v_fmac_f32_e32 v26, v28, v45
	v_mul_f32_e32 v28, v32, v41
	s_waitcnt vmcnt(6)
	v_fma_f32 v29, v29, v46, -v40
	v_fmac_f32_e32 v53, v30, v46
	v_add_f32_e32 v27, 0, v27
	v_add_f32_e32 v26, 0, v26
	v_mul_f32_e32 v30, v34, v42
	s_waitcnt vmcnt(5)
	v_fma_f32 v28, v31, v47, -v28
	v_fmac_f32_e32 v54, v32, v47
	v_add_f32_e32 v27, v27, v29
	v_add_f32_e32 v26, v26, v53
	s_waitcnt lgkmcnt(0)
	v_mul_f32_e32 v29, v36, v43
	s_waitcnt vmcnt(4)
	v_fma_f32 v30, v33, v48, -v30
	v_mul_f32_e32 v56, v35, v43
	v_add_f32_e32 v27, v27, v28
	v_fmac_f32_e32 v55, v34, v48
	v_add_f32_e32 v26, v26, v54
	v_mul_f32_e32 v28, v38, v44
	s_waitcnt vmcnt(3)
	v_fma_f32 v29, v35, v49, -v29
	v_add_f32_e32 v27, v27, v30
	v_mul_f32_e32 v57, v37, v44
	v_fmac_f32_e32 v56, v36, v49
	v_add_f32_e32 v26, v26, v55
	s_waitcnt vmcnt(2)
	v_fma_f32 v28, v37, v50, -v28
	v_add_f32_e32 v27, v27, v29
	v_fmac_f32_e32 v57, v38, v50
	v_add_f32_e32 v26, v26, v56
	v_add_f32_e32 v27, v27, v28
	;; [unrolled: 1-line block ×3, first 2 shown]
	s_waitcnt vmcnt(1)
	v_sub_f32_e32 v27, v51, v27
	s_waitcnt vmcnt(0)
	v_sub_f32_e32 v26, v52, v26
	buffer_store_dword v27, off, s[0:3], 0 offset:40
	buffer_store_dword v26, off, s[0:3], 0 offset:44
	v_cmpx_lt_u32_e32 4, v0
	s_cbranch_execz .LBB75_77
; %bb.76:
	s_clause 0x1
	buffer_load_dword v26, off, s[0:3], 0 offset:32
	buffer_load_dword v27, off, s[0:3], 0 offset:36
	v_mov_b32_e32 v28, 0
	buffer_store_dword v28, off, s[0:3], 0 offset:32
	buffer_store_dword v28, off, s[0:3], 0 offset:36
	s_waitcnt vmcnt(0)
	ds_write_b64 v25, v[26:27]
.LBB75_77:
	s_or_b32 exec_lo, exec_lo, s4
	s_waitcnt lgkmcnt(0)
	s_waitcnt_vscnt null, 0x0
	s_barrier
	buffer_gl0_inv
	s_clause 0xf
	buffer_load_dword v41, off, s[0:3], 0 offset:44
	buffer_load_dword v42, off, s[0:3], 0 offset:52
	;; [unrolled: 1-line block ×16, first 2 shown]
	v_mov_b32_e32 v26, 0
	ds_read2_b64 v[27:30], v26 offset0:17 offset1:18
	ds_read2_b64 v[31:34], v26 offset0:19 offset1:20
	;; [unrolled: 1-line block ×3, first 2 shown]
	ds_read_b64 v[39:40], v26 offset:184
	s_mov_b32 s4, exec_lo
	s_waitcnt vmcnt(15) lgkmcnt(3)
	v_mul_f32_e32 v57, v27, v41
	v_mul_f32_e32 v41, v28, v41
	s_waitcnt vmcnt(14)
	v_mul_f32_e32 v58, v29, v42
	v_mul_f32_e32 v42, v30, v42
	s_waitcnt vmcnt(13) lgkmcnt(2)
	v_mul_f32_e32 v59, v31, v43
	s_waitcnt vmcnt(12)
	v_mul_f32_e32 v60, v33, v44
	s_waitcnt vmcnt(11) lgkmcnt(1)
	v_mul_f32_e32 v61, v35, v45
	s_waitcnt vmcnt(8)
	v_fma_f32 v27, v27, v48, -v41
	v_fmac_f32_e32 v57, v28, v48
	v_mul_f32_e32 v28, v32, v43
	s_waitcnt vmcnt(7)
	v_fma_f32 v29, v29, v49, -v42
	v_fmac_f32_e32 v58, v30, v49
	v_add_f32_e32 v27, 0, v27
	v_add_f32_e32 v30, 0, v57
	v_mul_f32_e32 v41, v34, v44
	s_waitcnt vmcnt(6)
	v_fma_f32 v28, v31, v50, -v28
	v_fmac_f32_e32 v59, v32, v50
	v_add_f32_e32 v27, v27, v29
	v_add_f32_e32 v29, v30, v58
	;; [unrolled: 6-line block ×3, first 2 shown]
	v_mul_f32_e32 v29, v38, v46
	s_waitcnt vmcnt(4)
	v_fma_f32 v30, v35, v52, -v30
	v_mul_f32_e32 v62, v37, v46
	v_add_f32_e32 v27, v27, v31
	v_fmac_f32_e32 v61, v36, v52
	v_add_f32_e32 v28, v28, v60
	s_waitcnt lgkmcnt(0)
	v_mul_f32_e32 v31, v40, v47
	s_waitcnt vmcnt(3)
	v_fma_f32 v29, v37, v53, -v29
	v_add_f32_e32 v27, v27, v30
	v_mul_f32_e32 v63, v39, v47
	v_fmac_f32_e32 v62, v38, v53
	v_add_f32_e32 v28, v28, v61
	s_waitcnt vmcnt(2)
	v_fma_f32 v30, v39, v54, -v31
	v_add_f32_e32 v27, v27, v29
	v_fmac_f32_e32 v63, v40, v54
	v_add_f32_e32 v28, v28, v62
	v_add_f32_e32 v27, v27, v30
	;; [unrolled: 1-line block ×3, first 2 shown]
	s_waitcnt vmcnt(1)
	v_sub_f32_e32 v27, v55, v27
	s_waitcnt vmcnt(0)
	v_sub_f32_e32 v28, v56, v28
	buffer_store_dword v27, off, s[0:3], 0 offset:32
	buffer_store_dword v28, off, s[0:3], 0 offset:36
	v_cmpx_lt_u32_e32 3, v0
	s_cbranch_execz .LBB75_79
; %bb.78:
	s_clause 0x1
	buffer_load_dword v27, off, s[0:3], 0 offset:24
	buffer_load_dword v28, off, s[0:3], 0 offset:28
	buffer_store_dword v26, off, s[0:3], 0 offset:24
	buffer_store_dword v26, off, s[0:3], 0 offset:28
	s_waitcnt vmcnt(0)
	ds_write_b64 v25, v[27:28]
.LBB75_79:
	s_or_b32 exec_lo, exec_lo, s4
	s_waitcnt lgkmcnt(0)
	s_waitcnt_vscnt null, 0x0
	s_barrier
	buffer_gl0_inv
	s_clause 0x11
	buffer_load_dword v43, off, s[0:3], 0 offset:36
	buffer_load_dword v44, off, s[0:3], 0 offset:44
	;; [unrolled: 1-line block ×18, first 2 shown]
	ds_read_b128 v[27:30], v26 offset:128
	ds_read_b128 v[31:34], v26 offset:144
	;; [unrolled: 1-line block ×4, first 2 shown]
	s_mov_b32 s4, exec_lo
	s_waitcnt vmcnt(17) lgkmcnt(3)
	v_mul_f32_e32 v26, v27, v43
	v_mul_f32_e32 v43, v28, v43
	s_waitcnt vmcnt(16)
	v_mul_f32_e32 v61, v29, v44
	v_mul_f32_e32 v44, v30, v44
	s_waitcnt vmcnt(15) lgkmcnt(2)
	v_mul_f32_e32 v62, v31, v45
	s_waitcnt vmcnt(14)
	v_mul_f32_e32 v63, v33, v46
	s_waitcnt vmcnt(13) lgkmcnt(1)
	v_mul_f32_e32 v64, v35, v47
	s_waitcnt vmcnt(12)
	v_mul_f32_e32 v65, v37, v48
	s_waitcnt vmcnt(9)
	v_fma_f32 v27, v27, v51, -v43
	v_fmac_f32_e32 v26, v28, v51
	v_mul_f32_e32 v28, v32, v45
	s_waitcnt vmcnt(8)
	v_fma_f32 v29, v29, v52, -v44
	v_fmac_f32_e32 v61, v30, v52
	v_add_f32_e32 v27, 0, v27
	v_add_f32_e32 v26, 0, v26
	v_mul_f32_e32 v30, v34, v46
	s_waitcnt vmcnt(7)
	v_fma_f32 v28, v31, v53, -v28
	v_fmac_f32_e32 v62, v32, v53
	v_add_f32_e32 v27, v27, v29
	v_add_f32_e32 v26, v26, v61
	;; [unrolled: 6-line block ×4, first 2 shown]
	s_waitcnt lgkmcnt(0)
	v_mul_f32_e32 v30, v40, v49
	s_waitcnt vmcnt(4)
	v_fma_f32 v28, v37, v56, -v28
	v_mul_f32_e32 v66, v39, v49
	v_add_f32_e32 v27, v27, v29
	v_fmac_f32_e32 v65, v38, v56
	v_add_f32_e32 v26, v26, v64
	v_mul_f32_e32 v29, v42, v50
	s_waitcnt vmcnt(3)
	v_fma_f32 v30, v39, v57, -v30
	v_add_f32_e32 v27, v27, v28
	v_mul_f32_e32 v67, v41, v50
	v_fmac_f32_e32 v66, v40, v57
	v_add_f32_e32 v26, v26, v65
	s_waitcnt vmcnt(2)
	v_fma_f32 v28, v41, v58, -v29
	v_add_f32_e32 v27, v27, v30
	v_fmac_f32_e32 v67, v42, v58
	v_add_f32_e32 v26, v26, v66
	v_add_f32_e32 v27, v27, v28
	;; [unrolled: 1-line block ×3, first 2 shown]
	s_waitcnt vmcnt(1)
	v_sub_f32_e32 v27, v59, v27
	s_waitcnt vmcnt(0)
	v_sub_f32_e32 v26, v60, v26
	buffer_store_dword v27, off, s[0:3], 0 offset:24
	buffer_store_dword v26, off, s[0:3], 0 offset:28
	v_cmpx_lt_u32_e32 2, v0
	s_cbranch_execz .LBB75_81
; %bb.80:
	s_clause 0x1
	buffer_load_dword v26, off, s[0:3], 0 offset:16
	buffer_load_dword v27, off, s[0:3], 0 offset:20
	v_mov_b32_e32 v28, 0
	buffer_store_dword v28, off, s[0:3], 0 offset:16
	buffer_store_dword v28, off, s[0:3], 0 offset:20
	s_waitcnt vmcnt(0)
	ds_write_b64 v25, v[26:27]
.LBB75_81:
	s_or_b32 exec_lo, exec_lo, s4
	s_waitcnt lgkmcnt(0)
	s_waitcnt_vscnt null, 0x0
	s_barrier
	buffer_gl0_inv
	s_clause 0x13
	buffer_load_dword v45, off, s[0:3], 0 offset:28
	buffer_load_dword v46, off, s[0:3], 0 offset:36
	;; [unrolled: 1-line block ×20, first 2 shown]
	v_mov_b32_e32 v26, 0
	ds_read2_b64 v[27:30], v26 offset0:15 offset1:16
	ds_read2_b64 v[31:34], v26 offset0:17 offset1:18
	;; [unrolled: 1-line block ×4, first 2 shown]
	ds_read_b64 v[43:44], v26 offset:184
	s_mov_b32 s4, exec_lo
	s_waitcnt vmcnt(19) lgkmcnt(4)
	v_mul_f32_e32 v65, v27, v45
	v_mul_f32_e32 v45, v28, v45
	s_waitcnt vmcnt(18)
	v_mul_f32_e32 v66, v29, v46
	v_mul_f32_e32 v46, v30, v46
	s_waitcnt vmcnt(17) lgkmcnt(3)
	v_mul_f32_e32 v67, v31, v47
	s_waitcnt vmcnt(16)
	v_mul_f32_e32 v68, v33, v48
	s_waitcnt vmcnt(15) lgkmcnt(2)
	v_mul_f32_e32 v69, v35, v49
	s_waitcnt vmcnt(14)
	;; [unrolled: 4-line block ×3, first 2 shown]
	v_fma_f32 v27, v27, v54, -v45
	v_fmac_f32_e32 v65, v28, v54
	v_mul_f32_e32 v28, v32, v47
	s_waitcnt vmcnt(9)
	v_fma_f32 v29, v29, v55, -v46
	v_fmac_f32_e32 v66, v30, v55
	v_add_f32_e32 v27, 0, v27
	v_add_f32_e32 v30, 0, v65
	v_mul_f32_e32 v45, v34, v48
	s_waitcnt vmcnt(8)
	v_fma_f32 v28, v31, v56, -v28
	v_fmac_f32_e32 v67, v32, v56
	v_add_f32_e32 v27, v27, v29
	v_add_f32_e32 v29, v30, v66
	;; [unrolled: 6-line block ×5, first 2 shown]
	v_mul_f32_e32 v30, v42, v52
	s_waitcnt vmcnt(4)
	v_fma_f32 v31, v39, v60, -v31
	v_mul_f32_e32 v72, v41, v52
	v_add_f32_e32 v27, v27, v29
	v_fmac_f32_e32 v71, v40, v60
	v_add_f32_e32 v28, v28, v70
	s_waitcnt lgkmcnt(0)
	v_mul_f32_e32 v29, v44, v53
	s_waitcnt vmcnt(3)
	v_fma_f32 v30, v41, v61, -v30
	v_add_f32_e32 v27, v27, v31
	v_mul_f32_e32 v73, v43, v53
	v_fmac_f32_e32 v72, v42, v61
	v_add_f32_e32 v28, v28, v71
	s_waitcnt vmcnt(2)
	v_fma_f32 v29, v43, v62, -v29
	v_add_f32_e32 v27, v27, v30
	v_fmac_f32_e32 v73, v44, v62
	v_add_f32_e32 v28, v28, v72
	v_add_f32_e32 v27, v27, v29
	;; [unrolled: 1-line block ×3, first 2 shown]
	s_waitcnt vmcnt(1)
	v_sub_f32_e32 v27, v63, v27
	s_waitcnt vmcnt(0)
	v_sub_f32_e32 v28, v64, v28
	buffer_store_dword v27, off, s[0:3], 0 offset:16
	buffer_store_dword v28, off, s[0:3], 0 offset:20
	v_cmpx_lt_u32_e32 1, v0
	s_cbranch_execz .LBB75_83
; %bb.82:
	s_clause 0x1
	buffer_load_dword v27, off, s[0:3], 0 offset:8
	buffer_load_dword v28, off, s[0:3], 0 offset:12
	buffer_store_dword v26, off, s[0:3], 0 offset:8
	buffer_store_dword v26, off, s[0:3], 0 offset:12
	s_waitcnt vmcnt(0)
	ds_write_b64 v25, v[27:28]
.LBB75_83:
	s_or_b32 exec_lo, exec_lo, s4
	s_waitcnt lgkmcnt(0)
	s_waitcnt_vscnt null, 0x0
	s_barrier
	buffer_gl0_inv
	s_clause 0x15
	buffer_load_dword v47, off, s[0:3], 0 offset:20
	buffer_load_dword v48, off, s[0:3], 0 offset:28
	;; [unrolled: 1-line block ×22, first 2 shown]
	ds_read_b128 v[27:30], v26 offset:112
	ds_read_b128 v[31:34], v26 offset:128
	;; [unrolled: 1-line block ×5, first 2 shown]
	s_mov_b32 s4, exec_lo
	s_waitcnt vmcnt(21) lgkmcnt(4)
	v_mul_f32_e32 v26, v27, v47
	v_mul_f32_e32 v47, v28, v47
	s_waitcnt vmcnt(20)
	v_mul_f32_e32 v69, v29, v48
	v_mul_f32_e32 v48, v30, v48
	s_waitcnt vmcnt(19) lgkmcnt(3)
	v_mul_f32_e32 v70, v31, v49
	s_waitcnt vmcnt(18)
	v_mul_f32_e32 v71, v33, v50
	s_waitcnt vmcnt(17) lgkmcnt(2)
	v_mul_f32_e32 v72, v35, v51
	s_waitcnt vmcnt(16)
	;; [unrolled: 4-line block ×3, first 2 shown]
	v_mul_f32_e32 v75, v41, v54
	s_waitcnt vmcnt(11)
	v_fma_f32 v27, v27, v57, -v47
	v_fmac_f32_e32 v26, v28, v57
	v_mul_f32_e32 v28, v32, v49
	s_waitcnt vmcnt(10)
	v_fma_f32 v29, v29, v58, -v48
	v_fmac_f32_e32 v69, v30, v58
	v_add_f32_e32 v27, 0, v27
	v_add_f32_e32 v26, 0, v26
	v_mul_f32_e32 v30, v34, v50
	s_waitcnt vmcnt(9)
	v_fma_f32 v28, v31, v59, -v28
	v_fmac_f32_e32 v70, v32, v59
	v_add_f32_e32 v27, v27, v29
	v_add_f32_e32 v26, v26, v69
	;; [unrolled: 6-line block ×6, first 2 shown]
	s_waitcnt lgkmcnt(0)
	v_mul_f32_e32 v28, v44, v55
	s_waitcnt vmcnt(4)
	v_fma_f32 v29, v41, v64, -v29
	v_mul_f32_e32 v76, v43, v55
	v_add_f32_e32 v27, v27, v30
	v_fmac_f32_e32 v75, v42, v64
	v_add_f32_e32 v26, v26, v74
	v_mul_f32_e32 v30, v46, v56
	s_waitcnt vmcnt(3)
	v_fma_f32 v28, v43, v65, -v28
	v_add_f32_e32 v27, v27, v29
	v_mul_f32_e32 v77, v45, v56
	v_fmac_f32_e32 v76, v44, v65
	v_add_f32_e32 v26, v26, v75
	s_waitcnt vmcnt(2)
	v_fma_f32 v29, v45, v66, -v30
	v_add_f32_e32 v27, v27, v28
	v_fmac_f32_e32 v77, v46, v66
	v_add_f32_e32 v26, v26, v76
	v_add_f32_e32 v27, v27, v29
	;; [unrolled: 1-line block ×3, first 2 shown]
	s_waitcnt vmcnt(1)
	v_sub_f32_e32 v27, v67, v27
	s_waitcnt vmcnt(0)
	v_sub_f32_e32 v26, v68, v26
	buffer_store_dword v27, off, s[0:3], 0 offset:8
	buffer_store_dword v26, off, s[0:3], 0 offset:12
	v_cmpx_ne_u32_e32 0, v0
	s_cbranch_execz .LBB75_85
; %bb.84:
	s_clause 0x1
	buffer_load_dword v26, off, s[0:3], 0
	buffer_load_dword v27, off, s[0:3], 0 offset:4
	v_mov_b32_e32 v0, 0
	buffer_store_dword v0, off, s[0:3], 0
	buffer_store_dword v0, off, s[0:3], 0 offset:4
	s_waitcnt vmcnt(0)
	ds_write_b64 v25, v[26:27]
.LBB75_85:
	s_or_b32 exec_lo, exec_lo, s4
	s_waitcnt lgkmcnt(0)
	s_waitcnt_vscnt null, 0x0
	s_barrier
	buffer_gl0_inv
	s_clause 0x17
	buffer_load_dword v49, off, s[0:3], 0 offset:12
	buffer_load_dword v50, off, s[0:3], 0 offset:20
	;; [unrolled: 1-line block ×22, first 2 shown]
	buffer_load_dword v69, off, s[0:3], 0
	buffer_load_dword v70, off, s[0:3], 0 offset:4
	v_mov_b32_e32 v26, 0
	ds_read2_b64 v[27:30], v26 offset0:13 offset1:14
	ds_read2_b64 v[31:34], v26 offset0:15 offset1:16
	;; [unrolled: 1-line block ×5, first 2 shown]
	ds_read_b64 v[47:48], v26 offset:184
	s_and_b32 vcc_lo, exec_lo, s16
	s_waitcnt vmcnt(23) lgkmcnt(5)
	v_mul_f32_e32 v71, v27, v49
	v_mul_f32_e32 v49, v28, v49
	s_waitcnt vmcnt(22)
	v_mul_f32_e32 v72, v29, v50
	v_mul_f32_e32 v50, v30, v50
	s_waitcnt vmcnt(21) lgkmcnt(4)
	v_mul_f32_e32 v73, v31, v51
	s_waitcnt vmcnt(20)
	v_mul_f32_e32 v74, v33, v52
	s_waitcnt vmcnt(19) lgkmcnt(3)
	v_mul_f32_e32 v75, v35, v53
	s_waitcnt vmcnt(18)
	;; [unrolled: 4-line block ×4, first 2 shown]
	v_fma_f32 v27, v27, v59, -v49
	v_fmac_f32_e32 v71, v28, v59
	v_mul_f32_e32 v28, v32, v51
	s_waitcnt vmcnt(11)
	v_fma_f32 v29, v29, v60, -v50
	v_fmac_f32_e32 v72, v30, v60
	v_add_f32_e32 v27, 0, v27
	v_add_f32_e32 v30, 0, v71
	v_mul_f32_e32 v49, v34, v52
	s_waitcnt vmcnt(10)
	v_fma_f32 v28, v31, v61, -v28
	v_fmac_f32_e32 v73, v32, v61
	v_add_f32_e32 v27, v27, v29
	v_add_f32_e32 v29, v30, v72
	;; [unrolled: 6-line block ×7, first 2 shown]
	v_mul_f32_e32 v31, v46, v0
	s_waitcnt vmcnt(4)
	v_fma_f32 v29, v43, v67, -v29
	v_mul_f32_e32 v80, v45, v0
	v_add_f32_e32 v27, v27, v30
	v_fmac_f32_e32 v79, v44, v67
	v_add_f32_e32 v28, v28, v78
	s_waitcnt lgkmcnt(0)
	v_mul_f32_e32 v30, v48, v58
	s_waitcnt vmcnt(2)
	v_fma_f32 v31, v45, v25, -v31
	v_add_f32_e32 v27, v27, v29
	v_mul_f32_e32 v81, v47, v58
	v_fmac_f32_e32 v80, v46, v25
	v_add_f32_e32 v28, v28, v79
	v_fma_f32 v29, v47, v68, -v30
	v_add_f32_e32 v27, v27, v31
	v_fmac_f32_e32 v81, v48, v68
	v_add_f32_e32 v28, v28, v80
	v_add_f32_e32 v27, v27, v29
	;; [unrolled: 1-line block ×3, first 2 shown]
	s_waitcnt vmcnt(1)
	v_sub_f32_e32 v27, v69, v27
	s_waitcnt vmcnt(0)
	v_sub_f32_e32 v28, v70, v28
	buffer_store_dword v27, off, s[0:3], 0
	buffer_store_dword v28, off, s[0:3], 0 offset:4
	s_cbranch_vccz .LBB75_108
; %bb.86:
	global_load_dword v26, v26, s[12:13] offset:40
	s_waitcnt vmcnt(0)
	v_add_nc_u32_e32 v26, -1, v26
	v_cmp_ne_u32_e32 vcc_lo, 10, v26
	s_cbranch_vccz .LBB75_88
; %bb.87:
	v_lshlrev_b32_e32 v26, 3, v26
	s_clause 0x1
	buffer_load_dword v27, v26, s[0:3], 0 offen offset:4
	buffer_load_dword v28, v26, s[0:3], 0 offen
	s_waitcnt vmcnt(1)
	buffer_store_dword v27, off, s[0:3], 0 offset:84
	s_waitcnt vmcnt(0)
	buffer_store_dword v28, off, s[0:3], 0 offset:80
	buffer_store_dword v0, v26, s[0:3], 0 offen offset:4
	buffer_store_dword v25, v26, s[0:3], 0 offen
.LBB75_88:
	v_mov_b32_e32 v0, 0
	global_load_dword v25, v0, s[12:13] offset:36
	s_waitcnt vmcnt(0)
	v_add_nc_u32_e32 v25, -1, v25
	v_cmp_eq_u32_e32 vcc_lo, 9, v25
	s_cbranch_vccnz .LBB75_90
; %bb.89:
	v_lshlrev_b32_e32 v25, 3, v25
	s_clause 0x3
	buffer_load_dword v26, v25, s[0:3], 0 offen
	buffer_load_dword v27, v25, s[0:3], 0 offen offset:4
	buffer_load_dword v28, off, s[0:3], 0 offset:72
	buffer_load_dword v29, off, s[0:3], 0 offset:76
	s_waitcnt vmcnt(3)
	buffer_store_dword v26, off, s[0:3], 0 offset:72
	s_waitcnt vmcnt(2)
	buffer_store_dword v27, off, s[0:3], 0 offset:76
	s_waitcnt vmcnt(1)
	buffer_store_dword v28, v25, s[0:3], 0 offen
	s_waitcnt vmcnt(0)
	buffer_store_dword v29, v25, s[0:3], 0 offen offset:4
.LBB75_90:
	global_load_dword v0, v0, s[12:13] offset:32
	s_waitcnt vmcnt(0)
	v_add_nc_u32_e32 v0, -1, v0
	v_cmp_eq_u32_e32 vcc_lo, 8, v0
	s_cbranch_vccnz .LBB75_92
; %bb.91:
	v_lshlrev_b32_e32 v0, 3, v0
	s_clause 0x3
	buffer_load_dword v25, v0, s[0:3], 0 offen
	buffer_load_dword v26, v0, s[0:3], 0 offen offset:4
	buffer_load_dword v27, off, s[0:3], 0 offset:68
	buffer_load_dword v28, off, s[0:3], 0 offset:64
	s_waitcnt vmcnt(3)
	buffer_store_dword v25, off, s[0:3], 0 offset:64
	s_waitcnt vmcnt(2)
	buffer_store_dword v26, off, s[0:3], 0 offset:68
	s_waitcnt vmcnt(1)
	buffer_store_dword v27, v0, s[0:3], 0 offen offset:4
	s_waitcnt vmcnt(0)
	buffer_store_dword v28, v0, s[0:3], 0 offen
.LBB75_92:
	v_mov_b32_e32 v0, 0
	global_load_dword v25, v0, s[12:13] offset:28
	s_waitcnt vmcnt(0)
	v_add_nc_u32_e32 v25, -1, v25
	v_cmp_eq_u32_e32 vcc_lo, 7, v25
	s_cbranch_vccnz .LBB75_94
; %bb.93:
	v_lshlrev_b32_e32 v25, 3, v25
	s_clause 0x3
	buffer_load_dword v26, v25, s[0:3], 0 offen
	buffer_load_dword v27, v25, s[0:3], 0 offen offset:4
	buffer_load_dword v28, off, s[0:3], 0 offset:56
	buffer_load_dword v29, off, s[0:3], 0 offset:60
	s_waitcnt vmcnt(3)
	buffer_store_dword v26, off, s[0:3], 0 offset:56
	s_waitcnt vmcnt(2)
	buffer_store_dword v27, off, s[0:3], 0 offset:60
	s_waitcnt vmcnt(1)
	buffer_store_dword v28, v25, s[0:3], 0 offen
	s_waitcnt vmcnt(0)
	buffer_store_dword v29, v25, s[0:3], 0 offen offset:4
.LBB75_94:
	global_load_dword v0, v0, s[12:13] offset:24
	s_waitcnt vmcnt(0)
	v_add_nc_u32_e32 v0, -1, v0
	v_cmp_eq_u32_e32 vcc_lo, 6, v0
	s_cbranch_vccnz .LBB75_96
; %bb.95:
	v_lshlrev_b32_e32 v0, 3, v0
	s_clause 0x3
	buffer_load_dword v25, v0, s[0:3], 0 offen
	buffer_load_dword v26, v0, s[0:3], 0 offen offset:4
	buffer_load_dword v27, off, s[0:3], 0 offset:52
	buffer_load_dword v28, off, s[0:3], 0 offset:48
	s_waitcnt vmcnt(3)
	buffer_store_dword v25, off, s[0:3], 0 offset:48
	s_waitcnt vmcnt(2)
	buffer_store_dword v26, off, s[0:3], 0 offset:52
	s_waitcnt vmcnt(1)
	buffer_store_dword v27, v0, s[0:3], 0 offen offset:4
	s_waitcnt vmcnt(0)
	buffer_store_dword v28, v0, s[0:3], 0 offen
.LBB75_96:
	;; [unrolled: 43-line block ×4, first 2 shown]
	v_mov_b32_e32 v0, 0
	global_load_dword v25, v0, s[12:13] offset:4
	s_waitcnt vmcnt(0)
	v_add_nc_u32_e32 v25, -1, v25
	v_cmp_eq_u32_e32 vcc_lo, 1, v25
	s_cbranch_vccnz .LBB75_106
; %bb.105:
	v_lshlrev_b32_e32 v25, 3, v25
	s_clause 0x3
	buffer_load_dword v26, v25, s[0:3], 0 offen
	buffer_load_dword v27, v25, s[0:3], 0 offen offset:4
	buffer_load_dword v28, off, s[0:3], 0 offset:8
	buffer_load_dword v29, off, s[0:3], 0 offset:12
	s_waitcnt vmcnt(3)
	buffer_store_dword v26, off, s[0:3], 0 offset:8
	s_waitcnt vmcnt(2)
	buffer_store_dword v27, off, s[0:3], 0 offset:12
	s_waitcnt vmcnt(1)
	buffer_store_dword v28, v25, s[0:3], 0 offen
	s_waitcnt vmcnt(0)
	buffer_store_dword v29, v25, s[0:3], 0 offen offset:4
.LBB75_106:
	global_load_dword v0, v0, s[12:13]
	s_waitcnt vmcnt(0)
	v_add_nc_u32_e32 v0, -1, v0
	v_cmp_eq_u32_e32 vcc_lo, 0, v0
	s_cbranch_vccnz .LBB75_108
; %bb.107:
	v_lshlrev_b32_e32 v0, 3, v0
	s_clause 0x3
	buffer_load_dword v25, v0, s[0:3], 0 offen
	buffer_load_dword v26, v0, s[0:3], 0 offen offset:4
	buffer_load_dword v27, off, s[0:3], 0 offset:4
	buffer_load_dword v28, off, s[0:3], 0
	s_waitcnt vmcnt(3)
	buffer_store_dword v25, off, s[0:3], 0
	s_waitcnt vmcnt(2)
	buffer_store_dword v26, off, s[0:3], 0 offset:4
	s_waitcnt vmcnt(1)
	buffer_store_dword v27, v0, s[0:3], 0 offen offset:4
	s_waitcnt vmcnt(0)
	buffer_store_dword v28, v0, s[0:3], 0 offen
.LBB75_108:
	s_clause 0x1
	buffer_load_dword v25, off, s[0:3], 0
	buffer_load_dword v26, off, s[0:3], 0 offset:4
	s_waitcnt vmcnt(0)
	flat_store_dwordx2 v[1:2], v[25:26]
	s_clause 0x1
	buffer_load_dword v0, off, s[0:3], 0 offset:8
	buffer_load_dword v1, off, s[0:3], 0 offset:12
	s_waitcnt vmcnt(0)
	flat_store_dwordx2 v[3:4], v[0:1]
	s_clause 0x1
	buffer_load_dword v0, off, s[0:3], 0 offset:16
	;; [unrolled: 5-line block ×11, first 2 shown]
	buffer_load_dword v1, off, s[0:3], 0 offset:92
	s_waitcnt vmcnt(0)
	flat_store_dwordx2 v[23:24], v[0:1]
	s_endpgm
	.section	.rodata,"a",@progbits
	.p2align	6, 0x0
	.amdhsa_kernel _ZN9rocsolver6v33100L18getri_kernel_smallILi12E19rocblas_complex_numIfEPKPS3_EEvT1_iilPiilS8_bb
		.amdhsa_group_segment_fixed_size 196
		.amdhsa_private_segment_fixed_size 112
		.amdhsa_kernarg_size 60
		.amdhsa_user_sgpr_count 6
		.amdhsa_user_sgpr_private_segment_buffer 1
		.amdhsa_user_sgpr_dispatch_ptr 0
		.amdhsa_user_sgpr_queue_ptr 0
		.amdhsa_user_sgpr_kernarg_segment_ptr 1
		.amdhsa_user_sgpr_dispatch_id 0
		.amdhsa_user_sgpr_flat_scratch_init 0
		.amdhsa_user_sgpr_private_segment_size 0
		.amdhsa_wavefront_size32 1
		.amdhsa_uses_dynamic_stack 0
		.amdhsa_system_sgpr_private_segment_wavefront_offset 1
		.amdhsa_system_sgpr_workgroup_id_x 1
		.amdhsa_system_sgpr_workgroup_id_y 0
		.amdhsa_system_sgpr_workgroup_id_z 0
		.amdhsa_system_sgpr_workgroup_info 0
		.amdhsa_system_vgpr_workitem_id 0
		.amdhsa_next_free_vgpr 82
		.amdhsa_next_free_sgpr 20
		.amdhsa_reserve_vcc 1
		.amdhsa_reserve_flat_scratch 0
		.amdhsa_float_round_mode_32 0
		.amdhsa_float_round_mode_16_64 0
		.amdhsa_float_denorm_mode_32 3
		.amdhsa_float_denorm_mode_16_64 3
		.amdhsa_dx10_clamp 1
		.amdhsa_ieee_mode 1
		.amdhsa_fp16_overflow 0
		.amdhsa_workgroup_processor_mode 1
		.amdhsa_memory_ordered 1
		.amdhsa_forward_progress 1
		.amdhsa_shared_vgpr_count 0
		.amdhsa_exception_fp_ieee_invalid_op 0
		.amdhsa_exception_fp_denorm_src 0
		.amdhsa_exception_fp_ieee_div_zero 0
		.amdhsa_exception_fp_ieee_overflow 0
		.amdhsa_exception_fp_ieee_underflow 0
		.amdhsa_exception_fp_ieee_inexact 0
		.amdhsa_exception_int_div_zero 0
	.end_amdhsa_kernel
	.section	.text._ZN9rocsolver6v33100L18getri_kernel_smallILi12E19rocblas_complex_numIfEPKPS3_EEvT1_iilPiilS8_bb,"axG",@progbits,_ZN9rocsolver6v33100L18getri_kernel_smallILi12E19rocblas_complex_numIfEPKPS3_EEvT1_iilPiilS8_bb,comdat
.Lfunc_end75:
	.size	_ZN9rocsolver6v33100L18getri_kernel_smallILi12E19rocblas_complex_numIfEPKPS3_EEvT1_iilPiilS8_bb, .Lfunc_end75-_ZN9rocsolver6v33100L18getri_kernel_smallILi12E19rocblas_complex_numIfEPKPS3_EEvT1_iilPiilS8_bb
                                        ; -- End function
	.set _ZN9rocsolver6v33100L18getri_kernel_smallILi12E19rocblas_complex_numIfEPKPS3_EEvT1_iilPiilS8_bb.num_vgpr, 82
	.set _ZN9rocsolver6v33100L18getri_kernel_smallILi12E19rocblas_complex_numIfEPKPS3_EEvT1_iilPiilS8_bb.num_agpr, 0
	.set _ZN9rocsolver6v33100L18getri_kernel_smallILi12E19rocblas_complex_numIfEPKPS3_EEvT1_iilPiilS8_bb.numbered_sgpr, 20
	.set _ZN9rocsolver6v33100L18getri_kernel_smallILi12E19rocblas_complex_numIfEPKPS3_EEvT1_iilPiilS8_bb.num_named_barrier, 0
	.set _ZN9rocsolver6v33100L18getri_kernel_smallILi12E19rocblas_complex_numIfEPKPS3_EEvT1_iilPiilS8_bb.private_seg_size, 112
	.set _ZN9rocsolver6v33100L18getri_kernel_smallILi12E19rocblas_complex_numIfEPKPS3_EEvT1_iilPiilS8_bb.uses_vcc, 1
	.set _ZN9rocsolver6v33100L18getri_kernel_smallILi12E19rocblas_complex_numIfEPKPS3_EEvT1_iilPiilS8_bb.uses_flat_scratch, 0
	.set _ZN9rocsolver6v33100L18getri_kernel_smallILi12E19rocblas_complex_numIfEPKPS3_EEvT1_iilPiilS8_bb.has_dyn_sized_stack, 0
	.set _ZN9rocsolver6v33100L18getri_kernel_smallILi12E19rocblas_complex_numIfEPKPS3_EEvT1_iilPiilS8_bb.has_recursion, 0
	.set _ZN9rocsolver6v33100L18getri_kernel_smallILi12E19rocblas_complex_numIfEPKPS3_EEvT1_iilPiilS8_bb.has_indirect_call, 0
	.section	.AMDGPU.csdata,"",@progbits
; Kernel info:
; codeLenInByte = 11372
; TotalNumSgprs: 22
; NumVgprs: 82
; ScratchSize: 112
; MemoryBound: 0
; FloatMode: 240
; IeeeMode: 1
; LDSByteSize: 196 bytes/workgroup (compile time only)
; SGPRBlocks: 0
; VGPRBlocks: 10
; NumSGPRsForWavesPerEU: 22
; NumVGPRsForWavesPerEU: 82
; Occupancy: 10
; WaveLimiterHint : 1
; COMPUTE_PGM_RSRC2:SCRATCH_EN: 1
; COMPUTE_PGM_RSRC2:USER_SGPR: 6
; COMPUTE_PGM_RSRC2:TRAP_HANDLER: 0
; COMPUTE_PGM_RSRC2:TGID_X_EN: 1
; COMPUTE_PGM_RSRC2:TGID_Y_EN: 0
; COMPUTE_PGM_RSRC2:TGID_Z_EN: 0
; COMPUTE_PGM_RSRC2:TIDIG_COMP_CNT: 0
	.section	.text._ZN9rocsolver6v33100L18getri_kernel_smallILi13E19rocblas_complex_numIfEPKPS3_EEvT1_iilPiilS8_bb,"axG",@progbits,_ZN9rocsolver6v33100L18getri_kernel_smallILi13E19rocblas_complex_numIfEPKPS3_EEvT1_iilPiilS8_bb,comdat
	.globl	_ZN9rocsolver6v33100L18getri_kernel_smallILi13E19rocblas_complex_numIfEPKPS3_EEvT1_iilPiilS8_bb ; -- Begin function _ZN9rocsolver6v33100L18getri_kernel_smallILi13E19rocblas_complex_numIfEPKPS3_EEvT1_iilPiilS8_bb
	.p2align	8
	.type	_ZN9rocsolver6v33100L18getri_kernel_smallILi13E19rocblas_complex_numIfEPKPS3_EEvT1_iilPiilS8_bb,@function
_ZN9rocsolver6v33100L18getri_kernel_smallILi13E19rocblas_complex_numIfEPKPS3_EEvT1_iilPiilS8_bb: ; @_ZN9rocsolver6v33100L18getri_kernel_smallILi13E19rocblas_complex_numIfEPKPS3_EEvT1_iilPiilS8_bb
; %bb.0:
	s_add_u32 s0, s0, s7
	s_addc_u32 s1, s1, 0
	s_mov_b32 s7, exec_lo
	v_cmpx_gt_u32_e32 13, v0
	s_cbranch_execz .LBB76_66
; %bb.1:
	s_clause 0x2
	s_load_dword s17, s[4:5], 0x38
	s_load_dwordx2 s[12:13], s[4:5], 0x0
	s_load_dwordx4 s[8:11], s[4:5], 0x28
	s_waitcnt lgkmcnt(0)
	s_bitcmp1_b32 s17, 8
	s_cselect_b32 s16, -1, 0
	s_ashr_i32 s7, s6, 31
	s_lshl_b64 s[14:15], s[6:7], 3
	s_add_u32 s12, s12, s14
	s_addc_u32 s13, s13, s15
	s_load_dwordx2 s[14:15], s[12:13], 0x0
	s_bfe_u32 s12, s17, 0x10008
	s_cmp_eq_u32 s12, 0
                                        ; implicit-def: $sgpr12_sgpr13
	s_cbranch_scc1 .LBB76_3
; %bb.2:
	s_clause 0x1
	s_load_dword s12, s[4:5], 0x20
	s_load_dwordx2 s[18:19], s[4:5], 0x18
	s_mul_i32 s13, s8, s7
	s_mul_hi_u32 s17, s8, s6
	s_mul_i32 s9, s9, s6
	s_add_i32 s13, s17, s13
	s_mul_i32 s8, s8, s6
	s_add_i32 s9, s13, s9
	s_lshl_b64 s[8:9], s[8:9], 2
	s_waitcnt lgkmcnt(0)
	s_ashr_i32 s13, s12, 31
	s_add_u32 s17, s18, s8
	s_addc_u32 s18, s19, s9
	s_lshl_b64 s[8:9], s[12:13], 2
	s_add_u32 s12, s17, s8
	s_addc_u32 s13, s18, s9
.LBB76_3:
	s_clause 0x1
	s_load_dwordx2 s[8:9], s[4:5], 0x8
	s_load_dword s17, s[4:5], 0x38
	v_lshlrev_b32_e32 v29, 3, v0
	s_waitcnt lgkmcnt(0)
	s_ashr_i32 s5, s8, 31
	s_mov_b32 s4, s8
	v_add3_u32 v9, s9, s9, v0
	s_lshl_b64 s[4:5], s[4:5], 3
	s_add_u32 s8, s14, s4
	s_addc_u32 s14, s15, s5
	v_add_co_u32 v1, s4, s8, v29
	v_add_co_ci_u32_e64 v2, null, s14, 0, s4
	s_mov_b32 s4, s9
	s_ashr_i32 s5, s9, 31
	v_ashrrev_i32_e32 v10, 31, v9
	flat_load_dwordx2 v[5:6], v[1:2]
	s_lshl_b64 s[4:5], s[4:5], 3
	v_add_nc_u32_e32 v12, s9, v9
	v_add_co_u32 v3, vcc_lo, v1, s4
	v_add_co_ci_u32_e64 v4, null, s5, v2, vcc_lo
	v_ashrrev_i32_e32 v13, 31, v12
	s_mov_b32 s5, -1
	s_bitcmp0_b32 s17, 0
	s_waitcnt vmcnt(0) lgkmcnt(0)
	buffer_store_dword v6, off, s[0:3], 0 offset:4
	buffer_store_dword v5, off, s[0:3], 0
	flat_load_dwordx2 v[7:8], v[3:4]
	v_lshlrev_b64 v[5:6], 3, v[9:10]
	s_waitcnt vmcnt(0) lgkmcnt(0)
	buffer_store_dword v8, off, s[0:3], 0 offset:12
	buffer_store_dword v7, off, s[0:3], 0 offset:8
	v_add_co_u32 v5, vcc_lo, s8, v5
	v_add_co_ci_u32_e64 v6, null, s14, v6, vcc_lo
	v_lshlrev_b64 v[7:8], 3, v[12:13]
	flat_load_dwordx2 v[10:11], v[5:6]
	s_waitcnt vmcnt(0) lgkmcnt(0)
	buffer_store_dword v11, off, s[0:3], 0 offset:20
	buffer_store_dword v10, off, s[0:3], 0 offset:16
	v_add_co_u32 v7, vcc_lo, s8, v7
	v_add_co_ci_u32_e64 v8, null, s14, v8, vcc_lo
	v_add_nc_u32_e32 v11, s9, v12
	flat_load_dwordx2 v[13:14], v[7:8]
	s_waitcnt vmcnt(0) lgkmcnt(0)
	buffer_store_dword v14, off, s[0:3], 0 offset:28
	buffer_store_dword v13, off, s[0:3], 0 offset:24
	v_ashrrev_i32_e32 v12, 31, v11
	v_add_nc_u32_e32 v15, s9, v11
	v_lshlrev_b64 v[9:10], 3, v[11:12]
	v_ashrrev_i32_e32 v16, 31, v15
	v_add_nc_u32_e32 v18, s9, v15
	v_add_co_u32 v9, vcc_lo, s8, v9
	v_add_co_ci_u32_e64 v10, null, s14, v10, vcc_lo
	v_lshlrev_b64 v[11:12], 3, v[15:16]
	v_ashrrev_i32_e32 v19, 31, v18
	flat_load_dwordx2 v[13:14], v[9:10]
	s_waitcnt vmcnt(0) lgkmcnt(0)
	buffer_store_dword v14, off, s[0:3], 0 offset:36
	buffer_store_dword v13, off, s[0:3], 0 offset:32
	v_add_co_u32 v11, vcc_lo, s8, v11
	v_add_co_ci_u32_e64 v12, null, s14, v12, vcc_lo
	v_lshlrev_b64 v[13:14], 3, v[18:19]
	flat_load_dwordx2 v[16:17], v[11:12]
	s_waitcnt vmcnt(0) lgkmcnt(0)
	buffer_store_dword v17, off, s[0:3], 0 offset:44
	buffer_store_dword v16, off, s[0:3], 0 offset:40
	v_add_co_u32 v13, vcc_lo, s8, v13
	v_add_co_ci_u32_e64 v14, null, s14, v14, vcc_lo
	v_add_nc_u32_e32 v17, s9, v18
	flat_load_dwordx2 v[19:20], v[13:14]
	s_waitcnt vmcnt(0) lgkmcnt(0)
	buffer_store_dword v20, off, s[0:3], 0 offset:52
	buffer_store_dword v19, off, s[0:3], 0 offset:48
	v_ashrrev_i32_e32 v18, 31, v17
	v_add_nc_u32_e32 v21, s9, v17
	v_lshlrev_b64 v[15:16], 3, v[17:18]
	v_ashrrev_i32_e32 v22, 31, v21
	v_add_nc_u32_e32 v24, s9, v21
	v_add_co_u32 v15, vcc_lo, s8, v15
	v_add_co_ci_u32_e64 v16, null, s14, v16, vcc_lo
	v_lshlrev_b64 v[17:18], 3, v[21:22]
	v_ashrrev_i32_e32 v25, 31, v24
	flat_load_dwordx2 v[19:20], v[15:16]
	s_waitcnt vmcnt(0) lgkmcnt(0)
	buffer_store_dword v20, off, s[0:3], 0 offset:60
	buffer_store_dword v19, off, s[0:3], 0 offset:56
	v_add_co_u32 v17, vcc_lo, s8, v17
	v_add_co_ci_u32_e64 v18, null, s14, v18, vcc_lo
	v_lshlrev_b64 v[19:20], 3, v[24:25]
	flat_load_dwordx2 v[22:23], v[17:18]
	s_waitcnt vmcnt(0) lgkmcnt(0)
	buffer_store_dword v23, off, s[0:3], 0 offset:68
	buffer_store_dword v22, off, s[0:3], 0 offset:64
	v_add_co_u32 v19, vcc_lo, s8, v19
	v_add_co_ci_u32_e64 v20, null, s14, v20, vcc_lo
	v_add_nc_u32_e32 v23, s9, v24
	flat_load_dwordx2 v[25:26], v[19:20]
	s_waitcnt vmcnt(0) lgkmcnt(0)
	buffer_store_dword v26, off, s[0:3], 0 offset:76
	buffer_store_dword v25, off, s[0:3], 0 offset:72
	v_ashrrev_i32_e32 v24, 31, v23
	v_add_nc_u32_e32 v27, s9, v23
	v_lshlrev_b64 v[21:22], 3, v[23:24]
	v_ashrrev_i32_e32 v28, 31, v27
	v_add_co_u32 v21, vcc_lo, s8, v21
	v_add_co_ci_u32_e64 v22, null, s14, v22, vcc_lo
	v_lshlrev_b64 v[23:24], 3, v[27:28]
	flat_load_dwordx2 v[25:26], v[21:22]
	s_waitcnt vmcnt(0) lgkmcnt(0)
	buffer_store_dword v26, off, s[0:3], 0 offset:84
	buffer_store_dword v25, off, s[0:3], 0 offset:80
	v_add_co_u32 v23, vcc_lo, s8, v23
	v_add_co_ci_u32_e64 v24, null, s14, v24, vcc_lo
	v_add_nc_u32_e32 v25, s9, v27
	flat_load_dwordx2 v[30:31], v[23:24]
	s_waitcnt vmcnt(0) lgkmcnt(0)
	buffer_store_dword v31, off, s[0:3], 0 offset:92
	buffer_store_dword v30, off, s[0:3], 0 offset:88
	v_ashrrev_i32_e32 v26, 31, v25
	v_lshlrev_b64 v[25:26], 3, v[25:26]
	v_add_co_u32 v25, vcc_lo, s8, v25
	v_add_co_ci_u32_e64 v26, null, s14, v26, vcc_lo
	flat_load_dwordx2 v[27:28], v[25:26]
	s_waitcnt vmcnt(0) lgkmcnt(0)
	buffer_store_dword v28, off, s[0:3], 0 offset:100
	buffer_store_dword v27, off, s[0:3], 0 offset:96
	s_cbranch_scc1 .LBB76_64
; %bb.4:
	v_cmp_eq_u32_e64 s4, 0, v0
	s_and_saveexec_b32 s5, s4
; %bb.5:
	v_mov_b32_e32 v27, 0
	ds_write_b32 v27, v27 offset:104
; %bb.6:
	s_or_b32 exec_lo, exec_lo, s5
	v_lshl_add_u32 v31, v0, 3, 0
	s_waitcnt lgkmcnt(0)
	s_waitcnt_vscnt null, 0x0
	s_barrier
	buffer_gl0_inv
	s_clause 0x1
	buffer_load_dword v27, v31, s[0:3], 0 offen
	buffer_load_dword v28, v31, s[0:3], 0 offen offset:4
	s_waitcnt vmcnt(1)
	v_cmp_eq_f32_e32 vcc_lo, 0, v27
	s_waitcnt vmcnt(0)
	v_cmp_eq_f32_e64 s5, 0, v28
	s_and_b32 s5, vcc_lo, s5
	s_and_saveexec_b32 s8, s5
	s_cbranch_execz .LBB76_10
; %bb.7:
	v_mov_b32_e32 v27, 0
	s_mov_b32 s9, 0
	ds_read_b32 v28, v27 offset:104
	s_waitcnt lgkmcnt(0)
	v_readfirstlane_b32 s5, v28
	v_add_nc_u32_e32 v28, 1, v0
	s_cmp_eq_u32 s5, 0
	v_cmp_gt_i32_e32 vcc_lo, s5, v28
	s_cselect_b32 s14, -1, 0
	s_or_b32 s14, s14, vcc_lo
	s_and_b32 exec_lo, exec_lo, s14
	s_cbranch_execz .LBB76_10
; %bb.8:
	v_mov_b32_e32 v30, s5
.LBB76_9:                               ; =>This Inner Loop Header: Depth=1
	ds_cmpst_rtn_b32 v30, v27, v30, v28 offset:104
	s_waitcnt lgkmcnt(0)
	v_cmp_ne_u32_e32 vcc_lo, 0, v30
	v_cmp_le_i32_e64 s5, v30, v28
	s_and_b32 s5, vcc_lo, s5
	s_and_b32 s5, exec_lo, s5
	s_or_b32 s9, s5, s9
	s_andn2_b32 exec_lo, exec_lo, s9
	s_cbranch_execnz .LBB76_9
.LBB76_10:
	s_or_b32 exec_lo, exec_lo, s8
	v_mov_b32_e32 v27, 0
	s_barrier
	buffer_gl0_inv
	ds_read_b32 v28, v27 offset:104
	s_and_saveexec_b32 s5, s4
	s_cbranch_execz .LBB76_12
; %bb.11:
	s_lshl_b64 s[8:9], s[6:7], 2
	s_add_u32 s8, s10, s8
	s_addc_u32 s9, s11, s9
	s_waitcnt lgkmcnt(0)
	global_store_dword v27, v28, s[8:9]
.LBB76_12:
	s_or_b32 exec_lo, exec_lo, s5
	s_waitcnt lgkmcnt(0)
	v_cmp_ne_u32_e32 vcc_lo, 0, v28
	s_mov_b32 s5, 0
	s_cbranch_vccnz .LBB76_64
; %bb.13:
	s_clause 0x1
	buffer_load_dword v28, v31, s[0:3], 0 offen
	buffer_load_dword v30, v31, s[0:3], 0 offen offset:4
                                        ; implicit-def: $vgpr33
                                        ; implicit-def: $vgpr32
                                        ; implicit-def: $vgpr27
	s_waitcnt vmcnt(0)
	v_cmp_ngt_f32_e64 s5, |v28|, |v30|
	s_and_saveexec_b32 s8, s5
	s_xor_b32 s5, exec_lo, s8
	s_cbranch_execz .LBB76_15
; %bb.14:
	v_div_scale_f32 v27, null, v30, v30, v28
	v_div_scale_f32 v34, vcc_lo, v28, v30, v28
	v_rcp_f32_e32 v32, v27
	v_fma_f32 v33, -v27, v32, 1.0
	v_fmac_f32_e32 v32, v33, v32
	v_mul_f32_e32 v33, v34, v32
	v_fma_f32 v35, -v27, v33, v34
	v_fmac_f32_e32 v33, v35, v32
	v_fma_f32 v27, -v27, v33, v34
	v_div_fmas_f32 v27, v27, v32, v33
	v_div_fixup_f32 v27, v27, v30, v28
	v_fmac_f32_e32 v30, v28, v27
	v_div_scale_f32 v28, null, v30, v30, 1.0
	v_rcp_f32_e32 v32, v28
	v_fma_f32 v33, -v28, v32, 1.0
	v_fmac_f32_e32 v32, v33, v32
	v_div_scale_f32 v33, vcc_lo, 1.0, v30, 1.0
	v_mul_f32_e32 v34, v33, v32
	v_fma_f32 v35, -v28, v34, v33
	v_fmac_f32_e32 v34, v35, v32
	v_fma_f32 v28, -v28, v34, v33
	v_div_fmas_f32 v28, v28, v32, v34
	v_div_fixup_f32 v28, v28, v30, 1.0
                                        ; implicit-def: $vgpr30
	v_mul_f32_e32 v33, v27, v28
	v_xor_b32_e32 v32, 0x80000000, v28
                                        ; implicit-def: $vgpr28
	v_xor_b32_e32 v27, 0x80000000, v33
.LBB76_15:
	s_andn2_saveexec_b32 s5, s5
	s_cbranch_execz .LBB76_17
; %bb.16:
	v_div_scale_f32 v27, null, v28, v28, v30
	v_div_scale_f32 v34, vcc_lo, v30, v28, v30
	v_rcp_f32_e32 v32, v27
	v_fma_f32 v33, -v27, v32, 1.0
	v_fmac_f32_e32 v32, v33, v32
	v_mul_f32_e32 v33, v34, v32
	v_fma_f32 v35, -v27, v33, v34
	v_fmac_f32_e32 v33, v35, v32
	v_fma_f32 v27, -v27, v33, v34
	v_div_fmas_f32 v27, v27, v32, v33
	v_div_fixup_f32 v32, v27, v28, v30
	v_fmac_f32_e32 v28, v30, v32
	v_div_scale_f32 v27, null, v28, v28, 1.0
	v_div_scale_f32 v34, vcc_lo, 1.0, v28, 1.0
	v_rcp_f32_e32 v30, v27
	v_fma_f32 v33, -v27, v30, 1.0
	v_fmac_f32_e32 v30, v33, v30
	v_mul_f32_e32 v33, v34, v30
	v_fma_f32 v35, -v27, v33, v34
	v_fmac_f32_e32 v33, v35, v30
	v_fma_f32 v27, -v27, v33, v34
	v_div_fmas_f32 v27, v27, v30, v33
	v_div_fixup_f32 v33, v27, v28, 1.0
	v_xor_b32_e32 v27, 0x80000000, v33
	v_mul_f32_e64 v32, v32, -v33
.LBB76_17:
	s_or_b32 exec_lo, exec_lo, s5
	buffer_store_dword v33, v31, s[0:3], 0 offen
	buffer_store_dword v32, v31, s[0:3], 0 offen offset:4
	s_clause 0x1
	buffer_load_dword v34, off, s[0:3], 0 offset:12
	buffer_load_dword v33, off, s[0:3], 0 offset:8
	v_xor_b32_e32 v28, 0x80000000, v32
	v_add_nc_u32_e32 v30, 0x70, v29
	s_waitcnt vmcnt(0)
	ds_write2_b64 v29, v[27:28], v[33:34] offset1:14
	s_waitcnt lgkmcnt(0)
	s_waitcnt_vscnt null, 0x0
	s_barrier
	buffer_gl0_inv
	s_and_saveexec_b32 s5, s4
	s_cbranch_execz .LBB76_19
; %bb.18:
	s_clause 0x1
	buffer_load_dword v34, v31, s[0:3], 0 offen offset:4
	buffer_load_dword v35, v31, s[0:3], 0 offen
	ds_read_b64 v[27:28], v30
	v_mov_b32_e32 v32, 0
	ds_read_b64 v[32:33], v32 offset:8
	s_waitcnt vmcnt(1) lgkmcnt(1)
	v_mul_f32_e32 v36, v27, v34
	v_mul_f32_e32 v34, v28, v34
	s_waitcnt vmcnt(0)
	v_fmac_f32_e32 v36, v28, v35
	v_fma_f32 v27, v27, v35, -v34
	v_add_f32_e32 v28, 0, v36
	v_add_f32_e32 v27, 0, v27
	s_waitcnt lgkmcnt(0)
	v_mul_f32_e32 v34, v28, v33
	v_mul_f32_e32 v33, v27, v33
	v_fma_f32 v27, v27, v32, -v34
	v_fmac_f32_e32 v33, v28, v32
	buffer_store_dword v27, off, s[0:3], 0 offset:8
	buffer_store_dword v33, off, s[0:3], 0 offset:12
.LBB76_19:
	s_or_b32 exec_lo, exec_lo, s5
	s_waitcnt_vscnt null, 0x0
	s_barrier
	buffer_gl0_inv
	s_clause 0x1
	buffer_load_dword v27, off, s[0:3], 0 offset:16
	buffer_load_dword v28, off, s[0:3], 0 offset:20
	s_mov_b32 s5, exec_lo
	s_waitcnt vmcnt(0)
	ds_write_b64 v30, v[27:28]
	s_waitcnt lgkmcnt(0)
	s_barrier
	buffer_gl0_inv
	v_cmpx_gt_u32_e32 2, v0
	s_cbranch_execz .LBB76_23
; %bb.20:
	s_clause 0x1
	buffer_load_dword v32, v31, s[0:3], 0 offen offset:4
	buffer_load_dword v31, v31, s[0:3], 0 offen
	ds_read_b64 v[27:28], v30
	s_waitcnt vmcnt(1) lgkmcnt(0)
	v_mul_f32_e32 v33, v28, v32
	v_mul_f32_e32 v32, v27, v32
	s_waitcnt vmcnt(0)
	v_fma_f32 v27, v27, v31, -v33
	v_fmac_f32_e32 v32, v28, v31
	v_add_f32_e32 v28, 0, v27
	v_add_f32_e32 v27, 0, v32
	s_and_saveexec_b32 s8, s4
	s_cbranch_execz .LBB76_22
; %bb.21:
	s_clause 0x1
	buffer_load_dword v33, off, s[0:3], 0 offset:12
	buffer_load_dword v34, off, s[0:3], 0 offset:8
	v_mov_b32_e32 v31, 0
	ds_read_b64 v[31:32], v31 offset:120
	s_waitcnt vmcnt(1) lgkmcnt(0)
	v_mul_f32_e32 v35, v31, v33
	v_mul_f32_e32 v33, v32, v33
	s_waitcnt vmcnt(0)
	v_fmac_f32_e32 v35, v32, v34
	v_fma_f32 v31, v31, v34, -v33
	v_add_f32_e32 v27, v27, v35
	v_add_f32_e32 v28, v28, v31
.LBB76_22:
	s_or_b32 exec_lo, exec_lo, s8
	v_mov_b32_e32 v31, 0
	ds_read_b64 v[31:32], v31 offset:16
	s_waitcnt lgkmcnt(0)
	v_mul_f32_e32 v33, v27, v32
	v_mul_f32_e32 v32, v28, v32
	v_fma_f32 v28, v28, v31, -v33
	v_fmac_f32_e32 v32, v27, v31
	buffer_store_dword v28, off, s[0:3], 0 offset:16
	buffer_store_dword v32, off, s[0:3], 0 offset:20
.LBB76_23:
	s_or_b32 exec_lo, exec_lo, s5
	s_waitcnt_vscnt null, 0x0
	s_barrier
	buffer_gl0_inv
	s_clause 0x1
	buffer_load_dword v31, off, s[0:3], 0 offset:24
	buffer_load_dword v32, off, s[0:3], 0 offset:28
	v_add_nc_u32_e32 v27, -1, v0
	s_mov_b32 s4, exec_lo
	s_waitcnt vmcnt(0)
	ds_write_b64 v30, v[31:32]
	s_waitcnt lgkmcnt(0)
	s_barrier
	buffer_gl0_inv
	v_cmpx_gt_u32_e32 3, v0
	s_cbranch_execz .LBB76_27
; %bb.24:
	v_add_nc_u32_e32 v31, -1, v0
	v_add_nc_u32_e32 v32, 0x70, v29
	v_mov_b32_e32 v33, v29
	v_mov_b32_e32 v28, 0
	;; [unrolled: 1-line block ×3, first 2 shown]
	s_mov_b32 s5, 0
	.p2align	6
.LBB76_25:                              ; =>This Inner Loop Header: Depth=1
	s_clause 0x1
	buffer_load_dword v37, v33, s[0:3], 0 offen offset:4
	buffer_load_dword v38, v33, s[0:3], 0 offen
	ds_read_b64 v[35:36], v32
	v_add_nc_u32_e32 v31, 1, v31
	v_add_nc_u32_e32 v32, 8, v32
	;; [unrolled: 1-line block ×3, first 2 shown]
	v_cmp_lt_u32_e32 vcc_lo, 1, v31
	s_or_b32 s5, vcc_lo, s5
	s_waitcnt vmcnt(1) lgkmcnt(0)
	v_mul_f32_e32 v39, v36, v37
	v_mul_f32_e32 v37, v35, v37
	s_waitcnt vmcnt(0)
	v_fma_f32 v35, v35, v38, -v39
	v_fmac_f32_e32 v37, v36, v38
	v_add_f32_e32 v34, v34, v35
	v_add_f32_e32 v28, v28, v37
	s_andn2_b32 exec_lo, exec_lo, s5
	s_cbranch_execnz .LBB76_25
; %bb.26:
	s_or_b32 exec_lo, exec_lo, s5
	v_mov_b32_e32 v31, 0
	ds_read_b64 v[31:32], v31 offset:24
	s_waitcnt lgkmcnt(0)
	v_mul_f32_e32 v33, v28, v32
	v_mul_f32_e32 v32, v34, v32
	v_fma_f32 v33, v34, v31, -v33
	v_fmac_f32_e32 v32, v28, v31
	buffer_store_dword v33, off, s[0:3], 0 offset:24
	buffer_store_dword v32, off, s[0:3], 0 offset:28
.LBB76_27:
	s_or_b32 exec_lo, exec_lo, s4
	s_waitcnt_vscnt null, 0x0
	s_barrier
	buffer_gl0_inv
	s_clause 0x1
	buffer_load_dword v31, off, s[0:3], 0 offset:32
	buffer_load_dword v32, off, s[0:3], 0 offset:36
	s_mov_b32 s4, exec_lo
	s_waitcnt vmcnt(0)
	ds_write_b64 v30, v[31:32]
	s_waitcnt lgkmcnt(0)
	s_barrier
	buffer_gl0_inv
	v_cmpx_gt_u32_e32 4, v0
	s_cbranch_execz .LBB76_31
; %bb.28:
	v_add_nc_u32_e32 v31, -1, v0
	v_add_nc_u32_e32 v32, 0x70, v29
	v_mov_b32_e32 v33, v29
	v_mov_b32_e32 v28, 0
	;; [unrolled: 1-line block ×3, first 2 shown]
	s_mov_b32 s5, 0
	.p2align	6
.LBB76_29:                              ; =>This Inner Loop Header: Depth=1
	s_clause 0x1
	buffer_load_dword v37, v33, s[0:3], 0 offen offset:4
	buffer_load_dword v38, v33, s[0:3], 0 offen
	ds_read_b64 v[35:36], v32
	v_add_nc_u32_e32 v31, 1, v31
	v_add_nc_u32_e32 v32, 8, v32
	;; [unrolled: 1-line block ×3, first 2 shown]
	v_cmp_lt_u32_e32 vcc_lo, 2, v31
	s_or_b32 s5, vcc_lo, s5
	s_waitcnt vmcnt(1) lgkmcnt(0)
	v_mul_f32_e32 v39, v36, v37
	v_mul_f32_e32 v37, v35, v37
	s_waitcnt vmcnt(0)
	v_fma_f32 v35, v35, v38, -v39
	v_fmac_f32_e32 v37, v36, v38
	v_add_f32_e32 v34, v34, v35
	v_add_f32_e32 v28, v28, v37
	s_andn2_b32 exec_lo, exec_lo, s5
	s_cbranch_execnz .LBB76_29
; %bb.30:
	s_or_b32 exec_lo, exec_lo, s5
	v_mov_b32_e32 v31, 0
	ds_read_b64 v[31:32], v31 offset:32
	s_waitcnt lgkmcnt(0)
	v_mul_f32_e32 v33, v28, v32
	v_mul_f32_e32 v32, v34, v32
	v_fma_f32 v33, v34, v31, -v33
	v_fmac_f32_e32 v32, v28, v31
	buffer_store_dword v33, off, s[0:3], 0 offset:32
	buffer_store_dword v32, off, s[0:3], 0 offset:36
.LBB76_31:
	s_or_b32 exec_lo, exec_lo, s4
	s_waitcnt_vscnt null, 0x0
	s_barrier
	buffer_gl0_inv
	s_clause 0x1
	buffer_load_dword v31, off, s[0:3], 0 offset:40
	buffer_load_dword v32, off, s[0:3], 0 offset:44
	s_mov_b32 s4, exec_lo
	s_waitcnt vmcnt(0)
	ds_write_b64 v30, v[31:32]
	s_waitcnt lgkmcnt(0)
	s_barrier
	buffer_gl0_inv
	v_cmpx_gt_u32_e32 5, v0
	s_cbranch_execz .LBB76_35
; %bb.32:
	v_add_nc_u32_e32 v31, -1, v0
	v_add_nc_u32_e32 v32, 0x70, v29
	v_mov_b32_e32 v33, v29
	v_mov_b32_e32 v28, 0
	;; [unrolled: 1-line block ×3, first 2 shown]
	s_mov_b32 s5, 0
	.p2align	6
.LBB76_33:                              ; =>This Inner Loop Header: Depth=1
	s_clause 0x1
	buffer_load_dword v37, v33, s[0:3], 0 offen offset:4
	buffer_load_dword v38, v33, s[0:3], 0 offen
	ds_read_b64 v[35:36], v32
	v_add_nc_u32_e32 v31, 1, v31
	v_add_nc_u32_e32 v32, 8, v32
	;; [unrolled: 1-line block ×3, first 2 shown]
	v_cmp_lt_u32_e32 vcc_lo, 3, v31
	s_or_b32 s5, vcc_lo, s5
	s_waitcnt vmcnt(1) lgkmcnt(0)
	v_mul_f32_e32 v39, v36, v37
	v_mul_f32_e32 v37, v35, v37
	s_waitcnt vmcnt(0)
	v_fma_f32 v35, v35, v38, -v39
	v_fmac_f32_e32 v37, v36, v38
	v_add_f32_e32 v34, v34, v35
	v_add_f32_e32 v28, v28, v37
	s_andn2_b32 exec_lo, exec_lo, s5
	s_cbranch_execnz .LBB76_33
; %bb.34:
	s_or_b32 exec_lo, exec_lo, s5
	v_mov_b32_e32 v31, 0
	ds_read_b64 v[31:32], v31 offset:40
	s_waitcnt lgkmcnt(0)
	v_mul_f32_e32 v33, v28, v32
	v_mul_f32_e32 v32, v34, v32
	v_fma_f32 v33, v34, v31, -v33
	v_fmac_f32_e32 v32, v28, v31
	buffer_store_dword v33, off, s[0:3], 0 offset:40
	buffer_store_dword v32, off, s[0:3], 0 offset:44
.LBB76_35:
	s_or_b32 exec_lo, exec_lo, s4
	s_waitcnt_vscnt null, 0x0
	s_barrier
	buffer_gl0_inv
	s_clause 0x1
	buffer_load_dword v31, off, s[0:3], 0 offset:48
	buffer_load_dword v32, off, s[0:3], 0 offset:52
	s_mov_b32 s4, exec_lo
	s_waitcnt vmcnt(0)
	ds_write_b64 v30, v[31:32]
	s_waitcnt lgkmcnt(0)
	s_barrier
	buffer_gl0_inv
	v_cmpx_gt_u32_e32 6, v0
	s_cbranch_execz .LBB76_39
; %bb.36:
	v_add_nc_u32_e32 v31, -1, v0
	v_add_nc_u32_e32 v32, 0x70, v29
	v_mov_b32_e32 v33, v29
	v_mov_b32_e32 v28, 0
	;; [unrolled: 1-line block ×3, first 2 shown]
	s_mov_b32 s5, 0
	.p2align	6
.LBB76_37:                              ; =>This Inner Loop Header: Depth=1
	s_clause 0x1
	buffer_load_dword v37, v33, s[0:3], 0 offen offset:4
	buffer_load_dword v38, v33, s[0:3], 0 offen
	ds_read_b64 v[35:36], v32
	v_add_nc_u32_e32 v31, 1, v31
	v_add_nc_u32_e32 v32, 8, v32
	;; [unrolled: 1-line block ×3, first 2 shown]
	v_cmp_lt_u32_e32 vcc_lo, 4, v31
	s_or_b32 s5, vcc_lo, s5
	s_waitcnt vmcnt(1) lgkmcnt(0)
	v_mul_f32_e32 v39, v36, v37
	v_mul_f32_e32 v37, v35, v37
	s_waitcnt vmcnt(0)
	v_fma_f32 v35, v35, v38, -v39
	v_fmac_f32_e32 v37, v36, v38
	v_add_f32_e32 v34, v34, v35
	v_add_f32_e32 v28, v28, v37
	s_andn2_b32 exec_lo, exec_lo, s5
	s_cbranch_execnz .LBB76_37
; %bb.38:
	s_or_b32 exec_lo, exec_lo, s5
	v_mov_b32_e32 v31, 0
	ds_read_b64 v[31:32], v31 offset:48
	s_waitcnt lgkmcnt(0)
	v_mul_f32_e32 v33, v28, v32
	v_mul_f32_e32 v32, v34, v32
	v_fma_f32 v33, v34, v31, -v33
	v_fmac_f32_e32 v32, v28, v31
	buffer_store_dword v33, off, s[0:3], 0 offset:48
	buffer_store_dword v32, off, s[0:3], 0 offset:52
.LBB76_39:
	s_or_b32 exec_lo, exec_lo, s4
	s_waitcnt_vscnt null, 0x0
	s_barrier
	buffer_gl0_inv
	s_clause 0x1
	buffer_load_dword v31, off, s[0:3], 0 offset:56
	buffer_load_dword v32, off, s[0:3], 0 offset:60
	s_mov_b32 s4, exec_lo
	s_waitcnt vmcnt(0)
	ds_write_b64 v30, v[31:32]
	s_waitcnt lgkmcnt(0)
	s_barrier
	buffer_gl0_inv
	v_cmpx_gt_u32_e32 7, v0
	s_cbranch_execz .LBB76_43
; %bb.40:
	v_add_nc_u32_e32 v31, -1, v0
	v_add_nc_u32_e32 v32, 0x70, v29
	v_mov_b32_e32 v33, v29
	v_mov_b32_e32 v28, 0
	;; [unrolled: 1-line block ×3, first 2 shown]
	s_mov_b32 s5, 0
	.p2align	6
.LBB76_41:                              ; =>This Inner Loop Header: Depth=1
	s_clause 0x1
	buffer_load_dword v37, v33, s[0:3], 0 offen offset:4
	buffer_load_dword v38, v33, s[0:3], 0 offen
	ds_read_b64 v[35:36], v32
	v_add_nc_u32_e32 v31, 1, v31
	v_add_nc_u32_e32 v32, 8, v32
	v_add_nc_u32_e32 v33, 8, v33
	v_cmp_lt_u32_e32 vcc_lo, 5, v31
	s_or_b32 s5, vcc_lo, s5
	s_waitcnt vmcnt(1) lgkmcnt(0)
	v_mul_f32_e32 v39, v36, v37
	v_mul_f32_e32 v37, v35, v37
	s_waitcnt vmcnt(0)
	v_fma_f32 v35, v35, v38, -v39
	v_fmac_f32_e32 v37, v36, v38
	v_add_f32_e32 v34, v34, v35
	v_add_f32_e32 v28, v28, v37
	s_andn2_b32 exec_lo, exec_lo, s5
	s_cbranch_execnz .LBB76_41
; %bb.42:
	s_or_b32 exec_lo, exec_lo, s5
	v_mov_b32_e32 v31, 0
	ds_read_b64 v[31:32], v31 offset:56
	s_waitcnt lgkmcnt(0)
	v_mul_f32_e32 v33, v28, v32
	v_mul_f32_e32 v32, v34, v32
	v_fma_f32 v33, v34, v31, -v33
	v_fmac_f32_e32 v32, v28, v31
	buffer_store_dword v33, off, s[0:3], 0 offset:56
	buffer_store_dword v32, off, s[0:3], 0 offset:60
.LBB76_43:
	s_or_b32 exec_lo, exec_lo, s4
	s_waitcnt_vscnt null, 0x0
	s_barrier
	buffer_gl0_inv
	s_clause 0x1
	buffer_load_dword v31, off, s[0:3], 0 offset:64
	buffer_load_dword v32, off, s[0:3], 0 offset:68
	s_mov_b32 s4, exec_lo
	s_waitcnt vmcnt(0)
	ds_write_b64 v30, v[31:32]
	s_waitcnt lgkmcnt(0)
	s_barrier
	buffer_gl0_inv
	v_cmpx_gt_u32_e32 8, v0
	s_cbranch_execz .LBB76_47
; %bb.44:
	v_add_nc_u32_e32 v31, -1, v0
	v_add_nc_u32_e32 v32, 0x70, v29
	v_mov_b32_e32 v33, v29
	v_mov_b32_e32 v28, 0
	;; [unrolled: 1-line block ×3, first 2 shown]
	s_mov_b32 s5, 0
	.p2align	6
.LBB76_45:                              ; =>This Inner Loop Header: Depth=1
	s_clause 0x1
	buffer_load_dword v37, v33, s[0:3], 0 offen offset:4
	buffer_load_dword v38, v33, s[0:3], 0 offen
	ds_read_b64 v[35:36], v32
	v_add_nc_u32_e32 v31, 1, v31
	v_add_nc_u32_e32 v32, 8, v32
	v_add_nc_u32_e32 v33, 8, v33
	v_cmp_lt_u32_e32 vcc_lo, 6, v31
	s_or_b32 s5, vcc_lo, s5
	s_waitcnt vmcnt(1) lgkmcnt(0)
	v_mul_f32_e32 v39, v36, v37
	v_mul_f32_e32 v37, v35, v37
	s_waitcnt vmcnt(0)
	v_fma_f32 v35, v35, v38, -v39
	v_fmac_f32_e32 v37, v36, v38
	v_add_f32_e32 v34, v34, v35
	v_add_f32_e32 v28, v28, v37
	s_andn2_b32 exec_lo, exec_lo, s5
	s_cbranch_execnz .LBB76_45
; %bb.46:
	s_or_b32 exec_lo, exec_lo, s5
	v_mov_b32_e32 v31, 0
	ds_read_b64 v[31:32], v31 offset:64
	s_waitcnt lgkmcnt(0)
	v_mul_f32_e32 v33, v28, v32
	v_mul_f32_e32 v32, v34, v32
	v_fma_f32 v33, v34, v31, -v33
	v_fmac_f32_e32 v32, v28, v31
	buffer_store_dword v33, off, s[0:3], 0 offset:64
	buffer_store_dword v32, off, s[0:3], 0 offset:68
.LBB76_47:
	s_or_b32 exec_lo, exec_lo, s4
	s_waitcnt_vscnt null, 0x0
	s_barrier
	buffer_gl0_inv
	s_clause 0x1
	buffer_load_dword v31, off, s[0:3], 0 offset:72
	buffer_load_dword v32, off, s[0:3], 0 offset:76
	s_mov_b32 s4, exec_lo
	s_waitcnt vmcnt(0)
	ds_write_b64 v30, v[31:32]
	s_waitcnt lgkmcnt(0)
	s_barrier
	buffer_gl0_inv
	v_cmpx_gt_u32_e32 9, v0
	s_cbranch_execz .LBB76_51
; %bb.48:
	v_add_nc_u32_e32 v31, -1, v0
	v_add_nc_u32_e32 v32, 0x70, v29
	v_mov_b32_e32 v33, v29
	v_mov_b32_e32 v28, 0
	;; [unrolled: 1-line block ×3, first 2 shown]
	s_mov_b32 s5, 0
	.p2align	6
.LBB76_49:                              ; =>This Inner Loop Header: Depth=1
	s_clause 0x1
	buffer_load_dword v37, v33, s[0:3], 0 offen offset:4
	buffer_load_dword v38, v33, s[0:3], 0 offen
	ds_read_b64 v[35:36], v32
	v_add_nc_u32_e32 v31, 1, v31
	v_add_nc_u32_e32 v32, 8, v32
	;; [unrolled: 1-line block ×3, first 2 shown]
	v_cmp_lt_u32_e32 vcc_lo, 7, v31
	s_or_b32 s5, vcc_lo, s5
	s_waitcnt vmcnt(1) lgkmcnt(0)
	v_mul_f32_e32 v39, v36, v37
	v_mul_f32_e32 v37, v35, v37
	s_waitcnt vmcnt(0)
	v_fma_f32 v35, v35, v38, -v39
	v_fmac_f32_e32 v37, v36, v38
	v_add_f32_e32 v34, v34, v35
	v_add_f32_e32 v28, v28, v37
	s_andn2_b32 exec_lo, exec_lo, s5
	s_cbranch_execnz .LBB76_49
; %bb.50:
	s_or_b32 exec_lo, exec_lo, s5
	v_mov_b32_e32 v31, 0
	ds_read_b64 v[31:32], v31 offset:72
	s_waitcnt lgkmcnt(0)
	v_mul_f32_e32 v33, v28, v32
	v_mul_f32_e32 v32, v34, v32
	v_fma_f32 v33, v34, v31, -v33
	v_fmac_f32_e32 v32, v28, v31
	buffer_store_dword v33, off, s[0:3], 0 offset:72
	buffer_store_dword v32, off, s[0:3], 0 offset:76
.LBB76_51:
	s_or_b32 exec_lo, exec_lo, s4
	s_waitcnt_vscnt null, 0x0
	s_barrier
	buffer_gl0_inv
	s_clause 0x1
	buffer_load_dword v31, off, s[0:3], 0 offset:80
	buffer_load_dword v32, off, s[0:3], 0 offset:84
	s_mov_b32 s4, exec_lo
	s_waitcnt vmcnt(0)
	ds_write_b64 v30, v[31:32]
	s_waitcnt lgkmcnt(0)
	s_barrier
	buffer_gl0_inv
	v_cmpx_gt_u32_e32 10, v0
	s_cbranch_execz .LBB76_55
; %bb.52:
	v_add_nc_u32_e32 v31, -1, v0
	v_add_nc_u32_e32 v32, 0x70, v29
	v_mov_b32_e32 v33, v29
	v_mov_b32_e32 v28, 0
	;; [unrolled: 1-line block ×3, first 2 shown]
	s_mov_b32 s5, 0
	.p2align	6
.LBB76_53:                              ; =>This Inner Loop Header: Depth=1
	s_clause 0x1
	buffer_load_dword v37, v33, s[0:3], 0 offen offset:4
	buffer_load_dword v38, v33, s[0:3], 0 offen
	ds_read_b64 v[35:36], v32
	v_add_nc_u32_e32 v31, 1, v31
	v_add_nc_u32_e32 v32, 8, v32
	;; [unrolled: 1-line block ×3, first 2 shown]
	v_cmp_lt_u32_e32 vcc_lo, 8, v31
	s_or_b32 s5, vcc_lo, s5
	s_waitcnt vmcnt(1) lgkmcnt(0)
	v_mul_f32_e32 v39, v36, v37
	v_mul_f32_e32 v37, v35, v37
	s_waitcnt vmcnt(0)
	v_fma_f32 v35, v35, v38, -v39
	v_fmac_f32_e32 v37, v36, v38
	v_add_f32_e32 v34, v34, v35
	v_add_f32_e32 v28, v28, v37
	s_andn2_b32 exec_lo, exec_lo, s5
	s_cbranch_execnz .LBB76_53
; %bb.54:
	s_or_b32 exec_lo, exec_lo, s5
	v_mov_b32_e32 v31, 0
	ds_read_b64 v[31:32], v31 offset:80
	s_waitcnt lgkmcnt(0)
	v_mul_f32_e32 v33, v28, v32
	v_mul_f32_e32 v32, v34, v32
	v_fma_f32 v33, v34, v31, -v33
	v_fmac_f32_e32 v32, v28, v31
	buffer_store_dword v33, off, s[0:3], 0 offset:80
	buffer_store_dword v32, off, s[0:3], 0 offset:84
.LBB76_55:
	s_or_b32 exec_lo, exec_lo, s4
	s_waitcnt_vscnt null, 0x0
	s_barrier
	buffer_gl0_inv
	s_clause 0x1
	buffer_load_dword v31, off, s[0:3], 0 offset:88
	buffer_load_dword v32, off, s[0:3], 0 offset:92
	s_mov_b32 s4, exec_lo
	s_waitcnt vmcnt(0)
	ds_write_b64 v30, v[31:32]
	s_waitcnt lgkmcnt(0)
	s_barrier
	buffer_gl0_inv
	v_cmpx_gt_u32_e32 11, v0
	s_cbranch_execz .LBB76_59
; %bb.56:
	v_add_nc_u32_e32 v31, -1, v0
	v_add_nc_u32_e32 v32, 0x70, v29
	v_mov_b32_e32 v33, v29
	v_mov_b32_e32 v28, 0
	;; [unrolled: 1-line block ×3, first 2 shown]
	s_mov_b32 s5, 0
	.p2align	6
.LBB76_57:                              ; =>This Inner Loop Header: Depth=1
	s_clause 0x1
	buffer_load_dword v37, v33, s[0:3], 0 offen offset:4
	buffer_load_dword v38, v33, s[0:3], 0 offen
	ds_read_b64 v[35:36], v32
	v_add_nc_u32_e32 v31, 1, v31
	v_add_nc_u32_e32 v32, 8, v32
	;; [unrolled: 1-line block ×3, first 2 shown]
	v_cmp_lt_u32_e32 vcc_lo, 9, v31
	s_or_b32 s5, vcc_lo, s5
	s_waitcnt vmcnt(1) lgkmcnt(0)
	v_mul_f32_e32 v39, v36, v37
	v_mul_f32_e32 v37, v35, v37
	s_waitcnt vmcnt(0)
	v_fma_f32 v35, v35, v38, -v39
	v_fmac_f32_e32 v37, v36, v38
	v_add_f32_e32 v34, v34, v35
	v_add_f32_e32 v28, v28, v37
	s_andn2_b32 exec_lo, exec_lo, s5
	s_cbranch_execnz .LBB76_57
; %bb.58:
	s_or_b32 exec_lo, exec_lo, s5
	v_mov_b32_e32 v31, 0
	ds_read_b64 v[31:32], v31 offset:88
	s_waitcnt lgkmcnt(0)
	v_mul_f32_e32 v33, v28, v32
	v_mul_f32_e32 v32, v34, v32
	v_fma_f32 v33, v34, v31, -v33
	v_fmac_f32_e32 v32, v28, v31
	buffer_store_dword v33, off, s[0:3], 0 offset:88
	buffer_store_dword v32, off, s[0:3], 0 offset:92
.LBB76_59:
	s_or_b32 exec_lo, exec_lo, s4
	s_waitcnt_vscnt null, 0x0
	s_barrier
	buffer_gl0_inv
	s_clause 0x1
	buffer_load_dword v31, off, s[0:3], 0 offset:96
	buffer_load_dword v32, off, s[0:3], 0 offset:100
	s_mov_b32 s4, exec_lo
	s_waitcnt vmcnt(0)
	ds_write_b64 v30, v[31:32]
	s_waitcnt lgkmcnt(0)
	s_barrier
	buffer_gl0_inv
	v_cmpx_ne_u32_e32 12, v0
	s_cbranch_execz .LBB76_63
; %bb.60:
	v_mov_b32_e32 v28, 0
	v_mov_b32_e32 v31, 0
	s_mov_b32 s5, 0
	.p2align	6
.LBB76_61:                              ; =>This Inner Loop Header: Depth=1
	s_clause 0x1
	buffer_load_dword v34, v29, s[0:3], 0 offen offset:4
	buffer_load_dword v35, v29, s[0:3], 0 offen
	ds_read_b64 v[32:33], v30
	v_add_nc_u32_e32 v27, 1, v27
	v_add_nc_u32_e32 v30, 8, v30
	;; [unrolled: 1-line block ×3, first 2 shown]
	v_cmp_lt_u32_e32 vcc_lo, 10, v27
	s_or_b32 s5, vcc_lo, s5
	s_waitcnt vmcnt(1) lgkmcnt(0)
	v_mul_f32_e32 v36, v33, v34
	v_mul_f32_e32 v34, v32, v34
	s_waitcnt vmcnt(0)
	v_fma_f32 v32, v32, v35, -v36
	v_fmac_f32_e32 v34, v33, v35
	v_add_f32_e32 v31, v31, v32
	v_add_f32_e32 v28, v28, v34
	s_andn2_b32 exec_lo, exec_lo, s5
	s_cbranch_execnz .LBB76_61
; %bb.62:
	s_or_b32 exec_lo, exec_lo, s5
	v_mov_b32_e32 v27, 0
	ds_read_b64 v[29:30], v27 offset:96
	s_waitcnt lgkmcnt(0)
	v_mul_f32_e32 v27, v28, v30
	v_mul_f32_e32 v30, v31, v30
	v_fma_f32 v27, v31, v29, -v27
	v_fmac_f32_e32 v30, v28, v29
	buffer_store_dword v27, off, s[0:3], 0 offset:96
	buffer_store_dword v30, off, s[0:3], 0 offset:100
.LBB76_63:
	s_or_b32 exec_lo, exec_lo, s4
	s_mov_b32 s5, -1
	s_waitcnt_vscnt null, 0x0
	s_barrier
	buffer_gl0_inv
.LBB76_64:
	s_and_b32 vcc_lo, exec_lo, s5
	s_cbranch_vccz .LBB76_66
; %bb.65:
	s_lshl_b64 s[4:5], s[6:7], 2
	v_mov_b32_e32 v27, 0
	s_add_u32 s4, s10, s4
	s_addc_u32 s5, s11, s5
	global_load_dword v27, v27, s[4:5]
	s_waitcnt vmcnt(0)
	v_cmp_ne_u32_e32 vcc_lo, 0, v27
	s_cbranch_vccz .LBB76_67
.LBB76_66:
	s_endpgm
.LBB76_67:
	v_lshl_add_u32 v27, v0, 3, 0x70
	s_mov_b32 s4, exec_lo
	v_cmpx_eq_u32_e32 12, v0
	s_cbranch_execz .LBB76_69
; %bb.68:
	s_clause 0x1
	buffer_load_dword v28, off, s[0:3], 0 offset:88
	buffer_load_dword v29, off, s[0:3], 0 offset:92
	v_mov_b32_e32 v30, 0
	buffer_store_dword v30, off, s[0:3], 0 offset:88
	buffer_store_dword v30, off, s[0:3], 0 offset:92
	s_waitcnt vmcnt(0)
	ds_write_b64 v27, v[28:29]
.LBB76_69:
	s_or_b32 exec_lo, exec_lo, s4
	s_waitcnt lgkmcnt(0)
	s_waitcnt_vscnt null, 0x0
	s_barrier
	buffer_gl0_inv
	s_clause 0x3
	buffer_load_dword v31, off, s[0:3], 0 offset:100
	buffer_load_dword v32, off, s[0:3], 0 offset:96
	;; [unrolled: 1-line block ×4, first 2 shown]
	v_mov_b32_e32 v28, 0
	s_mov_b32 s4, exec_lo
	ds_read_b64 v[29:30], v28 offset:208
	s_waitcnt vmcnt(3) lgkmcnt(0)
	v_mul_f32_e32 v35, v30, v31
	v_mul_f32_e32 v31, v29, v31
	s_waitcnt vmcnt(2)
	v_fma_f32 v29, v29, v32, -v35
	v_fmac_f32_e32 v31, v30, v32
	v_add_f32_e32 v29, 0, v29
	v_add_f32_e32 v30, 0, v31
	s_waitcnt vmcnt(1)
	v_sub_f32_e32 v29, v33, v29
	s_waitcnt vmcnt(0)
	v_sub_f32_e32 v30, v34, v30
	buffer_store_dword v29, off, s[0:3], 0 offset:88
	buffer_store_dword v30, off, s[0:3], 0 offset:92
	v_cmpx_lt_u32_e32 10, v0
	s_cbranch_execz .LBB76_71
; %bb.70:
	s_clause 0x1
	buffer_load_dword v29, off, s[0:3], 0 offset:80
	buffer_load_dword v30, off, s[0:3], 0 offset:84
	buffer_store_dword v28, off, s[0:3], 0 offset:80
	buffer_store_dword v28, off, s[0:3], 0 offset:84
	s_waitcnt vmcnt(0)
	ds_write_b64 v27, v[29:30]
.LBB76_71:
	s_or_b32 exec_lo, exec_lo, s4
	s_waitcnt lgkmcnt(0)
	s_waitcnt_vscnt null, 0x0
	s_barrier
	buffer_gl0_inv
	s_clause 0x5
	buffer_load_dword v32, off, s[0:3], 0 offset:92
	buffer_load_dword v33, off, s[0:3], 0 offset:100
	;; [unrolled: 1-line block ×6, first 2 shown]
	ds_read2_b64 v[28:31], v28 offset0:25 offset1:26
	s_mov_b32 s4, exec_lo
	s_waitcnt vmcnt(5) lgkmcnt(0)
	v_mul_f32_e32 v38, v29, v32
	v_mul_f32_e32 v32, v28, v32
	s_waitcnt vmcnt(4)
	v_mul_f32_e32 v39, v30, v33
	v_mul_f32_e32 v33, v31, v33
	s_waitcnt vmcnt(3)
	v_fma_f32 v28, v28, v34, -v38
	v_fmac_f32_e32 v32, v29, v34
	s_waitcnt vmcnt(2)
	v_fmac_f32_e32 v39, v31, v35
	v_fma_f32 v29, v30, v35, -v33
	v_add_f32_e32 v28, 0, v28
	v_add_f32_e32 v30, 0, v32
	v_add_f32_e32 v28, v28, v29
	v_add_f32_e32 v29, v30, v39
	s_waitcnt vmcnt(1)
	v_sub_f32_e32 v28, v36, v28
	s_waitcnt vmcnt(0)
	v_sub_f32_e32 v29, v37, v29
	buffer_store_dword v28, off, s[0:3], 0 offset:80
	buffer_store_dword v29, off, s[0:3], 0 offset:84
	v_cmpx_lt_u32_e32 9, v0
	s_cbranch_execz .LBB76_73
; %bb.72:
	s_clause 0x1
	buffer_load_dword v28, off, s[0:3], 0 offset:72
	buffer_load_dword v29, off, s[0:3], 0 offset:76
	v_mov_b32_e32 v30, 0
	buffer_store_dword v30, off, s[0:3], 0 offset:72
	buffer_store_dword v30, off, s[0:3], 0 offset:76
	s_waitcnt vmcnt(0)
	ds_write_b64 v27, v[28:29]
.LBB76_73:
	s_or_b32 exec_lo, exec_lo, s4
	s_waitcnt lgkmcnt(0)
	s_waitcnt_vscnt null, 0x0
	s_barrier
	buffer_gl0_inv
	s_clause 0x7
	buffer_load_dword v35, off, s[0:3], 0 offset:84
	buffer_load_dword v36, off, s[0:3], 0 offset:92
	;; [unrolled: 1-line block ×8, first 2 shown]
	v_mov_b32_e32 v28, 0
	ds_read_b128 v[29:32], v28 offset:192
	ds_read_b64 v[33:34], v28 offset:208
	s_mov_b32 s4, exec_lo
	s_waitcnt vmcnt(7) lgkmcnt(1)
	v_mul_f32_e32 v43, v30, v35
	v_mul_f32_e32 v35, v29, v35
	s_waitcnt vmcnt(6)
	v_mul_f32_e32 v44, v31, v36
	v_mul_f32_e32 v36, v32, v36
	s_waitcnt vmcnt(5) lgkmcnt(0)
	v_mul_f32_e32 v45, v33, v37
	s_waitcnt vmcnt(4)
	v_fma_f32 v29, v29, v38, -v43
	v_fmac_f32_e32 v35, v30, v38
	v_mul_f32_e32 v30, v34, v37
	s_waitcnt vmcnt(3)
	v_fma_f32 v31, v31, v39, -v36
	v_fmac_f32_e32 v44, v32, v39
	v_add_f32_e32 v29, 0, v29
	v_add_f32_e32 v32, 0, v35
	s_waitcnt vmcnt(2)
	v_fma_f32 v30, v33, v40, -v30
	v_fmac_f32_e32 v45, v34, v40
	v_add_f32_e32 v29, v29, v31
	v_add_f32_e32 v31, v32, v44
	v_add_f32_e32 v29, v29, v30
	v_add_f32_e32 v30, v31, v45
	s_waitcnt vmcnt(1)
	v_sub_f32_e32 v29, v41, v29
	s_waitcnt vmcnt(0)
	v_sub_f32_e32 v30, v42, v30
	buffer_store_dword v29, off, s[0:3], 0 offset:72
	buffer_store_dword v30, off, s[0:3], 0 offset:76
	v_cmpx_lt_u32_e32 8, v0
	s_cbranch_execz .LBB76_75
; %bb.74:
	s_clause 0x1
	buffer_load_dword v29, off, s[0:3], 0 offset:64
	buffer_load_dword v30, off, s[0:3], 0 offset:68
	buffer_store_dword v28, off, s[0:3], 0 offset:64
	buffer_store_dword v28, off, s[0:3], 0 offset:68
	s_waitcnt vmcnt(0)
	ds_write_b64 v27, v[29:30]
.LBB76_75:
	s_or_b32 exec_lo, exec_lo, s4
	s_waitcnt lgkmcnt(0)
	s_waitcnt_vscnt null, 0x0
	s_barrier
	buffer_gl0_inv
	s_clause 0x9
	buffer_load_dword v37, off, s[0:3], 0 offset:76
	buffer_load_dword v38, off, s[0:3], 0 offset:84
	;; [unrolled: 1-line block ×10, first 2 shown]
	ds_read2_b64 v[29:32], v28 offset0:23 offset1:24
	ds_read2_b64 v[33:36], v28 offset0:25 offset1:26
	s_mov_b32 s4, exec_lo
	s_waitcnt vmcnt(9) lgkmcnt(1)
	v_mul_f32_e32 v28, v29, v37
	v_mul_f32_e32 v37, v30, v37
	s_waitcnt vmcnt(8)
	v_mul_f32_e32 v47, v31, v38
	v_mul_f32_e32 v38, v32, v38
	s_waitcnt vmcnt(7) lgkmcnt(0)
	v_mul_f32_e32 v48, v33, v39
	s_waitcnt vmcnt(5)
	v_fmac_f32_e32 v28, v30, v41
	v_fma_f32 v29, v29, v41, -v37
	v_mul_f32_e32 v30, v34, v39
	s_waitcnt vmcnt(4)
	v_fma_f32 v31, v31, v42, -v38
	v_fmac_f32_e32 v47, v32, v42
	v_add_f32_e32 v28, 0, v28
	v_add_f32_e32 v29, 0, v29
	v_mul_f32_e32 v32, v36, v40
	s_waitcnt vmcnt(3)
	v_fma_f32 v30, v33, v43, -v30
	v_mul_f32_e32 v49, v35, v40
	v_fmac_f32_e32 v48, v34, v43
	v_add_f32_e32 v29, v29, v31
	v_add_f32_e32 v28, v28, v47
	s_waitcnt vmcnt(2)
	v_fma_f32 v31, v35, v44, -v32
	v_fmac_f32_e32 v49, v36, v44
	v_add_f32_e32 v29, v29, v30
	v_add_f32_e32 v28, v28, v48
	;; [unrolled: 1-line block ×4, first 2 shown]
	s_waitcnt vmcnt(1)
	v_sub_f32_e32 v29, v45, v29
	s_waitcnt vmcnt(0)
	v_sub_f32_e32 v28, v46, v28
	buffer_store_dword v29, off, s[0:3], 0 offset:64
	buffer_store_dword v28, off, s[0:3], 0 offset:68
	v_cmpx_lt_u32_e32 7, v0
	s_cbranch_execz .LBB76_77
; %bb.76:
	s_clause 0x1
	buffer_load_dword v28, off, s[0:3], 0 offset:56
	buffer_load_dword v29, off, s[0:3], 0 offset:60
	v_mov_b32_e32 v30, 0
	buffer_store_dword v30, off, s[0:3], 0 offset:56
	buffer_store_dword v30, off, s[0:3], 0 offset:60
	s_waitcnt vmcnt(0)
	ds_write_b64 v27, v[28:29]
.LBB76_77:
	s_or_b32 exec_lo, exec_lo, s4
	s_waitcnt lgkmcnt(0)
	s_waitcnt_vscnt null, 0x0
	s_barrier
	buffer_gl0_inv
	s_clause 0xb
	buffer_load_dword v39, off, s[0:3], 0 offset:68
	buffer_load_dword v40, off, s[0:3], 0 offset:76
	;; [unrolled: 1-line block ×12, first 2 shown]
	v_mov_b32_e32 v28, 0
	ds_read_b128 v[29:32], v28 offset:176
	ds_read_b128 v[33:36], v28 offset:192
	ds_read_b64 v[37:38], v28 offset:208
	s_mov_b32 s4, exec_lo
	s_waitcnt vmcnt(11) lgkmcnt(2)
	v_mul_f32_e32 v51, v29, v39
	v_mul_f32_e32 v39, v30, v39
	s_waitcnt vmcnt(10)
	v_mul_f32_e32 v52, v31, v40
	v_mul_f32_e32 v40, v32, v40
	s_waitcnt vmcnt(9) lgkmcnt(1)
	v_mul_f32_e32 v53, v33, v41
	s_waitcnt vmcnt(6)
	v_fmac_f32_e32 v51, v30, v44
	v_fma_f32 v29, v29, v44, -v39
	v_mul_f32_e32 v30, v34, v41
	s_waitcnt vmcnt(5)
	v_fma_f32 v31, v31, v45, -v40
	v_fmac_f32_e32 v52, v32, v45
	v_add_f32_e32 v32, 0, v51
	v_add_f32_e32 v29, 0, v29
	v_mul_f32_e32 v39, v36, v42
	s_waitcnt vmcnt(4)
	v_fma_f32 v30, v33, v46, -v30
	v_mul_f32_e32 v54, v35, v42
	v_fmac_f32_e32 v53, v34, v46
	v_add_f32_e32 v29, v29, v31
	v_add_f32_e32 v31, v32, v52
	s_waitcnt lgkmcnt(0)
	v_mul_f32_e32 v32, v38, v43
	s_waitcnt vmcnt(3)
	v_fma_f32 v33, v35, v47, -v39
	v_mul_f32_e32 v55, v37, v43
	v_add_f32_e32 v29, v29, v30
	v_fmac_f32_e32 v54, v36, v47
	v_add_f32_e32 v30, v31, v53
	s_waitcnt vmcnt(2)
	v_fma_f32 v31, v37, v48, -v32
	v_fmac_f32_e32 v55, v38, v48
	v_add_f32_e32 v29, v29, v33
	v_add_f32_e32 v30, v30, v54
	;; [unrolled: 1-line block ×4, first 2 shown]
	s_waitcnt vmcnt(1)
	v_sub_f32_e32 v29, v49, v29
	s_waitcnt vmcnt(0)
	v_sub_f32_e32 v30, v50, v30
	buffer_store_dword v29, off, s[0:3], 0 offset:56
	buffer_store_dword v30, off, s[0:3], 0 offset:60
	v_cmpx_lt_u32_e32 6, v0
	s_cbranch_execz .LBB76_79
; %bb.78:
	s_clause 0x1
	buffer_load_dword v29, off, s[0:3], 0 offset:48
	buffer_load_dword v30, off, s[0:3], 0 offset:52
	buffer_store_dword v28, off, s[0:3], 0 offset:48
	buffer_store_dword v28, off, s[0:3], 0 offset:52
	s_waitcnt vmcnt(0)
	ds_write_b64 v27, v[29:30]
.LBB76_79:
	s_or_b32 exec_lo, exec_lo, s4
	s_waitcnt lgkmcnt(0)
	s_waitcnt_vscnt null, 0x0
	s_barrier
	buffer_gl0_inv
	s_clause 0xd
	buffer_load_dword v41, off, s[0:3], 0 offset:60
	buffer_load_dword v42, off, s[0:3], 0 offset:68
	;; [unrolled: 1-line block ×14, first 2 shown]
	ds_read2_b64 v[29:32], v28 offset0:21 offset1:22
	ds_read2_b64 v[33:36], v28 offset0:23 offset1:24
	;; [unrolled: 1-line block ×3, first 2 shown]
	s_mov_b32 s4, exec_lo
	s_waitcnt vmcnt(13) lgkmcnt(2)
	v_mul_f32_e32 v28, v29, v41
	v_mul_f32_e32 v41, v30, v41
	s_waitcnt vmcnt(12)
	v_mul_f32_e32 v55, v31, v42
	v_mul_f32_e32 v42, v32, v42
	s_waitcnt vmcnt(11) lgkmcnt(1)
	v_mul_f32_e32 v56, v33, v43
	s_waitcnt vmcnt(10)
	v_mul_f32_e32 v57, v35, v44
	s_waitcnt vmcnt(7)
	v_fma_f32 v29, v29, v47, -v41
	v_fmac_f32_e32 v28, v30, v47
	v_mul_f32_e32 v30, v34, v43
	s_waitcnt vmcnt(6)
	v_fma_f32 v31, v31, v48, -v42
	v_fmac_f32_e32 v55, v32, v48
	v_add_f32_e32 v29, 0, v29
	v_add_f32_e32 v28, 0, v28
	v_mul_f32_e32 v32, v36, v44
	s_waitcnt vmcnt(5)
	v_fma_f32 v30, v33, v49, -v30
	v_fmac_f32_e32 v56, v34, v49
	v_add_f32_e32 v29, v29, v31
	v_add_f32_e32 v28, v28, v55
	s_waitcnt lgkmcnt(0)
	v_mul_f32_e32 v31, v38, v45
	s_waitcnt vmcnt(4)
	v_fma_f32 v32, v35, v50, -v32
	v_mul_f32_e32 v58, v37, v45
	v_add_f32_e32 v29, v29, v30
	v_fmac_f32_e32 v57, v36, v50
	v_add_f32_e32 v28, v28, v56
	v_mul_f32_e32 v30, v40, v46
	s_waitcnt vmcnt(3)
	v_fma_f32 v31, v37, v51, -v31
	v_add_f32_e32 v29, v29, v32
	v_mul_f32_e32 v59, v39, v46
	v_fmac_f32_e32 v58, v38, v51
	v_add_f32_e32 v28, v28, v57
	s_waitcnt vmcnt(2)
	v_fma_f32 v30, v39, v52, -v30
	v_add_f32_e32 v29, v29, v31
	v_fmac_f32_e32 v59, v40, v52
	v_add_f32_e32 v28, v28, v58
	v_add_f32_e32 v29, v29, v30
	v_add_f32_e32 v28, v28, v59
	s_waitcnt vmcnt(1)
	v_sub_f32_e32 v29, v53, v29
	s_waitcnt vmcnt(0)
	v_sub_f32_e32 v28, v54, v28
	buffer_store_dword v29, off, s[0:3], 0 offset:48
	buffer_store_dword v28, off, s[0:3], 0 offset:52
	v_cmpx_lt_u32_e32 5, v0
	s_cbranch_execz .LBB76_81
; %bb.80:
	s_clause 0x1
	buffer_load_dword v28, off, s[0:3], 0 offset:40
	buffer_load_dword v29, off, s[0:3], 0 offset:44
	v_mov_b32_e32 v30, 0
	buffer_store_dword v30, off, s[0:3], 0 offset:40
	buffer_store_dword v30, off, s[0:3], 0 offset:44
	s_waitcnt vmcnt(0)
	ds_write_b64 v27, v[28:29]
.LBB76_81:
	s_or_b32 exec_lo, exec_lo, s4
	s_waitcnt lgkmcnt(0)
	s_waitcnt_vscnt null, 0x0
	s_barrier
	buffer_gl0_inv
	s_clause 0xf
	buffer_load_dword v43, off, s[0:3], 0 offset:52
	buffer_load_dword v44, off, s[0:3], 0 offset:60
	;; [unrolled: 1-line block ×16, first 2 shown]
	v_mov_b32_e32 v28, 0
	ds_read_b128 v[29:32], v28 offset:160
	ds_read_b128 v[33:36], v28 offset:176
	;; [unrolled: 1-line block ×3, first 2 shown]
	ds_read_b64 v[41:42], v28 offset:208
	s_mov_b32 s4, exec_lo
	s_waitcnt vmcnt(15) lgkmcnt(3)
	v_mul_f32_e32 v59, v29, v43
	v_mul_f32_e32 v43, v30, v43
	s_waitcnt vmcnt(14)
	v_mul_f32_e32 v60, v31, v44
	v_mul_f32_e32 v44, v32, v44
	s_waitcnt vmcnt(13) lgkmcnt(2)
	v_mul_f32_e32 v61, v33, v45
	s_waitcnt vmcnt(12)
	v_mul_f32_e32 v62, v35, v46
	s_waitcnt vmcnt(11) lgkmcnt(1)
	v_mul_f32_e32 v63, v37, v47
	s_waitcnt vmcnt(8)
	v_fma_f32 v29, v29, v50, -v43
	v_fmac_f32_e32 v59, v30, v50
	v_mul_f32_e32 v30, v34, v45
	s_waitcnt vmcnt(7)
	v_fma_f32 v31, v31, v51, -v44
	v_fmac_f32_e32 v60, v32, v51
	v_add_f32_e32 v29, 0, v29
	v_add_f32_e32 v32, 0, v59
	v_mul_f32_e32 v43, v36, v46
	s_waitcnt vmcnt(6)
	v_fma_f32 v30, v33, v52, -v30
	v_fmac_f32_e32 v61, v34, v52
	v_add_f32_e32 v29, v29, v31
	v_add_f32_e32 v31, v32, v60
	;; [unrolled: 6-line block ×3, first 2 shown]
	v_mul_f32_e32 v31, v40, v48
	s_waitcnt vmcnt(4)
	v_fma_f32 v32, v37, v54, -v32
	v_mul_f32_e32 v64, v39, v48
	v_add_f32_e32 v29, v29, v33
	v_fmac_f32_e32 v63, v38, v54
	v_add_f32_e32 v30, v30, v62
	s_waitcnt lgkmcnt(0)
	v_mul_f32_e32 v33, v42, v49
	s_waitcnt vmcnt(3)
	v_fma_f32 v31, v39, v55, -v31
	v_add_f32_e32 v29, v29, v32
	v_mul_f32_e32 v65, v41, v49
	v_fmac_f32_e32 v64, v40, v55
	v_add_f32_e32 v30, v30, v63
	s_waitcnt vmcnt(2)
	v_fma_f32 v32, v41, v56, -v33
	v_add_f32_e32 v29, v29, v31
	v_fmac_f32_e32 v65, v42, v56
	v_add_f32_e32 v30, v30, v64
	v_add_f32_e32 v29, v29, v32
	;; [unrolled: 1-line block ×3, first 2 shown]
	s_waitcnt vmcnt(1)
	v_sub_f32_e32 v29, v57, v29
	s_waitcnt vmcnt(0)
	v_sub_f32_e32 v30, v58, v30
	buffer_store_dword v29, off, s[0:3], 0 offset:40
	buffer_store_dword v30, off, s[0:3], 0 offset:44
	v_cmpx_lt_u32_e32 4, v0
	s_cbranch_execz .LBB76_83
; %bb.82:
	s_clause 0x1
	buffer_load_dword v29, off, s[0:3], 0 offset:32
	buffer_load_dword v30, off, s[0:3], 0 offset:36
	buffer_store_dword v28, off, s[0:3], 0 offset:32
	buffer_store_dword v28, off, s[0:3], 0 offset:36
	s_waitcnt vmcnt(0)
	ds_write_b64 v27, v[29:30]
.LBB76_83:
	s_or_b32 exec_lo, exec_lo, s4
	s_waitcnt lgkmcnt(0)
	s_waitcnt_vscnt null, 0x0
	s_barrier
	buffer_gl0_inv
	s_clause 0x11
	buffer_load_dword v45, off, s[0:3], 0 offset:44
	buffer_load_dword v46, off, s[0:3], 0 offset:52
	;; [unrolled: 1-line block ×18, first 2 shown]
	ds_read2_b64 v[29:32], v28 offset0:19 offset1:20
	ds_read2_b64 v[33:36], v28 offset0:21 offset1:22
	ds_read2_b64 v[37:40], v28 offset0:23 offset1:24
	ds_read2_b64 v[41:44], v28 offset0:25 offset1:26
	s_mov_b32 s4, exec_lo
	s_waitcnt vmcnt(17) lgkmcnt(3)
	v_mul_f32_e32 v28, v29, v45
	v_mul_f32_e32 v45, v30, v45
	s_waitcnt vmcnt(16)
	v_mul_f32_e32 v63, v31, v46
	v_mul_f32_e32 v46, v32, v46
	s_waitcnt vmcnt(15) lgkmcnt(2)
	v_mul_f32_e32 v64, v33, v47
	s_waitcnt vmcnt(14)
	v_mul_f32_e32 v65, v35, v48
	s_waitcnt vmcnt(13) lgkmcnt(1)
	v_mul_f32_e32 v66, v37, v49
	s_waitcnt vmcnt(12)
	v_mul_f32_e32 v67, v39, v50
	s_waitcnt vmcnt(9)
	v_fma_f32 v29, v29, v53, -v45
	v_fmac_f32_e32 v28, v30, v53
	v_mul_f32_e32 v30, v34, v47
	s_waitcnt vmcnt(8)
	v_fma_f32 v31, v31, v54, -v46
	v_fmac_f32_e32 v63, v32, v54
	v_add_f32_e32 v29, 0, v29
	v_add_f32_e32 v28, 0, v28
	v_mul_f32_e32 v32, v36, v48
	s_waitcnt vmcnt(7)
	v_fma_f32 v30, v33, v55, -v30
	v_fmac_f32_e32 v64, v34, v55
	v_add_f32_e32 v29, v29, v31
	v_add_f32_e32 v28, v28, v63
	;; [unrolled: 6-line block ×4, first 2 shown]
	s_waitcnt lgkmcnt(0)
	v_mul_f32_e32 v32, v42, v51
	s_waitcnt vmcnt(4)
	v_fma_f32 v30, v39, v58, -v30
	v_mul_f32_e32 v68, v41, v51
	v_add_f32_e32 v29, v29, v31
	v_fmac_f32_e32 v67, v40, v58
	v_add_f32_e32 v28, v28, v66
	v_mul_f32_e32 v31, v44, v52
	s_waitcnt vmcnt(3)
	v_fma_f32 v32, v41, v59, -v32
	v_add_f32_e32 v29, v29, v30
	v_mul_f32_e32 v69, v43, v52
	v_fmac_f32_e32 v68, v42, v59
	v_add_f32_e32 v28, v28, v67
	s_waitcnt vmcnt(2)
	v_fma_f32 v30, v43, v60, -v31
	v_add_f32_e32 v29, v29, v32
	v_fmac_f32_e32 v69, v44, v60
	v_add_f32_e32 v28, v28, v68
	v_add_f32_e32 v29, v29, v30
	;; [unrolled: 1-line block ×3, first 2 shown]
	s_waitcnt vmcnt(1)
	v_sub_f32_e32 v29, v61, v29
	s_waitcnt vmcnt(0)
	v_sub_f32_e32 v28, v62, v28
	buffer_store_dword v29, off, s[0:3], 0 offset:32
	buffer_store_dword v28, off, s[0:3], 0 offset:36
	v_cmpx_lt_u32_e32 3, v0
	s_cbranch_execz .LBB76_85
; %bb.84:
	s_clause 0x1
	buffer_load_dword v28, off, s[0:3], 0 offset:24
	buffer_load_dword v29, off, s[0:3], 0 offset:28
	v_mov_b32_e32 v30, 0
	buffer_store_dword v30, off, s[0:3], 0 offset:24
	buffer_store_dword v30, off, s[0:3], 0 offset:28
	s_waitcnt vmcnt(0)
	ds_write_b64 v27, v[28:29]
.LBB76_85:
	s_or_b32 exec_lo, exec_lo, s4
	s_waitcnt lgkmcnt(0)
	s_waitcnt_vscnt null, 0x0
	s_barrier
	buffer_gl0_inv
	s_clause 0x13
	buffer_load_dword v47, off, s[0:3], 0 offset:36
	buffer_load_dword v48, off, s[0:3], 0 offset:44
	buffer_load_dword v49, off, s[0:3], 0 offset:52
	buffer_load_dword v50, off, s[0:3], 0 offset:60
	buffer_load_dword v51, off, s[0:3], 0 offset:68
	buffer_load_dword v52, off, s[0:3], 0 offset:76
	buffer_load_dword v53, off, s[0:3], 0 offset:84
	buffer_load_dword v54, off, s[0:3], 0 offset:92
	buffer_load_dword v55, off, s[0:3], 0 offset:100
	buffer_load_dword v56, off, s[0:3], 0 offset:32
	buffer_load_dword v57, off, s[0:3], 0 offset:40
	buffer_load_dword v58, off, s[0:3], 0 offset:48
	buffer_load_dword v59, off, s[0:3], 0 offset:56
	buffer_load_dword v60, off, s[0:3], 0 offset:64
	buffer_load_dword v61, off, s[0:3], 0 offset:72
	buffer_load_dword v62, off, s[0:3], 0 offset:80
	buffer_load_dword v63, off, s[0:3], 0 offset:88
	buffer_load_dword v64, off, s[0:3], 0 offset:96
	buffer_load_dword v65, off, s[0:3], 0 offset:24
	buffer_load_dword v66, off, s[0:3], 0 offset:28
	v_mov_b32_e32 v28, 0
	ds_read_b128 v[29:32], v28 offset:144
	ds_read_b128 v[33:36], v28 offset:160
	;; [unrolled: 1-line block ×4, first 2 shown]
	ds_read_b64 v[45:46], v28 offset:208
	s_mov_b32 s4, exec_lo
	s_waitcnt vmcnt(19) lgkmcnt(4)
	v_mul_f32_e32 v67, v29, v47
	v_mul_f32_e32 v47, v30, v47
	s_waitcnt vmcnt(18)
	v_mul_f32_e32 v68, v31, v48
	v_mul_f32_e32 v48, v32, v48
	s_waitcnt vmcnt(17) lgkmcnt(3)
	v_mul_f32_e32 v69, v33, v49
	s_waitcnt vmcnt(16)
	v_mul_f32_e32 v70, v35, v50
	s_waitcnt vmcnt(15) lgkmcnt(2)
	v_mul_f32_e32 v71, v37, v51
	s_waitcnt vmcnt(14)
	;; [unrolled: 4-line block ×3, first 2 shown]
	v_fma_f32 v29, v29, v56, -v47
	v_fmac_f32_e32 v67, v30, v56
	v_mul_f32_e32 v30, v34, v49
	s_waitcnt vmcnt(9)
	v_fma_f32 v31, v31, v57, -v48
	v_fmac_f32_e32 v68, v32, v57
	v_add_f32_e32 v29, 0, v29
	v_add_f32_e32 v32, 0, v67
	v_mul_f32_e32 v47, v36, v50
	s_waitcnt vmcnt(8)
	v_fma_f32 v30, v33, v58, -v30
	v_fmac_f32_e32 v69, v34, v58
	v_add_f32_e32 v29, v29, v31
	v_add_f32_e32 v31, v32, v68
	;; [unrolled: 6-line block ×5, first 2 shown]
	v_mul_f32_e32 v32, v44, v54
	s_waitcnt vmcnt(4)
	v_fma_f32 v33, v41, v62, -v33
	v_mul_f32_e32 v74, v43, v54
	v_add_f32_e32 v29, v29, v31
	v_fmac_f32_e32 v73, v42, v62
	v_add_f32_e32 v30, v30, v72
	s_waitcnt lgkmcnt(0)
	v_mul_f32_e32 v31, v46, v55
	s_waitcnt vmcnt(3)
	v_fma_f32 v32, v43, v63, -v32
	v_add_f32_e32 v29, v29, v33
	v_mul_f32_e32 v75, v45, v55
	v_fmac_f32_e32 v74, v44, v63
	v_add_f32_e32 v30, v30, v73
	s_waitcnt vmcnt(2)
	v_fma_f32 v31, v45, v64, -v31
	v_add_f32_e32 v29, v29, v32
	v_fmac_f32_e32 v75, v46, v64
	v_add_f32_e32 v30, v30, v74
	v_add_f32_e32 v29, v29, v31
	;; [unrolled: 1-line block ×3, first 2 shown]
	s_waitcnt vmcnt(1)
	v_sub_f32_e32 v29, v65, v29
	s_waitcnt vmcnt(0)
	v_sub_f32_e32 v30, v66, v30
	buffer_store_dword v29, off, s[0:3], 0 offset:24
	buffer_store_dword v30, off, s[0:3], 0 offset:28
	v_cmpx_lt_u32_e32 2, v0
	s_cbranch_execz .LBB76_87
; %bb.86:
	s_clause 0x1
	buffer_load_dword v29, off, s[0:3], 0 offset:16
	buffer_load_dword v30, off, s[0:3], 0 offset:20
	buffer_store_dword v28, off, s[0:3], 0 offset:16
	buffer_store_dword v28, off, s[0:3], 0 offset:20
	s_waitcnt vmcnt(0)
	ds_write_b64 v27, v[29:30]
.LBB76_87:
	s_or_b32 exec_lo, exec_lo, s4
	s_waitcnt lgkmcnt(0)
	s_waitcnt_vscnt null, 0x0
	s_barrier
	buffer_gl0_inv
	s_clause 0x15
	buffer_load_dword v49, off, s[0:3], 0 offset:28
	buffer_load_dword v50, off, s[0:3], 0 offset:36
	;; [unrolled: 1-line block ×22, first 2 shown]
	ds_read2_b64 v[29:32], v28 offset0:17 offset1:18
	ds_read2_b64 v[33:36], v28 offset0:19 offset1:20
	;; [unrolled: 1-line block ×5, first 2 shown]
	s_mov_b32 s4, exec_lo
	s_waitcnt vmcnt(21) lgkmcnt(4)
	v_mul_f32_e32 v28, v29, v49
	v_mul_f32_e32 v49, v30, v49
	s_waitcnt vmcnt(20)
	v_mul_f32_e32 v71, v31, v50
	v_mul_f32_e32 v50, v32, v50
	s_waitcnt vmcnt(19) lgkmcnt(3)
	v_mul_f32_e32 v72, v33, v51
	s_waitcnt vmcnt(18)
	v_mul_f32_e32 v73, v35, v52
	s_waitcnt vmcnt(17) lgkmcnt(2)
	v_mul_f32_e32 v74, v37, v53
	s_waitcnt vmcnt(16)
	v_mul_f32_e32 v75, v39, v54
	s_waitcnt vmcnt(15) lgkmcnt(1)
	v_mul_f32_e32 v76, v41, v55
	s_waitcnt vmcnt(14)
	v_mul_f32_e32 v77, v43, v56
	s_waitcnt vmcnt(11)
	v_fma_f32 v29, v29, v59, -v49
	v_fmac_f32_e32 v28, v30, v59
	v_mul_f32_e32 v30, v34, v51
	s_waitcnt vmcnt(10)
	v_fma_f32 v31, v31, v60, -v50
	v_fmac_f32_e32 v71, v32, v60
	v_add_f32_e32 v29, 0, v29
	v_add_f32_e32 v28, 0, v28
	v_mul_f32_e32 v32, v36, v52
	s_waitcnt vmcnt(9)
	v_fma_f32 v30, v33, v61, -v30
	v_fmac_f32_e32 v72, v34, v61
	v_add_f32_e32 v29, v29, v31
	v_add_f32_e32 v28, v28, v71
	;; [unrolled: 6-line block ×6, first 2 shown]
	s_waitcnt lgkmcnt(0)
	v_mul_f32_e32 v30, v46, v57
	s_waitcnt vmcnt(4)
	v_fma_f32 v31, v43, v66, -v31
	v_mul_f32_e32 v78, v45, v57
	v_add_f32_e32 v29, v29, v32
	v_fmac_f32_e32 v77, v44, v66
	v_add_f32_e32 v28, v28, v76
	v_mul_f32_e32 v32, v48, v58
	s_waitcnt vmcnt(3)
	v_fma_f32 v30, v45, v67, -v30
	v_add_f32_e32 v29, v29, v31
	v_mul_f32_e32 v79, v47, v58
	v_fmac_f32_e32 v78, v46, v67
	v_add_f32_e32 v28, v28, v77
	s_waitcnt vmcnt(2)
	v_fma_f32 v31, v47, v68, -v32
	v_add_f32_e32 v29, v29, v30
	v_fmac_f32_e32 v79, v48, v68
	v_add_f32_e32 v28, v28, v78
	v_add_f32_e32 v29, v29, v31
	;; [unrolled: 1-line block ×3, first 2 shown]
	s_waitcnt vmcnt(1)
	v_sub_f32_e32 v29, v69, v29
	s_waitcnt vmcnt(0)
	v_sub_f32_e32 v28, v70, v28
	buffer_store_dword v29, off, s[0:3], 0 offset:16
	buffer_store_dword v28, off, s[0:3], 0 offset:20
	v_cmpx_lt_u32_e32 1, v0
	s_cbranch_execz .LBB76_89
; %bb.88:
	s_clause 0x1
	buffer_load_dword v28, off, s[0:3], 0 offset:8
	buffer_load_dword v29, off, s[0:3], 0 offset:12
	v_mov_b32_e32 v30, 0
	buffer_store_dword v30, off, s[0:3], 0 offset:8
	buffer_store_dword v30, off, s[0:3], 0 offset:12
	s_waitcnt vmcnt(0)
	ds_write_b64 v27, v[28:29]
.LBB76_89:
	s_or_b32 exec_lo, exec_lo, s4
	s_waitcnt lgkmcnt(0)
	s_waitcnt_vscnt null, 0x0
	s_barrier
	buffer_gl0_inv
	s_clause 0x17
	buffer_load_dword v51, off, s[0:3], 0 offset:20
	buffer_load_dword v52, off, s[0:3], 0 offset:28
	;; [unrolled: 1-line block ×24, first 2 shown]
	v_mov_b32_e32 v28, 0
	ds_read_b128 v[29:32], v28 offset:128
	ds_read_b128 v[33:36], v28 offset:144
	;; [unrolled: 1-line block ×5, first 2 shown]
	ds_read_b64 v[49:50], v28 offset:208
	s_mov_b32 s4, exec_lo
	s_waitcnt vmcnt(23) lgkmcnt(5)
	v_mul_f32_e32 v75, v29, v51
	v_mul_f32_e32 v51, v30, v51
	s_waitcnt vmcnt(22)
	v_mul_f32_e32 v76, v31, v52
	v_mul_f32_e32 v52, v32, v52
	s_waitcnt vmcnt(21) lgkmcnt(4)
	v_mul_f32_e32 v77, v33, v53
	s_waitcnt vmcnt(20)
	v_mul_f32_e32 v78, v35, v54
	s_waitcnt vmcnt(19) lgkmcnt(3)
	v_mul_f32_e32 v79, v37, v55
	s_waitcnt vmcnt(18)
	;; [unrolled: 4-line block ×4, first 2 shown]
	v_fma_f32 v29, v29, v62, -v51
	v_fmac_f32_e32 v75, v30, v62
	v_mul_f32_e32 v30, v34, v53
	s_waitcnt vmcnt(11)
	v_fma_f32 v31, v31, v63, -v52
	v_fmac_f32_e32 v76, v32, v63
	v_add_f32_e32 v29, 0, v29
	v_add_f32_e32 v32, 0, v75
	v_mul_f32_e32 v51, v36, v54
	s_waitcnt vmcnt(10)
	v_fma_f32 v30, v33, v64, -v30
	v_fmac_f32_e32 v77, v34, v64
	v_add_f32_e32 v29, v29, v31
	v_add_f32_e32 v31, v32, v76
	v_mul_f32_e32 v32, v38, v55
	s_waitcnt vmcnt(9)
	v_fma_f32 v33, v35, v65, -v51
	v_fmac_f32_e32 v78, v36, v65
	v_add_f32_e32 v29, v29, v30
	v_add_f32_e32 v30, v31, v77
	v_mul_f32_e32 v31, v40, v56
	s_waitcnt vmcnt(8)
	v_fma_f32 v32, v37, v66, -v32
	v_fmac_f32_e32 v79, v38, v66
	v_add_f32_e32 v29, v29, v33
	v_add_f32_e32 v30, v30, v78
	v_mul_f32_e32 v33, v42, v57
	s_waitcnt vmcnt(7)
	v_fma_f32 v31, v39, v67, -v31
	v_fmac_f32_e32 v80, v40, v67
	v_add_f32_e32 v29, v29, v32
	v_add_f32_e32 v30, v30, v79
	v_mul_f32_e32 v32, v44, v58
	s_waitcnt vmcnt(6)
	v_fma_f32 v33, v41, v68, -v33
	v_fmac_f32_e32 v81, v42, v68
	v_add_f32_e32 v29, v29, v31
	v_add_f32_e32 v30, v30, v80
	v_mul_f32_e32 v31, v46, v59
	s_waitcnt vmcnt(5)
	v_fma_f32 v32, v43, v69, -v32
	v_fmac_f32_e32 v82, v44, v69
	v_add_f32_e32 v29, v29, v33
	v_add_f32_e32 v30, v30, v81
	v_mul_f32_e32 v33, v48, v60
	s_waitcnt vmcnt(4)
	v_fma_f32 v31, v45, v70, -v31
	v_mul_f32_e32 v84, v47, v60
	v_add_f32_e32 v29, v29, v32
	v_fmac_f32_e32 v83, v46, v70
	v_add_f32_e32 v30, v30, v82
	s_waitcnt lgkmcnt(0)
	v_mul_f32_e32 v32, v50, v61
	s_waitcnt vmcnt(3)
	v_fma_f32 v33, v47, v71, -v33
	v_add_f32_e32 v29, v29, v31
	v_mul_f32_e32 v85, v49, v61
	v_fmac_f32_e32 v84, v48, v71
	v_add_f32_e32 v30, v30, v83
	s_waitcnt vmcnt(2)
	v_fma_f32 v31, v49, v72, -v32
	v_add_f32_e32 v29, v29, v33
	v_fmac_f32_e32 v85, v50, v72
	v_add_f32_e32 v30, v30, v84
	v_add_f32_e32 v29, v29, v31
	;; [unrolled: 1-line block ×3, first 2 shown]
	s_waitcnt vmcnt(1)
	v_sub_f32_e32 v29, v73, v29
	s_waitcnt vmcnt(0)
	v_sub_f32_e32 v30, v74, v30
	buffer_store_dword v29, off, s[0:3], 0 offset:8
	buffer_store_dword v30, off, s[0:3], 0 offset:12
	v_cmpx_ne_u32_e32 0, v0
	s_cbranch_execz .LBB76_91
; %bb.90:
	s_clause 0x1
	buffer_load_dword v29, off, s[0:3], 0
	buffer_load_dword v30, off, s[0:3], 0 offset:4
	buffer_store_dword v28, off, s[0:3], 0
	buffer_store_dword v28, off, s[0:3], 0 offset:4
	s_waitcnt vmcnt(0)
	ds_write_b64 v27, v[29:30]
.LBB76_91:
	s_or_b32 exec_lo, exec_lo, s4
	s_waitcnt lgkmcnt(0)
	s_waitcnt_vscnt null, 0x0
	s_barrier
	buffer_gl0_inv
	s_clause 0x19
	buffer_load_dword v53, off, s[0:3], 0 offset:12
	buffer_load_dword v54, off, s[0:3], 0 offset:20
	;; [unrolled: 1-line block ×24, first 2 shown]
	buffer_load_dword v75, off, s[0:3], 0
	buffer_load_dword v76, off, s[0:3], 0 offset:4
	ds_read2_b64 v[29:32], v28 offset0:15 offset1:16
	ds_read2_b64 v[33:36], v28 offset0:17 offset1:18
	;; [unrolled: 1-line block ×6, first 2 shown]
	s_and_b32 vcc_lo, exec_lo, s16
	s_waitcnt vmcnt(25) lgkmcnt(5)
	v_mul_f32_e32 v28, v29, v53
	v_mul_f32_e32 v53, v30, v53
	s_waitcnt vmcnt(24)
	v_mul_f32_e32 v77, v31, v54
	v_mul_f32_e32 v54, v32, v54
	s_waitcnt vmcnt(23) lgkmcnt(4)
	v_mul_f32_e32 v78, v33, v55
	s_waitcnt vmcnt(22)
	v_mul_f32_e32 v79, v35, v56
	s_waitcnt vmcnt(21) lgkmcnt(3)
	v_mul_f32_e32 v80, v37, v57
	s_waitcnt vmcnt(20)
	;; [unrolled: 4-line block ×4, first 2 shown]
	v_mul_f32_e32 v85, v47, v62
	s_waitcnt vmcnt(13)
	v_fma_f32 v29, v29, v64, -v53
	v_fmac_f32_e32 v28, v30, v64
	v_mul_f32_e32 v30, v34, v55
	s_waitcnt vmcnt(12)
	v_fma_f32 v31, v31, v65, -v54
	v_fmac_f32_e32 v77, v32, v65
	v_add_f32_e32 v29, 0, v29
	v_add_f32_e32 v28, 0, v28
	v_mul_f32_e32 v32, v36, v56
	s_waitcnt vmcnt(11)
	v_fma_f32 v30, v33, v66, -v30
	v_fmac_f32_e32 v78, v34, v66
	v_add_f32_e32 v29, v29, v31
	v_add_f32_e32 v28, v28, v77
	;; [unrolled: 6-line block ×8, first 2 shown]
	s_waitcnt lgkmcnt(0)
	v_mul_f32_e32 v31, v50, v0
	s_waitcnt vmcnt(4)
	v_fma_f32 v32, v47, v73, -v32
	v_mul_f32_e32 v86, v49, v0
	v_add_f32_e32 v29, v29, v30
	v_fmac_f32_e32 v85, v48, v73
	v_add_f32_e32 v28, v28, v84
	v_mul_f32_e32 v30, v52, v63
	s_waitcnt vmcnt(3)
	v_fma_f32 v31, v49, v27, -v31
	v_add_f32_e32 v29, v29, v32
	v_mul_f32_e32 v87, v51, v63
	v_fmac_f32_e32 v86, v50, v27
	v_add_f32_e32 v28, v28, v85
	s_waitcnt vmcnt(2)
	v_fma_f32 v30, v51, v74, -v30
	v_add_f32_e32 v29, v29, v31
	v_fmac_f32_e32 v87, v52, v74
	v_add_f32_e32 v28, v28, v86
	v_add_f32_e32 v29, v29, v30
	;; [unrolled: 1-line block ×3, first 2 shown]
	s_waitcnt vmcnt(1)
	v_sub_f32_e32 v29, v75, v29
	s_waitcnt vmcnt(0)
	v_sub_f32_e32 v28, v76, v28
	buffer_store_dword v29, off, s[0:3], 0
	buffer_store_dword v28, off, s[0:3], 0 offset:4
	s_cbranch_vccz .LBB76_116
; %bb.92:
	v_mov_b32_e32 v28, 0
	global_load_dword v29, v28, s[12:13] offset:44
	s_waitcnt vmcnt(0)
	v_add_nc_u32_e32 v29, -1, v29
	v_cmp_ne_u32_e32 vcc_lo, 11, v29
	s_cbranch_vccz .LBB76_94
; %bb.93:
	v_lshlrev_b32_e32 v29, 3, v29
	s_clause 0x1
	buffer_load_dword v30, v29, s[0:3], 0 offen
	buffer_load_dword v31, v29, s[0:3], 0 offen offset:4
	s_waitcnt vmcnt(1)
	buffer_store_dword v30, off, s[0:3], 0 offset:88
	s_waitcnt vmcnt(0)
	buffer_store_dword v31, off, s[0:3], 0 offset:92
	buffer_store_dword v27, v29, s[0:3], 0 offen
	buffer_store_dword v0, v29, s[0:3], 0 offen offset:4
.LBB76_94:
	global_load_dword v0, v28, s[12:13] offset:40
	s_waitcnt vmcnt(0)
	v_add_nc_u32_e32 v0, -1, v0
	v_cmp_eq_u32_e32 vcc_lo, 10, v0
	s_cbranch_vccnz .LBB76_96
; %bb.95:
	v_lshlrev_b32_e32 v0, 3, v0
	s_clause 0x3
	buffer_load_dword v27, v0, s[0:3], 0 offen
	buffer_load_dword v28, v0, s[0:3], 0 offen offset:4
	buffer_load_dword v29, off, s[0:3], 0 offset:84
	buffer_load_dword v30, off, s[0:3], 0 offset:80
	s_waitcnt vmcnt(3)
	buffer_store_dword v27, off, s[0:3], 0 offset:80
	s_waitcnt vmcnt(2)
	buffer_store_dword v28, off, s[0:3], 0 offset:84
	s_waitcnt vmcnt(1)
	buffer_store_dword v29, v0, s[0:3], 0 offen offset:4
	s_waitcnt vmcnt(0)
	buffer_store_dword v30, v0, s[0:3], 0 offen
.LBB76_96:
	v_mov_b32_e32 v0, 0
	global_load_dword v27, v0, s[12:13] offset:36
	s_waitcnt vmcnt(0)
	v_add_nc_u32_e32 v27, -1, v27
	v_cmp_eq_u32_e32 vcc_lo, 9, v27
	s_cbranch_vccnz .LBB76_98
; %bb.97:
	v_lshlrev_b32_e32 v27, 3, v27
	s_clause 0x3
	buffer_load_dword v28, v27, s[0:3], 0 offen
	buffer_load_dword v29, v27, s[0:3], 0 offen offset:4
	buffer_load_dword v30, off, s[0:3], 0 offset:72
	buffer_load_dword v31, off, s[0:3], 0 offset:76
	s_waitcnt vmcnt(3)
	buffer_store_dword v28, off, s[0:3], 0 offset:72
	s_waitcnt vmcnt(2)
	buffer_store_dword v29, off, s[0:3], 0 offset:76
	s_waitcnt vmcnt(1)
	buffer_store_dword v30, v27, s[0:3], 0 offen
	s_waitcnt vmcnt(0)
	buffer_store_dword v31, v27, s[0:3], 0 offen offset:4
.LBB76_98:
	global_load_dword v0, v0, s[12:13] offset:32
	s_waitcnt vmcnt(0)
	v_add_nc_u32_e32 v0, -1, v0
	v_cmp_eq_u32_e32 vcc_lo, 8, v0
	s_cbranch_vccnz .LBB76_100
; %bb.99:
	v_lshlrev_b32_e32 v0, 3, v0
	s_clause 0x3
	buffer_load_dword v27, v0, s[0:3], 0 offen
	buffer_load_dword v28, v0, s[0:3], 0 offen offset:4
	buffer_load_dword v29, off, s[0:3], 0 offset:68
	buffer_load_dword v30, off, s[0:3], 0 offset:64
	s_waitcnt vmcnt(3)
	buffer_store_dword v27, off, s[0:3], 0 offset:64
	s_waitcnt vmcnt(2)
	buffer_store_dword v28, off, s[0:3], 0 offset:68
	s_waitcnt vmcnt(1)
	buffer_store_dword v29, v0, s[0:3], 0 offen offset:4
	s_waitcnt vmcnt(0)
	buffer_store_dword v30, v0, s[0:3], 0 offen
.LBB76_100:
	v_mov_b32_e32 v0, 0
	global_load_dword v27, v0, s[12:13] offset:28
	s_waitcnt vmcnt(0)
	v_add_nc_u32_e32 v27, -1, v27
	v_cmp_eq_u32_e32 vcc_lo, 7, v27
	s_cbranch_vccnz .LBB76_102
; %bb.101:
	v_lshlrev_b32_e32 v27, 3, v27
	s_clause 0x3
	buffer_load_dword v28, v27, s[0:3], 0 offen
	buffer_load_dword v29, v27, s[0:3], 0 offen offset:4
	buffer_load_dword v30, off, s[0:3], 0 offset:56
	buffer_load_dword v31, off, s[0:3], 0 offset:60
	s_waitcnt vmcnt(3)
	buffer_store_dword v28, off, s[0:3], 0 offset:56
	s_waitcnt vmcnt(2)
	buffer_store_dword v29, off, s[0:3], 0 offset:60
	s_waitcnt vmcnt(1)
	buffer_store_dword v30, v27, s[0:3], 0 offen
	s_waitcnt vmcnt(0)
	buffer_store_dword v31, v27, s[0:3], 0 offen offset:4
.LBB76_102:
	;; [unrolled: 43-line block ×5, first 2 shown]
	global_load_dword v0, v0, s[12:13]
	s_waitcnt vmcnt(0)
	v_add_nc_u32_e32 v0, -1, v0
	v_cmp_eq_u32_e32 vcc_lo, 0, v0
	s_cbranch_vccnz .LBB76_116
; %bb.115:
	v_lshlrev_b32_e32 v0, 3, v0
	s_clause 0x3
	buffer_load_dword v27, v0, s[0:3], 0 offen
	buffer_load_dword v28, v0, s[0:3], 0 offen offset:4
	buffer_load_dword v29, off, s[0:3], 0 offset:4
	buffer_load_dword v30, off, s[0:3], 0
	s_waitcnt vmcnt(3)
	buffer_store_dword v27, off, s[0:3], 0
	s_waitcnt vmcnt(2)
	buffer_store_dword v28, off, s[0:3], 0 offset:4
	s_waitcnt vmcnt(1)
	buffer_store_dword v29, v0, s[0:3], 0 offen offset:4
	s_waitcnt vmcnt(0)
	buffer_store_dword v30, v0, s[0:3], 0 offen
.LBB76_116:
	s_clause 0x1
	buffer_load_dword v27, off, s[0:3], 0
	buffer_load_dword v28, off, s[0:3], 0 offset:4
	s_waitcnt vmcnt(0)
	flat_store_dwordx2 v[1:2], v[27:28]
	s_clause 0x1
	buffer_load_dword v0, off, s[0:3], 0 offset:8
	buffer_load_dword v1, off, s[0:3], 0 offset:12
	s_waitcnt vmcnt(0)
	flat_store_dwordx2 v[3:4], v[0:1]
	s_clause 0x1
	buffer_load_dword v0, off, s[0:3], 0 offset:16
	;; [unrolled: 5-line block ×12, first 2 shown]
	buffer_load_dword v1, off, s[0:3], 0 offset:100
	s_waitcnt vmcnt(0)
	flat_store_dwordx2 v[25:26], v[0:1]
	s_endpgm
	.section	.rodata,"a",@progbits
	.p2align	6, 0x0
	.amdhsa_kernel _ZN9rocsolver6v33100L18getri_kernel_smallILi13E19rocblas_complex_numIfEPKPS3_EEvT1_iilPiilS8_bb
		.amdhsa_group_segment_fixed_size 216
		.amdhsa_private_segment_fixed_size 112
		.amdhsa_kernarg_size 60
		.amdhsa_user_sgpr_count 6
		.amdhsa_user_sgpr_private_segment_buffer 1
		.amdhsa_user_sgpr_dispatch_ptr 0
		.amdhsa_user_sgpr_queue_ptr 0
		.amdhsa_user_sgpr_kernarg_segment_ptr 1
		.amdhsa_user_sgpr_dispatch_id 0
		.amdhsa_user_sgpr_flat_scratch_init 0
		.amdhsa_user_sgpr_private_segment_size 0
		.amdhsa_wavefront_size32 1
		.amdhsa_uses_dynamic_stack 0
		.amdhsa_system_sgpr_private_segment_wavefront_offset 1
		.amdhsa_system_sgpr_workgroup_id_x 1
		.amdhsa_system_sgpr_workgroup_id_y 0
		.amdhsa_system_sgpr_workgroup_id_z 0
		.amdhsa_system_sgpr_workgroup_info 0
		.amdhsa_system_vgpr_workitem_id 0
		.amdhsa_next_free_vgpr 88
		.amdhsa_next_free_sgpr 20
		.amdhsa_reserve_vcc 1
		.amdhsa_reserve_flat_scratch 0
		.amdhsa_float_round_mode_32 0
		.amdhsa_float_round_mode_16_64 0
		.amdhsa_float_denorm_mode_32 3
		.amdhsa_float_denorm_mode_16_64 3
		.amdhsa_dx10_clamp 1
		.amdhsa_ieee_mode 1
		.amdhsa_fp16_overflow 0
		.amdhsa_workgroup_processor_mode 1
		.amdhsa_memory_ordered 1
		.amdhsa_forward_progress 1
		.amdhsa_shared_vgpr_count 0
		.amdhsa_exception_fp_ieee_invalid_op 0
		.amdhsa_exception_fp_denorm_src 0
		.amdhsa_exception_fp_ieee_div_zero 0
		.amdhsa_exception_fp_ieee_overflow 0
		.amdhsa_exception_fp_ieee_underflow 0
		.amdhsa_exception_fp_ieee_inexact 0
		.amdhsa_exception_int_div_zero 0
	.end_amdhsa_kernel
	.section	.text._ZN9rocsolver6v33100L18getri_kernel_smallILi13E19rocblas_complex_numIfEPKPS3_EEvT1_iilPiilS8_bb,"axG",@progbits,_ZN9rocsolver6v33100L18getri_kernel_smallILi13E19rocblas_complex_numIfEPKPS3_EEvT1_iilPiilS8_bb,comdat
.Lfunc_end76:
	.size	_ZN9rocsolver6v33100L18getri_kernel_smallILi13E19rocblas_complex_numIfEPKPS3_EEvT1_iilPiilS8_bb, .Lfunc_end76-_ZN9rocsolver6v33100L18getri_kernel_smallILi13E19rocblas_complex_numIfEPKPS3_EEvT1_iilPiilS8_bb
                                        ; -- End function
	.set _ZN9rocsolver6v33100L18getri_kernel_smallILi13E19rocblas_complex_numIfEPKPS3_EEvT1_iilPiilS8_bb.num_vgpr, 88
	.set _ZN9rocsolver6v33100L18getri_kernel_smallILi13E19rocblas_complex_numIfEPKPS3_EEvT1_iilPiilS8_bb.num_agpr, 0
	.set _ZN9rocsolver6v33100L18getri_kernel_smallILi13E19rocblas_complex_numIfEPKPS3_EEvT1_iilPiilS8_bb.numbered_sgpr, 20
	.set _ZN9rocsolver6v33100L18getri_kernel_smallILi13E19rocblas_complex_numIfEPKPS3_EEvT1_iilPiilS8_bb.num_named_barrier, 0
	.set _ZN9rocsolver6v33100L18getri_kernel_smallILi13E19rocblas_complex_numIfEPKPS3_EEvT1_iilPiilS8_bb.private_seg_size, 112
	.set _ZN9rocsolver6v33100L18getri_kernel_smallILi13E19rocblas_complex_numIfEPKPS3_EEvT1_iilPiilS8_bb.uses_vcc, 1
	.set _ZN9rocsolver6v33100L18getri_kernel_smallILi13E19rocblas_complex_numIfEPKPS3_EEvT1_iilPiilS8_bb.uses_flat_scratch, 0
	.set _ZN9rocsolver6v33100L18getri_kernel_smallILi13E19rocblas_complex_numIfEPKPS3_EEvT1_iilPiilS8_bb.has_dyn_sized_stack, 0
	.set _ZN9rocsolver6v33100L18getri_kernel_smallILi13E19rocblas_complex_numIfEPKPS3_EEvT1_iilPiilS8_bb.has_recursion, 0
	.set _ZN9rocsolver6v33100L18getri_kernel_smallILi13E19rocblas_complex_numIfEPKPS3_EEvT1_iilPiilS8_bb.has_indirect_call, 0
	.section	.AMDGPU.csdata,"",@progbits
; Kernel info:
; codeLenInByte = 12648
; TotalNumSgprs: 22
; NumVgprs: 88
; ScratchSize: 112
; MemoryBound: 0
; FloatMode: 240
; IeeeMode: 1
; LDSByteSize: 216 bytes/workgroup (compile time only)
; SGPRBlocks: 0
; VGPRBlocks: 10
; NumSGPRsForWavesPerEU: 22
; NumVGPRsForWavesPerEU: 88
; Occupancy: 10
; WaveLimiterHint : 1
; COMPUTE_PGM_RSRC2:SCRATCH_EN: 1
; COMPUTE_PGM_RSRC2:USER_SGPR: 6
; COMPUTE_PGM_RSRC2:TRAP_HANDLER: 0
; COMPUTE_PGM_RSRC2:TGID_X_EN: 1
; COMPUTE_PGM_RSRC2:TGID_Y_EN: 0
; COMPUTE_PGM_RSRC2:TGID_Z_EN: 0
; COMPUTE_PGM_RSRC2:TIDIG_COMP_CNT: 0
	.section	.text._ZN9rocsolver6v33100L18getri_kernel_smallILi14E19rocblas_complex_numIfEPKPS3_EEvT1_iilPiilS8_bb,"axG",@progbits,_ZN9rocsolver6v33100L18getri_kernel_smallILi14E19rocblas_complex_numIfEPKPS3_EEvT1_iilPiilS8_bb,comdat
	.globl	_ZN9rocsolver6v33100L18getri_kernel_smallILi14E19rocblas_complex_numIfEPKPS3_EEvT1_iilPiilS8_bb ; -- Begin function _ZN9rocsolver6v33100L18getri_kernel_smallILi14E19rocblas_complex_numIfEPKPS3_EEvT1_iilPiilS8_bb
	.p2align	8
	.type	_ZN9rocsolver6v33100L18getri_kernel_smallILi14E19rocblas_complex_numIfEPKPS3_EEvT1_iilPiilS8_bb,@function
_ZN9rocsolver6v33100L18getri_kernel_smallILi14E19rocblas_complex_numIfEPKPS3_EEvT1_iilPiilS8_bb: ; @_ZN9rocsolver6v33100L18getri_kernel_smallILi14E19rocblas_complex_numIfEPKPS3_EEvT1_iilPiilS8_bb
; %bb.0:
	s_add_u32 s0, s0, s7
	s_addc_u32 s1, s1, 0
	s_mov_b32 s7, exec_lo
	v_cmpx_gt_u32_e32 14, v0
	s_cbranch_execz .LBB77_70
; %bb.1:
	s_clause 0x2
	s_load_dword s17, s[4:5], 0x38
	s_load_dwordx2 s[12:13], s[4:5], 0x0
	s_load_dwordx4 s[8:11], s[4:5], 0x28
	s_waitcnt lgkmcnt(0)
	s_bitcmp1_b32 s17, 8
	s_cselect_b32 s16, -1, 0
	s_ashr_i32 s7, s6, 31
	s_lshl_b64 s[14:15], s[6:7], 3
	s_add_u32 s12, s12, s14
	s_addc_u32 s13, s13, s15
	s_load_dwordx2 s[14:15], s[12:13], 0x0
	s_bfe_u32 s12, s17, 0x10008
	s_cmp_eq_u32 s12, 0
                                        ; implicit-def: $sgpr12_sgpr13
	s_cbranch_scc1 .LBB77_3
; %bb.2:
	s_clause 0x1
	s_load_dword s12, s[4:5], 0x20
	s_load_dwordx2 s[18:19], s[4:5], 0x18
	s_mul_i32 s13, s8, s7
	s_mul_hi_u32 s17, s8, s6
	s_mul_i32 s9, s9, s6
	s_add_i32 s13, s17, s13
	s_mul_i32 s8, s8, s6
	s_add_i32 s9, s13, s9
	s_lshl_b64 s[8:9], s[8:9], 2
	s_waitcnt lgkmcnt(0)
	s_ashr_i32 s13, s12, 31
	s_add_u32 s17, s18, s8
	s_addc_u32 s18, s19, s9
	s_lshl_b64 s[8:9], s[12:13], 2
	s_add_u32 s12, s17, s8
	s_addc_u32 s13, s18, s9
.LBB77_3:
	s_clause 0x1
	s_load_dwordx2 s[8:9], s[4:5], 0x8
	s_load_dword s17, s[4:5], 0x38
	v_lshlrev_b32_e32 v31, 3, v0
	s_waitcnt lgkmcnt(0)
	s_ashr_i32 s5, s8, 31
	s_mov_b32 s4, s8
	v_add3_u32 v9, s9, s9, v0
	s_lshl_b64 s[4:5], s[4:5], 3
	s_add_u32 s8, s14, s4
	s_addc_u32 s14, s15, s5
	v_add_co_u32 v1, s4, s8, v31
	v_add_co_ci_u32_e64 v2, null, s14, 0, s4
	s_mov_b32 s4, s9
	s_ashr_i32 s5, s9, 31
	v_ashrrev_i32_e32 v10, 31, v9
	flat_load_dwordx2 v[5:6], v[1:2]
	s_lshl_b64 s[4:5], s[4:5], 3
	v_add_nc_u32_e32 v12, s9, v9
	v_add_co_u32 v3, vcc_lo, v1, s4
	v_add_co_ci_u32_e64 v4, null, s5, v2, vcc_lo
	v_ashrrev_i32_e32 v13, 31, v12
	s_mov_b32 s5, -1
	s_bitcmp0_b32 s17, 0
	s_waitcnt vmcnt(0) lgkmcnt(0)
	buffer_store_dword v6, off, s[0:3], 0 offset:4
	buffer_store_dword v5, off, s[0:3], 0
	flat_load_dwordx2 v[7:8], v[3:4]
	v_lshlrev_b64 v[5:6], 3, v[9:10]
	s_waitcnt vmcnt(0) lgkmcnt(0)
	buffer_store_dword v8, off, s[0:3], 0 offset:12
	buffer_store_dword v7, off, s[0:3], 0 offset:8
	v_add_co_u32 v5, vcc_lo, s8, v5
	v_add_co_ci_u32_e64 v6, null, s14, v6, vcc_lo
	v_lshlrev_b64 v[7:8], 3, v[12:13]
	flat_load_dwordx2 v[10:11], v[5:6]
	s_waitcnt vmcnt(0) lgkmcnt(0)
	buffer_store_dword v11, off, s[0:3], 0 offset:20
	buffer_store_dword v10, off, s[0:3], 0 offset:16
	v_add_co_u32 v7, vcc_lo, s8, v7
	v_add_co_ci_u32_e64 v8, null, s14, v8, vcc_lo
	v_add_nc_u32_e32 v11, s9, v12
	flat_load_dwordx2 v[13:14], v[7:8]
	s_waitcnt vmcnt(0) lgkmcnt(0)
	buffer_store_dword v14, off, s[0:3], 0 offset:28
	buffer_store_dword v13, off, s[0:3], 0 offset:24
	v_ashrrev_i32_e32 v12, 31, v11
	v_add_nc_u32_e32 v15, s9, v11
	v_lshlrev_b64 v[9:10], 3, v[11:12]
	v_ashrrev_i32_e32 v16, 31, v15
	v_add_nc_u32_e32 v18, s9, v15
	v_add_co_u32 v9, vcc_lo, s8, v9
	v_add_co_ci_u32_e64 v10, null, s14, v10, vcc_lo
	v_lshlrev_b64 v[11:12], 3, v[15:16]
	v_ashrrev_i32_e32 v19, 31, v18
	flat_load_dwordx2 v[13:14], v[9:10]
	s_waitcnt vmcnt(0) lgkmcnt(0)
	buffer_store_dword v14, off, s[0:3], 0 offset:36
	buffer_store_dword v13, off, s[0:3], 0 offset:32
	v_add_co_u32 v11, vcc_lo, s8, v11
	v_add_co_ci_u32_e64 v12, null, s14, v12, vcc_lo
	v_lshlrev_b64 v[13:14], 3, v[18:19]
	flat_load_dwordx2 v[16:17], v[11:12]
	s_waitcnt vmcnt(0) lgkmcnt(0)
	buffer_store_dword v17, off, s[0:3], 0 offset:44
	buffer_store_dword v16, off, s[0:3], 0 offset:40
	v_add_co_u32 v13, vcc_lo, s8, v13
	v_add_co_ci_u32_e64 v14, null, s14, v14, vcc_lo
	v_add_nc_u32_e32 v17, s9, v18
	flat_load_dwordx2 v[19:20], v[13:14]
	s_waitcnt vmcnt(0) lgkmcnt(0)
	buffer_store_dword v20, off, s[0:3], 0 offset:52
	buffer_store_dword v19, off, s[0:3], 0 offset:48
	v_ashrrev_i32_e32 v18, 31, v17
	v_add_nc_u32_e32 v21, s9, v17
	v_lshlrev_b64 v[15:16], 3, v[17:18]
	v_ashrrev_i32_e32 v22, 31, v21
	v_add_nc_u32_e32 v24, s9, v21
	v_add_co_u32 v15, vcc_lo, s8, v15
	v_add_co_ci_u32_e64 v16, null, s14, v16, vcc_lo
	v_lshlrev_b64 v[17:18], 3, v[21:22]
	v_ashrrev_i32_e32 v25, 31, v24
	flat_load_dwordx2 v[19:20], v[15:16]
	s_waitcnt vmcnt(0) lgkmcnt(0)
	buffer_store_dword v20, off, s[0:3], 0 offset:60
	buffer_store_dword v19, off, s[0:3], 0 offset:56
	v_add_co_u32 v17, vcc_lo, s8, v17
	v_add_co_ci_u32_e64 v18, null, s14, v18, vcc_lo
	v_lshlrev_b64 v[19:20], 3, v[24:25]
	flat_load_dwordx2 v[22:23], v[17:18]
	s_waitcnt vmcnt(0) lgkmcnt(0)
	buffer_store_dword v23, off, s[0:3], 0 offset:68
	buffer_store_dword v22, off, s[0:3], 0 offset:64
	v_add_co_u32 v19, vcc_lo, s8, v19
	v_add_co_ci_u32_e64 v20, null, s14, v20, vcc_lo
	v_add_nc_u32_e32 v23, s9, v24
	flat_load_dwordx2 v[25:26], v[19:20]
	s_waitcnt vmcnt(0) lgkmcnt(0)
	buffer_store_dword v26, off, s[0:3], 0 offset:76
	buffer_store_dword v25, off, s[0:3], 0 offset:72
	v_ashrrev_i32_e32 v24, 31, v23
	v_add_nc_u32_e32 v27, s9, v23
	v_lshlrev_b64 v[21:22], 3, v[23:24]
	v_ashrrev_i32_e32 v28, 31, v27
	v_add_nc_u32_e32 v32, s9, v27
	v_add_co_u32 v21, vcc_lo, s8, v21
	v_add_co_ci_u32_e64 v22, null, s14, v22, vcc_lo
	v_lshlrev_b64 v[23:24], 3, v[27:28]
	v_ashrrev_i32_e32 v33, 31, v32
	v_add_nc_u32_e32 v27, s9, v32
	flat_load_dwordx2 v[25:26], v[21:22]
	s_waitcnt vmcnt(0) lgkmcnt(0)
	buffer_store_dword v26, off, s[0:3], 0 offset:84
	buffer_store_dword v25, off, s[0:3], 0 offset:80
	v_add_co_u32 v23, vcc_lo, s8, v23
	v_add_co_ci_u32_e64 v24, null, s14, v24, vcc_lo
	v_lshlrev_b64 v[25:26], 3, v[32:33]
	flat_load_dwordx2 v[28:29], v[23:24]
	s_waitcnt vmcnt(0) lgkmcnt(0)
	buffer_store_dword v29, off, s[0:3], 0 offset:92
	buffer_store_dword v28, off, s[0:3], 0 offset:88
	v_add_co_u32 v25, vcc_lo, s8, v25
	v_add_co_ci_u32_e64 v26, null, s14, v26, vcc_lo
	v_ashrrev_i32_e32 v28, 31, v27
	flat_load_dwordx2 v[29:30], v[25:26]
	s_waitcnt vmcnt(0) lgkmcnt(0)
	buffer_store_dword v30, off, s[0:3], 0 offset:100
	buffer_store_dword v29, off, s[0:3], 0 offset:96
	v_lshlrev_b64 v[27:28], 3, v[27:28]
	v_add_co_u32 v27, vcc_lo, s8, v27
	v_add_co_ci_u32_e64 v28, null, s14, v28, vcc_lo
	flat_load_dwordx2 v[29:30], v[27:28]
	s_waitcnt vmcnt(0) lgkmcnt(0)
	buffer_store_dword v30, off, s[0:3], 0 offset:108
	buffer_store_dword v29, off, s[0:3], 0 offset:104
	s_cbranch_scc1 .LBB77_68
; %bb.4:
	v_cmp_eq_u32_e64 s4, 0, v0
	s_and_saveexec_b32 s5, s4
; %bb.5:
	v_mov_b32_e32 v29, 0
	ds_write_b32 v29, v29 offset:224
; %bb.6:
	s_or_b32 exec_lo, exec_lo, s5
	v_lshl_add_u32 v33, v0, 3, 0
	s_waitcnt lgkmcnt(0)
	s_waitcnt_vscnt null, 0x0
	s_barrier
	buffer_gl0_inv
	s_clause 0x1
	buffer_load_dword v29, v33, s[0:3], 0 offen
	buffer_load_dword v30, v33, s[0:3], 0 offen offset:4
	s_waitcnt vmcnt(1)
	v_cmp_eq_f32_e32 vcc_lo, 0, v29
	s_waitcnt vmcnt(0)
	v_cmp_eq_f32_e64 s5, 0, v30
	s_and_b32 s5, vcc_lo, s5
	s_and_saveexec_b32 s8, s5
	s_cbranch_execz .LBB77_10
; %bb.7:
	v_mov_b32_e32 v29, 0
	s_mov_b32 s9, 0
	ds_read_b32 v30, v29 offset:224
	s_waitcnt lgkmcnt(0)
	v_readfirstlane_b32 s5, v30
	v_add_nc_u32_e32 v30, 1, v0
	s_cmp_eq_u32 s5, 0
	v_cmp_gt_i32_e32 vcc_lo, s5, v30
	s_cselect_b32 s14, -1, 0
	s_or_b32 s14, s14, vcc_lo
	s_and_b32 exec_lo, exec_lo, s14
	s_cbranch_execz .LBB77_10
; %bb.8:
	v_mov_b32_e32 v32, s5
.LBB77_9:                               ; =>This Inner Loop Header: Depth=1
	ds_cmpst_rtn_b32 v32, v29, v32, v30 offset:224
	s_waitcnt lgkmcnt(0)
	v_cmp_ne_u32_e32 vcc_lo, 0, v32
	v_cmp_le_i32_e64 s5, v32, v30
	s_and_b32 s5, vcc_lo, s5
	s_and_b32 s5, exec_lo, s5
	s_or_b32 s9, s5, s9
	s_andn2_b32 exec_lo, exec_lo, s9
	s_cbranch_execnz .LBB77_9
.LBB77_10:
	s_or_b32 exec_lo, exec_lo, s8
	v_mov_b32_e32 v29, 0
	s_barrier
	buffer_gl0_inv
	ds_read_b32 v30, v29 offset:224
	s_and_saveexec_b32 s5, s4
	s_cbranch_execz .LBB77_12
; %bb.11:
	s_lshl_b64 s[8:9], s[6:7], 2
	s_add_u32 s8, s10, s8
	s_addc_u32 s9, s11, s9
	s_waitcnt lgkmcnt(0)
	global_store_dword v29, v30, s[8:9]
.LBB77_12:
	s_or_b32 exec_lo, exec_lo, s5
	s_waitcnt lgkmcnt(0)
	v_cmp_ne_u32_e32 vcc_lo, 0, v30
	s_mov_b32 s5, 0
	s_cbranch_vccnz .LBB77_68
; %bb.13:
	s_clause 0x1
	buffer_load_dword v30, v33, s[0:3], 0 offen
	buffer_load_dword v32, v33, s[0:3], 0 offen offset:4
                                        ; implicit-def: $vgpr35
                                        ; implicit-def: $vgpr34
                                        ; implicit-def: $vgpr29
	s_waitcnt vmcnt(0)
	v_cmp_ngt_f32_e64 s5, |v30|, |v32|
	s_and_saveexec_b32 s8, s5
	s_xor_b32 s5, exec_lo, s8
	s_cbranch_execz .LBB77_15
; %bb.14:
	v_div_scale_f32 v29, null, v32, v32, v30
	v_div_scale_f32 v36, vcc_lo, v30, v32, v30
	v_rcp_f32_e32 v34, v29
	v_fma_f32 v35, -v29, v34, 1.0
	v_fmac_f32_e32 v34, v35, v34
	v_mul_f32_e32 v35, v36, v34
	v_fma_f32 v37, -v29, v35, v36
	v_fmac_f32_e32 v35, v37, v34
	v_fma_f32 v29, -v29, v35, v36
	v_div_fmas_f32 v29, v29, v34, v35
	v_div_fixup_f32 v29, v29, v32, v30
	v_fmac_f32_e32 v32, v30, v29
	v_div_scale_f32 v30, null, v32, v32, 1.0
	v_rcp_f32_e32 v34, v30
	v_fma_f32 v35, -v30, v34, 1.0
	v_fmac_f32_e32 v34, v35, v34
	v_div_scale_f32 v35, vcc_lo, 1.0, v32, 1.0
	v_mul_f32_e32 v36, v35, v34
	v_fma_f32 v37, -v30, v36, v35
	v_fmac_f32_e32 v36, v37, v34
	v_fma_f32 v30, -v30, v36, v35
	v_div_fmas_f32 v30, v30, v34, v36
	v_div_fixup_f32 v30, v30, v32, 1.0
                                        ; implicit-def: $vgpr32
	v_mul_f32_e32 v35, v29, v30
	v_xor_b32_e32 v34, 0x80000000, v30
                                        ; implicit-def: $vgpr30
	v_xor_b32_e32 v29, 0x80000000, v35
.LBB77_15:
	s_andn2_saveexec_b32 s5, s5
	s_cbranch_execz .LBB77_17
; %bb.16:
	v_div_scale_f32 v29, null, v30, v30, v32
	v_div_scale_f32 v36, vcc_lo, v32, v30, v32
	v_rcp_f32_e32 v34, v29
	v_fma_f32 v35, -v29, v34, 1.0
	v_fmac_f32_e32 v34, v35, v34
	v_mul_f32_e32 v35, v36, v34
	v_fma_f32 v37, -v29, v35, v36
	v_fmac_f32_e32 v35, v37, v34
	v_fma_f32 v29, -v29, v35, v36
	v_div_fmas_f32 v29, v29, v34, v35
	v_div_fixup_f32 v34, v29, v30, v32
	v_fmac_f32_e32 v30, v32, v34
	v_div_scale_f32 v29, null, v30, v30, 1.0
	v_div_scale_f32 v36, vcc_lo, 1.0, v30, 1.0
	v_rcp_f32_e32 v32, v29
	v_fma_f32 v35, -v29, v32, 1.0
	v_fmac_f32_e32 v32, v35, v32
	v_mul_f32_e32 v35, v36, v32
	v_fma_f32 v37, -v29, v35, v36
	v_fmac_f32_e32 v35, v37, v32
	v_fma_f32 v29, -v29, v35, v36
	v_div_fmas_f32 v29, v29, v32, v35
	v_div_fixup_f32 v35, v29, v30, 1.0
	v_xor_b32_e32 v29, 0x80000000, v35
	v_mul_f32_e64 v34, v34, -v35
.LBB77_17:
	s_or_b32 exec_lo, exec_lo, s5
	buffer_store_dword v35, v33, s[0:3], 0 offen
	buffer_store_dword v34, v33, s[0:3], 0 offen offset:4
	s_clause 0x1
	buffer_load_dword v36, off, s[0:3], 0 offset:12
	buffer_load_dword v35, off, s[0:3], 0 offset:8
	v_xor_b32_e32 v30, 0x80000000, v34
	v_add_nc_u32_e32 v32, 0x70, v31
	s_waitcnt vmcnt(0)
	ds_write2_b64 v31, v[29:30], v[35:36] offset1:14
	s_waitcnt lgkmcnt(0)
	s_waitcnt_vscnt null, 0x0
	s_barrier
	buffer_gl0_inv
	s_and_saveexec_b32 s5, s4
	s_cbranch_execz .LBB77_19
; %bb.18:
	s_clause 0x1
	buffer_load_dword v36, v33, s[0:3], 0 offen offset:4
	buffer_load_dword v37, v33, s[0:3], 0 offen
	ds_read_b64 v[29:30], v32
	v_mov_b32_e32 v34, 0
	ds_read_b64 v[34:35], v34 offset:8
	s_waitcnt vmcnt(1) lgkmcnt(1)
	v_mul_f32_e32 v38, v29, v36
	v_mul_f32_e32 v36, v30, v36
	s_waitcnt vmcnt(0)
	v_fmac_f32_e32 v38, v30, v37
	v_fma_f32 v29, v29, v37, -v36
	v_add_f32_e32 v30, 0, v38
	v_add_f32_e32 v29, 0, v29
	s_waitcnt lgkmcnt(0)
	v_mul_f32_e32 v36, v30, v35
	v_mul_f32_e32 v35, v29, v35
	v_fma_f32 v29, v29, v34, -v36
	v_fmac_f32_e32 v35, v30, v34
	buffer_store_dword v29, off, s[0:3], 0 offset:8
	buffer_store_dword v35, off, s[0:3], 0 offset:12
.LBB77_19:
	s_or_b32 exec_lo, exec_lo, s5
	s_waitcnt_vscnt null, 0x0
	s_barrier
	buffer_gl0_inv
	s_clause 0x1
	buffer_load_dword v29, off, s[0:3], 0 offset:16
	buffer_load_dword v30, off, s[0:3], 0 offset:20
	s_mov_b32 s5, exec_lo
	s_waitcnt vmcnt(0)
	ds_write_b64 v32, v[29:30]
	s_waitcnt lgkmcnt(0)
	s_barrier
	buffer_gl0_inv
	v_cmpx_gt_u32_e32 2, v0
	s_cbranch_execz .LBB77_23
; %bb.20:
	s_clause 0x1
	buffer_load_dword v34, v33, s[0:3], 0 offen offset:4
	buffer_load_dword v33, v33, s[0:3], 0 offen
	ds_read_b64 v[29:30], v32
	s_waitcnt vmcnt(1) lgkmcnt(0)
	v_mul_f32_e32 v35, v30, v34
	v_mul_f32_e32 v34, v29, v34
	s_waitcnt vmcnt(0)
	v_fma_f32 v29, v29, v33, -v35
	v_fmac_f32_e32 v34, v30, v33
	v_add_f32_e32 v30, 0, v29
	v_add_f32_e32 v29, 0, v34
	s_and_saveexec_b32 s8, s4
	s_cbranch_execz .LBB77_22
; %bb.21:
	s_clause 0x1
	buffer_load_dword v35, off, s[0:3], 0 offset:12
	buffer_load_dword v36, off, s[0:3], 0 offset:8
	v_mov_b32_e32 v33, 0
	ds_read_b64 v[33:34], v33 offset:120
	s_waitcnt vmcnt(1) lgkmcnt(0)
	v_mul_f32_e32 v37, v33, v35
	v_mul_f32_e32 v35, v34, v35
	s_waitcnt vmcnt(0)
	v_fmac_f32_e32 v37, v34, v36
	v_fma_f32 v33, v33, v36, -v35
	v_add_f32_e32 v29, v29, v37
	v_add_f32_e32 v30, v30, v33
.LBB77_22:
	s_or_b32 exec_lo, exec_lo, s8
	v_mov_b32_e32 v33, 0
	ds_read_b64 v[33:34], v33 offset:16
	s_waitcnt lgkmcnt(0)
	v_mul_f32_e32 v35, v29, v34
	v_mul_f32_e32 v34, v30, v34
	v_fma_f32 v30, v30, v33, -v35
	v_fmac_f32_e32 v34, v29, v33
	buffer_store_dword v30, off, s[0:3], 0 offset:16
	buffer_store_dword v34, off, s[0:3], 0 offset:20
.LBB77_23:
	s_or_b32 exec_lo, exec_lo, s5
	s_waitcnt_vscnt null, 0x0
	s_barrier
	buffer_gl0_inv
	s_clause 0x1
	buffer_load_dword v33, off, s[0:3], 0 offset:24
	buffer_load_dword v34, off, s[0:3], 0 offset:28
	v_add_nc_u32_e32 v29, -1, v0
	s_mov_b32 s4, exec_lo
	s_waitcnt vmcnt(0)
	ds_write_b64 v32, v[33:34]
	s_waitcnt lgkmcnt(0)
	s_barrier
	buffer_gl0_inv
	v_cmpx_gt_u32_e32 3, v0
	s_cbranch_execz .LBB77_27
; %bb.24:
	v_add_nc_u32_e32 v33, -1, v0
	v_add_nc_u32_e32 v34, 0x70, v31
	v_mov_b32_e32 v35, v31
	v_mov_b32_e32 v30, 0
	;; [unrolled: 1-line block ×3, first 2 shown]
	s_mov_b32 s5, 0
	.p2align	6
.LBB77_25:                              ; =>This Inner Loop Header: Depth=1
	s_clause 0x1
	buffer_load_dword v39, v35, s[0:3], 0 offen offset:4
	buffer_load_dword v40, v35, s[0:3], 0 offen
	ds_read_b64 v[37:38], v34
	v_add_nc_u32_e32 v33, 1, v33
	v_add_nc_u32_e32 v34, 8, v34
	;; [unrolled: 1-line block ×3, first 2 shown]
	v_cmp_lt_u32_e32 vcc_lo, 1, v33
	s_or_b32 s5, vcc_lo, s5
	s_waitcnt vmcnt(1) lgkmcnt(0)
	v_mul_f32_e32 v41, v38, v39
	v_mul_f32_e32 v39, v37, v39
	s_waitcnt vmcnt(0)
	v_fma_f32 v37, v37, v40, -v41
	v_fmac_f32_e32 v39, v38, v40
	v_add_f32_e32 v36, v36, v37
	v_add_f32_e32 v30, v30, v39
	s_andn2_b32 exec_lo, exec_lo, s5
	s_cbranch_execnz .LBB77_25
; %bb.26:
	s_or_b32 exec_lo, exec_lo, s5
	v_mov_b32_e32 v33, 0
	ds_read_b64 v[33:34], v33 offset:24
	s_waitcnt lgkmcnt(0)
	v_mul_f32_e32 v35, v30, v34
	v_mul_f32_e32 v34, v36, v34
	v_fma_f32 v35, v36, v33, -v35
	v_fmac_f32_e32 v34, v30, v33
	buffer_store_dword v35, off, s[0:3], 0 offset:24
	buffer_store_dword v34, off, s[0:3], 0 offset:28
.LBB77_27:
	s_or_b32 exec_lo, exec_lo, s4
	s_waitcnt_vscnt null, 0x0
	s_barrier
	buffer_gl0_inv
	s_clause 0x1
	buffer_load_dword v33, off, s[0:3], 0 offset:32
	buffer_load_dword v34, off, s[0:3], 0 offset:36
	s_mov_b32 s4, exec_lo
	s_waitcnt vmcnt(0)
	ds_write_b64 v32, v[33:34]
	s_waitcnt lgkmcnt(0)
	s_barrier
	buffer_gl0_inv
	v_cmpx_gt_u32_e32 4, v0
	s_cbranch_execz .LBB77_31
; %bb.28:
	v_add_nc_u32_e32 v33, -1, v0
	v_add_nc_u32_e32 v34, 0x70, v31
	v_mov_b32_e32 v35, v31
	v_mov_b32_e32 v30, 0
	;; [unrolled: 1-line block ×3, first 2 shown]
	s_mov_b32 s5, 0
	.p2align	6
.LBB77_29:                              ; =>This Inner Loop Header: Depth=1
	s_clause 0x1
	buffer_load_dword v39, v35, s[0:3], 0 offen offset:4
	buffer_load_dword v40, v35, s[0:3], 0 offen
	ds_read_b64 v[37:38], v34
	v_add_nc_u32_e32 v33, 1, v33
	v_add_nc_u32_e32 v34, 8, v34
	;; [unrolled: 1-line block ×3, first 2 shown]
	v_cmp_lt_u32_e32 vcc_lo, 2, v33
	s_or_b32 s5, vcc_lo, s5
	s_waitcnt vmcnt(1) lgkmcnt(0)
	v_mul_f32_e32 v41, v38, v39
	v_mul_f32_e32 v39, v37, v39
	s_waitcnt vmcnt(0)
	v_fma_f32 v37, v37, v40, -v41
	v_fmac_f32_e32 v39, v38, v40
	v_add_f32_e32 v36, v36, v37
	v_add_f32_e32 v30, v30, v39
	s_andn2_b32 exec_lo, exec_lo, s5
	s_cbranch_execnz .LBB77_29
; %bb.30:
	s_or_b32 exec_lo, exec_lo, s5
	v_mov_b32_e32 v33, 0
	ds_read_b64 v[33:34], v33 offset:32
	s_waitcnt lgkmcnt(0)
	v_mul_f32_e32 v35, v30, v34
	v_mul_f32_e32 v34, v36, v34
	v_fma_f32 v35, v36, v33, -v35
	v_fmac_f32_e32 v34, v30, v33
	buffer_store_dword v35, off, s[0:3], 0 offset:32
	buffer_store_dword v34, off, s[0:3], 0 offset:36
.LBB77_31:
	s_or_b32 exec_lo, exec_lo, s4
	s_waitcnt_vscnt null, 0x0
	s_barrier
	buffer_gl0_inv
	s_clause 0x1
	buffer_load_dword v33, off, s[0:3], 0 offset:40
	buffer_load_dword v34, off, s[0:3], 0 offset:44
	s_mov_b32 s4, exec_lo
	s_waitcnt vmcnt(0)
	ds_write_b64 v32, v[33:34]
	s_waitcnt lgkmcnt(0)
	s_barrier
	buffer_gl0_inv
	v_cmpx_gt_u32_e32 5, v0
	s_cbranch_execz .LBB77_35
; %bb.32:
	v_add_nc_u32_e32 v33, -1, v0
	v_add_nc_u32_e32 v34, 0x70, v31
	v_mov_b32_e32 v35, v31
	v_mov_b32_e32 v30, 0
	;; [unrolled: 1-line block ×3, first 2 shown]
	s_mov_b32 s5, 0
	.p2align	6
.LBB77_33:                              ; =>This Inner Loop Header: Depth=1
	s_clause 0x1
	buffer_load_dword v39, v35, s[0:3], 0 offen offset:4
	buffer_load_dword v40, v35, s[0:3], 0 offen
	ds_read_b64 v[37:38], v34
	v_add_nc_u32_e32 v33, 1, v33
	v_add_nc_u32_e32 v34, 8, v34
	;; [unrolled: 1-line block ×3, first 2 shown]
	v_cmp_lt_u32_e32 vcc_lo, 3, v33
	s_or_b32 s5, vcc_lo, s5
	s_waitcnt vmcnt(1) lgkmcnt(0)
	v_mul_f32_e32 v41, v38, v39
	v_mul_f32_e32 v39, v37, v39
	s_waitcnt vmcnt(0)
	v_fma_f32 v37, v37, v40, -v41
	v_fmac_f32_e32 v39, v38, v40
	v_add_f32_e32 v36, v36, v37
	v_add_f32_e32 v30, v30, v39
	s_andn2_b32 exec_lo, exec_lo, s5
	s_cbranch_execnz .LBB77_33
; %bb.34:
	s_or_b32 exec_lo, exec_lo, s5
	v_mov_b32_e32 v33, 0
	ds_read_b64 v[33:34], v33 offset:40
	s_waitcnt lgkmcnt(0)
	v_mul_f32_e32 v35, v30, v34
	v_mul_f32_e32 v34, v36, v34
	v_fma_f32 v35, v36, v33, -v35
	v_fmac_f32_e32 v34, v30, v33
	buffer_store_dword v35, off, s[0:3], 0 offset:40
	buffer_store_dword v34, off, s[0:3], 0 offset:44
.LBB77_35:
	s_or_b32 exec_lo, exec_lo, s4
	s_waitcnt_vscnt null, 0x0
	s_barrier
	buffer_gl0_inv
	s_clause 0x1
	buffer_load_dword v33, off, s[0:3], 0 offset:48
	buffer_load_dword v34, off, s[0:3], 0 offset:52
	s_mov_b32 s4, exec_lo
	s_waitcnt vmcnt(0)
	ds_write_b64 v32, v[33:34]
	s_waitcnt lgkmcnt(0)
	s_barrier
	buffer_gl0_inv
	v_cmpx_gt_u32_e32 6, v0
	s_cbranch_execz .LBB77_39
; %bb.36:
	v_add_nc_u32_e32 v33, -1, v0
	v_add_nc_u32_e32 v34, 0x70, v31
	v_mov_b32_e32 v35, v31
	v_mov_b32_e32 v30, 0
	;; [unrolled: 1-line block ×3, first 2 shown]
	s_mov_b32 s5, 0
	.p2align	6
.LBB77_37:                              ; =>This Inner Loop Header: Depth=1
	s_clause 0x1
	buffer_load_dword v39, v35, s[0:3], 0 offen offset:4
	buffer_load_dword v40, v35, s[0:3], 0 offen
	ds_read_b64 v[37:38], v34
	v_add_nc_u32_e32 v33, 1, v33
	v_add_nc_u32_e32 v34, 8, v34
	;; [unrolled: 1-line block ×3, first 2 shown]
	v_cmp_lt_u32_e32 vcc_lo, 4, v33
	s_or_b32 s5, vcc_lo, s5
	s_waitcnt vmcnt(1) lgkmcnt(0)
	v_mul_f32_e32 v41, v38, v39
	v_mul_f32_e32 v39, v37, v39
	s_waitcnt vmcnt(0)
	v_fma_f32 v37, v37, v40, -v41
	v_fmac_f32_e32 v39, v38, v40
	v_add_f32_e32 v36, v36, v37
	v_add_f32_e32 v30, v30, v39
	s_andn2_b32 exec_lo, exec_lo, s5
	s_cbranch_execnz .LBB77_37
; %bb.38:
	s_or_b32 exec_lo, exec_lo, s5
	v_mov_b32_e32 v33, 0
	ds_read_b64 v[33:34], v33 offset:48
	s_waitcnt lgkmcnt(0)
	v_mul_f32_e32 v35, v30, v34
	v_mul_f32_e32 v34, v36, v34
	v_fma_f32 v35, v36, v33, -v35
	v_fmac_f32_e32 v34, v30, v33
	buffer_store_dword v35, off, s[0:3], 0 offset:48
	buffer_store_dword v34, off, s[0:3], 0 offset:52
.LBB77_39:
	s_or_b32 exec_lo, exec_lo, s4
	s_waitcnt_vscnt null, 0x0
	s_barrier
	buffer_gl0_inv
	s_clause 0x1
	buffer_load_dword v33, off, s[0:3], 0 offset:56
	buffer_load_dword v34, off, s[0:3], 0 offset:60
	s_mov_b32 s4, exec_lo
	s_waitcnt vmcnt(0)
	ds_write_b64 v32, v[33:34]
	s_waitcnt lgkmcnt(0)
	s_barrier
	buffer_gl0_inv
	v_cmpx_gt_u32_e32 7, v0
	s_cbranch_execz .LBB77_43
; %bb.40:
	v_add_nc_u32_e32 v33, -1, v0
	v_add_nc_u32_e32 v34, 0x70, v31
	v_mov_b32_e32 v35, v31
	v_mov_b32_e32 v30, 0
	v_mov_b32_e32 v36, 0
	s_mov_b32 s5, 0
	.p2align	6
.LBB77_41:                              ; =>This Inner Loop Header: Depth=1
	s_clause 0x1
	buffer_load_dword v39, v35, s[0:3], 0 offen offset:4
	buffer_load_dword v40, v35, s[0:3], 0 offen
	ds_read_b64 v[37:38], v34
	v_add_nc_u32_e32 v33, 1, v33
	v_add_nc_u32_e32 v34, 8, v34
	;; [unrolled: 1-line block ×3, first 2 shown]
	v_cmp_lt_u32_e32 vcc_lo, 5, v33
	s_or_b32 s5, vcc_lo, s5
	s_waitcnt vmcnt(1) lgkmcnt(0)
	v_mul_f32_e32 v41, v38, v39
	v_mul_f32_e32 v39, v37, v39
	s_waitcnt vmcnt(0)
	v_fma_f32 v37, v37, v40, -v41
	v_fmac_f32_e32 v39, v38, v40
	v_add_f32_e32 v36, v36, v37
	v_add_f32_e32 v30, v30, v39
	s_andn2_b32 exec_lo, exec_lo, s5
	s_cbranch_execnz .LBB77_41
; %bb.42:
	s_or_b32 exec_lo, exec_lo, s5
	v_mov_b32_e32 v33, 0
	ds_read_b64 v[33:34], v33 offset:56
	s_waitcnt lgkmcnt(0)
	v_mul_f32_e32 v35, v30, v34
	v_mul_f32_e32 v34, v36, v34
	v_fma_f32 v35, v36, v33, -v35
	v_fmac_f32_e32 v34, v30, v33
	buffer_store_dword v35, off, s[0:3], 0 offset:56
	buffer_store_dword v34, off, s[0:3], 0 offset:60
.LBB77_43:
	s_or_b32 exec_lo, exec_lo, s4
	s_waitcnt_vscnt null, 0x0
	s_barrier
	buffer_gl0_inv
	s_clause 0x1
	buffer_load_dword v33, off, s[0:3], 0 offset:64
	buffer_load_dword v34, off, s[0:3], 0 offset:68
	s_mov_b32 s4, exec_lo
	s_waitcnt vmcnt(0)
	ds_write_b64 v32, v[33:34]
	s_waitcnt lgkmcnt(0)
	s_barrier
	buffer_gl0_inv
	v_cmpx_gt_u32_e32 8, v0
	s_cbranch_execz .LBB77_47
; %bb.44:
	v_add_nc_u32_e32 v33, -1, v0
	v_add_nc_u32_e32 v34, 0x70, v31
	v_mov_b32_e32 v35, v31
	v_mov_b32_e32 v30, 0
	;; [unrolled: 1-line block ×3, first 2 shown]
	s_mov_b32 s5, 0
	.p2align	6
.LBB77_45:                              ; =>This Inner Loop Header: Depth=1
	s_clause 0x1
	buffer_load_dword v39, v35, s[0:3], 0 offen offset:4
	buffer_load_dword v40, v35, s[0:3], 0 offen
	ds_read_b64 v[37:38], v34
	v_add_nc_u32_e32 v33, 1, v33
	v_add_nc_u32_e32 v34, 8, v34
	;; [unrolled: 1-line block ×3, first 2 shown]
	v_cmp_lt_u32_e32 vcc_lo, 6, v33
	s_or_b32 s5, vcc_lo, s5
	s_waitcnt vmcnt(1) lgkmcnt(0)
	v_mul_f32_e32 v41, v38, v39
	v_mul_f32_e32 v39, v37, v39
	s_waitcnt vmcnt(0)
	v_fma_f32 v37, v37, v40, -v41
	v_fmac_f32_e32 v39, v38, v40
	v_add_f32_e32 v36, v36, v37
	v_add_f32_e32 v30, v30, v39
	s_andn2_b32 exec_lo, exec_lo, s5
	s_cbranch_execnz .LBB77_45
; %bb.46:
	s_or_b32 exec_lo, exec_lo, s5
	v_mov_b32_e32 v33, 0
	ds_read_b64 v[33:34], v33 offset:64
	s_waitcnt lgkmcnt(0)
	v_mul_f32_e32 v35, v30, v34
	v_mul_f32_e32 v34, v36, v34
	v_fma_f32 v35, v36, v33, -v35
	v_fmac_f32_e32 v34, v30, v33
	buffer_store_dword v35, off, s[0:3], 0 offset:64
	buffer_store_dword v34, off, s[0:3], 0 offset:68
.LBB77_47:
	s_or_b32 exec_lo, exec_lo, s4
	s_waitcnt_vscnt null, 0x0
	s_barrier
	buffer_gl0_inv
	s_clause 0x1
	buffer_load_dword v33, off, s[0:3], 0 offset:72
	buffer_load_dword v34, off, s[0:3], 0 offset:76
	s_mov_b32 s4, exec_lo
	s_waitcnt vmcnt(0)
	ds_write_b64 v32, v[33:34]
	s_waitcnt lgkmcnt(0)
	s_barrier
	buffer_gl0_inv
	v_cmpx_gt_u32_e32 9, v0
	s_cbranch_execz .LBB77_51
; %bb.48:
	v_add_nc_u32_e32 v33, -1, v0
	v_add_nc_u32_e32 v34, 0x70, v31
	v_mov_b32_e32 v35, v31
	v_mov_b32_e32 v30, 0
	;; [unrolled: 1-line block ×3, first 2 shown]
	s_mov_b32 s5, 0
	.p2align	6
.LBB77_49:                              ; =>This Inner Loop Header: Depth=1
	s_clause 0x1
	buffer_load_dword v39, v35, s[0:3], 0 offen offset:4
	buffer_load_dword v40, v35, s[0:3], 0 offen
	ds_read_b64 v[37:38], v34
	v_add_nc_u32_e32 v33, 1, v33
	v_add_nc_u32_e32 v34, 8, v34
	;; [unrolled: 1-line block ×3, first 2 shown]
	v_cmp_lt_u32_e32 vcc_lo, 7, v33
	s_or_b32 s5, vcc_lo, s5
	s_waitcnt vmcnt(1) lgkmcnt(0)
	v_mul_f32_e32 v41, v38, v39
	v_mul_f32_e32 v39, v37, v39
	s_waitcnt vmcnt(0)
	v_fma_f32 v37, v37, v40, -v41
	v_fmac_f32_e32 v39, v38, v40
	v_add_f32_e32 v36, v36, v37
	v_add_f32_e32 v30, v30, v39
	s_andn2_b32 exec_lo, exec_lo, s5
	s_cbranch_execnz .LBB77_49
; %bb.50:
	s_or_b32 exec_lo, exec_lo, s5
	v_mov_b32_e32 v33, 0
	ds_read_b64 v[33:34], v33 offset:72
	s_waitcnt lgkmcnt(0)
	v_mul_f32_e32 v35, v30, v34
	v_mul_f32_e32 v34, v36, v34
	v_fma_f32 v35, v36, v33, -v35
	v_fmac_f32_e32 v34, v30, v33
	buffer_store_dword v35, off, s[0:3], 0 offset:72
	buffer_store_dword v34, off, s[0:3], 0 offset:76
.LBB77_51:
	s_or_b32 exec_lo, exec_lo, s4
	s_waitcnt_vscnt null, 0x0
	s_barrier
	buffer_gl0_inv
	s_clause 0x1
	buffer_load_dword v33, off, s[0:3], 0 offset:80
	buffer_load_dword v34, off, s[0:3], 0 offset:84
	s_mov_b32 s4, exec_lo
	s_waitcnt vmcnt(0)
	ds_write_b64 v32, v[33:34]
	s_waitcnt lgkmcnt(0)
	s_barrier
	buffer_gl0_inv
	v_cmpx_gt_u32_e32 10, v0
	s_cbranch_execz .LBB77_55
; %bb.52:
	v_add_nc_u32_e32 v33, -1, v0
	v_add_nc_u32_e32 v34, 0x70, v31
	v_mov_b32_e32 v35, v31
	v_mov_b32_e32 v30, 0
	;; [unrolled: 1-line block ×3, first 2 shown]
	s_mov_b32 s5, 0
	.p2align	6
.LBB77_53:                              ; =>This Inner Loop Header: Depth=1
	s_clause 0x1
	buffer_load_dword v39, v35, s[0:3], 0 offen offset:4
	buffer_load_dword v40, v35, s[0:3], 0 offen
	ds_read_b64 v[37:38], v34
	v_add_nc_u32_e32 v33, 1, v33
	v_add_nc_u32_e32 v34, 8, v34
	;; [unrolled: 1-line block ×3, first 2 shown]
	v_cmp_lt_u32_e32 vcc_lo, 8, v33
	s_or_b32 s5, vcc_lo, s5
	s_waitcnt vmcnt(1) lgkmcnt(0)
	v_mul_f32_e32 v41, v38, v39
	v_mul_f32_e32 v39, v37, v39
	s_waitcnt vmcnt(0)
	v_fma_f32 v37, v37, v40, -v41
	v_fmac_f32_e32 v39, v38, v40
	v_add_f32_e32 v36, v36, v37
	v_add_f32_e32 v30, v30, v39
	s_andn2_b32 exec_lo, exec_lo, s5
	s_cbranch_execnz .LBB77_53
; %bb.54:
	s_or_b32 exec_lo, exec_lo, s5
	v_mov_b32_e32 v33, 0
	ds_read_b64 v[33:34], v33 offset:80
	s_waitcnt lgkmcnt(0)
	v_mul_f32_e32 v35, v30, v34
	v_mul_f32_e32 v34, v36, v34
	v_fma_f32 v35, v36, v33, -v35
	v_fmac_f32_e32 v34, v30, v33
	buffer_store_dword v35, off, s[0:3], 0 offset:80
	buffer_store_dword v34, off, s[0:3], 0 offset:84
.LBB77_55:
	s_or_b32 exec_lo, exec_lo, s4
	s_waitcnt_vscnt null, 0x0
	s_barrier
	buffer_gl0_inv
	s_clause 0x1
	buffer_load_dword v33, off, s[0:3], 0 offset:88
	buffer_load_dword v34, off, s[0:3], 0 offset:92
	s_mov_b32 s4, exec_lo
	s_waitcnt vmcnt(0)
	ds_write_b64 v32, v[33:34]
	s_waitcnt lgkmcnt(0)
	s_barrier
	buffer_gl0_inv
	v_cmpx_gt_u32_e32 11, v0
	s_cbranch_execz .LBB77_59
; %bb.56:
	v_add_nc_u32_e32 v33, -1, v0
	v_add_nc_u32_e32 v34, 0x70, v31
	v_mov_b32_e32 v35, v31
	v_mov_b32_e32 v30, 0
	v_mov_b32_e32 v36, 0
	s_mov_b32 s5, 0
	.p2align	6
.LBB77_57:                              ; =>This Inner Loop Header: Depth=1
	s_clause 0x1
	buffer_load_dword v39, v35, s[0:3], 0 offen offset:4
	buffer_load_dword v40, v35, s[0:3], 0 offen
	ds_read_b64 v[37:38], v34
	v_add_nc_u32_e32 v33, 1, v33
	v_add_nc_u32_e32 v34, 8, v34
	;; [unrolled: 1-line block ×3, first 2 shown]
	v_cmp_lt_u32_e32 vcc_lo, 9, v33
	s_or_b32 s5, vcc_lo, s5
	s_waitcnt vmcnt(1) lgkmcnt(0)
	v_mul_f32_e32 v41, v38, v39
	v_mul_f32_e32 v39, v37, v39
	s_waitcnt vmcnt(0)
	v_fma_f32 v37, v37, v40, -v41
	v_fmac_f32_e32 v39, v38, v40
	v_add_f32_e32 v36, v36, v37
	v_add_f32_e32 v30, v30, v39
	s_andn2_b32 exec_lo, exec_lo, s5
	s_cbranch_execnz .LBB77_57
; %bb.58:
	s_or_b32 exec_lo, exec_lo, s5
	v_mov_b32_e32 v33, 0
	ds_read_b64 v[33:34], v33 offset:88
	s_waitcnt lgkmcnt(0)
	v_mul_f32_e32 v35, v30, v34
	v_mul_f32_e32 v34, v36, v34
	v_fma_f32 v35, v36, v33, -v35
	v_fmac_f32_e32 v34, v30, v33
	buffer_store_dword v35, off, s[0:3], 0 offset:88
	buffer_store_dword v34, off, s[0:3], 0 offset:92
.LBB77_59:
	s_or_b32 exec_lo, exec_lo, s4
	s_waitcnt_vscnt null, 0x0
	s_barrier
	buffer_gl0_inv
	s_clause 0x1
	buffer_load_dword v33, off, s[0:3], 0 offset:96
	buffer_load_dword v34, off, s[0:3], 0 offset:100
	s_mov_b32 s4, exec_lo
	s_waitcnt vmcnt(0)
	ds_write_b64 v32, v[33:34]
	s_waitcnt lgkmcnt(0)
	s_barrier
	buffer_gl0_inv
	v_cmpx_gt_u32_e32 12, v0
	s_cbranch_execz .LBB77_63
; %bb.60:
	v_add_nc_u32_e32 v33, -1, v0
	v_add_nc_u32_e32 v34, 0x70, v31
	v_mov_b32_e32 v35, v31
	v_mov_b32_e32 v30, 0
	;; [unrolled: 1-line block ×3, first 2 shown]
	s_mov_b32 s5, 0
	.p2align	6
.LBB77_61:                              ; =>This Inner Loop Header: Depth=1
	s_clause 0x1
	buffer_load_dword v39, v35, s[0:3], 0 offen offset:4
	buffer_load_dword v40, v35, s[0:3], 0 offen
	ds_read_b64 v[37:38], v34
	v_add_nc_u32_e32 v33, 1, v33
	v_add_nc_u32_e32 v34, 8, v34
	;; [unrolled: 1-line block ×3, first 2 shown]
	v_cmp_lt_u32_e32 vcc_lo, 10, v33
	s_or_b32 s5, vcc_lo, s5
	s_waitcnt vmcnt(1) lgkmcnt(0)
	v_mul_f32_e32 v41, v38, v39
	v_mul_f32_e32 v39, v37, v39
	s_waitcnt vmcnt(0)
	v_fma_f32 v37, v37, v40, -v41
	v_fmac_f32_e32 v39, v38, v40
	v_add_f32_e32 v36, v36, v37
	v_add_f32_e32 v30, v30, v39
	s_andn2_b32 exec_lo, exec_lo, s5
	s_cbranch_execnz .LBB77_61
; %bb.62:
	s_or_b32 exec_lo, exec_lo, s5
	v_mov_b32_e32 v33, 0
	ds_read_b64 v[33:34], v33 offset:96
	s_waitcnt lgkmcnt(0)
	v_mul_f32_e32 v35, v30, v34
	v_mul_f32_e32 v34, v36, v34
	v_fma_f32 v35, v36, v33, -v35
	v_fmac_f32_e32 v34, v30, v33
	buffer_store_dword v35, off, s[0:3], 0 offset:96
	buffer_store_dword v34, off, s[0:3], 0 offset:100
.LBB77_63:
	s_or_b32 exec_lo, exec_lo, s4
	s_waitcnt_vscnt null, 0x0
	s_barrier
	buffer_gl0_inv
	s_clause 0x1
	buffer_load_dword v33, off, s[0:3], 0 offset:104
	buffer_load_dword v34, off, s[0:3], 0 offset:108
	s_mov_b32 s4, exec_lo
	s_waitcnt vmcnt(0)
	ds_write_b64 v32, v[33:34]
	s_waitcnt lgkmcnt(0)
	s_barrier
	buffer_gl0_inv
	v_cmpx_ne_u32_e32 13, v0
	s_cbranch_execz .LBB77_67
; %bb.64:
	v_mov_b32_e32 v30, 0
	v_mov_b32_e32 v33, 0
	s_mov_b32 s5, 0
	.p2align	6
.LBB77_65:                              ; =>This Inner Loop Header: Depth=1
	s_clause 0x1
	buffer_load_dword v36, v31, s[0:3], 0 offen offset:4
	buffer_load_dword v37, v31, s[0:3], 0 offen
	ds_read_b64 v[34:35], v32
	v_add_nc_u32_e32 v29, 1, v29
	v_add_nc_u32_e32 v32, 8, v32
	v_add_nc_u32_e32 v31, 8, v31
	v_cmp_lt_u32_e32 vcc_lo, 11, v29
	s_or_b32 s5, vcc_lo, s5
	s_waitcnt vmcnt(1) lgkmcnt(0)
	v_mul_f32_e32 v38, v35, v36
	v_mul_f32_e32 v36, v34, v36
	s_waitcnt vmcnt(0)
	v_fma_f32 v34, v34, v37, -v38
	v_fmac_f32_e32 v36, v35, v37
	v_add_f32_e32 v33, v33, v34
	v_add_f32_e32 v30, v30, v36
	s_andn2_b32 exec_lo, exec_lo, s5
	s_cbranch_execnz .LBB77_65
; %bb.66:
	s_or_b32 exec_lo, exec_lo, s5
	v_mov_b32_e32 v29, 0
	ds_read_b64 v[31:32], v29 offset:104
	s_waitcnt lgkmcnt(0)
	v_mul_f32_e32 v29, v30, v32
	v_mul_f32_e32 v32, v33, v32
	v_fma_f32 v29, v33, v31, -v29
	v_fmac_f32_e32 v32, v30, v31
	buffer_store_dword v29, off, s[0:3], 0 offset:104
	buffer_store_dword v32, off, s[0:3], 0 offset:108
.LBB77_67:
	s_or_b32 exec_lo, exec_lo, s4
	s_mov_b32 s5, -1
	s_waitcnt_vscnt null, 0x0
	s_barrier
	buffer_gl0_inv
.LBB77_68:
	s_and_b32 vcc_lo, exec_lo, s5
	s_cbranch_vccz .LBB77_70
; %bb.69:
	s_lshl_b64 s[4:5], s[6:7], 2
	v_mov_b32_e32 v29, 0
	s_add_u32 s4, s10, s4
	s_addc_u32 s5, s11, s5
	global_load_dword v29, v29, s[4:5]
	s_waitcnt vmcnt(0)
	v_cmp_ne_u32_e32 vcc_lo, 0, v29
	s_cbranch_vccz .LBB77_71
.LBB77_70:
	s_endpgm
.LBB77_71:
	v_lshl_add_u32 v29, v0, 3, 0x70
	s_mov_b32 s4, exec_lo
	v_cmpx_eq_u32_e32 13, v0
	s_cbranch_execz .LBB77_73
; %bb.72:
	s_clause 0x1
	buffer_load_dword v30, off, s[0:3], 0 offset:96
	buffer_load_dword v31, off, s[0:3], 0 offset:100
	v_mov_b32_e32 v32, 0
	buffer_store_dword v32, off, s[0:3], 0 offset:96
	buffer_store_dword v32, off, s[0:3], 0 offset:100
	s_waitcnt vmcnt(0)
	ds_write_b64 v29, v[30:31]
.LBB77_73:
	s_or_b32 exec_lo, exec_lo, s4
	s_waitcnt lgkmcnt(0)
	s_waitcnt_vscnt null, 0x0
	s_barrier
	buffer_gl0_inv
	s_clause 0x3
	buffer_load_dword v33, off, s[0:3], 0 offset:108
	buffer_load_dword v34, off, s[0:3], 0 offset:104
	;; [unrolled: 1-line block ×4, first 2 shown]
	v_mov_b32_e32 v30, 0
	s_mov_b32 s4, exec_lo
	ds_read_b64 v[31:32], v30 offset:216
	s_waitcnt vmcnt(3) lgkmcnt(0)
	v_mul_f32_e32 v37, v32, v33
	v_mul_f32_e32 v33, v31, v33
	s_waitcnt vmcnt(2)
	v_fma_f32 v31, v31, v34, -v37
	v_fmac_f32_e32 v33, v32, v34
	v_add_f32_e32 v31, 0, v31
	v_add_f32_e32 v32, 0, v33
	s_waitcnt vmcnt(1)
	v_sub_f32_e32 v31, v35, v31
	s_waitcnt vmcnt(0)
	v_sub_f32_e32 v32, v36, v32
	buffer_store_dword v31, off, s[0:3], 0 offset:96
	buffer_store_dword v32, off, s[0:3], 0 offset:100
	v_cmpx_lt_u32_e32 11, v0
	s_cbranch_execz .LBB77_75
; %bb.74:
	s_clause 0x1
	buffer_load_dword v31, off, s[0:3], 0 offset:88
	buffer_load_dword v32, off, s[0:3], 0 offset:92
	buffer_store_dword v30, off, s[0:3], 0 offset:88
	buffer_store_dword v30, off, s[0:3], 0 offset:92
	s_waitcnt vmcnt(0)
	ds_write_b64 v29, v[31:32]
.LBB77_75:
	s_or_b32 exec_lo, exec_lo, s4
	s_waitcnt lgkmcnt(0)
	s_waitcnt_vscnt null, 0x0
	s_barrier
	buffer_gl0_inv
	s_clause 0x5
	buffer_load_dword v34, off, s[0:3], 0 offset:100
	buffer_load_dword v35, off, s[0:3], 0 offset:108
	;; [unrolled: 1-line block ×6, first 2 shown]
	ds_read_b128 v[30:33], v30 offset:208
	s_mov_b32 s4, exec_lo
	s_waitcnt vmcnt(5) lgkmcnt(0)
	v_mul_f32_e32 v40, v31, v34
	v_mul_f32_e32 v34, v30, v34
	s_waitcnt vmcnt(4)
	v_mul_f32_e32 v41, v32, v35
	v_mul_f32_e32 v35, v33, v35
	s_waitcnt vmcnt(3)
	v_fma_f32 v30, v30, v36, -v40
	v_fmac_f32_e32 v34, v31, v36
	s_waitcnt vmcnt(2)
	v_fmac_f32_e32 v41, v33, v37
	v_fma_f32 v31, v32, v37, -v35
	v_add_f32_e32 v30, 0, v30
	v_add_f32_e32 v32, 0, v34
	;; [unrolled: 1-line block ×4, first 2 shown]
	s_waitcnt vmcnt(1)
	v_sub_f32_e32 v30, v38, v30
	s_waitcnt vmcnt(0)
	v_sub_f32_e32 v31, v39, v31
	buffer_store_dword v30, off, s[0:3], 0 offset:88
	buffer_store_dword v31, off, s[0:3], 0 offset:92
	v_cmpx_lt_u32_e32 10, v0
	s_cbranch_execz .LBB77_77
; %bb.76:
	s_clause 0x1
	buffer_load_dword v30, off, s[0:3], 0 offset:80
	buffer_load_dword v31, off, s[0:3], 0 offset:84
	v_mov_b32_e32 v32, 0
	buffer_store_dword v32, off, s[0:3], 0 offset:80
	buffer_store_dword v32, off, s[0:3], 0 offset:84
	s_waitcnt vmcnt(0)
	ds_write_b64 v29, v[30:31]
.LBB77_77:
	s_or_b32 exec_lo, exec_lo, s4
	s_waitcnt lgkmcnt(0)
	s_waitcnt_vscnt null, 0x0
	s_barrier
	buffer_gl0_inv
	s_clause 0x7
	buffer_load_dword v37, off, s[0:3], 0 offset:92
	buffer_load_dword v38, off, s[0:3], 0 offset:100
	;; [unrolled: 1-line block ×8, first 2 shown]
	v_mov_b32_e32 v30, 0
	ds_read2_b64 v[31:34], v30 offset0:25 offset1:26
	ds_read_b64 v[35:36], v30 offset:216
	s_mov_b32 s4, exec_lo
	s_waitcnt vmcnt(7) lgkmcnt(1)
	v_mul_f32_e32 v45, v32, v37
	v_mul_f32_e32 v37, v31, v37
	s_waitcnt vmcnt(6)
	v_mul_f32_e32 v46, v33, v38
	v_mul_f32_e32 v38, v34, v38
	s_waitcnt vmcnt(5) lgkmcnt(0)
	v_mul_f32_e32 v47, v35, v39
	s_waitcnt vmcnt(4)
	v_fma_f32 v31, v31, v40, -v45
	v_fmac_f32_e32 v37, v32, v40
	v_mul_f32_e32 v32, v36, v39
	s_waitcnt vmcnt(3)
	v_fma_f32 v33, v33, v41, -v38
	v_fmac_f32_e32 v46, v34, v41
	v_add_f32_e32 v31, 0, v31
	v_add_f32_e32 v34, 0, v37
	s_waitcnt vmcnt(2)
	v_fma_f32 v32, v35, v42, -v32
	v_fmac_f32_e32 v47, v36, v42
	v_add_f32_e32 v31, v31, v33
	v_add_f32_e32 v33, v34, v46
	;; [unrolled: 1-line block ×4, first 2 shown]
	s_waitcnt vmcnt(1)
	v_sub_f32_e32 v31, v43, v31
	s_waitcnt vmcnt(0)
	v_sub_f32_e32 v32, v44, v32
	buffer_store_dword v31, off, s[0:3], 0 offset:80
	buffer_store_dword v32, off, s[0:3], 0 offset:84
	v_cmpx_lt_u32_e32 9, v0
	s_cbranch_execz .LBB77_79
; %bb.78:
	s_clause 0x1
	buffer_load_dword v31, off, s[0:3], 0 offset:72
	buffer_load_dword v32, off, s[0:3], 0 offset:76
	buffer_store_dword v30, off, s[0:3], 0 offset:72
	buffer_store_dword v30, off, s[0:3], 0 offset:76
	s_waitcnt vmcnt(0)
	ds_write_b64 v29, v[31:32]
.LBB77_79:
	s_or_b32 exec_lo, exec_lo, s4
	s_waitcnt lgkmcnt(0)
	s_waitcnt_vscnt null, 0x0
	s_barrier
	buffer_gl0_inv
	s_clause 0x9
	buffer_load_dword v39, off, s[0:3], 0 offset:84
	buffer_load_dword v40, off, s[0:3], 0 offset:92
	buffer_load_dword v41, off, s[0:3], 0 offset:100
	buffer_load_dword v42, off, s[0:3], 0 offset:108
	buffer_load_dword v43, off, s[0:3], 0 offset:80
	buffer_load_dword v44, off, s[0:3], 0 offset:88
	buffer_load_dword v45, off, s[0:3], 0 offset:96
	buffer_load_dword v46, off, s[0:3], 0 offset:104
	buffer_load_dword v47, off, s[0:3], 0 offset:72
	buffer_load_dword v48, off, s[0:3], 0 offset:76
	ds_read_b128 v[31:34], v30 offset:192
	ds_read_b128 v[35:38], v30 offset:208
	s_mov_b32 s4, exec_lo
	s_waitcnt vmcnt(9) lgkmcnt(1)
	v_mul_f32_e32 v30, v31, v39
	v_mul_f32_e32 v39, v32, v39
	s_waitcnt vmcnt(8)
	v_mul_f32_e32 v49, v33, v40
	v_mul_f32_e32 v40, v34, v40
	s_waitcnt vmcnt(7) lgkmcnt(0)
	v_mul_f32_e32 v50, v35, v41
	s_waitcnt vmcnt(5)
	v_fmac_f32_e32 v30, v32, v43
	v_fma_f32 v31, v31, v43, -v39
	v_mul_f32_e32 v32, v36, v41
	s_waitcnt vmcnt(4)
	v_fma_f32 v33, v33, v44, -v40
	v_fmac_f32_e32 v49, v34, v44
	v_add_f32_e32 v30, 0, v30
	v_add_f32_e32 v31, 0, v31
	v_mul_f32_e32 v34, v38, v42
	s_waitcnt vmcnt(3)
	v_fma_f32 v32, v35, v45, -v32
	v_mul_f32_e32 v51, v37, v42
	v_fmac_f32_e32 v50, v36, v45
	v_add_f32_e32 v31, v31, v33
	v_add_f32_e32 v30, v30, v49
	s_waitcnt vmcnt(2)
	v_fma_f32 v33, v37, v46, -v34
	v_fmac_f32_e32 v51, v38, v46
	v_add_f32_e32 v31, v31, v32
	v_add_f32_e32 v30, v30, v50
	v_add_f32_e32 v31, v31, v33
	v_add_f32_e32 v30, v30, v51
	s_waitcnt vmcnt(1)
	v_sub_f32_e32 v31, v47, v31
	s_waitcnt vmcnt(0)
	v_sub_f32_e32 v30, v48, v30
	buffer_store_dword v31, off, s[0:3], 0 offset:72
	buffer_store_dword v30, off, s[0:3], 0 offset:76
	v_cmpx_lt_u32_e32 8, v0
	s_cbranch_execz .LBB77_81
; %bb.80:
	s_clause 0x1
	buffer_load_dword v30, off, s[0:3], 0 offset:64
	buffer_load_dword v31, off, s[0:3], 0 offset:68
	v_mov_b32_e32 v32, 0
	buffer_store_dword v32, off, s[0:3], 0 offset:64
	buffer_store_dword v32, off, s[0:3], 0 offset:68
	s_waitcnt vmcnt(0)
	ds_write_b64 v29, v[30:31]
.LBB77_81:
	s_or_b32 exec_lo, exec_lo, s4
	s_waitcnt lgkmcnt(0)
	s_waitcnt_vscnt null, 0x0
	s_barrier
	buffer_gl0_inv
	s_clause 0xb
	buffer_load_dword v41, off, s[0:3], 0 offset:76
	buffer_load_dword v42, off, s[0:3], 0 offset:84
	;; [unrolled: 1-line block ×12, first 2 shown]
	v_mov_b32_e32 v30, 0
	ds_read2_b64 v[31:34], v30 offset0:23 offset1:24
	ds_read2_b64 v[35:38], v30 offset0:25 offset1:26
	ds_read_b64 v[39:40], v30 offset:216
	s_mov_b32 s4, exec_lo
	s_waitcnt vmcnt(11) lgkmcnt(2)
	v_mul_f32_e32 v53, v31, v41
	v_mul_f32_e32 v41, v32, v41
	s_waitcnt vmcnt(10)
	v_mul_f32_e32 v54, v33, v42
	v_mul_f32_e32 v42, v34, v42
	s_waitcnt vmcnt(9) lgkmcnt(1)
	v_mul_f32_e32 v55, v35, v43
	s_waitcnt vmcnt(6)
	v_fmac_f32_e32 v53, v32, v46
	v_fma_f32 v31, v31, v46, -v41
	v_mul_f32_e32 v32, v36, v43
	s_waitcnt vmcnt(5)
	v_fma_f32 v33, v33, v47, -v42
	v_fmac_f32_e32 v54, v34, v47
	v_add_f32_e32 v34, 0, v53
	v_add_f32_e32 v31, 0, v31
	v_mul_f32_e32 v41, v38, v44
	s_waitcnt vmcnt(4)
	v_fma_f32 v32, v35, v48, -v32
	v_mul_f32_e32 v56, v37, v44
	v_fmac_f32_e32 v55, v36, v48
	v_add_f32_e32 v31, v31, v33
	v_add_f32_e32 v33, v34, v54
	s_waitcnt lgkmcnt(0)
	v_mul_f32_e32 v34, v40, v45
	s_waitcnt vmcnt(3)
	v_fma_f32 v35, v37, v49, -v41
	v_mul_f32_e32 v57, v39, v45
	v_add_f32_e32 v31, v31, v32
	v_fmac_f32_e32 v56, v38, v49
	v_add_f32_e32 v32, v33, v55
	s_waitcnt vmcnt(2)
	v_fma_f32 v33, v39, v50, -v34
	v_fmac_f32_e32 v57, v40, v50
	v_add_f32_e32 v31, v31, v35
	v_add_f32_e32 v32, v32, v56
	;; [unrolled: 1-line block ×4, first 2 shown]
	s_waitcnt vmcnt(1)
	v_sub_f32_e32 v31, v51, v31
	s_waitcnt vmcnt(0)
	v_sub_f32_e32 v32, v52, v32
	buffer_store_dword v31, off, s[0:3], 0 offset:64
	buffer_store_dword v32, off, s[0:3], 0 offset:68
	v_cmpx_lt_u32_e32 7, v0
	s_cbranch_execz .LBB77_83
; %bb.82:
	s_clause 0x1
	buffer_load_dword v31, off, s[0:3], 0 offset:56
	buffer_load_dword v32, off, s[0:3], 0 offset:60
	buffer_store_dword v30, off, s[0:3], 0 offset:56
	buffer_store_dword v30, off, s[0:3], 0 offset:60
	s_waitcnt vmcnt(0)
	ds_write_b64 v29, v[31:32]
.LBB77_83:
	s_or_b32 exec_lo, exec_lo, s4
	s_waitcnt lgkmcnt(0)
	s_waitcnt_vscnt null, 0x0
	s_barrier
	buffer_gl0_inv
	s_clause 0xd
	buffer_load_dword v43, off, s[0:3], 0 offset:68
	buffer_load_dword v44, off, s[0:3], 0 offset:76
	;; [unrolled: 1-line block ×14, first 2 shown]
	ds_read_b128 v[31:34], v30 offset:176
	ds_read_b128 v[35:38], v30 offset:192
	;; [unrolled: 1-line block ×3, first 2 shown]
	s_mov_b32 s4, exec_lo
	s_waitcnt vmcnt(13) lgkmcnt(2)
	v_mul_f32_e32 v30, v31, v43
	v_mul_f32_e32 v43, v32, v43
	s_waitcnt vmcnt(12)
	v_mul_f32_e32 v57, v33, v44
	v_mul_f32_e32 v44, v34, v44
	s_waitcnt vmcnt(11) lgkmcnt(1)
	v_mul_f32_e32 v58, v35, v45
	s_waitcnt vmcnt(10)
	v_mul_f32_e32 v59, v37, v46
	s_waitcnt vmcnt(7)
	v_fma_f32 v31, v31, v49, -v43
	v_fmac_f32_e32 v30, v32, v49
	v_mul_f32_e32 v32, v36, v45
	s_waitcnt vmcnt(6)
	v_fma_f32 v33, v33, v50, -v44
	v_fmac_f32_e32 v57, v34, v50
	v_add_f32_e32 v31, 0, v31
	v_add_f32_e32 v30, 0, v30
	v_mul_f32_e32 v34, v38, v46
	s_waitcnt vmcnt(5)
	v_fma_f32 v32, v35, v51, -v32
	v_fmac_f32_e32 v58, v36, v51
	v_add_f32_e32 v31, v31, v33
	v_add_f32_e32 v30, v30, v57
	s_waitcnt lgkmcnt(0)
	v_mul_f32_e32 v33, v40, v47
	s_waitcnt vmcnt(4)
	v_fma_f32 v34, v37, v52, -v34
	v_mul_f32_e32 v60, v39, v47
	v_add_f32_e32 v31, v31, v32
	v_fmac_f32_e32 v59, v38, v52
	v_add_f32_e32 v30, v30, v58
	v_mul_f32_e32 v32, v42, v48
	s_waitcnt vmcnt(3)
	v_fma_f32 v33, v39, v53, -v33
	v_add_f32_e32 v31, v31, v34
	v_mul_f32_e32 v61, v41, v48
	v_fmac_f32_e32 v60, v40, v53
	v_add_f32_e32 v30, v30, v59
	s_waitcnt vmcnt(2)
	v_fma_f32 v32, v41, v54, -v32
	v_add_f32_e32 v31, v31, v33
	v_fmac_f32_e32 v61, v42, v54
	v_add_f32_e32 v30, v30, v60
	v_add_f32_e32 v31, v31, v32
	;; [unrolled: 1-line block ×3, first 2 shown]
	s_waitcnt vmcnt(1)
	v_sub_f32_e32 v31, v55, v31
	s_waitcnt vmcnt(0)
	v_sub_f32_e32 v30, v56, v30
	buffer_store_dword v31, off, s[0:3], 0 offset:56
	buffer_store_dword v30, off, s[0:3], 0 offset:60
	v_cmpx_lt_u32_e32 6, v0
	s_cbranch_execz .LBB77_85
; %bb.84:
	s_clause 0x1
	buffer_load_dword v30, off, s[0:3], 0 offset:48
	buffer_load_dword v31, off, s[0:3], 0 offset:52
	v_mov_b32_e32 v32, 0
	buffer_store_dword v32, off, s[0:3], 0 offset:48
	buffer_store_dword v32, off, s[0:3], 0 offset:52
	s_waitcnt vmcnt(0)
	ds_write_b64 v29, v[30:31]
.LBB77_85:
	s_or_b32 exec_lo, exec_lo, s4
	s_waitcnt lgkmcnt(0)
	s_waitcnt_vscnt null, 0x0
	s_barrier
	buffer_gl0_inv
	s_clause 0xf
	buffer_load_dword v45, off, s[0:3], 0 offset:60
	buffer_load_dword v46, off, s[0:3], 0 offset:68
	;; [unrolled: 1-line block ×16, first 2 shown]
	v_mov_b32_e32 v30, 0
	ds_read2_b64 v[31:34], v30 offset0:21 offset1:22
	ds_read2_b64 v[35:38], v30 offset0:23 offset1:24
	;; [unrolled: 1-line block ×3, first 2 shown]
	ds_read_b64 v[43:44], v30 offset:216
	s_mov_b32 s4, exec_lo
	s_waitcnt vmcnt(15) lgkmcnt(3)
	v_mul_f32_e32 v61, v31, v45
	v_mul_f32_e32 v45, v32, v45
	s_waitcnt vmcnt(14)
	v_mul_f32_e32 v62, v33, v46
	v_mul_f32_e32 v46, v34, v46
	s_waitcnt vmcnt(13) lgkmcnt(2)
	v_mul_f32_e32 v63, v35, v47
	s_waitcnt vmcnt(12)
	v_mul_f32_e32 v64, v37, v48
	s_waitcnt vmcnt(11) lgkmcnt(1)
	v_mul_f32_e32 v65, v39, v49
	s_waitcnt vmcnt(8)
	v_fma_f32 v31, v31, v52, -v45
	v_fmac_f32_e32 v61, v32, v52
	v_mul_f32_e32 v32, v36, v47
	s_waitcnt vmcnt(7)
	v_fma_f32 v33, v33, v53, -v46
	v_fmac_f32_e32 v62, v34, v53
	v_add_f32_e32 v31, 0, v31
	v_add_f32_e32 v34, 0, v61
	v_mul_f32_e32 v45, v38, v48
	s_waitcnt vmcnt(6)
	v_fma_f32 v32, v35, v54, -v32
	v_fmac_f32_e32 v63, v36, v54
	v_add_f32_e32 v31, v31, v33
	v_add_f32_e32 v33, v34, v62
	;; [unrolled: 6-line block ×3, first 2 shown]
	v_mul_f32_e32 v33, v42, v50
	s_waitcnt vmcnt(4)
	v_fma_f32 v34, v39, v56, -v34
	v_mul_f32_e32 v66, v41, v50
	v_add_f32_e32 v31, v31, v35
	v_fmac_f32_e32 v65, v40, v56
	v_add_f32_e32 v32, v32, v64
	s_waitcnt lgkmcnt(0)
	v_mul_f32_e32 v35, v44, v51
	s_waitcnt vmcnt(3)
	v_fma_f32 v33, v41, v57, -v33
	v_add_f32_e32 v31, v31, v34
	v_mul_f32_e32 v67, v43, v51
	v_fmac_f32_e32 v66, v42, v57
	v_add_f32_e32 v32, v32, v65
	s_waitcnt vmcnt(2)
	v_fma_f32 v34, v43, v58, -v35
	v_add_f32_e32 v31, v31, v33
	v_fmac_f32_e32 v67, v44, v58
	v_add_f32_e32 v32, v32, v66
	v_add_f32_e32 v31, v31, v34
	;; [unrolled: 1-line block ×3, first 2 shown]
	s_waitcnt vmcnt(1)
	v_sub_f32_e32 v31, v59, v31
	s_waitcnt vmcnt(0)
	v_sub_f32_e32 v32, v60, v32
	buffer_store_dword v31, off, s[0:3], 0 offset:48
	buffer_store_dword v32, off, s[0:3], 0 offset:52
	v_cmpx_lt_u32_e32 5, v0
	s_cbranch_execz .LBB77_87
; %bb.86:
	s_clause 0x1
	buffer_load_dword v31, off, s[0:3], 0 offset:40
	buffer_load_dword v32, off, s[0:3], 0 offset:44
	buffer_store_dword v30, off, s[0:3], 0 offset:40
	buffer_store_dword v30, off, s[0:3], 0 offset:44
	s_waitcnt vmcnt(0)
	ds_write_b64 v29, v[31:32]
.LBB77_87:
	s_or_b32 exec_lo, exec_lo, s4
	s_waitcnt lgkmcnt(0)
	s_waitcnt_vscnt null, 0x0
	s_barrier
	buffer_gl0_inv
	s_clause 0x11
	buffer_load_dword v47, off, s[0:3], 0 offset:52
	buffer_load_dword v48, off, s[0:3], 0 offset:60
	;; [unrolled: 1-line block ×18, first 2 shown]
	ds_read_b128 v[31:34], v30 offset:160
	ds_read_b128 v[35:38], v30 offset:176
	;; [unrolled: 1-line block ×4, first 2 shown]
	s_mov_b32 s4, exec_lo
	s_waitcnt vmcnt(17) lgkmcnt(3)
	v_mul_f32_e32 v30, v31, v47
	v_mul_f32_e32 v47, v32, v47
	s_waitcnt vmcnt(16)
	v_mul_f32_e32 v65, v33, v48
	v_mul_f32_e32 v48, v34, v48
	s_waitcnt vmcnt(15) lgkmcnt(2)
	v_mul_f32_e32 v66, v35, v49
	s_waitcnt vmcnt(14)
	v_mul_f32_e32 v67, v37, v50
	s_waitcnt vmcnt(13) lgkmcnt(1)
	v_mul_f32_e32 v68, v39, v51
	s_waitcnt vmcnt(12)
	v_mul_f32_e32 v69, v41, v52
	s_waitcnt vmcnt(9)
	v_fma_f32 v31, v31, v55, -v47
	v_fmac_f32_e32 v30, v32, v55
	v_mul_f32_e32 v32, v36, v49
	s_waitcnt vmcnt(8)
	v_fma_f32 v33, v33, v56, -v48
	v_fmac_f32_e32 v65, v34, v56
	v_add_f32_e32 v31, 0, v31
	v_add_f32_e32 v30, 0, v30
	v_mul_f32_e32 v34, v38, v50
	s_waitcnt vmcnt(7)
	v_fma_f32 v32, v35, v57, -v32
	v_fmac_f32_e32 v66, v36, v57
	v_add_f32_e32 v31, v31, v33
	v_add_f32_e32 v30, v30, v65
	;; [unrolled: 6-line block ×4, first 2 shown]
	s_waitcnt lgkmcnt(0)
	v_mul_f32_e32 v34, v44, v53
	s_waitcnt vmcnt(4)
	v_fma_f32 v32, v41, v60, -v32
	v_mul_f32_e32 v70, v43, v53
	v_add_f32_e32 v31, v31, v33
	v_fmac_f32_e32 v69, v42, v60
	v_add_f32_e32 v30, v30, v68
	v_mul_f32_e32 v33, v46, v54
	s_waitcnt vmcnt(3)
	v_fma_f32 v34, v43, v61, -v34
	v_add_f32_e32 v31, v31, v32
	v_mul_f32_e32 v71, v45, v54
	v_fmac_f32_e32 v70, v44, v61
	v_add_f32_e32 v30, v30, v69
	s_waitcnt vmcnt(2)
	v_fma_f32 v32, v45, v62, -v33
	v_add_f32_e32 v31, v31, v34
	v_fmac_f32_e32 v71, v46, v62
	v_add_f32_e32 v30, v30, v70
	v_add_f32_e32 v31, v31, v32
	;; [unrolled: 1-line block ×3, first 2 shown]
	s_waitcnt vmcnt(1)
	v_sub_f32_e32 v31, v63, v31
	s_waitcnt vmcnt(0)
	v_sub_f32_e32 v30, v64, v30
	buffer_store_dword v31, off, s[0:3], 0 offset:40
	buffer_store_dword v30, off, s[0:3], 0 offset:44
	v_cmpx_lt_u32_e32 4, v0
	s_cbranch_execz .LBB77_89
; %bb.88:
	s_clause 0x1
	buffer_load_dword v30, off, s[0:3], 0 offset:32
	buffer_load_dword v31, off, s[0:3], 0 offset:36
	v_mov_b32_e32 v32, 0
	buffer_store_dword v32, off, s[0:3], 0 offset:32
	buffer_store_dword v32, off, s[0:3], 0 offset:36
	s_waitcnt vmcnt(0)
	ds_write_b64 v29, v[30:31]
.LBB77_89:
	s_or_b32 exec_lo, exec_lo, s4
	s_waitcnt lgkmcnt(0)
	s_waitcnt_vscnt null, 0x0
	s_barrier
	buffer_gl0_inv
	s_clause 0x13
	buffer_load_dword v49, off, s[0:3], 0 offset:44
	buffer_load_dword v50, off, s[0:3], 0 offset:52
	buffer_load_dword v51, off, s[0:3], 0 offset:60
	buffer_load_dword v52, off, s[0:3], 0 offset:68
	buffer_load_dword v53, off, s[0:3], 0 offset:76
	buffer_load_dword v54, off, s[0:3], 0 offset:84
	buffer_load_dword v55, off, s[0:3], 0 offset:92
	buffer_load_dword v56, off, s[0:3], 0 offset:100
	buffer_load_dword v57, off, s[0:3], 0 offset:108
	buffer_load_dword v58, off, s[0:3], 0 offset:40
	buffer_load_dword v59, off, s[0:3], 0 offset:48
	buffer_load_dword v60, off, s[0:3], 0 offset:56
	buffer_load_dword v61, off, s[0:3], 0 offset:64
	buffer_load_dword v62, off, s[0:3], 0 offset:72
	buffer_load_dword v63, off, s[0:3], 0 offset:80
	buffer_load_dword v64, off, s[0:3], 0 offset:88
	buffer_load_dword v65, off, s[0:3], 0 offset:96
	buffer_load_dword v66, off, s[0:3], 0 offset:104
	buffer_load_dword v67, off, s[0:3], 0 offset:32
	buffer_load_dword v68, off, s[0:3], 0 offset:36
	v_mov_b32_e32 v30, 0
	ds_read2_b64 v[31:34], v30 offset0:19 offset1:20
	ds_read2_b64 v[35:38], v30 offset0:21 offset1:22
	ds_read2_b64 v[39:42], v30 offset0:23 offset1:24
	ds_read2_b64 v[43:46], v30 offset0:25 offset1:26
	ds_read_b64 v[47:48], v30 offset:216
	s_mov_b32 s4, exec_lo
	s_waitcnt vmcnt(19) lgkmcnt(4)
	v_mul_f32_e32 v69, v31, v49
	v_mul_f32_e32 v49, v32, v49
	s_waitcnt vmcnt(18)
	v_mul_f32_e32 v70, v33, v50
	v_mul_f32_e32 v50, v34, v50
	s_waitcnt vmcnt(17) lgkmcnt(3)
	v_mul_f32_e32 v71, v35, v51
	s_waitcnt vmcnt(16)
	v_mul_f32_e32 v72, v37, v52
	s_waitcnt vmcnt(15) lgkmcnt(2)
	v_mul_f32_e32 v73, v39, v53
	s_waitcnt vmcnt(14)
	;; [unrolled: 4-line block ×3, first 2 shown]
	v_fma_f32 v31, v31, v58, -v49
	v_fmac_f32_e32 v69, v32, v58
	v_mul_f32_e32 v32, v36, v51
	s_waitcnt vmcnt(9)
	v_fma_f32 v33, v33, v59, -v50
	v_fmac_f32_e32 v70, v34, v59
	v_add_f32_e32 v31, 0, v31
	v_add_f32_e32 v34, 0, v69
	v_mul_f32_e32 v49, v38, v52
	s_waitcnt vmcnt(8)
	v_fma_f32 v32, v35, v60, -v32
	v_fmac_f32_e32 v71, v36, v60
	v_add_f32_e32 v31, v31, v33
	v_add_f32_e32 v33, v34, v70
	;; [unrolled: 6-line block ×5, first 2 shown]
	v_mul_f32_e32 v34, v46, v56
	s_waitcnt vmcnt(4)
	v_fma_f32 v35, v43, v64, -v35
	v_mul_f32_e32 v76, v45, v56
	v_add_f32_e32 v31, v31, v33
	v_fmac_f32_e32 v75, v44, v64
	v_add_f32_e32 v32, v32, v74
	s_waitcnt lgkmcnt(0)
	v_mul_f32_e32 v33, v48, v57
	s_waitcnt vmcnt(3)
	v_fma_f32 v34, v45, v65, -v34
	v_add_f32_e32 v31, v31, v35
	v_mul_f32_e32 v77, v47, v57
	v_fmac_f32_e32 v76, v46, v65
	v_add_f32_e32 v32, v32, v75
	s_waitcnt vmcnt(2)
	v_fma_f32 v33, v47, v66, -v33
	v_add_f32_e32 v31, v31, v34
	v_fmac_f32_e32 v77, v48, v66
	v_add_f32_e32 v32, v32, v76
	v_add_f32_e32 v31, v31, v33
	;; [unrolled: 1-line block ×3, first 2 shown]
	s_waitcnt vmcnt(1)
	v_sub_f32_e32 v31, v67, v31
	s_waitcnt vmcnt(0)
	v_sub_f32_e32 v32, v68, v32
	buffer_store_dword v31, off, s[0:3], 0 offset:32
	buffer_store_dword v32, off, s[0:3], 0 offset:36
	v_cmpx_lt_u32_e32 3, v0
	s_cbranch_execz .LBB77_91
; %bb.90:
	s_clause 0x1
	buffer_load_dword v31, off, s[0:3], 0 offset:24
	buffer_load_dword v32, off, s[0:3], 0 offset:28
	buffer_store_dword v30, off, s[0:3], 0 offset:24
	buffer_store_dword v30, off, s[0:3], 0 offset:28
	s_waitcnt vmcnt(0)
	ds_write_b64 v29, v[31:32]
.LBB77_91:
	s_or_b32 exec_lo, exec_lo, s4
	s_waitcnt lgkmcnt(0)
	s_waitcnt_vscnt null, 0x0
	s_barrier
	buffer_gl0_inv
	s_clause 0x15
	buffer_load_dword v51, off, s[0:3], 0 offset:36
	buffer_load_dword v52, off, s[0:3], 0 offset:44
	;; [unrolled: 1-line block ×22, first 2 shown]
	ds_read_b128 v[31:34], v30 offset:144
	ds_read_b128 v[35:38], v30 offset:160
	;; [unrolled: 1-line block ×5, first 2 shown]
	s_mov_b32 s4, exec_lo
	s_waitcnt vmcnt(21) lgkmcnt(4)
	v_mul_f32_e32 v30, v31, v51
	v_mul_f32_e32 v51, v32, v51
	s_waitcnt vmcnt(20)
	v_mul_f32_e32 v73, v33, v52
	v_mul_f32_e32 v52, v34, v52
	s_waitcnt vmcnt(19) lgkmcnt(3)
	v_mul_f32_e32 v74, v35, v53
	s_waitcnt vmcnt(18)
	v_mul_f32_e32 v75, v37, v54
	s_waitcnt vmcnt(17) lgkmcnt(2)
	v_mul_f32_e32 v76, v39, v55
	s_waitcnt vmcnt(16)
	;; [unrolled: 4-line block ×3, first 2 shown]
	v_mul_f32_e32 v79, v45, v58
	s_waitcnt vmcnt(11)
	v_fma_f32 v31, v31, v61, -v51
	v_fmac_f32_e32 v30, v32, v61
	v_mul_f32_e32 v32, v36, v53
	s_waitcnt vmcnt(10)
	v_fma_f32 v33, v33, v62, -v52
	v_fmac_f32_e32 v73, v34, v62
	v_add_f32_e32 v31, 0, v31
	v_add_f32_e32 v30, 0, v30
	v_mul_f32_e32 v34, v38, v54
	s_waitcnt vmcnt(9)
	v_fma_f32 v32, v35, v63, -v32
	v_fmac_f32_e32 v74, v36, v63
	v_add_f32_e32 v31, v31, v33
	v_add_f32_e32 v30, v30, v73
	;; [unrolled: 6-line block ×6, first 2 shown]
	s_waitcnt lgkmcnt(0)
	v_mul_f32_e32 v32, v48, v59
	s_waitcnt vmcnt(4)
	v_fma_f32 v33, v45, v68, -v33
	v_mul_f32_e32 v80, v47, v59
	v_add_f32_e32 v31, v31, v34
	v_fmac_f32_e32 v79, v46, v68
	v_add_f32_e32 v30, v30, v78
	v_mul_f32_e32 v34, v50, v60
	s_waitcnt vmcnt(3)
	v_fma_f32 v32, v47, v69, -v32
	v_add_f32_e32 v31, v31, v33
	v_mul_f32_e32 v81, v49, v60
	v_fmac_f32_e32 v80, v48, v69
	v_add_f32_e32 v30, v30, v79
	s_waitcnt vmcnt(2)
	v_fma_f32 v33, v49, v70, -v34
	v_add_f32_e32 v31, v31, v32
	v_fmac_f32_e32 v81, v50, v70
	v_add_f32_e32 v30, v30, v80
	v_add_f32_e32 v31, v31, v33
	;; [unrolled: 1-line block ×3, first 2 shown]
	s_waitcnt vmcnt(1)
	v_sub_f32_e32 v31, v71, v31
	s_waitcnt vmcnt(0)
	v_sub_f32_e32 v30, v72, v30
	buffer_store_dword v31, off, s[0:3], 0 offset:24
	buffer_store_dword v30, off, s[0:3], 0 offset:28
	v_cmpx_lt_u32_e32 2, v0
	s_cbranch_execz .LBB77_93
; %bb.92:
	s_clause 0x1
	buffer_load_dword v30, off, s[0:3], 0 offset:16
	buffer_load_dword v31, off, s[0:3], 0 offset:20
	v_mov_b32_e32 v32, 0
	buffer_store_dword v32, off, s[0:3], 0 offset:16
	buffer_store_dword v32, off, s[0:3], 0 offset:20
	s_waitcnt vmcnt(0)
	ds_write_b64 v29, v[30:31]
.LBB77_93:
	s_or_b32 exec_lo, exec_lo, s4
	s_waitcnt lgkmcnt(0)
	s_waitcnt_vscnt null, 0x0
	s_barrier
	buffer_gl0_inv
	s_clause 0x17
	buffer_load_dword v53, off, s[0:3], 0 offset:28
	buffer_load_dword v54, off, s[0:3], 0 offset:36
	;; [unrolled: 1-line block ×24, first 2 shown]
	v_mov_b32_e32 v30, 0
	ds_read2_b64 v[31:34], v30 offset0:17 offset1:18
	ds_read2_b64 v[35:38], v30 offset0:19 offset1:20
	;; [unrolled: 1-line block ×5, first 2 shown]
	ds_read_b64 v[51:52], v30 offset:216
	s_mov_b32 s4, exec_lo
	s_waitcnt vmcnt(23) lgkmcnt(5)
	v_mul_f32_e32 v77, v31, v53
	v_mul_f32_e32 v53, v32, v53
	s_waitcnt vmcnt(22)
	v_mul_f32_e32 v78, v33, v54
	v_mul_f32_e32 v54, v34, v54
	s_waitcnt vmcnt(21) lgkmcnt(4)
	v_mul_f32_e32 v79, v35, v55
	s_waitcnt vmcnt(20)
	v_mul_f32_e32 v80, v37, v56
	s_waitcnt vmcnt(19) lgkmcnt(3)
	v_mul_f32_e32 v81, v39, v57
	s_waitcnt vmcnt(18)
	v_mul_f32_e32 v82, v41, v58
	s_waitcnt vmcnt(17) lgkmcnt(2)
	v_mul_f32_e32 v83, v43, v59
	s_waitcnt vmcnt(16)
	v_mul_f32_e32 v84, v45, v60
	s_waitcnt vmcnt(15) lgkmcnt(1)
	v_mul_f32_e32 v85, v47, v61
	s_waitcnt vmcnt(12)
	v_fma_f32 v31, v31, v64, -v53
	v_fmac_f32_e32 v77, v32, v64
	v_mul_f32_e32 v32, v36, v55
	s_waitcnt vmcnt(11)
	v_fma_f32 v33, v33, v65, -v54
	v_fmac_f32_e32 v78, v34, v65
	v_add_f32_e32 v31, 0, v31
	v_add_f32_e32 v34, 0, v77
	v_mul_f32_e32 v53, v38, v56
	s_waitcnt vmcnt(10)
	v_fma_f32 v32, v35, v66, -v32
	v_fmac_f32_e32 v79, v36, v66
	v_add_f32_e32 v31, v31, v33
	v_add_f32_e32 v33, v34, v78
	v_mul_f32_e32 v34, v40, v57
	s_waitcnt vmcnt(9)
	v_fma_f32 v35, v37, v67, -v53
	v_fmac_f32_e32 v80, v38, v67
	v_add_f32_e32 v31, v31, v32
	v_add_f32_e32 v32, v33, v79
	v_mul_f32_e32 v33, v42, v58
	s_waitcnt vmcnt(8)
	v_fma_f32 v34, v39, v68, -v34
	v_fmac_f32_e32 v81, v40, v68
	v_add_f32_e32 v31, v31, v35
	v_add_f32_e32 v32, v32, v80
	v_mul_f32_e32 v35, v44, v59
	s_waitcnt vmcnt(7)
	v_fma_f32 v33, v41, v69, -v33
	v_fmac_f32_e32 v82, v42, v69
	v_add_f32_e32 v31, v31, v34
	v_add_f32_e32 v32, v32, v81
	v_mul_f32_e32 v34, v46, v60
	s_waitcnt vmcnt(6)
	v_fma_f32 v35, v43, v70, -v35
	v_fmac_f32_e32 v83, v44, v70
	v_add_f32_e32 v31, v31, v33
	v_add_f32_e32 v32, v32, v82
	v_mul_f32_e32 v33, v48, v61
	s_waitcnt vmcnt(5)
	v_fma_f32 v34, v45, v71, -v34
	v_fmac_f32_e32 v84, v46, v71
	v_add_f32_e32 v31, v31, v35
	v_add_f32_e32 v32, v32, v83
	v_mul_f32_e32 v35, v50, v62
	s_waitcnt vmcnt(4)
	v_fma_f32 v33, v47, v72, -v33
	v_mul_f32_e32 v86, v49, v62
	v_add_f32_e32 v31, v31, v34
	v_fmac_f32_e32 v85, v48, v72
	v_add_f32_e32 v32, v32, v84
	s_waitcnt lgkmcnt(0)
	v_mul_f32_e32 v34, v52, v63
	s_waitcnt vmcnt(3)
	v_fma_f32 v35, v49, v73, -v35
	v_add_f32_e32 v31, v31, v33
	v_mul_f32_e32 v87, v51, v63
	v_fmac_f32_e32 v86, v50, v73
	v_add_f32_e32 v32, v32, v85
	s_waitcnt vmcnt(2)
	v_fma_f32 v33, v51, v74, -v34
	v_add_f32_e32 v31, v31, v35
	v_fmac_f32_e32 v87, v52, v74
	v_add_f32_e32 v32, v32, v86
	v_add_f32_e32 v31, v31, v33
	;; [unrolled: 1-line block ×3, first 2 shown]
	s_waitcnt vmcnt(1)
	v_sub_f32_e32 v31, v75, v31
	s_waitcnt vmcnt(0)
	v_sub_f32_e32 v32, v76, v32
	buffer_store_dword v31, off, s[0:3], 0 offset:16
	buffer_store_dword v32, off, s[0:3], 0 offset:20
	v_cmpx_lt_u32_e32 1, v0
	s_cbranch_execz .LBB77_95
; %bb.94:
	s_clause 0x1
	buffer_load_dword v31, off, s[0:3], 0 offset:8
	buffer_load_dword v32, off, s[0:3], 0 offset:12
	buffer_store_dword v30, off, s[0:3], 0 offset:8
	buffer_store_dword v30, off, s[0:3], 0 offset:12
	s_waitcnt vmcnt(0)
	ds_write_b64 v29, v[31:32]
.LBB77_95:
	s_or_b32 exec_lo, exec_lo, s4
	s_waitcnt lgkmcnt(0)
	s_waitcnt_vscnt null, 0x0
	s_barrier
	buffer_gl0_inv
	s_clause 0x19
	buffer_load_dword v55, off, s[0:3], 0 offset:20
	buffer_load_dword v56, off, s[0:3], 0 offset:28
	;; [unrolled: 1-line block ×26, first 2 shown]
	ds_read_b128 v[31:34], v30 offset:128
	ds_read_b128 v[35:38], v30 offset:144
	;; [unrolled: 1-line block ×6, first 2 shown]
	s_mov_b32 s4, exec_lo
	s_waitcnt vmcnt(25) lgkmcnt(5)
	v_mul_f32_e32 v30, v31, v55
	v_mul_f32_e32 v55, v32, v55
	s_waitcnt vmcnt(24)
	v_mul_f32_e32 v81, v33, v56
	v_mul_f32_e32 v56, v34, v56
	s_waitcnt vmcnt(23) lgkmcnt(4)
	v_mul_f32_e32 v82, v35, v57
	s_waitcnt vmcnt(22)
	v_mul_f32_e32 v83, v37, v58
	s_waitcnt vmcnt(21) lgkmcnt(3)
	v_mul_f32_e32 v84, v39, v59
	s_waitcnt vmcnt(20)
	;; [unrolled: 4-line block ×4, first 2 shown]
	v_mul_f32_e32 v89, v49, v64
	s_waitcnt vmcnt(13)
	v_fma_f32 v31, v31, v67, -v55
	v_fmac_f32_e32 v30, v32, v67
	v_mul_f32_e32 v32, v36, v57
	s_waitcnt vmcnt(12)
	v_fma_f32 v33, v33, v68, -v56
	v_fmac_f32_e32 v81, v34, v68
	v_add_f32_e32 v31, 0, v31
	v_add_f32_e32 v30, 0, v30
	v_mul_f32_e32 v34, v38, v58
	s_waitcnt vmcnt(11)
	v_fma_f32 v32, v35, v69, -v32
	v_fmac_f32_e32 v82, v36, v69
	v_add_f32_e32 v31, v31, v33
	v_add_f32_e32 v30, v30, v81
	;; [unrolled: 6-line block ×8, first 2 shown]
	s_waitcnt lgkmcnt(0)
	v_mul_f32_e32 v33, v52, v65
	s_waitcnt vmcnt(4)
	v_fma_f32 v34, v49, v76, -v34
	v_mul_f32_e32 v90, v51, v65
	v_add_f32_e32 v31, v31, v32
	v_fmac_f32_e32 v89, v50, v76
	v_add_f32_e32 v30, v30, v88
	v_mul_f32_e32 v32, v54, v66
	s_waitcnt vmcnt(3)
	v_fma_f32 v33, v51, v77, -v33
	v_add_f32_e32 v31, v31, v34
	v_mul_f32_e32 v91, v53, v66
	v_fmac_f32_e32 v90, v52, v77
	v_add_f32_e32 v30, v30, v89
	s_waitcnt vmcnt(2)
	v_fma_f32 v32, v53, v78, -v32
	v_add_f32_e32 v31, v31, v33
	v_fmac_f32_e32 v91, v54, v78
	v_add_f32_e32 v30, v30, v90
	v_add_f32_e32 v31, v31, v32
	;; [unrolled: 1-line block ×3, first 2 shown]
	s_waitcnt vmcnt(1)
	v_sub_f32_e32 v31, v79, v31
	s_waitcnt vmcnt(0)
	v_sub_f32_e32 v30, v80, v30
	buffer_store_dword v31, off, s[0:3], 0 offset:8
	buffer_store_dword v30, off, s[0:3], 0 offset:12
	v_cmpx_ne_u32_e32 0, v0
	s_cbranch_execz .LBB77_97
; %bb.96:
	s_clause 0x1
	buffer_load_dword v30, off, s[0:3], 0
	buffer_load_dword v31, off, s[0:3], 0 offset:4
	v_mov_b32_e32 v0, 0
	buffer_store_dword v0, off, s[0:3], 0
	buffer_store_dword v0, off, s[0:3], 0 offset:4
	s_waitcnt vmcnt(0)
	ds_write_b64 v29, v[30:31]
.LBB77_97:
	s_or_b32 exec_lo, exec_lo, s4
	s_waitcnt lgkmcnt(0)
	s_waitcnt_vscnt null, 0x0
	s_barrier
	buffer_gl0_inv
	s_clause 0x1b
	buffer_load_dword v57, off, s[0:3], 0 offset:12
	buffer_load_dword v58, off, s[0:3], 0 offset:20
	;; [unrolled: 1-line block ×26, first 2 shown]
	buffer_load_dword v81, off, s[0:3], 0
	buffer_load_dword v82, off, s[0:3], 0 offset:4
	v_mov_b32_e32 v30, 0
	ds_read2_b64 v[31:34], v30 offset0:15 offset1:16
	ds_read2_b64 v[35:38], v30 offset0:17 offset1:18
	;; [unrolled: 1-line block ×6, first 2 shown]
	ds_read_b64 v[55:56], v30 offset:216
	s_and_b32 vcc_lo, exec_lo, s16
	s_waitcnt vmcnt(27) lgkmcnt(6)
	v_mul_f32_e32 v83, v31, v57
	v_mul_f32_e32 v57, v32, v57
	s_waitcnt vmcnt(26)
	v_mul_f32_e32 v84, v33, v58
	v_mul_f32_e32 v58, v34, v58
	s_waitcnt vmcnt(25) lgkmcnt(5)
	v_mul_f32_e32 v85, v35, v59
	s_waitcnt vmcnt(24)
	v_mul_f32_e32 v86, v37, v60
	s_waitcnt vmcnt(23) lgkmcnt(4)
	v_mul_f32_e32 v87, v39, v61
	s_waitcnt vmcnt(22)
	;; [unrolled: 4-line block ×5, first 2 shown]
	v_fma_f32 v31, v31, v69, -v57
	v_fmac_f32_e32 v83, v32, v69
	v_mul_f32_e32 v32, v36, v59
	s_waitcnt vmcnt(13)
	v_fma_f32 v33, v33, v70, -v58
	v_fmac_f32_e32 v84, v34, v70
	v_add_f32_e32 v31, 0, v31
	v_add_f32_e32 v34, 0, v83
	v_mul_f32_e32 v57, v38, v60
	s_waitcnt vmcnt(12)
	v_fma_f32 v32, v35, v71, -v32
	v_fmac_f32_e32 v85, v36, v71
	v_add_f32_e32 v31, v31, v33
	v_add_f32_e32 v33, v34, v84
	;; [unrolled: 6-line block ×9, first 2 shown]
	v_mul_f32_e32 v33, v54, v0
	s_waitcnt vmcnt(4)
	v_fma_f32 v34, v51, v79, -v34
	v_mul_f32_e32 v94, v53, v0
	v_add_f32_e32 v31, v31, v35
	v_fmac_f32_e32 v93, v52, v79
	v_add_f32_e32 v32, v32, v92
	s_waitcnt lgkmcnt(0)
	v_mul_f32_e32 v35, v56, v68
	s_waitcnt vmcnt(2)
	v_fma_f32 v33, v53, v29, -v33
	v_add_f32_e32 v31, v31, v34
	v_mul_f32_e32 v95, v55, v68
	v_fmac_f32_e32 v94, v54, v29
	v_add_f32_e32 v32, v32, v93
	v_fma_f32 v34, v55, v80, -v35
	v_add_f32_e32 v31, v31, v33
	v_fmac_f32_e32 v95, v56, v80
	v_add_f32_e32 v32, v32, v94
	v_add_f32_e32 v31, v31, v34
	;; [unrolled: 1-line block ×3, first 2 shown]
	s_waitcnt vmcnt(1)
	v_sub_f32_e32 v31, v81, v31
	s_waitcnt vmcnt(0)
	v_sub_f32_e32 v32, v82, v32
	buffer_store_dword v31, off, s[0:3], 0
	buffer_store_dword v32, off, s[0:3], 0 offset:4
	s_cbranch_vccz .LBB77_124
; %bb.98:
	global_load_dword v30, v30, s[12:13] offset:48
	s_waitcnt vmcnt(0)
	v_add_nc_u32_e32 v30, -1, v30
	v_cmp_ne_u32_e32 vcc_lo, 12, v30
	s_cbranch_vccz .LBB77_100
; %bb.99:
	v_lshlrev_b32_e32 v30, 3, v30
	s_clause 0x1
	buffer_load_dword v31, v30, s[0:3], 0 offen offset:4
	buffer_load_dword v32, v30, s[0:3], 0 offen
	s_waitcnt vmcnt(1)
	buffer_store_dword v31, off, s[0:3], 0 offset:100
	s_waitcnt vmcnt(0)
	buffer_store_dword v32, off, s[0:3], 0 offset:96
	buffer_store_dword v0, v30, s[0:3], 0 offen offset:4
	buffer_store_dword v29, v30, s[0:3], 0 offen
.LBB77_100:
	v_mov_b32_e32 v0, 0
	global_load_dword v29, v0, s[12:13] offset:44
	s_waitcnt vmcnt(0)
	v_add_nc_u32_e32 v29, -1, v29
	v_cmp_eq_u32_e32 vcc_lo, 11, v29
	s_cbranch_vccnz .LBB77_102
; %bb.101:
	v_lshlrev_b32_e32 v29, 3, v29
	s_clause 0x3
	buffer_load_dword v30, v29, s[0:3], 0 offen
	buffer_load_dword v31, v29, s[0:3], 0 offen offset:4
	buffer_load_dword v32, off, s[0:3], 0 offset:88
	buffer_load_dword v33, off, s[0:3], 0 offset:92
	s_waitcnt vmcnt(3)
	buffer_store_dword v30, off, s[0:3], 0 offset:88
	s_waitcnt vmcnt(2)
	buffer_store_dword v31, off, s[0:3], 0 offset:92
	s_waitcnt vmcnt(1)
	buffer_store_dword v32, v29, s[0:3], 0 offen
	s_waitcnt vmcnt(0)
	buffer_store_dword v33, v29, s[0:3], 0 offen offset:4
.LBB77_102:
	global_load_dword v0, v0, s[12:13] offset:40
	s_waitcnt vmcnt(0)
	v_add_nc_u32_e32 v0, -1, v0
	v_cmp_eq_u32_e32 vcc_lo, 10, v0
	s_cbranch_vccnz .LBB77_104
; %bb.103:
	v_lshlrev_b32_e32 v0, 3, v0
	s_clause 0x3
	buffer_load_dword v29, v0, s[0:3], 0 offen
	buffer_load_dword v30, v0, s[0:3], 0 offen offset:4
	buffer_load_dword v31, off, s[0:3], 0 offset:84
	buffer_load_dword v32, off, s[0:3], 0 offset:80
	s_waitcnt vmcnt(3)
	buffer_store_dword v29, off, s[0:3], 0 offset:80
	s_waitcnt vmcnt(2)
	buffer_store_dword v30, off, s[0:3], 0 offset:84
	s_waitcnt vmcnt(1)
	buffer_store_dword v31, v0, s[0:3], 0 offen offset:4
	s_waitcnt vmcnt(0)
	buffer_store_dword v32, v0, s[0:3], 0 offen
.LBB77_104:
	v_mov_b32_e32 v0, 0
	global_load_dword v29, v0, s[12:13] offset:36
	s_waitcnt vmcnt(0)
	v_add_nc_u32_e32 v29, -1, v29
	v_cmp_eq_u32_e32 vcc_lo, 9, v29
	s_cbranch_vccnz .LBB77_106
; %bb.105:
	v_lshlrev_b32_e32 v29, 3, v29
	s_clause 0x3
	buffer_load_dword v30, v29, s[0:3], 0 offen
	buffer_load_dword v31, v29, s[0:3], 0 offen offset:4
	buffer_load_dword v32, off, s[0:3], 0 offset:72
	buffer_load_dword v33, off, s[0:3], 0 offset:76
	s_waitcnt vmcnt(3)
	buffer_store_dword v30, off, s[0:3], 0 offset:72
	s_waitcnt vmcnt(2)
	buffer_store_dword v31, off, s[0:3], 0 offset:76
	s_waitcnt vmcnt(1)
	buffer_store_dword v32, v29, s[0:3], 0 offen
	s_waitcnt vmcnt(0)
	buffer_store_dword v33, v29, s[0:3], 0 offen offset:4
.LBB77_106:
	global_load_dword v0, v0, s[12:13] offset:32
	s_waitcnt vmcnt(0)
	v_add_nc_u32_e32 v0, -1, v0
	v_cmp_eq_u32_e32 vcc_lo, 8, v0
	s_cbranch_vccnz .LBB77_108
; %bb.107:
	v_lshlrev_b32_e32 v0, 3, v0
	s_clause 0x3
	buffer_load_dword v29, v0, s[0:3], 0 offen
	buffer_load_dword v30, v0, s[0:3], 0 offen offset:4
	buffer_load_dword v31, off, s[0:3], 0 offset:68
	buffer_load_dword v32, off, s[0:3], 0 offset:64
	s_waitcnt vmcnt(3)
	buffer_store_dword v29, off, s[0:3], 0 offset:64
	s_waitcnt vmcnt(2)
	buffer_store_dword v30, off, s[0:3], 0 offset:68
	s_waitcnt vmcnt(1)
	buffer_store_dword v31, v0, s[0:3], 0 offen offset:4
	s_waitcnt vmcnt(0)
	buffer_store_dword v32, v0, s[0:3], 0 offen
.LBB77_108:
	;; [unrolled: 43-line block ×5, first 2 shown]
	v_mov_b32_e32 v0, 0
	global_load_dword v29, v0, s[12:13] offset:4
	s_waitcnt vmcnt(0)
	v_add_nc_u32_e32 v29, -1, v29
	v_cmp_eq_u32_e32 vcc_lo, 1, v29
	s_cbranch_vccnz .LBB77_122
; %bb.121:
	v_lshlrev_b32_e32 v29, 3, v29
	s_clause 0x3
	buffer_load_dword v30, v29, s[0:3], 0 offen
	buffer_load_dword v31, v29, s[0:3], 0 offen offset:4
	buffer_load_dword v32, off, s[0:3], 0 offset:8
	buffer_load_dword v33, off, s[0:3], 0 offset:12
	s_waitcnt vmcnt(3)
	buffer_store_dword v30, off, s[0:3], 0 offset:8
	s_waitcnt vmcnt(2)
	buffer_store_dword v31, off, s[0:3], 0 offset:12
	s_waitcnt vmcnt(1)
	buffer_store_dword v32, v29, s[0:3], 0 offen
	s_waitcnt vmcnt(0)
	buffer_store_dword v33, v29, s[0:3], 0 offen offset:4
.LBB77_122:
	global_load_dword v0, v0, s[12:13]
	s_waitcnt vmcnt(0)
	v_add_nc_u32_e32 v0, -1, v0
	v_cmp_eq_u32_e32 vcc_lo, 0, v0
	s_cbranch_vccnz .LBB77_124
; %bb.123:
	v_lshlrev_b32_e32 v0, 3, v0
	s_clause 0x3
	buffer_load_dword v29, v0, s[0:3], 0 offen
	buffer_load_dword v30, v0, s[0:3], 0 offen offset:4
	buffer_load_dword v31, off, s[0:3], 0 offset:4
	buffer_load_dword v32, off, s[0:3], 0
	s_waitcnt vmcnt(3)
	buffer_store_dword v29, off, s[0:3], 0
	s_waitcnt vmcnt(2)
	buffer_store_dword v30, off, s[0:3], 0 offset:4
	s_waitcnt vmcnt(1)
	buffer_store_dword v31, v0, s[0:3], 0 offen offset:4
	s_waitcnt vmcnt(0)
	buffer_store_dword v32, v0, s[0:3], 0 offen
.LBB77_124:
	s_clause 0x1
	buffer_load_dword v29, off, s[0:3], 0
	buffer_load_dword v30, off, s[0:3], 0 offset:4
	s_waitcnt vmcnt(0)
	flat_store_dwordx2 v[1:2], v[29:30]
	s_clause 0x1
	buffer_load_dword v0, off, s[0:3], 0 offset:8
	buffer_load_dword v1, off, s[0:3], 0 offset:12
	s_waitcnt vmcnt(0)
	flat_store_dwordx2 v[3:4], v[0:1]
	s_clause 0x1
	buffer_load_dword v0, off, s[0:3], 0 offset:16
	;; [unrolled: 5-line block ×13, first 2 shown]
	buffer_load_dword v1, off, s[0:3], 0 offset:108
	s_waitcnt vmcnt(0)
	flat_store_dwordx2 v[27:28], v[0:1]
	s_endpgm
	.section	.rodata,"a",@progbits
	.p2align	6, 0x0
	.amdhsa_kernel _ZN9rocsolver6v33100L18getri_kernel_smallILi14E19rocblas_complex_numIfEPKPS3_EEvT1_iilPiilS8_bb
		.amdhsa_group_segment_fixed_size 228
		.amdhsa_private_segment_fixed_size 128
		.amdhsa_kernarg_size 60
		.amdhsa_user_sgpr_count 6
		.amdhsa_user_sgpr_private_segment_buffer 1
		.amdhsa_user_sgpr_dispatch_ptr 0
		.amdhsa_user_sgpr_queue_ptr 0
		.amdhsa_user_sgpr_kernarg_segment_ptr 1
		.amdhsa_user_sgpr_dispatch_id 0
		.amdhsa_user_sgpr_flat_scratch_init 0
		.amdhsa_user_sgpr_private_segment_size 0
		.amdhsa_wavefront_size32 1
		.amdhsa_uses_dynamic_stack 0
		.amdhsa_system_sgpr_private_segment_wavefront_offset 1
		.amdhsa_system_sgpr_workgroup_id_x 1
		.amdhsa_system_sgpr_workgroup_id_y 0
		.amdhsa_system_sgpr_workgroup_id_z 0
		.amdhsa_system_sgpr_workgroup_info 0
		.amdhsa_system_vgpr_workitem_id 0
		.amdhsa_next_free_vgpr 96
		.amdhsa_next_free_sgpr 20
		.amdhsa_reserve_vcc 1
		.amdhsa_reserve_flat_scratch 0
		.amdhsa_float_round_mode_32 0
		.amdhsa_float_round_mode_16_64 0
		.amdhsa_float_denorm_mode_32 3
		.amdhsa_float_denorm_mode_16_64 3
		.amdhsa_dx10_clamp 1
		.amdhsa_ieee_mode 1
		.amdhsa_fp16_overflow 0
		.amdhsa_workgroup_processor_mode 1
		.amdhsa_memory_ordered 1
		.amdhsa_forward_progress 1
		.amdhsa_shared_vgpr_count 0
		.amdhsa_exception_fp_ieee_invalid_op 0
		.amdhsa_exception_fp_denorm_src 0
		.amdhsa_exception_fp_ieee_div_zero 0
		.amdhsa_exception_fp_ieee_overflow 0
		.amdhsa_exception_fp_ieee_underflow 0
		.amdhsa_exception_fp_ieee_inexact 0
		.amdhsa_exception_int_div_zero 0
	.end_amdhsa_kernel
	.section	.text._ZN9rocsolver6v33100L18getri_kernel_smallILi14E19rocblas_complex_numIfEPKPS3_EEvT1_iilPiilS8_bb,"axG",@progbits,_ZN9rocsolver6v33100L18getri_kernel_smallILi14E19rocblas_complex_numIfEPKPS3_EEvT1_iilPiilS8_bb,comdat
.Lfunc_end77:
	.size	_ZN9rocsolver6v33100L18getri_kernel_smallILi14E19rocblas_complex_numIfEPKPS3_EEvT1_iilPiilS8_bb, .Lfunc_end77-_ZN9rocsolver6v33100L18getri_kernel_smallILi14E19rocblas_complex_numIfEPKPS3_EEvT1_iilPiilS8_bb
                                        ; -- End function
	.set _ZN9rocsolver6v33100L18getri_kernel_smallILi14E19rocblas_complex_numIfEPKPS3_EEvT1_iilPiilS8_bb.num_vgpr, 96
	.set _ZN9rocsolver6v33100L18getri_kernel_smallILi14E19rocblas_complex_numIfEPKPS3_EEvT1_iilPiilS8_bb.num_agpr, 0
	.set _ZN9rocsolver6v33100L18getri_kernel_smallILi14E19rocblas_complex_numIfEPKPS3_EEvT1_iilPiilS8_bb.numbered_sgpr, 20
	.set _ZN9rocsolver6v33100L18getri_kernel_smallILi14E19rocblas_complex_numIfEPKPS3_EEvT1_iilPiilS8_bb.num_named_barrier, 0
	.set _ZN9rocsolver6v33100L18getri_kernel_smallILi14E19rocblas_complex_numIfEPKPS3_EEvT1_iilPiilS8_bb.private_seg_size, 128
	.set _ZN9rocsolver6v33100L18getri_kernel_smallILi14E19rocblas_complex_numIfEPKPS3_EEvT1_iilPiilS8_bb.uses_vcc, 1
	.set _ZN9rocsolver6v33100L18getri_kernel_smallILi14E19rocblas_complex_numIfEPKPS3_EEvT1_iilPiilS8_bb.uses_flat_scratch, 0
	.set _ZN9rocsolver6v33100L18getri_kernel_smallILi14E19rocblas_complex_numIfEPKPS3_EEvT1_iilPiilS8_bb.has_dyn_sized_stack, 0
	.set _ZN9rocsolver6v33100L18getri_kernel_smallILi14E19rocblas_complex_numIfEPKPS3_EEvT1_iilPiilS8_bb.has_recursion, 0
	.set _ZN9rocsolver6v33100L18getri_kernel_smallILi14E19rocblas_complex_numIfEPKPS3_EEvT1_iilPiilS8_bb.has_indirect_call, 0
	.section	.AMDGPU.csdata,"",@progbits
; Kernel info:
; codeLenInByte = 13980
; TotalNumSgprs: 22
; NumVgprs: 96
; ScratchSize: 128
; MemoryBound: 0
; FloatMode: 240
; IeeeMode: 1
; LDSByteSize: 228 bytes/workgroup (compile time only)
; SGPRBlocks: 0
; VGPRBlocks: 11
; NumSGPRsForWavesPerEU: 22
; NumVGPRsForWavesPerEU: 96
; Occupancy: 10
; WaveLimiterHint : 1
; COMPUTE_PGM_RSRC2:SCRATCH_EN: 1
; COMPUTE_PGM_RSRC2:USER_SGPR: 6
; COMPUTE_PGM_RSRC2:TRAP_HANDLER: 0
; COMPUTE_PGM_RSRC2:TGID_X_EN: 1
; COMPUTE_PGM_RSRC2:TGID_Y_EN: 0
; COMPUTE_PGM_RSRC2:TGID_Z_EN: 0
; COMPUTE_PGM_RSRC2:TIDIG_COMP_CNT: 0
	.section	.text._ZN9rocsolver6v33100L18getri_kernel_smallILi15E19rocblas_complex_numIfEPKPS3_EEvT1_iilPiilS8_bb,"axG",@progbits,_ZN9rocsolver6v33100L18getri_kernel_smallILi15E19rocblas_complex_numIfEPKPS3_EEvT1_iilPiilS8_bb,comdat
	.globl	_ZN9rocsolver6v33100L18getri_kernel_smallILi15E19rocblas_complex_numIfEPKPS3_EEvT1_iilPiilS8_bb ; -- Begin function _ZN9rocsolver6v33100L18getri_kernel_smallILi15E19rocblas_complex_numIfEPKPS3_EEvT1_iilPiilS8_bb
	.p2align	8
	.type	_ZN9rocsolver6v33100L18getri_kernel_smallILi15E19rocblas_complex_numIfEPKPS3_EEvT1_iilPiilS8_bb,@function
_ZN9rocsolver6v33100L18getri_kernel_smallILi15E19rocblas_complex_numIfEPKPS3_EEvT1_iilPiilS8_bb: ; @_ZN9rocsolver6v33100L18getri_kernel_smallILi15E19rocblas_complex_numIfEPKPS3_EEvT1_iilPiilS8_bb
; %bb.0:
	s_add_u32 s0, s0, s7
	s_addc_u32 s1, s1, 0
	s_mov_b32 s7, exec_lo
	v_cmpx_gt_u32_e32 15, v0
	s_cbranch_execz .LBB78_74
; %bb.1:
	s_clause 0x2
	s_load_dword s17, s[4:5], 0x38
	s_load_dwordx2 s[12:13], s[4:5], 0x0
	s_load_dwordx4 s[8:11], s[4:5], 0x28
	s_waitcnt lgkmcnt(0)
	s_bitcmp1_b32 s17, 8
	s_cselect_b32 s16, -1, 0
	s_ashr_i32 s7, s6, 31
	s_lshl_b64 s[14:15], s[6:7], 3
	s_add_u32 s12, s12, s14
	s_addc_u32 s13, s13, s15
	s_load_dwordx2 s[14:15], s[12:13], 0x0
	s_bfe_u32 s12, s17, 0x10008
	s_cmp_eq_u32 s12, 0
                                        ; implicit-def: $sgpr12_sgpr13
	s_cbranch_scc1 .LBB78_3
; %bb.2:
	s_clause 0x1
	s_load_dword s12, s[4:5], 0x20
	s_load_dwordx2 s[18:19], s[4:5], 0x18
	s_mul_i32 s13, s8, s7
	s_mul_hi_u32 s17, s8, s6
	s_mul_i32 s9, s9, s6
	s_add_i32 s13, s17, s13
	s_mul_i32 s8, s8, s6
	s_add_i32 s9, s13, s9
	s_lshl_b64 s[8:9], s[8:9], 2
	s_waitcnt lgkmcnt(0)
	s_ashr_i32 s13, s12, 31
	s_add_u32 s17, s18, s8
	s_addc_u32 s18, s19, s9
	s_lshl_b64 s[8:9], s[12:13], 2
	s_add_u32 s12, s17, s8
	s_addc_u32 s13, s18, s9
.LBB78_3:
	s_clause 0x1
	s_load_dwordx2 s[8:9], s[4:5], 0x8
	s_load_dword s4, s[4:5], 0x38
	v_lshlrev_b32_e32 v33, 3, v0
	s_waitcnt lgkmcnt(0)
	s_ashr_i32 s19, s8, 31
	s_mov_b32 s18, s8
	v_add3_u32 v9, s9, s9, v0
	s_lshl_b64 s[18:19], s[18:19], 3
	s_add_u32 s5, s14, s18
	s_addc_u32 s8, s15, s19
	v_add_co_u32 v1, s14, s5, v33
	v_add_co_ci_u32_e64 v2, null, s8, 0, s14
	s_mov_b32 s14, s9
	s_ashr_i32 s15, s9, 31
	v_ashrrev_i32_e32 v10, 31, v9
	flat_load_dwordx2 v[5:6], v[1:2]
	s_lshl_b64 s[14:15], s[14:15], 3
	v_add_nc_u32_e32 v12, s9, v9
	v_add_co_u32 v3, vcc_lo, v1, s14
	v_add_co_ci_u32_e64 v4, null, s15, v2, vcc_lo
	v_ashrrev_i32_e32 v13, 31, v12
	s_bitcmp0_b32 s4, 0
	s_waitcnt vmcnt(0) lgkmcnt(0)
	buffer_store_dword v6, off, s[0:3], 0 offset:4
	buffer_store_dword v5, off, s[0:3], 0
	flat_load_dwordx2 v[7:8], v[3:4]
	v_lshlrev_b64 v[5:6], 3, v[9:10]
	s_waitcnt vmcnt(0) lgkmcnt(0)
	buffer_store_dword v8, off, s[0:3], 0 offset:12
	buffer_store_dword v7, off, s[0:3], 0 offset:8
	v_add_co_u32 v5, vcc_lo, s5, v5
	v_add_co_ci_u32_e64 v6, null, s8, v6, vcc_lo
	v_lshlrev_b64 v[7:8], 3, v[12:13]
	flat_load_dwordx2 v[10:11], v[5:6]
	s_waitcnt vmcnt(0) lgkmcnt(0)
	buffer_store_dword v11, off, s[0:3], 0 offset:20
	buffer_store_dword v10, off, s[0:3], 0 offset:16
	v_add_co_u32 v7, vcc_lo, s5, v7
	v_add_co_ci_u32_e64 v8, null, s8, v8, vcc_lo
	v_add_nc_u32_e32 v11, s9, v12
	flat_load_dwordx2 v[13:14], v[7:8]
	s_waitcnt vmcnt(0) lgkmcnt(0)
	buffer_store_dword v14, off, s[0:3], 0 offset:28
	buffer_store_dword v13, off, s[0:3], 0 offset:24
	v_ashrrev_i32_e32 v12, 31, v11
	v_add_nc_u32_e32 v15, s9, v11
	v_lshlrev_b64 v[9:10], 3, v[11:12]
	v_ashrrev_i32_e32 v16, 31, v15
	v_add_nc_u32_e32 v18, s9, v15
	v_add_co_u32 v9, vcc_lo, s5, v9
	v_add_co_ci_u32_e64 v10, null, s8, v10, vcc_lo
	v_lshlrev_b64 v[11:12], 3, v[15:16]
	v_ashrrev_i32_e32 v19, 31, v18
	flat_load_dwordx2 v[13:14], v[9:10]
	s_waitcnt vmcnt(0) lgkmcnt(0)
	buffer_store_dword v14, off, s[0:3], 0 offset:36
	buffer_store_dword v13, off, s[0:3], 0 offset:32
	v_add_co_u32 v11, vcc_lo, s5, v11
	v_add_co_ci_u32_e64 v12, null, s8, v12, vcc_lo
	v_lshlrev_b64 v[13:14], 3, v[18:19]
	flat_load_dwordx2 v[16:17], v[11:12]
	s_waitcnt vmcnt(0) lgkmcnt(0)
	buffer_store_dword v17, off, s[0:3], 0 offset:44
	buffer_store_dword v16, off, s[0:3], 0 offset:40
	v_add_co_u32 v13, vcc_lo, s5, v13
	v_add_co_ci_u32_e64 v14, null, s8, v14, vcc_lo
	v_add_nc_u32_e32 v17, s9, v18
	flat_load_dwordx2 v[19:20], v[13:14]
	s_waitcnt vmcnt(0) lgkmcnt(0)
	buffer_store_dword v20, off, s[0:3], 0 offset:52
	buffer_store_dword v19, off, s[0:3], 0 offset:48
	v_ashrrev_i32_e32 v18, 31, v17
	v_add_nc_u32_e32 v21, s9, v17
	v_lshlrev_b64 v[15:16], 3, v[17:18]
	v_ashrrev_i32_e32 v22, 31, v21
	v_add_nc_u32_e32 v24, s9, v21
	v_add_co_u32 v15, vcc_lo, s5, v15
	v_add_co_ci_u32_e64 v16, null, s8, v16, vcc_lo
	v_lshlrev_b64 v[17:18], 3, v[21:22]
	v_ashrrev_i32_e32 v25, 31, v24
	flat_load_dwordx2 v[19:20], v[15:16]
	;; [unrolled: 27-line block ×3, first 2 shown]
	s_waitcnt vmcnt(0) lgkmcnt(0)
	buffer_store_dword v26, off, s[0:3], 0 offset:84
	buffer_store_dword v25, off, s[0:3], 0 offset:80
	v_add_co_u32 v23, vcc_lo, s5, v23
	v_add_co_ci_u32_e64 v24, null, s8, v24, vcc_lo
	v_lshlrev_b64 v[25:26], 3, v[30:31]
	flat_load_dwordx2 v[28:29], v[23:24]
	s_waitcnt vmcnt(0) lgkmcnt(0)
	buffer_store_dword v29, off, s[0:3], 0 offset:92
	buffer_store_dword v28, off, s[0:3], 0 offset:88
	v_add_co_u32 v25, vcc_lo, s5, v25
	v_add_co_ci_u32_e64 v26, null, s8, v26, vcc_lo
	v_add_nc_u32_e32 v29, s9, v30
	flat_load_dwordx2 v[31:32], v[25:26]
	s_waitcnt vmcnt(0) lgkmcnt(0)
	buffer_store_dword v32, off, s[0:3], 0 offset:100
	buffer_store_dword v31, off, s[0:3], 0 offset:96
	v_ashrrev_i32_e32 v30, 31, v29
	v_lshlrev_b64 v[27:28], 3, v[29:30]
	v_add_nc_u32_e32 v29, s9, v29
	v_add_co_u32 v27, vcc_lo, s5, v27
	v_add_co_ci_u32_e64 v28, null, s8, v28, vcc_lo
	v_ashrrev_i32_e32 v30, 31, v29
	flat_load_dwordx2 v[31:32], v[27:28]
	s_waitcnt vmcnt(0) lgkmcnt(0)
	buffer_store_dword v32, off, s[0:3], 0 offset:108
	buffer_store_dword v31, off, s[0:3], 0 offset:104
	v_lshlrev_b64 v[29:30], 3, v[29:30]
	v_add_co_u32 v29, vcc_lo, s5, v29
	v_add_co_ci_u32_e64 v30, null, s8, v30, vcc_lo
	s_mov_b32 s5, -1
	flat_load_dwordx2 v[31:32], v[29:30]
	s_waitcnt vmcnt(0) lgkmcnt(0)
	buffer_store_dword v32, off, s[0:3], 0 offset:116
	buffer_store_dword v31, off, s[0:3], 0 offset:112
	s_cbranch_scc1 .LBB78_72
; %bb.4:
	v_cmp_eq_u32_e64 s4, 0, v0
	s_and_saveexec_b32 s5, s4
; %bb.5:
	v_mov_b32_e32 v31, 0
	ds_write_b32 v31, v31 offset:120
; %bb.6:
	s_or_b32 exec_lo, exec_lo, s5
	v_lshl_add_u32 v35, v0, 3, 0
	s_waitcnt lgkmcnt(0)
	s_waitcnt_vscnt null, 0x0
	s_barrier
	buffer_gl0_inv
	s_clause 0x1
	buffer_load_dword v31, v35, s[0:3], 0 offen
	buffer_load_dword v32, v35, s[0:3], 0 offen offset:4
	s_waitcnt vmcnt(1)
	v_cmp_eq_f32_e32 vcc_lo, 0, v31
	s_waitcnt vmcnt(0)
	v_cmp_eq_f32_e64 s5, 0, v32
	s_and_b32 s5, vcc_lo, s5
	s_and_saveexec_b32 s8, s5
	s_cbranch_execz .LBB78_10
; %bb.7:
	v_mov_b32_e32 v31, 0
	s_mov_b32 s9, 0
	ds_read_b32 v32, v31 offset:120
	s_waitcnt lgkmcnt(0)
	v_readfirstlane_b32 s5, v32
	v_add_nc_u32_e32 v32, 1, v0
	s_cmp_eq_u32 s5, 0
	v_cmp_gt_i32_e32 vcc_lo, s5, v32
	s_cselect_b32 s14, -1, 0
	s_or_b32 s14, s14, vcc_lo
	s_and_b32 exec_lo, exec_lo, s14
	s_cbranch_execz .LBB78_10
; %bb.8:
	v_mov_b32_e32 v34, s5
.LBB78_9:                               ; =>This Inner Loop Header: Depth=1
	ds_cmpst_rtn_b32 v34, v31, v34, v32 offset:120
	s_waitcnt lgkmcnt(0)
	v_cmp_ne_u32_e32 vcc_lo, 0, v34
	v_cmp_le_i32_e64 s5, v34, v32
	s_and_b32 s5, vcc_lo, s5
	s_and_b32 s5, exec_lo, s5
	s_or_b32 s9, s5, s9
	s_andn2_b32 exec_lo, exec_lo, s9
	s_cbranch_execnz .LBB78_9
.LBB78_10:
	s_or_b32 exec_lo, exec_lo, s8
	v_mov_b32_e32 v31, 0
	s_barrier
	buffer_gl0_inv
	ds_read_b32 v32, v31 offset:120
	s_and_saveexec_b32 s5, s4
	s_cbranch_execz .LBB78_12
; %bb.11:
	s_lshl_b64 s[8:9], s[6:7], 2
	s_add_u32 s8, s10, s8
	s_addc_u32 s9, s11, s9
	s_waitcnt lgkmcnt(0)
	global_store_dword v31, v32, s[8:9]
.LBB78_12:
	s_or_b32 exec_lo, exec_lo, s5
	s_waitcnt lgkmcnt(0)
	v_cmp_ne_u32_e32 vcc_lo, 0, v32
	s_mov_b32 s5, 0
	s_cbranch_vccnz .LBB78_72
; %bb.13:
	s_clause 0x1
	buffer_load_dword v32, v35, s[0:3], 0 offen
	buffer_load_dword v34, v35, s[0:3], 0 offen offset:4
                                        ; implicit-def: $vgpr37
                                        ; implicit-def: $vgpr36
                                        ; implicit-def: $vgpr31
	s_waitcnt vmcnt(0)
	v_cmp_ngt_f32_e64 s5, |v32|, |v34|
	s_and_saveexec_b32 s8, s5
	s_xor_b32 s5, exec_lo, s8
	s_cbranch_execz .LBB78_15
; %bb.14:
	v_div_scale_f32 v31, null, v34, v34, v32
	v_div_scale_f32 v38, vcc_lo, v32, v34, v32
	v_rcp_f32_e32 v36, v31
	v_fma_f32 v37, -v31, v36, 1.0
	v_fmac_f32_e32 v36, v37, v36
	v_mul_f32_e32 v37, v38, v36
	v_fma_f32 v39, -v31, v37, v38
	v_fmac_f32_e32 v37, v39, v36
	v_fma_f32 v31, -v31, v37, v38
	v_div_fmas_f32 v31, v31, v36, v37
	v_div_fixup_f32 v31, v31, v34, v32
	v_fmac_f32_e32 v34, v32, v31
	v_div_scale_f32 v32, null, v34, v34, 1.0
	v_rcp_f32_e32 v36, v32
	v_fma_f32 v37, -v32, v36, 1.0
	v_fmac_f32_e32 v36, v37, v36
	v_div_scale_f32 v37, vcc_lo, 1.0, v34, 1.0
	v_mul_f32_e32 v38, v37, v36
	v_fma_f32 v39, -v32, v38, v37
	v_fmac_f32_e32 v38, v39, v36
	v_fma_f32 v32, -v32, v38, v37
	v_div_fmas_f32 v32, v32, v36, v38
	v_div_fixup_f32 v32, v32, v34, 1.0
                                        ; implicit-def: $vgpr34
	v_mul_f32_e32 v37, v31, v32
	v_xor_b32_e32 v36, 0x80000000, v32
                                        ; implicit-def: $vgpr32
	v_xor_b32_e32 v31, 0x80000000, v37
.LBB78_15:
	s_andn2_saveexec_b32 s5, s5
	s_cbranch_execz .LBB78_17
; %bb.16:
	v_div_scale_f32 v31, null, v32, v32, v34
	v_div_scale_f32 v38, vcc_lo, v34, v32, v34
	v_rcp_f32_e32 v36, v31
	v_fma_f32 v37, -v31, v36, 1.0
	v_fmac_f32_e32 v36, v37, v36
	v_mul_f32_e32 v37, v38, v36
	v_fma_f32 v39, -v31, v37, v38
	v_fmac_f32_e32 v37, v39, v36
	v_fma_f32 v31, -v31, v37, v38
	v_div_fmas_f32 v31, v31, v36, v37
	v_div_fixup_f32 v36, v31, v32, v34
	v_fmac_f32_e32 v32, v34, v36
	v_div_scale_f32 v31, null, v32, v32, 1.0
	v_div_scale_f32 v38, vcc_lo, 1.0, v32, 1.0
	v_rcp_f32_e32 v34, v31
	v_fma_f32 v37, -v31, v34, 1.0
	v_fmac_f32_e32 v34, v37, v34
	v_mul_f32_e32 v37, v38, v34
	v_fma_f32 v39, -v31, v37, v38
	v_fmac_f32_e32 v37, v39, v34
	v_fma_f32 v31, -v31, v37, v38
	v_div_fmas_f32 v31, v31, v34, v37
	v_div_fixup_f32 v37, v31, v32, 1.0
	v_xor_b32_e32 v31, 0x80000000, v37
	v_mul_f32_e64 v36, v36, -v37
.LBB78_17:
	s_or_b32 exec_lo, exec_lo, s5
	buffer_store_dword v37, v35, s[0:3], 0 offen
	buffer_store_dword v36, v35, s[0:3], 0 offen offset:4
	s_clause 0x1
	buffer_load_dword v38, off, s[0:3], 0 offset:12
	buffer_load_dword v37, off, s[0:3], 0 offset:8
	v_xor_b32_e32 v32, 0x80000000, v36
	v_add_nc_u32_e32 v34, 0x80, v33
	s_waitcnt vmcnt(0)
	ds_write2_b64 v33, v[31:32], v[37:38] offset1:16
	s_waitcnt lgkmcnt(0)
	s_waitcnt_vscnt null, 0x0
	s_barrier
	buffer_gl0_inv
	s_and_saveexec_b32 s5, s4
	s_cbranch_execz .LBB78_19
; %bb.18:
	s_clause 0x1
	buffer_load_dword v38, v35, s[0:3], 0 offen offset:4
	buffer_load_dword v39, v35, s[0:3], 0 offen
	ds_read_b64 v[31:32], v34
	v_mov_b32_e32 v36, 0
	ds_read_b64 v[36:37], v36 offset:8
	s_waitcnt vmcnt(1) lgkmcnt(1)
	v_mul_f32_e32 v40, v31, v38
	v_mul_f32_e32 v38, v32, v38
	s_waitcnt vmcnt(0)
	v_fmac_f32_e32 v40, v32, v39
	v_fma_f32 v31, v31, v39, -v38
	v_add_f32_e32 v32, 0, v40
	v_add_f32_e32 v31, 0, v31
	s_waitcnt lgkmcnt(0)
	v_mul_f32_e32 v38, v32, v37
	v_mul_f32_e32 v37, v31, v37
	v_fma_f32 v31, v31, v36, -v38
	v_fmac_f32_e32 v37, v32, v36
	buffer_store_dword v31, off, s[0:3], 0 offset:8
	buffer_store_dword v37, off, s[0:3], 0 offset:12
.LBB78_19:
	s_or_b32 exec_lo, exec_lo, s5
	s_waitcnt_vscnt null, 0x0
	s_barrier
	buffer_gl0_inv
	s_clause 0x1
	buffer_load_dword v31, off, s[0:3], 0 offset:16
	buffer_load_dword v32, off, s[0:3], 0 offset:20
	s_mov_b32 s5, exec_lo
	s_waitcnt vmcnt(0)
	ds_write_b64 v34, v[31:32]
	s_waitcnt lgkmcnt(0)
	s_barrier
	buffer_gl0_inv
	v_cmpx_gt_u32_e32 2, v0
	s_cbranch_execz .LBB78_23
; %bb.20:
	s_clause 0x1
	buffer_load_dword v36, v35, s[0:3], 0 offen offset:4
	buffer_load_dword v35, v35, s[0:3], 0 offen
	ds_read_b64 v[31:32], v34
	s_waitcnt vmcnt(1) lgkmcnt(0)
	v_mul_f32_e32 v37, v32, v36
	v_mul_f32_e32 v36, v31, v36
	s_waitcnt vmcnt(0)
	v_fma_f32 v31, v31, v35, -v37
	v_fmac_f32_e32 v36, v32, v35
	v_add_f32_e32 v32, 0, v31
	v_add_f32_e32 v31, 0, v36
	s_and_saveexec_b32 s8, s4
	s_cbranch_execz .LBB78_22
; %bb.21:
	s_clause 0x1
	buffer_load_dword v37, off, s[0:3], 0 offset:12
	buffer_load_dword v38, off, s[0:3], 0 offset:8
	v_mov_b32_e32 v35, 0
	ds_read_b64 v[35:36], v35 offset:136
	s_waitcnt vmcnt(1) lgkmcnt(0)
	v_mul_f32_e32 v39, v35, v37
	v_mul_f32_e32 v37, v36, v37
	s_waitcnt vmcnt(0)
	v_fmac_f32_e32 v39, v36, v38
	v_fma_f32 v35, v35, v38, -v37
	v_add_f32_e32 v31, v31, v39
	v_add_f32_e32 v32, v32, v35
.LBB78_22:
	s_or_b32 exec_lo, exec_lo, s8
	v_mov_b32_e32 v35, 0
	ds_read_b64 v[35:36], v35 offset:16
	s_waitcnt lgkmcnt(0)
	v_mul_f32_e32 v37, v31, v36
	v_mul_f32_e32 v36, v32, v36
	v_fma_f32 v32, v32, v35, -v37
	v_fmac_f32_e32 v36, v31, v35
	buffer_store_dword v32, off, s[0:3], 0 offset:16
	buffer_store_dword v36, off, s[0:3], 0 offset:20
.LBB78_23:
	s_or_b32 exec_lo, exec_lo, s5
	s_waitcnt_vscnt null, 0x0
	s_barrier
	buffer_gl0_inv
	s_clause 0x1
	buffer_load_dword v35, off, s[0:3], 0 offset:24
	buffer_load_dword v36, off, s[0:3], 0 offset:28
	v_add_nc_u32_e32 v31, -1, v0
	s_mov_b32 s4, exec_lo
	s_waitcnt vmcnt(0)
	ds_write_b64 v34, v[35:36]
	s_waitcnt lgkmcnt(0)
	s_barrier
	buffer_gl0_inv
	v_cmpx_gt_u32_e32 3, v0
	s_cbranch_execz .LBB78_27
; %bb.24:
	v_add_nc_u32_e32 v35, -1, v0
	v_add_nc_u32_e32 v36, 0x80, v33
	v_mov_b32_e32 v37, v33
	v_mov_b32_e32 v32, 0
	;; [unrolled: 1-line block ×3, first 2 shown]
	s_mov_b32 s5, 0
	.p2align	6
.LBB78_25:                              ; =>This Inner Loop Header: Depth=1
	s_clause 0x1
	buffer_load_dword v41, v37, s[0:3], 0 offen offset:4
	buffer_load_dword v42, v37, s[0:3], 0 offen
	ds_read_b64 v[39:40], v36
	v_add_nc_u32_e32 v35, 1, v35
	v_add_nc_u32_e32 v36, 8, v36
	;; [unrolled: 1-line block ×3, first 2 shown]
	v_cmp_lt_u32_e32 vcc_lo, 1, v35
	s_or_b32 s5, vcc_lo, s5
	s_waitcnt vmcnt(1) lgkmcnt(0)
	v_mul_f32_e32 v43, v40, v41
	v_mul_f32_e32 v41, v39, v41
	s_waitcnt vmcnt(0)
	v_fma_f32 v39, v39, v42, -v43
	v_fmac_f32_e32 v41, v40, v42
	v_add_f32_e32 v38, v38, v39
	v_add_f32_e32 v32, v32, v41
	s_andn2_b32 exec_lo, exec_lo, s5
	s_cbranch_execnz .LBB78_25
; %bb.26:
	s_or_b32 exec_lo, exec_lo, s5
	v_mov_b32_e32 v35, 0
	ds_read_b64 v[35:36], v35 offset:24
	s_waitcnt lgkmcnt(0)
	v_mul_f32_e32 v37, v32, v36
	v_mul_f32_e32 v36, v38, v36
	v_fma_f32 v37, v38, v35, -v37
	v_fmac_f32_e32 v36, v32, v35
	buffer_store_dword v37, off, s[0:3], 0 offset:24
	buffer_store_dword v36, off, s[0:3], 0 offset:28
.LBB78_27:
	s_or_b32 exec_lo, exec_lo, s4
	s_waitcnt_vscnt null, 0x0
	s_barrier
	buffer_gl0_inv
	s_clause 0x1
	buffer_load_dword v35, off, s[0:3], 0 offset:32
	buffer_load_dword v36, off, s[0:3], 0 offset:36
	s_mov_b32 s4, exec_lo
	s_waitcnt vmcnt(0)
	ds_write_b64 v34, v[35:36]
	s_waitcnt lgkmcnt(0)
	s_barrier
	buffer_gl0_inv
	v_cmpx_gt_u32_e32 4, v0
	s_cbranch_execz .LBB78_31
; %bb.28:
	v_add_nc_u32_e32 v35, -1, v0
	v_add_nc_u32_e32 v36, 0x80, v33
	v_mov_b32_e32 v37, v33
	v_mov_b32_e32 v32, 0
	;; [unrolled: 1-line block ×3, first 2 shown]
	s_mov_b32 s5, 0
	.p2align	6
.LBB78_29:                              ; =>This Inner Loop Header: Depth=1
	s_clause 0x1
	buffer_load_dword v41, v37, s[0:3], 0 offen offset:4
	buffer_load_dword v42, v37, s[0:3], 0 offen
	ds_read_b64 v[39:40], v36
	v_add_nc_u32_e32 v35, 1, v35
	v_add_nc_u32_e32 v36, 8, v36
	;; [unrolled: 1-line block ×3, first 2 shown]
	v_cmp_lt_u32_e32 vcc_lo, 2, v35
	s_or_b32 s5, vcc_lo, s5
	s_waitcnt vmcnt(1) lgkmcnt(0)
	v_mul_f32_e32 v43, v40, v41
	v_mul_f32_e32 v41, v39, v41
	s_waitcnt vmcnt(0)
	v_fma_f32 v39, v39, v42, -v43
	v_fmac_f32_e32 v41, v40, v42
	v_add_f32_e32 v38, v38, v39
	v_add_f32_e32 v32, v32, v41
	s_andn2_b32 exec_lo, exec_lo, s5
	s_cbranch_execnz .LBB78_29
; %bb.30:
	s_or_b32 exec_lo, exec_lo, s5
	v_mov_b32_e32 v35, 0
	ds_read_b64 v[35:36], v35 offset:32
	s_waitcnt lgkmcnt(0)
	v_mul_f32_e32 v37, v32, v36
	v_mul_f32_e32 v36, v38, v36
	v_fma_f32 v37, v38, v35, -v37
	v_fmac_f32_e32 v36, v32, v35
	buffer_store_dword v37, off, s[0:3], 0 offset:32
	buffer_store_dword v36, off, s[0:3], 0 offset:36
.LBB78_31:
	s_or_b32 exec_lo, exec_lo, s4
	s_waitcnt_vscnt null, 0x0
	s_barrier
	buffer_gl0_inv
	s_clause 0x1
	buffer_load_dword v35, off, s[0:3], 0 offset:40
	buffer_load_dword v36, off, s[0:3], 0 offset:44
	s_mov_b32 s4, exec_lo
	s_waitcnt vmcnt(0)
	ds_write_b64 v34, v[35:36]
	s_waitcnt lgkmcnt(0)
	s_barrier
	buffer_gl0_inv
	v_cmpx_gt_u32_e32 5, v0
	s_cbranch_execz .LBB78_35
; %bb.32:
	v_add_nc_u32_e32 v35, -1, v0
	v_add_nc_u32_e32 v36, 0x80, v33
	v_mov_b32_e32 v37, v33
	v_mov_b32_e32 v32, 0
	;; [unrolled: 1-line block ×3, first 2 shown]
	s_mov_b32 s5, 0
	.p2align	6
.LBB78_33:                              ; =>This Inner Loop Header: Depth=1
	s_clause 0x1
	buffer_load_dword v41, v37, s[0:3], 0 offen offset:4
	buffer_load_dword v42, v37, s[0:3], 0 offen
	ds_read_b64 v[39:40], v36
	v_add_nc_u32_e32 v35, 1, v35
	v_add_nc_u32_e32 v36, 8, v36
	;; [unrolled: 1-line block ×3, first 2 shown]
	v_cmp_lt_u32_e32 vcc_lo, 3, v35
	s_or_b32 s5, vcc_lo, s5
	s_waitcnt vmcnt(1) lgkmcnt(0)
	v_mul_f32_e32 v43, v40, v41
	v_mul_f32_e32 v41, v39, v41
	s_waitcnt vmcnt(0)
	v_fma_f32 v39, v39, v42, -v43
	v_fmac_f32_e32 v41, v40, v42
	v_add_f32_e32 v38, v38, v39
	v_add_f32_e32 v32, v32, v41
	s_andn2_b32 exec_lo, exec_lo, s5
	s_cbranch_execnz .LBB78_33
; %bb.34:
	s_or_b32 exec_lo, exec_lo, s5
	v_mov_b32_e32 v35, 0
	ds_read_b64 v[35:36], v35 offset:40
	s_waitcnt lgkmcnt(0)
	v_mul_f32_e32 v37, v32, v36
	v_mul_f32_e32 v36, v38, v36
	v_fma_f32 v37, v38, v35, -v37
	v_fmac_f32_e32 v36, v32, v35
	buffer_store_dword v37, off, s[0:3], 0 offset:40
	buffer_store_dword v36, off, s[0:3], 0 offset:44
.LBB78_35:
	s_or_b32 exec_lo, exec_lo, s4
	s_waitcnt_vscnt null, 0x0
	s_barrier
	buffer_gl0_inv
	s_clause 0x1
	buffer_load_dword v35, off, s[0:3], 0 offset:48
	buffer_load_dword v36, off, s[0:3], 0 offset:52
	s_mov_b32 s4, exec_lo
	s_waitcnt vmcnt(0)
	ds_write_b64 v34, v[35:36]
	s_waitcnt lgkmcnt(0)
	s_barrier
	buffer_gl0_inv
	v_cmpx_gt_u32_e32 6, v0
	s_cbranch_execz .LBB78_39
; %bb.36:
	v_add_nc_u32_e32 v35, -1, v0
	v_add_nc_u32_e32 v36, 0x80, v33
	v_mov_b32_e32 v37, v33
	v_mov_b32_e32 v32, 0
	;; [unrolled: 1-line block ×3, first 2 shown]
	s_mov_b32 s5, 0
	.p2align	6
.LBB78_37:                              ; =>This Inner Loop Header: Depth=1
	s_clause 0x1
	buffer_load_dword v41, v37, s[0:3], 0 offen offset:4
	buffer_load_dword v42, v37, s[0:3], 0 offen
	ds_read_b64 v[39:40], v36
	v_add_nc_u32_e32 v35, 1, v35
	v_add_nc_u32_e32 v36, 8, v36
	;; [unrolled: 1-line block ×3, first 2 shown]
	v_cmp_lt_u32_e32 vcc_lo, 4, v35
	s_or_b32 s5, vcc_lo, s5
	s_waitcnt vmcnt(1) lgkmcnt(0)
	v_mul_f32_e32 v43, v40, v41
	v_mul_f32_e32 v41, v39, v41
	s_waitcnt vmcnt(0)
	v_fma_f32 v39, v39, v42, -v43
	v_fmac_f32_e32 v41, v40, v42
	v_add_f32_e32 v38, v38, v39
	v_add_f32_e32 v32, v32, v41
	s_andn2_b32 exec_lo, exec_lo, s5
	s_cbranch_execnz .LBB78_37
; %bb.38:
	s_or_b32 exec_lo, exec_lo, s5
	v_mov_b32_e32 v35, 0
	ds_read_b64 v[35:36], v35 offset:48
	s_waitcnt lgkmcnt(0)
	v_mul_f32_e32 v37, v32, v36
	v_mul_f32_e32 v36, v38, v36
	v_fma_f32 v37, v38, v35, -v37
	v_fmac_f32_e32 v36, v32, v35
	buffer_store_dword v37, off, s[0:3], 0 offset:48
	buffer_store_dword v36, off, s[0:3], 0 offset:52
.LBB78_39:
	s_or_b32 exec_lo, exec_lo, s4
	s_waitcnt_vscnt null, 0x0
	s_barrier
	buffer_gl0_inv
	s_clause 0x1
	buffer_load_dword v35, off, s[0:3], 0 offset:56
	buffer_load_dword v36, off, s[0:3], 0 offset:60
	s_mov_b32 s4, exec_lo
	s_waitcnt vmcnt(0)
	ds_write_b64 v34, v[35:36]
	s_waitcnt lgkmcnt(0)
	s_barrier
	buffer_gl0_inv
	v_cmpx_gt_u32_e32 7, v0
	s_cbranch_execz .LBB78_43
; %bb.40:
	v_add_nc_u32_e32 v35, -1, v0
	v_add_nc_u32_e32 v36, 0x80, v33
	v_mov_b32_e32 v37, v33
	v_mov_b32_e32 v32, 0
	;; [unrolled: 1-line block ×3, first 2 shown]
	s_mov_b32 s5, 0
	.p2align	6
.LBB78_41:                              ; =>This Inner Loop Header: Depth=1
	s_clause 0x1
	buffer_load_dword v41, v37, s[0:3], 0 offen offset:4
	buffer_load_dword v42, v37, s[0:3], 0 offen
	ds_read_b64 v[39:40], v36
	v_add_nc_u32_e32 v35, 1, v35
	v_add_nc_u32_e32 v36, 8, v36
	;; [unrolled: 1-line block ×3, first 2 shown]
	v_cmp_lt_u32_e32 vcc_lo, 5, v35
	s_or_b32 s5, vcc_lo, s5
	s_waitcnt vmcnt(1) lgkmcnt(0)
	v_mul_f32_e32 v43, v40, v41
	v_mul_f32_e32 v41, v39, v41
	s_waitcnt vmcnt(0)
	v_fma_f32 v39, v39, v42, -v43
	v_fmac_f32_e32 v41, v40, v42
	v_add_f32_e32 v38, v38, v39
	v_add_f32_e32 v32, v32, v41
	s_andn2_b32 exec_lo, exec_lo, s5
	s_cbranch_execnz .LBB78_41
; %bb.42:
	s_or_b32 exec_lo, exec_lo, s5
	v_mov_b32_e32 v35, 0
	ds_read_b64 v[35:36], v35 offset:56
	s_waitcnt lgkmcnt(0)
	v_mul_f32_e32 v37, v32, v36
	v_mul_f32_e32 v36, v38, v36
	v_fma_f32 v37, v38, v35, -v37
	v_fmac_f32_e32 v36, v32, v35
	buffer_store_dword v37, off, s[0:3], 0 offset:56
	buffer_store_dword v36, off, s[0:3], 0 offset:60
.LBB78_43:
	s_or_b32 exec_lo, exec_lo, s4
	s_waitcnt_vscnt null, 0x0
	s_barrier
	buffer_gl0_inv
	s_clause 0x1
	buffer_load_dword v35, off, s[0:3], 0 offset:64
	buffer_load_dword v36, off, s[0:3], 0 offset:68
	s_mov_b32 s4, exec_lo
	s_waitcnt vmcnt(0)
	ds_write_b64 v34, v[35:36]
	s_waitcnt lgkmcnt(0)
	s_barrier
	buffer_gl0_inv
	v_cmpx_gt_u32_e32 8, v0
	s_cbranch_execz .LBB78_47
; %bb.44:
	v_add_nc_u32_e32 v35, -1, v0
	v_add_nc_u32_e32 v36, 0x80, v33
	v_mov_b32_e32 v37, v33
	v_mov_b32_e32 v32, 0
	;; [unrolled: 1-line block ×3, first 2 shown]
	s_mov_b32 s5, 0
	.p2align	6
.LBB78_45:                              ; =>This Inner Loop Header: Depth=1
	s_clause 0x1
	buffer_load_dword v41, v37, s[0:3], 0 offen offset:4
	buffer_load_dword v42, v37, s[0:3], 0 offen
	ds_read_b64 v[39:40], v36
	v_add_nc_u32_e32 v35, 1, v35
	v_add_nc_u32_e32 v36, 8, v36
	v_add_nc_u32_e32 v37, 8, v37
	v_cmp_lt_u32_e32 vcc_lo, 6, v35
	s_or_b32 s5, vcc_lo, s5
	s_waitcnt vmcnt(1) lgkmcnt(0)
	v_mul_f32_e32 v43, v40, v41
	v_mul_f32_e32 v41, v39, v41
	s_waitcnt vmcnt(0)
	v_fma_f32 v39, v39, v42, -v43
	v_fmac_f32_e32 v41, v40, v42
	v_add_f32_e32 v38, v38, v39
	v_add_f32_e32 v32, v32, v41
	s_andn2_b32 exec_lo, exec_lo, s5
	s_cbranch_execnz .LBB78_45
; %bb.46:
	s_or_b32 exec_lo, exec_lo, s5
	v_mov_b32_e32 v35, 0
	ds_read_b64 v[35:36], v35 offset:64
	s_waitcnt lgkmcnt(0)
	v_mul_f32_e32 v37, v32, v36
	v_mul_f32_e32 v36, v38, v36
	v_fma_f32 v37, v38, v35, -v37
	v_fmac_f32_e32 v36, v32, v35
	buffer_store_dword v37, off, s[0:3], 0 offset:64
	buffer_store_dword v36, off, s[0:3], 0 offset:68
.LBB78_47:
	s_or_b32 exec_lo, exec_lo, s4
	s_waitcnt_vscnt null, 0x0
	s_barrier
	buffer_gl0_inv
	s_clause 0x1
	buffer_load_dword v35, off, s[0:3], 0 offset:72
	buffer_load_dword v36, off, s[0:3], 0 offset:76
	s_mov_b32 s4, exec_lo
	s_waitcnt vmcnt(0)
	ds_write_b64 v34, v[35:36]
	s_waitcnt lgkmcnt(0)
	s_barrier
	buffer_gl0_inv
	v_cmpx_gt_u32_e32 9, v0
	s_cbranch_execz .LBB78_51
; %bb.48:
	v_add_nc_u32_e32 v35, -1, v0
	v_add_nc_u32_e32 v36, 0x80, v33
	v_mov_b32_e32 v37, v33
	v_mov_b32_e32 v32, 0
	;; [unrolled: 1-line block ×3, first 2 shown]
	s_mov_b32 s5, 0
	.p2align	6
.LBB78_49:                              ; =>This Inner Loop Header: Depth=1
	s_clause 0x1
	buffer_load_dword v41, v37, s[0:3], 0 offen offset:4
	buffer_load_dword v42, v37, s[0:3], 0 offen
	ds_read_b64 v[39:40], v36
	v_add_nc_u32_e32 v35, 1, v35
	v_add_nc_u32_e32 v36, 8, v36
	;; [unrolled: 1-line block ×3, first 2 shown]
	v_cmp_lt_u32_e32 vcc_lo, 7, v35
	s_or_b32 s5, vcc_lo, s5
	s_waitcnt vmcnt(1) lgkmcnt(0)
	v_mul_f32_e32 v43, v40, v41
	v_mul_f32_e32 v41, v39, v41
	s_waitcnt vmcnt(0)
	v_fma_f32 v39, v39, v42, -v43
	v_fmac_f32_e32 v41, v40, v42
	v_add_f32_e32 v38, v38, v39
	v_add_f32_e32 v32, v32, v41
	s_andn2_b32 exec_lo, exec_lo, s5
	s_cbranch_execnz .LBB78_49
; %bb.50:
	s_or_b32 exec_lo, exec_lo, s5
	v_mov_b32_e32 v35, 0
	ds_read_b64 v[35:36], v35 offset:72
	s_waitcnt lgkmcnt(0)
	v_mul_f32_e32 v37, v32, v36
	v_mul_f32_e32 v36, v38, v36
	v_fma_f32 v37, v38, v35, -v37
	v_fmac_f32_e32 v36, v32, v35
	buffer_store_dword v37, off, s[0:3], 0 offset:72
	buffer_store_dword v36, off, s[0:3], 0 offset:76
.LBB78_51:
	s_or_b32 exec_lo, exec_lo, s4
	s_waitcnt_vscnt null, 0x0
	s_barrier
	buffer_gl0_inv
	s_clause 0x1
	buffer_load_dword v35, off, s[0:3], 0 offset:80
	buffer_load_dword v36, off, s[0:3], 0 offset:84
	s_mov_b32 s4, exec_lo
	s_waitcnt vmcnt(0)
	ds_write_b64 v34, v[35:36]
	s_waitcnt lgkmcnt(0)
	s_barrier
	buffer_gl0_inv
	v_cmpx_gt_u32_e32 10, v0
	s_cbranch_execz .LBB78_55
; %bb.52:
	v_add_nc_u32_e32 v35, -1, v0
	v_add_nc_u32_e32 v36, 0x80, v33
	v_mov_b32_e32 v37, v33
	v_mov_b32_e32 v32, 0
	;; [unrolled: 1-line block ×3, first 2 shown]
	s_mov_b32 s5, 0
	.p2align	6
.LBB78_53:                              ; =>This Inner Loop Header: Depth=1
	s_clause 0x1
	buffer_load_dword v41, v37, s[0:3], 0 offen offset:4
	buffer_load_dword v42, v37, s[0:3], 0 offen
	ds_read_b64 v[39:40], v36
	v_add_nc_u32_e32 v35, 1, v35
	v_add_nc_u32_e32 v36, 8, v36
	;; [unrolled: 1-line block ×3, first 2 shown]
	v_cmp_lt_u32_e32 vcc_lo, 8, v35
	s_or_b32 s5, vcc_lo, s5
	s_waitcnt vmcnt(1) lgkmcnt(0)
	v_mul_f32_e32 v43, v40, v41
	v_mul_f32_e32 v41, v39, v41
	s_waitcnt vmcnt(0)
	v_fma_f32 v39, v39, v42, -v43
	v_fmac_f32_e32 v41, v40, v42
	v_add_f32_e32 v38, v38, v39
	v_add_f32_e32 v32, v32, v41
	s_andn2_b32 exec_lo, exec_lo, s5
	s_cbranch_execnz .LBB78_53
; %bb.54:
	s_or_b32 exec_lo, exec_lo, s5
	v_mov_b32_e32 v35, 0
	ds_read_b64 v[35:36], v35 offset:80
	s_waitcnt lgkmcnt(0)
	v_mul_f32_e32 v37, v32, v36
	v_mul_f32_e32 v36, v38, v36
	v_fma_f32 v37, v38, v35, -v37
	v_fmac_f32_e32 v36, v32, v35
	buffer_store_dword v37, off, s[0:3], 0 offset:80
	buffer_store_dword v36, off, s[0:3], 0 offset:84
.LBB78_55:
	s_or_b32 exec_lo, exec_lo, s4
	s_waitcnt_vscnt null, 0x0
	s_barrier
	buffer_gl0_inv
	s_clause 0x1
	buffer_load_dword v35, off, s[0:3], 0 offset:88
	buffer_load_dword v36, off, s[0:3], 0 offset:92
	s_mov_b32 s4, exec_lo
	s_waitcnt vmcnt(0)
	ds_write_b64 v34, v[35:36]
	s_waitcnt lgkmcnt(0)
	s_barrier
	buffer_gl0_inv
	v_cmpx_gt_u32_e32 11, v0
	s_cbranch_execz .LBB78_59
; %bb.56:
	v_add_nc_u32_e32 v35, -1, v0
	v_add_nc_u32_e32 v36, 0x80, v33
	v_mov_b32_e32 v37, v33
	v_mov_b32_e32 v32, 0
	;; [unrolled: 1-line block ×3, first 2 shown]
	s_mov_b32 s5, 0
	.p2align	6
.LBB78_57:                              ; =>This Inner Loop Header: Depth=1
	s_clause 0x1
	buffer_load_dword v41, v37, s[0:3], 0 offen offset:4
	buffer_load_dword v42, v37, s[0:3], 0 offen
	ds_read_b64 v[39:40], v36
	v_add_nc_u32_e32 v35, 1, v35
	v_add_nc_u32_e32 v36, 8, v36
	v_add_nc_u32_e32 v37, 8, v37
	v_cmp_lt_u32_e32 vcc_lo, 9, v35
	s_or_b32 s5, vcc_lo, s5
	s_waitcnt vmcnt(1) lgkmcnt(0)
	v_mul_f32_e32 v43, v40, v41
	v_mul_f32_e32 v41, v39, v41
	s_waitcnt vmcnt(0)
	v_fma_f32 v39, v39, v42, -v43
	v_fmac_f32_e32 v41, v40, v42
	v_add_f32_e32 v38, v38, v39
	v_add_f32_e32 v32, v32, v41
	s_andn2_b32 exec_lo, exec_lo, s5
	s_cbranch_execnz .LBB78_57
; %bb.58:
	s_or_b32 exec_lo, exec_lo, s5
	v_mov_b32_e32 v35, 0
	ds_read_b64 v[35:36], v35 offset:88
	s_waitcnt lgkmcnt(0)
	v_mul_f32_e32 v37, v32, v36
	v_mul_f32_e32 v36, v38, v36
	v_fma_f32 v37, v38, v35, -v37
	v_fmac_f32_e32 v36, v32, v35
	buffer_store_dword v37, off, s[0:3], 0 offset:88
	buffer_store_dword v36, off, s[0:3], 0 offset:92
.LBB78_59:
	s_or_b32 exec_lo, exec_lo, s4
	s_waitcnt_vscnt null, 0x0
	s_barrier
	buffer_gl0_inv
	s_clause 0x1
	buffer_load_dword v35, off, s[0:3], 0 offset:96
	buffer_load_dword v36, off, s[0:3], 0 offset:100
	s_mov_b32 s4, exec_lo
	s_waitcnt vmcnt(0)
	ds_write_b64 v34, v[35:36]
	s_waitcnt lgkmcnt(0)
	s_barrier
	buffer_gl0_inv
	v_cmpx_gt_u32_e32 12, v0
	s_cbranch_execz .LBB78_63
; %bb.60:
	v_add_nc_u32_e32 v35, -1, v0
	v_add_nc_u32_e32 v36, 0x80, v33
	v_mov_b32_e32 v37, v33
	v_mov_b32_e32 v32, 0
	;; [unrolled: 1-line block ×3, first 2 shown]
	s_mov_b32 s5, 0
	.p2align	6
.LBB78_61:                              ; =>This Inner Loop Header: Depth=1
	s_clause 0x1
	buffer_load_dword v41, v37, s[0:3], 0 offen offset:4
	buffer_load_dword v42, v37, s[0:3], 0 offen
	ds_read_b64 v[39:40], v36
	v_add_nc_u32_e32 v35, 1, v35
	v_add_nc_u32_e32 v36, 8, v36
	;; [unrolled: 1-line block ×3, first 2 shown]
	v_cmp_lt_u32_e32 vcc_lo, 10, v35
	s_or_b32 s5, vcc_lo, s5
	s_waitcnt vmcnt(1) lgkmcnt(0)
	v_mul_f32_e32 v43, v40, v41
	v_mul_f32_e32 v41, v39, v41
	s_waitcnt vmcnt(0)
	v_fma_f32 v39, v39, v42, -v43
	v_fmac_f32_e32 v41, v40, v42
	v_add_f32_e32 v38, v38, v39
	v_add_f32_e32 v32, v32, v41
	s_andn2_b32 exec_lo, exec_lo, s5
	s_cbranch_execnz .LBB78_61
; %bb.62:
	s_or_b32 exec_lo, exec_lo, s5
	v_mov_b32_e32 v35, 0
	ds_read_b64 v[35:36], v35 offset:96
	s_waitcnt lgkmcnt(0)
	v_mul_f32_e32 v37, v32, v36
	v_mul_f32_e32 v36, v38, v36
	v_fma_f32 v37, v38, v35, -v37
	v_fmac_f32_e32 v36, v32, v35
	buffer_store_dword v37, off, s[0:3], 0 offset:96
	buffer_store_dword v36, off, s[0:3], 0 offset:100
.LBB78_63:
	s_or_b32 exec_lo, exec_lo, s4
	s_waitcnt_vscnt null, 0x0
	s_barrier
	buffer_gl0_inv
	s_clause 0x1
	buffer_load_dword v35, off, s[0:3], 0 offset:104
	buffer_load_dword v36, off, s[0:3], 0 offset:108
	s_mov_b32 s4, exec_lo
	s_waitcnt vmcnt(0)
	ds_write_b64 v34, v[35:36]
	s_waitcnt lgkmcnt(0)
	s_barrier
	buffer_gl0_inv
	v_cmpx_gt_u32_e32 13, v0
	s_cbranch_execz .LBB78_67
; %bb.64:
	v_add_nc_u32_e32 v35, -1, v0
	v_add_nc_u32_e32 v36, 0x80, v33
	v_mov_b32_e32 v37, v33
	v_mov_b32_e32 v32, 0
	;; [unrolled: 1-line block ×3, first 2 shown]
	s_mov_b32 s5, 0
	.p2align	6
.LBB78_65:                              ; =>This Inner Loop Header: Depth=1
	s_clause 0x1
	buffer_load_dword v41, v37, s[0:3], 0 offen offset:4
	buffer_load_dword v42, v37, s[0:3], 0 offen
	ds_read_b64 v[39:40], v36
	v_add_nc_u32_e32 v35, 1, v35
	v_add_nc_u32_e32 v36, 8, v36
	v_add_nc_u32_e32 v37, 8, v37
	v_cmp_lt_u32_e32 vcc_lo, 11, v35
	s_or_b32 s5, vcc_lo, s5
	s_waitcnt vmcnt(1) lgkmcnt(0)
	v_mul_f32_e32 v43, v40, v41
	v_mul_f32_e32 v41, v39, v41
	s_waitcnt vmcnt(0)
	v_fma_f32 v39, v39, v42, -v43
	v_fmac_f32_e32 v41, v40, v42
	v_add_f32_e32 v38, v38, v39
	v_add_f32_e32 v32, v32, v41
	s_andn2_b32 exec_lo, exec_lo, s5
	s_cbranch_execnz .LBB78_65
; %bb.66:
	s_or_b32 exec_lo, exec_lo, s5
	v_mov_b32_e32 v35, 0
	ds_read_b64 v[35:36], v35 offset:104
	s_waitcnt lgkmcnt(0)
	v_mul_f32_e32 v37, v32, v36
	v_mul_f32_e32 v36, v38, v36
	v_fma_f32 v37, v38, v35, -v37
	v_fmac_f32_e32 v36, v32, v35
	buffer_store_dword v37, off, s[0:3], 0 offset:104
	buffer_store_dword v36, off, s[0:3], 0 offset:108
.LBB78_67:
	s_or_b32 exec_lo, exec_lo, s4
	s_waitcnt_vscnt null, 0x0
	s_barrier
	buffer_gl0_inv
	s_clause 0x1
	buffer_load_dword v35, off, s[0:3], 0 offset:112
	buffer_load_dword v36, off, s[0:3], 0 offset:116
	s_mov_b32 s4, exec_lo
	s_waitcnt vmcnt(0)
	ds_write_b64 v34, v[35:36]
	s_waitcnt lgkmcnt(0)
	s_barrier
	buffer_gl0_inv
	v_cmpx_ne_u32_e32 14, v0
	s_cbranch_execz .LBB78_71
; %bb.68:
	v_mov_b32_e32 v32, 0
	v_mov_b32_e32 v35, 0
	s_mov_b32 s5, 0
	.p2align	6
.LBB78_69:                              ; =>This Inner Loop Header: Depth=1
	s_clause 0x1
	buffer_load_dword v38, v33, s[0:3], 0 offen offset:4
	buffer_load_dword v39, v33, s[0:3], 0 offen
	ds_read_b64 v[36:37], v34
	v_add_nc_u32_e32 v31, 1, v31
	v_add_nc_u32_e32 v34, 8, v34
	;; [unrolled: 1-line block ×3, first 2 shown]
	v_cmp_lt_u32_e32 vcc_lo, 12, v31
	s_or_b32 s5, vcc_lo, s5
	s_waitcnt vmcnt(1) lgkmcnt(0)
	v_mul_f32_e32 v40, v37, v38
	v_mul_f32_e32 v38, v36, v38
	s_waitcnt vmcnt(0)
	v_fma_f32 v36, v36, v39, -v40
	v_fmac_f32_e32 v38, v37, v39
	v_add_f32_e32 v35, v35, v36
	v_add_f32_e32 v32, v32, v38
	s_andn2_b32 exec_lo, exec_lo, s5
	s_cbranch_execnz .LBB78_69
; %bb.70:
	s_or_b32 exec_lo, exec_lo, s5
	v_mov_b32_e32 v31, 0
	ds_read_b64 v[33:34], v31 offset:112
	s_waitcnt lgkmcnt(0)
	v_mul_f32_e32 v31, v32, v34
	v_mul_f32_e32 v34, v35, v34
	v_fma_f32 v31, v35, v33, -v31
	v_fmac_f32_e32 v34, v32, v33
	buffer_store_dword v31, off, s[0:3], 0 offset:112
	buffer_store_dword v34, off, s[0:3], 0 offset:116
.LBB78_71:
	s_or_b32 exec_lo, exec_lo, s4
	s_mov_b32 s5, -1
	s_waitcnt_vscnt null, 0x0
	s_barrier
	buffer_gl0_inv
.LBB78_72:
	s_and_b32 vcc_lo, exec_lo, s5
	s_cbranch_vccz .LBB78_74
; %bb.73:
	s_lshl_b64 s[4:5], s[6:7], 2
	v_mov_b32_e32 v31, 0
	s_add_u32 s4, s10, s4
	s_addc_u32 s5, s11, s5
	global_load_dword v31, v31, s[4:5]
	s_waitcnt vmcnt(0)
	v_cmp_ne_u32_e32 vcc_lo, 0, v31
	s_cbranch_vccz .LBB78_75
.LBB78_74:
	s_endpgm
.LBB78_75:
	v_lshl_add_u32 v31, v0, 3, 0x80
	s_mov_b32 s4, exec_lo
	v_cmpx_eq_u32_e32 14, v0
	s_cbranch_execz .LBB78_77
; %bb.76:
	s_clause 0x1
	buffer_load_dword v32, off, s[0:3], 0 offset:104
	buffer_load_dword v33, off, s[0:3], 0 offset:108
	v_mov_b32_e32 v34, 0
	buffer_store_dword v34, off, s[0:3], 0 offset:104
	buffer_store_dword v34, off, s[0:3], 0 offset:108
	s_waitcnt vmcnt(0)
	ds_write_b64 v31, v[32:33]
.LBB78_77:
	s_or_b32 exec_lo, exec_lo, s4
	s_waitcnt lgkmcnt(0)
	s_waitcnt_vscnt null, 0x0
	s_barrier
	buffer_gl0_inv
	s_clause 0x3
	buffer_load_dword v35, off, s[0:3], 0 offset:116
	buffer_load_dword v36, off, s[0:3], 0 offset:112
	;; [unrolled: 1-line block ×4, first 2 shown]
	v_mov_b32_e32 v32, 0
	s_mov_b32 s4, exec_lo
	ds_read_b64 v[33:34], v32 offset:240
	s_waitcnt vmcnt(3) lgkmcnt(0)
	v_mul_f32_e32 v39, v34, v35
	v_mul_f32_e32 v35, v33, v35
	s_waitcnt vmcnt(2)
	v_fma_f32 v33, v33, v36, -v39
	v_fmac_f32_e32 v35, v34, v36
	v_add_f32_e32 v33, 0, v33
	v_add_f32_e32 v34, 0, v35
	s_waitcnt vmcnt(1)
	v_sub_f32_e32 v33, v37, v33
	s_waitcnt vmcnt(0)
	v_sub_f32_e32 v34, v38, v34
	buffer_store_dword v33, off, s[0:3], 0 offset:104
	buffer_store_dword v34, off, s[0:3], 0 offset:108
	v_cmpx_lt_u32_e32 12, v0
	s_cbranch_execz .LBB78_79
; %bb.78:
	s_clause 0x1
	buffer_load_dword v33, off, s[0:3], 0 offset:96
	buffer_load_dword v34, off, s[0:3], 0 offset:100
	buffer_store_dword v32, off, s[0:3], 0 offset:96
	buffer_store_dword v32, off, s[0:3], 0 offset:100
	s_waitcnt vmcnt(0)
	ds_write_b64 v31, v[33:34]
.LBB78_79:
	s_or_b32 exec_lo, exec_lo, s4
	s_waitcnt lgkmcnt(0)
	s_waitcnt_vscnt null, 0x0
	s_barrier
	buffer_gl0_inv
	s_clause 0x5
	buffer_load_dword v36, off, s[0:3], 0 offset:108
	buffer_load_dword v37, off, s[0:3], 0 offset:116
	;; [unrolled: 1-line block ×6, first 2 shown]
	ds_read2_b64 v[32:35], v32 offset0:29 offset1:30
	s_mov_b32 s4, exec_lo
	s_waitcnt vmcnt(5) lgkmcnt(0)
	v_mul_f32_e32 v42, v33, v36
	v_mul_f32_e32 v36, v32, v36
	s_waitcnt vmcnt(4)
	v_mul_f32_e32 v43, v34, v37
	v_mul_f32_e32 v37, v35, v37
	s_waitcnt vmcnt(3)
	v_fma_f32 v32, v32, v38, -v42
	v_fmac_f32_e32 v36, v33, v38
	s_waitcnt vmcnt(2)
	v_fmac_f32_e32 v43, v35, v39
	v_fma_f32 v33, v34, v39, -v37
	v_add_f32_e32 v32, 0, v32
	v_add_f32_e32 v34, 0, v36
	;; [unrolled: 1-line block ×4, first 2 shown]
	s_waitcnt vmcnt(1)
	v_sub_f32_e32 v32, v40, v32
	s_waitcnt vmcnt(0)
	v_sub_f32_e32 v33, v41, v33
	buffer_store_dword v32, off, s[0:3], 0 offset:96
	buffer_store_dword v33, off, s[0:3], 0 offset:100
	v_cmpx_lt_u32_e32 11, v0
	s_cbranch_execz .LBB78_81
; %bb.80:
	s_clause 0x1
	buffer_load_dword v32, off, s[0:3], 0 offset:88
	buffer_load_dword v33, off, s[0:3], 0 offset:92
	v_mov_b32_e32 v34, 0
	buffer_store_dword v34, off, s[0:3], 0 offset:88
	buffer_store_dword v34, off, s[0:3], 0 offset:92
	s_waitcnt vmcnt(0)
	ds_write_b64 v31, v[32:33]
.LBB78_81:
	s_or_b32 exec_lo, exec_lo, s4
	s_waitcnt lgkmcnt(0)
	s_waitcnt_vscnt null, 0x0
	s_barrier
	buffer_gl0_inv
	s_clause 0x7
	buffer_load_dword v39, off, s[0:3], 0 offset:100
	buffer_load_dword v40, off, s[0:3], 0 offset:108
	;; [unrolled: 1-line block ×8, first 2 shown]
	v_mov_b32_e32 v32, 0
	ds_read_b128 v[33:36], v32 offset:224
	ds_read_b64 v[37:38], v32 offset:240
	s_mov_b32 s4, exec_lo
	s_waitcnt vmcnt(7) lgkmcnt(1)
	v_mul_f32_e32 v47, v34, v39
	v_mul_f32_e32 v39, v33, v39
	s_waitcnt vmcnt(6)
	v_mul_f32_e32 v48, v35, v40
	v_mul_f32_e32 v40, v36, v40
	s_waitcnt vmcnt(5) lgkmcnt(0)
	v_mul_f32_e32 v49, v37, v41
	s_waitcnt vmcnt(4)
	v_fma_f32 v33, v33, v42, -v47
	v_fmac_f32_e32 v39, v34, v42
	v_mul_f32_e32 v34, v38, v41
	s_waitcnt vmcnt(3)
	v_fma_f32 v35, v35, v43, -v40
	v_fmac_f32_e32 v48, v36, v43
	v_add_f32_e32 v33, 0, v33
	v_add_f32_e32 v36, 0, v39
	s_waitcnt vmcnt(2)
	v_fma_f32 v34, v37, v44, -v34
	v_fmac_f32_e32 v49, v38, v44
	v_add_f32_e32 v33, v33, v35
	v_add_f32_e32 v35, v36, v48
	;; [unrolled: 1-line block ×4, first 2 shown]
	s_waitcnt vmcnt(1)
	v_sub_f32_e32 v33, v45, v33
	s_waitcnt vmcnt(0)
	v_sub_f32_e32 v34, v46, v34
	buffer_store_dword v33, off, s[0:3], 0 offset:88
	buffer_store_dword v34, off, s[0:3], 0 offset:92
	v_cmpx_lt_u32_e32 10, v0
	s_cbranch_execz .LBB78_83
; %bb.82:
	s_clause 0x1
	buffer_load_dword v33, off, s[0:3], 0 offset:80
	buffer_load_dword v34, off, s[0:3], 0 offset:84
	buffer_store_dword v32, off, s[0:3], 0 offset:80
	buffer_store_dword v32, off, s[0:3], 0 offset:84
	s_waitcnt vmcnt(0)
	ds_write_b64 v31, v[33:34]
.LBB78_83:
	s_or_b32 exec_lo, exec_lo, s4
	s_waitcnt lgkmcnt(0)
	s_waitcnt_vscnt null, 0x0
	s_barrier
	buffer_gl0_inv
	s_clause 0x9
	buffer_load_dword v41, off, s[0:3], 0 offset:92
	buffer_load_dword v42, off, s[0:3], 0 offset:100
	;; [unrolled: 1-line block ×10, first 2 shown]
	ds_read2_b64 v[33:36], v32 offset0:27 offset1:28
	ds_read2_b64 v[37:40], v32 offset0:29 offset1:30
	s_mov_b32 s4, exec_lo
	s_waitcnt vmcnt(9) lgkmcnt(1)
	v_mul_f32_e32 v32, v33, v41
	v_mul_f32_e32 v41, v34, v41
	s_waitcnt vmcnt(8)
	v_mul_f32_e32 v51, v35, v42
	v_mul_f32_e32 v42, v36, v42
	s_waitcnt vmcnt(7) lgkmcnt(0)
	v_mul_f32_e32 v52, v37, v43
	s_waitcnt vmcnt(5)
	v_fmac_f32_e32 v32, v34, v45
	v_fma_f32 v33, v33, v45, -v41
	v_mul_f32_e32 v34, v38, v43
	s_waitcnt vmcnt(4)
	v_fma_f32 v35, v35, v46, -v42
	v_fmac_f32_e32 v51, v36, v46
	v_add_f32_e32 v32, 0, v32
	v_add_f32_e32 v33, 0, v33
	v_mul_f32_e32 v36, v40, v44
	s_waitcnt vmcnt(3)
	v_fma_f32 v34, v37, v47, -v34
	v_mul_f32_e32 v53, v39, v44
	v_fmac_f32_e32 v52, v38, v47
	v_add_f32_e32 v33, v33, v35
	v_add_f32_e32 v32, v32, v51
	s_waitcnt vmcnt(2)
	v_fma_f32 v35, v39, v48, -v36
	v_fmac_f32_e32 v53, v40, v48
	v_add_f32_e32 v33, v33, v34
	v_add_f32_e32 v32, v32, v52
	v_add_f32_e32 v33, v33, v35
	v_add_f32_e32 v32, v32, v53
	s_waitcnt vmcnt(1)
	v_sub_f32_e32 v33, v49, v33
	s_waitcnt vmcnt(0)
	v_sub_f32_e32 v32, v50, v32
	buffer_store_dword v33, off, s[0:3], 0 offset:80
	buffer_store_dword v32, off, s[0:3], 0 offset:84
	v_cmpx_lt_u32_e32 9, v0
	s_cbranch_execz .LBB78_85
; %bb.84:
	s_clause 0x1
	buffer_load_dword v32, off, s[0:3], 0 offset:72
	buffer_load_dword v33, off, s[0:3], 0 offset:76
	v_mov_b32_e32 v34, 0
	buffer_store_dword v34, off, s[0:3], 0 offset:72
	buffer_store_dword v34, off, s[0:3], 0 offset:76
	s_waitcnt vmcnt(0)
	ds_write_b64 v31, v[32:33]
.LBB78_85:
	s_or_b32 exec_lo, exec_lo, s4
	s_waitcnt lgkmcnt(0)
	s_waitcnt_vscnt null, 0x0
	s_barrier
	buffer_gl0_inv
	s_clause 0xb
	buffer_load_dword v43, off, s[0:3], 0 offset:84
	buffer_load_dword v44, off, s[0:3], 0 offset:92
	;; [unrolled: 1-line block ×12, first 2 shown]
	v_mov_b32_e32 v32, 0
	ds_read_b128 v[33:36], v32 offset:208
	ds_read_b128 v[37:40], v32 offset:224
	ds_read_b64 v[41:42], v32 offset:240
	s_mov_b32 s4, exec_lo
	s_waitcnt vmcnt(11) lgkmcnt(2)
	v_mul_f32_e32 v55, v33, v43
	v_mul_f32_e32 v43, v34, v43
	s_waitcnt vmcnt(10)
	v_mul_f32_e32 v56, v35, v44
	v_mul_f32_e32 v44, v36, v44
	s_waitcnt vmcnt(9) lgkmcnt(1)
	v_mul_f32_e32 v57, v37, v45
	s_waitcnt vmcnt(6)
	v_fmac_f32_e32 v55, v34, v48
	v_fma_f32 v33, v33, v48, -v43
	v_mul_f32_e32 v34, v38, v45
	s_waitcnt vmcnt(5)
	v_fma_f32 v35, v35, v49, -v44
	v_fmac_f32_e32 v56, v36, v49
	v_add_f32_e32 v36, 0, v55
	v_add_f32_e32 v33, 0, v33
	v_mul_f32_e32 v43, v40, v46
	s_waitcnt vmcnt(4)
	v_fma_f32 v34, v37, v50, -v34
	v_mul_f32_e32 v58, v39, v46
	v_fmac_f32_e32 v57, v38, v50
	v_add_f32_e32 v33, v33, v35
	v_add_f32_e32 v35, v36, v56
	s_waitcnt lgkmcnt(0)
	v_mul_f32_e32 v36, v42, v47
	s_waitcnt vmcnt(3)
	v_fma_f32 v37, v39, v51, -v43
	v_mul_f32_e32 v59, v41, v47
	v_add_f32_e32 v33, v33, v34
	v_fmac_f32_e32 v58, v40, v51
	v_add_f32_e32 v34, v35, v57
	s_waitcnt vmcnt(2)
	v_fma_f32 v35, v41, v52, -v36
	v_fmac_f32_e32 v59, v42, v52
	v_add_f32_e32 v33, v33, v37
	v_add_f32_e32 v34, v34, v58
	;; [unrolled: 1-line block ×4, first 2 shown]
	s_waitcnt vmcnt(1)
	v_sub_f32_e32 v33, v53, v33
	s_waitcnt vmcnt(0)
	v_sub_f32_e32 v34, v54, v34
	buffer_store_dword v33, off, s[0:3], 0 offset:72
	buffer_store_dword v34, off, s[0:3], 0 offset:76
	v_cmpx_lt_u32_e32 8, v0
	s_cbranch_execz .LBB78_87
; %bb.86:
	s_clause 0x1
	buffer_load_dword v33, off, s[0:3], 0 offset:64
	buffer_load_dword v34, off, s[0:3], 0 offset:68
	buffer_store_dword v32, off, s[0:3], 0 offset:64
	buffer_store_dword v32, off, s[0:3], 0 offset:68
	s_waitcnt vmcnt(0)
	ds_write_b64 v31, v[33:34]
.LBB78_87:
	s_or_b32 exec_lo, exec_lo, s4
	s_waitcnt lgkmcnt(0)
	s_waitcnt_vscnt null, 0x0
	s_barrier
	buffer_gl0_inv
	s_clause 0xd
	buffer_load_dword v45, off, s[0:3], 0 offset:76
	buffer_load_dword v46, off, s[0:3], 0 offset:84
	;; [unrolled: 1-line block ×14, first 2 shown]
	ds_read2_b64 v[33:36], v32 offset0:25 offset1:26
	ds_read2_b64 v[37:40], v32 offset0:27 offset1:28
	;; [unrolled: 1-line block ×3, first 2 shown]
	s_mov_b32 s4, exec_lo
	s_waitcnt vmcnt(13) lgkmcnt(2)
	v_mul_f32_e32 v32, v33, v45
	v_mul_f32_e32 v45, v34, v45
	s_waitcnt vmcnt(12)
	v_mul_f32_e32 v59, v35, v46
	v_mul_f32_e32 v46, v36, v46
	s_waitcnt vmcnt(11) lgkmcnt(1)
	v_mul_f32_e32 v60, v37, v47
	s_waitcnt vmcnt(10)
	v_mul_f32_e32 v61, v39, v48
	s_waitcnt vmcnt(7)
	v_fma_f32 v33, v33, v51, -v45
	v_fmac_f32_e32 v32, v34, v51
	v_mul_f32_e32 v34, v38, v47
	s_waitcnt vmcnt(6)
	v_fma_f32 v35, v35, v52, -v46
	v_fmac_f32_e32 v59, v36, v52
	v_add_f32_e32 v33, 0, v33
	v_add_f32_e32 v32, 0, v32
	v_mul_f32_e32 v36, v40, v48
	s_waitcnt vmcnt(5)
	v_fma_f32 v34, v37, v53, -v34
	v_fmac_f32_e32 v60, v38, v53
	v_add_f32_e32 v33, v33, v35
	v_add_f32_e32 v32, v32, v59
	s_waitcnt lgkmcnt(0)
	v_mul_f32_e32 v35, v42, v49
	s_waitcnt vmcnt(4)
	v_fma_f32 v36, v39, v54, -v36
	v_mul_f32_e32 v62, v41, v49
	v_add_f32_e32 v33, v33, v34
	v_fmac_f32_e32 v61, v40, v54
	v_add_f32_e32 v32, v32, v60
	v_mul_f32_e32 v34, v44, v50
	s_waitcnt vmcnt(3)
	v_fma_f32 v35, v41, v55, -v35
	v_add_f32_e32 v33, v33, v36
	v_mul_f32_e32 v63, v43, v50
	v_fmac_f32_e32 v62, v42, v55
	v_add_f32_e32 v32, v32, v61
	s_waitcnt vmcnt(2)
	v_fma_f32 v34, v43, v56, -v34
	v_add_f32_e32 v33, v33, v35
	v_fmac_f32_e32 v63, v44, v56
	v_add_f32_e32 v32, v32, v62
	v_add_f32_e32 v33, v33, v34
	;; [unrolled: 1-line block ×3, first 2 shown]
	s_waitcnt vmcnt(1)
	v_sub_f32_e32 v33, v57, v33
	s_waitcnt vmcnt(0)
	v_sub_f32_e32 v32, v58, v32
	buffer_store_dword v33, off, s[0:3], 0 offset:64
	buffer_store_dword v32, off, s[0:3], 0 offset:68
	v_cmpx_lt_u32_e32 7, v0
	s_cbranch_execz .LBB78_89
; %bb.88:
	s_clause 0x1
	buffer_load_dword v32, off, s[0:3], 0 offset:56
	buffer_load_dword v33, off, s[0:3], 0 offset:60
	v_mov_b32_e32 v34, 0
	buffer_store_dword v34, off, s[0:3], 0 offset:56
	buffer_store_dword v34, off, s[0:3], 0 offset:60
	s_waitcnt vmcnt(0)
	ds_write_b64 v31, v[32:33]
.LBB78_89:
	s_or_b32 exec_lo, exec_lo, s4
	s_waitcnt lgkmcnt(0)
	s_waitcnt_vscnt null, 0x0
	s_barrier
	buffer_gl0_inv
	s_clause 0xf
	buffer_load_dword v47, off, s[0:3], 0 offset:68
	buffer_load_dword v48, off, s[0:3], 0 offset:76
	;; [unrolled: 1-line block ×16, first 2 shown]
	v_mov_b32_e32 v32, 0
	ds_read_b128 v[33:36], v32 offset:192
	ds_read_b128 v[37:40], v32 offset:208
	;; [unrolled: 1-line block ×3, first 2 shown]
	ds_read_b64 v[45:46], v32 offset:240
	s_mov_b32 s4, exec_lo
	s_waitcnt vmcnt(15) lgkmcnt(3)
	v_mul_f32_e32 v63, v33, v47
	v_mul_f32_e32 v47, v34, v47
	s_waitcnt vmcnt(14)
	v_mul_f32_e32 v64, v35, v48
	v_mul_f32_e32 v48, v36, v48
	s_waitcnt vmcnt(13) lgkmcnt(2)
	v_mul_f32_e32 v65, v37, v49
	s_waitcnt vmcnt(12)
	v_mul_f32_e32 v66, v39, v50
	s_waitcnt vmcnt(11) lgkmcnt(1)
	v_mul_f32_e32 v67, v41, v51
	s_waitcnt vmcnt(8)
	v_fma_f32 v33, v33, v54, -v47
	v_fmac_f32_e32 v63, v34, v54
	v_mul_f32_e32 v34, v38, v49
	s_waitcnt vmcnt(7)
	v_fma_f32 v35, v35, v55, -v48
	v_fmac_f32_e32 v64, v36, v55
	v_add_f32_e32 v33, 0, v33
	v_add_f32_e32 v36, 0, v63
	v_mul_f32_e32 v47, v40, v50
	s_waitcnt vmcnt(6)
	v_fma_f32 v34, v37, v56, -v34
	v_fmac_f32_e32 v65, v38, v56
	v_add_f32_e32 v33, v33, v35
	v_add_f32_e32 v35, v36, v64
	;; [unrolled: 6-line block ×3, first 2 shown]
	v_mul_f32_e32 v35, v44, v52
	s_waitcnt vmcnt(4)
	v_fma_f32 v36, v41, v58, -v36
	v_mul_f32_e32 v68, v43, v52
	v_add_f32_e32 v33, v33, v37
	v_fmac_f32_e32 v67, v42, v58
	v_add_f32_e32 v34, v34, v66
	s_waitcnt lgkmcnt(0)
	v_mul_f32_e32 v37, v46, v53
	s_waitcnt vmcnt(3)
	v_fma_f32 v35, v43, v59, -v35
	v_add_f32_e32 v33, v33, v36
	v_mul_f32_e32 v69, v45, v53
	v_fmac_f32_e32 v68, v44, v59
	v_add_f32_e32 v34, v34, v67
	s_waitcnt vmcnt(2)
	v_fma_f32 v36, v45, v60, -v37
	v_add_f32_e32 v33, v33, v35
	v_fmac_f32_e32 v69, v46, v60
	v_add_f32_e32 v34, v34, v68
	v_add_f32_e32 v33, v33, v36
	;; [unrolled: 1-line block ×3, first 2 shown]
	s_waitcnt vmcnt(1)
	v_sub_f32_e32 v33, v61, v33
	s_waitcnt vmcnt(0)
	v_sub_f32_e32 v34, v62, v34
	buffer_store_dword v33, off, s[0:3], 0 offset:56
	buffer_store_dword v34, off, s[0:3], 0 offset:60
	v_cmpx_lt_u32_e32 6, v0
	s_cbranch_execz .LBB78_91
; %bb.90:
	s_clause 0x1
	buffer_load_dword v33, off, s[0:3], 0 offset:48
	buffer_load_dword v34, off, s[0:3], 0 offset:52
	buffer_store_dword v32, off, s[0:3], 0 offset:48
	buffer_store_dword v32, off, s[0:3], 0 offset:52
	s_waitcnt vmcnt(0)
	ds_write_b64 v31, v[33:34]
.LBB78_91:
	s_or_b32 exec_lo, exec_lo, s4
	s_waitcnt lgkmcnt(0)
	s_waitcnt_vscnt null, 0x0
	s_barrier
	buffer_gl0_inv
	s_clause 0x11
	buffer_load_dword v49, off, s[0:3], 0 offset:60
	buffer_load_dword v50, off, s[0:3], 0 offset:68
	;; [unrolled: 1-line block ×18, first 2 shown]
	ds_read2_b64 v[33:36], v32 offset0:23 offset1:24
	ds_read2_b64 v[37:40], v32 offset0:25 offset1:26
	ds_read2_b64 v[41:44], v32 offset0:27 offset1:28
	ds_read2_b64 v[45:48], v32 offset0:29 offset1:30
	s_mov_b32 s4, exec_lo
	s_waitcnt vmcnt(17) lgkmcnt(3)
	v_mul_f32_e32 v32, v33, v49
	v_mul_f32_e32 v49, v34, v49
	s_waitcnt vmcnt(16)
	v_mul_f32_e32 v67, v35, v50
	v_mul_f32_e32 v50, v36, v50
	s_waitcnt vmcnt(15) lgkmcnt(2)
	v_mul_f32_e32 v68, v37, v51
	s_waitcnt vmcnt(14)
	v_mul_f32_e32 v69, v39, v52
	s_waitcnt vmcnt(13) lgkmcnt(1)
	v_mul_f32_e32 v70, v41, v53
	s_waitcnt vmcnt(12)
	v_mul_f32_e32 v71, v43, v54
	s_waitcnt vmcnt(9)
	v_fma_f32 v33, v33, v57, -v49
	v_fmac_f32_e32 v32, v34, v57
	v_mul_f32_e32 v34, v38, v51
	s_waitcnt vmcnt(8)
	v_fma_f32 v35, v35, v58, -v50
	v_fmac_f32_e32 v67, v36, v58
	v_add_f32_e32 v33, 0, v33
	v_add_f32_e32 v32, 0, v32
	v_mul_f32_e32 v36, v40, v52
	s_waitcnt vmcnt(7)
	v_fma_f32 v34, v37, v59, -v34
	v_fmac_f32_e32 v68, v38, v59
	v_add_f32_e32 v33, v33, v35
	v_add_f32_e32 v32, v32, v67
	;; [unrolled: 6-line block ×4, first 2 shown]
	s_waitcnt lgkmcnt(0)
	v_mul_f32_e32 v36, v46, v55
	s_waitcnt vmcnt(4)
	v_fma_f32 v34, v43, v62, -v34
	v_mul_f32_e32 v72, v45, v55
	v_add_f32_e32 v33, v33, v35
	v_fmac_f32_e32 v71, v44, v62
	v_add_f32_e32 v32, v32, v70
	v_mul_f32_e32 v35, v48, v56
	s_waitcnt vmcnt(3)
	v_fma_f32 v36, v45, v63, -v36
	v_add_f32_e32 v33, v33, v34
	v_mul_f32_e32 v73, v47, v56
	v_fmac_f32_e32 v72, v46, v63
	v_add_f32_e32 v32, v32, v71
	s_waitcnt vmcnt(2)
	v_fma_f32 v34, v47, v64, -v35
	v_add_f32_e32 v33, v33, v36
	v_fmac_f32_e32 v73, v48, v64
	v_add_f32_e32 v32, v32, v72
	v_add_f32_e32 v33, v33, v34
	;; [unrolled: 1-line block ×3, first 2 shown]
	s_waitcnt vmcnt(1)
	v_sub_f32_e32 v33, v65, v33
	s_waitcnt vmcnt(0)
	v_sub_f32_e32 v32, v66, v32
	buffer_store_dword v33, off, s[0:3], 0 offset:48
	buffer_store_dword v32, off, s[0:3], 0 offset:52
	v_cmpx_lt_u32_e32 5, v0
	s_cbranch_execz .LBB78_93
; %bb.92:
	s_clause 0x1
	buffer_load_dword v32, off, s[0:3], 0 offset:40
	buffer_load_dword v33, off, s[0:3], 0 offset:44
	v_mov_b32_e32 v34, 0
	buffer_store_dword v34, off, s[0:3], 0 offset:40
	buffer_store_dword v34, off, s[0:3], 0 offset:44
	s_waitcnt vmcnt(0)
	ds_write_b64 v31, v[32:33]
.LBB78_93:
	s_or_b32 exec_lo, exec_lo, s4
	s_waitcnt lgkmcnt(0)
	s_waitcnt_vscnt null, 0x0
	s_barrier
	buffer_gl0_inv
	s_clause 0x13
	buffer_load_dword v51, off, s[0:3], 0 offset:52
	buffer_load_dword v52, off, s[0:3], 0 offset:60
	;; [unrolled: 1-line block ×20, first 2 shown]
	v_mov_b32_e32 v32, 0
	ds_read_b128 v[33:36], v32 offset:176
	ds_read_b128 v[37:40], v32 offset:192
	;; [unrolled: 1-line block ×4, first 2 shown]
	ds_read_b64 v[49:50], v32 offset:240
	s_mov_b32 s4, exec_lo
	s_waitcnt vmcnt(19) lgkmcnt(4)
	v_mul_f32_e32 v71, v33, v51
	v_mul_f32_e32 v51, v34, v51
	s_waitcnt vmcnt(18)
	v_mul_f32_e32 v72, v35, v52
	v_mul_f32_e32 v52, v36, v52
	s_waitcnt vmcnt(17) lgkmcnt(3)
	v_mul_f32_e32 v73, v37, v53
	s_waitcnt vmcnt(16)
	v_mul_f32_e32 v74, v39, v54
	s_waitcnt vmcnt(15) lgkmcnt(2)
	v_mul_f32_e32 v75, v41, v55
	s_waitcnt vmcnt(14)
	;; [unrolled: 4-line block ×3, first 2 shown]
	v_fma_f32 v33, v33, v60, -v51
	v_fmac_f32_e32 v71, v34, v60
	v_mul_f32_e32 v34, v38, v53
	s_waitcnt vmcnt(9)
	v_fma_f32 v35, v35, v61, -v52
	v_fmac_f32_e32 v72, v36, v61
	v_add_f32_e32 v33, 0, v33
	v_add_f32_e32 v36, 0, v71
	v_mul_f32_e32 v51, v40, v54
	s_waitcnt vmcnt(8)
	v_fma_f32 v34, v37, v62, -v34
	v_fmac_f32_e32 v73, v38, v62
	v_add_f32_e32 v33, v33, v35
	v_add_f32_e32 v35, v36, v72
	v_mul_f32_e32 v36, v42, v55
	s_waitcnt vmcnt(7)
	v_fma_f32 v37, v39, v63, -v51
	v_fmac_f32_e32 v74, v40, v63
	v_add_f32_e32 v33, v33, v34
	v_add_f32_e32 v34, v35, v73
	v_mul_f32_e32 v35, v44, v56
	s_waitcnt vmcnt(6)
	v_fma_f32 v36, v41, v64, -v36
	v_fmac_f32_e32 v75, v42, v64
	v_add_f32_e32 v33, v33, v37
	v_add_f32_e32 v34, v34, v74
	v_mul_f32_e32 v37, v46, v57
	s_waitcnt vmcnt(5)
	v_fma_f32 v35, v43, v65, -v35
	v_fmac_f32_e32 v76, v44, v65
	v_add_f32_e32 v33, v33, v36
	v_add_f32_e32 v34, v34, v75
	v_mul_f32_e32 v36, v48, v58
	s_waitcnt vmcnt(4)
	v_fma_f32 v37, v45, v66, -v37
	v_mul_f32_e32 v78, v47, v58
	v_add_f32_e32 v33, v33, v35
	v_fmac_f32_e32 v77, v46, v66
	v_add_f32_e32 v34, v34, v76
	s_waitcnt lgkmcnt(0)
	v_mul_f32_e32 v35, v50, v59
	s_waitcnt vmcnt(3)
	v_fma_f32 v36, v47, v67, -v36
	v_add_f32_e32 v33, v33, v37
	v_mul_f32_e32 v79, v49, v59
	v_fmac_f32_e32 v78, v48, v67
	v_add_f32_e32 v34, v34, v77
	s_waitcnt vmcnt(2)
	v_fma_f32 v35, v49, v68, -v35
	v_add_f32_e32 v33, v33, v36
	v_fmac_f32_e32 v79, v50, v68
	v_add_f32_e32 v34, v34, v78
	v_add_f32_e32 v33, v33, v35
	;; [unrolled: 1-line block ×3, first 2 shown]
	s_waitcnt vmcnt(1)
	v_sub_f32_e32 v33, v69, v33
	s_waitcnt vmcnt(0)
	v_sub_f32_e32 v34, v70, v34
	buffer_store_dword v33, off, s[0:3], 0 offset:40
	buffer_store_dword v34, off, s[0:3], 0 offset:44
	v_cmpx_lt_u32_e32 4, v0
	s_cbranch_execz .LBB78_95
; %bb.94:
	s_clause 0x1
	buffer_load_dword v33, off, s[0:3], 0 offset:32
	buffer_load_dword v34, off, s[0:3], 0 offset:36
	buffer_store_dword v32, off, s[0:3], 0 offset:32
	buffer_store_dword v32, off, s[0:3], 0 offset:36
	s_waitcnt vmcnt(0)
	ds_write_b64 v31, v[33:34]
.LBB78_95:
	s_or_b32 exec_lo, exec_lo, s4
	s_waitcnt lgkmcnt(0)
	s_waitcnt_vscnt null, 0x0
	s_barrier
	buffer_gl0_inv
	s_clause 0x15
	buffer_load_dword v53, off, s[0:3], 0 offset:44
	buffer_load_dword v54, off, s[0:3], 0 offset:52
	;; [unrolled: 1-line block ×22, first 2 shown]
	ds_read2_b64 v[33:36], v32 offset0:21 offset1:22
	ds_read2_b64 v[37:40], v32 offset0:23 offset1:24
	;; [unrolled: 1-line block ×5, first 2 shown]
	s_mov_b32 s4, exec_lo
	s_waitcnt vmcnt(21) lgkmcnt(4)
	v_mul_f32_e32 v32, v33, v53
	v_mul_f32_e32 v53, v34, v53
	s_waitcnt vmcnt(20)
	v_mul_f32_e32 v75, v35, v54
	v_mul_f32_e32 v54, v36, v54
	s_waitcnt vmcnt(19) lgkmcnt(3)
	v_mul_f32_e32 v76, v37, v55
	s_waitcnt vmcnt(18)
	v_mul_f32_e32 v77, v39, v56
	s_waitcnt vmcnt(17) lgkmcnt(2)
	v_mul_f32_e32 v78, v41, v57
	s_waitcnt vmcnt(16)
	;; [unrolled: 4-line block ×3, first 2 shown]
	v_mul_f32_e32 v81, v47, v60
	s_waitcnt vmcnt(11)
	v_fma_f32 v33, v33, v63, -v53
	v_fmac_f32_e32 v32, v34, v63
	v_mul_f32_e32 v34, v38, v55
	s_waitcnt vmcnt(10)
	v_fma_f32 v35, v35, v64, -v54
	v_fmac_f32_e32 v75, v36, v64
	v_add_f32_e32 v33, 0, v33
	v_add_f32_e32 v32, 0, v32
	v_mul_f32_e32 v36, v40, v56
	s_waitcnt vmcnt(9)
	v_fma_f32 v34, v37, v65, -v34
	v_fmac_f32_e32 v76, v38, v65
	v_add_f32_e32 v33, v33, v35
	v_add_f32_e32 v32, v32, v75
	;; [unrolled: 6-line block ×6, first 2 shown]
	s_waitcnt lgkmcnt(0)
	v_mul_f32_e32 v34, v50, v61
	s_waitcnt vmcnt(4)
	v_fma_f32 v35, v47, v70, -v35
	v_mul_f32_e32 v82, v49, v61
	v_add_f32_e32 v33, v33, v36
	v_fmac_f32_e32 v81, v48, v70
	v_add_f32_e32 v32, v32, v80
	v_mul_f32_e32 v36, v52, v62
	s_waitcnt vmcnt(3)
	v_fma_f32 v34, v49, v71, -v34
	v_add_f32_e32 v33, v33, v35
	v_mul_f32_e32 v83, v51, v62
	v_fmac_f32_e32 v82, v50, v71
	v_add_f32_e32 v32, v32, v81
	s_waitcnt vmcnt(2)
	v_fma_f32 v35, v51, v72, -v36
	v_add_f32_e32 v33, v33, v34
	v_fmac_f32_e32 v83, v52, v72
	v_add_f32_e32 v32, v32, v82
	v_add_f32_e32 v33, v33, v35
	;; [unrolled: 1-line block ×3, first 2 shown]
	s_waitcnt vmcnt(1)
	v_sub_f32_e32 v33, v73, v33
	s_waitcnt vmcnt(0)
	v_sub_f32_e32 v32, v74, v32
	buffer_store_dword v33, off, s[0:3], 0 offset:32
	buffer_store_dword v32, off, s[0:3], 0 offset:36
	v_cmpx_lt_u32_e32 3, v0
	s_cbranch_execz .LBB78_97
; %bb.96:
	s_clause 0x1
	buffer_load_dword v32, off, s[0:3], 0 offset:24
	buffer_load_dword v33, off, s[0:3], 0 offset:28
	v_mov_b32_e32 v34, 0
	buffer_store_dword v34, off, s[0:3], 0 offset:24
	buffer_store_dword v34, off, s[0:3], 0 offset:28
	s_waitcnt vmcnt(0)
	ds_write_b64 v31, v[32:33]
.LBB78_97:
	s_or_b32 exec_lo, exec_lo, s4
	s_waitcnt lgkmcnt(0)
	s_waitcnt_vscnt null, 0x0
	s_barrier
	buffer_gl0_inv
	s_clause 0x17
	buffer_load_dword v55, off, s[0:3], 0 offset:36
	buffer_load_dword v56, off, s[0:3], 0 offset:44
	;; [unrolled: 1-line block ×24, first 2 shown]
	v_mov_b32_e32 v32, 0
	ds_read_b128 v[33:36], v32 offset:160
	ds_read_b128 v[37:40], v32 offset:176
	;; [unrolled: 1-line block ×5, first 2 shown]
	ds_read_b64 v[53:54], v32 offset:240
	s_mov_b32 s4, exec_lo
	s_waitcnt vmcnt(23) lgkmcnt(5)
	v_mul_f32_e32 v79, v33, v55
	v_mul_f32_e32 v55, v34, v55
	s_waitcnt vmcnt(22)
	v_mul_f32_e32 v80, v35, v56
	v_mul_f32_e32 v56, v36, v56
	s_waitcnt vmcnt(21) lgkmcnt(4)
	v_mul_f32_e32 v81, v37, v57
	s_waitcnt vmcnt(20)
	v_mul_f32_e32 v82, v39, v58
	s_waitcnt vmcnt(19) lgkmcnt(3)
	v_mul_f32_e32 v83, v41, v59
	s_waitcnt vmcnt(18)
	;; [unrolled: 4-line block ×4, first 2 shown]
	v_fma_f32 v33, v33, v66, -v55
	v_fmac_f32_e32 v79, v34, v66
	v_mul_f32_e32 v34, v38, v57
	s_waitcnt vmcnt(11)
	v_fma_f32 v35, v35, v67, -v56
	v_fmac_f32_e32 v80, v36, v67
	v_add_f32_e32 v33, 0, v33
	v_add_f32_e32 v36, 0, v79
	v_mul_f32_e32 v55, v40, v58
	s_waitcnt vmcnt(10)
	v_fma_f32 v34, v37, v68, -v34
	v_fmac_f32_e32 v81, v38, v68
	v_add_f32_e32 v33, v33, v35
	v_add_f32_e32 v35, v36, v80
	;; [unrolled: 6-line block ×7, first 2 shown]
	v_mul_f32_e32 v37, v52, v64
	s_waitcnt vmcnt(4)
	v_fma_f32 v35, v49, v74, -v35
	v_mul_f32_e32 v88, v51, v64
	v_add_f32_e32 v33, v33, v36
	v_fmac_f32_e32 v87, v50, v74
	v_add_f32_e32 v34, v34, v86
	s_waitcnt lgkmcnt(0)
	v_mul_f32_e32 v36, v54, v65
	s_waitcnt vmcnt(3)
	v_fma_f32 v37, v51, v75, -v37
	v_add_f32_e32 v33, v33, v35
	v_mul_f32_e32 v89, v53, v65
	v_fmac_f32_e32 v88, v52, v75
	v_add_f32_e32 v34, v34, v87
	s_waitcnt vmcnt(2)
	v_fma_f32 v35, v53, v76, -v36
	v_add_f32_e32 v33, v33, v37
	v_fmac_f32_e32 v89, v54, v76
	v_add_f32_e32 v34, v34, v88
	v_add_f32_e32 v33, v33, v35
	;; [unrolled: 1-line block ×3, first 2 shown]
	s_waitcnt vmcnt(1)
	v_sub_f32_e32 v33, v77, v33
	s_waitcnt vmcnt(0)
	v_sub_f32_e32 v34, v78, v34
	buffer_store_dword v33, off, s[0:3], 0 offset:24
	buffer_store_dword v34, off, s[0:3], 0 offset:28
	v_cmpx_lt_u32_e32 2, v0
	s_cbranch_execz .LBB78_99
; %bb.98:
	s_clause 0x1
	buffer_load_dword v33, off, s[0:3], 0 offset:16
	buffer_load_dword v34, off, s[0:3], 0 offset:20
	buffer_store_dword v32, off, s[0:3], 0 offset:16
	buffer_store_dword v32, off, s[0:3], 0 offset:20
	s_waitcnt vmcnt(0)
	ds_write_b64 v31, v[33:34]
.LBB78_99:
	s_or_b32 exec_lo, exec_lo, s4
	s_waitcnt lgkmcnt(0)
	s_waitcnt_vscnt null, 0x0
	s_barrier
	buffer_gl0_inv
	s_clause 0x19
	buffer_load_dword v57, off, s[0:3], 0 offset:28
	buffer_load_dword v58, off, s[0:3], 0 offset:36
	;; [unrolled: 1-line block ×26, first 2 shown]
	ds_read2_b64 v[33:36], v32 offset0:19 offset1:20
	ds_read2_b64 v[37:40], v32 offset0:21 offset1:22
	;; [unrolled: 1-line block ×6, first 2 shown]
	s_mov_b32 s4, exec_lo
	s_waitcnt vmcnt(25) lgkmcnt(5)
	v_mul_f32_e32 v32, v33, v57
	v_mul_f32_e32 v57, v34, v57
	s_waitcnt vmcnt(24)
	v_mul_f32_e32 v83, v35, v58
	v_mul_f32_e32 v58, v36, v58
	s_waitcnt vmcnt(23) lgkmcnt(4)
	v_mul_f32_e32 v84, v37, v59
	s_waitcnt vmcnt(22)
	v_mul_f32_e32 v85, v39, v60
	s_waitcnt vmcnt(21) lgkmcnt(3)
	v_mul_f32_e32 v86, v41, v61
	s_waitcnt vmcnt(20)
	;; [unrolled: 4-line block ×4, first 2 shown]
	v_mul_f32_e32 v91, v51, v66
	s_waitcnt vmcnt(13)
	v_fma_f32 v33, v33, v69, -v57
	v_fmac_f32_e32 v32, v34, v69
	v_mul_f32_e32 v34, v38, v59
	s_waitcnt vmcnt(12)
	v_fma_f32 v35, v35, v70, -v58
	v_fmac_f32_e32 v83, v36, v70
	v_add_f32_e32 v33, 0, v33
	v_add_f32_e32 v32, 0, v32
	v_mul_f32_e32 v36, v40, v60
	s_waitcnt vmcnt(11)
	v_fma_f32 v34, v37, v71, -v34
	v_fmac_f32_e32 v84, v38, v71
	v_add_f32_e32 v33, v33, v35
	v_add_f32_e32 v32, v32, v83
	;; [unrolled: 6-line block ×8, first 2 shown]
	s_waitcnt lgkmcnt(0)
	v_mul_f32_e32 v35, v54, v67
	s_waitcnt vmcnt(4)
	v_fma_f32 v36, v51, v78, -v36
	v_mul_f32_e32 v92, v53, v67
	v_add_f32_e32 v33, v33, v34
	v_fmac_f32_e32 v91, v52, v78
	v_add_f32_e32 v32, v32, v90
	v_mul_f32_e32 v34, v56, v68
	s_waitcnt vmcnt(3)
	v_fma_f32 v35, v53, v79, -v35
	v_add_f32_e32 v33, v33, v36
	v_mul_f32_e32 v93, v55, v68
	v_fmac_f32_e32 v92, v54, v79
	v_add_f32_e32 v32, v32, v91
	s_waitcnt vmcnt(2)
	v_fma_f32 v34, v55, v80, -v34
	v_add_f32_e32 v33, v33, v35
	v_fmac_f32_e32 v93, v56, v80
	v_add_f32_e32 v32, v32, v92
	v_add_f32_e32 v33, v33, v34
	v_add_f32_e32 v32, v32, v93
	s_waitcnt vmcnt(1)
	v_sub_f32_e32 v33, v81, v33
	s_waitcnt vmcnt(0)
	v_sub_f32_e32 v32, v82, v32
	buffer_store_dword v33, off, s[0:3], 0 offset:16
	buffer_store_dword v32, off, s[0:3], 0 offset:20
	v_cmpx_lt_u32_e32 1, v0
	s_cbranch_execz .LBB78_101
; %bb.100:
	s_clause 0x1
	buffer_load_dword v32, off, s[0:3], 0 offset:8
	buffer_load_dword v33, off, s[0:3], 0 offset:12
	v_mov_b32_e32 v34, 0
	buffer_store_dword v34, off, s[0:3], 0 offset:8
	buffer_store_dword v34, off, s[0:3], 0 offset:12
	s_waitcnt vmcnt(0)
	ds_write_b64 v31, v[32:33]
.LBB78_101:
	s_or_b32 exec_lo, exec_lo, s4
	s_waitcnt lgkmcnt(0)
	s_waitcnt_vscnt null, 0x0
	s_barrier
	buffer_gl0_inv
	s_clause 0x1b
	buffer_load_dword v59, off, s[0:3], 0 offset:20
	buffer_load_dword v60, off, s[0:3], 0 offset:28
	;; [unrolled: 1-line block ×28, first 2 shown]
	v_mov_b32_e32 v32, 0
	ds_read_b128 v[33:36], v32 offset:144
	ds_read_b128 v[37:40], v32 offset:160
	;; [unrolled: 1-line block ×6, first 2 shown]
	ds_read_b64 v[57:58], v32 offset:240
	s_mov_b32 s4, exec_lo
	s_waitcnt vmcnt(27) lgkmcnt(6)
	v_mul_f32_e32 v87, v33, v59
	v_mul_f32_e32 v59, v34, v59
	s_waitcnt vmcnt(26)
	v_mul_f32_e32 v88, v35, v60
	v_mul_f32_e32 v60, v36, v60
	s_waitcnt vmcnt(25) lgkmcnt(5)
	v_mul_f32_e32 v89, v37, v61
	s_waitcnt vmcnt(24)
	v_mul_f32_e32 v90, v39, v62
	s_waitcnt vmcnt(23) lgkmcnt(4)
	v_mul_f32_e32 v91, v41, v63
	s_waitcnt vmcnt(22)
	;; [unrolled: 4-line block ×5, first 2 shown]
	v_fma_f32 v33, v33, v72, -v59
	v_fmac_f32_e32 v87, v34, v72
	v_mul_f32_e32 v34, v38, v61
	s_waitcnt vmcnt(13)
	v_fma_f32 v35, v35, v73, -v60
	v_fmac_f32_e32 v88, v36, v73
	v_add_f32_e32 v33, 0, v33
	v_add_f32_e32 v36, 0, v87
	v_mul_f32_e32 v59, v40, v62
	s_waitcnt vmcnt(12)
	v_fma_f32 v34, v37, v74, -v34
	v_fmac_f32_e32 v89, v38, v74
	v_add_f32_e32 v33, v33, v35
	v_add_f32_e32 v35, v36, v88
	;; [unrolled: 6-line block ×9, first 2 shown]
	v_mul_f32_e32 v35, v56, v70
	s_waitcnt vmcnt(4)
	v_fma_f32 v36, v53, v82, -v36
	v_mul_f32_e32 v98, v55, v70
	v_add_f32_e32 v33, v33, v37
	v_fmac_f32_e32 v97, v54, v82
	v_add_f32_e32 v34, v34, v96
	s_waitcnt lgkmcnt(0)
	v_mul_f32_e32 v37, v58, v71
	s_waitcnt vmcnt(3)
	v_fma_f32 v35, v55, v83, -v35
	v_add_f32_e32 v33, v33, v36
	v_mul_f32_e32 v99, v57, v71
	v_fmac_f32_e32 v98, v56, v83
	v_add_f32_e32 v34, v34, v97
	s_waitcnt vmcnt(2)
	v_fma_f32 v36, v57, v84, -v37
	v_add_f32_e32 v33, v33, v35
	v_fmac_f32_e32 v99, v58, v84
	v_add_f32_e32 v34, v34, v98
	v_add_f32_e32 v33, v33, v36
	;; [unrolled: 1-line block ×3, first 2 shown]
	s_waitcnt vmcnt(1)
	v_sub_f32_e32 v33, v85, v33
	s_waitcnt vmcnt(0)
	v_sub_f32_e32 v34, v86, v34
	buffer_store_dword v33, off, s[0:3], 0 offset:8
	buffer_store_dword v34, off, s[0:3], 0 offset:12
	v_cmpx_ne_u32_e32 0, v0
	s_cbranch_execz .LBB78_103
; %bb.102:
	s_clause 0x1
	buffer_load_dword v33, off, s[0:3], 0
	buffer_load_dword v34, off, s[0:3], 0 offset:4
	buffer_store_dword v32, off, s[0:3], 0
	buffer_store_dword v32, off, s[0:3], 0 offset:4
	s_waitcnt vmcnt(0)
	ds_write_b64 v31, v[33:34]
.LBB78_103:
	s_or_b32 exec_lo, exec_lo, s4
	s_waitcnt lgkmcnt(0)
	s_waitcnt_vscnt null, 0x0
	s_barrier
	buffer_gl0_inv
	s_clause 0x1d
	buffer_load_dword v61, off, s[0:3], 0 offset:12
	buffer_load_dword v62, off, s[0:3], 0 offset:20
	;; [unrolled: 1-line block ×28, first 2 shown]
	buffer_load_dword v87, off, s[0:3], 0
	buffer_load_dword v88, off, s[0:3], 0 offset:4
	ds_read2_b64 v[33:36], v32 offset0:17 offset1:18
	ds_read2_b64 v[37:40], v32 offset0:19 offset1:20
	;; [unrolled: 1-line block ×7, first 2 shown]
	s_and_b32 vcc_lo, exec_lo, s16
	s_waitcnt vmcnt(29) lgkmcnt(6)
	v_mul_f32_e32 v32, v33, v61
	v_mul_f32_e32 v61, v34, v61
	s_waitcnt vmcnt(28)
	v_mul_f32_e32 v89, v35, v62
	v_mul_f32_e32 v62, v36, v62
	s_waitcnt vmcnt(27) lgkmcnt(5)
	v_mul_f32_e32 v90, v37, v63
	s_waitcnt vmcnt(26)
	v_mul_f32_e32 v91, v39, v64
	s_waitcnt vmcnt(25) lgkmcnt(4)
	v_mul_f32_e32 v92, v41, v65
	s_waitcnt vmcnt(24)
	;; [unrolled: 4-line block ×5, first 2 shown]
	v_mul_f32_e32 v99, v55, v72
	s_waitcnt vmcnt(15)
	v_fma_f32 v33, v33, v74, -v61
	v_fmac_f32_e32 v32, v34, v74
	v_mul_f32_e32 v34, v38, v63
	s_waitcnt vmcnt(14)
	v_fma_f32 v35, v35, v75, -v62
	v_fmac_f32_e32 v89, v36, v75
	v_add_f32_e32 v33, 0, v33
	v_add_f32_e32 v32, 0, v32
	v_mul_f32_e32 v36, v40, v64
	s_waitcnt vmcnt(13)
	v_fma_f32 v34, v37, v76, -v34
	v_fmac_f32_e32 v90, v38, v76
	v_add_f32_e32 v33, v33, v35
	v_add_f32_e32 v32, v32, v89
	;; [unrolled: 6-line block ×10, first 2 shown]
	s_waitcnt lgkmcnt(0)
	v_mul_f32_e32 v36, v58, v0
	s_waitcnt vmcnt(4)
	v_fma_f32 v34, v55, v85, -v34
	v_mul_f32_e32 v100, v57, v0
	v_add_f32_e32 v33, v33, v35
	v_fmac_f32_e32 v99, v56, v85
	v_add_f32_e32 v32, v32, v98
	v_mul_f32_e32 v35, v60, v73
	s_waitcnt vmcnt(2)
	v_fma_f32 v36, v57, v31, -v36
	v_add_f32_e32 v33, v33, v34
	v_mul_f32_e32 v101, v59, v73
	v_fmac_f32_e32 v100, v58, v31
	v_add_f32_e32 v32, v32, v99
	v_fma_f32 v34, v59, v86, -v35
	v_add_f32_e32 v33, v33, v36
	v_fmac_f32_e32 v101, v60, v86
	v_add_f32_e32 v32, v32, v100
	v_add_f32_e32 v33, v33, v34
	;; [unrolled: 1-line block ×3, first 2 shown]
	s_waitcnt vmcnt(1)
	v_sub_f32_e32 v33, v87, v33
	s_waitcnt vmcnt(0)
	v_sub_f32_e32 v32, v88, v32
	buffer_store_dword v33, off, s[0:3], 0
	buffer_store_dword v32, off, s[0:3], 0 offset:4
	s_cbranch_vccz .LBB78_132
; %bb.104:
	v_mov_b32_e32 v32, 0
	global_load_dword v33, v32, s[12:13] offset:52
	s_waitcnt vmcnt(0)
	v_add_nc_u32_e32 v33, -1, v33
	v_cmp_ne_u32_e32 vcc_lo, 13, v33
	s_cbranch_vccz .LBB78_106
; %bb.105:
	v_lshlrev_b32_e32 v33, 3, v33
	s_clause 0x1
	buffer_load_dword v34, v33, s[0:3], 0 offen
	buffer_load_dword v35, v33, s[0:3], 0 offen offset:4
	s_waitcnt vmcnt(1)
	buffer_store_dword v34, off, s[0:3], 0 offset:104
	s_waitcnt vmcnt(0)
	buffer_store_dword v35, off, s[0:3], 0 offset:108
	buffer_store_dword v31, v33, s[0:3], 0 offen
	buffer_store_dword v0, v33, s[0:3], 0 offen offset:4
.LBB78_106:
	global_load_dword v0, v32, s[12:13] offset:48
	s_waitcnt vmcnt(0)
	v_add_nc_u32_e32 v0, -1, v0
	v_cmp_eq_u32_e32 vcc_lo, 12, v0
	s_cbranch_vccnz .LBB78_108
; %bb.107:
	v_lshlrev_b32_e32 v0, 3, v0
	s_clause 0x3
	buffer_load_dword v31, v0, s[0:3], 0 offen
	buffer_load_dword v32, v0, s[0:3], 0 offen offset:4
	buffer_load_dword v33, off, s[0:3], 0 offset:100
	buffer_load_dword v34, off, s[0:3], 0 offset:96
	s_waitcnt vmcnt(3)
	buffer_store_dword v31, off, s[0:3], 0 offset:96
	s_waitcnt vmcnt(2)
	buffer_store_dword v32, off, s[0:3], 0 offset:100
	s_waitcnt vmcnt(1)
	buffer_store_dword v33, v0, s[0:3], 0 offen offset:4
	s_waitcnt vmcnt(0)
	buffer_store_dword v34, v0, s[0:3], 0 offen
.LBB78_108:
	v_mov_b32_e32 v0, 0
	global_load_dword v31, v0, s[12:13] offset:44
	s_waitcnt vmcnt(0)
	v_add_nc_u32_e32 v31, -1, v31
	v_cmp_eq_u32_e32 vcc_lo, 11, v31
	s_cbranch_vccnz .LBB78_110
; %bb.109:
	v_lshlrev_b32_e32 v31, 3, v31
	s_clause 0x3
	buffer_load_dword v32, v31, s[0:3], 0 offen
	buffer_load_dword v33, v31, s[0:3], 0 offen offset:4
	buffer_load_dword v34, off, s[0:3], 0 offset:88
	buffer_load_dword v35, off, s[0:3], 0 offset:92
	s_waitcnt vmcnt(3)
	buffer_store_dword v32, off, s[0:3], 0 offset:88
	s_waitcnt vmcnt(2)
	buffer_store_dword v33, off, s[0:3], 0 offset:92
	s_waitcnt vmcnt(1)
	buffer_store_dword v34, v31, s[0:3], 0 offen
	s_waitcnt vmcnt(0)
	buffer_store_dword v35, v31, s[0:3], 0 offen offset:4
.LBB78_110:
	global_load_dword v0, v0, s[12:13] offset:40
	s_waitcnt vmcnt(0)
	v_add_nc_u32_e32 v0, -1, v0
	v_cmp_eq_u32_e32 vcc_lo, 10, v0
	s_cbranch_vccnz .LBB78_112
; %bb.111:
	v_lshlrev_b32_e32 v0, 3, v0
	s_clause 0x3
	buffer_load_dword v31, v0, s[0:3], 0 offen
	buffer_load_dword v32, v0, s[0:3], 0 offen offset:4
	buffer_load_dword v33, off, s[0:3], 0 offset:84
	buffer_load_dword v34, off, s[0:3], 0 offset:80
	s_waitcnt vmcnt(3)
	buffer_store_dword v31, off, s[0:3], 0 offset:80
	s_waitcnt vmcnt(2)
	buffer_store_dword v32, off, s[0:3], 0 offset:84
	s_waitcnt vmcnt(1)
	buffer_store_dword v33, v0, s[0:3], 0 offen offset:4
	s_waitcnt vmcnt(0)
	buffer_store_dword v34, v0, s[0:3], 0 offen
.LBB78_112:
	v_mov_b32_e32 v0, 0
	global_load_dword v31, v0, s[12:13] offset:36
	s_waitcnt vmcnt(0)
	v_add_nc_u32_e32 v31, -1, v31
	v_cmp_eq_u32_e32 vcc_lo, 9, v31
	s_cbranch_vccnz .LBB78_114
; %bb.113:
	v_lshlrev_b32_e32 v31, 3, v31
	s_clause 0x3
	buffer_load_dword v32, v31, s[0:3], 0 offen
	buffer_load_dword v33, v31, s[0:3], 0 offen offset:4
	buffer_load_dword v34, off, s[0:3], 0 offset:72
	buffer_load_dword v35, off, s[0:3], 0 offset:76
	s_waitcnt vmcnt(3)
	buffer_store_dword v32, off, s[0:3], 0 offset:72
	s_waitcnt vmcnt(2)
	buffer_store_dword v33, off, s[0:3], 0 offset:76
	s_waitcnt vmcnt(1)
	buffer_store_dword v34, v31, s[0:3], 0 offen
	s_waitcnt vmcnt(0)
	buffer_store_dword v35, v31, s[0:3], 0 offen offset:4
.LBB78_114:
	;; [unrolled: 43-line block ×6, first 2 shown]
	global_load_dword v0, v0, s[12:13]
	s_waitcnt vmcnt(0)
	v_add_nc_u32_e32 v0, -1, v0
	v_cmp_eq_u32_e32 vcc_lo, 0, v0
	s_cbranch_vccnz .LBB78_132
; %bb.131:
	v_lshlrev_b32_e32 v0, 3, v0
	s_clause 0x3
	buffer_load_dword v31, v0, s[0:3], 0 offen
	buffer_load_dword v32, v0, s[0:3], 0 offen offset:4
	buffer_load_dword v33, off, s[0:3], 0 offset:4
	buffer_load_dword v34, off, s[0:3], 0
	s_waitcnt vmcnt(3)
	buffer_store_dword v31, off, s[0:3], 0
	s_waitcnt vmcnt(2)
	buffer_store_dword v32, off, s[0:3], 0 offset:4
	s_waitcnt vmcnt(1)
	buffer_store_dword v33, v0, s[0:3], 0 offen offset:4
	s_waitcnt vmcnt(0)
	buffer_store_dword v34, v0, s[0:3], 0 offen
.LBB78_132:
	s_clause 0x1
	buffer_load_dword v31, off, s[0:3], 0
	buffer_load_dword v32, off, s[0:3], 0 offset:4
	s_waitcnt vmcnt(0)
	flat_store_dwordx2 v[1:2], v[31:32]
	s_clause 0x1
	buffer_load_dword v0, off, s[0:3], 0 offset:8
	buffer_load_dword v1, off, s[0:3], 0 offset:12
	s_waitcnt vmcnt(0)
	flat_store_dwordx2 v[3:4], v[0:1]
	s_clause 0x1
	buffer_load_dword v0, off, s[0:3], 0 offset:16
	;; [unrolled: 5-line block ×14, first 2 shown]
	buffer_load_dword v1, off, s[0:3], 0 offset:116
	s_waitcnt vmcnt(0)
	flat_store_dwordx2 v[29:30], v[0:1]
	s_endpgm
	.section	.rodata,"a",@progbits
	.p2align	6, 0x0
	.amdhsa_kernel _ZN9rocsolver6v33100L18getri_kernel_smallILi15E19rocblas_complex_numIfEPKPS3_EEvT1_iilPiilS8_bb
		.amdhsa_group_segment_fixed_size 248
		.amdhsa_private_segment_fixed_size 128
		.amdhsa_kernarg_size 60
		.amdhsa_user_sgpr_count 6
		.amdhsa_user_sgpr_private_segment_buffer 1
		.amdhsa_user_sgpr_dispatch_ptr 0
		.amdhsa_user_sgpr_queue_ptr 0
		.amdhsa_user_sgpr_kernarg_segment_ptr 1
		.amdhsa_user_sgpr_dispatch_id 0
		.amdhsa_user_sgpr_flat_scratch_init 0
		.amdhsa_user_sgpr_private_segment_size 0
		.amdhsa_wavefront_size32 1
		.amdhsa_uses_dynamic_stack 0
		.amdhsa_system_sgpr_private_segment_wavefront_offset 1
		.amdhsa_system_sgpr_workgroup_id_x 1
		.amdhsa_system_sgpr_workgroup_id_y 0
		.amdhsa_system_sgpr_workgroup_id_z 0
		.amdhsa_system_sgpr_workgroup_info 0
		.amdhsa_system_vgpr_workitem_id 0
		.amdhsa_next_free_vgpr 102
		.amdhsa_next_free_sgpr 20
		.amdhsa_reserve_vcc 1
		.amdhsa_reserve_flat_scratch 0
		.amdhsa_float_round_mode_32 0
		.amdhsa_float_round_mode_16_64 0
		.amdhsa_float_denorm_mode_32 3
		.amdhsa_float_denorm_mode_16_64 3
		.amdhsa_dx10_clamp 1
		.amdhsa_ieee_mode 1
		.amdhsa_fp16_overflow 0
		.amdhsa_workgroup_processor_mode 1
		.amdhsa_memory_ordered 1
		.amdhsa_forward_progress 1
		.amdhsa_shared_vgpr_count 0
		.amdhsa_exception_fp_ieee_invalid_op 0
		.amdhsa_exception_fp_denorm_src 0
		.amdhsa_exception_fp_ieee_div_zero 0
		.amdhsa_exception_fp_ieee_overflow 0
		.amdhsa_exception_fp_ieee_underflow 0
		.amdhsa_exception_fp_ieee_inexact 0
		.amdhsa_exception_int_div_zero 0
	.end_amdhsa_kernel
	.section	.text._ZN9rocsolver6v33100L18getri_kernel_smallILi15E19rocblas_complex_numIfEPKPS3_EEvT1_iilPiilS8_bb,"axG",@progbits,_ZN9rocsolver6v33100L18getri_kernel_smallILi15E19rocblas_complex_numIfEPKPS3_EEvT1_iilPiilS8_bb,comdat
.Lfunc_end78:
	.size	_ZN9rocsolver6v33100L18getri_kernel_smallILi15E19rocblas_complex_numIfEPKPS3_EEvT1_iilPiilS8_bb, .Lfunc_end78-_ZN9rocsolver6v33100L18getri_kernel_smallILi15E19rocblas_complex_numIfEPKPS3_EEvT1_iilPiilS8_bb
                                        ; -- End function
	.set _ZN9rocsolver6v33100L18getri_kernel_smallILi15E19rocblas_complex_numIfEPKPS3_EEvT1_iilPiilS8_bb.num_vgpr, 102
	.set _ZN9rocsolver6v33100L18getri_kernel_smallILi15E19rocblas_complex_numIfEPKPS3_EEvT1_iilPiilS8_bb.num_agpr, 0
	.set _ZN9rocsolver6v33100L18getri_kernel_smallILi15E19rocblas_complex_numIfEPKPS3_EEvT1_iilPiilS8_bb.numbered_sgpr, 20
	.set _ZN9rocsolver6v33100L18getri_kernel_smallILi15E19rocblas_complex_numIfEPKPS3_EEvT1_iilPiilS8_bb.num_named_barrier, 0
	.set _ZN9rocsolver6v33100L18getri_kernel_smallILi15E19rocblas_complex_numIfEPKPS3_EEvT1_iilPiilS8_bb.private_seg_size, 128
	.set _ZN9rocsolver6v33100L18getri_kernel_smallILi15E19rocblas_complex_numIfEPKPS3_EEvT1_iilPiilS8_bb.uses_vcc, 1
	.set _ZN9rocsolver6v33100L18getri_kernel_smallILi15E19rocblas_complex_numIfEPKPS3_EEvT1_iilPiilS8_bb.uses_flat_scratch, 0
	.set _ZN9rocsolver6v33100L18getri_kernel_smallILi15E19rocblas_complex_numIfEPKPS3_EEvT1_iilPiilS8_bb.has_dyn_sized_stack, 0
	.set _ZN9rocsolver6v33100L18getri_kernel_smallILi15E19rocblas_complex_numIfEPKPS3_EEvT1_iilPiilS8_bb.has_recursion, 0
	.set _ZN9rocsolver6v33100L18getri_kernel_smallILi15E19rocblas_complex_numIfEPKPS3_EEvT1_iilPiilS8_bb.has_indirect_call, 0
	.section	.AMDGPU.csdata,"",@progbits
; Kernel info:
; codeLenInByte = 15364
; TotalNumSgprs: 22
; NumVgprs: 102
; ScratchSize: 128
; MemoryBound: 0
; FloatMode: 240
; IeeeMode: 1
; LDSByteSize: 248 bytes/workgroup (compile time only)
; SGPRBlocks: 0
; VGPRBlocks: 12
; NumSGPRsForWavesPerEU: 22
; NumVGPRsForWavesPerEU: 102
; Occupancy: 9
; WaveLimiterHint : 1
; COMPUTE_PGM_RSRC2:SCRATCH_EN: 1
; COMPUTE_PGM_RSRC2:USER_SGPR: 6
; COMPUTE_PGM_RSRC2:TRAP_HANDLER: 0
; COMPUTE_PGM_RSRC2:TGID_X_EN: 1
; COMPUTE_PGM_RSRC2:TGID_Y_EN: 0
; COMPUTE_PGM_RSRC2:TGID_Z_EN: 0
; COMPUTE_PGM_RSRC2:TIDIG_COMP_CNT: 0
	.section	.text._ZN9rocsolver6v33100L18getri_kernel_smallILi16E19rocblas_complex_numIfEPKPS3_EEvT1_iilPiilS8_bb,"axG",@progbits,_ZN9rocsolver6v33100L18getri_kernel_smallILi16E19rocblas_complex_numIfEPKPS3_EEvT1_iilPiilS8_bb,comdat
	.globl	_ZN9rocsolver6v33100L18getri_kernel_smallILi16E19rocblas_complex_numIfEPKPS3_EEvT1_iilPiilS8_bb ; -- Begin function _ZN9rocsolver6v33100L18getri_kernel_smallILi16E19rocblas_complex_numIfEPKPS3_EEvT1_iilPiilS8_bb
	.p2align	8
	.type	_ZN9rocsolver6v33100L18getri_kernel_smallILi16E19rocblas_complex_numIfEPKPS3_EEvT1_iilPiilS8_bb,@function
_ZN9rocsolver6v33100L18getri_kernel_smallILi16E19rocblas_complex_numIfEPKPS3_EEvT1_iilPiilS8_bb: ; @_ZN9rocsolver6v33100L18getri_kernel_smallILi16E19rocblas_complex_numIfEPKPS3_EEvT1_iilPiilS8_bb
; %bb.0:
	s_add_u32 s0, s0, s7
	s_addc_u32 s1, s1, 0
	s_mov_b32 s7, exec_lo
	v_cmpx_gt_u32_e32 16, v0
	s_cbranch_execz .LBB79_78
; %bb.1:
	s_clause 0x2
	s_load_dword s17, s[4:5], 0x38
	s_load_dwordx2 s[12:13], s[4:5], 0x0
	s_load_dwordx4 s[8:11], s[4:5], 0x28
	s_waitcnt lgkmcnt(0)
	s_bitcmp1_b32 s17, 8
	s_cselect_b32 s16, -1, 0
	s_ashr_i32 s7, s6, 31
	s_lshl_b64 s[14:15], s[6:7], 3
	s_add_u32 s12, s12, s14
	s_addc_u32 s13, s13, s15
	s_load_dwordx2 s[14:15], s[12:13], 0x0
	s_bfe_u32 s12, s17, 0x10008
	s_cmp_eq_u32 s12, 0
                                        ; implicit-def: $sgpr12_sgpr13
	s_cbranch_scc1 .LBB79_3
; %bb.2:
	s_clause 0x1
	s_load_dword s12, s[4:5], 0x20
	s_load_dwordx2 s[18:19], s[4:5], 0x18
	s_mul_i32 s13, s8, s7
	s_mul_hi_u32 s17, s8, s6
	s_mul_i32 s9, s9, s6
	s_add_i32 s13, s17, s13
	s_mul_i32 s8, s8, s6
	s_add_i32 s9, s13, s9
	s_lshl_b64 s[8:9], s[8:9], 2
	s_waitcnt lgkmcnt(0)
	s_ashr_i32 s13, s12, 31
	s_add_u32 s17, s18, s8
	s_addc_u32 s18, s19, s9
	s_lshl_b64 s[8:9], s[12:13], 2
	s_add_u32 s12, s17, s8
	s_addc_u32 s13, s18, s9
.LBB79_3:
	s_clause 0x1
	s_load_dwordx2 s[8:9], s[4:5], 0x8
	s_load_dword s4, s[4:5], 0x38
	v_lshlrev_b32_e32 v35, 3, v0
	s_waitcnt lgkmcnt(0)
	s_ashr_i32 s19, s8, 31
	s_mov_b32 s18, s8
	v_add3_u32 v9, s9, s9, v0
	s_lshl_b64 s[18:19], s[18:19], 3
	s_add_u32 s5, s14, s18
	s_addc_u32 s8, s15, s19
	v_add_co_u32 v1, s14, s5, v35
	v_add_co_ci_u32_e64 v2, null, s8, 0, s14
	s_mov_b32 s14, s9
	s_ashr_i32 s15, s9, 31
	v_ashrrev_i32_e32 v10, 31, v9
	flat_load_dwordx2 v[5:6], v[1:2]
	s_lshl_b64 s[14:15], s[14:15], 3
	v_add_nc_u32_e32 v12, s9, v9
	v_add_co_u32 v3, vcc_lo, v1, s14
	v_add_co_ci_u32_e64 v4, null, s15, v2, vcc_lo
	v_ashrrev_i32_e32 v13, 31, v12
	s_bitcmp0_b32 s4, 0
	s_waitcnt vmcnt(0) lgkmcnt(0)
	buffer_store_dword v6, off, s[0:3], 0 offset:4
	buffer_store_dword v5, off, s[0:3], 0
	flat_load_dwordx2 v[7:8], v[3:4]
	v_lshlrev_b64 v[5:6], 3, v[9:10]
	s_waitcnt vmcnt(0) lgkmcnt(0)
	buffer_store_dword v8, off, s[0:3], 0 offset:12
	buffer_store_dword v7, off, s[0:3], 0 offset:8
	v_add_co_u32 v5, vcc_lo, s5, v5
	v_add_co_ci_u32_e64 v6, null, s8, v6, vcc_lo
	v_lshlrev_b64 v[7:8], 3, v[12:13]
	flat_load_dwordx2 v[10:11], v[5:6]
	s_waitcnt vmcnt(0) lgkmcnt(0)
	buffer_store_dword v11, off, s[0:3], 0 offset:20
	buffer_store_dword v10, off, s[0:3], 0 offset:16
	v_add_co_u32 v7, vcc_lo, s5, v7
	v_add_co_ci_u32_e64 v8, null, s8, v8, vcc_lo
	v_add_nc_u32_e32 v11, s9, v12
	flat_load_dwordx2 v[13:14], v[7:8]
	s_waitcnt vmcnt(0) lgkmcnt(0)
	buffer_store_dword v14, off, s[0:3], 0 offset:28
	buffer_store_dword v13, off, s[0:3], 0 offset:24
	v_ashrrev_i32_e32 v12, 31, v11
	v_add_nc_u32_e32 v15, s9, v11
	v_lshlrev_b64 v[9:10], 3, v[11:12]
	v_ashrrev_i32_e32 v16, 31, v15
	v_add_nc_u32_e32 v18, s9, v15
	v_add_co_u32 v9, vcc_lo, s5, v9
	v_add_co_ci_u32_e64 v10, null, s8, v10, vcc_lo
	v_lshlrev_b64 v[11:12], 3, v[15:16]
	v_ashrrev_i32_e32 v19, 31, v18
	flat_load_dwordx2 v[13:14], v[9:10]
	s_waitcnt vmcnt(0) lgkmcnt(0)
	buffer_store_dword v14, off, s[0:3], 0 offset:36
	buffer_store_dword v13, off, s[0:3], 0 offset:32
	v_add_co_u32 v11, vcc_lo, s5, v11
	v_add_co_ci_u32_e64 v12, null, s8, v12, vcc_lo
	v_lshlrev_b64 v[13:14], 3, v[18:19]
	flat_load_dwordx2 v[16:17], v[11:12]
	s_waitcnt vmcnt(0) lgkmcnt(0)
	buffer_store_dword v17, off, s[0:3], 0 offset:44
	buffer_store_dword v16, off, s[0:3], 0 offset:40
	v_add_co_u32 v13, vcc_lo, s5, v13
	v_add_co_ci_u32_e64 v14, null, s8, v14, vcc_lo
	v_add_nc_u32_e32 v17, s9, v18
	flat_load_dwordx2 v[19:20], v[13:14]
	s_waitcnt vmcnt(0) lgkmcnt(0)
	buffer_store_dword v20, off, s[0:3], 0 offset:52
	buffer_store_dword v19, off, s[0:3], 0 offset:48
	v_ashrrev_i32_e32 v18, 31, v17
	v_add_nc_u32_e32 v21, s9, v17
	v_lshlrev_b64 v[15:16], 3, v[17:18]
	v_ashrrev_i32_e32 v22, 31, v21
	v_add_nc_u32_e32 v24, s9, v21
	v_add_co_u32 v15, vcc_lo, s5, v15
	v_add_co_ci_u32_e64 v16, null, s8, v16, vcc_lo
	v_lshlrev_b64 v[17:18], 3, v[21:22]
	v_ashrrev_i32_e32 v25, 31, v24
	flat_load_dwordx2 v[19:20], v[15:16]
	;; [unrolled: 27-line block ×3, first 2 shown]
	s_waitcnt vmcnt(0) lgkmcnt(0)
	buffer_store_dword v26, off, s[0:3], 0 offset:84
	buffer_store_dword v25, off, s[0:3], 0 offset:80
	v_add_co_u32 v23, vcc_lo, s5, v23
	v_add_co_ci_u32_e64 v24, null, s8, v24, vcc_lo
	v_lshlrev_b64 v[25:26], 3, v[30:31]
	flat_load_dwordx2 v[28:29], v[23:24]
	s_waitcnt vmcnt(0) lgkmcnt(0)
	buffer_store_dword v29, off, s[0:3], 0 offset:92
	buffer_store_dword v28, off, s[0:3], 0 offset:88
	v_add_co_u32 v25, vcc_lo, s5, v25
	v_add_co_ci_u32_e64 v26, null, s8, v26, vcc_lo
	v_add_nc_u32_e32 v29, s9, v30
	flat_load_dwordx2 v[31:32], v[25:26]
	s_waitcnt vmcnt(0) lgkmcnt(0)
	buffer_store_dword v32, off, s[0:3], 0 offset:100
	buffer_store_dword v31, off, s[0:3], 0 offset:96
	v_ashrrev_i32_e32 v30, 31, v29
	v_add_nc_u32_e32 v33, s9, v29
	v_lshlrev_b64 v[27:28], 3, v[29:30]
	v_ashrrev_i32_e32 v34, 31, v33
	v_add_co_u32 v27, vcc_lo, s5, v27
	v_add_co_ci_u32_e64 v28, null, s8, v28, vcc_lo
	v_lshlrev_b64 v[29:30], 3, v[33:34]
	flat_load_dwordx2 v[31:32], v[27:28]
	s_waitcnt vmcnt(0) lgkmcnt(0)
	buffer_store_dword v32, off, s[0:3], 0 offset:108
	buffer_store_dword v31, off, s[0:3], 0 offset:104
	v_add_co_u32 v29, vcc_lo, s5, v29
	v_add_co_ci_u32_e64 v30, null, s8, v30, vcc_lo
	v_add_nc_u32_e32 v31, s9, v33
	flat_load_dwordx2 v[36:37], v[29:30]
	s_waitcnt vmcnt(0) lgkmcnt(0)
	buffer_store_dword v37, off, s[0:3], 0 offset:116
	buffer_store_dword v36, off, s[0:3], 0 offset:112
	v_ashrrev_i32_e32 v32, 31, v31
	v_lshlrev_b64 v[31:32], 3, v[31:32]
	v_add_co_u32 v31, vcc_lo, s5, v31
	v_add_co_ci_u32_e64 v32, null, s8, v32, vcc_lo
	s_mov_b32 s5, -1
	flat_load_dwordx2 v[33:34], v[31:32]
	s_waitcnt vmcnt(0) lgkmcnt(0)
	buffer_store_dword v34, off, s[0:3], 0 offset:124
	buffer_store_dword v33, off, s[0:3], 0 offset:120
	s_cbranch_scc1 .LBB79_76
; %bb.4:
	v_cmp_eq_u32_e64 s4, 0, v0
	s_and_saveexec_b32 s5, s4
; %bb.5:
	v_mov_b32_e32 v33, 0
	ds_write_b32 v33, v33 offset:256
; %bb.6:
	s_or_b32 exec_lo, exec_lo, s5
	v_lshl_add_u32 v37, v0, 3, 0
	s_waitcnt lgkmcnt(0)
	s_waitcnt_vscnt null, 0x0
	s_barrier
	buffer_gl0_inv
	s_clause 0x1
	buffer_load_dword v33, v37, s[0:3], 0 offen
	buffer_load_dword v34, v37, s[0:3], 0 offen offset:4
	s_waitcnt vmcnt(1)
	v_cmp_eq_f32_e32 vcc_lo, 0, v33
	s_waitcnt vmcnt(0)
	v_cmp_eq_f32_e64 s5, 0, v34
	s_and_b32 s5, vcc_lo, s5
	s_and_saveexec_b32 s8, s5
	s_cbranch_execz .LBB79_10
; %bb.7:
	v_mov_b32_e32 v33, 0
	s_mov_b32 s9, 0
	ds_read_b32 v34, v33 offset:256
	s_waitcnt lgkmcnt(0)
	v_readfirstlane_b32 s5, v34
	v_add_nc_u32_e32 v34, 1, v0
	s_cmp_eq_u32 s5, 0
	v_cmp_gt_i32_e32 vcc_lo, s5, v34
	s_cselect_b32 s14, -1, 0
	s_or_b32 s14, s14, vcc_lo
	s_and_b32 exec_lo, exec_lo, s14
	s_cbranch_execz .LBB79_10
; %bb.8:
	v_mov_b32_e32 v36, s5
.LBB79_9:                               ; =>This Inner Loop Header: Depth=1
	ds_cmpst_rtn_b32 v36, v33, v36, v34 offset:256
	s_waitcnt lgkmcnt(0)
	v_cmp_ne_u32_e32 vcc_lo, 0, v36
	v_cmp_le_i32_e64 s5, v36, v34
	s_and_b32 s5, vcc_lo, s5
	s_and_b32 s5, exec_lo, s5
	s_or_b32 s9, s5, s9
	s_andn2_b32 exec_lo, exec_lo, s9
	s_cbranch_execnz .LBB79_9
.LBB79_10:
	s_or_b32 exec_lo, exec_lo, s8
	v_mov_b32_e32 v33, 0
	s_barrier
	buffer_gl0_inv
	ds_read_b32 v34, v33 offset:256
	s_and_saveexec_b32 s5, s4
	s_cbranch_execz .LBB79_12
; %bb.11:
	s_lshl_b64 s[8:9], s[6:7], 2
	s_add_u32 s8, s10, s8
	s_addc_u32 s9, s11, s9
	s_waitcnt lgkmcnt(0)
	global_store_dword v33, v34, s[8:9]
.LBB79_12:
	s_or_b32 exec_lo, exec_lo, s5
	s_waitcnt lgkmcnt(0)
	v_cmp_ne_u32_e32 vcc_lo, 0, v34
	s_mov_b32 s5, 0
	s_cbranch_vccnz .LBB79_76
; %bb.13:
	s_clause 0x1
	buffer_load_dword v34, v37, s[0:3], 0 offen
	buffer_load_dword v36, v37, s[0:3], 0 offen offset:4
                                        ; implicit-def: $vgpr39
                                        ; implicit-def: $vgpr38
                                        ; implicit-def: $vgpr33
	s_waitcnt vmcnt(0)
	v_cmp_ngt_f32_e64 s5, |v34|, |v36|
	s_and_saveexec_b32 s8, s5
	s_xor_b32 s5, exec_lo, s8
	s_cbranch_execz .LBB79_15
; %bb.14:
	v_div_scale_f32 v33, null, v36, v36, v34
	v_div_scale_f32 v40, vcc_lo, v34, v36, v34
	v_rcp_f32_e32 v38, v33
	v_fma_f32 v39, -v33, v38, 1.0
	v_fmac_f32_e32 v38, v39, v38
	v_mul_f32_e32 v39, v40, v38
	v_fma_f32 v41, -v33, v39, v40
	v_fmac_f32_e32 v39, v41, v38
	v_fma_f32 v33, -v33, v39, v40
	v_div_fmas_f32 v33, v33, v38, v39
	v_div_fixup_f32 v33, v33, v36, v34
	v_fmac_f32_e32 v36, v34, v33
	v_div_scale_f32 v34, null, v36, v36, 1.0
	v_rcp_f32_e32 v38, v34
	v_fma_f32 v39, -v34, v38, 1.0
	v_fmac_f32_e32 v38, v39, v38
	v_div_scale_f32 v39, vcc_lo, 1.0, v36, 1.0
	v_mul_f32_e32 v40, v39, v38
	v_fma_f32 v41, -v34, v40, v39
	v_fmac_f32_e32 v40, v41, v38
	v_fma_f32 v34, -v34, v40, v39
	v_div_fmas_f32 v34, v34, v38, v40
	v_div_fixup_f32 v34, v34, v36, 1.0
                                        ; implicit-def: $vgpr36
	v_mul_f32_e32 v39, v33, v34
	v_xor_b32_e32 v38, 0x80000000, v34
                                        ; implicit-def: $vgpr34
	v_xor_b32_e32 v33, 0x80000000, v39
.LBB79_15:
	s_andn2_saveexec_b32 s5, s5
	s_cbranch_execz .LBB79_17
; %bb.16:
	v_div_scale_f32 v33, null, v34, v34, v36
	v_div_scale_f32 v40, vcc_lo, v36, v34, v36
	v_rcp_f32_e32 v38, v33
	v_fma_f32 v39, -v33, v38, 1.0
	v_fmac_f32_e32 v38, v39, v38
	v_mul_f32_e32 v39, v40, v38
	v_fma_f32 v41, -v33, v39, v40
	v_fmac_f32_e32 v39, v41, v38
	v_fma_f32 v33, -v33, v39, v40
	v_div_fmas_f32 v33, v33, v38, v39
	v_div_fixup_f32 v38, v33, v34, v36
	v_fmac_f32_e32 v34, v36, v38
	v_div_scale_f32 v33, null, v34, v34, 1.0
	v_div_scale_f32 v40, vcc_lo, 1.0, v34, 1.0
	v_rcp_f32_e32 v36, v33
	v_fma_f32 v39, -v33, v36, 1.0
	v_fmac_f32_e32 v36, v39, v36
	v_mul_f32_e32 v39, v40, v36
	v_fma_f32 v41, -v33, v39, v40
	v_fmac_f32_e32 v39, v41, v36
	v_fma_f32 v33, -v33, v39, v40
	v_div_fmas_f32 v33, v33, v36, v39
	v_div_fixup_f32 v39, v33, v34, 1.0
	v_xor_b32_e32 v33, 0x80000000, v39
	v_mul_f32_e64 v38, v38, -v39
.LBB79_17:
	s_or_b32 exec_lo, exec_lo, s5
	buffer_store_dword v39, v37, s[0:3], 0 offen
	buffer_store_dword v38, v37, s[0:3], 0 offen offset:4
	s_clause 0x1
	buffer_load_dword v40, off, s[0:3], 0 offset:12
	buffer_load_dword v39, off, s[0:3], 0 offset:8
	v_xor_b32_e32 v34, 0x80000000, v38
	v_add_nc_u32_e32 v36, 0x80, v35
	s_waitcnt vmcnt(0)
	ds_write2_b64 v35, v[33:34], v[39:40] offset1:16
	s_waitcnt lgkmcnt(0)
	s_waitcnt_vscnt null, 0x0
	s_barrier
	buffer_gl0_inv
	s_and_saveexec_b32 s5, s4
	s_cbranch_execz .LBB79_19
; %bb.18:
	s_clause 0x1
	buffer_load_dword v40, v37, s[0:3], 0 offen offset:4
	buffer_load_dword v41, v37, s[0:3], 0 offen
	ds_read_b64 v[33:34], v36
	v_mov_b32_e32 v38, 0
	ds_read_b64 v[38:39], v38 offset:8
	s_waitcnt vmcnt(1) lgkmcnt(1)
	v_mul_f32_e32 v42, v33, v40
	v_mul_f32_e32 v40, v34, v40
	s_waitcnt vmcnt(0)
	v_fmac_f32_e32 v42, v34, v41
	v_fma_f32 v33, v33, v41, -v40
	v_add_f32_e32 v34, 0, v42
	v_add_f32_e32 v33, 0, v33
	s_waitcnt lgkmcnt(0)
	v_mul_f32_e32 v40, v34, v39
	v_mul_f32_e32 v39, v33, v39
	v_fma_f32 v33, v33, v38, -v40
	v_fmac_f32_e32 v39, v34, v38
	buffer_store_dword v33, off, s[0:3], 0 offset:8
	buffer_store_dword v39, off, s[0:3], 0 offset:12
.LBB79_19:
	s_or_b32 exec_lo, exec_lo, s5
	s_waitcnt_vscnt null, 0x0
	s_barrier
	buffer_gl0_inv
	s_clause 0x1
	buffer_load_dword v33, off, s[0:3], 0 offset:16
	buffer_load_dword v34, off, s[0:3], 0 offset:20
	s_mov_b32 s5, exec_lo
	s_waitcnt vmcnt(0)
	ds_write_b64 v36, v[33:34]
	s_waitcnt lgkmcnt(0)
	s_barrier
	buffer_gl0_inv
	v_cmpx_gt_u32_e32 2, v0
	s_cbranch_execz .LBB79_23
; %bb.20:
	s_clause 0x1
	buffer_load_dword v38, v37, s[0:3], 0 offen offset:4
	buffer_load_dword v37, v37, s[0:3], 0 offen
	ds_read_b64 v[33:34], v36
	s_waitcnt vmcnt(1) lgkmcnt(0)
	v_mul_f32_e32 v39, v34, v38
	v_mul_f32_e32 v38, v33, v38
	s_waitcnt vmcnt(0)
	v_fma_f32 v33, v33, v37, -v39
	v_fmac_f32_e32 v38, v34, v37
	v_add_f32_e32 v34, 0, v33
	v_add_f32_e32 v33, 0, v38
	s_and_saveexec_b32 s8, s4
	s_cbranch_execz .LBB79_22
; %bb.21:
	s_clause 0x1
	buffer_load_dword v39, off, s[0:3], 0 offset:12
	buffer_load_dword v40, off, s[0:3], 0 offset:8
	v_mov_b32_e32 v37, 0
	ds_read_b64 v[37:38], v37 offset:136
	s_waitcnt vmcnt(1) lgkmcnt(0)
	v_mul_f32_e32 v41, v37, v39
	v_mul_f32_e32 v39, v38, v39
	s_waitcnt vmcnt(0)
	v_fmac_f32_e32 v41, v38, v40
	v_fma_f32 v37, v37, v40, -v39
	v_add_f32_e32 v33, v33, v41
	v_add_f32_e32 v34, v34, v37
.LBB79_22:
	s_or_b32 exec_lo, exec_lo, s8
	v_mov_b32_e32 v37, 0
	ds_read_b64 v[37:38], v37 offset:16
	s_waitcnt lgkmcnt(0)
	v_mul_f32_e32 v39, v33, v38
	v_mul_f32_e32 v38, v34, v38
	v_fma_f32 v34, v34, v37, -v39
	v_fmac_f32_e32 v38, v33, v37
	buffer_store_dword v34, off, s[0:3], 0 offset:16
	buffer_store_dword v38, off, s[0:3], 0 offset:20
.LBB79_23:
	s_or_b32 exec_lo, exec_lo, s5
	s_waitcnt_vscnt null, 0x0
	s_barrier
	buffer_gl0_inv
	s_clause 0x1
	buffer_load_dword v37, off, s[0:3], 0 offset:24
	buffer_load_dword v38, off, s[0:3], 0 offset:28
	v_add_nc_u32_e32 v33, -1, v0
	s_mov_b32 s4, exec_lo
	s_waitcnt vmcnt(0)
	ds_write_b64 v36, v[37:38]
	s_waitcnt lgkmcnt(0)
	s_barrier
	buffer_gl0_inv
	v_cmpx_gt_u32_e32 3, v0
	s_cbranch_execz .LBB79_27
; %bb.24:
	v_add_nc_u32_e32 v37, -1, v0
	v_add_nc_u32_e32 v38, 0x80, v35
	v_mov_b32_e32 v39, v35
	v_mov_b32_e32 v34, 0
	;; [unrolled: 1-line block ×3, first 2 shown]
	s_mov_b32 s5, 0
	.p2align	6
.LBB79_25:                              ; =>This Inner Loop Header: Depth=1
	s_clause 0x1
	buffer_load_dword v43, v39, s[0:3], 0 offen offset:4
	buffer_load_dword v44, v39, s[0:3], 0 offen
	ds_read_b64 v[41:42], v38
	v_add_nc_u32_e32 v37, 1, v37
	v_add_nc_u32_e32 v38, 8, v38
	v_add_nc_u32_e32 v39, 8, v39
	v_cmp_lt_u32_e32 vcc_lo, 1, v37
	s_or_b32 s5, vcc_lo, s5
	s_waitcnt vmcnt(1) lgkmcnt(0)
	v_mul_f32_e32 v45, v42, v43
	v_mul_f32_e32 v43, v41, v43
	s_waitcnt vmcnt(0)
	v_fma_f32 v41, v41, v44, -v45
	v_fmac_f32_e32 v43, v42, v44
	v_add_f32_e32 v40, v40, v41
	v_add_f32_e32 v34, v34, v43
	s_andn2_b32 exec_lo, exec_lo, s5
	s_cbranch_execnz .LBB79_25
; %bb.26:
	s_or_b32 exec_lo, exec_lo, s5
	v_mov_b32_e32 v37, 0
	ds_read_b64 v[37:38], v37 offset:24
	s_waitcnt lgkmcnt(0)
	v_mul_f32_e32 v39, v34, v38
	v_mul_f32_e32 v38, v40, v38
	v_fma_f32 v39, v40, v37, -v39
	v_fmac_f32_e32 v38, v34, v37
	buffer_store_dword v39, off, s[0:3], 0 offset:24
	buffer_store_dword v38, off, s[0:3], 0 offset:28
.LBB79_27:
	s_or_b32 exec_lo, exec_lo, s4
	s_waitcnt_vscnt null, 0x0
	s_barrier
	buffer_gl0_inv
	s_clause 0x1
	buffer_load_dword v37, off, s[0:3], 0 offset:32
	buffer_load_dword v38, off, s[0:3], 0 offset:36
	s_mov_b32 s4, exec_lo
	s_waitcnt vmcnt(0)
	ds_write_b64 v36, v[37:38]
	s_waitcnt lgkmcnt(0)
	s_barrier
	buffer_gl0_inv
	v_cmpx_gt_u32_e32 4, v0
	s_cbranch_execz .LBB79_31
; %bb.28:
	v_add_nc_u32_e32 v37, -1, v0
	v_add_nc_u32_e32 v38, 0x80, v35
	v_mov_b32_e32 v39, v35
	v_mov_b32_e32 v34, 0
	;; [unrolled: 1-line block ×3, first 2 shown]
	s_mov_b32 s5, 0
	.p2align	6
.LBB79_29:                              ; =>This Inner Loop Header: Depth=1
	s_clause 0x1
	buffer_load_dword v43, v39, s[0:3], 0 offen offset:4
	buffer_load_dword v44, v39, s[0:3], 0 offen
	ds_read_b64 v[41:42], v38
	v_add_nc_u32_e32 v37, 1, v37
	v_add_nc_u32_e32 v38, 8, v38
	v_add_nc_u32_e32 v39, 8, v39
	v_cmp_lt_u32_e32 vcc_lo, 2, v37
	s_or_b32 s5, vcc_lo, s5
	s_waitcnt vmcnt(1) lgkmcnt(0)
	v_mul_f32_e32 v45, v42, v43
	v_mul_f32_e32 v43, v41, v43
	s_waitcnt vmcnt(0)
	v_fma_f32 v41, v41, v44, -v45
	v_fmac_f32_e32 v43, v42, v44
	v_add_f32_e32 v40, v40, v41
	v_add_f32_e32 v34, v34, v43
	s_andn2_b32 exec_lo, exec_lo, s5
	s_cbranch_execnz .LBB79_29
; %bb.30:
	s_or_b32 exec_lo, exec_lo, s5
	v_mov_b32_e32 v37, 0
	ds_read_b64 v[37:38], v37 offset:32
	s_waitcnt lgkmcnt(0)
	v_mul_f32_e32 v39, v34, v38
	v_mul_f32_e32 v38, v40, v38
	v_fma_f32 v39, v40, v37, -v39
	v_fmac_f32_e32 v38, v34, v37
	buffer_store_dword v39, off, s[0:3], 0 offset:32
	buffer_store_dword v38, off, s[0:3], 0 offset:36
.LBB79_31:
	s_or_b32 exec_lo, exec_lo, s4
	s_waitcnt_vscnt null, 0x0
	s_barrier
	buffer_gl0_inv
	s_clause 0x1
	buffer_load_dword v37, off, s[0:3], 0 offset:40
	buffer_load_dword v38, off, s[0:3], 0 offset:44
	s_mov_b32 s4, exec_lo
	s_waitcnt vmcnt(0)
	ds_write_b64 v36, v[37:38]
	s_waitcnt lgkmcnt(0)
	s_barrier
	buffer_gl0_inv
	v_cmpx_gt_u32_e32 5, v0
	s_cbranch_execz .LBB79_35
; %bb.32:
	v_add_nc_u32_e32 v37, -1, v0
	v_add_nc_u32_e32 v38, 0x80, v35
	v_mov_b32_e32 v39, v35
	v_mov_b32_e32 v34, 0
	;; [unrolled: 1-line block ×3, first 2 shown]
	s_mov_b32 s5, 0
	.p2align	6
.LBB79_33:                              ; =>This Inner Loop Header: Depth=1
	s_clause 0x1
	buffer_load_dword v43, v39, s[0:3], 0 offen offset:4
	buffer_load_dword v44, v39, s[0:3], 0 offen
	ds_read_b64 v[41:42], v38
	v_add_nc_u32_e32 v37, 1, v37
	v_add_nc_u32_e32 v38, 8, v38
	;; [unrolled: 1-line block ×3, first 2 shown]
	v_cmp_lt_u32_e32 vcc_lo, 3, v37
	s_or_b32 s5, vcc_lo, s5
	s_waitcnt vmcnt(1) lgkmcnt(0)
	v_mul_f32_e32 v45, v42, v43
	v_mul_f32_e32 v43, v41, v43
	s_waitcnt vmcnt(0)
	v_fma_f32 v41, v41, v44, -v45
	v_fmac_f32_e32 v43, v42, v44
	v_add_f32_e32 v40, v40, v41
	v_add_f32_e32 v34, v34, v43
	s_andn2_b32 exec_lo, exec_lo, s5
	s_cbranch_execnz .LBB79_33
; %bb.34:
	s_or_b32 exec_lo, exec_lo, s5
	v_mov_b32_e32 v37, 0
	ds_read_b64 v[37:38], v37 offset:40
	s_waitcnt lgkmcnt(0)
	v_mul_f32_e32 v39, v34, v38
	v_mul_f32_e32 v38, v40, v38
	v_fma_f32 v39, v40, v37, -v39
	v_fmac_f32_e32 v38, v34, v37
	buffer_store_dword v39, off, s[0:3], 0 offset:40
	buffer_store_dword v38, off, s[0:3], 0 offset:44
.LBB79_35:
	s_or_b32 exec_lo, exec_lo, s4
	s_waitcnt_vscnt null, 0x0
	s_barrier
	buffer_gl0_inv
	s_clause 0x1
	buffer_load_dword v37, off, s[0:3], 0 offset:48
	buffer_load_dword v38, off, s[0:3], 0 offset:52
	s_mov_b32 s4, exec_lo
	s_waitcnt vmcnt(0)
	ds_write_b64 v36, v[37:38]
	s_waitcnt lgkmcnt(0)
	s_barrier
	buffer_gl0_inv
	v_cmpx_gt_u32_e32 6, v0
	s_cbranch_execz .LBB79_39
; %bb.36:
	v_add_nc_u32_e32 v37, -1, v0
	v_add_nc_u32_e32 v38, 0x80, v35
	v_mov_b32_e32 v39, v35
	v_mov_b32_e32 v34, 0
	;; [unrolled: 1-line block ×3, first 2 shown]
	s_mov_b32 s5, 0
	.p2align	6
.LBB79_37:                              ; =>This Inner Loop Header: Depth=1
	s_clause 0x1
	buffer_load_dword v43, v39, s[0:3], 0 offen offset:4
	buffer_load_dword v44, v39, s[0:3], 0 offen
	ds_read_b64 v[41:42], v38
	v_add_nc_u32_e32 v37, 1, v37
	v_add_nc_u32_e32 v38, 8, v38
	;; [unrolled: 1-line block ×3, first 2 shown]
	v_cmp_lt_u32_e32 vcc_lo, 4, v37
	s_or_b32 s5, vcc_lo, s5
	s_waitcnt vmcnt(1) lgkmcnt(0)
	v_mul_f32_e32 v45, v42, v43
	v_mul_f32_e32 v43, v41, v43
	s_waitcnt vmcnt(0)
	v_fma_f32 v41, v41, v44, -v45
	v_fmac_f32_e32 v43, v42, v44
	v_add_f32_e32 v40, v40, v41
	v_add_f32_e32 v34, v34, v43
	s_andn2_b32 exec_lo, exec_lo, s5
	s_cbranch_execnz .LBB79_37
; %bb.38:
	s_or_b32 exec_lo, exec_lo, s5
	v_mov_b32_e32 v37, 0
	ds_read_b64 v[37:38], v37 offset:48
	s_waitcnt lgkmcnt(0)
	v_mul_f32_e32 v39, v34, v38
	v_mul_f32_e32 v38, v40, v38
	v_fma_f32 v39, v40, v37, -v39
	v_fmac_f32_e32 v38, v34, v37
	buffer_store_dword v39, off, s[0:3], 0 offset:48
	buffer_store_dword v38, off, s[0:3], 0 offset:52
.LBB79_39:
	s_or_b32 exec_lo, exec_lo, s4
	s_waitcnt_vscnt null, 0x0
	s_barrier
	buffer_gl0_inv
	s_clause 0x1
	buffer_load_dword v37, off, s[0:3], 0 offset:56
	buffer_load_dword v38, off, s[0:3], 0 offset:60
	s_mov_b32 s4, exec_lo
	s_waitcnt vmcnt(0)
	ds_write_b64 v36, v[37:38]
	s_waitcnt lgkmcnt(0)
	s_barrier
	buffer_gl0_inv
	v_cmpx_gt_u32_e32 7, v0
	s_cbranch_execz .LBB79_43
; %bb.40:
	v_add_nc_u32_e32 v37, -1, v0
	v_add_nc_u32_e32 v38, 0x80, v35
	v_mov_b32_e32 v39, v35
	v_mov_b32_e32 v34, 0
	;; [unrolled: 1-line block ×3, first 2 shown]
	s_mov_b32 s5, 0
	.p2align	6
.LBB79_41:                              ; =>This Inner Loop Header: Depth=1
	s_clause 0x1
	buffer_load_dword v43, v39, s[0:3], 0 offen offset:4
	buffer_load_dword v44, v39, s[0:3], 0 offen
	ds_read_b64 v[41:42], v38
	v_add_nc_u32_e32 v37, 1, v37
	v_add_nc_u32_e32 v38, 8, v38
	;; [unrolled: 1-line block ×3, first 2 shown]
	v_cmp_lt_u32_e32 vcc_lo, 5, v37
	s_or_b32 s5, vcc_lo, s5
	s_waitcnt vmcnt(1) lgkmcnt(0)
	v_mul_f32_e32 v45, v42, v43
	v_mul_f32_e32 v43, v41, v43
	s_waitcnt vmcnt(0)
	v_fma_f32 v41, v41, v44, -v45
	v_fmac_f32_e32 v43, v42, v44
	v_add_f32_e32 v40, v40, v41
	v_add_f32_e32 v34, v34, v43
	s_andn2_b32 exec_lo, exec_lo, s5
	s_cbranch_execnz .LBB79_41
; %bb.42:
	s_or_b32 exec_lo, exec_lo, s5
	v_mov_b32_e32 v37, 0
	ds_read_b64 v[37:38], v37 offset:56
	s_waitcnt lgkmcnt(0)
	v_mul_f32_e32 v39, v34, v38
	v_mul_f32_e32 v38, v40, v38
	v_fma_f32 v39, v40, v37, -v39
	v_fmac_f32_e32 v38, v34, v37
	buffer_store_dword v39, off, s[0:3], 0 offset:56
	buffer_store_dword v38, off, s[0:3], 0 offset:60
.LBB79_43:
	s_or_b32 exec_lo, exec_lo, s4
	s_waitcnt_vscnt null, 0x0
	s_barrier
	buffer_gl0_inv
	s_clause 0x1
	buffer_load_dword v37, off, s[0:3], 0 offset:64
	buffer_load_dword v38, off, s[0:3], 0 offset:68
	s_mov_b32 s4, exec_lo
	s_waitcnt vmcnt(0)
	ds_write_b64 v36, v[37:38]
	s_waitcnt lgkmcnt(0)
	s_barrier
	buffer_gl0_inv
	v_cmpx_gt_u32_e32 8, v0
	s_cbranch_execz .LBB79_47
; %bb.44:
	v_add_nc_u32_e32 v37, -1, v0
	v_add_nc_u32_e32 v38, 0x80, v35
	v_mov_b32_e32 v39, v35
	v_mov_b32_e32 v34, 0
	;; [unrolled: 1-line block ×3, first 2 shown]
	s_mov_b32 s5, 0
	.p2align	6
.LBB79_45:                              ; =>This Inner Loop Header: Depth=1
	s_clause 0x1
	buffer_load_dword v43, v39, s[0:3], 0 offen offset:4
	buffer_load_dword v44, v39, s[0:3], 0 offen
	ds_read_b64 v[41:42], v38
	v_add_nc_u32_e32 v37, 1, v37
	v_add_nc_u32_e32 v38, 8, v38
	;; [unrolled: 1-line block ×3, first 2 shown]
	v_cmp_lt_u32_e32 vcc_lo, 6, v37
	s_or_b32 s5, vcc_lo, s5
	s_waitcnt vmcnt(1) lgkmcnt(0)
	v_mul_f32_e32 v45, v42, v43
	v_mul_f32_e32 v43, v41, v43
	s_waitcnt vmcnt(0)
	v_fma_f32 v41, v41, v44, -v45
	v_fmac_f32_e32 v43, v42, v44
	v_add_f32_e32 v40, v40, v41
	v_add_f32_e32 v34, v34, v43
	s_andn2_b32 exec_lo, exec_lo, s5
	s_cbranch_execnz .LBB79_45
; %bb.46:
	s_or_b32 exec_lo, exec_lo, s5
	v_mov_b32_e32 v37, 0
	ds_read_b64 v[37:38], v37 offset:64
	s_waitcnt lgkmcnt(0)
	v_mul_f32_e32 v39, v34, v38
	v_mul_f32_e32 v38, v40, v38
	v_fma_f32 v39, v40, v37, -v39
	v_fmac_f32_e32 v38, v34, v37
	buffer_store_dword v39, off, s[0:3], 0 offset:64
	buffer_store_dword v38, off, s[0:3], 0 offset:68
.LBB79_47:
	s_or_b32 exec_lo, exec_lo, s4
	s_waitcnt_vscnt null, 0x0
	s_barrier
	buffer_gl0_inv
	s_clause 0x1
	buffer_load_dword v37, off, s[0:3], 0 offset:72
	buffer_load_dword v38, off, s[0:3], 0 offset:76
	s_mov_b32 s4, exec_lo
	s_waitcnt vmcnt(0)
	ds_write_b64 v36, v[37:38]
	s_waitcnt lgkmcnt(0)
	s_barrier
	buffer_gl0_inv
	v_cmpx_gt_u32_e32 9, v0
	s_cbranch_execz .LBB79_51
; %bb.48:
	v_add_nc_u32_e32 v37, -1, v0
	v_add_nc_u32_e32 v38, 0x80, v35
	v_mov_b32_e32 v39, v35
	v_mov_b32_e32 v34, 0
	;; [unrolled: 1-line block ×3, first 2 shown]
	s_mov_b32 s5, 0
	.p2align	6
.LBB79_49:                              ; =>This Inner Loop Header: Depth=1
	s_clause 0x1
	buffer_load_dword v43, v39, s[0:3], 0 offen offset:4
	buffer_load_dword v44, v39, s[0:3], 0 offen
	ds_read_b64 v[41:42], v38
	v_add_nc_u32_e32 v37, 1, v37
	v_add_nc_u32_e32 v38, 8, v38
	;; [unrolled: 1-line block ×3, first 2 shown]
	v_cmp_lt_u32_e32 vcc_lo, 7, v37
	s_or_b32 s5, vcc_lo, s5
	s_waitcnt vmcnt(1) lgkmcnt(0)
	v_mul_f32_e32 v45, v42, v43
	v_mul_f32_e32 v43, v41, v43
	s_waitcnt vmcnt(0)
	v_fma_f32 v41, v41, v44, -v45
	v_fmac_f32_e32 v43, v42, v44
	v_add_f32_e32 v40, v40, v41
	v_add_f32_e32 v34, v34, v43
	s_andn2_b32 exec_lo, exec_lo, s5
	s_cbranch_execnz .LBB79_49
; %bb.50:
	s_or_b32 exec_lo, exec_lo, s5
	v_mov_b32_e32 v37, 0
	ds_read_b64 v[37:38], v37 offset:72
	s_waitcnt lgkmcnt(0)
	v_mul_f32_e32 v39, v34, v38
	v_mul_f32_e32 v38, v40, v38
	v_fma_f32 v39, v40, v37, -v39
	v_fmac_f32_e32 v38, v34, v37
	buffer_store_dword v39, off, s[0:3], 0 offset:72
	buffer_store_dword v38, off, s[0:3], 0 offset:76
.LBB79_51:
	s_or_b32 exec_lo, exec_lo, s4
	s_waitcnt_vscnt null, 0x0
	s_barrier
	buffer_gl0_inv
	s_clause 0x1
	buffer_load_dword v37, off, s[0:3], 0 offset:80
	buffer_load_dword v38, off, s[0:3], 0 offset:84
	s_mov_b32 s4, exec_lo
	s_waitcnt vmcnt(0)
	ds_write_b64 v36, v[37:38]
	s_waitcnt lgkmcnt(0)
	s_barrier
	buffer_gl0_inv
	v_cmpx_gt_u32_e32 10, v0
	s_cbranch_execz .LBB79_55
; %bb.52:
	v_add_nc_u32_e32 v37, -1, v0
	v_add_nc_u32_e32 v38, 0x80, v35
	v_mov_b32_e32 v39, v35
	v_mov_b32_e32 v34, 0
	;; [unrolled: 1-line block ×3, first 2 shown]
	s_mov_b32 s5, 0
	.p2align	6
.LBB79_53:                              ; =>This Inner Loop Header: Depth=1
	s_clause 0x1
	buffer_load_dword v43, v39, s[0:3], 0 offen offset:4
	buffer_load_dword v44, v39, s[0:3], 0 offen
	ds_read_b64 v[41:42], v38
	v_add_nc_u32_e32 v37, 1, v37
	v_add_nc_u32_e32 v38, 8, v38
	;; [unrolled: 1-line block ×3, first 2 shown]
	v_cmp_lt_u32_e32 vcc_lo, 8, v37
	s_or_b32 s5, vcc_lo, s5
	s_waitcnt vmcnt(1) lgkmcnt(0)
	v_mul_f32_e32 v45, v42, v43
	v_mul_f32_e32 v43, v41, v43
	s_waitcnt vmcnt(0)
	v_fma_f32 v41, v41, v44, -v45
	v_fmac_f32_e32 v43, v42, v44
	v_add_f32_e32 v40, v40, v41
	v_add_f32_e32 v34, v34, v43
	s_andn2_b32 exec_lo, exec_lo, s5
	s_cbranch_execnz .LBB79_53
; %bb.54:
	s_or_b32 exec_lo, exec_lo, s5
	v_mov_b32_e32 v37, 0
	ds_read_b64 v[37:38], v37 offset:80
	s_waitcnt lgkmcnt(0)
	v_mul_f32_e32 v39, v34, v38
	v_mul_f32_e32 v38, v40, v38
	v_fma_f32 v39, v40, v37, -v39
	v_fmac_f32_e32 v38, v34, v37
	buffer_store_dword v39, off, s[0:3], 0 offset:80
	buffer_store_dword v38, off, s[0:3], 0 offset:84
.LBB79_55:
	s_or_b32 exec_lo, exec_lo, s4
	s_waitcnt_vscnt null, 0x0
	s_barrier
	buffer_gl0_inv
	s_clause 0x1
	buffer_load_dword v37, off, s[0:3], 0 offset:88
	buffer_load_dword v38, off, s[0:3], 0 offset:92
	s_mov_b32 s4, exec_lo
	s_waitcnt vmcnt(0)
	ds_write_b64 v36, v[37:38]
	s_waitcnt lgkmcnt(0)
	s_barrier
	buffer_gl0_inv
	v_cmpx_gt_u32_e32 11, v0
	s_cbranch_execz .LBB79_59
; %bb.56:
	v_add_nc_u32_e32 v37, -1, v0
	v_add_nc_u32_e32 v38, 0x80, v35
	v_mov_b32_e32 v39, v35
	v_mov_b32_e32 v34, 0
	;; [unrolled: 1-line block ×3, first 2 shown]
	s_mov_b32 s5, 0
	.p2align	6
.LBB79_57:                              ; =>This Inner Loop Header: Depth=1
	s_clause 0x1
	buffer_load_dword v43, v39, s[0:3], 0 offen offset:4
	buffer_load_dword v44, v39, s[0:3], 0 offen
	ds_read_b64 v[41:42], v38
	v_add_nc_u32_e32 v37, 1, v37
	v_add_nc_u32_e32 v38, 8, v38
	;; [unrolled: 1-line block ×3, first 2 shown]
	v_cmp_lt_u32_e32 vcc_lo, 9, v37
	s_or_b32 s5, vcc_lo, s5
	s_waitcnt vmcnt(1) lgkmcnt(0)
	v_mul_f32_e32 v45, v42, v43
	v_mul_f32_e32 v43, v41, v43
	s_waitcnt vmcnt(0)
	v_fma_f32 v41, v41, v44, -v45
	v_fmac_f32_e32 v43, v42, v44
	v_add_f32_e32 v40, v40, v41
	v_add_f32_e32 v34, v34, v43
	s_andn2_b32 exec_lo, exec_lo, s5
	s_cbranch_execnz .LBB79_57
; %bb.58:
	s_or_b32 exec_lo, exec_lo, s5
	v_mov_b32_e32 v37, 0
	ds_read_b64 v[37:38], v37 offset:88
	s_waitcnt lgkmcnt(0)
	v_mul_f32_e32 v39, v34, v38
	v_mul_f32_e32 v38, v40, v38
	v_fma_f32 v39, v40, v37, -v39
	v_fmac_f32_e32 v38, v34, v37
	buffer_store_dword v39, off, s[0:3], 0 offset:88
	buffer_store_dword v38, off, s[0:3], 0 offset:92
.LBB79_59:
	s_or_b32 exec_lo, exec_lo, s4
	s_waitcnt_vscnt null, 0x0
	s_barrier
	buffer_gl0_inv
	s_clause 0x1
	buffer_load_dword v37, off, s[0:3], 0 offset:96
	buffer_load_dword v38, off, s[0:3], 0 offset:100
	s_mov_b32 s4, exec_lo
	s_waitcnt vmcnt(0)
	ds_write_b64 v36, v[37:38]
	s_waitcnt lgkmcnt(0)
	s_barrier
	buffer_gl0_inv
	v_cmpx_gt_u32_e32 12, v0
	s_cbranch_execz .LBB79_63
; %bb.60:
	v_add_nc_u32_e32 v37, -1, v0
	v_add_nc_u32_e32 v38, 0x80, v35
	v_mov_b32_e32 v39, v35
	v_mov_b32_e32 v34, 0
	;; [unrolled: 1-line block ×3, first 2 shown]
	s_mov_b32 s5, 0
	.p2align	6
.LBB79_61:                              ; =>This Inner Loop Header: Depth=1
	s_clause 0x1
	buffer_load_dword v43, v39, s[0:3], 0 offen offset:4
	buffer_load_dword v44, v39, s[0:3], 0 offen
	ds_read_b64 v[41:42], v38
	v_add_nc_u32_e32 v37, 1, v37
	v_add_nc_u32_e32 v38, 8, v38
	;; [unrolled: 1-line block ×3, first 2 shown]
	v_cmp_lt_u32_e32 vcc_lo, 10, v37
	s_or_b32 s5, vcc_lo, s5
	s_waitcnt vmcnt(1) lgkmcnt(0)
	v_mul_f32_e32 v45, v42, v43
	v_mul_f32_e32 v43, v41, v43
	s_waitcnt vmcnt(0)
	v_fma_f32 v41, v41, v44, -v45
	v_fmac_f32_e32 v43, v42, v44
	v_add_f32_e32 v40, v40, v41
	v_add_f32_e32 v34, v34, v43
	s_andn2_b32 exec_lo, exec_lo, s5
	s_cbranch_execnz .LBB79_61
; %bb.62:
	s_or_b32 exec_lo, exec_lo, s5
	v_mov_b32_e32 v37, 0
	ds_read_b64 v[37:38], v37 offset:96
	s_waitcnt lgkmcnt(0)
	v_mul_f32_e32 v39, v34, v38
	v_mul_f32_e32 v38, v40, v38
	v_fma_f32 v39, v40, v37, -v39
	v_fmac_f32_e32 v38, v34, v37
	buffer_store_dword v39, off, s[0:3], 0 offset:96
	buffer_store_dword v38, off, s[0:3], 0 offset:100
.LBB79_63:
	s_or_b32 exec_lo, exec_lo, s4
	s_waitcnt_vscnt null, 0x0
	s_barrier
	buffer_gl0_inv
	s_clause 0x1
	buffer_load_dword v37, off, s[0:3], 0 offset:104
	buffer_load_dword v38, off, s[0:3], 0 offset:108
	s_mov_b32 s4, exec_lo
	s_waitcnt vmcnt(0)
	ds_write_b64 v36, v[37:38]
	s_waitcnt lgkmcnt(0)
	s_barrier
	buffer_gl0_inv
	v_cmpx_gt_u32_e32 13, v0
	s_cbranch_execz .LBB79_67
; %bb.64:
	v_add_nc_u32_e32 v37, -1, v0
	v_add_nc_u32_e32 v38, 0x80, v35
	v_mov_b32_e32 v39, v35
	v_mov_b32_e32 v34, 0
	;; [unrolled: 1-line block ×3, first 2 shown]
	s_mov_b32 s5, 0
	.p2align	6
.LBB79_65:                              ; =>This Inner Loop Header: Depth=1
	s_clause 0x1
	buffer_load_dword v43, v39, s[0:3], 0 offen offset:4
	buffer_load_dword v44, v39, s[0:3], 0 offen
	ds_read_b64 v[41:42], v38
	v_add_nc_u32_e32 v37, 1, v37
	v_add_nc_u32_e32 v38, 8, v38
	;; [unrolled: 1-line block ×3, first 2 shown]
	v_cmp_lt_u32_e32 vcc_lo, 11, v37
	s_or_b32 s5, vcc_lo, s5
	s_waitcnt vmcnt(1) lgkmcnt(0)
	v_mul_f32_e32 v45, v42, v43
	v_mul_f32_e32 v43, v41, v43
	s_waitcnt vmcnt(0)
	v_fma_f32 v41, v41, v44, -v45
	v_fmac_f32_e32 v43, v42, v44
	v_add_f32_e32 v40, v40, v41
	v_add_f32_e32 v34, v34, v43
	s_andn2_b32 exec_lo, exec_lo, s5
	s_cbranch_execnz .LBB79_65
; %bb.66:
	s_or_b32 exec_lo, exec_lo, s5
	v_mov_b32_e32 v37, 0
	ds_read_b64 v[37:38], v37 offset:104
	s_waitcnt lgkmcnt(0)
	v_mul_f32_e32 v39, v34, v38
	v_mul_f32_e32 v38, v40, v38
	v_fma_f32 v39, v40, v37, -v39
	v_fmac_f32_e32 v38, v34, v37
	buffer_store_dword v39, off, s[0:3], 0 offset:104
	buffer_store_dword v38, off, s[0:3], 0 offset:108
.LBB79_67:
	s_or_b32 exec_lo, exec_lo, s4
	s_waitcnt_vscnt null, 0x0
	s_barrier
	buffer_gl0_inv
	s_clause 0x1
	buffer_load_dword v37, off, s[0:3], 0 offset:112
	buffer_load_dword v38, off, s[0:3], 0 offset:116
	s_mov_b32 s4, exec_lo
	s_waitcnt vmcnt(0)
	ds_write_b64 v36, v[37:38]
	s_waitcnt lgkmcnt(0)
	s_barrier
	buffer_gl0_inv
	v_cmpx_gt_u32_e32 14, v0
	s_cbranch_execz .LBB79_71
; %bb.68:
	v_add_nc_u32_e32 v37, -1, v0
	v_add_nc_u32_e32 v38, 0x80, v35
	v_mov_b32_e32 v39, v35
	v_mov_b32_e32 v34, 0
	;; [unrolled: 1-line block ×3, first 2 shown]
	s_mov_b32 s5, 0
	.p2align	6
.LBB79_69:                              ; =>This Inner Loop Header: Depth=1
	s_clause 0x1
	buffer_load_dword v43, v39, s[0:3], 0 offen offset:4
	buffer_load_dword v44, v39, s[0:3], 0 offen
	ds_read_b64 v[41:42], v38
	v_add_nc_u32_e32 v37, 1, v37
	v_add_nc_u32_e32 v38, 8, v38
	;; [unrolled: 1-line block ×3, first 2 shown]
	v_cmp_lt_u32_e32 vcc_lo, 12, v37
	s_or_b32 s5, vcc_lo, s5
	s_waitcnt vmcnt(1) lgkmcnt(0)
	v_mul_f32_e32 v45, v42, v43
	v_mul_f32_e32 v43, v41, v43
	s_waitcnt vmcnt(0)
	v_fma_f32 v41, v41, v44, -v45
	v_fmac_f32_e32 v43, v42, v44
	v_add_f32_e32 v40, v40, v41
	v_add_f32_e32 v34, v34, v43
	s_andn2_b32 exec_lo, exec_lo, s5
	s_cbranch_execnz .LBB79_69
; %bb.70:
	s_or_b32 exec_lo, exec_lo, s5
	v_mov_b32_e32 v37, 0
	ds_read_b64 v[37:38], v37 offset:112
	s_waitcnt lgkmcnt(0)
	v_mul_f32_e32 v39, v34, v38
	v_mul_f32_e32 v38, v40, v38
	v_fma_f32 v39, v40, v37, -v39
	v_fmac_f32_e32 v38, v34, v37
	buffer_store_dword v39, off, s[0:3], 0 offset:112
	buffer_store_dword v38, off, s[0:3], 0 offset:116
.LBB79_71:
	s_or_b32 exec_lo, exec_lo, s4
	s_waitcnt_vscnt null, 0x0
	s_barrier
	buffer_gl0_inv
	s_clause 0x1
	buffer_load_dword v37, off, s[0:3], 0 offset:120
	buffer_load_dword v38, off, s[0:3], 0 offset:124
	s_mov_b32 s4, exec_lo
	s_waitcnt vmcnt(0)
	ds_write_b64 v36, v[37:38]
	s_waitcnt lgkmcnt(0)
	s_barrier
	buffer_gl0_inv
	v_cmpx_ne_u32_e32 15, v0
	s_cbranch_execz .LBB79_75
; %bb.72:
	v_mov_b32_e32 v34, 0
	v_mov_b32_e32 v37, 0
	s_mov_b32 s5, 0
	.p2align	6
.LBB79_73:                              ; =>This Inner Loop Header: Depth=1
	s_clause 0x1
	buffer_load_dword v40, v35, s[0:3], 0 offen offset:4
	buffer_load_dword v41, v35, s[0:3], 0 offen
	ds_read_b64 v[38:39], v36
	v_add_nc_u32_e32 v33, 1, v33
	v_add_nc_u32_e32 v36, 8, v36
	;; [unrolled: 1-line block ×3, first 2 shown]
	v_cmp_lt_u32_e32 vcc_lo, 13, v33
	s_or_b32 s5, vcc_lo, s5
	s_waitcnt vmcnt(1) lgkmcnt(0)
	v_mul_f32_e32 v42, v39, v40
	v_mul_f32_e32 v40, v38, v40
	s_waitcnt vmcnt(0)
	v_fma_f32 v38, v38, v41, -v42
	v_fmac_f32_e32 v40, v39, v41
	v_add_f32_e32 v37, v37, v38
	v_add_f32_e32 v34, v34, v40
	s_andn2_b32 exec_lo, exec_lo, s5
	s_cbranch_execnz .LBB79_73
; %bb.74:
	s_or_b32 exec_lo, exec_lo, s5
	v_mov_b32_e32 v33, 0
	ds_read_b64 v[35:36], v33 offset:120
	s_waitcnt lgkmcnt(0)
	v_mul_f32_e32 v33, v34, v36
	v_mul_f32_e32 v36, v37, v36
	v_fma_f32 v33, v37, v35, -v33
	v_fmac_f32_e32 v36, v34, v35
	buffer_store_dword v33, off, s[0:3], 0 offset:120
	buffer_store_dword v36, off, s[0:3], 0 offset:124
.LBB79_75:
	s_or_b32 exec_lo, exec_lo, s4
	s_mov_b32 s5, -1
	s_waitcnt_vscnt null, 0x0
	s_barrier
	buffer_gl0_inv
.LBB79_76:
	s_and_b32 vcc_lo, exec_lo, s5
	s_cbranch_vccz .LBB79_78
; %bb.77:
	s_lshl_b64 s[4:5], s[6:7], 2
	v_mov_b32_e32 v33, 0
	s_add_u32 s4, s10, s4
	s_addc_u32 s5, s11, s5
	global_load_dword v33, v33, s[4:5]
	s_waitcnt vmcnt(0)
	v_cmp_ne_u32_e32 vcc_lo, 0, v33
	s_cbranch_vccz .LBB79_79
.LBB79_78:
	s_endpgm
.LBB79_79:
	v_lshl_add_u32 v33, v0, 3, 0x80
	s_mov_b32 s4, exec_lo
	v_cmpx_eq_u32_e32 15, v0
	s_cbranch_execz .LBB79_81
; %bb.80:
	s_clause 0x1
	buffer_load_dword v34, off, s[0:3], 0 offset:112
	buffer_load_dword v35, off, s[0:3], 0 offset:116
	v_mov_b32_e32 v36, 0
	buffer_store_dword v36, off, s[0:3], 0 offset:112
	buffer_store_dword v36, off, s[0:3], 0 offset:116
	s_waitcnt vmcnt(0)
	ds_write_b64 v33, v[34:35]
.LBB79_81:
	s_or_b32 exec_lo, exec_lo, s4
	s_waitcnt lgkmcnt(0)
	s_waitcnt_vscnt null, 0x0
	s_barrier
	buffer_gl0_inv
	s_clause 0x3
	buffer_load_dword v37, off, s[0:3], 0 offset:124
	buffer_load_dword v38, off, s[0:3], 0 offset:120
	;; [unrolled: 1-line block ×4, first 2 shown]
	v_mov_b32_e32 v34, 0
	s_mov_b32 s4, exec_lo
	ds_read_b64 v[35:36], v34 offset:248
	s_waitcnt vmcnt(3) lgkmcnt(0)
	v_mul_f32_e32 v41, v36, v37
	v_mul_f32_e32 v37, v35, v37
	s_waitcnt vmcnt(2)
	v_fma_f32 v35, v35, v38, -v41
	v_fmac_f32_e32 v37, v36, v38
	v_add_f32_e32 v35, 0, v35
	v_add_f32_e32 v36, 0, v37
	s_waitcnt vmcnt(1)
	v_sub_f32_e32 v35, v39, v35
	s_waitcnt vmcnt(0)
	v_sub_f32_e32 v36, v40, v36
	buffer_store_dword v35, off, s[0:3], 0 offset:112
	buffer_store_dword v36, off, s[0:3], 0 offset:116
	v_cmpx_lt_u32_e32 13, v0
	s_cbranch_execz .LBB79_83
; %bb.82:
	s_clause 0x1
	buffer_load_dword v35, off, s[0:3], 0 offset:104
	buffer_load_dword v36, off, s[0:3], 0 offset:108
	buffer_store_dword v34, off, s[0:3], 0 offset:104
	buffer_store_dword v34, off, s[0:3], 0 offset:108
	s_waitcnt vmcnt(0)
	ds_write_b64 v33, v[35:36]
.LBB79_83:
	s_or_b32 exec_lo, exec_lo, s4
	s_waitcnt lgkmcnt(0)
	s_waitcnt_vscnt null, 0x0
	s_barrier
	buffer_gl0_inv
	s_clause 0x5
	buffer_load_dword v38, off, s[0:3], 0 offset:116
	buffer_load_dword v39, off, s[0:3], 0 offset:124
	buffer_load_dword v40, off, s[0:3], 0 offset:112
	buffer_load_dword v41, off, s[0:3], 0 offset:120
	buffer_load_dword v42, off, s[0:3], 0 offset:104
	buffer_load_dword v43, off, s[0:3], 0 offset:108
	ds_read_b128 v[34:37], v34 offset:240
	s_mov_b32 s4, exec_lo
	s_waitcnt vmcnt(5) lgkmcnt(0)
	v_mul_f32_e32 v44, v35, v38
	v_mul_f32_e32 v38, v34, v38
	s_waitcnt vmcnt(4)
	v_mul_f32_e32 v45, v36, v39
	v_mul_f32_e32 v39, v37, v39
	s_waitcnt vmcnt(3)
	v_fma_f32 v34, v34, v40, -v44
	v_fmac_f32_e32 v38, v35, v40
	s_waitcnt vmcnt(2)
	v_fmac_f32_e32 v45, v37, v41
	v_fma_f32 v35, v36, v41, -v39
	v_add_f32_e32 v34, 0, v34
	v_add_f32_e32 v36, 0, v38
	;; [unrolled: 1-line block ×4, first 2 shown]
	s_waitcnt vmcnt(1)
	v_sub_f32_e32 v34, v42, v34
	s_waitcnt vmcnt(0)
	v_sub_f32_e32 v35, v43, v35
	buffer_store_dword v34, off, s[0:3], 0 offset:104
	buffer_store_dword v35, off, s[0:3], 0 offset:108
	v_cmpx_lt_u32_e32 12, v0
	s_cbranch_execz .LBB79_85
; %bb.84:
	s_clause 0x1
	buffer_load_dword v34, off, s[0:3], 0 offset:96
	buffer_load_dword v35, off, s[0:3], 0 offset:100
	v_mov_b32_e32 v36, 0
	buffer_store_dword v36, off, s[0:3], 0 offset:96
	buffer_store_dword v36, off, s[0:3], 0 offset:100
	s_waitcnt vmcnt(0)
	ds_write_b64 v33, v[34:35]
.LBB79_85:
	s_or_b32 exec_lo, exec_lo, s4
	s_waitcnt lgkmcnt(0)
	s_waitcnt_vscnt null, 0x0
	s_barrier
	buffer_gl0_inv
	s_clause 0x7
	buffer_load_dword v41, off, s[0:3], 0 offset:108
	buffer_load_dword v42, off, s[0:3], 0 offset:116
	;; [unrolled: 1-line block ×8, first 2 shown]
	v_mov_b32_e32 v34, 0
	ds_read2_b64 v[35:38], v34 offset0:29 offset1:30
	ds_read_b64 v[39:40], v34 offset:248
	s_mov_b32 s4, exec_lo
	s_waitcnt vmcnt(7) lgkmcnt(1)
	v_mul_f32_e32 v49, v36, v41
	v_mul_f32_e32 v41, v35, v41
	s_waitcnt vmcnt(6)
	v_mul_f32_e32 v50, v37, v42
	v_mul_f32_e32 v42, v38, v42
	s_waitcnt vmcnt(5) lgkmcnt(0)
	v_mul_f32_e32 v51, v39, v43
	s_waitcnt vmcnt(4)
	v_fma_f32 v35, v35, v44, -v49
	v_fmac_f32_e32 v41, v36, v44
	v_mul_f32_e32 v36, v40, v43
	s_waitcnt vmcnt(3)
	v_fma_f32 v37, v37, v45, -v42
	v_fmac_f32_e32 v50, v38, v45
	v_add_f32_e32 v35, 0, v35
	v_add_f32_e32 v38, 0, v41
	s_waitcnt vmcnt(2)
	v_fma_f32 v36, v39, v46, -v36
	v_fmac_f32_e32 v51, v40, v46
	v_add_f32_e32 v35, v35, v37
	v_add_f32_e32 v37, v38, v50
	;; [unrolled: 1-line block ×4, first 2 shown]
	s_waitcnt vmcnt(1)
	v_sub_f32_e32 v35, v47, v35
	s_waitcnt vmcnt(0)
	v_sub_f32_e32 v36, v48, v36
	buffer_store_dword v35, off, s[0:3], 0 offset:96
	buffer_store_dword v36, off, s[0:3], 0 offset:100
	v_cmpx_lt_u32_e32 11, v0
	s_cbranch_execz .LBB79_87
; %bb.86:
	s_clause 0x1
	buffer_load_dword v35, off, s[0:3], 0 offset:88
	buffer_load_dword v36, off, s[0:3], 0 offset:92
	buffer_store_dword v34, off, s[0:3], 0 offset:88
	buffer_store_dword v34, off, s[0:3], 0 offset:92
	s_waitcnt vmcnt(0)
	ds_write_b64 v33, v[35:36]
.LBB79_87:
	s_or_b32 exec_lo, exec_lo, s4
	s_waitcnt lgkmcnt(0)
	s_waitcnt_vscnt null, 0x0
	s_barrier
	buffer_gl0_inv
	s_clause 0x9
	buffer_load_dword v43, off, s[0:3], 0 offset:100
	buffer_load_dword v44, off, s[0:3], 0 offset:108
	;; [unrolled: 1-line block ×10, first 2 shown]
	ds_read_b128 v[35:38], v34 offset:224
	ds_read_b128 v[39:42], v34 offset:240
	s_mov_b32 s4, exec_lo
	s_waitcnt vmcnt(9) lgkmcnt(1)
	v_mul_f32_e32 v34, v35, v43
	v_mul_f32_e32 v43, v36, v43
	s_waitcnt vmcnt(8)
	v_mul_f32_e32 v53, v37, v44
	v_mul_f32_e32 v44, v38, v44
	s_waitcnt vmcnt(7) lgkmcnt(0)
	v_mul_f32_e32 v54, v39, v45
	s_waitcnt vmcnt(5)
	v_fmac_f32_e32 v34, v36, v47
	v_fma_f32 v35, v35, v47, -v43
	v_mul_f32_e32 v36, v40, v45
	s_waitcnt vmcnt(4)
	v_fma_f32 v37, v37, v48, -v44
	v_fmac_f32_e32 v53, v38, v48
	v_add_f32_e32 v34, 0, v34
	v_add_f32_e32 v35, 0, v35
	v_mul_f32_e32 v38, v42, v46
	s_waitcnt vmcnt(3)
	v_fma_f32 v36, v39, v49, -v36
	v_mul_f32_e32 v55, v41, v46
	v_fmac_f32_e32 v54, v40, v49
	v_add_f32_e32 v35, v35, v37
	v_add_f32_e32 v34, v34, v53
	s_waitcnt vmcnt(2)
	v_fma_f32 v37, v41, v50, -v38
	v_fmac_f32_e32 v55, v42, v50
	v_add_f32_e32 v35, v35, v36
	v_add_f32_e32 v34, v34, v54
	;; [unrolled: 1-line block ×4, first 2 shown]
	s_waitcnt vmcnt(1)
	v_sub_f32_e32 v35, v51, v35
	s_waitcnt vmcnt(0)
	v_sub_f32_e32 v34, v52, v34
	buffer_store_dword v35, off, s[0:3], 0 offset:88
	buffer_store_dword v34, off, s[0:3], 0 offset:92
	v_cmpx_lt_u32_e32 10, v0
	s_cbranch_execz .LBB79_89
; %bb.88:
	s_clause 0x1
	buffer_load_dword v34, off, s[0:3], 0 offset:80
	buffer_load_dword v35, off, s[0:3], 0 offset:84
	v_mov_b32_e32 v36, 0
	buffer_store_dword v36, off, s[0:3], 0 offset:80
	buffer_store_dword v36, off, s[0:3], 0 offset:84
	s_waitcnt vmcnt(0)
	ds_write_b64 v33, v[34:35]
.LBB79_89:
	s_or_b32 exec_lo, exec_lo, s4
	s_waitcnt lgkmcnt(0)
	s_waitcnt_vscnt null, 0x0
	s_barrier
	buffer_gl0_inv
	s_clause 0xb
	buffer_load_dword v45, off, s[0:3], 0 offset:92
	buffer_load_dword v46, off, s[0:3], 0 offset:100
	;; [unrolled: 1-line block ×12, first 2 shown]
	v_mov_b32_e32 v34, 0
	ds_read2_b64 v[35:38], v34 offset0:27 offset1:28
	ds_read2_b64 v[39:42], v34 offset0:29 offset1:30
	ds_read_b64 v[43:44], v34 offset:248
	s_mov_b32 s4, exec_lo
	s_waitcnt vmcnt(11) lgkmcnt(2)
	v_mul_f32_e32 v57, v35, v45
	v_mul_f32_e32 v45, v36, v45
	s_waitcnt vmcnt(10)
	v_mul_f32_e32 v58, v37, v46
	v_mul_f32_e32 v46, v38, v46
	s_waitcnt vmcnt(9) lgkmcnt(1)
	v_mul_f32_e32 v59, v39, v47
	s_waitcnt vmcnt(6)
	v_fmac_f32_e32 v57, v36, v50
	v_fma_f32 v35, v35, v50, -v45
	v_mul_f32_e32 v36, v40, v47
	s_waitcnt vmcnt(5)
	v_fma_f32 v37, v37, v51, -v46
	v_fmac_f32_e32 v58, v38, v51
	v_add_f32_e32 v38, 0, v57
	v_add_f32_e32 v35, 0, v35
	v_mul_f32_e32 v45, v42, v48
	s_waitcnt vmcnt(4)
	v_fma_f32 v36, v39, v52, -v36
	v_mul_f32_e32 v60, v41, v48
	v_fmac_f32_e32 v59, v40, v52
	v_add_f32_e32 v35, v35, v37
	v_add_f32_e32 v37, v38, v58
	s_waitcnt lgkmcnt(0)
	v_mul_f32_e32 v38, v44, v49
	s_waitcnt vmcnt(3)
	v_fma_f32 v39, v41, v53, -v45
	v_mul_f32_e32 v61, v43, v49
	v_add_f32_e32 v35, v35, v36
	v_fmac_f32_e32 v60, v42, v53
	v_add_f32_e32 v36, v37, v59
	s_waitcnt vmcnt(2)
	v_fma_f32 v37, v43, v54, -v38
	v_fmac_f32_e32 v61, v44, v54
	v_add_f32_e32 v35, v35, v39
	v_add_f32_e32 v36, v36, v60
	;; [unrolled: 1-line block ×4, first 2 shown]
	s_waitcnt vmcnt(1)
	v_sub_f32_e32 v35, v55, v35
	s_waitcnt vmcnt(0)
	v_sub_f32_e32 v36, v56, v36
	buffer_store_dword v35, off, s[0:3], 0 offset:80
	buffer_store_dword v36, off, s[0:3], 0 offset:84
	v_cmpx_lt_u32_e32 9, v0
	s_cbranch_execz .LBB79_91
; %bb.90:
	s_clause 0x1
	buffer_load_dword v35, off, s[0:3], 0 offset:72
	buffer_load_dword v36, off, s[0:3], 0 offset:76
	buffer_store_dword v34, off, s[0:3], 0 offset:72
	buffer_store_dword v34, off, s[0:3], 0 offset:76
	s_waitcnt vmcnt(0)
	ds_write_b64 v33, v[35:36]
.LBB79_91:
	s_or_b32 exec_lo, exec_lo, s4
	s_waitcnt lgkmcnt(0)
	s_waitcnt_vscnt null, 0x0
	s_barrier
	buffer_gl0_inv
	s_clause 0xd
	buffer_load_dword v47, off, s[0:3], 0 offset:84
	buffer_load_dword v48, off, s[0:3], 0 offset:92
	;; [unrolled: 1-line block ×14, first 2 shown]
	ds_read_b128 v[35:38], v34 offset:208
	ds_read_b128 v[39:42], v34 offset:224
	;; [unrolled: 1-line block ×3, first 2 shown]
	s_mov_b32 s4, exec_lo
	s_waitcnt vmcnt(13) lgkmcnt(2)
	v_mul_f32_e32 v34, v35, v47
	v_mul_f32_e32 v47, v36, v47
	s_waitcnt vmcnt(12)
	v_mul_f32_e32 v61, v37, v48
	v_mul_f32_e32 v48, v38, v48
	s_waitcnt vmcnt(11) lgkmcnt(1)
	v_mul_f32_e32 v62, v39, v49
	s_waitcnt vmcnt(10)
	v_mul_f32_e32 v63, v41, v50
	s_waitcnt vmcnt(7)
	v_fma_f32 v35, v35, v53, -v47
	v_fmac_f32_e32 v34, v36, v53
	v_mul_f32_e32 v36, v40, v49
	s_waitcnt vmcnt(6)
	v_fma_f32 v37, v37, v54, -v48
	v_fmac_f32_e32 v61, v38, v54
	v_add_f32_e32 v35, 0, v35
	v_add_f32_e32 v34, 0, v34
	v_mul_f32_e32 v38, v42, v50
	s_waitcnt vmcnt(5)
	v_fma_f32 v36, v39, v55, -v36
	v_fmac_f32_e32 v62, v40, v55
	v_add_f32_e32 v35, v35, v37
	v_add_f32_e32 v34, v34, v61
	s_waitcnt lgkmcnt(0)
	v_mul_f32_e32 v37, v44, v51
	s_waitcnt vmcnt(4)
	v_fma_f32 v38, v41, v56, -v38
	v_mul_f32_e32 v64, v43, v51
	v_add_f32_e32 v35, v35, v36
	v_fmac_f32_e32 v63, v42, v56
	v_add_f32_e32 v34, v34, v62
	v_mul_f32_e32 v36, v46, v52
	s_waitcnt vmcnt(3)
	v_fma_f32 v37, v43, v57, -v37
	v_add_f32_e32 v35, v35, v38
	v_mul_f32_e32 v65, v45, v52
	v_fmac_f32_e32 v64, v44, v57
	v_add_f32_e32 v34, v34, v63
	s_waitcnt vmcnt(2)
	v_fma_f32 v36, v45, v58, -v36
	v_add_f32_e32 v35, v35, v37
	v_fmac_f32_e32 v65, v46, v58
	v_add_f32_e32 v34, v34, v64
	v_add_f32_e32 v35, v35, v36
	;; [unrolled: 1-line block ×3, first 2 shown]
	s_waitcnt vmcnt(1)
	v_sub_f32_e32 v35, v59, v35
	s_waitcnt vmcnt(0)
	v_sub_f32_e32 v34, v60, v34
	buffer_store_dword v35, off, s[0:3], 0 offset:72
	buffer_store_dword v34, off, s[0:3], 0 offset:76
	v_cmpx_lt_u32_e32 8, v0
	s_cbranch_execz .LBB79_93
; %bb.92:
	s_clause 0x1
	buffer_load_dword v34, off, s[0:3], 0 offset:64
	buffer_load_dword v35, off, s[0:3], 0 offset:68
	v_mov_b32_e32 v36, 0
	buffer_store_dword v36, off, s[0:3], 0 offset:64
	buffer_store_dword v36, off, s[0:3], 0 offset:68
	s_waitcnt vmcnt(0)
	ds_write_b64 v33, v[34:35]
.LBB79_93:
	s_or_b32 exec_lo, exec_lo, s4
	s_waitcnt lgkmcnt(0)
	s_waitcnt_vscnt null, 0x0
	s_barrier
	buffer_gl0_inv
	s_clause 0xf
	buffer_load_dword v49, off, s[0:3], 0 offset:76
	buffer_load_dword v50, off, s[0:3], 0 offset:84
	;; [unrolled: 1-line block ×16, first 2 shown]
	v_mov_b32_e32 v34, 0
	ds_read2_b64 v[35:38], v34 offset0:25 offset1:26
	ds_read2_b64 v[39:42], v34 offset0:27 offset1:28
	;; [unrolled: 1-line block ×3, first 2 shown]
	ds_read_b64 v[47:48], v34 offset:248
	s_mov_b32 s4, exec_lo
	s_waitcnt vmcnt(15) lgkmcnt(3)
	v_mul_f32_e32 v65, v35, v49
	v_mul_f32_e32 v49, v36, v49
	s_waitcnt vmcnt(14)
	v_mul_f32_e32 v66, v37, v50
	v_mul_f32_e32 v50, v38, v50
	s_waitcnt vmcnt(13) lgkmcnt(2)
	v_mul_f32_e32 v67, v39, v51
	s_waitcnt vmcnt(12)
	v_mul_f32_e32 v68, v41, v52
	s_waitcnt vmcnt(11) lgkmcnt(1)
	v_mul_f32_e32 v69, v43, v53
	s_waitcnt vmcnt(8)
	v_fma_f32 v35, v35, v56, -v49
	v_fmac_f32_e32 v65, v36, v56
	v_mul_f32_e32 v36, v40, v51
	s_waitcnt vmcnt(7)
	v_fma_f32 v37, v37, v57, -v50
	v_fmac_f32_e32 v66, v38, v57
	v_add_f32_e32 v35, 0, v35
	v_add_f32_e32 v38, 0, v65
	v_mul_f32_e32 v49, v42, v52
	s_waitcnt vmcnt(6)
	v_fma_f32 v36, v39, v58, -v36
	v_fmac_f32_e32 v67, v40, v58
	v_add_f32_e32 v35, v35, v37
	v_add_f32_e32 v37, v38, v66
	;; [unrolled: 6-line block ×3, first 2 shown]
	v_mul_f32_e32 v37, v46, v54
	s_waitcnt vmcnt(4)
	v_fma_f32 v38, v43, v60, -v38
	v_mul_f32_e32 v70, v45, v54
	v_add_f32_e32 v35, v35, v39
	v_fmac_f32_e32 v69, v44, v60
	v_add_f32_e32 v36, v36, v68
	s_waitcnt lgkmcnt(0)
	v_mul_f32_e32 v39, v48, v55
	s_waitcnt vmcnt(3)
	v_fma_f32 v37, v45, v61, -v37
	v_add_f32_e32 v35, v35, v38
	v_mul_f32_e32 v71, v47, v55
	v_fmac_f32_e32 v70, v46, v61
	v_add_f32_e32 v36, v36, v69
	s_waitcnt vmcnt(2)
	v_fma_f32 v38, v47, v62, -v39
	v_add_f32_e32 v35, v35, v37
	v_fmac_f32_e32 v71, v48, v62
	v_add_f32_e32 v36, v36, v70
	v_add_f32_e32 v35, v35, v38
	;; [unrolled: 1-line block ×3, first 2 shown]
	s_waitcnt vmcnt(1)
	v_sub_f32_e32 v35, v63, v35
	s_waitcnt vmcnt(0)
	v_sub_f32_e32 v36, v64, v36
	buffer_store_dword v35, off, s[0:3], 0 offset:64
	buffer_store_dword v36, off, s[0:3], 0 offset:68
	v_cmpx_lt_u32_e32 7, v0
	s_cbranch_execz .LBB79_95
; %bb.94:
	s_clause 0x1
	buffer_load_dword v35, off, s[0:3], 0 offset:56
	buffer_load_dword v36, off, s[0:3], 0 offset:60
	buffer_store_dword v34, off, s[0:3], 0 offset:56
	buffer_store_dword v34, off, s[0:3], 0 offset:60
	s_waitcnt vmcnt(0)
	ds_write_b64 v33, v[35:36]
.LBB79_95:
	s_or_b32 exec_lo, exec_lo, s4
	s_waitcnt lgkmcnt(0)
	s_waitcnt_vscnt null, 0x0
	s_barrier
	buffer_gl0_inv
	s_clause 0x11
	buffer_load_dword v51, off, s[0:3], 0 offset:68
	buffer_load_dword v52, off, s[0:3], 0 offset:76
	;; [unrolled: 1-line block ×18, first 2 shown]
	ds_read_b128 v[35:38], v34 offset:192
	ds_read_b128 v[39:42], v34 offset:208
	;; [unrolled: 1-line block ×4, first 2 shown]
	s_mov_b32 s4, exec_lo
	s_waitcnt vmcnt(17) lgkmcnt(3)
	v_mul_f32_e32 v34, v35, v51
	v_mul_f32_e32 v51, v36, v51
	s_waitcnt vmcnt(16)
	v_mul_f32_e32 v69, v37, v52
	v_mul_f32_e32 v52, v38, v52
	s_waitcnt vmcnt(15) lgkmcnt(2)
	v_mul_f32_e32 v70, v39, v53
	s_waitcnt vmcnt(14)
	v_mul_f32_e32 v71, v41, v54
	s_waitcnt vmcnt(13) lgkmcnt(1)
	v_mul_f32_e32 v72, v43, v55
	s_waitcnt vmcnt(12)
	v_mul_f32_e32 v73, v45, v56
	s_waitcnt vmcnt(9)
	v_fma_f32 v35, v35, v59, -v51
	v_fmac_f32_e32 v34, v36, v59
	v_mul_f32_e32 v36, v40, v53
	s_waitcnt vmcnt(8)
	v_fma_f32 v37, v37, v60, -v52
	v_fmac_f32_e32 v69, v38, v60
	v_add_f32_e32 v35, 0, v35
	v_add_f32_e32 v34, 0, v34
	v_mul_f32_e32 v38, v42, v54
	s_waitcnt vmcnt(7)
	v_fma_f32 v36, v39, v61, -v36
	v_fmac_f32_e32 v70, v40, v61
	v_add_f32_e32 v35, v35, v37
	v_add_f32_e32 v34, v34, v69
	;; [unrolled: 6-line block ×4, first 2 shown]
	s_waitcnt lgkmcnt(0)
	v_mul_f32_e32 v38, v48, v57
	s_waitcnt vmcnt(4)
	v_fma_f32 v36, v45, v64, -v36
	v_mul_f32_e32 v74, v47, v57
	v_add_f32_e32 v35, v35, v37
	v_fmac_f32_e32 v73, v46, v64
	v_add_f32_e32 v34, v34, v72
	v_mul_f32_e32 v37, v50, v58
	s_waitcnt vmcnt(3)
	v_fma_f32 v38, v47, v65, -v38
	v_add_f32_e32 v35, v35, v36
	v_mul_f32_e32 v75, v49, v58
	v_fmac_f32_e32 v74, v48, v65
	v_add_f32_e32 v34, v34, v73
	s_waitcnt vmcnt(2)
	v_fma_f32 v36, v49, v66, -v37
	v_add_f32_e32 v35, v35, v38
	v_fmac_f32_e32 v75, v50, v66
	v_add_f32_e32 v34, v34, v74
	v_add_f32_e32 v35, v35, v36
	;; [unrolled: 1-line block ×3, first 2 shown]
	s_waitcnt vmcnt(1)
	v_sub_f32_e32 v35, v67, v35
	s_waitcnt vmcnt(0)
	v_sub_f32_e32 v34, v68, v34
	buffer_store_dword v35, off, s[0:3], 0 offset:56
	buffer_store_dword v34, off, s[0:3], 0 offset:60
	v_cmpx_lt_u32_e32 6, v0
	s_cbranch_execz .LBB79_97
; %bb.96:
	s_clause 0x1
	buffer_load_dword v34, off, s[0:3], 0 offset:48
	buffer_load_dword v35, off, s[0:3], 0 offset:52
	v_mov_b32_e32 v36, 0
	buffer_store_dword v36, off, s[0:3], 0 offset:48
	buffer_store_dword v36, off, s[0:3], 0 offset:52
	s_waitcnt vmcnt(0)
	ds_write_b64 v33, v[34:35]
.LBB79_97:
	s_or_b32 exec_lo, exec_lo, s4
	s_waitcnt lgkmcnt(0)
	s_waitcnt_vscnt null, 0x0
	s_barrier
	buffer_gl0_inv
	s_clause 0x13
	buffer_load_dword v53, off, s[0:3], 0 offset:60
	buffer_load_dword v54, off, s[0:3], 0 offset:68
	;; [unrolled: 1-line block ×20, first 2 shown]
	v_mov_b32_e32 v34, 0
	ds_read2_b64 v[35:38], v34 offset0:23 offset1:24
	ds_read2_b64 v[39:42], v34 offset0:25 offset1:26
	;; [unrolled: 1-line block ×4, first 2 shown]
	ds_read_b64 v[51:52], v34 offset:248
	s_mov_b32 s4, exec_lo
	s_waitcnt vmcnt(19) lgkmcnt(4)
	v_mul_f32_e32 v73, v35, v53
	v_mul_f32_e32 v53, v36, v53
	s_waitcnt vmcnt(18)
	v_mul_f32_e32 v74, v37, v54
	v_mul_f32_e32 v54, v38, v54
	s_waitcnt vmcnt(17) lgkmcnt(3)
	v_mul_f32_e32 v75, v39, v55
	s_waitcnt vmcnt(16)
	v_mul_f32_e32 v76, v41, v56
	s_waitcnt vmcnt(15) lgkmcnt(2)
	v_mul_f32_e32 v77, v43, v57
	s_waitcnt vmcnt(14)
	;; [unrolled: 4-line block ×3, first 2 shown]
	v_fma_f32 v35, v35, v62, -v53
	v_fmac_f32_e32 v73, v36, v62
	v_mul_f32_e32 v36, v40, v55
	s_waitcnt vmcnt(9)
	v_fma_f32 v37, v37, v63, -v54
	v_fmac_f32_e32 v74, v38, v63
	v_add_f32_e32 v35, 0, v35
	v_add_f32_e32 v38, 0, v73
	v_mul_f32_e32 v53, v42, v56
	s_waitcnt vmcnt(8)
	v_fma_f32 v36, v39, v64, -v36
	v_fmac_f32_e32 v75, v40, v64
	v_add_f32_e32 v35, v35, v37
	v_add_f32_e32 v37, v38, v74
	;; [unrolled: 6-line block ×5, first 2 shown]
	v_mul_f32_e32 v38, v50, v60
	s_waitcnt vmcnt(4)
	v_fma_f32 v39, v47, v68, -v39
	v_mul_f32_e32 v80, v49, v60
	v_add_f32_e32 v35, v35, v37
	v_fmac_f32_e32 v79, v48, v68
	v_add_f32_e32 v36, v36, v78
	s_waitcnt lgkmcnt(0)
	v_mul_f32_e32 v37, v52, v61
	s_waitcnt vmcnt(3)
	v_fma_f32 v38, v49, v69, -v38
	v_add_f32_e32 v35, v35, v39
	v_mul_f32_e32 v81, v51, v61
	v_fmac_f32_e32 v80, v50, v69
	v_add_f32_e32 v36, v36, v79
	s_waitcnt vmcnt(2)
	v_fma_f32 v37, v51, v70, -v37
	v_add_f32_e32 v35, v35, v38
	v_fmac_f32_e32 v81, v52, v70
	v_add_f32_e32 v36, v36, v80
	v_add_f32_e32 v35, v35, v37
	;; [unrolled: 1-line block ×3, first 2 shown]
	s_waitcnt vmcnt(1)
	v_sub_f32_e32 v35, v71, v35
	s_waitcnt vmcnt(0)
	v_sub_f32_e32 v36, v72, v36
	buffer_store_dword v35, off, s[0:3], 0 offset:48
	buffer_store_dword v36, off, s[0:3], 0 offset:52
	v_cmpx_lt_u32_e32 5, v0
	s_cbranch_execz .LBB79_99
; %bb.98:
	s_clause 0x1
	buffer_load_dword v35, off, s[0:3], 0 offset:40
	buffer_load_dword v36, off, s[0:3], 0 offset:44
	buffer_store_dword v34, off, s[0:3], 0 offset:40
	buffer_store_dword v34, off, s[0:3], 0 offset:44
	s_waitcnt vmcnt(0)
	ds_write_b64 v33, v[35:36]
.LBB79_99:
	s_or_b32 exec_lo, exec_lo, s4
	s_waitcnt lgkmcnt(0)
	s_waitcnt_vscnt null, 0x0
	s_barrier
	buffer_gl0_inv
	s_clause 0x15
	buffer_load_dword v55, off, s[0:3], 0 offset:52
	buffer_load_dword v56, off, s[0:3], 0 offset:60
	;; [unrolled: 1-line block ×22, first 2 shown]
	ds_read_b128 v[35:38], v34 offset:176
	ds_read_b128 v[39:42], v34 offset:192
	ds_read_b128 v[43:46], v34 offset:208
	ds_read_b128 v[47:50], v34 offset:224
	ds_read_b128 v[51:54], v34 offset:240
	s_mov_b32 s4, exec_lo
	s_waitcnt vmcnt(21) lgkmcnt(4)
	v_mul_f32_e32 v34, v35, v55
	v_mul_f32_e32 v55, v36, v55
	s_waitcnt vmcnt(20)
	v_mul_f32_e32 v77, v37, v56
	v_mul_f32_e32 v56, v38, v56
	s_waitcnt vmcnt(19) lgkmcnt(3)
	v_mul_f32_e32 v78, v39, v57
	s_waitcnt vmcnt(18)
	v_mul_f32_e32 v79, v41, v58
	s_waitcnt vmcnt(17) lgkmcnt(2)
	v_mul_f32_e32 v80, v43, v59
	s_waitcnt vmcnt(16)
	;; [unrolled: 4-line block ×3, first 2 shown]
	v_mul_f32_e32 v83, v49, v62
	s_waitcnt vmcnt(11)
	v_fma_f32 v35, v35, v65, -v55
	v_fmac_f32_e32 v34, v36, v65
	v_mul_f32_e32 v36, v40, v57
	s_waitcnt vmcnt(10)
	v_fma_f32 v37, v37, v66, -v56
	v_fmac_f32_e32 v77, v38, v66
	v_add_f32_e32 v35, 0, v35
	v_add_f32_e32 v34, 0, v34
	v_mul_f32_e32 v38, v42, v58
	s_waitcnt vmcnt(9)
	v_fma_f32 v36, v39, v67, -v36
	v_fmac_f32_e32 v78, v40, v67
	v_add_f32_e32 v35, v35, v37
	v_add_f32_e32 v34, v34, v77
	;; [unrolled: 6-line block ×6, first 2 shown]
	s_waitcnt lgkmcnt(0)
	v_mul_f32_e32 v36, v52, v63
	s_waitcnt vmcnt(4)
	v_fma_f32 v37, v49, v72, -v37
	v_mul_f32_e32 v84, v51, v63
	v_add_f32_e32 v35, v35, v38
	v_fmac_f32_e32 v83, v50, v72
	v_add_f32_e32 v34, v34, v82
	v_mul_f32_e32 v38, v54, v64
	s_waitcnt vmcnt(3)
	v_fma_f32 v36, v51, v73, -v36
	v_add_f32_e32 v35, v35, v37
	v_mul_f32_e32 v85, v53, v64
	v_fmac_f32_e32 v84, v52, v73
	v_add_f32_e32 v34, v34, v83
	s_waitcnt vmcnt(2)
	v_fma_f32 v37, v53, v74, -v38
	v_add_f32_e32 v35, v35, v36
	v_fmac_f32_e32 v85, v54, v74
	v_add_f32_e32 v34, v34, v84
	v_add_f32_e32 v35, v35, v37
	;; [unrolled: 1-line block ×3, first 2 shown]
	s_waitcnt vmcnt(1)
	v_sub_f32_e32 v35, v75, v35
	s_waitcnt vmcnt(0)
	v_sub_f32_e32 v34, v76, v34
	buffer_store_dword v35, off, s[0:3], 0 offset:40
	buffer_store_dword v34, off, s[0:3], 0 offset:44
	v_cmpx_lt_u32_e32 4, v0
	s_cbranch_execz .LBB79_101
; %bb.100:
	s_clause 0x1
	buffer_load_dword v34, off, s[0:3], 0 offset:32
	buffer_load_dword v35, off, s[0:3], 0 offset:36
	v_mov_b32_e32 v36, 0
	buffer_store_dword v36, off, s[0:3], 0 offset:32
	buffer_store_dword v36, off, s[0:3], 0 offset:36
	s_waitcnt vmcnt(0)
	ds_write_b64 v33, v[34:35]
.LBB79_101:
	s_or_b32 exec_lo, exec_lo, s4
	s_waitcnt lgkmcnt(0)
	s_waitcnt_vscnt null, 0x0
	s_barrier
	buffer_gl0_inv
	s_clause 0x17
	buffer_load_dword v57, off, s[0:3], 0 offset:44
	buffer_load_dword v58, off, s[0:3], 0 offset:52
	buffer_load_dword v59, off, s[0:3], 0 offset:60
	buffer_load_dword v60, off, s[0:3], 0 offset:68
	buffer_load_dword v61, off, s[0:3], 0 offset:76
	buffer_load_dword v62, off, s[0:3], 0 offset:84
	buffer_load_dword v63, off, s[0:3], 0 offset:92
	buffer_load_dword v64, off, s[0:3], 0 offset:100
	buffer_load_dword v65, off, s[0:3], 0 offset:108
	buffer_load_dword v66, off, s[0:3], 0 offset:116
	buffer_load_dword v67, off, s[0:3], 0 offset:124
	buffer_load_dword v68, off, s[0:3], 0 offset:40
	buffer_load_dword v69, off, s[0:3], 0 offset:48
	buffer_load_dword v70, off, s[0:3], 0 offset:56
	buffer_load_dword v71, off, s[0:3], 0 offset:64
	buffer_load_dword v72, off, s[0:3], 0 offset:72
	buffer_load_dword v73, off, s[0:3], 0 offset:80
	buffer_load_dword v74, off, s[0:3], 0 offset:88
	buffer_load_dword v75, off, s[0:3], 0 offset:96
	buffer_load_dword v76, off, s[0:3], 0 offset:104
	buffer_load_dword v77, off, s[0:3], 0 offset:112
	buffer_load_dword v78, off, s[0:3], 0 offset:120
	buffer_load_dword v79, off, s[0:3], 0 offset:32
	buffer_load_dword v80, off, s[0:3], 0 offset:36
	v_mov_b32_e32 v34, 0
	ds_read2_b64 v[35:38], v34 offset0:21 offset1:22
	ds_read2_b64 v[39:42], v34 offset0:23 offset1:24
	;; [unrolled: 1-line block ×5, first 2 shown]
	ds_read_b64 v[55:56], v34 offset:248
	s_mov_b32 s4, exec_lo
	s_waitcnt vmcnt(23) lgkmcnt(5)
	v_mul_f32_e32 v81, v35, v57
	v_mul_f32_e32 v57, v36, v57
	s_waitcnt vmcnt(22)
	v_mul_f32_e32 v82, v37, v58
	v_mul_f32_e32 v58, v38, v58
	s_waitcnt vmcnt(21) lgkmcnt(4)
	v_mul_f32_e32 v83, v39, v59
	s_waitcnt vmcnt(20)
	v_mul_f32_e32 v84, v41, v60
	s_waitcnt vmcnt(19) lgkmcnt(3)
	v_mul_f32_e32 v85, v43, v61
	s_waitcnt vmcnt(18)
	;; [unrolled: 4-line block ×4, first 2 shown]
	v_fma_f32 v35, v35, v68, -v57
	v_fmac_f32_e32 v81, v36, v68
	v_mul_f32_e32 v36, v40, v59
	s_waitcnt vmcnt(11)
	v_fma_f32 v37, v37, v69, -v58
	v_fmac_f32_e32 v82, v38, v69
	v_add_f32_e32 v35, 0, v35
	v_add_f32_e32 v38, 0, v81
	v_mul_f32_e32 v57, v42, v60
	s_waitcnt vmcnt(10)
	v_fma_f32 v36, v39, v70, -v36
	v_fmac_f32_e32 v83, v40, v70
	v_add_f32_e32 v35, v35, v37
	v_add_f32_e32 v37, v38, v82
	;; [unrolled: 6-line block ×7, first 2 shown]
	v_mul_f32_e32 v39, v54, v66
	s_waitcnt vmcnt(4)
	v_fma_f32 v37, v51, v76, -v37
	v_mul_f32_e32 v90, v53, v66
	v_add_f32_e32 v35, v35, v38
	v_fmac_f32_e32 v89, v52, v76
	v_add_f32_e32 v36, v36, v88
	s_waitcnt lgkmcnt(0)
	v_mul_f32_e32 v38, v56, v67
	s_waitcnt vmcnt(3)
	v_fma_f32 v39, v53, v77, -v39
	v_add_f32_e32 v35, v35, v37
	v_mul_f32_e32 v91, v55, v67
	v_fmac_f32_e32 v90, v54, v77
	v_add_f32_e32 v36, v36, v89
	s_waitcnt vmcnt(2)
	v_fma_f32 v37, v55, v78, -v38
	v_add_f32_e32 v35, v35, v39
	v_fmac_f32_e32 v91, v56, v78
	v_add_f32_e32 v36, v36, v90
	v_add_f32_e32 v35, v35, v37
	;; [unrolled: 1-line block ×3, first 2 shown]
	s_waitcnt vmcnt(1)
	v_sub_f32_e32 v35, v79, v35
	s_waitcnt vmcnt(0)
	v_sub_f32_e32 v36, v80, v36
	buffer_store_dword v35, off, s[0:3], 0 offset:32
	buffer_store_dword v36, off, s[0:3], 0 offset:36
	v_cmpx_lt_u32_e32 3, v0
	s_cbranch_execz .LBB79_103
; %bb.102:
	s_clause 0x1
	buffer_load_dword v35, off, s[0:3], 0 offset:24
	buffer_load_dword v36, off, s[0:3], 0 offset:28
	buffer_store_dword v34, off, s[0:3], 0 offset:24
	buffer_store_dword v34, off, s[0:3], 0 offset:28
	s_waitcnt vmcnt(0)
	ds_write_b64 v33, v[35:36]
.LBB79_103:
	s_or_b32 exec_lo, exec_lo, s4
	s_waitcnt lgkmcnt(0)
	s_waitcnt_vscnt null, 0x0
	s_barrier
	buffer_gl0_inv
	s_clause 0x19
	buffer_load_dword v59, off, s[0:3], 0 offset:36
	buffer_load_dword v60, off, s[0:3], 0 offset:44
	;; [unrolled: 1-line block ×26, first 2 shown]
	ds_read_b128 v[35:38], v34 offset:160
	ds_read_b128 v[39:42], v34 offset:176
	;; [unrolled: 1-line block ×6, first 2 shown]
	s_mov_b32 s4, exec_lo
	s_waitcnt vmcnt(25) lgkmcnt(5)
	v_mul_f32_e32 v34, v35, v59
	v_mul_f32_e32 v59, v36, v59
	s_waitcnt vmcnt(24)
	v_mul_f32_e32 v85, v37, v60
	v_mul_f32_e32 v60, v38, v60
	s_waitcnt vmcnt(23) lgkmcnt(4)
	v_mul_f32_e32 v86, v39, v61
	s_waitcnt vmcnt(22)
	v_mul_f32_e32 v87, v41, v62
	s_waitcnt vmcnt(21) lgkmcnt(3)
	v_mul_f32_e32 v88, v43, v63
	s_waitcnt vmcnt(20)
	;; [unrolled: 4-line block ×4, first 2 shown]
	v_mul_f32_e32 v93, v53, v68
	s_waitcnt vmcnt(13)
	v_fma_f32 v35, v35, v71, -v59
	v_fmac_f32_e32 v34, v36, v71
	v_mul_f32_e32 v36, v40, v61
	s_waitcnt vmcnt(12)
	v_fma_f32 v37, v37, v72, -v60
	v_fmac_f32_e32 v85, v38, v72
	v_add_f32_e32 v35, 0, v35
	v_add_f32_e32 v34, 0, v34
	v_mul_f32_e32 v38, v42, v62
	s_waitcnt vmcnt(11)
	v_fma_f32 v36, v39, v73, -v36
	v_fmac_f32_e32 v86, v40, v73
	v_add_f32_e32 v35, v35, v37
	v_add_f32_e32 v34, v34, v85
	;; [unrolled: 6-line block ×8, first 2 shown]
	s_waitcnt lgkmcnt(0)
	v_mul_f32_e32 v37, v56, v69
	s_waitcnt vmcnt(4)
	v_fma_f32 v38, v53, v80, -v38
	v_mul_f32_e32 v94, v55, v69
	v_add_f32_e32 v35, v35, v36
	v_fmac_f32_e32 v93, v54, v80
	v_add_f32_e32 v34, v34, v92
	v_mul_f32_e32 v36, v58, v70
	s_waitcnt vmcnt(3)
	v_fma_f32 v37, v55, v81, -v37
	v_add_f32_e32 v35, v35, v38
	v_mul_f32_e32 v95, v57, v70
	v_fmac_f32_e32 v94, v56, v81
	v_add_f32_e32 v34, v34, v93
	s_waitcnt vmcnt(2)
	v_fma_f32 v36, v57, v82, -v36
	v_add_f32_e32 v35, v35, v37
	v_fmac_f32_e32 v95, v58, v82
	v_add_f32_e32 v34, v34, v94
	v_add_f32_e32 v35, v35, v36
	;; [unrolled: 1-line block ×3, first 2 shown]
	s_waitcnt vmcnt(1)
	v_sub_f32_e32 v35, v83, v35
	s_waitcnt vmcnt(0)
	v_sub_f32_e32 v34, v84, v34
	buffer_store_dword v35, off, s[0:3], 0 offset:24
	buffer_store_dword v34, off, s[0:3], 0 offset:28
	v_cmpx_lt_u32_e32 2, v0
	s_cbranch_execz .LBB79_105
; %bb.104:
	s_clause 0x1
	buffer_load_dword v34, off, s[0:3], 0 offset:16
	buffer_load_dword v35, off, s[0:3], 0 offset:20
	v_mov_b32_e32 v36, 0
	buffer_store_dword v36, off, s[0:3], 0 offset:16
	buffer_store_dword v36, off, s[0:3], 0 offset:20
	s_waitcnt vmcnt(0)
	ds_write_b64 v33, v[34:35]
.LBB79_105:
	s_or_b32 exec_lo, exec_lo, s4
	s_waitcnt lgkmcnt(0)
	s_waitcnt_vscnt null, 0x0
	s_barrier
	buffer_gl0_inv
	s_clause 0x1b
	buffer_load_dword v61, off, s[0:3], 0 offset:28
	buffer_load_dword v62, off, s[0:3], 0 offset:36
	;; [unrolled: 1-line block ×28, first 2 shown]
	v_mov_b32_e32 v34, 0
	ds_read2_b64 v[35:38], v34 offset0:19 offset1:20
	ds_read2_b64 v[39:42], v34 offset0:21 offset1:22
	;; [unrolled: 1-line block ×6, first 2 shown]
	ds_read_b64 v[59:60], v34 offset:248
	s_mov_b32 s4, exec_lo
	s_waitcnt vmcnt(27) lgkmcnt(6)
	v_mul_f32_e32 v89, v35, v61
	v_mul_f32_e32 v61, v36, v61
	s_waitcnt vmcnt(26)
	v_mul_f32_e32 v90, v37, v62
	v_mul_f32_e32 v62, v38, v62
	s_waitcnt vmcnt(25) lgkmcnt(5)
	v_mul_f32_e32 v91, v39, v63
	s_waitcnt vmcnt(24)
	v_mul_f32_e32 v92, v41, v64
	s_waitcnt vmcnt(23) lgkmcnt(4)
	v_mul_f32_e32 v93, v43, v65
	s_waitcnt vmcnt(22)
	;; [unrolled: 4-line block ×5, first 2 shown]
	v_fma_f32 v35, v35, v74, -v61
	v_fmac_f32_e32 v89, v36, v74
	v_mul_f32_e32 v36, v40, v63
	s_waitcnt vmcnt(13)
	v_fma_f32 v37, v37, v75, -v62
	v_fmac_f32_e32 v90, v38, v75
	v_add_f32_e32 v35, 0, v35
	v_add_f32_e32 v38, 0, v89
	v_mul_f32_e32 v61, v42, v64
	s_waitcnt vmcnt(12)
	v_fma_f32 v36, v39, v76, -v36
	v_fmac_f32_e32 v91, v40, v76
	v_add_f32_e32 v35, v35, v37
	v_add_f32_e32 v37, v38, v90
	;; [unrolled: 6-line block ×9, first 2 shown]
	v_mul_f32_e32 v37, v58, v72
	s_waitcnt vmcnt(4)
	v_fma_f32 v38, v55, v84, -v38
	v_mul_f32_e32 v100, v57, v72
	v_add_f32_e32 v35, v35, v39
	v_fmac_f32_e32 v99, v56, v84
	v_add_f32_e32 v36, v36, v98
	s_waitcnt lgkmcnt(0)
	v_mul_f32_e32 v39, v60, v73
	s_waitcnt vmcnt(3)
	v_fma_f32 v37, v57, v85, -v37
	v_add_f32_e32 v35, v35, v38
	v_mul_f32_e32 v101, v59, v73
	v_fmac_f32_e32 v100, v58, v85
	v_add_f32_e32 v36, v36, v99
	s_waitcnt vmcnt(2)
	v_fma_f32 v38, v59, v86, -v39
	v_add_f32_e32 v35, v35, v37
	v_fmac_f32_e32 v101, v60, v86
	v_add_f32_e32 v36, v36, v100
	v_add_f32_e32 v35, v35, v38
	;; [unrolled: 1-line block ×3, first 2 shown]
	s_waitcnt vmcnt(1)
	v_sub_f32_e32 v35, v87, v35
	s_waitcnt vmcnt(0)
	v_sub_f32_e32 v36, v88, v36
	buffer_store_dword v35, off, s[0:3], 0 offset:16
	buffer_store_dword v36, off, s[0:3], 0 offset:20
	v_cmpx_lt_u32_e32 1, v0
	s_cbranch_execz .LBB79_107
; %bb.106:
	s_clause 0x1
	buffer_load_dword v35, off, s[0:3], 0 offset:8
	buffer_load_dword v36, off, s[0:3], 0 offset:12
	buffer_store_dword v34, off, s[0:3], 0 offset:8
	buffer_store_dword v34, off, s[0:3], 0 offset:12
	s_waitcnt vmcnt(0)
	ds_write_b64 v33, v[35:36]
.LBB79_107:
	s_or_b32 exec_lo, exec_lo, s4
	s_waitcnt lgkmcnt(0)
	s_waitcnt_vscnt null, 0x0
	s_barrier
	buffer_gl0_inv
	s_clause 0x1d
	buffer_load_dword v63, off, s[0:3], 0 offset:20
	buffer_load_dword v64, off, s[0:3], 0 offset:28
	;; [unrolled: 1-line block ×30, first 2 shown]
	ds_read_b128 v[35:38], v34 offset:144
	ds_read_b128 v[39:42], v34 offset:160
	;; [unrolled: 1-line block ×7, first 2 shown]
	s_mov_b32 s4, exec_lo
	s_waitcnt vmcnt(29) lgkmcnt(6)
	v_mul_f32_e32 v34, v35, v63
	v_mul_f32_e32 v63, v36, v63
	s_waitcnt vmcnt(28)
	v_mul_f32_e32 v93, v37, v64
	v_mul_f32_e32 v64, v38, v64
	s_waitcnt vmcnt(27) lgkmcnt(5)
	v_mul_f32_e32 v94, v39, v65
	s_waitcnt vmcnt(26)
	v_mul_f32_e32 v95, v41, v66
	s_waitcnt vmcnt(25) lgkmcnt(4)
	v_mul_f32_e32 v96, v43, v67
	s_waitcnt vmcnt(24)
	;; [unrolled: 4-line block ×5, first 2 shown]
	v_mul_f32_e32 v103, v57, v74
	s_waitcnt vmcnt(15)
	v_fma_f32 v35, v35, v77, -v63
	v_fmac_f32_e32 v34, v36, v77
	v_mul_f32_e32 v36, v40, v65
	s_waitcnt vmcnt(14)
	v_fma_f32 v37, v37, v78, -v64
	v_fmac_f32_e32 v93, v38, v78
	v_add_f32_e32 v35, 0, v35
	v_add_f32_e32 v34, 0, v34
	v_mul_f32_e32 v38, v42, v66
	s_waitcnt vmcnt(13)
	v_fma_f32 v36, v39, v79, -v36
	v_fmac_f32_e32 v94, v40, v79
	v_add_f32_e32 v35, v35, v37
	v_add_f32_e32 v34, v34, v93
	;; [unrolled: 6-line block ×10, first 2 shown]
	s_waitcnt lgkmcnt(0)
	v_mul_f32_e32 v38, v60, v75
	s_waitcnt vmcnt(4)
	v_fma_f32 v36, v57, v88, -v36
	v_mul_f32_e32 v104, v59, v75
	v_add_f32_e32 v35, v35, v37
	v_fmac_f32_e32 v103, v58, v88
	v_add_f32_e32 v34, v34, v102
	v_mul_f32_e32 v37, v62, v76
	s_waitcnt vmcnt(3)
	v_fma_f32 v38, v59, v89, -v38
	v_add_f32_e32 v35, v35, v36
	v_mul_f32_e32 v105, v61, v76
	v_fmac_f32_e32 v104, v60, v89
	v_add_f32_e32 v34, v34, v103
	s_waitcnt vmcnt(2)
	v_fma_f32 v36, v61, v90, -v37
	v_add_f32_e32 v35, v35, v38
	v_fmac_f32_e32 v105, v62, v90
	v_add_f32_e32 v34, v34, v104
	v_add_f32_e32 v35, v35, v36
	;; [unrolled: 1-line block ×3, first 2 shown]
	s_waitcnt vmcnt(1)
	v_sub_f32_e32 v35, v91, v35
	s_waitcnt vmcnt(0)
	v_sub_f32_e32 v34, v92, v34
	buffer_store_dword v35, off, s[0:3], 0 offset:8
	buffer_store_dword v34, off, s[0:3], 0 offset:12
	v_cmpx_ne_u32_e32 0, v0
	s_cbranch_execz .LBB79_109
; %bb.108:
	s_clause 0x1
	buffer_load_dword v34, off, s[0:3], 0
	buffer_load_dword v35, off, s[0:3], 0 offset:4
	v_mov_b32_e32 v0, 0
	buffer_store_dword v0, off, s[0:3], 0
	buffer_store_dword v0, off, s[0:3], 0 offset:4
	s_waitcnt vmcnt(0)
	ds_write_b64 v33, v[34:35]
.LBB79_109:
	s_or_b32 exec_lo, exec_lo, s4
	s_waitcnt lgkmcnt(0)
	s_waitcnt_vscnt null, 0x0
	s_barrier
	buffer_gl0_inv
	s_clause 0x1f
	buffer_load_dword v65, off, s[0:3], 0 offset:12
	buffer_load_dword v66, off, s[0:3], 0 offset:20
	;; [unrolled: 1-line block ×30, first 2 shown]
	buffer_load_dword v93, off, s[0:3], 0
	buffer_load_dword v94, off, s[0:3], 0 offset:4
	v_mov_b32_e32 v34, 0
	ds_read2_b64 v[35:38], v34 offset0:17 offset1:18
	ds_read2_b64 v[39:42], v34 offset0:19 offset1:20
	;; [unrolled: 1-line block ×7, first 2 shown]
	ds_read_b64 v[63:64], v34 offset:248
	s_and_b32 vcc_lo, exec_lo, s16
	s_waitcnt vmcnt(31) lgkmcnt(7)
	v_mul_f32_e32 v95, v35, v65
	v_mul_f32_e32 v65, v36, v65
	s_waitcnt vmcnt(30)
	v_mul_f32_e32 v96, v37, v66
	v_mul_f32_e32 v66, v38, v66
	s_waitcnt vmcnt(29) lgkmcnt(6)
	v_mul_f32_e32 v97, v39, v67
	s_waitcnt vmcnt(28)
	v_mul_f32_e32 v98, v41, v68
	s_waitcnt vmcnt(27) lgkmcnt(5)
	v_mul_f32_e32 v99, v43, v69
	s_waitcnt vmcnt(26)
	;; [unrolled: 4-line block ×6, first 2 shown]
	v_fma_f32 v35, v35, v79, -v65
	v_fmac_f32_e32 v95, v36, v79
	v_mul_f32_e32 v36, v40, v67
	s_waitcnt vmcnt(15)
	v_fma_f32 v37, v37, v80, -v66
	v_fmac_f32_e32 v96, v38, v80
	v_add_f32_e32 v35, 0, v35
	v_add_f32_e32 v38, 0, v95
	v_mul_f32_e32 v65, v42, v68
	s_waitcnt vmcnt(14)
	v_fma_f32 v36, v39, v81, -v36
	v_fmac_f32_e32 v97, v40, v81
	v_add_f32_e32 v35, v35, v37
	v_add_f32_e32 v37, v38, v96
	;; [unrolled: 6-line block ×11, first 2 shown]
	v_mul_f32_e32 v38, v62, v0
	s_waitcnt vmcnt(4)
	v_fma_f32 v39, v59, v91, -v39
	v_mul_f32_e32 v108, v61, v0
	v_add_f32_e32 v35, v35, v37
	v_fmac_f32_e32 v107, v60, v91
	v_add_f32_e32 v36, v36, v106
	s_waitcnt lgkmcnt(0)
	v_mul_f32_e32 v37, v64, v78
	s_waitcnt vmcnt(2)
	v_fma_f32 v38, v61, v33, -v38
	v_add_f32_e32 v35, v35, v39
	v_mul_f32_e32 v109, v63, v78
	v_fmac_f32_e32 v108, v62, v33
	v_add_f32_e32 v36, v36, v107
	v_fma_f32 v37, v63, v92, -v37
	v_add_f32_e32 v35, v35, v38
	v_fmac_f32_e32 v109, v64, v92
	v_add_f32_e32 v36, v36, v108
	v_add_f32_e32 v35, v35, v37
	;; [unrolled: 1-line block ×3, first 2 shown]
	s_waitcnt vmcnt(1)
	v_sub_f32_e32 v35, v93, v35
	s_waitcnt vmcnt(0)
	v_sub_f32_e32 v36, v94, v36
	buffer_store_dword v35, off, s[0:3], 0
	buffer_store_dword v36, off, s[0:3], 0 offset:4
	s_cbranch_vccz .LBB79_140
; %bb.110:
	global_load_dword v34, v34, s[12:13] offset:56
	s_waitcnt vmcnt(0)
	v_add_nc_u32_e32 v34, -1, v34
	v_cmp_ne_u32_e32 vcc_lo, 14, v34
	s_cbranch_vccz .LBB79_112
; %bb.111:
	v_lshlrev_b32_e32 v34, 3, v34
	s_clause 0x1
	buffer_load_dword v35, v34, s[0:3], 0 offen offset:4
	buffer_load_dword v36, v34, s[0:3], 0 offen
	s_waitcnt vmcnt(1)
	buffer_store_dword v35, off, s[0:3], 0 offset:116
	s_waitcnt vmcnt(0)
	buffer_store_dword v36, off, s[0:3], 0 offset:112
	buffer_store_dword v0, v34, s[0:3], 0 offen offset:4
	buffer_store_dword v33, v34, s[0:3], 0 offen
.LBB79_112:
	v_mov_b32_e32 v0, 0
	global_load_dword v33, v0, s[12:13] offset:52
	s_waitcnt vmcnt(0)
	v_add_nc_u32_e32 v33, -1, v33
	v_cmp_eq_u32_e32 vcc_lo, 13, v33
	s_cbranch_vccnz .LBB79_114
; %bb.113:
	v_lshlrev_b32_e32 v33, 3, v33
	s_clause 0x3
	buffer_load_dword v34, v33, s[0:3], 0 offen
	buffer_load_dword v35, v33, s[0:3], 0 offen offset:4
	buffer_load_dword v36, off, s[0:3], 0 offset:104
	buffer_load_dword v37, off, s[0:3], 0 offset:108
	s_waitcnt vmcnt(3)
	buffer_store_dword v34, off, s[0:3], 0 offset:104
	s_waitcnt vmcnt(2)
	buffer_store_dword v35, off, s[0:3], 0 offset:108
	s_waitcnt vmcnt(1)
	buffer_store_dword v36, v33, s[0:3], 0 offen
	s_waitcnt vmcnt(0)
	buffer_store_dword v37, v33, s[0:3], 0 offen offset:4
.LBB79_114:
	global_load_dword v0, v0, s[12:13] offset:48
	s_waitcnt vmcnt(0)
	v_add_nc_u32_e32 v0, -1, v0
	v_cmp_eq_u32_e32 vcc_lo, 12, v0
	s_cbranch_vccnz .LBB79_116
; %bb.115:
	v_lshlrev_b32_e32 v0, 3, v0
	s_clause 0x3
	buffer_load_dword v33, v0, s[0:3], 0 offen
	buffer_load_dword v34, v0, s[0:3], 0 offen offset:4
	buffer_load_dword v35, off, s[0:3], 0 offset:100
	buffer_load_dword v36, off, s[0:3], 0 offset:96
	s_waitcnt vmcnt(3)
	buffer_store_dword v33, off, s[0:3], 0 offset:96
	s_waitcnt vmcnt(2)
	buffer_store_dword v34, off, s[0:3], 0 offset:100
	s_waitcnt vmcnt(1)
	buffer_store_dword v35, v0, s[0:3], 0 offen offset:4
	s_waitcnt vmcnt(0)
	buffer_store_dword v36, v0, s[0:3], 0 offen
.LBB79_116:
	v_mov_b32_e32 v0, 0
	global_load_dword v33, v0, s[12:13] offset:44
	s_waitcnt vmcnt(0)
	v_add_nc_u32_e32 v33, -1, v33
	v_cmp_eq_u32_e32 vcc_lo, 11, v33
	s_cbranch_vccnz .LBB79_118
; %bb.117:
	v_lshlrev_b32_e32 v33, 3, v33
	s_clause 0x3
	buffer_load_dword v34, v33, s[0:3], 0 offen
	buffer_load_dword v35, v33, s[0:3], 0 offen offset:4
	buffer_load_dword v36, off, s[0:3], 0 offset:88
	buffer_load_dword v37, off, s[0:3], 0 offset:92
	s_waitcnt vmcnt(3)
	buffer_store_dword v34, off, s[0:3], 0 offset:88
	s_waitcnt vmcnt(2)
	buffer_store_dword v35, off, s[0:3], 0 offset:92
	s_waitcnt vmcnt(1)
	buffer_store_dword v36, v33, s[0:3], 0 offen
	s_waitcnt vmcnt(0)
	buffer_store_dword v37, v33, s[0:3], 0 offen offset:4
.LBB79_118:
	global_load_dword v0, v0, s[12:13] offset:40
	s_waitcnt vmcnt(0)
	v_add_nc_u32_e32 v0, -1, v0
	v_cmp_eq_u32_e32 vcc_lo, 10, v0
	s_cbranch_vccnz .LBB79_120
; %bb.119:
	v_lshlrev_b32_e32 v0, 3, v0
	s_clause 0x3
	buffer_load_dword v33, v0, s[0:3], 0 offen
	buffer_load_dword v34, v0, s[0:3], 0 offen offset:4
	buffer_load_dword v35, off, s[0:3], 0 offset:84
	buffer_load_dword v36, off, s[0:3], 0 offset:80
	s_waitcnt vmcnt(3)
	buffer_store_dword v33, off, s[0:3], 0 offset:80
	s_waitcnt vmcnt(2)
	buffer_store_dword v34, off, s[0:3], 0 offset:84
	s_waitcnt vmcnt(1)
	buffer_store_dword v35, v0, s[0:3], 0 offen offset:4
	s_waitcnt vmcnt(0)
	buffer_store_dword v36, v0, s[0:3], 0 offen
.LBB79_120:
	;; [unrolled: 43-line block ×6, first 2 shown]
	v_mov_b32_e32 v0, 0
	global_load_dword v33, v0, s[12:13] offset:4
	s_waitcnt vmcnt(0)
	v_add_nc_u32_e32 v33, -1, v33
	v_cmp_eq_u32_e32 vcc_lo, 1, v33
	s_cbranch_vccnz .LBB79_138
; %bb.137:
	v_lshlrev_b32_e32 v33, 3, v33
	s_clause 0x3
	buffer_load_dword v34, v33, s[0:3], 0 offen
	buffer_load_dword v35, v33, s[0:3], 0 offen offset:4
	buffer_load_dword v36, off, s[0:3], 0 offset:8
	buffer_load_dword v37, off, s[0:3], 0 offset:12
	s_waitcnt vmcnt(3)
	buffer_store_dword v34, off, s[0:3], 0 offset:8
	s_waitcnt vmcnt(2)
	buffer_store_dword v35, off, s[0:3], 0 offset:12
	s_waitcnt vmcnt(1)
	buffer_store_dword v36, v33, s[0:3], 0 offen
	s_waitcnt vmcnt(0)
	buffer_store_dword v37, v33, s[0:3], 0 offen offset:4
.LBB79_138:
	global_load_dword v0, v0, s[12:13]
	s_waitcnt vmcnt(0)
	v_add_nc_u32_e32 v0, -1, v0
	v_cmp_eq_u32_e32 vcc_lo, 0, v0
	s_cbranch_vccnz .LBB79_140
; %bb.139:
	v_lshlrev_b32_e32 v0, 3, v0
	s_clause 0x3
	buffer_load_dword v33, v0, s[0:3], 0 offen
	buffer_load_dword v34, v0, s[0:3], 0 offen offset:4
	buffer_load_dword v35, off, s[0:3], 0 offset:4
	buffer_load_dword v36, off, s[0:3], 0
	s_waitcnt vmcnt(3)
	buffer_store_dword v33, off, s[0:3], 0
	s_waitcnt vmcnt(2)
	buffer_store_dword v34, off, s[0:3], 0 offset:4
	s_waitcnt vmcnt(1)
	buffer_store_dword v35, v0, s[0:3], 0 offen offset:4
	s_waitcnt vmcnt(0)
	buffer_store_dword v36, v0, s[0:3], 0 offen
.LBB79_140:
	s_clause 0x1
	buffer_load_dword v33, off, s[0:3], 0
	buffer_load_dword v34, off, s[0:3], 0 offset:4
	s_waitcnt vmcnt(0)
	flat_store_dwordx2 v[1:2], v[33:34]
	s_clause 0x1
	buffer_load_dword v0, off, s[0:3], 0 offset:8
	buffer_load_dword v1, off, s[0:3], 0 offset:12
	s_waitcnt vmcnt(0)
	flat_store_dwordx2 v[3:4], v[0:1]
	s_clause 0x1
	buffer_load_dword v0, off, s[0:3], 0 offset:16
	;; [unrolled: 5-line block ×15, first 2 shown]
	buffer_load_dword v1, off, s[0:3], 0 offset:124
	s_waitcnt vmcnt(0)
	flat_store_dwordx2 v[31:32], v[0:1]
	s_endpgm
	.section	.rodata,"a",@progbits
	.p2align	6, 0x0
	.amdhsa_kernel _ZN9rocsolver6v33100L18getri_kernel_smallILi16E19rocblas_complex_numIfEPKPS3_EEvT1_iilPiilS8_bb
		.amdhsa_group_segment_fixed_size 260
		.amdhsa_private_segment_fixed_size 144
		.amdhsa_kernarg_size 60
		.amdhsa_user_sgpr_count 6
		.amdhsa_user_sgpr_private_segment_buffer 1
		.amdhsa_user_sgpr_dispatch_ptr 0
		.amdhsa_user_sgpr_queue_ptr 0
		.amdhsa_user_sgpr_kernarg_segment_ptr 1
		.amdhsa_user_sgpr_dispatch_id 0
		.amdhsa_user_sgpr_flat_scratch_init 0
		.amdhsa_user_sgpr_private_segment_size 0
		.amdhsa_wavefront_size32 1
		.amdhsa_uses_dynamic_stack 0
		.amdhsa_system_sgpr_private_segment_wavefront_offset 1
		.amdhsa_system_sgpr_workgroup_id_x 1
		.amdhsa_system_sgpr_workgroup_id_y 0
		.amdhsa_system_sgpr_workgroup_id_z 0
		.amdhsa_system_sgpr_workgroup_info 0
		.amdhsa_system_vgpr_workitem_id 0
		.amdhsa_next_free_vgpr 110
		.amdhsa_next_free_sgpr 20
		.amdhsa_reserve_vcc 1
		.amdhsa_reserve_flat_scratch 0
		.amdhsa_float_round_mode_32 0
		.amdhsa_float_round_mode_16_64 0
		.amdhsa_float_denorm_mode_32 3
		.amdhsa_float_denorm_mode_16_64 3
		.amdhsa_dx10_clamp 1
		.amdhsa_ieee_mode 1
		.amdhsa_fp16_overflow 0
		.amdhsa_workgroup_processor_mode 1
		.amdhsa_memory_ordered 1
		.amdhsa_forward_progress 1
		.amdhsa_shared_vgpr_count 0
		.amdhsa_exception_fp_ieee_invalid_op 0
		.amdhsa_exception_fp_denorm_src 0
		.amdhsa_exception_fp_ieee_div_zero 0
		.amdhsa_exception_fp_ieee_overflow 0
		.amdhsa_exception_fp_ieee_underflow 0
		.amdhsa_exception_fp_ieee_inexact 0
		.amdhsa_exception_int_div_zero 0
	.end_amdhsa_kernel
	.section	.text._ZN9rocsolver6v33100L18getri_kernel_smallILi16E19rocblas_complex_numIfEPKPS3_EEvT1_iilPiilS8_bb,"axG",@progbits,_ZN9rocsolver6v33100L18getri_kernel_smallILi16E19rocblas_complex_numIfEPKPS3_EEvT1_iilPiilS8_bb,comdat
.Lfunc_end79:
	.size	_ZN9rocsolver6v33100L18getri_kernel_smallILi16E19rocblas_complex_numIfEPKPS3_EEvT1_iilPiilS8_bb, .Lfunc_end79-_ZN9rocsolver6v33100L18getri_kernel_smallILi16E19rocblas_complex_numIfEPKPS3_EEvT1_iilPiilS8_bb
                                        ; -- End function
	.set _ZN9rocsolver6v33100L18getri_kernel_smallILi16E19rocblas_complex_numIfEPKPS3_EEvT1_iilPiilS8_bb.num_vgpr, 110
	.set _ZN9rocsolver6v33100L18getri_kernel_smallILi16E19rocblas_complex_numIfEPKPS3_EEvT1_iilPiilS8_bb.num_agpr, 0
	.set _ZN9rocsolver6v33100L18getri_kernel_smallILi16E19rocblas_complex_numIfEPKPS3_EEvT1_iilPiilS8_bb.numbered_sgpr, 20
	.set _ZN9rocsolver6v33100L18getri_kernel_smallILi16E19rocblas_complex_numIfEPKPS3_EEvT1_iilPiilS8_bb.num_named_barrier, 0
	.set _ZN9rocsolver6v33100L18getri_kernel_smallILi16E19rocblas_complex_numIfEPKPS3_EEvT1_iilPiilS8_bb.private_seg_size, 144
	.set _ZN9rocsolver6v33100L18getri_kernel_smallILi16E19rocblas_complex_numIfEPKPS3_EEvT1_iilPiilS8_bb.uses_vcc, 1
	.set _ZN9rocsolver6v33100L18getri_kernel_smallILi16E19rocblas_complex_numIfEPKPS3_EEvT1_iilPiilS8_bb.uses_flat_scratch, 0
	.set _ZN9rocsolver6v33100L18getri_kernel_smallILi16E19rocblas_complex_numIfEPKPS3_EEvT1_iilPiilS8_bb.has_dyn_sized_stack, 0
	.set _ZN9rocsolver6v33100L18getri_kernel_smallILi16E19rocblas_complex_numIfEPKPS3_EEvT1_iilPiilS8_bb.has_recursion, 0
	.set _ZN9rocsolver6v33100L18getri_kernel_smallILi16E19rocblas_complex_numIfEPKPS3_EEvT1_iilPiilS8_bb.has_indirect_call, 0
	.section	.AMDGPU.csdata,"",@progbits
; Kernel info:
; codeLenInByte = 16812
; TotalNumSgprs: 22
; NumVgprs: 110
; ScratchSize: 144
; MemoryBound: 0
; FloatMode: 240
; IeeeMode: 1
; LDSByteSize: 260 bytes/workgroup (compile time only)
; SGPRBlocks: 0
; VGPRBlocks: 13
; NumSGPRsForWavesPerEU: 22
; NumVGPRsForWavesPerEU: 110
; Occupancy: 9
; WaveLimiterHint : 1
; COMPUTE_PGM_RSRC2:SCRATCH_EN: 1
; COMPUTE_PGM_RSRC2:USER_SGPR: 6
; COMPUTE_PGM_RSRC2:TRAP_HANDLER: 0
; COMPUTE_PGM_RSRC2:TGID_X_EN: 1
; COMPUTE_PGM_RSRC2:TGID_Y_EN: 0
; COMPUTE_PGM_RSRC2:TGID_Z_EN: 0
; COMPUTE_PGM_RSRC2:TIDIG_COMP_CNT: 0
	.section	.text._ZN9rocsolver6v33100L18getri_kernel_smallILi17E19rocblas_complex_numIfEPKPS3_EEvT1_iilPiilS8_bb,"axG",@progbits,_ZN9rocsolver6v33100L18getri_kernel_smallILi17E19rocblas_complex_numIfEPKPS3_EEvT1_iilPiilS8_bb,comdat
	.globl	_ZN9rocsolver6v33100L18getri_kernel_smallILi17E19rocblas_complex_numIfEPKPS3_EEvT1_iilPiilS8_bb ; -- Begin function _ZN9rocsolver6v33100L18getri_kernel_smallILi17E19rocblas_complex_numIfEPKPS3_EEvT1_iilPiilS8_bb
	.p2align	8
	.type	_ZN9rocsolver6v33100L18getri_kernel_smallILi17E19rocblas_complex_numIfEPKPS3_EEvT1_iilPiilS8_bb,@function
_ZN9rocsolver6v33100L18getri_kernel_smallILi17E19rocblas_complex_numIfEPKPS3_EEvT1_iilPiilS8_bb: ; @_ZN9rocsolver6v33100L18getri_kernel_smallILi17E19rocblas_complex_numIfEPKPS3_EEvT1_iilPiilS8_bb
; %bb.0:
	s_add_u32 s0, s0, s7
	s_addc_u32 s1, s1, 0
	s_mov_b32 s7, exec_lo
	v_cmpx_gt_u32_e32 17, v0
	s_cbranch_execz .LBB80_82
; %bb.1:
	s_clause 0x2
	s_load_dword s17, s[4:5], 0x38
	s_load_dwordx2 s[12:13], s[4:5], 0x0
	s_load_dwordx4 s[8:11], s[4:5], 0x28
	s_waitcnt lgkmcnt(0)
	s_bitcmp1_b32 s17, 8
	s_cselect_b32 s16, -1, 0
	s_ashr_i32 s7, s6, 31
	s_lshl_b64 s[14:15], s[6:7], 3
	s_add_u32 s12, s12, s14
	s_addc_u32 s13, s13, s15
	s_load_dwordx2 s[14:15], s[12:13], 0x0
	s_bfe_u32 s12, s17, 0x10008
	s_cmp_eq_u32 s12, 0
                                        ; implicit-def: $sgpr12_sgpr13
	s_cbranch_scc1 .LBB80_3
; %bb.2:
	s_clause 0x1
	s_load_dword s12, s[4:5], 0x20
	s_load_dwordx2 s[18:19], s[4:5], 0x18
	s_mul_i32 s13, s8, s7
	s_mul_hi_u32 s17, s8, s6
	s_mul_i32 s9, s9, s6
	s_add_i32 s13, s17, s13
	s_mul_i32 s8, s8, s6
	s_add_i32 s9, s13, s9
	s_lshl_b64 s[8:9], s[8:9], 2
	s_waitcnt lgkmcnt(0)
	s_ashr_i32 s13, s12, 31
	s_add_u32 s17, s18, s8
	s_addc_u32 s18, s19, s9
	s_lshl_b64 s[8:9], s[12:13], 2
	s_add_u32 s12, s17, s8
	s_addc_u32 s13, s18, s9
.LBB80_3:
	s_clause 0x1
	s_load_dwordx2 s[8:9], s[4:5], 0x8
	s_load_dword s4, s[4:5], 0x38
	v_lshlrev_b32_e32 v37, 3, v0
	s_waitcnt lgkmcnt(0)
	s_ashr_i32 s19, s8, 31
	s_mov_b32 s18, s8
	v_add3_u32 v9, s9, s9, v0
	s_lshl_b64 s[18:19], s[18:19], 3
	s_add_u32 s5, s14, s18
	s_addc_u32 s8, s15, s19
	v_add_co_u32 v1, s14, s5, v37
	v_add_co_ci_u32_e64 v2, null, s8, 0, s14
	s_mov_b32 s14, s9
	s_ashr_i32 s15, s9, 31
	v_ashrrev_i32_e32 v10, 31, v9
	flat_load_dwordx2 v[5:6], v[1:2]
	s_lshl_b64 s[14:15], s[14:15], 3
	v_add_nc_u32_e32 v12, s9, v9
	v_add_co_u32 v3, vcc_lo, v1, s14
	v_add_co_ci_u32_e64 v4, null, s15, v2, vcc_lo
	v_ashrrev_i32_e32 v13, 31, v12
	s_bitcmp0_b32 s4, 0
	s_waitcnt vmcnt(0) lgkmcnt(0)
	buffer_store_dword v6, off, s[0:3], 0 offset:4
	buffer_store_dword v5, off, s[0:3], 0
	flat_load_dwordx2 v[7:8], v[3:4]
	v_lshlrev_b64 v[5:6], 3, v[9:10]
	s_waitcnt vmcnt(0) lgkmcnt(0)
	buffer_store_dword v8, off, s[0:3], 0 offset:12
	buffer_store_dword v7, off, s[0:3], 0 offset:8
	v_add_co_u32 v5, vcc_lo, s5, v5
	v_add_co_ci_u32_e64 v6, null, s8, v6, vcc_lo
	v_lshlrev_b64 v[7:8], 3, v[12:13]
	flat_load_dwordx2 v[10:11], v[5:6]
	s_waitcnt vmcnt(0) lgkmcnt(0)
	buffer_store_dword v11, off, s[0:3], 0 offset:20
	buffer_store_dword v10, off, s[0:3], 0 offset:16
	v_add_co_u32 v7, vcc_lo, s5, v7
	v_add_co_ci_u32_e64 v8, null, s8, v8, vcc_lo
	v_add_nc_u32_e32 v11, s9, v12
	flat_load_dwordx2 v[13:14], v[7:8]
	s_waitcnt vmcnt(0) lgkmcnt(0)
	buffer_store_dword v14, off, s[0:3], 0 offset:28
	buffer_store_dword v13, off, s[0:3], 0 offset:24
	v_ashrrev_i32_e32 v12, 31, v11
	v_add_nc_u32_e32 v15, s9, v11
	v_lshlrev_b64 v[9:10], 3, v[11:12]
	v_ashrrev_i32_e32 v16, 31, v15
	v_add_nc_u32_e32 v18, s9, v15
	v_add_co_u32 v9, vcc_lo, s5, v9
	v_add_co_ci_u32_e64 v10, null, s8, v10, vcc_lo
	v_lshlrev_b64 v[11:12], 3, v[15:16]
	v_ashrrev_i32_e32 v19, 31, v18
	flat_load_dwordx2 v[13:14], v[9:10]
	s_waitcnt vmcnt(0) lgkmcnt(0)
	buffer_store_dword v14, off, s[0:3], 0 offset:36
	buffer_store_dword v13, off, s[0:3], 0 offset:32
	v_add_co_u32 v11, vcc_lo, s5, v11
	v_add_co_ci_u32_e64 v12, null, s8, v12, vcc_lo
	v_lshlrev_b64 v[13:14], 3, v[18:19]
	flat_load_dwordx2 v[16:17], v[11:12]
	s_waitcnt vmcnt(0) lgkmcnt(0)
	buffer_store_dword v17, off, s[0:3], 0 offset:44
	buffer_store_dword v16, off, s[0:3], 0 offset:40
	v_add_co_u32 v13, vcc_lo, s5, v13
	v_add_co_ci_u32_e64 v14, null, s8, v14, vcc_lo
	v_add_nc_u32_e32 v17, s9, v18
	flat_load_dwordx2 v[19:20], v[13:14]
	s_waitcnt vmcnt(0) lgkmcnt(0)
	buffer_store_dword v20, off, s[0:3], 0 offset:52
	buffer_store_dword v19, off, s[0:3], 0 offset:48
	v_ashrrev_i32_e32 v18, 31, v17
	v_add_nc_u32_e32 v21, s9, v17
	v_lshlrev_b64 v[15:16], 3, v[17:18]
	v_ashrrev_i32_e32 v22, 31, v21
	v_add_nc_u32_e32 v24, s9, v21
	v_add_co_u32 v15, vcc_lo, s5, v15
	v_add_co_ci_u32_e64 v16, null, s8, v16, vcc_lo
	v_lshlrev_b64 v[17:18], 3, v[21:22]
	v_ashrrev_i32_e32 v25, 31, v24
	flat_load_dwordx2 v[19:20], v[15:16]
	;; [unrolled: 27-line block ×3, first 2 shown]
	s_waitcnt vmcnt(0) lgkmcnt(0)
	buffer_store_dword v26, off, s[0:3], 0 offset:84
	buffer_store_dword v25, off, s[0:3], 0 offset:80
	v_add_co_u32 v23, vcc_lo, s5, v23
	v_add_co_ci_u32_e64 v24, null, s8, v24, vcc_lo
	v_lshlrev_b64 v[25:26], 3, v[30:31]
	flat_load_dwordx2 v[28:29], v[23:24]
	s_waitcnt vmcnt(0) lgkmcnt(0)
	buffer_store_dword v29, off, s[0:3], 0 offset:92
	buffer_store_dword v28, off, s[0:3], 0 offset:88
	v_add_co_u32 v25, vcc_lo, s5, v25
	v_add_co_ci_u32_e64 v26, null, s8, v26, vcc_lo
	v_add_nc_u32_e32 v29, s9, v30
	flat_load_dwordx2 v[31:32], v[25:26]
	s_waitcnt vmcnt(0) lgkmcnt(0)
	buffer_store_dword v32, off, s[0:3], 0 offset:100
	buffer_store_dword v31, off, s[0:3], 0 offset:96
	v_ashrrev_i32_e32 v30, 31, v29
	v_add_nc_u32_e32 v33, s9, v29
	v_lshlrev_b64 v[27:28], 3, v[29:30]
	v_ashrrev_i32_e32 v34, 31, v33
	v_add_nc_u32_e32 v38, s9, v33
	v_add_co_u32 v27, vcc_lo, s5, v27
	v_add_co_ci_u32_e64 v28, null, s8, v28, vcc_lo
	v_lshlrev_b64 v[29:30], 3, v[33:34]
	v_ashrrev_i32_e32 v39, 31, v38
	v_add_nc_u32_e32 v33, s9, v38
	flat_load_dwordx2 v[31:32], v[27:28]
	s_waitcnt vmcnt(0) lgkmcnt(0)
	buffer_store_dword v32, off, s[0:3], 0 offset:108
	buffer_store_dword v31, off, s[0:3], 0 offset:104
	v_add_co_u32 v29, vcc_lo, s5, v29
	v_add_co_ci_u32_e64 v30, null, s8, v30, vcc_lo
	v_lshlrev_b64 v[31:32], 3, v[38:39]
	flat_load_dwordx2 v[34:35], v[29:30]
	s_waitcnt vmcnt(0) lgkmcnt(0)
	buffer_store_dword v35, off, s[0:3], 0 offset:116
	buffer_store_dword v34, off, s[0:3], 0 offset:112
	v_add_co_u32 v31, vcc_lo, s5, v31
	v_add_co_ci_u32_e64 v32, null, s8, v32, vcc_lo
	v_ashrrev_i32_e32 v34, 31, v33
	flat_load_dwordx2 v[35:36], v[31:32]
	s_waitcnt vmcnt(0) lgkmcnt(0)
	buffer_store_dword v36, off, s[0:3], 0 offset:124
	buffer_store_dword v35, off, s[0:3], 0 offset:120
	v_lshlrev_b64 v[33:34], 3, v[33:34]
	v_add_co_u32 v33, vcc_lo, s5, v33
	v_add_co_ci_u32_e64 v34, null, s8, v34, vcc_lo
	s_mov_b32 s5, -1
	flat_load_dwordx2 v[35:36], v[33:34]
	s_waitcnt vmcnt(0) lgkmcnt(0)
	buffer_store_dword v36, off, s[0:3], 0 offset:132
	buffer_store_dword v35, off, s[0:3], 0 offset:128
	s_cbranch_scc1 .LBB80_80
; %bb.4:
	v_cmp_eq_u32_e64 s4, 0, v0
	s_and_saveexec_b32 s5, s4
; %bb.5:
	v_mov_b32_e32 v35, 0
	ds_write_b32 v35, v35 offset:136
; %bb.6:
	s_or_b32 exec_lo, exec_lo, s5
	v_lshl_add_u32 v39, v0, 3, 0
	s_waitcnt lgkmcnt(0)
	s_waitcnt_vscnt null, 0x0
	s_barrier
	buffer_gl0_inv
	s_clause 0x1
	buffer_load_dword v35, v39, s[0:3], 0 offen
	buffer_load_dword v36, v39, s[0:3], 0 offen offset:4
	s_waitcnt vmcnt(1)
	v_cmp_eq_f32_e32 vcc_lo, 0, v35
	s_waitcnt vmcnt(0)
	v_cmp_eq_f32_e64 s5, 0, v36
	s_and_b32 s5, vcc_lo, s5
	s_and_saveexec_b32 s8, s5
	s_cbranch_execz .LBB80_10
; %bb.7:
	v_mov_b32_e32 v35, 0
	s_mov_b32 s9, 0
	ds_read_b32 v36, v35 offset:136
	s_waitcnt lgkmcnt(0)
	v_readfirstlane_b32 s5, v36
	v_add_nc_u32_e32 v36, 1, v0
	s_cmp_eq_u32 s5, 0
	v_cmp_gt_i32_e32 vcc_lo, s5, v36
	s_cselect_b32 s14, -1, 0
	s_or_b32 s14, s14, vcc_lo
	s_and_b32 exec_lo, exec_lo, s14
	s_cbranch_execz .LBB80_10
; %bb.8:
	v_mov_b32_e32 v38, s5
.LBB80_9:                               ; =>This Inner Loop Header: Depth=1
	ds_cmpst_rtn_b32 v38, v35, v38, v36 offset:136
	s_waitcnt lgkmcnt(0)
	v_cmp_ne_u32_e32 vcc_lo, 0, v38
	v_cmp_le_i32_e64 s5, v38, v36
	s_and_b32 s5, vcc_lo, s5
	s_and_b32 s5, exec_lo, s5
	s_or_b32 s9, s5, s9
	s_andn2_b32 exec_lo, exec_lo, s9
	s_cbranch_execnz .LBB80_9
.LBB80_10:
	s_or_b32 exec_lo, exec_lo, s8
	v_mov_b32_e32 v35, 0
	s_barrier
	buffer_gl0_inv
	ds_read_b32 v36, v35 offset:136
	s_and_saveexec_b32 s5, s4
	s_cbranch_execz .LBB80_12
; %bb.11:
	s_lshl_b64 s[8:9], s[6:7], 2
	s_add_u32 s8, s10, s8
	s_addc_u32 s9, s11, s9
	s_waitcnt lgkmcnt(0)
	global_store_dword v35, v36, s[8:9]
.LBB80_12:
	s_or_b32 exec_lo, exec_lo, s5
	s_waitcnt lgkmcnt(0)
	v_cmp_ne_u32_e32 vcc_lo, 0, v36
	s_mov_b32 s5, 0
	s_cbranch_vccnz .LBB80_80
; %bb.13:
	s_clause 0x1
	buffer_load_dword v36, v39, s[0:3], 0 offen
	buffer_load_dword v38, v39, s[0:3], 0 offen offset:4
                                        ; implicit-def: $vgpr41
                                        ; implicit-def: $vgpr40
                                        ; implicit-def: $vgpr35
	s_waitcnt vmcnt(0)
	v_cmp_ngt_f32_e64 s5, |v36|, |v38|
	s_and_saveexec_b32 s8, s5
	s_xor_b32 s5, exec_lo, s8
	s_cbranch_execz .LBB80_15
; %bb.14:
	v_div_scale_f32 v35, null, v38, v38, v36
	v_div_scale_f32 v42, vcc_lo, v36, v38, v36
	v_rcp_f32_e32 v40, v35
	v_fma_f32 v41, -v35, v40, 1.0
	v_fmac_f32_e32 v40, v41, v40
	v_mul_f32_e32 v41, v42, v40
	v_fma_f32 v43, -v35, v41, v42
	v_fmac_f32_e32 v41, v43, v40
	v_fma_f32 v35, -v35, v41, v42
	v_div_fmas_f32 v35, v35, v40, v41
	v_div_fixup_f32 v35, v35, v38, v36
	v_fmac_f32_e32 v38, v36, v35
	v_div_scale_f32 v36, null, v38, v38, 1.0
	v_rcp_f32_e32 v40, v36
	v_fma_f32 v41, -v36, v40, 1.0
	v_fmac_f32_e32 v40, v41, v40
	v_div_scale_f32 v41, vcc_lo, 1.0, v38, 1.0
	v_mul_f32_e32 v42, v41, v40
	v_fma_f32 v43, -v36, v42, v41
	v_fmac_f32_e32 v42, v43, v40
	v_fma_f32 v36, -v36, v42, v41
	v_div_fmas_f32 v36, v36, v40, v42
	v_div_fixup_f32 v36, v36, v38, 1.0
                                        ; implicit-def: $vgpr38
	v_mul_f32_e32 v41, v35, v36
	v_xor_b32_e32 v40, 0x80000000, v36
                                        ; implicit-def: $vgpr36
	v_xor_b32_e32 v35, 0x80000000, v41
.LBB80_15:
	s_andn2_saveexec_b32 s5, s5
	s_cbranch_execz .LBB80_17
; %bb.16:
	v_div_scale_f32 v35, null, v36, v36, v38
	v_div_scale_f32 v42, vcc_lo, v38, v36, v38
	v_rcp_f32_e32 v40, v35
	v_fma_f32 v41, -v35, v40, 1.0
	v_fmac_f32_e32 v40, v41, v40
	v_mul_f32_e32 v41, v42, v40
	v_fma_f32 v43, -v35, v41, v42
	v_fmac_f32_e32 v41, v43, v40
	v_fma_f32 v35, -v35, v41, v42
	v_div_fmas_f32 v35, v35, v40, v41
	v_div_fixup_f32 v40, v35, v36, v38
	v_fmac_f32_e32 v36, v38, v40
	v_div_scale_f32 v35, null, v36, v36, 1.0
	v_div_scale_f32 v42, vcc_lo, 1.0, v36, 1.0
	v_rcp_f32_e32 v38, v35
	v_fma_f32 v41, -v35, v38, 1.0
	v_fmac_f32_e32 v38, v41, v38
	v_mul_f32_e32 v41, v42, v38
	v_fma_f32 v43, -v35, v41, v42
	v_fmac_f32_e32 v41, v43, v38
	v_fma_f32 v35, -v35, v41, v42
	v_div_fmas_f32 v35, v35, v38, v41
	v_div_fixup_f32 v41, v35, v36, 1.0
	v_xor_b32_e32 v35, 0x80000000, v41
	v_mul_f32_e64 v40, v40, -v41
.LBB80_17:
	s_or_b32 exec_lo, exec_lo, s5
	buffer_store_dword v41, v39, s[0:3], 0 offen
	buffer_store_dword v40, v39, s[0:3], 0 offen offset:4
	s_clause 0x1
	buffer_load_dword v42, off, s[0:3], 0 offset:12
	buffer_load_dword v41, off, s[0:3], 0 offset:8
	v_xor_b32_e32 v36, 0x80000000, v40
	v_add_nc_u32_e32 v38, 0x90, v37
	s_waitcnt vmcnt(0)
	ds_write2_b64 v37, v[35:36], v[41:42] offset1:18
	s_waitcnt lgkmcnt(0)
	s_waitcnt_vscnt null, 0x0
	s_barrier
	buffer_gl0_inv
	s_and_saveexec_b32 s5, s4
	s_cbranch_execz .LBB80_19
; %bb.18:
	s_clause 0x1
	buffer_load_dword v42, v39, s[0:3], 0 offen offset:4
	buffer_load_dword v43, v39, s[0:3], 0 offen
	ds_read_b64 v[35:36], v38
	v_mov_b32_e32 v40, 0
	ds_read_b64 v[40:41], v40 offset:8
	s_waitcnt vmcnt(1) lgkmcnt(1)
	v_mul_f32_e32 v44, v35, v42
	v_mul_f32_e32 v42, v36, v42
	s_waitcnt vmcnt(0)
	v_fmac_f32_e32 v44, v36, v43
	v_fma_f32 v35, v35, v43, -v42
	v_add_f32_e32 v36, 0, v44
	v_add_f32_e32 v35, 0, v35
	s_waitcnt lgkmcnt(0)
	v_mul_f32_e32 v42, v36, v41
	v_mul_f32_e32 v41, v35, v41
	v_fma_f32 v35, v35, v40, -v42
	v_fmac_f32_e32 v41, v36, v40
	buffer_store_dword v35, off, s[0:3], 0 offset:8
	buffer_store_dword v41, off, s[0:3], 0 offset:12
.LBB80_19:
	s_or_b32 exec_lo, exec_lo, s5
	s_waitcnt_vscnt null, 0x0
	s_barrier
	buffer_gl0_inv
	s_clause 0x1
	buffer_load_dword v35, off, s[0:3], 0 offset:16
	buffer_load_dword v36, off, s[0:3], 0 offset:20
	s_mov_b32 s5, exec_lo
	s_waitcnt vmcnt(0)
	ds_write_b64 v38, v[35:36]
	s_waitcnt lgkmcnt(0)
	s_barrier
	buffer_gl0_inv
	v_cmpx_gt_u32_e32 2, v0
	s_cbranch_execz .LBB80_23
; %bb.20:
	s_clause 0x1
	buffer_load_dword v40, v39, s[0:3], 0 offen offset:4
	buffer_load_dword v39, v39, s[0:3], 0 offen
	ds_read_b64 v[35:36], v38
	s_waitcnt vmcnt(1) lgkmcnt(0)
	v_mul_f32_e32 v41, v36, v40
	v_mul_f32_e32 v40, v35, v40
	s_waitcnt vmcnt(0)
	v_fma_f32 v35, v35, v39, -v41
	v_fmac_f32_e32 v40, v36, v39
	v_add_f32_e32 v36, 0, v35
	v_add_f32_e32 v35, 0, v40
	s_and_saveexec_b32 s8, s4
	s_cbranch_execz .LBB80_22
; %bb.21:
	s_clause 0x1
	buffer_load_dword v41, off, s[0:3], 0 offset:12
	buffer_load_dword v42, off, s[0:3], 0 offset:8
	v_mov_b32_e32 v39, 0
	ds_read_b64 v[39:40], v39 offset:152
	s_waitcnt vmcnt(1) lgkmcnt(0)
	v_mul_f32_e32 v43, v39, v41
	v_mul_f32_e32 v41, v40, v41
	s_waitcnt vmcnt(0)
	v_fmac_f32_e32 v43, v40, v42
	v_fma_f32 v39, v39, v42, -v41
	v_add_f32_e32 v35, v35, v43
	v_add_f32_e32 v36, v36, v39
.LBB80_22:
	s_or_b32 exec_lo, exec_lo, s8
	v_mov_b32_e32 v39, 0
	ds_read_b64 v[39:40], v39 offset:16
	s_waitcnt lgkmcnt(0)
	v_mul_f32_e32 v41, v35, v40
	v_mul_f32_e32 v40, v36, v40
	v_fma_f32 v36, v36, v39, -v41
	v_fmac_f32_e32 v40, v35, v39
	buffer_store_dword v36, off, s[0:3], 0 offset:16
	buffer_store_dword v40, off, s[0:3], 0 offset:20
.LBB80_23:
	s_or_b32 exec_lo, exec_lo, s5
	s_waitcnt_vscnt null, 0x0
	s_barrier
	buffer_gl0_inv
	s_clause 0x1
	buffer_load_dword v39, off, s[0:3], 0 offset:24
	buffer_load_dword v40, off, s[0:3], 0 offset:28
	v_add_nc_u32_e32 v35, -1, v0
	s_mov_b32 s4, exec_lo
	s_waitcnt vmcnt(0)
	ds_write_b64 v38, v[39:40]
	s_waitcnt lgkmcnt(0)
	s_barrier
	buffer_gl0_inv
	v_cmpx_gt_u32_e32 3, v0
	s_cbranch_execz .LBB80_27
; %bb.24:
	v_add_nc_u32_e32 v39, -1, v0
	v_add_nc_u32_e32 v40, 0x90, v37
	v_mov_b32_e32 v41, v37
	v_mov_b32_e32 v36, 0
	;; [unrolled: 1-line block ×3, first 2 shown]
	s_mov_b32 s5, 0
	.p2align	6
.LBB80_25:                              ; =>This Inner Loop Header: Depth=1
	s_clause 0x1
	buffer_load_dword v45, v41, s[0:3], 0 offen offset:4
	buffer_load_dword v46, v41, s[0:3], 0 offen
	ds_read_b64 v[43:44], v40
	v_add_nc_u32_e32 v39, 1, v39
	v_add_nc_u32_e32 v40, 8, v40
	;; [unrolled: 1-line block ×3, first 2 shown]
	v_cmp_lt_u32_e32 vcc_lo, 1, v39
	s_or_b32 s5, vcc_lo, s5
	s_waitcnt vmcnt(1) lgkmcnt(0)
	v_mul_f32_e32 v47, v44, v45
	v_mul_f32_e32 v45, v43, v45
	s_waitcnt vmcnt(0)
	v_fma_f32 v43, v43, v46, -v47
	v_fmac_f32_e32 v45, v44, v46
	v_add_f32_e32 v42, v42, v43
	v_add_f32_e32 v36, v36, v45
	s_andn2_b32 exec_lo, exec_lo, s5
	s_cbranch_execnz .LBB80_25
; %bb.26:
	s_or_b32 exec_lo, exec_lo, s5
	v_mov_b32_e32 v39, 0
	ds_read_b64 v[39:40], v39 offset:24
	s_waitcnt lgkmcnt(0)
	v_mul_f32_e32 v41, v36, v40
	v_mul_f32_e32 v40, v42, v40
	v_fma_f32 v41, v42, v39, -v41
	v_fmac_f32_e32 v40, v36, v39
	buffer_store_dword v41, off, s[0:3], 0 offset:24
	buffer_store_dword v40, off, s[0:3], 0 offset:28
.LBB80_27:
	s_or_b32 exec_lo, exec_lo, s4
	s_waitcnt_vscnt null, 0x0
	s_barrier
	buffer_gl0_inv
	s_clause 0x1
	buffer_load_dword v39, off, s[0:3], 0 offset:32
	buffer_load_dword v40, off, s[0:3], 0 offset:36
	s_mov_b32 s4, exec_lo
	s_waitcnt vmcnt(0)
	ds_write_b64 v38, v[39:40]
	s_waitcnt lgkmcnt(0)
	s_barrier
	buffer_gl0_inv
	v_cmpx_gt_u32_e32 4, v0
	s_cbranch_execz .LBB80_31
; %bb.28:
	v_add_nc_u32_e32 v39, -1, v0
	v_add_nc_u32_e32 v40, 0x90, v37
	v_mov_b32_e32 v41, v37
	v_mov_b32_e32 v36, 0
	;; [unrolled: 1-line block ×3, first 2 shown]
	s_mov_b32 s5, 0
	.p2align	6
.LBB80_29:                              ; =>This Inner Loop Header: Depth=1
	s_clause 0x1
	buffer_load_dword v45, v41, s[0:3], 0 offen offset:4
	buffer_load_dword v46, v41, s[0:3], 0 offen
	ds_read_b64 v[43:44], v40
	v_add_nc_u32_e32 v39, 1, v39
	v_add_nc_u32_e32 v40, 8, v40
	;; [unrolled: 1-line block ×3, first 2 shown]
	v_cmp_lt_u32_e32 vcc_lo, 2, v39
	s_or_b32 s5, vcc_lo, s5
	s_waitcnt vmcnt(1) lgkmcnt(0)
	v_mul_f32_e32 v47, v44, v45
	v_mul_f32_e32 v45, v43, v45
	s_waitcnt vmcnt(0)
	v_fma_f32 v43, v43, v46, -v47
	v_fmac_f32_e32 v45, v44, v46
	v_add_f32_e32 v42, v42, v43
	v_add_f32_e32 v36, v36, v45
	s_andn2_b32 exec_lo, exec_lo, s5
	s_cbranch_execnz .LBB80_29
; %bb.30:
	s_or_b32 exec_lo, exec_lo, s5
	v_mov_b32_e32 v39, 0
	ds_read_b64 v[39:40], v39 offset:32
	s_waitcnt lgkmcnt(0)
	v_mul_f32_e32 v41, v36, v40
	v_mul_f32_e32 v40, v42, v40
	v_fma_f32 v41, v42, v39, -v41
	v_fmac_f32_e32 v40, v36, v39
	buffer_store_dword v41, off, s[0:3], 0 offset:32
	buffer_store_dword v40, off, s[0:3], 0 offset:36
.LBB80_31:
	s_or_b32 exec_lo, exec_lo, s4
	s_waitcnt_vscnt null, 0x0
	s_barrier
	buffer_gl0_inv
	s_clause 0x1
	buffer_load_dword v39, off, s[0:3], 0 offset:40
	buffer_load_dword v40, off, s[0:3], 0 offset:44
	s_mov_b32 s4, exec_lo
	s_waitcnt vmcnt(0)
	ds_write_b64 v38, v[39:40]
	s_waitcnt lgkmcnt(0)
	s_barrier
	buffer_gl0_inv
	v_cmpx_gt_u32_e32 5, v0
	s_cbranch_execz .LBB80_35
; %bb.32:
	v_add_nc_u32_e32 v39, -1, v0
	v_add_nc_u32_e32 v40, 0x90, v37
	v_mov_b32_e32 v41, v37
	v_mov_b32_e32 v36, 0
	;; [unrolled: 1-line block ×3, first 2 shown]
	s_mov_b32 s5, 0
	.p2align	6
.LBB80_33:                              ; =>This Inner Loop Header: Depth=1
	s_clause 0x1
	buffer_load_dword v45, v41, s[0:3], 0 offen offset:4
	buffer_load_dword v46, v41, s[0:3], 0 offen
	ds_read_b64 v[43:44], v40
	v_add_nc_u32_e32 v39, 1, v39
	v_add_nc_u32_e32 v40, 8, v40
	;; [unrolled: 1-line block ×3, first 2 shown]
	v_cmp_lt_u32_e32 vcc_lo, 3, v39
	s_or_b32 s5, vcc_lo, s5
	s_waitcnt vmcnt(1) lgkmcnt(0)
	v_mul_f32_e32 v47, v44, v45
	v_mul_f32_e32 v45, v43, v45
	s_waitcnt vmcnt(0)
	v_fma_f32 v43, v43, v46, -v47
	v_fmac_f32_e32 v45, v44, v46
	v_add_f32_e32 v42, v42, v43
	v_add_f32_e32 v36, v36, v45
	s_andn2_b32 exec_lo, exec_lo, s5
	s_cbranch_execnz .LBB80_33
; %bb.34:
	s_or_b32 exec_lo, exec_lo, s5
	v_mov_b32_e32 v39, 0
	ds_read_b64 v[39:40], v39 offset:40
	s_waitcnt lgkmcnt(0)
	v_mul_f32_e32 v41, v36, v40
	v_mul_f32_e32 v40, v42, v40
	v_fma_f32 v41, v42, v39, -v41
	v_fmac_f32_e32 v40, v36, v39
	buffer_store_dword v41, off, s[0:3], 0 offset:40
	buffer_store_dword v40, off, s[0:3], 0 offset:44
.LBB80_35:
	s_or_b32 exec_lo, exec_lo, s4
	s_waitcnt_vscnt null, 0x0
	s_barrier
	buffer_gl0_inv
	s_clause 0x1
	buffer_load_dword v39, off, s[0:3], 0 offset:48
	buffer_load_dword v40, off, s[0:3], 0 offset:52
	s_mov_b32 s4, exec_lo
	s_waitcnt vmcnt(0)
	ds_write_b64 v38, v[39:40]
	s_waitcnt lgkmcnt(0)
	s_barrier
	buffer_gl0_inv
	v_cmpx_gt_u32_e32 6, v0
	s_cbranch_execz .LBB80_39
; %bb.36:
	v_add_nc_u32_e32 v39, -1, v0
	v_add_nc_u32_e32 v40, 0x90, v37
	v_mov_b32_e32 v41, v37
	v_mov_b32_e32 v36, 0
	;; [unrolled: 1-line block ×3, first 2 shown]
	s_mov_b32 s5, 0
	.p2align	6
.LBB80_37:                              ; =>This Inner Loop Header: Depth=1
	s_clause 0x1
	buffer_load_dword v45, v41, s[0:3], 0 offen offset:4
	buffer_load_dword v46, v41, s[0:3], 0 offen
	ds_read_b64 v[43:44], v40
	v_add_nc_u32_e32 v39, 1, v39
	v_add_nc_u32_e32 v40, 8, v40
	;; [unrolled: 1-line block ×3, first 2 shown]
	v_cmp_lt_u32_e32 vcc_lo, 4, v39
	s_or_b32 s5, vcc_lo, s5
	s_waitcnt vmcnt(1) lgkmcnt(0)
	v_mul_f32_e32 v47, v44, v45
	v_mul_f32_e32 v45, v43, v45
	s_waitcnt vmcnt(0)
	v_fma_f32 v43, v43, v46, -v47
	v_fmac_f32_e32 v45, v44, v46
	v_add_f32_e32 v42, v42, v43
	v_add_f32_e32 v36, v36, v45
	s_andn2_b32 exec_lo, exec_lo, s5
	s_cbranch_execnz .LBB80_37
; %bb.38:
	s_or_b32 exec_lo, exec_lo, s5
	v_mov_b32_e32 v39, 0
	ds_read_b64 v[39:40], v39 offset:48
	s_waitcnt lgkmcnt(0)
	v_mul_f32_e32 v41, v36, v40
	v_mul_f32_e32 v40, v42, v40
	v_fma_f32 v41, v42, v39, -v41
	v_fmac_f32_e32 v40, v36, v39
	buffer_store_dword v41, off, s[0:3], 0 offset:48
	buffer_store_dword v40, off, s[0:3], 0 offset:52
.LBB80_39:
	s_or_b32 exec_lo, exec_lo, s4
	s_waitcnt_vscnt null, 0x0
	s_barrier
	buffer_gl0_inv
	s_clause 0x1
	buffer_load_dword v39, off, s[0:3], 0 offset:56
	buffer_load_dword v40, off, s[0:3], 0 offset:60
	s_mov_b32 s4, exec_lo
	s_waitcnt vmcnt(0)
	ds_write_b64 v38, v[39:40]
	s_waitcnt lgkmcnt(0)
	s_barrier
	buffer_gl0_inv
	v_cmpx_gt_u32_e32 7, v0
	s_cbranch_execz .LBB80_43
; %bb.40:
	v_add_nc_u32_e32 v39, -1, v0
	v_add_nc_u32_e32 v40, 0x90, v37
	v_mov_b32_e32 v41, v37
	v_mov_b32_e32 v36, 0
	;; [unrolled: 1-line block ×3, first 2 shown]
	s_mov_b32 s5, 0
	.p2align	6
.LBB80_41:                              ; =>This Inner Loop Header: Depth=1
	s_clause 0x1
	buffer_load_dword v45, v41, s[0:3], 0 offen offset:4
	buffer_load_dword v46, v41, s[0:3], 0 offen
	ds_read_b64 v[43:44], v40
	v_add_nc_u32_e32 v39, 1, v39
	v_add_nc_u32_e32 v40, 8, v40
	;; [unrolled: 1-line block ×3, first 2 shown]
	v_cmp_lt_u32_e32 vcc_lo, 5, v39
	s_or_b32 s5, vcc_lo, s5
	s_waitcnt vmcnt(1) lgkmcnt(0)
	v_mul_f32_e32 v47, v44, v45
	v_mul_f32_e32 v45, v43, v45
	s_waitcnt vmcnt(0)
	v_fma_f32 v43, v43, v46, -v47
	v_fmac_f32_e32 v45, v44, v46
	v_add_f32_e32 v42, v42, v43
	v_add_f32_e32 v36, v36, v45
	s_andn2_b32 exec_lo, exec_lo, s5
	s_cbranch_execnz .LBB80_41
; %bb.42:
	s_or_b32 exec_lo, exec_lo, s5
	v_mov_b32_e32 v39, 0
	ds_read_b64 v[39:40], v39 offset:56
	s_waitcnt lgkmcnt(0)
	v_mul_f32_e32 v41, v36, v40
	v_mul_f32_e32 v40, v42, v40
	v_fma_f32 v41, v42, v39, -v41
	v_fmac_f32_e32 v40, v36, v39
	buffer_store_dword v41, off, s[0:3], 0 offset:56
	buffer_store_dword v40, off, s[0:3], 0 offset:60
.LBB80_43:
	s_or_b32 exec_lo, exec_lo, s4
	s_waitcnt_vscnt null, 0x0
	s_barrier
	buffer_gl0_inv
	s_clause 0x1
	buffer_load_dword v39, off, s[0:3], 0 offset:64
	buffer_load_dword v40, off, s[0:3], 0 offset:68
	s_mov_b32 s4, exec_lo
	s_waitcnt vmcnt(0)
	ds_write_b64 v38, v[39:40]
	s_waitcnt lgkmcnt(0)
	s_barrier
	buffer_gl0_inv
	v_cmpx_gt_u32_e32 8, v0
	s_cbranch_execz .LBB80_47
; %bb.44:
	v_add_nc_u32_e32 v39, -1, v0
	v_add_nc_u32_e32 v40, 0x90, v37
	v_mov_b32_e32 v41, v37
	v_mov_b32_e32 v36, 0
	;; [unrolled: 1-line block ×3, first 2 shown]
	s_mov_b32 s5, 0
	.p2align	6
.LBB80_45:                              ; =>This Inner Loop Header: Depth=1
	s_clause 0x1
	buffer_load_dword v45, v41, s[0:3], 0 offen offset:4
	buffer_load_dword v46, v41, s[0:3], 0 offen
	ds_read_b64 v[43:44], v40
	v_add_nc_u32_e32 v39, 1, v39
	v_add_nc_u32_e32 v40, 8, v40
	;; [unrolled: 1-line block ×3, first 2 shown]
	v_cmp_lt_u32_e32 vcc_lo, 6, v39
	s_or_b32 s5, vcc_lo, s5
	s_waitcnt vmcnt(1) lgkmcnt(0)
	v_mul_f32_e32 v47, v44, v45
	v_mul_f32_e32 v45, v43, v45
	s_waitcnt vmcnt(0)
	v_fma_f32 v43, v43, v46, -v47
	v_fmac_f32_e32 v45, v44, v46
	v_add_f32_e32 v42, v42, v43
	v_add_f32_e32 v36, v36, v45
	s_andn2_b32 exec_lo, exec_lo, s5
	s_cbranch_execnz .LBB80_45
; %bb.46:
	s_or_b32 exec_lo, exec_lo, s5
	v_mov_b32_e32 v39, 0
	ds_read_b64 v[39:40], v39 offset:64
	s_waitcnt lgkmcnt(0)
	v_mul_f32_e32 v41, v36, v40
	v_mul_f32_e32 v40, v42, v40
	v_fma_f32 v41, v42, v39, -v41
	v_fmac_f32_e32 v40, v36, v39
	buffer_store_dword v41, off, s[0:3], 0 offset:64
	buffer_store_dword v40, off, s[0:3], 0 offset:68
.LBB80_47:
	s_or_b32 exec_lo, exec_lo, s4
	s_waitcnt_vscnt null, 0x0
	s_barrier
	buffer_gl0_inv
	s_clause 0x1
	buffer_load_dword v39, off, s[0:3], 0 offset:72
	buffer_load_dword v40, off, s[0:3], 0 offset:76
	s_mov_b32 s4, exec_lo
	s_waitcnt vmcnt(0)
	ds_write_b64 v38, v[39:40]
	s_waitcnt lgkmcnt(0)
	s_barrier
	buffer_gl0_inv
	v_cmpx_gt_u32_e32 9, v0
	s_cbranch_execz .LBB80_51
; %bb.48:
	v_add_nc_u32_e32 v39, -1, v0
	v_add_nc_u32_e32 v40, 0x90, v37
	v_mov_b32_e32 v41, v37
	v_mov_b32_e32 v36, 0
	v_mov_b32_e32 v42, 0
	s_mov_b32 s5, 0
	.p2align	6
.LBB80_49:                              ; =>This Inner Loop Header: Depth=1
	s_clause 0x1
	buffer_load_dword v45, v41, s[0:3], 0 offen offset:4
	buffer_load_dword v46, v41, s[0:3], 0 offen
	ds_read_b64 v[43:44], v40
	v_add_nc_u32_e32 v39, 1, v39
	v_add_nc_u32_e32 v40, 8, v40
	;; [unrolled: 1-line block ×3, first 2 shown]
	v_cmp_lt_u32_e32 vcc_lo, 7, v39
	s_or_b32 s5, vcc_lo, s5
	s_waitcnt vmcnt(1) lgkmcnt(0)
	v_mul_f32_e32 v47, v44, v45
	v_mul_f32_e32 v45, v43, v45
	s_waitcnt vmcnt(0)
	v_fma_f32 v43, v43, v46, -v47
	v_fmac_f32_e32 v45, v44, v46
	v_add_f32_e32 v42, v42, v43
	v_add_f32_e32 v36, v36, v45
	s_andn2_b32 exec_lo, exec_lo, s5
	s_cbranch_execnz .LBB80_49
; %bb.50:
	s_or_b32 exec_lo, exec_lo, s5
	v_mov_b32_e32 v39, 0
	ds_read_b64 v[39:40], v39 offset:72
	s_waitcnt lgkmcnt(0)
	v_mul_f32_e32 v41, v36, v40
	v_mul_f32_e32 v40, v42, v40
	v_fma_f32 v41, v42, v39, -v41
	v_fmac_f32_e32 v40, v36, v39
	buffer_store_dword v41, off, s[0:3], 0 offset:72
	buffer_store_dword v40, off, s[0:3], 0 offset:76
.LBB80_51:
	s_or_b32 exec_lo, exec_lo, s4
	s_waitcnt_vscnt null, 0x0
	s_barrier
	buffer_gl0_inv
	s_clause 0x1
	buffer_load_dword v39, off, s[0:3], 0 offset:80
	buffer_load_dword v40, off, s[0:3], 0 offset:84
	s_mov_b32 s4, exec_lo
	s_waitcnt vmcnt(0)
	ds_write_b64 v38, v[39:40]
	s_waitcnt lgkmcnt(0)
	s_barrier
	buffer_gl0_inv
	v_cmpx_gt_u32_e32 10, v0
	s_cbranch_execz .LBB80_55
; %bb.52:
	v_add_nc_u32_e32 v39, -1, v0
	v_add_nc_u32_e32 v40, 0x90, v37
	v_mov_b32_e32 v41, v37
	v_mov_b32_e32 v36, 0
	;; [unrolled: 1-line block ×3, first 2 shown]
	s_mov_b32 s5, 0
	.p2align	6
.LBB80_53:                              ; =>This Inner Loop Header: Depth=1
	s_clause 0x1
	buffer_load_dword v45, v41, s[0:3], 0 offen offset:4
	buffer_load_dword v46, v41, s[0:3], 0 offen
	ds_read_b64 v[43:44], v40
	v_add_nc_u32_e32 v39, 1, v39
	v_add_nc_u32_e32 v40, 8, v40
	;; [unrolled: 1-line block ×3, first 2 shown]
	v_cmp_lt_u32_e32 vcc_lo, 8, v39
	s_or_b32 s5, vcc_lo, s5
	s_waitcnt vmcnt(1) lgkmcnt(0)
	v_mul_f32_e32 v47, v44, v45
	v_mul_f32_e32 v45, v43, v45
	s_waitcnt vmcnt(0)
	v_fma_f32 v43, v43, v46, -v47
	v_fmac_f32_e32 v45, v44, v46
	v_add_f32_e32 v42, v42, v43
	v_add_f32_e32 v36, v36, v45
	s_andn2_b32 exec_lo, exec_lo, s5
	s_cbranch_execnz .LBB80_53
; %bb.54:
	s_or_b32 exec_lo, exec_lo, s5
	v_mov_b32_e32 v39, 0
	ds_read_b64 v[39:40], v39 offset:80
	s_waitcnt lgkmcnt(0)
	v_mul_f32_e32 v41, v36, v40
	v_mul_f32_e32 v40, v42, v40
	v_fma_f32 v41, v42, v39, -v41
	v_fmac_f32_e32 v40, v36, v39
	buffer_store_dword v41, off, s[0:3], 0 offset:80
	buffer_store_dword v40, off, s[0:3], 0 offset:84
.LBB80_55:
	s_or_b32 exec_lo, exec_lo, s4
	s_waitcnt_vscnt null, 0x0
	s_barrier
	buffer_gl0_inv
	s_clause 0x1
	buffer_load_dword v39, off, s[0:3], 0 offset:88
	buffer_load_dword v40, off, s[0:3], 0 offset:92
	s_mov_b32 s4, exec_lo
	s_waitcnt vmcnt(0)
	ds_write_b64 v38, v[39:40]
	s_waitcnt lgkmcnt(0)
	s_barrier
	buffer_gl0_inv
	v_cmpx_gt_u32_e32 11, v0
	s_cbranch_execz .LBB80_59
; %bb.56:
	v_add_nc_u32_e32 v39, -1, v0
	v_add_nc_u32_e32 v40, 0x90, v37
	v_mov_b32_e32 v41, v37
	v_mov_b32_e32 v36, 0
	;; [unrolled: 1-line block ×3, first 2 shown]
	s_mov_b32 s5, 0
	.p2align	6
.LBB80_57:                              ; =>This Inner Loop Header: Depth=1
	s_clause 0x1
	buffer_load_dword v45, v41, s[0:3], 0 offen offset:4
	buffer_load_dword v46, v41, s[0:3], 0 offen
	ds_read_b64 v[43:44], v40
	v_add_nc_u32_e32 v39, 1, v39
	v_add_nc_u32_e32 v40, 8, v40
	v_add_nc_u32_e32 v41, 8, v41
	v_cmp_lt_u32_e32 vcc_lo, 9, v39
	s_or_b32 s5, vcc_lo, s5
	s_waitcnt vmcnt(1) lgkmcnt(0)
	v_mul_f32_e32 v47, v44, v45
	v_mul_f32_e32 v45, v43, v45
	s_waitcnt vmcnt(0)
	v_fma_f32 v43, v43, v46, -v47
	v_fmac_f32_e32 v45, v44, v46
	v_add_f32_e32 v42, v42, v43
	v_add_f32_e32 v36, v36, v45
	s_andn2_b32 exec_lo, exec_lo, s5
	s_cbranch_execnz .LBB80_57
; %bb.58:
	s_or_b32 exec_lo, exec_lo, s5
	v_mov_b32_e32 v39, 0
	ds_read_b64 v[39:40], v39 offset:88
	s_waitcnt lgkmcnt(0)
	v_mul_f32_e32 v41, v36, v40
	v_mul_f32_e32 v40, v42, v40
	v_fma_f32 v41, v42, v39, -v41
	v_fmac_f32_e32 v40, v36, v39
	buffer_store_dword v41, off, s[0:3], 0 offset:88
	buffer_store_dword v40, off, s[0:3], 0 offset:92
.LBB80_59:
	s_or_b32 exec_lo, exec_lo, s4
	s_waitcnt_vscnt null, 0x0
	s_barrier
	buffer_gl0_inv
	s_clause 0x1
	buffer_load_dword v39, off, s[0:3], 0 offset:96
	buffer_load_dword v40, off, s[0:3], 0 offset:100
	s_mov_b32 s4, exec_lo
	s_waitcnt vmcnt(0)
	ds_write_b64 v38, v[39:40]
	s_waitcnt lgkmcnt(0)
	s_barrier
	buffer_gl0_inv
	v_cmpx_gt_u32_e32 12, v0
	s_cbranch_execz .LBB80_63
; %bb.60:
	v_add_nc_u32_e32 v39, -1, v0
	v_add_nc_u32_e32 v40, 0x90, v37
	v_mov_b32_e32 v41, v37
	v_mov_b32_e32 v36, 0
	v_mov_b32_e32 v42, 0
	s_mov_b32 s5, 0
	.p2align	6
.LBB80_61:                              ; =>This Inner Loop Header: Depth=1
	s_clause 0x1
	buffer_load_dword v45, v41, s[0:3], 0 offen offset:4
	buffer_load_dword v46, v41, s[0:3], 0 offen
	ds_read_b64 v[43:44], v40
	v_add_nc_u32_e32 v39, 1, v39
	v_add_nc_u32_e32 v40, 8, v40
	;; [unrolled: 1-line block ×3, first 2 shown]
	v_cmp_lt_u32_e32 vcc_lo, 10, v39
	s_or_b32 s5, vcc_lo, s5
	s_waitcnt vmcnt(1) lgkmcnt(0)
	v_mul_f32_e32 v47, v44, v45
	v_mul_f32_e32 v45, v43, v45
	s_waitcnt vmcnt(0)
	v_fma_f32 v43, v43, v46, -v47
	v_fmac_f32_e32 v45, v44, v46
	v_add_f32_e32 v42, v42, v43
	v_add_f32_e32 v36, v36, v45
	s_andn2_b32 exec_lo, exec_lo, s5
	s_cbranch_execnz .LBB80_61
; %bb.62:
	s_or_b32 exec_lo, exec_lo, s5
	v_mov_b32_e32 v39, 0
	ds_read_b64 v[39:40], v39 offset:96
	s_waitcnt lgkmcnt(0)
	v_mul_f32_e32 v41, v36, v40
	v_mul_f32_e32 v40, v42, v40
	v_fma_f32 v41, v42, v39, -v41
	v_fmac_f32_e32 v40, v36, v39
	buffer_store_dword v41, off, s[0:3], 0 offset:96
	buffer_store_dword v40, off, s[0:3], 0 offset:100
.LBB80_63:
	s_or_b32 exec_lo, exec_lo, s4
	s_waitcnt_vscnt null, 0x0
	s_barrier
	buffer_gl0_inv
	s_clause 0x1
	buffer_load_dword v39, off, s[0:3], 0 offset:104
	buffer_load_dword v40, off, s[0:3], 0 offset:108
	s_mov_b32 s4, exec_lo
	s_waitcnt vmcnt(0)
	ds_write_b64 v38, v[39:40]
	s_waitcnt lgkmcnt(0)
	s_barrier
	buffer_gl0_inv
	v_cmpx_gt_u32_e32 13, v0
	s_cbranch_execz .LBB80_67
; %bb.64:
	v_add_nc_u32_e32 v39, -1, v0
	v_add_nc_u32_e32 v40, 0x90, v37
	v_mov_b32_e32 v41, v37
	v_mov_b32_e32 v36, 0
	;; [unrolled: 1-line block ×3, first 2 shown]
	s_mov_b32 s5, 0
	.p2align	6
.LBB80_65:                              ; =>This Inner Loop Header: Depth=1
	s_clause 0x1
	buffer_load_dword v45, v41, s[0:3], 0 offen offset:4
	buffer_load_dword v46, v41, s[0:3], 0 offen
	ds_read_b64 v[43:44], v40
	v_add_nc_u32_e32 v39, 1, v39
	v_add_nc_u32_e32 v40, 8, v40
	v_add_nc_u32_e32 v41, 8, v41
	v_cmp_lt_u32_e32 vcc_lo, 11, v39
	s_or_b32 s5, vcc_lo, s5
	s_waitcnt vmcnt(1) lgkmcnt(0)
	v_mul_f32_e32 v47, v44, v45
	v_mul_f32_e32 v45, v43, v45
	s_waitcnt vmcnt(0)
	v_fma_f32 v43, v43, v46, -v47
	v_fmac_f32_e32 v45, v44, v46
	v_add_f32_e32 v42, v42, v43
	v_add_f32_e32 v36, v36, v45
	s_andn2_b32 exec_lo, exec_lo, s5
	s_cbranch_execnz .LBB80_65
; %bb.66:
	s_or_b32 exec_lo, exec_lo, s5
	v_mov_b32_e32 v39, 0
	ds_read_b64 v[39:40], v39 offset:104
	s_waitcnt lgkmcnt(0)
	v_mul_f32_e32 v41, v36, v40
	v_mul_f32_e32 v40, v42, v40
	v_fma_f32 v41, v42, v39, -v41
	v_fmac_f32_e32 v40, v36, v39
	buffer_store_dword v41, off, s[0:3], 0 offset:104
	buffer_store_dword v40, off, s[0:3], 0 offset:108
.LBB80_67:
	s_or_b32 exec_lo, exec_lo, s4
	s_waitcnt_vscnt null, 0x0
	s_barrier
	buffer_gl0_inv
	s_clause 0x1
	buffer_load_dword v39, off, s[0:3], 0 offset:112
	buffer_load_dword v40, off, s[0:3], 0 offset:116
	s_mov_b32 s4, exec_lo
	s_waitcnt vmcnt(0)
	ds_write_b64 v38, v[39:40]
	s_waitcnt lgkmcnt(0)
	s_barrier
	buffer_gl0_inv
	v_cmpx_gt_u32_e32 14, v0
	s_cbranch_execz .LBB80_71
; %bb.68:
	v_add_nc_u32_e32 v39, -1, v0
	v_add_nc_u32_e32 v40, 0x90, v37
	v_mov_b32_e32 v41, v37
	v_mov_b32_e32 v36, 0
	;; [unrolled: 1-line block ×3, first 2 shown]
	s_mov_b32 s5, 0
	.p2align	6
.LBB80_69:                              ; =>This Inner Loop Header: Depth=1
	s_clause 0x1
	buffer_load_dword v45, v41, s[0:3], 0 offen offset:4
	buffer_load_dword v46, v41, s[0:3], 0 offen
	ds_read_b64 v[43:44], v40
	v_add_nc_u32_e32 v39, 1, v39
	v_add_nc_u32_e32 v40, 8, v40
	v_add_nc_u32_e32 v41, 8, v41
	v_cmp_lt_u32_e32 vcc_lo, 12, v39
	s_or_b32 s5, vcc_lo, s5
	s_waitcnt vmcnt(1) lgkmcnt(0)
	v_mul_f32_e32 v47, v44, v45
	v_mul_f32_e32 v45, v43, v45
	s_waitcnt vmcnt(0)
	v_fma_f32 v43, v43, v46, -v47
	v_fmac_f32_e32 v45, v44, v46
	v_add_f32_e32 v42, v42, v43
	v_add_f32_e32 v36, v36, v45
	s_andn2_b32 exec_lo, exec_lo, s5
	s_cbranch_execnz .LBB80_69
; %bb.70:
	s_or_b32 exec_lo, exec_lo, s5
	v_mov_b32_e32 v39, 0
	ds_read_b64 v[39:40], v39 offset:112
	s_waitcnt lgkmcnt(0)
	v_mul_f32_e32 v41, v36, v40
	v_mul_f32_e32 v40, v42, v40
	v_fma_f32 v41, v42, v39, -v41
	v_fmac_f32_e32 v40, v36, v39
	buffer_store_dword v41, off, s[0:3], 0 offset:112
	buffer_store_dword v40, off, s[0:3], 0 offset:116
.LBB80_71:
	s_or_b32 exec_lo, exec_lo, s4
	s_waitcnt_vscnt null, 0x0
	s_barrier
	buffer_gl0_inv
	s_clause 0x1
	buffer_load_dword v39, off, s[0:3], 0 offset:120
	buffer_load_dword v40, off, s[0:3], 0 offset:124
	s_mov_b32 s4, exec_lo
	s_waitcnt vmcnt(0)
	ds_write_b64 v38, v[39:40]
	s_waitcnt lgkmcnt(0)
	s_barrier
	buffer_gl0_inv
	v_cmpx_gt_u32_e32 15, v0
	s_cbranch_execz .LBB80_75
; %bb.72:
	v_add_nc_u32_e32 v39, -1, v0
	v_add_nc_u32_e32 v40, 0x90, v37
	v_mov_b32_e32 v41, v37
	v_mov_b32_e32 v36, 0
	v_mov_b32_e32 v42, 0
	s_mov_b32 s5, 0
	.p2align	6
.LBB80_73:                              ; =>This Inner Loop Header: Depth=1
	s_clause 0x1
	buffer_load_dword v45, v41, s[0:3], 0 offen offset:4
	buffer_load_dword v46, v41, s[0:3], 0 offen
	ds_read_b64 v[43:44], v40
	v_add_nc_u32_e32 v39, 1, v39
	v_add_nc_u32_e32 v40, 8, v40
	;; [unrolled: 1-line block ×3, first 2 shown]
	v_cmp_lt_u32_e32 vcc_lo, 13, v39
	s_or_b32 s5, vcc_lo, s5
	s_waitcnt vmcnt(1) lgkmcnt(0)
	v_mul_f32_e32 v47, v44, v45
	v_mul_f32_e32 v45, v43, v45
	s_waitcnt vmcnt(0)
	v_fma_f32 v43, v43, v46, -v47
	v_fmac_f32_e32 v45, v44, v46
	v_add_f32_e32 v42, v42, v43
	v_add_f32_e32 v36, v36, v45
	s_andn2_b32 exec_lo, exec_lo, s5
	s_cbranch_execnz .LBB80_73
; %bb.74:
	s_or_b32 exec_lo, exec_lo, s5
	v_mov_b32_e32 v39, 0
	ds_read_b64 v[39:40], v39 offset:120
	s_waitcnt lgkmcnt(0)
	v_mul_f32_e32 v41, v36, v40
	v_mul_f32_e32 v40, v42, v40
	v_fma_f32 v41, v42, v39, -v41
	v_fmac_f32_e32 v40, v36, v39
	buffer_store_dword v41, off, s[0:3], 0 offset:120
	buffer_store_dword v40, off, s[0:3], 0 offset:124
.LBB80_75:
	s_or_b32 exec_lo, exec_lo, s4
	s_waitcnt_vscnt null, 0x0
	s_barrier
	buffer_gl0_inv
	s_clause 0x1
	buffer_load_dword v39, off, s[0:3], 0 offset:128
	buffer_load_dword v40, off, s[0:3], 0 offset:132
	s_mov_b32 s4, exec_lo
	s_waitcnt vmcnt(0)
	ds_write_b64 v38, v[39:40]
	s_waitcnt lgkmcnt(0)
	s_barrier
	buffer_gl0_inv
	v_cmpx_ne_u32_e32 16, v0
	s_cbranch_execz .LBB80_79
; %bb.76:
	v_mov_b32_e32 v36, 0
	v_mov_b32_e32 v39, 0
	s_mov_b32 s5, 0
	.p2align	6
.LBB80_77:                              ; =>This Inner Loop Header: Depth=1
	s_clause 0x1
	buffer_load_dword v42, v37, s[0:3], 0 offen offset:4
	buffer_load_dword v43, v37, s[0:3], 0 offen
	ds_read_b64 v[40:41], v38
	v_add_nc_u32_e32 v35, 1, v35
	v_add_nc_u32_e32 v38, 8, v38
	;; [unrolled: 1-line block ×3, first 2 shown]
	v_cmp_lt_u32_e32 vcc_lo, 14, v35
	s_or_b32 s5, vcc_lo, s5
	s_waitcnt vmcnt(1) lgkmcnt(0)
	v_mul_f32_e32 v44, v41, v42
	v_mul_f32_e32 v42, v40, v42
	s_waitcnt vmcnt(0)
	v_fma_f32 v40, v40, v43, -v44
	v_fmac_f32_e32 v42, v41, v43
	v_add_f32_e32 v39, v39, v40
	v_add_f32_e32 v36, v36, v42
	s_andn2_b32 exec_lo, exec_lo, s5
	s_cbranch_execnz .LBB80_77
; %bb.78:
	s_or_b32 exec_lo, exec_lo, s5
	v_mov_b32_e32 v35, 0
	ds_read_b64 v[37:38], v35 offset:128
	s_waitcnt lgkmcnt(0)
	v_mul_f32_e32 v35, v36, v38
	v_mul_f32_e32 v38, v39, v38
	v_fma_f32 v35, v39, v37, -v35
	v_fmac_f32_e32 v38, v36, v37
	buffer_store_dword v35, off, s[0:3], 0 offset:128
	buffer_store_dword v38, off, s[0:3], 0 offset:132
.LBB80_79:
	s_or_b32 exec_lo, exec_lo, s4
	s_mov_b32 s5, -1
	s_waitcnt_vscnt null, 0x0
	s_barrier
	buffer_gl0_inv
.LBB80_80:
	s_and_b32 vcc_lo, exec_lo, s5
	s_cbranch_vccz .LBB80_82
; %bb.81:
	s_lshl_b64 s[4:5], s[6:7], 2
	v_mov_b32_e32 v35, 0
	s_add_u32 s4, s10, s4
	s_addc_u32 s5, s11, s5
	global_load_dword v35, v35, s[4:5]
	s_waitcnt vmcnt(0)
	v_cmp_ne_u32_e32 vcc_lo, 0, v35
	s_cbranch_vccz .LBB80_83
.LBB80_82:
	s_endpgm
.LBB80_83:
	v_lshl_add_u32 v35, v0, 3, 0x90
	s_mov_b32 s4, exec_lo
	v_cmpx_eq_u32_e32 16, v0
	s_cbranch_execz .LBB80_85
; %bb.84:
	s_clause 0x1
	buffer_load_dword v36, off, s[0:3], 0 offset:120
	buffer_load_dword v37, off, s[0:3], 0 offset:124
	v_mov_b32_e32 v38, 0
	buffer_store_dword v38, off, s[0:3], 0 offset:120
	buffer_store_dword v38, off, s[0:3], 0 offset:124
	s_waitcnt vmcnt(0)
	ds_write_b64 v35, v[36:37]
.LBB80_85:
	s_or_b32 exec_lo, exec_lo, s4
	s_waitcnt lgkmcnt(0)
	s_waitcnt_vscnt null, 0x0
	s_barrier
	buffer_gl0_inv
	s_clause 0x3
	buffer_load_dword v39, off, s[0:3], 0 offset:132
	buffer_load_dword v40, off, s[0:3], 0 offset:128
	;; [unrolled: 1-line block ×4, first 2 shown]
	v_mov_b32_e32 v36, 0
	s_mov_b32 s4, exec_lo
	ds_read_b64 v[37:38], v36 offset:272
	s_waitcnt vmcnt(3) lgkmcnt(0)
	v_mul_f32_e32 v43, v38, v39
	v_mul_f32_e32 v39, v37, v39
	s_waitcnt vmcnt(2)
	v_fma_f32 v37, v37, v40, -v43
	v_fmac_f32_e32 v39, v38, v40
	v_add_f32_e32 v37, 0, v37
	v_add_f32_e32 v38, 0, v39
	s_waitcnt vmcnt(1)
	v_sub_f32_e32 v37, v41, v37
	s_waitcnt vmcnt(0)
	v_sub_f32_e32 v38, v42, v38
	buffer_store_dword v37, off, s[0:3], 0 offset:120
	buffer_store_dword v38, off, s[0:3], 0 offset:124
	v_cmpx_lt_u32_e32 14, v0
	s_cbranch_execz .LBB80_87
; %bb.86:
	s_clause 0x1
	buffer_load_dword v37, off, s[0:3], 0 offset:112
	buffer_load_dword v38, off, s[0:3], 0 offset:116
	buffer_store_dword v36, off, s[0:3], 0 offset:112
	buffer_store_dword v36, off, s[0:3], 0 offset:116
	s_waitcnt vmcnt(0)
	ds_write_b64 v35, v[37:38]
.LBB80_87:
	s_or_b32 exec_lo, exec_lo, s4
	s_waitcnt lgkmcnt(0)
	s_waitcnt_vscnt null, 0x0
	s_barrier
	buffer_gl0_inv
	s_clause 0x5
	buffer_load_dword v40, off, s[0:3], 0 offset:124
	buffer_load_dword v41, off, s[0:3], 0 offset:132
	;; [unrolled: 1-line block ×6, first 2 shown]
	ds_read2_b64 v[36:39], v36 offset0:33 offset1:34
	s_mov_b32 s4, exec_lo
	s_waitcnt vmcnt(5) lgkmcnt(0)
	v_mul_f32_e32 v46, v37, v40
	v_mul_f32_e32 v40, v36, v40
	s_waitcnt vmcnt(4)
	v_mul_f32_e32 v47, v38, v41
	v_mul_f32_e32 v41, v39, v41
	s_waitcnt vmcnt(3)
	v_fma_f32 v36, v36, v42, -v46
	v_fmac_f32_e32 v40, v37, v42
	s_waitcnt vmcnt(2)
	v_fmac_f32_e32 v47, v39, v43
	v_fma_f32 v37, v38, v43, -v41
	v_add_f32_e32 v36, 0, v36
	v_add_f32_e32 v38, 0, v40
	;; [unrolled: 1-line block ×4, first 2 shown]
	s_waitcnt vmcnt(1)
	v_sub_f32_e32 v36, v44, v36
	s_waitcnt vmcnt(0)
	v_sub_f32_e32 v37, v45, v37
	buffer_store_dword v36, off, s[0:3], 0 offset:112
	buffer_store_dword v37, off, s[0:3], 0 offset:116
	v_cmpx_lt_u32_e32 13, v0
	s_cbranch_execz .LBB80_89
; %bb.88:
	s_clause 0x1
	buffer_load_dword v36, off, s[0:3], 0 offset:104
	buffer_load_dword v37, off, s[0:3], 0 offset:108
	v_mov_b32_e32 v38, 0
	buffer_store_dword v38, off, s[0:3], 0 offset:104
	buffer_store_dword v38, off, s[0:3], 0 offset:108
	s_waitcnt vmcnt(0)
	ds_write_b64 v35, v[36:37]
.LBB80_89:
	s_or_b32 exec_lo, exec_lo, s4
	s_waitcnt lgkmcnt(0)
	s_waitcnt_vscnt null, 0x0
	s_barrier
	buffer_gl0_inv
	s_clause 0x7
	buffer_load_dword v43, off, s[0:3], 0 offset:116
	buffer_load_dword v44, off, s[0:3], 0 offset:124
	;; [unrolled: 1-line block ×8, first 2 shown]
	v_mov_b32_e32 v36, 0
	ds_read_b128 v[37:40], v36 offset:256
	ds_read_b64 v[41:42], v36 offset:272
	s_mov_b32 s4, exec_lo
	s_waitcnt vmcnt(7) lgkmcnt(1)
	v_mul_f32_e32 v51, v38, v43
	v_mul_f32_e32 v43, v37, v43
	s_waitcnt vmcnt(6)
	v_mul_f32_e32 v52, v39, v44
	v_mul_f32_e32 v44, v40, v44
	s_waitcnt vmcnt(5) lgkmcnt(0)
	v_mul_f32_e32 v53, v41, v45
	s_waitcnt vmcnt(4)
	v_fma_f32 v37, v37, v46, -v51
	v_fmac_f32_e32 v43, v38, v46
	v_mul_f32_e32 v38, v42, v45
	s_waitcnt vmcnt(3)
	v_fma_f32 v39, v39, v47, -v44
	v_fmac_f32_e32 v52, v40, v47
	v_add_f32_e32 v37, 0, v37
	v_add_f32_e32 v40, 0, v43
	s_waitcnt vmcnt(2)
	v_fma_f32 v38, v41, v48, -v38
	v_fmac_f32_e32 v53, v42, v48
	v_add_f32_e32 v37, v37, v39
	v_add_f32_e32 v39, v40, v52
	v_add_f32_e32 v37, v37, v38
	v_add_f32_e32 v38, v39, v53
	s_waitcnt vmcnt(1)
	v_sub_f32_e32 v37, v49, v37
	s_waitcnt vmcnt(0)
	v_sub_f32_e32 v38, v50, v38
	buffer_store_dword v37, off, s[0:3], 0 offset:104
	buffer_store_dword v38, off, s[0:3], 0 offset:108
	v_cmpx_lt_u32_e32 12, v0
	s_cbranch_execz .LBB80_91
; %bb.90:
	s_clause 0x1
	buffer_load_dword v37, off, s[0:3], 0 offset:96
	buffer_load_dword v38, off, s[0:3], 0 offset:100
	buffer_store_dword v36, off, s[0:3], 0 offset:96
	buffer_store_dword v36, off, s[0:3], 0 offset:100
	s_waitcnt vmcnt(0)
	ds_write_b64 v35, v[37:38]
.LBB80_91:
	s_or_b32 exec_lo, exec_lo, s4
	s_waitcnt lgkmcnt(0)
	s_waitcnt_vscnt null, 0x0
	s_barrier
	buffer_gl0_inv
	s_clause 0x9
	buffer_load_dword v45, off, s[0:3], 0 offset:108
	buffer_load_dword v46, off, s[0:3], 0 offset:116
	;; [unrolled: 1-line block ×10, first 2 shown]
	ds_read2_b64 v[37:40], v36 offset0:31 offset1:32
	ds_read2_b64 v[41:44], v36 offset0:33 offset1:34
	s_mov_b32 s4, exec_lo
	s_waitcnt vmcnt(9) lgkmcnt(1)
	v_mul_f32_e32 v36, v37, v45
	v_mul_f32_e32 v45, v38, v45
	s_waitcnt vmcnt(8)
	v_mul_f32_e32 v55, v39, v46
	v_mul_f32_e32 v46, v40, v46
	s_waitcnt vmcnt(7) lgkmcnt(0)
	v_mul_f32_e32 v56, v41, v47
	s_waitcnt vmcnt(5)
	v_fmac_f32_e32 v36, v38, v49
	v_fma_f32 v37, v37, v49, -v45
	v_mul_f32_e32 v38, v42, v47
	s_waitcnt vmcnt(4)
	v_fma_f32 v39, v39, v50, -v46
	v_fmac_f32_e32 v55, v40, v50
	v_add_f32_e32 v36, 0, v36
	v_add_f32_e32 v37, 0, v37
	v_mul_f32_e32 v40, v44, v48
	s_waitcnt vmcnt(3)
	v_fma_f32 v38, v41, v51, -v38
	v_mul_f32_e32 v57, v43, v48
	v_fmac_f32_e32 v56, v42, v51
	v_add_f32_e32 v37, v37, v39
	v_add_f32_e32 v36, v36, v55
	s_waitcnt vmcnt(2)
	v_fma_f32 v39, v43, v52, -v40
	v_fmac_f32_e32 v57, v44, v52
	v_add_f32_e32 v37, v37, v38
	v_add_f32_e32 v36, v36, v56
	;; [unrolled: 1-line block ×4, first 2 shown]
	s_waitcnt vmcnt(1)
	v_sub_f32_e32 v37, v53, v37
	s_waitcnt vmcnt(0)
	v_sub_f32_e32 v36, v54, v36
	buffer_store_dword v37, off, s[0:3], 0 offset:96
	buffer_store_dword v36, off, s[0:3], 0 offset:100
	v_cmpx_lt_u32_e32 11, v0
	s_cbranch_execz .LBB80_93
; %bb.92:
	s_clause 0x1
	buffer_load_dword v36, off, s[0:3], 0 offset:88
	buffer_load_dword v37, off, s[0:3], 0 offset:92
	v_mov_b32_e32 v38, 0
	buffer_store_dword v38, off, s[0:3], 0 offset:88
	buffer_store_dword v38, off, s[0:3], 0 offset:92
	s_waitcnt vmcnt(0)
	ds_write_b64 v35, v[36:37]
.LBB80_93:
	s_or_b32 exec_lo, exec_lo, s4
	s_waitcnt lgkmcnt(0)
	s_waitcnt_vscnt null, 0x0
	s_barrier
	buffer_gl0_inv
	s_clause 0xb
	buffer_load_dword v47, off, s[0:3], 0 offset:100
	buffer_load_dword v48, off, s[0:3], 0 offset:108
	;; [unrolled: 1-line block ×12, first 2 shown]
	v_mov_b32_e32 v36, 0
	ds_read_b128 v[37:40], v36 offset:240
	ds_read_b128 v[41:44], v36 offset:256
	ds_read_b64 v[45:46], v36 offset:272
	s_mov_b32 s4, exec_lo
	s_waitcnt vmcnt(11) lgkmcnt(2)
	v_mul_f32_e32 v59, v37, v47
	v_mul_f32_e32 v47, v38, v47
	s_waitcnt vmcnt(10)
	v_mul_f32_e32 v60, v39, v48
	v_mul_f32_e32 v48, v40, v48
	s_waitcnt vmcnt(9) lgkmcnt(1)
	v_mul_f32_e32 v61, v41, v49
	s_waitcnt vmcnt(6)
	v_fmac_f32_e32 v59, v38, v52
	v_fma_f32 v37, v37, v52, -v47
	v_mul_f32_e32 v38, v42, v49
	s_waitcnt vmcnt(5)
	v_fma_f32 v39, v39, v53, -v48
	v_fmac_f32_e32 v60, v40, v53
	v_add_f32_e32 v40, 0, v59
	v_add_f32_e32 v37, 0, v37
	v_mul_f32_e32 v47, v44, v50
	s_waitcnt vmcnt(4)
	v_fma_f32 v38, v41, v54, -v38
	v_mul_f32_e32 v62, v43, v50
	v_fmac_f32_e32 v61, v42, v54
	v_add_f32_e32 v37, v37, v39
	v_add_f32_e32 v39, v40, v60
	s_waitcnt lgkmcnt(0)
	v_mul_f32_e32 v40, v46, v51
	s_waitcnt vmcnt(3)
	v_fma_f32 v41, v43, v55, -v47
	v_mul_f32_e32 v63, v45, v51
	v_add_f32_e32 v37, v37, v38
	v_fmac_f32_e32 v62, v44, v55
	v_add_f32_e32 v38, v39, v61
	s_waitcnt vmcnt(2)
	v_fma_f32 v39, v45, v56, -v40
	v_fmac_f32_e32 v63, v46, v56
	v_add_f32_e32 v37, v37, v41
	v_add_f32_e32 v38, v38, v62
	;; [unrolled: 1-line block ×4, first 2 shown]
	s_waitcnt vmcnt(1)
	v_sub_f32_e32 v37, v57, v37
	s_waitcnt vmcnt(0)
	v_sub_f32_e32 v38, v58, v38
	buffer_store_dword v37, off, s[0:3], 0 offset:88
	buffer_store_dword v38, off, s[0:3], 0 offset:92
	v_cmpx_lt_u32_e32 10, v0
	s_cbranch_execz .LBB80_95
; %bb.94:
	s_clause 0x1
	buffer_load_dword v37, off, s[0:3], 0 offset:80
	buffer_load_dword v38, off, s[0:3], 0 offset:84
	buffer_store_dword v36, off, s[0:3], 0 offset:80
	buffer_store_dword v36, off, s[0:3], 0 offset:84
	s_waitcnt vmcnt(0)
	ds_write_b64 v35, v[37:38]
.LBB80_95:
	s_or_b32 exec_lo, exec_lo, s4
	s_waitcnt lgkmcnt(0)
	s_waitcnt_vscnt null, 0x0
	s_barrier
	buffer_gl0_inv
	s_clause 0xd
	buffer_load_dword v49, off, s[0:3], 0 offset:92
	buffer_load_dword v50, off, s[0:3], 0 offset:100
	;; [unrolled: 1-line block ×14, first 2 shown]
	ds_read2_b64 v[37:40], v36 offset0:29 offset1:30
	ds_read2_b64 v[41:44], v36 offset0:31 offset1:32
	;; [unrolled: 1-line block ×3, first 2 shown]
	s_mov_b32 s4, exec_lo
	s_waitcnt vmcnt(13) lgkmcnt(2)
	v_mul_f32_e32 v36, v37, v49
	v_mul_f32_e32 v49, v38, v49
	s_waitcnt vmcnt(12)
	v_mul_f32_e32 v63, v39, v50
	v_mul_f32_e32 v50, v40, v50
	s_waitcnt vmcnt(11) lgkmcnt(1)
	v_mul_f32_e32 v64, v41, v51
	s_waitcnt vmcnt(10)
	v_mul_f32_e32 v65, v43, v52
	s_waitcnt vmcnt(7)
	v_fma_f32 v37, v37, v55, -v49
	v_fmac_f32_e32 v36, v38, v55
	v_mul_f32_e32 v38, v42, v51
	s_waitcnt vmcnt(6)
	v_fma_f32 v39, v39, v56, -v50
	v_fmac_f32_e32 v63, v40, v56
	v_add_f32_e32 v37, 0, v37
	v_add_f32_e32 v36, 0, v36
	v_mul_f32_e32 v40, v44, v52
	s_waitcnt vmcnt(5)
	v_fma_f32 v38, v41, v57, -v38
	v_fmac_f32_e32 v64, v42, v57
	v_add_f32_e32 v37, v37, v39
	v_add_f32_e32 v36, v36, v63
	s_waitcnt lgkmcnt(0)
	v_mul_f32_e32 v39, v46, v53
	s_waitcnt vmcnt(4)
	v_fma_f32 v40, v43, v58, -v40
	v_mul_f32_e32 v66, v45, v53
	v_add_f32_e32 v37, v37, v38
	v_fmac_f32_e32 v65, v44, v58
	v_add_f32_e32 v36, v36, v64
	v_mul_f32_e32 v38, v48, v54
	s_waitcnt vmcnt(3)
	v_fma_f32 v39, v45, v59, -v39
	v_add_f32_e32 v37, v37, v40
	v_mul_f32_e32 v67, v47, v54
	v_fmac_f32_e32 v66, v46, v59
	v_add_f32_e32 v36, v36, v65
	s_waitcnt vmcnt(2)
	v_fma_f32 v38, v47, v60, -v38
	v_add_f32_e32 v37, v37, v39
	v_fmac_f32_e32 v67, v48, v60
	v_add_f32_e32 v36, v36, v66
	v_add_f32_e32 v37, v37, v38
	;; [unrolled: 1-line block ×3, first 2 shown]
	s_waitcnt vmcnt(1)
	v_sub_f32_e32 v37, v61, v37
	s_waitcnt vmcnt(0)
	v_sub_f32_e32 v36, v62, v36
	buffer_store_dword v37, off, s[0:3], 0 offset:80
	buffer_store_dword v36, off, s[0:3], 0 offset:84
	v_cmpx_lt_u32_e32 9, v0
	s_cbranch_execz .LBB80_97
; %bb.96:
	s_clause 0x1
	buffer_load_dword v36, off, s[0:3], 0 offset:72
	buffer_load_dword v37, off, s[0:3], 0 offset:76
	v_mov_b32_e32 v38, 0
	buffer_store_dword v38, off, s[0:3], 0 offset:72
	buffer_store_dword v38, off, s[0:3], 0 offset:76
	s_waitcnt vmcnt(0)
	ds_write_b64 v35, v[36:37]
.LBB80_97:
	s_or_b32 exec_lo, exec_lo, s4
	s_waitcnt lgkmcnt(0)
	s_waitcnt_vscnt null, 0x0
	s_barrier
	buffer_gl0_inv
	s_clause 0xf
	buffer_load_dword v51, off, s[0:3], 0 offset:84
	buffer_load_dword v52, off, s[0:3], 0 offset:92
	;; [unrolled: 1-line block ×16, first 2 shown]
	v_mov_b32_e32 v36, 0
	ds_read_b128 v[37:40], v36 offset:224
	ds_read_b128 v[41:44], v36 offset:240
	;; [unrolled: 1-line block ×3, first 2 shown]
	ds_read_b64 v[49:50], v36 offset:272
	s_mov_b32 s4, exec_lo
	s_waitcnt vmcnt(15) lgkmcnt(3)
	v_mul_f32_e32 v67, v37, v51
	v_mul_f32_e32 v51, v38, v51
	s_waitcnt vmcnt(14)
	v_mul_f32_e32 v68, v39, v52
	v_mul_f32_e32 v52, v40, v52
	s_waitcnt vmcnt(13) lgkmcnt(2)
	v_mul_f32_e32 v69, v41, v53
	s_waitcnt vmcnt(12)
	v_mul_f32_e32 v70, v43, v54
	s_waitcnt vmcnt(11) lgkmcnt(1)
	v_mul_f32_e32 v71, v45, v55
	s_waitcnt vmcnt(8)
	v_fma_f32 v37, v37, v58, -v51
	v_fmac_f32_e32 v67, v38, v58
	v_mul_f32_e32 v38, v42, v53
	s_waitcnt vmcnt(7)
	v_fma_f32 v39, v39, v59, -v52
	v_fmac_f32_e32 v68, v40, v59
	v_add_f32_e32 v37, 0, v37
	v_add_f32_e32 v40, 0, v67
	v_mul_f32_e32 v51, v44, v54
	s_waitcnt vmcnt(6)
	v_fma_f32 v38, v41, v60, -v38
	v_fmac_f32_e32 v69, v42, v60
	v_add_f32_e32 v37, v37, v39
	v_add_f32_e32 v39, v40, v68
	;; [unrolled: 6-line block ×3, first 2 shown]
	v_mul_f32_e32 v39, v48, v56
	s_waitcnt vmcnt(4)
	v_fma_f32 v40, v45, v62, -v40
	v_mul_f32_e32 v72, v47, v56
	v_add_f32_e32 v37, v37, v41
	v_fmac_f32_e32 v71, v46, v62
	v_add_f32_e32 v38, v38, v70
	s_waitcnt lgkmcnt(0)
	v_mul_f32_e32 v41, v50, v57
	s_waitcnt vmcnt(3)
	v_fma_f32 v39, v47, v63, -v39
	v_add_f32_e32 v37, v37, v40
	v_mul_f32_e32 v73, v49, v57
	v_fmac_f32_e32 v72, v48, v63
	v_add_f32_e32 v38, v38, v71
	s_waitcnt vmcnt(2)
	v_fma_f32 v40, v49, v64, -v41
	v_add_f32_e32 v37, v37, v39
	v_fmac_f32_e32 v73, v50, v64
	v_add_f32_e32 v38, v38, v72
	v_add_f32_e32 v37, v37, v40
	;; [unrolled: 1-line block ×3, first 2 shown]
	s_waitcnt vmcnt(1)
	v_sub_f32_e32 v37, v65, v37
	s_waitcnt vmcnt(0)
	v_sub_f32_e32 v38, v66, v38
	buffer_store_dword v37, off, s[0:3], 0 offset:72
	buffer_store_dword v38, off, s[0:3], 0 offset:76
	v_cmpx_lt_u32_e32 8, v0
	s_cbranch_execz .LBB80_99
; %bb.98:
	s_clause 0x1
	buffer_load_dword v37, off, s[0:3], 0 offset:64
	buffer_load_dword v38, off, s[0:3], 0 offset:68
	buffer_store_dword v36, off, s[0:3], 0 offset:64
	buffer_store_dword v36, off, s[0:3], 0 offset:68
	s_waitcnt vmcnt(0)
	ds_write_b64 v35, v[37:38]
.LBB80_99:
	s_or_b32 exec_lo, exec_lo, s4
	s_waitcnt lgkmcnt(0)
	s_waitcnt_vscnt null, 0x0
	s_barrier
	buffer_gl0_inv
	s_clause 0x11
	buffer_load_dword v53, off, s[0:3], 0 offset:76
	buffer_load_dword v54, off, s[0:3], 0 offset:84
	;; [unrolled: 1-line block ×18, first 2 shown]
	ds_read2_b64 v[37:40], v36 offset0:27 offset1:28
	ds_read2_b64 v[41:44], v36 offset0:29 offset1:30
	;; [unrolled: 1-line block ×4, first 2 shown]
	s_mov_b32 s4, exec_lo
	s_waitcnt vmcnt(17) lgkmcnt(3)
	v_mul_f32_e32 v36, v37, v53
	v_mul_f32_e32 v53, v38, v53
	s_waitcnt vmcnt(16)
	v_mul_f32_e32 v71, v39, v54
	v_mul_f32_e32 v54, v40, v54
	s_waitcnt vmcnt(15) lgkmcnt(2)
	v_mul_f32_e32 v72, v41, v55
	s_waitcnt vmcnt(14)
	v_mul_f32_e32 v73, v43, v56
	s_waitcnt vmcnt(13) lgkmcnt(1)
	v_mul_f32_e32 v74, v45, v57
	s_waitcnt vmcnt(12)
	v_mul_f32_e32 v75, v47, v58
	s_waitcnt vmcnt(9)
	v_fma_f32 v37, v37, v61, -v53
	v_fmac_f32_e32 v36, v38, v61
	v_mul_f32_e32 v38, v42, v55
	s_waitcnt vmcnt(8)
	v_fma_f32 v39, v39, v62, -v54
	v_fmac_f32_e32 v71, v40, v62
	v_add_f32_e32 v37, 0, v37
	v_add_f32_e32 v36, 0, v36
	v_mul_f32_e32 v40, v44, v56
	s_waitcnt vmcnt(7)
	v_fma_f32 v38, v41, v63, -v38
	v_fmac_f32_e32 v72, v42, v63
	v_add_f32_e32 v37, v37, v39
	v_add_f32_e32 v36, v36, v71
	;; [unrolled: 6-line block ×4, first 2 shown]
	s_waitcnt lgkmcnt(0)
	v_mul_f32_e32 v40, v50, v59
	s_waitcnt vmcnt(4)
	v_fma_f32 v38, v47, v66, -v38
	v_mul_f32_e32 v76, v49, v59
	v_add_f32_e32 v37, v37, v39
	v_fmac_f32_e32 v75, v48, v66
	v_add_f32_e32 v36, v36, v74
	v_mul_f32_e32 v39, v52, v60
	s_waitcnt vmcnt(3)
	v_fma_f32 v40, v49, v67, -v40
	v_add_f32_e32 v37, v37, v38
	v_mul_f32_e32 v77, v51, v60
	v_fmac_f32_e32 v76, v50, v67
	v_add_f32_e32 v36, v36, v75
	s_waitcnt vmcnt(2)
	v_fma_f32 v38, v51, v68, -v39
	v_add_f32_e32 v37, v37, v40
	v_fmac_f32_e32 v77, v52, v68
	v_add_f32_e32 v36, v36, v76
	v_add_f32_e32 v37, v37, v38
	;; [unrolled: 1-line block ×3, first 2 shown]
	s_waitcnt vmcnt(1)
	v_sub_f32_e32 v37, v69, v37
	s_waitcnt vmcnt(0)
	v_sub_f32_e32 v36, v70, v36
	buffer_store_dword v37, off, s[0:3], 0 offset:64
	buffer_store_dword v36, off, s[0:3], 0 offset:68
	v_cmpx_lt_u32_e32 7, v0
	s_cbranch_execz .LBB80_101
; %bb.100:
	s_clause 0x1
	buffer_load_dword v36, off, s[0:3], 0 offset:56
	buffer_load_dword v37, off, s[0:3], 0 offset:60
	v_mov_b32_e32 v38, 0
	buffer_store_dword v38, off, s[0:3], 0 offset:56
	buffer_store_dword v38, off, s[0:3], 0 offset:60
	s_waitcnt vmcnt(0)
	ds_write_b64 v35, v[36:37]
.LBB80_101:
	s_or_b32 exec_lo, exec_lo, s4
	s_waitcnt lgkmcnt(0)
	s_waitcnt_vscnt null, 0x0
	s_barrier
	buffer_gl0_inv
	s_clause 0x13
	buffer_load_dword v55, off, s[0:3], 0 offset:68
	buffer_load_dword v56, off, s[0:3], 0 offset:76
	;; [unrolled: 1-line block ×20, first 2 shown]
	v_mov_b32_e32 v36, 0
	ds_read_b128 v[37:40], v36 offset:208
	ds_read_b128 v[41:44], v36 offset:224
	;; [unrolled: 1-line block ×4, first 2 shown]
	ds_read_b64 v[53:54], v36 offset:272
	s_mov_b32 s4, exec_lo
	s_waitcnt vmcnt(19) lgkmcnt(4)
	v_mul_f32_e32 v75, v37, v55
	v_mul_f32_e32 v55, v38, v55
	s_waitcnt vmcnt(18)
	v_mul_f32_e32 v76, v39, v56
	v_mul_f32_e32 v56, v40, v56
	s_waitcnt vmcnt(17) lgkmcnt(3)
	v_mul_f32_e32 v77, v41, v57
	s_waitcnt vmcnt(16)
	v_mul_f32_e32 v78, v43, v58
	s_waitcnt vmcnt(15) lgkmcnt(2)
	v_mul_f32_e32 v79, v45, v59
	s_waitcnt vmcnt(14)
	;; [unrolled: 4-line block ×3, first 2 shown]
	v_fma_f32 v37, v37, v64, -v55
	v_fmac_f32_e32 v75, v38, v64
	v_mul_f32_e32 v38, v42, v57
	s_waitcnt vmcnt(9)
	v_fma_f32 v39, v39, v65, -v56
	v_fmac_f32_e32 v76, v40, v65
	v_add_f32_e32 v37, 0, v37
	v_add_f32_e32 v40, 0, v75
	v_mul_f32_e32 v55, v44, v58
	s_waitcnt vmcnt(8)
	v_fma_f32 v38, v41, v66, -v38
	v_fmac_f32_e32 v77, v42, v66
	v_add_f32_e32 v37, v37, v39
	v_add_f32_e32 v39, v40, v76
	;; [unrolled: 6-line block ×5, first 2 shown]
	v_mul_f32_e32 v40, v52, v62
	s_waitcnt vmcnt(4)
	v_fma_f32 v41, v49, v70, -v41
	v_mul_f32_e32 v82, v51, v62
	v_add_f32_e32 v37, v37, v39
	v_fmac_f32_e32 v81, v50, v70
	v_add_f32_e32 v38, v38, v80
	s_waitcnt lgkmcnt(0)
	v_mul_f32_e32 v39, v54, v63
	s_waitcnt vmcnt(3)
	v_fma_f32 v40, v51, v71, -v40
	v_add_f32_e32 v37, v37, v41
	v_mul_f32_e32 v83, v53, v63
	v_fmac_f32_e32 v82, v52, v71
	v_add_f32_e32 v38, v38, v81
	s_waitcnt vmcnt(2)
	v_fma_f32 v39, v53, v72, -v39
	v_add_f32_e32 v37, v37, v40
	v_fmac_f32_e32 v83, v54, v72
	v_add_f32_e32 v38, v38, v82
	v_add_f32_e32 v37, v37, v39
	;; [unrolled: 1-line block ×3, first 2 shown]
	s_waitcnt vmcnt(1)
	v_sub_f32_e32 v37, v73, v37
	s_waitcnt vmcnt(0)
	v_sub_f32_e32 v38, v74, v38
	buffer_store_dword v37, off, s[0:3], 0 offset:56
	buffer_store_dword v38, off, s[0:3], 0 offset:60
	v_cmpx_lt_u32_e32 6, v0
	s_cbranch_execz .LBB80_103
; %bb.102:
	s_clause 0x1
	buffer_load_dword v37, off, s[0:3], 0 offset:48
	buffer_load_dword v38, off, s[0:3], 0 offset:52
	buffer_store_dword v36, off, s[0:3], 0 offset:48
	buffer_store_dword v36, off, s[0:3], 0 offset:52
	s_waitcnt vmcnt(0)
	ds_write_b64 v35, v[37:38]
.LBB80_103:
	s_or_b32 exec_lo, exec_lo, s4
	s_waitcnt lgkmcnt(0)
	s_waitcnt_vscnt null, 0x0
	s_barrier
	buffer_gl0_inv
	s_clause 0x15
	buffer_load_dword v57, off, s[0:3], 0 offset:60
	buffer_load_dword v58, off, s[0:3], 0 offset:68
	;; [unrolled: 1-line block ×22, first 2 shown]
	ds_read2_b64 v[37:40], v36 offset0:25 offset1:26
	ds_read2_b64 v[41:44], v36 offset0:27 offset1:28
	;; [unrolled: 1-line block ×5, first 2 shown]
	s_mov_b32 s4, exec_lo
	s_waitcnt vmcnt(21) lgkmcnt(4)
	v_mul_f32_e32 v36, v37, v57
	v_mul_f32_e32 v57, v38, v57
	s_waitcnt vmcnt(20)
	v_mul_f32_e32 v79, v39, v58
	v_mul_f32_e32 v58, v40, v58
	s_waitcnt vmcnt(19) lgkmcnt(3)
	v_mul_f32_e32 v80, v41, v59
	s_waitcnt vmcnt(18)
	v_mul_f32_e32 v81, v43, v60
	s_waitcnt vmcnt(17) lgkmcnt(2)
	v_mul_f32_e32 v82, v45, v61
	s_waitcnt vmcnt(16)
	;; [unrolled: 4-line block ×3, first 2 shown]
	v_mul_f32_e32 v85, v51, v64
	s_waitcnt vmcnt(11)
	v_fma_f32 v37, v37, v67, -v57
	v_fmac_f32_e32 v36, v38, v67
	v_mul_f32_e32 v38, v42, v59
	s_waitcnt vmcnt(10)
	v_fma_f32 v39, v39, v68, -v58
	v_fmac_f32_e32 v79, v40, v68
	v_add_f32_e32 v37, 0, v37
	v_add_f32_e32 v36, 0, v36
	v_mul_f32_e32 v40, v44, v60
	s_waitcnt vmcnt(9)
	v_fma_f32 v38, v41, v69, -v38
	v_fmac_f32_e32 v80, v42, v69
	v_add_f32_e32 v37, v37, v39
	v_add_f32_e32 v36, v36, v79
	;; [unrolled: 6-line block ×6, first 2 shown]
	s_waitcnt lgkmcnt(0)
	v_mul_f32_e32 v38, v54, v65
	s_waitcnt vmcnt(4)
	v_fma_f32 v39, v51, v74, -v39
	v_mul_f32_e32 v86, v53, v65
	v_add_f32_e32 v37, v37, v40
	v_fmac_f32_e32 v85, v52, v74
	v_add_f32_e32 v36, v36, v84
	v_mul_f32_e32 v40, v56, v66
	s_waitcnt vmcnt(3)
	v_fma_f32 v38, v53, v75, -v38
	v_add_f32_e32 v37, v37, v39
	v_mul_f32_e32 v87, v55, v66
	v_fmac_f32_e32 v86, v54, v75
	v_add_f32_e32 v36, v36, v85
	s_waitcnt vmcnt(2)
	v_fma_f32 v39, v55, v76, -v40
	v_add_f32_e32 v37, v37, v38
	v_fmac_f32_e32 v87, v56, v76
	v_add_f32_e32 v36, v36, v86
	v_add_f32_e32 v37, v37, v39
	;; [unrolled: 1-line block ×3, first 2 shown]
	s_waitcnt vmcnt(1)
	v_sub_f32_e32 v37, v77, v37
	s_waitcnt vmcnt(0)
	v_sub_f32_e32 v36, v78, v36
	buffer_store_dword v37, off, s[0:3], 0 offset:48
	buffer_store_dword v36, off, s[0:3], 0 offset:52
	v_cmpx_lt_u32_e32 5, v0
	s_cbranch_execz .LBB80_105
; %bb.104:
	s_clause 0x1
	buffer_load_dword v36, off, s[0:3], 0 offset:40
	buffer_load_dword v37, off, s[0:3], 0 offset:44
	v_mov_b32_e32 v38, 0
	buffer_store_dword v38, off, s[0:3], 0 offset:40
	buffer_store_dword v38, off, s[0:3], 0 offset:44
	s_waitcnt vmcnt(0)
	ds_write_b64 v35, v[36:37]
.LBB80_105:
	s_or_b32 exec_lo, exec_lo, s4
	s_waitcnt lgkmcnt(0)
	s_waitcnt_vscnt null, 0x0
	s_barrier
	buffer_gl0_inv
	s_clause 0x17
	buffer_load_dword v59, off, s[0:3], 0 offset:52
	buffer_load_dword v60, off, s[0:3], 0 offset:60
	;; [unrolled: 1-line block ×24, first 2 shown]
	v_mov_b32_e32 v36, 0
	ds_read_b128 v[37:40], v36 offset:192
	ds_read_b128 v[41:44], v36 offset:208
	;; [unrolled: 1-line block ×5, first 2 shown]
	ds_read_b64 v[57:58], v36 offset:272
	s_mov_b32 s4, exec_lo
	s_waitcnt vmcnt(23) lgkmcnt(5)
	v_mul_f32_e32 v83, v37, v59
	v_mul_f32_e32 v59, v38, v59
	s_waitcnt vmcnt(22)
	v_mul_f32_e32 v84, v39, v60
	v_mul_f32_e32 v60, v40, v60
	s_waitcnt vmcnt(21) lgkmcnt(4)
	v_mul_f32_e32 v85, v41, v61
	s_waitcnt vmcnt(20)
	v_mul_f32_e32 v86, v43, v62
	s_waitcnt vmcnt(19) lgkmcnt(3)
	v_mul_f32_e32 v87, v45, v63
	s_waitcnt vmcnt(18)
	;; [unrolled: 4-line block ×4, first 2 shown]
	v_fma_f32 v37, v37, v70, -v59
	v_fmac_f32_e32 v83, v38, v70
	v_mul_f32_e32 v38, v42, v61
	s_waitcnt vmcnt(11)
	v_fma_f32 v39, v39, v71, -v60
	v_fmac_f32_e32 v84, v40, v71
	v_add_f32_e32 v37, 0, v37
	v_add_f32_e32 v40, 0, v83
	v_mul_f32_e32 v59, v44, v62
	s_waitcnt vmcnt(10)
	v_fma_f32 v38, v41, v72, -v38
	v_fmac_f32_e32 v85, v42, v72
	v_add_f32_e32 v37, v37, v39
	v_add_f32_e32 v39, v40, v84
	;; [unrolled: 6-line block ×7, first 2 shown]
	v_mul_f32_e32 v41, v56, v68
	s_waitcnt vmcnt(4)
	v_fma_f32 v39, v53, v78, -v39
	v_mul_f32_e32 v92, v55, v68
	v_add_f32_e32 v37, v37, v40
	v_fmac_f32_e32 v91, v54, v78
	v_add_f32_e32 v38, v38, v90
	s_waitcnt lgkmcnt(0)
	v_mul_f32_e32 v40, v58, v69
	s_waitcnt vmcnt(3)
	v_fma_f32 v41, v55, v79, -v41
	v_add_f32_e32 v37, v37, v39
	v_mul_f32_e32 v93, v57, v69
	v_fmac_f32_e32 v92, v56, v79
	v_add_f32_e32 v38, v38, v91
	s_waitcnt vmcnt(2)
	v_fma_f32 v39, v57, v80, -v40
	v_add_f32_e32 v37, v37, v41
	v_fmac_f32_e32 v93, v58, v80
	v_add_f32_e32 v38, v38, v92
	v_add_f32_e32 v37, v37, v39
	;; [unrolled: 1-line block ×3, first 2 shown]
	s_waitcnt vmcnt(1)
	v_sub_f32_e32 v37, v81, v37
	s_waitcnt vmcnt(0)
	v_sub_f32_e32 v38, v82, v38
	buffer_store_dword v37, off, s[0:3], 0 offset:40
	buffer_store_dword v38, off, s[0:3], 0 offset:44
	v_cmpx_lt_u32_e32 4, v0
	s_cbranch_execz .LBB80_107
; %bb.106:
	s_clause 0x1
	buffer_load_dword v37, off, s[0:3], 0 offset:32
	buffer_load_dword v38, off, s[0:3], 0 offset:36
	buffer_store_dword v36, off, s[0:3], 0 offset:32
	buffer_store_dword v36, off, s[0:3], 0 offset:36
	s_waitcnt vmcnt(0)
	ds_write_b64 v35, v[37:38]
.LBB80_107:
	s_or_b32 exec_lo, exec_lo, s4
	s_waitcnt lgkmcnt(0)
	s_waitcnt_vscnt null, 0x0
	s_barrier
	buffer_gl0_inv
	s_clause 0x19
	buffer_load_dword v61, off, s[0:3], 0 offset:44
	buffer_load_dword v62, off, s[0:3], 0 offset:52
	;; [unrolled: 1-line block ×26, first 2 shown]
	ds_read2_b64 v[37:40], v36 offset0:23 offset1:24
	ds_read2_b64 v[41:44], v36 offset0:25 offset1:26
	;; [unrolled: 1-line block ×6, first 2 shown]
	s_mov_b32 s4, exec_lo
	s_waitcnt vmcnt(25) lgkmcnt(5)
	v_mul_f32_e32 v36, v37, v61
	v_mul_f32_e32 v61, v38, v61
	s_waitcnt vmcnt(24)
	v_mul_f32_e32 v87, v39, v62
	v_mul_f32_e32 v62, v40, v62
	s_waitcnt vmcnt(23) lgkmcnt(4)
	v_mul_f32_e32 v88, v41, v63
	s_waitcnt vmcnt(22)
	v_mul_f32_e32 v89, v43, v64
	s_waitcnt vmcnt(21) lgkmcnt(3)
	v_mul_f32_e32 v90, v45, v65
	s_waitcnt vmcnt(20)
	v_mul_f32_e32 v91, v47, v66
	s_waitcnt vmcnt(19) lgkmcnt(2)
	v_mul_f32_e32 v92, v49, v67
	s_waitcnt vmcnt(18)
	v_mul_f32_e32 v93, v51, v68
	s_waitcnt vmcnt(17) lgkmcnt(1)
	v_mul_f32_e32 v94, v53, v69
	s_waitcnt vmcnt(16)
	v_mul_f32_e32 v95, v55, v70
	s_waitcnt vmcnt(13)
	v_fma_f32 v37, v37, v73, -v61
	v_fmac_f32_e32 v36, v38, v73
	v_mul_f32_e32 v38, v42, v63
	s_waitcnt vmcnt(12)
	v_fma_f32 v39, v39, v74, -v62
	v_fmac_f32_e32 v87, v40, v74
	v_add_f32_e32 v37, 0, v37
	v_add_f32_e32 v36, 0, v36
	v_mul_f32_e32 v40, v44, v64
	s_waitcnt vmcnt(11)
	v_fma_f32 v38, v41, v75, -v38
	v_fmac_f32_e32 v88, v42, v75
	v_add_f32_e32 v37, v37, v39
	v_add_f32_e32 v36, v36, v87
	;; [unrolled: 6-line block ×8, first 2 shown]
	s_waitcnt lgkmcnt(0)
	v_mul_f32_e32 v39, v58, v71
	s_waitcnt vmcnt(4)
	v_fma_f32 v40, v55, v82, -v40
	v_mul_f32_e32 v96, v57, v71
	v_add_f32_e32 v37, v37, v38
	v_fmac_f32_e32 v95, v56, v82
	v_add_f32_e32 v36, v36, v94
	v_mul_f32_e32 v38, v60, v72
	s_waitcnt vmcnt(3)
	v_fma_f32 v39, v57, v83, -v39
	v_add_f32_e32 v37, v37, v40
	v_mul_f32_e32 v97, v59, v72
	v_fmac_f32_e32 v96, v58, v83
	v_add_f32_e32 v36, v36, v95
	s_waitcnt vmcnt(2)
	v_fma_f32 v38, v59, v84, -v38
	v_add_f32_e32 v37, v37, v39
	v_fmac_f32_e32 v97, v60, v84
	v_add_f32_e32 v36, v36, v96
	v_add_f32_e32 v37, v37, v38
	;; [unrolled: 1-line block ×3, first 2 shown]
	s_waitcnt vmcnt(1)
	v_sub_f32_e32 v37, v85, v37
	s_waitcnt vmcnt(0)
	v_sub_f32_e32 v36, v86, v36
	buffer_store_dword v37, off, s[0:3], 0 offset:32
	buffer_store_dword v36, off, s[0:3], 0 offset:36
	v_cmpx_lt_u32_e32 3, v0
	s_cbranch_execz .LBB80_109
; %bb.108:
	s_clause 0x1
	buffer_load_dword v36, off, s[0:3], 0 offset:24
	buffer_load_dword v37, off, s[0:3], 0 offset:28
	v_mov_b32_e32 v38, 0
	buffer_store_dword v38, off, s[0:3], 0 offset:24
	buffer_store_dword v38, off, s[0:3], 0 offset:28
	s_waitcnt vmcnt(0)
	ds_write_b64 v35, v[36:37]
.LBB80_109:
	s_or_b32 exec_lo, exec_lo, s4
	s_waitcnt lgkmcnt(0)
	s_waitcnt_vscnt null, 0x0
	s_barrier
	buffer_gl0_inv
	s_clause 0x1b
	buffer_load_dword v63, off, s[0:3], 0 offset:36
	buffer_load_dword v64, off, s[0:3], 0 offset:44
	;; [unrolled: 1-line block ×28, first 2 shown]
	v_mov_b32_e32 v36, 0
	ds_read_b128 v[37:40], v36 offset:176
	ds_read_b128 v[41:44], v36 offset:192
	;; [unrolled: 1-line block ×6, first 2 shown]
	ds_read_b64 v[61:62], v36 offset:272
	s_mov_b32 s4, exec_lo
	s_waitcnt vmcnt(27) lgkmcnt(6)
	v_mul_f32_e32 v91, v37, v63
	v_mul_f32_e32 v63, v38, v63
	s_waitcnt vmcnt(26)
	v_mul_f32_e32 v92, v39, v64
	v_mul_f32_e32 v64, v40, v64
	s_waitcnt vmcnt(25) lgkmcnt(5)
	v_mul_f32_e32 v93, v41, v65
	s_waitcnt vmcnt(24)
	v_mul_f32_e32 v94, v43, v66
	s_waitcnt vmcnt(23) lgkmcnt(4)
	v_mul_f32_e32 v95, v45, v67
	s_waitcnt vmcnt(22)
	;; [unrolled: 4-line block ×5, first 2 shown]
	v_fma_f32 v37, v37, v76, -v63
	v_fmac_f32_e32 v91, v38, v76
	v_mul_f32_e32 v38, v42, v65
	s_waitcnt vmcnt(13)
	v_fma_f32 v39, v39, v77, -v64
	v_fmac_f32_e32 v92, v40, v77
	v_add_f32_e32 v37, 0, v37
	v_add_f32_e32 v40, 0, v91
	v_mul_f32_e32 v63, v44, v66
	s_waitcnt vmcnt(12)
	v_fma_f32 v38, v41, v78, -v38
	v_fmac_f32_e32 v93, v42, v78
	v_add_f32_e32 v37, v37, v39
	v_add_f32_e32 v39, v40, v92
	;; [unrolled: 6-line block ×9, first 2 shown]
	v_mul_f32_e32 v39, v60, v74
	s_waitcnt vmcnt(4)
	v_fma_f32 v40, v57, v86, -v40
	v_mul_f32_e32 v102, v59, v74
	v_add_f32_e32 v37, v37, v41
	v_fmac_f32_e32 v101, v58, v86
	v_add_f32_e32 v38, v38, v100
	s_waitcnt lgkmcnt(0)
	v_mul_f32_e32 v41, v62, v75
	s_waitcnt vmcnt(3)
	v_fma_f32 v39, v59, v87, -v39
	v_add_f32_e32 v37, v37, v40
	v_mul_f32_e32 v103, v61, v75
	v_fmac_f32_e32 v102, v60, v87
	v_add_f32_e32 v38, v38, v101
	s_waitcnt vmcnt(2)
	v_fma_f32 v40, v61, v88, -v41
	v_add_f32_e32 v37, v37, v39
	v_fmac_f32_e32 v103, v62, v88
	v_add_f32_e32 v38, v38, v102
	v_add_f32_e32 v37, v37, v40
	;; [unrolled: 1-line block ×3, first 2 shown]
	s_waitcnt vmcnt(1)
	v_sub_f32_e32 v37, v89, v37
	s_waitcnt vmcnt(0)
	v_sub_f32_e32 v38, v90, v38
	buffer_store_dword v37, off, s[0:3], 0 offset:24
	buffer_store_dword v38, off, s[0:3], 0 offset:28
	v_cmpx_lt_u32_e32 2, v0
	s_cbranch_execz .LBB80_111
; %bb.110:
	s_clause 0x1
	buffer_load_dword v37, off, s[0:3], 0 offset:16
	buffer_load_dword v38, off, s[0:3], 0 offset:20
	buffer_store_dword v36, off, s[0:3], 0 offset:16
	buffer_store_dword v36, off, s[0:3], 0 offset:20
	s_waitcnt vmcnt(0)
	ds_write_b64 v35, v[37:38]
.LBB80_111:
	s_or_b32 exec_lo, exec_lo, s4
	s_waitcnt lgkmcnt(0)
	s_waitcnt_vscnt null, 0x0
	s_barrier
	buffer_gl0_inv
	s_clause 0x1d
	buffer_load_dword v65, off, s[0:3], 0 offset:28
	buffer_load_dword v66, off, s[0:3], 0 offset:36
	;; [unrolled: 1-line block ×30, first 2 shown]
	ds_read2_b64 v[37:40], v36 offset0:21 offset1:22
	ds_read2_b64 v[41:44], v36 offset0:23 offset1:24
	;; [unrolled: 1-line block ×7, first 2 shown]
	s_mov_b32 s4, exec_lo
	s_waitcnt vmcnt(29) lgkmcnt(6)
	v_mul_f32_e32 v36, v37, v65
	v_mul_f32_e32 v65, v38, v65
	s_waitcnt vmcnt(28)
	v_mul_f32_e32 v95, v39, v66
	v_mul_f32_e32 v66, v40, v66
	s_waitcnt vmcnt(27) lgkmcnt(5)
	v_mul_f32_e32 v96, v41, v67
	s_waitcnt vmcnt(26)
	v_mul_f32_e32 v97, v43, v68
	s_waitcnt vmcnt(25) lgkmcnt(4)
	v_mul_f32_e32 v98, v45, v69
	s_waitcnt vmcnt(24)
	;; [unrolled: 4-line block ×5, first 2 shown]
	v_mul_f32_e32 v105, v59, v76
	s_waitcnt vmcnt(15)
	v_fma_f32 v37, v37, v79, -v65
	v_fmac_f32_e32 v36, v38, v79
	v_mul_f32_e32 v38, v42, v67
	s_waitcnt vmcnt(14)
	v_fma_f32 v39, v39, v80, -v66
	v_fmac_f32_e32 v95, v40, v80
	v_add_f32_e32 v37, 0, v37
	v_add_f32_e32 v36, 0, v36
	v_mul_f32_e32 v40, v44, v68
	s_waitcnt vmcnt(13)
	v_fma_f32 v38, v41, v81, -v38
	v_fmac_f32_e32 v96, v42, v81
	v_add_f32_e32 v37, v37, v39
	v_add_f32_e32 v36, v36, v95
	;; [unrolled: 6-line block ×10, first 2 shown]
	s_waitcnt lgkmcnt(0)
	v_mul_f32_e32 v40, v62, v77
	s_waitcnt vmcnt(4)
	v_fma_f32 v38, v59, v90, -v38
	v_mul_f32_e32 v106, v61, v77
	v_add_f32_e32 v37, v37, v39
	v_fmac_f32_e32 v105, v60, v90
	v_add_f32_e32 v36, v36, v104
	v_mul_f32_e32 v39, v64, v78
	s_waitcnt vmcnt(3)
	v_fma_f32 v40, v61, v91, -v40
	v_add_f32_e32 v37, v37, v38
	v_mul_f32_e32 v107, v63, v78
	v_fmac_f32_e32 v106, v62, v91
	v_add_f32_e32 v36, v36, v105
	s_waitcnt vmcnt(2)
	v_fma_f32 v38, v63, v92, -v39
	v_add_f32_e32 v37, v37, v40
	v_fmac_f32_e32 v107, v64, v92
	v_add_f32_e32 v36, v36, v106
	v_add_f32_e32 v37, v37, v38
	v_add_f32_e32 v36, v36, v107
	s_waitcnt vmcnt(1)
	v_sub_f32_e32 v37, v93, v37
	s_waitcnt vmcnt(0)
	v_sub_f32_e32 v36, v94, v36
	buffer_store_dword v37, off, s[0:3], 0 offset:16
	buffer_store_dword v36, off, s[0:3], 0 offset:20
	v_cmpx_lt_u32_e32 1, v0
	s_cbranch_execz .LBB80_113
; %bb.112:
	s_clause 0x1
	buffer_load_dword v36, off, s[0:3], 0 offset:8
	buffer_load_dword v37, off, s[0:3], 0 offset:12
	v_mov_b32_e32 v38, 0
	buffer_store_dword v38, off, s[0:3], 0 offset:8
	buffer_store_dword v38, off, s[0:3], 0 offset:12
	s_waitcnt vmcnt(0)
	ds_write_b64 v35, v[36:37]
.LBB80_113:
	s_or_b32 exec_lo, exec_lo, s4
	s_waitcnt lgkmcnt(0)
	s_waitcnt_vscnt null, 0x0
	s_barrier
	buffer_gl0_inv
	s_clause 0x1f
	buffer_load_dword v67, off, s[0:3], 0 offset:20
	buffer_load_dword v68, off, s[0:3], 0 offset:28
	;; [unrolled: 1-line block ×32, first 2 shown]
	v_mov_b32_e32 v36, 0
	ds_read_b128 v[37:40], v36 offset:160
	ds_read_b128 v[41:44], v36 offset:176
	;; [unrolled: 1-line block ×7, first 2 shown]
	ds_read_b64 v[65:66], v36 offset:272
	s_mov_b32 s4, exec_lo
	s_waitcnt vmcnt(31) lgkmcnt(7)
	v_mul_f32_e32 v99, v37, v67
	v_mul_f32_e32 v67, v38, v67
	s_waitcnt vmcnt(30)
	v_mul_f32_e32 v100, v39, v68
	v_mul_f32_e32 v68, v40, v68
	s_waitcnt vmcnt(29) lgkmcnt(6)
	v_mul_f32_e32 v101, v41, v69
	s_waitcnt vmcnt(28)
	v_mul_f32_e32 v102, v43, v70
	s_waitcnt vmcnt(27) lgkmcnt(5)
	v_mul_f32_e32 v103, v45, v71
	s_waitcnt vmcnt(26)
	;; [unrolled: 4-line block ×6, first 2 shown]
	v_fma_f32 v37, v37, v82, -v67
	v_fmac_f32_e32 v99, v38, v82
	v_mul_f32_e32 v38, v42, v69
	s_waitcnt vmcnt(15)
	v_fma_f32 v39, v39, v83, -v68
	v_fmac_f32_e32 v100, v40, v83
	v_add_f32_e32 v37, 0, v37
	v_add_f32_e32 v40, 0, v99
	v_mul_f32_e32 v67, v44, v70
	s_waitcnt vmcnt(14)
	v_fma_f32 v38, v41, v84, -v38
	v_fmac_f32_e32 v101, v42, v84
	v_add_f32_e32 v37, v37, v39
	v_add_f32_e32 v39, v40, v100
	;; [unrolled: 6-line block ×11, first 2 shown]
	v_mul_f32_e32 v40, v64, v80
	s_waitcnt vmcnt(4)
	v_fma_f32 v41, v61, v94, -v41
	v_mul_f32_e32 v112, v63, v80
	v_add_f32_e32 v37, v37, v39
	v_fmac_f32_e32 v111, v62, v94
	v_add_f32_e32 v38, v38, v110
	s_waitcnt lgkmcnt(0)
	v_mul_f32_e32 v39, v66, v81
	s_waitcnt vmcnt(3)
	v_fma_f32 v40, v63, v95, -v40
	v_add_f32_e32 v37, v37, v41
	v_mul_f32_e32 v113, v65, v81
	v_fmac_f32_e32 v112, v64, v95
	v_add_f32_e32 v38, v38, v111
	s_waitcnt vmcnt(2)
	v_fma_f32 v39, v65, v96, -v39
	v_add_f32_e32 v37, v37, v40
	v_fmac_f32_e32 v113, v66, v96
	v_add_f32_e32 v38, v38, v112
	v_add_f32_e32 v37, v37, v39
	;; [unrolled: 1-line block ×3, first 2 shown]
	s_waitcnt vmcnt(1)
	v_sub_f32_e32 v37, v97, v37
	s_waitcnt vmcnt(0)
	v_sub_f32_e32 v38, v98, v38
	buffer_store_dword v37, off, s[0:3], 0 offset:8
	buffer_store_dword v38, off, s[0:3], 0 offset:12
	v_cmpx_ne_u32_e32 0, v0
	s_cbranch_execz .LBB80_115
; %bb.114:
	s_clause 0x1
	buffer_load_dword v37, off, s[0:3], 0
	buffer_load_dword v38, off, s[0:3], 0 offset:4
	buffer_store_dword v36, off, s[0:3], 0
	buffer_store_dword v36, off, s[0:3], 0 offset:4
	s_waitcnt vmcnt(0)
	ds_write_b64 v35, v[37:38]
.LBB80_115:
	s_or_b32 exec_lo, exec_lo, s4
	s_waitcnt lgkmcnt(0)
	s_waitcnt_vscnt null, 0x0
	s_barrier
	buffer_gl0_inv
	s_clause 0x21
	buffer_load_dword v69, off, s[0:3], 0 offset:12
	buffer_load_dword v70, off, s[0:3], 0 offset:20
	;; [unrolled: 1-line block ×32, first 2 shown]
	buffer_load_dword v99, off, s[0:3], 0
	buffer_load_dword v100, off, s[0:3], 0 offset:4
	ds_read2_b64 v[37:40], v36 offset0:19 offset1:20
	ds_read2_b64 v[41:44], v36 offset0:21 offset1:22
	;; [unrolled: 1-line block ×8, first 2 shown]
	s_and_b32 vcc_lo, exec_lo, s16
	s_waitcnt vmcnt(33) lgkmcnt(7)
	v_mul_f32_e32 v36, v37, v69
	v_mul_f32_e32 v69, v38, v69
	s_waitcnt vmcnt(32)
	v_mul_f32_e32 v101, v39, v70
	v_mul_f32_e32 v70, v40, v70
	s_waitcnt vmcnt(31) lgkmcnt(6)
	v_mul_f32_e32 v102, v41, v71
	s_waitcnt vmcnt(30)
	v_mul_f32_e32 v103, v43, v72
	s_waitcnt vmcnt(29) lgkmcnt(5)
	v_mul_f32_e32 v104, v45, v73
	s_waitcnt vmcnt(28)
	;; [unrolled: 4-line block ×6, first 2 shown]
	v_mul_f32_e32 v113, v63, v82
	s_waitcnt vmcnt(17)
	v_fma_f32 v37, v37, v84, -v69
	v_fmac_f32_e32 v36, v38, v84
	v_mul_f32_e32 v38, v42, v71
	s_waitcnt vmcnt(16)
	v_fma_f32 v39, v39, v85, -v70
	v_fmac_f32_e32 v101, v40, v85
	v_add_f32_e32 v37, 0, v37
	v_add_f32_e32 v36, 0, v36
	v_mul_f32_e32 v40, v44, v72
	s_waitcnt vmcnt(15)
	v_fma_f32 v38, v41, v86, -v38
	v_fmac_f32_e32 v102, v42, v86
	v_add_f32_e32 v37, v37, v39
	v_add_f32_e32 v36, v36, v101
	;; [unrolled: 6-line block ×12, first 2 shown]
	s_waitcnt lgkmcnt(0)
	v_mul_f32_e32 v38, v66, v0
	s_waitcnt vmcnt(4)
	v_fma_f32 v39, v63, v97, -v39
	v_mul_f32_e32 v114, v65, v0
	v_add_f32_e32 v37, v37, v40
	v_fmac_f32_e32 v113, v64, v97
	v_add_f32_e32 v36, v36, v112
	v_mul_f32_e32 v40, v68, v83
	s_waitcnt vmcnt(3)
	v_fma_f32 v38, v65, v35, -v38
	v_add_f32_e32 v37, v37, v39
	v_mul_f32_e32 v115, v67, v83
	v_fmac_f32_e32 v114, v66, v35
	v_add_f32_e32 v36, v36, v113
	s_waitcnt vmcnt(2)
	v_fma_f32 v39, v67, v98, -v40
	v_add_f32_e32 v37, v37, v38
	v_fmac_f32_e32 v115, v68, v98
	v_add_f32_e32 v36, v36, v114
	v_add_f32_e32 v37, v37, v39
	;; [unrolled: 1-line block ×3, first 2 shown]
	s_waitcnt vmcnt(1)
	v_sub_f32_e32 v37, v99, v37
	s_waitcnt vmcnt(0)
	v_sub_f32_e32 v36, v100, v36
	buffer_store_dword v37, off, s[0:3], 0
	buffer_store_dword v36, off, s[0:3], 0 offset:4
	s_cbranch_vccz .LBB80_148
; %bb.116:
	v_mov_b32_e32 v36, 0
	global_load_dword v37, v36, s[12:13] offset:60
	s_waitcnt vmcnt(0)
	v_add_nc_u32_e32 v37, -1, v37
	v_cmp_ne_u32_e32 vcc_lo, 15, v37
	s_cbranch_vccz .LBB80_118
; %bb.117:
	v_lshlrev_b32_e32 v37, 3, v37
	s_clause 0x1
	buffer_load_dword v38, v37, s[0:3], 0 offen
	buffer_load_dword v39, v37, s[0:3], 0 offen offset:4
	s_waitcnt vmcnt(1)
	buffer_store_dword v38, off, s[0:3], 0 offset:120
	s_waitcnt vmcnt(0)
	buffer_store_dword v39, off, s[0:3], 0 offset:124
	buffer_store_dword v35, v37, s[0:3], 0 offen
	buffer_store_dword v0, v37, s[0:3], 0 offen offset:4
.LBB80_118:
	global_load_dword v0, v36, s[12:13] offset:56
	s_waitcnt vmcnt(0)
	v_add_nc_u32_e32 v0, -1, v0
	v_cmp_eq_u32_e32 vcc_lo, 14, v0
	s_cbranch_vccnz .LBB80_120
; %bb.119:
	v_lshlrev_b32_e32 v0, 3, v0
	s_clause 0x3
	buffer_load_dword v35, v0, s[0:3], 0 offen
	buffer_load_dword v36, v0, s[0:3], 0 offen offset:4
	buffer_load_dword v37, off, s[0:3], 0 offset:116
	buffer_load_dword v38, off, s[0:3], 0 offset:112
	s_waitcnt vmcnt(3)
	buffer_store_dword v35, off, s[0:3], 0 offset:112
	s_waitcnt vmcnt(2)
	buffer_store_dword v36, off, s[0:3], 0 offset:116
	s_waitcnt vmcnt(1)
	buffer_store_dword v37, v0, s[0:3], 0 offen offset:4
	s_waitcnt vmcnt(0)
	buffer_store_dword v38, v0, s[0:3], 0 offen
.LBB80_120:
	v_mov_b32_e32 v0, 0
	global_load_dword v35, v0, s[12:13] offset:52
	s_waitcnt vmcnt(0)
	v_add_nc_u32_e32 v35, -1, v35
	v_cmp_eq_u32_e32 vcc_lo, 13, v35
	s_cbranch_vccnz .LBB80_122
; %bb.121:
	v_lshlrev_b32_e32 v35, 3, v35
	s_clause 0x3
	buffer_load_dword v36, v35, s[0:3], 0 offen
	buffer_load_dword v37, v35, s[0:3], 0 offen offset:4
	buffer_load_dword v38, off, s[0:3], 0 offset:104
	buffer_load_dword v39, off, s[0:3], 0 offset:108
	s_waitcnt vmcnt(3)
	buffer_store_dword v36, off, s[0:3], 0 offset:104
	s_waitcnt vmcnt(2)
	buffer_store_dword v37, off, s[0:3], 0 offset:108
	s_waitcnt vmcnt(1)
	buffer_store_dword v38, v35, s[0:3], 0 offen
	s_waitcnt vmcnt(0)
	buffer_store_dword v39, v35, s[0:3], 0 offen offset:4
.LBB80_122:
	global_load_dword v0, v0, s[12:13] offset:48
	s_waitcnt vmcnt(0)
	v_add_nc_u32_e32 v0, -1, v0
	v_cmp_eq_u32_e32 vcc_lo, 12, v0
	s_cbranch_vccnz .LBB80_124
; %bb.123:
	v_lshlrev_b32_e32 v0, 3, v0
	s_clause 0x3
	buffer_load_dword v35, v0, s[0:3], 0 offen
	buffer_load_dword v36, v0, s[0:3], 0 offen offset:4
	buffer_load_dword v37, off, s[0:3], 0 offset:100
	buffer_load_dword v38, off, s[0:3], 0 offset:96
	s_waitcnt vmcnt(3)
	buffer_store_dword v35, off, s[0:3], 0 offset:96
	s_waitcnt vmcnt(2)
	buffer_store_dword v36, off, s[0:3], 0 offset:100
	s_waitcnt vmcnt(1)
	buffer_store_dword v37, v0, s[0:3], 0 offen offset:4
	s_waitcnt vmcnt(0)
	buffer_store_dword v38, v0, s[0:3], 0 offen
.LBB80_124:
	v_mov_b32_e32 v0, 0
	global_load_dword v35, v0, s[12:13] offset:44
	s_waitcnt vmcnt(0)
	v_add_nc_u32_e32 v35, -1, v35
	v_cmp_eq_u32_e32 vcc_lo, 11, v35
	s_cbranch_vccnz .LBB80_126
; %bb.125:
	v_lshlrev_b32_e32 v35, 3, v35
	s_clause 0x3
	buffer_load_dword v36, v35, s[0:3], 0 offen
	buffer_load_dword v37, v35, s[0:3], 0 offen offset:4
	buffer_load_dword v38, off, s[0:3], 0 offset:88
	buffer_load_dword v39, off, s[0:3], 0 offset:92
	s_waitcnt vmcnt(3)
	buffer_store_dword v36, off, s[0:3], 0 offset:88
	s_waitcnt vmcnt(2)
	buffer_store_dword v37, off, s[0:3], 0 offset:92
	s_waitcnt vmcnt(1)
	buffer_store_dword v38, v35, s[0:3], 0 offen
	s_waitcnt vmcnt(0)
	buffer_store_dword v39, v35, s[0:3], 0 offen offset:4
.LBB80_126:
	;; [unrolled: 43-line block ×7, first 2 shown]
	global_load_dword v0, v0, s[12:13]
	s_waitcnt vmcnt(0)
	v_add_nc_u32_e32 v0, -1, v0
	v_cmp_eq_u32_e32 vcc_lo, 0, v0
	s_cbranch_vccnz .LBB80_148
; %bb.147:
	v_lshlrev_b32_e32 v0, 3, v0
	s_clause 0x3
	buffer_load_dword v35, v0, s[0:3], 0 offen
	buffer_load_dword v36, v0, s[0:3], 0 offen offset:4
	buffer_load_dword v37, off, s[0:3], 0 offset:4
	buffer_load_dword v38, off, s[0:3], 0
	s_waitcnt vmcnt(3)
	buffer_store_dword v35, off, s[0:3], 0
	s_waitcnt vmcnt(2)
	buffer_store_dword v36, off, s[0:3], 0 offset:4
	s_waitcnt vmcnt(1)
	buffer_store_dword v37, v0, s[0:3], 0 offen offset:4
	s_waitcnt vmcnt(0)
	buffer_store_dword v38, v0, s[0:3], 0 offen
.LBB80_148:
	s_clause 0x1
	buffer_load_dword v35, off, s[0:3], 0
	buffer_load_dword v36, off, s[0:3], 0 offset:4
	s_waitcnt vmcnt(0)
	flat_store_dwordx2 v[1:2], v[35:36]
	s_clause 0x1
	buffer_load_dword v0, off, s[0:3], 0 offset:8
	buffer_load_dword v1, off, s[0:3], 0 offset:12
	s_waitcnt vmcnt(0)
	flat_store_dwordx2 v[3:4], v[0:1]
	s_clause 0x1
	buffer_load_dword v0, off, s[0:3], 0 offset:16
	;; [unrolled: 5-line block ×16, first 2 shown]
	buffer_load_dword v1, off, s[0:3], 0 offset:132
	s_waitcnt vmcnt(0)
	flat_store_dwordx2 v[33:34], v[0:1]
	s_endpgm
	.section	.rodata,"a",@progbits
	.p2align	6, 0x0
	.amdhsa_kernel _ZN9rocsolver6v33100L18getri_kernel_smallILi17E19rocblas_complex_numIfEPKPS3_EEvT1_iilPiilS8_bb
		.amdhsa_group_segment_fixed_size 280
		.amdhsa_private_segment_fixed_size 144
		.amdhsa_kernarg_size 60
		.amdhsa_user_sgpr_count 6
		.amdhsa_user_sgpr_private_segment_buffer 1
		.amdhsa_user_sgpr_dispatch_ptr 0
		.amdhsa_user_sgpr_queue_ptr 0
		.amdhsa_user_sgpr_kernarg_segment_ptr 1
		.amdhsa_user_sgpr_dispatch_id 0
		.amdhsa_user_sgpr_flat_scratch_init 0
		.amdhsa_user_sgpr_private_segment_size 0
		.amdhsa_wavefront_size32 1
		.amdhsa_uses_dynamic_stack 0
		.amdhsa_system_sgpr_private_segment_wavefront_offset 1
		.amdhsa_system_sgpr_workgroup_id_x 1
		.amdhsa_system_sgpr_workgroup_id_y 0
		.amdhsa_system_sgpr_workgroup_id_z 0
		.amdhsa_system_sgpr_workgroup_info 0
		.amdhsa_system_vgpr_workitem_id 0
		.amdhsa_next_free_vgpr 116
		.amdhsa_next_free_sgpr 20
		.amdhsa_reserve_vcc 1
		.amdhsa_reserve_flat_scratch 0
		.amdhsa_float_round_mode_32 0
		.amdhsa_float_round_mode_16_64 0
		.amdhsa_float_denorm_mode_32 3
		.amdhsa_float_denorm_mode_16_64 3
		.amdhsa_dx10_clamp 1
		.amdhsa_ieee_mode 1
		.amdhsa_fp16_overflow 0
		.amdhsa_workgroup_processor_mode 1
		.amdhsa_memory_ordered 1
		.amdhsa_forward_progress 1
		.amdhsa_shared_vgpr_count 0
		.amdhsa_exception_fp_ieee_invalid_op 0
		.amdhsa_exception_fp_denorm_src 0
		.amdhsa_exception_fp_ieee_div_zero 0
		.amdhsa_exception_fp_ieee_overflow 0
		.amdhsa_exception_fp_ieee_underflow 0
		.amdhsa_exception_fp_ieee_inexact 0
		.amdhsa_exception_int_div_zero 0
	.end_amdhsa_kernel
	.section	.text._ZN9rocsolver6v33100L18getri_kernel_smallILi17E19rocblas_complex_numIfEPKPS3_EEvT1_iilPiilS8_bb,"axG",@progbits,_ZN9rocsolver6v33100L18getri_kernel_smallILi17E19rocblas_complex_numIfEPKPS3_EEvT1_iilPiilS8_bb,comdat
.Lfunc_end80:
	.size	_ZN9rocsolver6v33100L18getri_kernel_smallILi17E19rocblas_complex_numIfEPKPS3_EEvT1_iilPiilS8_bb, .Lfunc_end80-_ZN9rocsolver6v33100L18getri_kernel_smallILi17E19rocblas_complex_numIfEPKPS3_EEvT1_iilPiilS8_bb
                                        ; -- End function
	.set _ZN9rocsolver6v33100L18getri_kernel_smallILi17E19rocblas_complex_numIfEPKPS3_EEvT1_iilPiilS8_bb.num_vgpr, 116
	.set _ZN9rocsolver6v33100L18getri_kernel_smallILi17E19rocblas_complex_numIfEPKPS3_EEvT1_iilPiilS8_bb.num_agpr, 0
	.set _ZN9rocsolver6v33100L18getri_kernel_smallILi17E19rocblas_complex_numIfEPKPS3_EEvT1_iilPiilS8_bb.numbered_sgpr, 20
	.set _ZN9rocsolver6v33100L18getri_kernel_smallILi17E19rocblas_complex_numIfEPKPS3_EEvT1_iilPiilS8_bb.num_named_barrier, 0
	.set _ZN9rocsolver6v33100L18getri_kernel_smallILi17E19rocblas_complex_numIfEPKPS3_EEvT1_iilPiilS8_bb.private_seg_size, 144
	.set _ZN9rocsolver6v33100L18getri_kernel_smallILi17E19rocblas_complex_numIfEPKPS3_EEvT1_iilPiilS8_bb.uses_vcc, 1
	.set _ZN9rocsolver6v33100L18getri_kernel_smallILi17E19rocblas_complex_numIfEPKPS3_EEvT1_iilPiilS8_bb.uses_flat_scratch, 0
	.set _ZN9rocsolver6v33100L18getri_kernel_smallILi17E19rocblas_complex_numIfEPKPS3_EEvT1_iilPiilS8_bb.has_dyn_sized_stack, 0
	.set _ZN9rocsolver6v33100L18getri_kernel_smallILi17E19rocblas_complex_numIfEPKPS3_EEvT1_iilPiilS8_bb.has_recursion, 0
	.set _ZN9rocsolver6v33100L18getri_kernel_smallILi17E19rocblas_complex_numIfEPKPS3_EEvT1_iilPiilS8_bb.has_indirect_call, 0
	.section	.AMDGPU.csdata,"",@progbits
; Kernel info:
; codeLenInByte = 18312
; TotalNumSgprs: 22
; NumVgprs: 116
; ScratchSize: 144
; MemoryBound: 0
; FloatMode: 240
; IeeeMode: 1
; LDSByteSize: 280 bytes/workgroup (compile time only)
; SGPRBlocks: 0
; VGPRBlocks: 14
; NumSGPRsForWavesPerEU: 22
; NumVGPRsForWavesPerEU: 116
; Occupancy: 8
; WaveLimiterHint : 1
; COMPUTE_PGM_RSRC2:SCRATCH_EN: 1
; COMPUTE_PGM_RSRC2:USER_SGPR: 6
; COMPUTE_PGM_RSRC2:TRAP_HANDLER: 0
; COMPUTE_PGM_RSRC2:TGID_X_EN: 1
; COMPUTE_PGM_RSRC2:TGID_Y_EN: 0
; COMPUTE_PGM_RSRC2:TGID_Z_EN: 0
; COMPUTE_PGM_RSRC2:TIDIG_COMP_CNT: 0
	.section	.text._ZN9rocsolver6v33100L18getri_kernel_smallILi18E19rocblas_complex_numIfEPKPS3_EEvT1_iilPiilS8_bb,"axG",@progbits,_ZN9rocsolver6v33100L18getri_kernel_smallILi18E19rocblas_complex_numIfEPKPS3_EEvT1_iilPiilS8_bb,comdat
	.globl	_ZN9rocsolver6v33100L18getri_kernel_smallILi18E19rocblas_complex_numIfEPKPS3_EEvT1_iilPiilS8_bb ; -- Begin function _ZN9rocsolver6v33100L18getri_kernel_smallILi18E19rocblas_complex_numIfEPKPS3_EEvT1_iilPiilS8_bb
	.p2align	8
	.type	_ZN9rocsolver6v33100L18getri_kernel_smallILi18E19rocblas_complex_numIfEPKPS3_EEvT1_iilPiilS8_bb,@function
_ZN9rocsolver6v33100L18getri_kernel_smallILi18E19rocblas_complex_numIfEPKPS3_EEvT1_iilPiilS8_bb: ; @_ZN9rocsolver6v33100L18getri_kernel_smallILi18E19rocblas_complex_numIfEPKPS3_EEvT1_iilPiilS8_bb
; %bb.0:
	s_add_u32 s0, s0, s7
	s_addc_u32 s1, s1, 0
	s_mov_b32 s7, exec_lo
	v_cmpx_gt_u32_e32 18, v0
	s_cbranch_execz .LBB81_86
; %bb.1:
	s_clause 0x2
	s_load_dword s17, s[4:5], 0x38
	s_load_dwordx2 s[12:13], s[4:5], 0x0
	s_load_dwordx4 s[8:11], s[4:5], 0x28
	s_waitcnt lgkmcnt(0)
	s_bitcmp1_b32 s17, 8
	s_cselect_b32 s16, -1, 0
	s_ashr_i32 s7, s6, 31
	s_lshl_b64 s[14:15], s[6:7], 3
	s_add_u32 s12, s12, s14
	s_addc_u32 s13, s13, s15
	s_load_dwordx2 s[14:15], s[12:13], 0x0
	s_bfe_u32 s12, s17, 0x10008
	s_cmp_eq_u32 s12, 0
                                        ; implicit-def: $sgpr12_sgpr13
	s_cbranch_scc1 .LBB81_3
; %bb.2:
	s_clause 0x1
	s_load_dword s12, s[4:5], 0x20
	s_load_dwordx2 s[18:19], s[4:5], 0x18
	s_mul_i32 s13, s8, s7
	s_mul_hi_u32 s17, s8, s6
	s_mul_i32 s9, s9, s6
	s_add_i32 s13, s17, s13
	s_mul_i32 s8, s8, s6
	s_add_i32 s9, s13, s9
	s_lshl_b64 s[8:9], s[8:9], 2
	s_waitcnt lgkmcnt(0)
	s_ashr_i32 s13, s12, 31
	s_add_u32 s17, s18, s8
	s_addc_u32 s18, s19, s9
	s_lshl_b64 s[8:9], s[12:13], 2
	s_add_u32 s12, s17, s8
	s_addc_u32 s13, s18, s9
.LBB81_3:
	s_clause 0x1
	s_load_dwordx2 s[8:9], s[4:5], 0x8
	s_load_dword s4, s[4:5], 0x38
	v_lshlrev_b32_e32 v39, 3, v0
	s_waitcnt lgkmcnt(0)
	s_ashr_i32 s19, s8, 31
	s_mov_b32 s18, s8
	v_add3_u32 v9, s9, s9, v0
	s_lshl_b64 s[18:19], s[18:19], 3
	s_add_u32 s5, s14, s18
	s_addc_u32 s8, s15, s19
	v_add_co_u32 v1, s14, s5, v39
	v_add_co_ci_u32_e64 v2, null, s8, 0, s14
	s_mov_b32 s14, s9
	s_ashr_i32 s15, s9, 31
	v_ashrrev_i32_e32 v10, 31, v9
	flat_load_dwordx2 v[5:6], v[1:2]
	s_lshl_b64 s[14:15], s[14:15], 3
	v_add_nc_u32_e32 v12, s9, v9
	v_add_co_u32 v3, vcc_lo, v1, s14
	v_add_co_ci_u32_e64 v4, null, s15, v2, vcc_lo
	v_ashrrev_i32_e32 v13, 31, v12
	s_bitcmp0_b32 s4, 0
	s_waitcnt vmcnt(0) lgkmcnt(0)
	buffer_store_dword v6, off, s[0:3], 0 offset:4
	buffer_store_dword v5, off, s[0:3], 0
	flat_load_dwordx2 v[7:8], v[3:4]
	v_lshlrev_b64 v[5:6], 3, v[9:10]
	s_waitcnt vmcnt(0) lgkmcnt(0)
	buffer_store_dword v8, off, s[0:3], 0 offset:12
	buffer_store_dword v7, off, s[0:3], 0 offset:8
	v_add_co_u32 v5, vcc_lo, s5, v5
	v_add_co_ci_u32_e64 v6, null, s8, v6, vcc_lo
	v_lshlrev_b64 v[7:8], 3, v[12:13]
	flat_load_dwordx2 v[10:11], v[5:6]
	s_waitcnt vmcnt(0) lgkmcnt(0)
	buffer_store_dword v11, off, s[0:3], 0 offset:20
	buffer_store_dword v10, off, s[0:3], 0 offset:16
	v_add_co_u32 v7, vcc_lo, s5, v7
	v_add_co_ci_u32_e64 v8, null, s8, v8, vcc_lo
	v_add_nc_u32_e32 v11, s9, v12
	flat_load_dwordx2 v[13:14], v[7:8]
	s_waitcnt vmcnt(0) lgkmcnt(0)
	buffer_store_dword v14, off, s[0:3], 0 offset:28
	buffer_store_dword v13, off, s[0:3], 0 offset:24
	v_ashrrev_i32_e32 v12, 31, v11
	v_add_nc_u32_e32 v15, s9, v11
	v_lshlrev_b64 v[9:10], 3, v[11:12]
	v_ashrrev_i32_e32 v16, 31, v15
	v_add_nc_u32_e32 v18, s9, v15
	v_add_co_u32 v9, vcc_lo, s5, v9
	v_add_co_ci_u32_e64 v10, null, s8, v10, vcc_lo
	v_lshlrev_b64 v[11:12], 3, v[15:16]
	v_ashrrev_i32_e32 v19, 31, v18
	flat_load_dwordx2 v[13:14], v[9:10]
	s_waitcnt vmcnt(0) lgkmcnt(0)
	buffer_store_dword v14, off, s[0:3], 0 offset:36
	buffer_store_dword v13, off, s[0:3], 0 offset:32
	v_add_co_u32 v11, vcc_lo, s5, v11
	v_add_co_ci_u32_e64 v12, null, s8, v12, vcc_lo
	v_lshlrev_b64 v[13:14], 3, v[18:19]
	flat_load_dwordx2 v[16:17], v[11:12]
	s_waitcnt vmcnt(0) lgkmcnt(0)
	buffer_store_dword v17, off, s[0:3], 0 offset:44
	buffer_store_dword v16, off, s[0:3], 0 offset:40
	v_add_co_u32 v13, vcc_lo, s5, v13
	v_add_co_ci_u32_e64 v14, null, s8, v14, vcc_lo
	v_add_nc_u32_e32 v17, s9, v18
	flat_load_dwordx2 v[19:20], v[13:14]
	s_waitcnt vmcnt(0) lgkmcnt(0)
	buffer_store_dword v20, off, s[0:3], 0 offset:52
	buffer_store_dword v19, off, s[0:3], 0 offset:48
	v_ashrrev_i32_e32 v18, 31, v17
	v_add_nc_u32_e32 v21, s9, v17
	v_lshlrev_b64 v[15:16], 3, v[17:18]
	v_ashrrev_i32_e32 v22, 31, v21
	v_add_nc_u32_e32 v24, s9, v21
	v_add_co_u32 v15, vcc_lo, s5, v15
	v_add_co_ci_u32_e64 v16, null, s8, v16, vcc_lo
	v_lshlrev_b64 v[17:18], 3, v[21:22]
	v_ashrrev_i32_e32 v25, 31, v24
	flat_load_dwordx2 v[19:20], v[15:16]
	;; [unrolled: 27-line block ×4, first 2 shown]
	s_waitcnt vmcnt(0) lgkmcnt(0)
	buffer_store_dword v32, off, s[0:3], 0 offset:108
	buffer_store_dword v31, off, s[0:3], 0 offset:104
	v_add_co_u32 v29, vcc_lo, s5, v29
	v_add_co_ci_u32_e64 v30, null, s8, v30, vcc_lo
	v_lshlrev_b64 v[31:32], 3, v[36:37]
	flat_load_dwordx2 v[34:35], v[29:30]
	s_waitcnt vmcnt(0) lgkmcnt(0)
	buffer_store_dword v35, off, s[0:3], 0 offset:116
	buffer_store_dword v34, off, s[0:3], 0 offset:112
	v_add_co_u32 v31, vcc_lo, s5, v31
	v_add_co_ci_u32_e64 v32, null, s8, v32, vcc_lo
	v_add_nc_u32_e32 v35, s9, v36
	flat_load_dwordx2 v[37:38], v[31:32]
	s_waitcnt vmcnt(0) lgkmcnt(0)
	buffer_store_dword v38, off, s[0:3], 0 offset:124
	buffer_store_dword v37, off, s[0:3], 0 offset:120
	v_ashrrev_i32_e32 v36, 31, v35
	v_lshlrev_b64 v[33:34], 3, v[35:36]
	v_add_nc_u32_e32 v35, s9, v35
	v_add_co_u32 v33, vcc_lo, s5, v33
	v_add_co_ci_u32_e64 v34, null, s8, v34, vcc_lo
	v_ashrrev_i32_e32 v36, 31, v35
	flat_load_dwordx2 v[37:38], v[33:34]
	s_waitcnt vmcnt(0) lgkmcnt(0)
	buffer_store_dword v38, off, s[0:3], 0 offset:132
	buffer_store_dword v37, off, s[0:3], 0 offset:128
	v_lshlrev_b64 v[35:36], 3, v[35:36]
	v_add_co_u32 v35, vcc_lo, s5, v35
	v_add_co_ci_u32_e64 v36, null, s8, v36, vcc_lo
	s_mov_b32 s5, -1
	flat_load_dwordx2 v[37:38], v[35:36]
	s_waitcnt vmcnt(0) lgkmcnt(0)
	buffer_store_dword v38, off, s[0:3], 0 offset:140
	buffer_store_dword v37, off, s[0:3], 0 offset:136
	s_cbranch_scc1 .LBB81_84
; %bb.4:
	v_cmp_eq_u32_e64 s4, 0, v0
	s_and_saveexec_b32 s5, s4
; %bb.5:
	v_mov_b32_e32 v37, 0
	ds_write_b32 v37, v37 offset:288
; %bb.6:
	s_or_b32 exec_lo, exec_lo, s5
	v_lshl_add_u32 v41, v0, 3, 0
	s_waitcnt lgkmcnt(0)
	s_waitcnt_vscnt null, 0x0
	s_barrier
	buffer_gl0_inv
	s_clause 0x1
	buffer_load_dword v37, v41, s[0:3], 0 offen
	buffer_load_dword v38, v41, s[0:3], 0 offen offset:4
	s_waitcnt vmcnt(1)
	v_cmp_eq_f32_e32 vcc_lo, 0, v37
	s_waitcnt vmcnt(0)
	v_cmp_eq_f32_e64 s5, 0, v38
	s_and_b32 s5, vcc_lo, s5
	s_and_saveexec_b32 s8, s5
	s_cbranch_execz .LBB81_10
; %bb.7:
	v_mov_b32_e32 v37, 0
	s_mov_b32 s9, 0
	ds_read_b32 v38, v37 offset:288
	s_waitcnt lgkmcnt(0)
	v_readfirstlane_b32 s5, v38
	v_add_nc_u32_e32 v38, 1, v0
	s_cmp_eq_u32 s5, 0
	v_cmp_gt_i32_e32 vcc_lo, s5, v38
	s_cselect_b32 s14, -1, 0
	s_or_b32 s14, s14, vcc_lo
	s_and_b32 exec_lo, exec_lo, s14
	s_cbranch_execz .LBB81_10
; %bb.8:
	v_mov_b32_e32 v40, s5
.LBB81_9:                               ; =>This Inner Loop Header: Depth=1
	ds_cmpst_rtn_b32 v40, v37, v40, v38 offset:288
	s_waitcnt lgkmcnt(0)
	v_cmp_ne_u32_e32 vcc_lo, 0, v40
	v_cmp_le_i32_e64 s5, v40, v38
	s_and_b32 s5, vcc_lo, s5
	s_and_b32 s5, exec_lo, s5
	s_or_b32 s9, s5, s9
	s_andn2_b32 exec_lo, exec_lo, s9
	s_cbranch_execnz .LBB81_9
.LBB81_10:
	s_or_b32 exec_lo, exec_lo, s8
	v_mov_b32_e32 v37, 0
	s_barrier
	buffer_gl0_inv
	ds_read_b32 v38, v37 offset:288
	s_and_saveexec_b32 s5, s4
	s_cbranch_execz .LBB81_12
; %bb.11:
	s_lshl_b64 s[8:9], s[6:7], 2
	s_add_u32 s8, s10, s8
	s_addc_u32 s9, s11, s9
	s_waitcnt lgkmcnt(0)
	global_store_dword v37, v38, s[8:9]
.LBB81_12:
	s_or_b32 exec_lo, exec_lo, s5
	s_waitcnt lgkmcnt(0)
	v_cmp_ne_u32_e32 vcc_lo, 0, v38
	s_mov_b32 s5, 0
	s_cbranch_vccnz .LBB81_84
; %bb.13:
	s_clause 0x1
	buffer_load_dword v38, v41, s[0:3], 0 offen
	buffer_load_dword v40, v41, s[0:3], 0 offen offset:4
                                        ; implicit-def: $vgpr43
                                        ; implicit-def: $vgpr42
                                        ; implicit-def: $vgpr37
	s_waitcnt vmcnt(0)
	v_cmp_ngt_f32_e64 s5, |v38|, |v40|
	s_and_saveexec_b32 s8, s5
	s_xor_b32 s5, exec_lo, s8
	s_cbranch_execz .LBB81_15
; %bb.14:
	v_div_scale_f32 v37, null, v40, v40, v38
	v_div_scale_f32 v44, vcc_lo, v38, v40, v38
	v_rcp_f32_e32 v42, v37
	v_fma_f32 v43, -v37, v42, 1.0
	v_fmac_f32_e32 v42, v43, v42
	v_mul_f32_e32 v43, v44, v42
	v_fma_f32 v45, -v37, v43, v44
	v_fmac_f32_e32 v43, v45, v42
	v_fma_f32 v37, -v37, v43, v44
	v_div_fmas_f32 v37, v37, v42, v43
	v_div_fixup_f32 v37, v37, v40, v38
	v_fmac_f32_e32 v40, v38, v37
	v_div_scale_f32 v38, null, v40, v40, 1.0
	v_rcp_f32_e32 v42, v38
	v_fma_f32 v43, -v38, v42, 1.0
	v_fmac_f32_e32 v42, v43, v42
	v_div_scale_f32 v43, vcc_lo, 1.0, v40, 1.0
	v_mul_f32_e32 v44, v43, v42
	v_fma_f32 v45, -v38, v44, v43
	v_fmac_f32_e32 v44, v45, v42
	v_fma_f32 v38, -v38, v44, v43
	v_div_fmas_f32 v38, v38, v42, v44
	v_div_fixup_f32 v38, v38, v40, 1.0
                                        ; implicit-def: $vgpr40
	v_mul_f32_e32 v43, v37, v38
	v_xor_b32_e32 v42, 0x80000000, v38
                                        ; implicit-def: $vgpr38
	v_xor_b32_e32 v37, 0x80000000, v43
.LBB81_15:
	s_andn2_saveexec_b32 s5, s5
	s_cbranch_execz .LBB81_17
; %bb.16:
	v_div_scale_f32 v37, null, v38, v38, v40
	v_div_scale_f32 v44, vcc_lo, v40, v38, v40
	v_rcp_f32_e32 v42, v37
	v_fma_f32 v43, -v37, v42, 1.0
	v_fmac_f32_e32 v42, v43, v42
	v_mul_f32_e32 v43, v44, v42
	v_fma_f32 v45, -v37, v43, v44
	v_fmac_f32_e32 v43, v45, v42
	v_fma_f32 v37, -v37, v43, v44
	v_div_fmas_f32 v37, v37, v42, v43
	v_div_fixup_f32 v42, v37, v38, v40
	v_fmac_f32_e32 v38, v40, v42
	v_div_scale_f32 v37, null, v38, v38, 1.0
	v_div_scale_f32 v44, vcc_lo, 1.0, v38, 1.0
	v_rcp_f32_e32 v40, v37
	v_fma_f32 v43, -v37, v40, 1.0
	v_fmac_f32_e32 v40, v43, v40
	v_mul_f32_e32 v43, v44, v40
	v_fma_f32 v45, -v37, v43, v44
	v_fmac_f32_e32 v43, v45, v40
	v_fma_f32 v37, -v37, v43, v44
	v_div_fmas_f32 v37, v37, v40, v43
	v_div_fixup_f32 v43, v37, v38, 1.0
	v_xor_b32_e32 v37, 0x80000000, v43
	v_mul_f32_e64 v42, v42, -v43
.LBB81_17:
	s_or_b32 exec_lo, exec_lo, s5
	buffer_store_dword v43, v41, s[0:3], 0 offen
	buffer_store_dword v42, v41, s[0:3], 0 offen offset:4
	s_clause 0x1
	buffer_load_dword v44, off, s[0:3], 0 offset:12
	buffer_load_dword v43, off, s[0:3], 0 offset:8
	v_xor_b32_e32 v38, 0x80000000, v42
	v_add_nc_u32_e32 v40, 0x90, v39
	s_waitcnt vmcnt(0)
	ds_write2_b64 v39, v[37:38], v[43:44] offset1:18
	s_waitcnt lgkmcnt(0)
	s_waitcnt_vscnt null, 0x0
	s_barrier
	buffer_gl0_inv
	s_and_saveexec_b32 s5, s4
	s_cbranch_execz .LBB81_19
; %bb.18:
	s_clause 0x1
	buffer_load_dword v44, v41, s[0:3], 0 offen offset:4
	buffer_load_dword v45, v41, s[0:3], 0 offen
	ds_read_b64 v[37:38], v40
	v_mov_b32_e32 v42, 0
	ds_read_b64 v[42:43], v42 offset:8
	s_waitcnt vmcnt(1) lgkmcnt(1)
	v_mul_f32_e32 v46, v37, v44
	v_mul_f32_e32 v44, v38, v44
	s_waitcnt vmcnt(0)
	v_fmac_f32_e32 v46, v38, v45
	v_fma_f32 v37, v37, v45, -v44
	v_add_f32_e32 v38, 0, v46
	v_add_f32_e32 v37, 0, v37
	s_waitcnt lgkmcnt(0)
	v_mul_f32_e32 v44, v38, v43
	v_mul_f32_e32 v43, v37, v43
	v_fma_f32 v37, v37, v42, -v44
	v_fmac_f32_e32 v43, v38, v42
	buffer_store_dword v37, off, s[0:3], 0 offset:8
	buffer_store_dword v43, off, s[0:3], 0 offset:12
.LBB81_19:
	s_or_b32 exec_lo, exec_lo, s5
	s_waitcnt_vscnt null, 0x0
	s_barrier
	buffer_gl0_inv
	s_clause 0x1
	buffer_load_dword v37, off, s[0:3], 0 offset:16
	buffer_load_dword v38, off, s[0:3], 0 offset:20
	s_mov_b32 s5, exec_lo
	s_waitcnt vmcnt(0)
	ds_write_b64 v40, v[37:38]
	s_waitcnt lgkmcnt(0)
	s_barrier
	buffer_gl0_inv
	v_cmpx_gt_u32_e32 2, v0
	s_cbranch_execz .LBB81_23
; %bb.20:
	s_clause 0x1
	buffer_load_dword v42, v41, s[0:3], 0 offen offset:4
	buffer_load_dword v41, v41, s[0:3], 0 offen
	ds_read_b64 v[37:38], v40
	s_waitcnt vmcnt(1) lgkmcnt(0)
	v_mul_f32_e32 v43, v38, v42
	v_mul_f32_e32 v42, v37, v42
	s_waitcnt vmcnt(0)
	v_fma_f32 v37, v37, v41, -v43
	v_fmac_f32_e32 v42, v38, v41
	v_add_f32_e32 v38, 0, v37
	v_add_f32_e32 v37, 0, v42
	s_and_saveexec_b32 s8, s4
	s_cbranch_execz .LBB81_22
; %bb.21:
	s_clause 0x1
	buffer_load_dword v43, off, s[0:3], 0 offset:12
	buffer_load_dword v44, off, s[0:3], 0 offset:8
	v_mov_b32_e32 v41, 0
	ds_read_b64 v[41:42], v41 offset:152
	s_waitcnt vmcnt(1) lgkmcnt(0)
	v_mul_f32_e32 v45, v41, v43
	v_mul_f32_e32 v43, v42, v43
	s_waitcnt vmcnt(0)
	v_fmac_f32_e32 v45, v42, v44
	v_fma_f32 v41, v41, v44, -v43
	v_add_f32_e32 v37, v37, v45
	v_add_f32_e32 v38, v38, v41
.LBB81_22:
	s_or_b32 exec_lo, exec_lo, s8
	v_mov_b32_e32 v41, 0
	ds_read_b64 v[41:42], v41 offset:16
	s_waitcnt lgkmcnt(0)
	v_mul_f32_e32 v43, v37, v42
	v_mul_f32_e32 v42, v38, v42
	v_fma_f32 v38, v38, v41, -v43
	v_fmac_f32_e32 v42, v37, v41
	buffer_store_dword v38, off, s[0:3], 0 offset:16
	buffer_store_dword v42, off, s[0:3], 0 offset:20
.LBB81_23:
	s_or_b32 exec_lo, exec_lo, s5
	s_waitcnt_vscnt null, 0x0
	s_barrier
	buffer_gl0_inv
	s_clause 0x1
	buffer_load_dword v41, off, s[0:3], 0 offset:24
	buffer_load_dword v42, off, s[0:3], 0 offset:28
	v_add_nc_u32_e32 v37, -1, v0
	s_mov_b32 s4, exec_lo
	s_waitcnt vmcnt(0)
	ds_write_b64 v40, v[41:42]
	s_waitcnt lgkmcnt(0)
	s_barrier
	buffer_gl0_inv
	v_cmpx_gt_u32_e32 3, v0
	s_cbranch_execz .LBB81_27
; %bb.24:
	v_add_nc_u32_e32 v41, -1, v0
	v_add_nc_u32_e32 v42, 0x90, v39
	v_mov_b32_e32 v43, v39
	v_mov_b32_e32 v38, 0
	;; [unrolled: 1-line block ×3, first 2 shown]
	s_mov_b32 s5, 0
	.p2align	6
.LBB81_25:                              ; =>This Inner Loop Header: Depth=1
	s_clause 0x1
	buffer_load_dword v47, v43, s[0:3], 0 offen offset:4
	buffer_load_dword v48, v43, s[0:3], 0 offen
	ds_read_b64 v[45:46], v42
	v_add_nc_u32_e32 v41, 1, v41
	v_add_nc_u32_e32 v42, 8, v42
	;; [unrolled: 1-line block ×3, first 2 shown]
	v_cmp_lt_u32_e32 vcc_lo, 1, v41
	s_or_b32 s5, vcc_lo, s5
	s_waitcnt vmcnt(1) lgkmcnt(0)
	v_mul_f32_e32 v49, v46, v47
	v_mul_f32_e32 v47, v45, v47
	s_waitcnt vmcnt(0)
	v_fma_f32 v45, v45, v48, -v49
	v_fmac_f32_e32 v47, v46, v48
	v_add_f32_e32 v44, v44, v45
	v_add_f32_e32 v38, v38, v47
	s_andn2_b32 exec_lo, exec_lo, s5
	s_cbranch_execnz .LBB81_25
; %bb.26:
	s_or_b32 exec_lo, exec_lo, s5
	v_mov_b32_e32 v41, 0
	ds_read_b64 v[41:42], v41 offset:24
	s_waitcnt lgkmcnt(0)
	v_mul_f32_e32 v43, v38, v42
	v_mul_f32_e32 v42, v44, v42
	v_fma_f32 v43, v44, v41, -v43
	v_fmac_f32_e32 v42, v38, v41
	buffer_store_dword v43, off, s[0:3], 0 offset:24
	buffer_store_dword v42, off, s[0:3], 0 offset:28
.LBB81_27:
	s_or_b32 exec_lo, exec_lo, s4
	s_waitcnt_vscnt null, 0x0
	s_barrier
	buffer_gl0_inv
	s_clause 0x1
	buffer_load_dword v41, off, s[0:3], 0 offset:32
	buffer_load_dword v42, off, s[0:3], 0 offset:36
	s_mov_b32 s4, exec_lo
	s_waitcnt vmcnt(0)
	ds_write_b64 v40, v[41:42]
	s_waitcnt lgkmcnt(0)
	s_barrier
	buffer_gl0_inv
	v_cmpx_gt_u32_e32 4, v0
	s_cbranch_execz .LBB81_31
; %bb.28:
	v_add_nc_u32_e32 v41, -1, v0
	v_add_nc_u32_e32 v42, 0x90, v39
	v_mov_b32_e32 v43, v39
	v_mov_b32_e32 v38, 0
	;; [unrolled: 1-line block ×3, first 2 shown]
	s_mov_b32 s5, 0
	.p2align	6
.LBB81_29:                              ; =>This Inner Loop Header: Depth=1
	s_clause 0x1
	buffer_load_dword v47, v43, s[0:3], 0 offen offset:4
	buffer_load_dword v48, v43, s[0:3], 0 offen
	ds_read_b64 v[45:46], v42
	v_add_nc_u32_e32 v41, 1, v41
	v_add_nc_u32_e32 v42, 8, v42
	;; [unrolled: 1-line block ×3, first 2 shown]
	v_cmp_lt_u32_e32 vcc_lo, 2, v41
	s_or_b32 s5, vcc_lo, s5
	s_waitcnt vmcnt(1) lgkmcnt(0)
	v_mul_f32_e32 v49, v46, v47
	v_mul_f32_e32 v47, v45, v47
	s_waitcnt vmcnt(0)
	v_fma_f32 v45, v45, v48, -v49
	v_fmac_f32_e32 v47, v46, v48
	v_add_f32_e32 v44, v44, v45
	v_add_f32_e32 v38, v38, v47
	s_andn2_b32 exec_lo, exec_lo, s5
	s_cbranch_execnz .LBB81_29
; %bb.30:
	s_or_b32 exec_lo, exec_lo, s5
	v_mov_b32_e32 v41, 0
	ds_read_b64 v[41:42], v41 offset:32
	s_waitcnt lgkmcnt(0)
	v_mul_f32_e32 v43, v38, v42
	v_mul_f32_e32 v42, v44, v42
	v_fma_f32 v43, v44, v41, -v43
	v_fmac_f32_e32 v42, v38, v41
	buffer_store_dword v43, off, s[0:3], 0 offset:32
	buffer_store_dword v42, off, s[0:3], 0 offset:36
.LBB81_31:
	s_or_b32 exec_lo, exec_lo, s4
	s_waitcnt_vscnt null, 0x0
	s_barrier
	buffer_gl0_inv
	s_clause 0x1
	buffer_load_dword v41, off, s[0:3], 0 offset:40
	buffer_load_dword v42, off, s[0:3], 0 offset:44
	s_mov_b32 s4, exec_lo
	s_waitcnt vmcnt(0)
	ds_write_b64 v40, v[41:42]
	s_waitcnt lgkmcnt(0)
	s_barrier
	buffer_gl0_inv
	v_cmpx_gt_u32_e32 5, v0
	s_cbranch_execz .LBB81_35
; %bb.32:
	v_add_nc_u32_e32 v41, -1, v0
	v_add_nc_u32_e32 v42, 0x90, v39
	v_mov_b32_e32 v43, v39
	v_mov_b32_e32 v38, 0
	;; [unrolled: 1-line block ×3, first 2 shown]
	s_mov_b32 s5, 0
	.p2align	6
.LBB81_33:                              ; =>This Inner Loop Header: Depth=1
	s_clause 0x1
	buffer_load_dword v47, v43, s[0:3], 0 offen offset:4
	buffer_load_dword v48, v43, s[0:3], 0 offen
	ds_read_b64 v[45:46], v42
	v_add_nc_u32_e32 v41, 1, v41
	v_add_nc_u32_e32 v42, 8, v42
	;; [unrolled: 1-line block ×3, first 2 shown]
	v_cmp_lt_u32_e32 vcc_lo, 3, v41
	s_or_b32 s5, vcc_lo, s5
	s_waitcnt vmcnt(1) lgkmcnt(0)
	v_mul_f32_e32 v49, v46, v47
	v_mul_f32_e32 v47, v45, v47
	s_waitcnt vmcnt(0)
	v_fma_f32 v45, v45, v48, -v49
	v_fmac_f32_e32 v47, v46, v48
	v_add_f32_e32 v44, v44, v45
	v_add_f32_e32 v38, v38, v47
	s_andn2_b32 exec_lo, exec_lo, s5
	s_cbranch_execnz .LBB81_33
; %bb.34:
	s_or_b32 exec_lo, exec_lo, s5
	v_mov_b32_e32 v41, 0
	ds_read_b64 v[41:42], v41 offset:40
	s_waitcnt lgkmcnt(0)
	v_mul_f32_e32 v43, v38, v42
	v_mul_f32_e32 v42, v44, v42
	v_fma_f32 v43, v44, v41, -v43
	v_fmac_f32_e32 v42, v38, v41
	buffer_store_dword v43, off, s[0:3], 0 offset:40
	buffer_store_dword v42, off, s[0:3], 0 offset:44
.LBB81_35:
	s_or_b32 exec_lo, exec_lo, s4
	s_waitcnt_vscnt null, 0x0
	s_barrier
	buffer_gl0_inv
	s_clause 0x1
	buffer_load_dword v41, off, s[0:3], 0 offset:48
	buffer_load_dword v42, off, s[0:3], 0 offset:52
	s_mov_b32 s4, exec_lo
	s_waitcnt vmcnt(0)
	ds_write_b64 v40, v[41:42]
	s_waitcnt lgkmcnt(0)
	s_barrier
	buffer_gl0_inv
	v_cmpx_gt_u32_e32 6, v0
	s_cbranch_execz .LBB81_39
; %bb.36:
	v_add_nc_u32_e32 v41, -1, v0
	v_add_nc_u32_e32 v42, 0x90, v39
	v_mov_b32_e32 v43, v39
	v_mov_b32_e32 v38, 0
	;; [unrolled: 1-line block ×3, first 2 shown]
	s_mov_b32 s5, 0
	.p2align	6
.LBB81_37:                              ; =>This Inner Loop Header: Depth=1
	s_clause 0x1
	buffer_load_dword v47, v43, s[0:3], 0 offen offset:4
	buffer_load_dword v48, v43, s[0:3], 0 offen
	ds_read_b64 v[45:46], v42
	v_add_nc_u32_e32 v41, 1, v41
	v_add_nc_u32_e32 v42, 8, v42
	;; [unrolled: 1-line block ×3, first 2 shown]
	v_cmp_lt_u32_e32 vcc_lo, 4, v41
	s_or_b32 s5, vcc_lo, s5
	s_waitcnt vmcnt(1) lgkmcnt(0)
	v_mul_f32_e32 v49, v46, v47
	v_mul_f32_e32 v47, v45, v47
	s_waitcnt vmcnt(0)
	v_fma_f32 v45, v45, v48, -v49
	v_fmac_f32_e32 v47, v46, v48
	v_add_f32_e32 v44, v44, v45
	v_add_f32_e32 v38, v38, v47
	s_andn2_b32 exec_lo, exec_lo, s5
	s_cbranch_execnz .LBB81_37
; %bb.38:
	s_or_b32 exec_lo, exec_lo, s5
	v_mov_b32_e32 v41, 0
	ds_read_b64 v[41:42], v41 offset:48
	s_waitcnt lgkmcnt(0)
	v_mul_f32_e32 v43, v38, v42
	v_mul_f32_e32 v42, v44, v42
	v_fma_f32 v43, v44, v41, -v43
	v_fmac_f32_e32 v42, v38, v41
	buffer_store_dword v43, off, s[0:3], 0 offset:48
	buffer_store_dword v42, off, s[0:3], 0 offset:52
.LBB81_39:
	s_or_b32 exec_lo, exec_lo, s4
	s_waitcnt_vscnt null, 0x0
	s_barrier
	buffer_gl0_inv
	s_clause 0x1
	buffer_load_dword v41, off, s[0:3], 0 offset:56
	buffer_load_dword v42, off, s[0:3], 0 offset:60
	s_mov_b32 s4, exec_lo
	s_waitcnt vmcnt(0)
	ds_write_b64 v40, v[41:42]
	s_waitcnt lgkmcnt(0)
	s_barrier
	buffer_gl0_inv
	v_cmpx_gt_u32_e32 7, v0
	s_cbranch_execz .LBB81_43
; %bb.40:
	v_add_nc_u32_e32 v41, -1, v0
	v_add_nc_u32_e32 v42, 0x90, v39
	v_mov_b32_e32 v43, v39
	v_mov_b32_e32 v38, 0
	v_mov_b32_e32 v44, 0
	s_mov_b32 s5, 0
	.p2align	6
.LBB81_41:                              ; =>This Inner Loop Header: Depth=1
	s_clause 0x1
	buffer_load_dword v47, v43, s[0:3], 0 offen offset:4
	buffer_load_dword v48, v43, s[0:3], 0 offen
	ds_read_b64 v[45:46], v42
	v_add_nc_u32_e32 v41, 1, v41
	v_add_nc_u32_e32 v42, 8, v42
	;; [unrolled: 1-line block ×3, first 2 shown]
	v_cmp_lt_u32_e32 vcc_lo, 5, v41
	s_or_b32 s5, vcc_lo, s5
	s_waitcnt vmcnt(1) lgkmcnt(0)
	v_mul_f32_e32 v49, v46, v47
	v_mul_f32_e32 v47, v45, v47
	s_waitcnt vmcnt(0)
	v_fma_f32 v45, v45, v48, -v49
	v_fmac_f32_e32 v47, v46, v48
	v_add_f32_e32 v44, v44, v45
	v_add_f32_e32 v38, v38, v47
	s_andn2_b32 exec_lo, exec_lo, s5
	s_cbranch_execnz .LBB81_41
; %bb.42:
	s_or_b32 exec_lo, exec_lo, s5
	v_mov_b32_e32 v41, 0
	ds_read_b64 v[41:42], v41 offset:56
	s_waitcnt lgkmcnt(0)
	v_mul_f32_e32 v43, v38, v42
	v_mul_f32_e32 v42, v44, v42
	v_fma_f32 v43, v44, v41, -v43
	v_fmac_f32_e32 v42, v38, v41
	buffer_store_dword v43, off, s[0:3], 0 offset:56
	buffer_store_dword v42, off, s[0:3], 0 offset:60
.LBB81_43:
	s_or_b32 exec_lo, exec_lo, s4
	s_waitcnt_vscnt null, 0x0
	s_barrier
	buffer_gl0_inv
	s_clause 0x1
	buffer_load_dword v41, off, s[0:3], 0 offset:64
	buffer_load_dword v42, off, s[0:3], 0 offset:68
	s_mov_b32 s4, exec_lo
	s_waitcnt vmcnt(0)
	ds_write_b64 v40, v[41:42]
	s_waitcnt lgkmcnt(0)
	s_barrier
	buffer_gl0_inv
	v_cmpx_gt_u32_e32 8, v0
	s_cbranch_execz .LBB81_47
; %bb.44:
	v_add_nc_u32_e32 v41, -1, v0
	v_add_nc_u32_e32 v42, 0x90, v39
	v_mov_b32_e32 v43, v39
	v_mov_b32_e32 v38, 0
	v_mov_b32_e32 v44, 0
	s_mov_b32 s5, 0
	.p2align	6
.LBB81_45:                              ; =>This Inner Loop Header: Depth=1
	s_clause 0x1
	buffer_load_dword v47, v43, s[0:3], 0 offen offset:4
	buffer_load_dword v48, v43, s[0:3], 0 offen
	ds_read_b64 v[45:46], v42
	v_add_nc_u32_e32 v41, 1, v41
	v_add_nc_u32_e32 v42, 8, v42
	;; [unrolled: 1-line block ×3, first 2 shown]
	v_cmp_lt_u32_e32 vcc_lo, 6, v41
	s_or_b32 s5, vcc_lo, s5
	s_waitcnt vmcnt(1) lgkmcnt(0)
	v_mul_f32_e32 v49, v46, v47
	v_mul_f32_e32 v47, v45, v47
	s_waitcnt vmcnt(0)
	v_fma_f32 v45, v45, v48, -v49
	v_fmac_f32_e32 v47, v46, v48
	v_add_f32_e32 v44, v44, v45
	v_add_f32_e32 v38, v38, v47
	s_andn2_b32 exec_lo, exec_lo, s5
	s_cbranch_execnz .LBB81_45
; %bb.46:
	s_or_b32 exec_lo, exec_lo, s5
	v_mov_b32_e32 v41, 0
	ds_read_b64 v[41:42], v41 offset:64
	s_waitcnt lgkmcnt(0)
	v_mul_f32_e32 v43, v38, v42
	v_mul_f32_e32 v42, v44, v42
	v_fma_f32 v43, v44, v41, -v43
	v_fmac_f32_e32 v42, v38, v41
	buffer_store_dword v43, off, s[0:3], 0 offset:64
	buffer_store_dword v42, off, s[0:3], 0 offset:68
.LBB81_47:
	s_or_b32 exec_lo, exec_lo, s4
	s_waitcnt_vscnt null, 0x0
	s_barrier
	buffer_gl0_inv
	s_clause 0x1
	buffer_load_dword v41, off, s[0:3], 0 offset:72
	buffer_load_dword v42, off, s[0:3], 0 offset:76
	s_mov_b32 s4, exec_lo
	s_waitcnt vmcnt(0)
	ds_write_b64 v40, v[41:42]
	s_waitcnt lgkmcnt(0)
	s_barrier
	buffer_gl0_inv
	v_cmpx_gt_u32_e32 9, v0
	s_cbranch_execz .LBB81_51
; %bb.48:
	v_add_nc_u32_e32 v41, -1, v0
	v_add_nc_u32_e32 v42, 0x90, v39
	v_mov_b32_e32 v43, v39
	v_mov_b32_e32 v38, 0
	;; [unrolled: 1-line block ×3, first 2 shown]
	s_mov_b32 s5, 0
	.p2align	6
.LBB81_49:                              ; =>This Inner Loop Header: Depth=1
	s_clause 0x1
	buffer_load_dword v47, v43, s[0:3], 0 offen offset:4
	buffer_load_dword v48, v43, s[0:3], 0 offen
	ds_read_b64 v[45:46], v42
	v_add_nc_u32_e32 v41, 1, v41
	v_add_nc_u32_e32 v42, 8, v42
	v_add_nc_u32_e32 v43, 8, v43
	v_cmp_lt_u32_e32 vcc_lo, 7, v41
	s_or_b32 s5, vcc_lo, s5
	s_waitcnt vmcnt(1) lgkmcnt(0)
	v_mul_f32_e32 v49, v46, v47
	v_mul_f32_e32 v47, v45, v47
	s_waitcnt vmcnt(0)
	v_fma_f32 v45, v45, v48, -v49
	v_fmac_f32_e32 v47, v46, v48
	v_add_f32_e32 v44, v44, v45
	v_add_f32_e32 v38, v38, v47
	s_andn2_b32 exec_lo, exec_lo, s5
	s_cbranch_execnz .LBB81_49
; %bb.50:
	s_or_b32 exec_lo, exec_lo, s5
	v_mov_b32_e32 v41, 0
	ds_read_b64 v[41:42], v41 offset:72
	s_waitcnt lgkmcnt(0)
	v_mul_f32_e32 v43, v38, v42
	v_mul_f32_e32 v42, v44, v42
	v_fma_f32 v43, v44, v41, -v43
	v_fmac_f32_e32 v42, v38, v41
	buffer_store_dword v43, off, s[0:3], 0 offset:72
	buffer_store_dword v42, off, s[0:3], 0 offset:76
.LBB81_51:
	s_or_b32 exec_lo, exec_lo, s4
	s_waitcnt_vscnt null, 0x0
	s_barrier
	buffer_gl0_inv
	s_clause 0x1
	buffer_load_dword v41, off, s[0:3], 0 offset:80
	buffer_load_dword v42, off, s[0:3], 0 offset:84
	s_mov_b32 s4, exec_lo
	s_waitcnt vmcnt(0)
	ds_write_b64 v40, v[41:42]
	s_waitcnt lgkmcnt(0)
	s_barrier
	buffer_gl0_inv
	v_cmpx_gt_u32_e32 10, v0
	s_cbranch_execz .LBB81_55
; %bb.52:
	v_add_nc_u32_e32 v41, -1, v0
	v_add_nc_u32_e32 v42, 0x90, v39
	v_mov_b32_e32 v43, v39
	v_mov_b32_e32 v38, 0
	;; [unrolled: 1-line block ×3, first 2 shown]
	s_mov_b32 s5, 0
	.p2align	6
.LBB81_53:                              ; =>This Inner Loop Header: Depth=1
	s_clause 0x1
	buffer_load_dword v47, v43, s[0:3], 0 offen offset:4
	buffer_load_dword v48, v43, s[0:3], 0 offen
	ds_read_b64 v[45:46], v42
	v_add_nc_u32_e32 v41, 1, v41
	v_add_nc_u32_e32 v42, 8, v42
	v_add_nc_u32_e32 v43, 8, v43
	v_cmp_lt_u32_e32 vcc_lo, 8, v41
	s_or_b32 s5, vcc_lo, s5
	s_waitcnt vmcnt(1) lgkmcnt(0)
	v_mul_f32_e32 v49, v46, v47
	v_mul_f32_e32 v47, v45, v47
	s_waitcnt vmcnt(0)
	v_fma_f32 v45, v45, v48, -v49
	v_fmac_f32_e32 v47, v46, v48
	v_add_f32_e32 v44, v44, v45
	v_add_f32_e32 v38, v38, v47
	s_andn2_b32 exec_lo, exec_lo, s5
	s_cbranch_execnz .LBB81_53
; %bb.54:
	s_or_b32 exec_lo, exec_lo, s5
	v_mov_b32_e32 v41, 0
	ds_read_b64 v[41:42], v41 offset:80
	s_waitcnt lgkmcnt(0)
	v_mul_f32_e32 v43, v38, v42
	v_mul_f32_e32 v42, v44, v42
	v_fma_f32 v43, v44, v41, -v43
	v_fmac_f32_e32 v42, v38, v41
	buffer_store_dword v43, off, s[0:3], 0 offset:80
	buffer_store_dword v42, off, s[0:3], 0 offset:84
.LBB81_55:
	s_or_b32 exec_lo, exec_lo, s4
	s_waitcnt_vscnt null, 0x0
	s_barrier
	buffer_gl0_inv
	s_clause 0x1
	buffer_load_dword v41, off, s[0:3], 0 offset:88
	buffer_load_dword v42, off, s[0:3], 0 offset:92
	s_mov_b32 s4, exec_lo
	s_waitcnt vmcnt(0)
	ds_write_b64 v40, v[41:42]
	s_waitcnt lgkmcnt(0)
	s_barrier
	buffer_gl0_inv
	v_cmpx_gt_u32_e32 11, v0
	s_cbranch_execz .LBB81_59
; %bb.56:
	v_add_nc_u32_e32 v41, -1, v0
	v_add_nc_u32_e32 v42, 0x90, v39
	v_mov_b32_e32 v43, v39
	v_mov_b32_e32 v38, 0
	;; [unrolled: 1-line block ×3, first 2 shown]
	s_mov_b32 s5, 0
	.p2align	6
.LBB81_57:                              ; =>This Inner Loop Header: Depth=1
	s_clause 0x1
	buffer_load_dword v47, v43, s[0:3], 0 offen offset:4
	buffer_load_dword v48, v43, s[0:3], 0 offen
	ds_read_b64 v[45:46], v42
	v_add_nc_u32_e32 v41, 1, v41
	v_add_nc_u32_e32 v42, 8, v42
	;; [unrolled: 1-line block ×3, first 2 shown]
	v_cmp_lt_u32_e32 vcc_lo, 9, v41
	s_or_b32 s5, vcc_lo, s5
	s_waitcnt vmcnt(1) lgkmcnt(0)
	v_mul_f32_e32 v49, v46, v47
	v_mul_f32_e32 v47, v45, v47
	s_waitcnt vmcnt(0)
	v_fma_f32 v45, v45, v48, -v49
	v_fmac_f32_e32 v47, v46, v48
	v_add_f32_e32 v44, v44, v45
	v_add_f32_e32 v38, v38, v47
	s_andn2_b32 exec_lo, exec_lo, s5
	s_cbranch_execnz .LBB81_57
; %bb.58:
	s_or_b32 exec_lo, exec_lo, s5
	v_mov_b32_e32 v41, 0
	ds_read_b64 v[41:42], v41 offset:88
	s_waitcnt lgkmcnt(0)
	v_mul_f32_e32 v43, v38, v42
	v_mul_f32_e32 v42, v44, v42
	v_fma_f32 v43, v44, v41, -v43
	v_fmac_f32_e32 v42, v38, v41
	buffer_store_dword v43, off, s[0:3], 0 offset:88
	buffer_store_dword v42, off, s[0:3], 0 offset:92
.LBB81_59:
	s_or_b32 exec_lo, exec_lo, s4
	s_waitcnt_vscnt null, 0x0
	s_barrier
	buffer_gl0_inv
	s_clause 0x1
	buffer_load_dword v41, off, s[0:3], 0 offset:96
	buffer_load_dword v42, off, s[0:3], 0 offset:100
	s_mov_b32 s4, exec_lo
	s_waitcnt vmcnt(0)
	ds_write_b64 v40, v[41:42]
	s_waitcnt lgkmcnt(0)
	s_barrier
	buffer_gl0_inv
	v_cmpx_gt_u32_e32 12, v0
	s_cbranch_execz .LBB81_63
; %bb.60:
	v_add_nc_u32_e32 v41, -1, v0
	v_add_nc_u32_e32 v42, 0x90, v39
	v_mov_b32_e32 v43, v39
	v_mov_b32_e32 v38, 0
	;; [unrolled: 1-line block ×3, first 2 shown]
	s_mov_b32 s5, 0
	.p2align	6
.LBB81_61:                              ; =>This Inner Loop Header: Depth=1
	s_clause 0x1
	buffer_load_dword v47, v43, s[0:3], 0 offen offset:4
	buffer_load_dword v48, v43, s[0:3], 0 offen
	ds_read_b64 v[45:46], v42
	v_add_nc_u32_e32 v41, 1, v41
	v_add_nc_u32_e32 v42, 8, v42
	v_add_nc_u32_e32 v43, 8, v43
	v_cmp_lt_u32_e32 vcc_lo, 10, v41
	s_or_b32 s5, vcc_lo, s5
	s_waitcnt vmcnt(1) lgkmcnt(0)
	v_mul_f32_e32 v49, v46, v47
	v_mul_f32_e32 v47, v45, v47
	s_waitcnt vmcnt(0)
	v_fma_f32 v45, v45, v48, -v49
	v_fmac_f32_e32 v47, v46, v48
	v_add_f32_e32 v44, v44, v45
	v_add_f32_e32 v38, v38, v47
	s_andn2_b32 exec_lo, exec_lo, s5
	s_cbranch_execnz .LBB81_61
; %bb.62:
	s_or_b32 exec_lo, exec_lo, s5
	v_mov_b32_e32 v41, 0
	ds_read_b64 v[41:42], v41 offset:96
	s_waitcnt lgkmcnt(0)
	v_mul_f32_e32 v43, v38, v42
	v_mul_f32_e32 v42, v44, v42
	v_fma_f32 v43, v44, v41, -v43
	v_fmac_f32_e32 v42, v38, v41
	buffer_store_dword v43, off, s[0:3], 0 offset:96
	buffer_store_dword v42, off, s[0:3], 0 offset:100
.LBB81_63:
	s_or_b32 exec_lo, exec_lo, s4
	s_waitcnt_vscnt null, 0x0
	s_barrier
	buffer_gl0_inv
	s_clause 0x1
	buffer_load_dword v41, off, s[0:3], 0 offset:104
	buffer_load_dword v42, off, s[0:3], 0 offset:108
	s_mov_b32 s4, exec_lo
	s_waitcnt vmcnt(0)
	ds_write_b64 v40, v[41:42]
	s_waitcnt lgkmcnt(0)
	s_barrier
	buffer_gl0_inv
	v_cmpx_gt_u32_e32 13, v0
	s_cbranch_execz .LBB81_67
; %bb.64:
	v_add_nc_u32_e32 v41, -1, v0
	v_add_nc_u32_e32 v42, 0x90, v39
	v_mov_b32_e32 v43, v39
	v_mov_b32_e32 v38, 0
	;; [unrolled: 1-line block ×3, first 2 shown]
	s_mov_b32 s5, 0
	.p2align	6
.LBB81_65:                              ; =>This Inner Loop Header: Depth=1
	s_clause 0x1
	buffer_load_dword v47, v43, s[0:3], 0 offen offset:4
	buffer_load_dword v48, v43, s[0:3], 0 offen
	ds_read_b64 v[45:46], v42
	v_add_nc_u32_e32 v41, 1, v41
	v_add_nc_u32_e32 v42, 8, v42
	;; [unrolled: 1-line block ×3, first 2 shown]
	v_cmp_lt_u32_e32 vcc_lo, 11, v41
	s_or_b32 s5, vcc_lo, s5
	s_waitcnt vmcnt(1) lgkmcnt(0)
	v_mul_f32_e32 v49, v46, v47
	v_mul_f32_e32 v47, v45, v47
	s_waitcnt vmcnt(0)
	v_fma_f32 v45, v45, v48, -v49
	v_fmac_f32_e32 v47, v46, v48
	v_add_f32_e32 v44, v44, v45
	v_add_f32_e32 v38, v38, v47
	s_andn2_b32 exec_lo, exec_lo, s5
	s_cbranch_execnz .LBB81_65
; %bb.66:
	s_or_b32 exec_lo, exec_lo, s5
	v_mov_b32_e32 v41, 0
	ds_read_b64 v[41:42], v41 offset:104
	s_waitcnt lgkmcnt(0)
	v_mul_f32_e32 v43, v38, v42
	v_mul_f32_e32 v42, v44, v42
	v_fma_f32 v43, v44, v41, -v43
	v_fmac_f32_e32 v42, v38, v41
	buffer_store_dword v43, off, s[0:3], 0 offset:104
	buffer_store_dword v42, off, s[0:3], 0 offset:108
.LBB81_67:
	s_or_b32 exec_lo, exec_lo, s4
	s_waitcnt_vscnt null, 0x0
	s_barrier
	buffer_gl0_inv
	s_clause 0x1
	buffer_load_dword v41, off, s[0:3], 0 offset:112
	buffer_load_dword v42, off, s[0:3], 0 offset:116
	s_mov_b32 s4, exec_lo
	s_waitcnt vmcnt(0)
	ds_write_b64 v40, v[41:42]
	s_waitcnt lgkmcnt(0)
	s_barrier
	buffer_gl0_inv
	v_cmpx_gt_u32_e32 14, v0
	s_cbranch_execz .LBB81_71
; %bb.68:
	v_add_nc_u32_e32 v41, -1, v0
	v_add_nc_u32_e32 v42, 0x90, v39
	v_mov_b32_e32 v43, v39
	v_mov_b32_e32 v38, 0
	;; [unrolled: 1-line block ×3, first 2 shown]
	s_mov_b32 s5, 0
	.p2align	6
.LBB81_69:                              ; =>This Inner Loop Header: Depth=1
	s_clause 0x1
	buffer_load_dword v47, v43, s[0:3], 0 offen offset:4
	buffer_load_dword v48, v43, s[0:3], 0 offen
	ds_read_b64 v[45:46], v42
	v_add_nc_u32_e32 v41, 1, v41
	v_add_nc_u32_e32 v42, 8, v42
	v_add_nc_u32_e32 v43, 8, v43
	v_cmp_lt_u32_e32 vcc_lo, 12, v41
	s_or_b32 s5, vcc_lo, s5
	s_waitcnt vmcnt(1) lgkmcnt(0)
	v_mul_f32_e32 v49, v46, v47
	v_mul_f32_e32 v47, v45, v47
	s_waitcnt vmcnt(0)
	v_fma_f32 v45, v45, v48, -v49
	v_fmac_f32_e32 v47, v46, v48
	v_add_f32_e32 v44, v44, v45
	v_add_f32_e32 v38, v38, v47
	s_andn2_b32 exec_lo, exec_lo, s5
	s_cbranch_execnz .LBB81_69
; %bb.70:
	s_or_b32 exec_lo, exec_lo, s5
	v_mov_b32_e32 v41, 0
	ds_read_b64 v[41:42], v41 offset:112
	s_waitcnt lgkmcnt(0)
	v_mul_f32_e32 v43, v38, v42
	v_mul_f32_e32 v42, v44, v42
	v_fma_f32 v43, v44, v41, -v43
	v_fmac_f32_e32 v42, v38, v41
	buffer_store_dword v43, off, s[0:3], 0 offset:112
	buffer_store_dword v42, off, s[0:3], 0 offset:116
.LBB81_71:
	s_or_b32 exec_lo, exec_lo, s4
	s_waitcnt_vscnt null, 0x0
	s_barrier
	buffer_gl0_inv
	s_clause 0x1
	buffer_load_dword v41, off, s[0:3], 0 offset:120
	buffer_load_dword v42, off, s[0:3], 0 offset:124
	s_mov_b32 s4, exec_lo
	s_waitcnt vmcnt(0)
	ds_write_b64 v40, v[41:42]
	s_waitcnt lgkmcnt(0)
	s_barrier
	buffer_gl0_inv
	v_cmpx_gt_u32_e32 15, v0
	s_cbranch_execz .LBB81_75
; %bb.72:
	v_add_nc_u32_e32 v41, -1, v0
	v_add_nc_u32_e32 v42, 0x90, v39
	v_mov_b32_e32 v43, v39
	v_mov_b32_e32 v38, 0
	;; [unrolled: 1-line block ×3, first 2 shown]
	s_mov_b32 s5, 0
	.p2align	6
.LBB81_73:                              ; =>This Inner Loop Header: Depth=1
	s_clause 0x1
	buffer_load_dword v47, v43, s[0:3], 0 offen offset:4
	buffer_load_dword v48, v43, s[0:3], 0 offen
	ds_read_b64 v[45:46], v42
	v_add_nc_u32_e32 v41, 1, v41
	v_add_nc_u32_e32 v42, 8, v42
	;; [unrolled: 1-line block ×3, first 2 shown]
	v_cmp_lt_u32_e32 vcc_lo, 13, v41
	s_or_b32 s5, vcc_lo, s5
	s_waitcnt vmcnt(1) lgkmcnt(0)
	v_mul_f32_e32 v49, v46, v47
	v_mul_f32_e32 v47, v45, v47
	s_waitcnt vmcnt(0)
	v_fma_f32 v45, v45, v48, -v49
	v_fmac_f32_e32 v47, v46, v48
	v_add_f32_e32 v44, v44, v45
	v_add_f32_e32 v38, v38, v47
	s_andn2_b32 exec_lo, exec_lo, s5
	s_cbranch_execnz .LBB81_73
; %bb.74:
	s_or_b32 exec_lo, exec_lo, s5
	v_mov_b32_e32 v41, 0
	ds_read_b64 v[41:42], v41 offset:120
	s_waitcnt lgkmcnt(0)
	v_mul_f32_e32 v43, v38, v42
	v_mul_f32_e32 v42, v44, v42
	v_fma_f32 v43, v44, v41, -v43
	v_fmac_f32_e32 v42, v38, v41
	buffer_store_dword v43, off, s[0:3], 0 offset:120
	buffer_store_dword v42, off, s[0:3], 0 offset:124
.LBB81_75:
	s_or_b32 exec_lo, exec_lo, s4
	s_waitcnt_vscnt null, 0x0
	s_barrier
	buffer_gl0_inv
	s_clause 0x1
	buffer_load_dword v41, off, s[0:3], 0 offset:128
	buffer_load_dword v42, off, s[0:3], 0 offset:132
	s_mov_b32 s4, exec_lo
	s_waitcnt vmcnt(0)
	ds_write_b64 v40, v[41:42]
	s_waitcnt lgkmcnt(0)
	s_barrier
	buffer_gl0_inv
	v_cmpx_gt_u32_e32 16, v0
	s_cbranch_execz .LBB81_79
; %bb.76:
	v_add_nc_u32_e32 v41, -1, v0
	v_add_nc_u32_e32 v42, 0x90, v39
	v_mov_b32_e32 v43, v39
	v_mov_b32_e32 v38, 0
	;; [unrolled: 1-line block ×3, first 2 shown]
	s_mov_b32 s5, 0
	.p2align	6
.LBB81_77:                              ; =>This Inner Loop Header: Depth=1
	s_clause 0x1
	buffer_load_dword v47, v43, s[0:3], 0 offen offset:4
	buffer_load_dword v48, v43, s[0:3], 0 offen
	ds_read_b64 v[45:46], v42
	v_add_nc_u32_e32 v41, 1, v41
	v_add_nc_u32_e32 v42, 8, v42
	;; [unrolled: 1-line block ×3, first 2 shown]
	v_cmp_lt_u32_e32 vcc_lo, 14, v41
	s_or_b32 s5, vcc_lo, s5
	s_waitcnt vmcnt(1) lgkmcnt(0)
	v_mul_f32_e32 v49, v46, v47
	v_mul_f32_e32 v47, v45, v47
	s_waitcnt vmcnt(0)
	v_fma_f32 v45, v45, v48, -v49
	v_fmac_f32_e32 v47, v46, v48
	v_add_f32_e32 v44, v44, v45
	v_add_f32_e32 v38, v38, v47
	s_andn2_b32 exec_lo, exec_lo, s5
	s_cbranch_execnz .LBB81_77
; %bb.78:
	s_or_b32 exec_lo, exec_lo, s5
	v_mov_b32_e32 v41, 0
	ds_read_b64 v[41:42], v41 offset:128
	s_waitcnt lgkmcnt(0)
	v_mul_f32_e32 v43, v38, v42
	v_mul_f32_e32 v42, v44, v42
	v_fma_f32 v43, v44, v41, -v43
	v_fmac_f32_e32 v42, v38, v41
	buffer_store_dword v43, off, s[0:3], 0 offset:128
	buffer_store_dword v42, off, s[0:3], 0 offset:132
.LBB81_79:
	s_or_b32 exec_lo, exec_lo, s4
	s_waitcnt_vscnt null, 0x0
	s_barrier
	buffer_gl0_inv
	s_clause 0x1
	buffer_load_dword v41, off, s[0:3], 0 offset:136
	buffer_load_dword v42, off, s[0:3], 0 offset:140
	s_mov_b32 s4, exec_lo
	s_waitcnt vmcnt(0)
	ds_write_b64 v40, v[41:42]
	s_waitcnt lgkmcnt(0)
	s_barrier
	buffer_gl0_inv
	v_cmpx_ne_u32_e32 17, v0
	s_cbranch_execz .LBB81_83
; %bb.80:
	v_mov_b32_e32 v38, 0
	v_mov_b32_e32 v41, 0
	s_mov_b32 s5, 0
	.p2align	6
.LBB81_81:                              ; =>This Inner Loop Header: Depth=1
	s_clause 0x1
	buffer_load_dword v44, v39, s[0:3], 0 offen offset:4
	buffer_load_dword v45, v39, s[0:3], 0 offen
	ds_read_b64 v[42:43], v40
	v_add_nc_u32_e32 v37, 1, v37
	v_add_nc_u32_e32 v40, 8, v40
	;; [unrolled: 1-line block ×3, first 2 shown]
	v_cmp_lt_u32_e32 vcc_lo, 15, v37
	s_or_b32 s5, vcc_lo, s5
	s_waitcnt vmcnt(1) lgkmcnt(0)
	v_mul_f32_e32 v46, v43, v44
	v_mul_f32_e32 v44, v42, v44
	s_waitcnt vmcnt(0)
	v_fma_f32 v42, v42, v45, -v46
	v_fmac_f32_e32 v44, v43, v45
	v_add_f32_e32 v41, v41, v42
	v_add_f32_e32 v38, v38, v44
	s_andn2_b32 exec_lo, exec_lo, s5
	s_cbranch_execnz .LBB81_81
; %bb.82:
	s_or_b32 exec_lo, exec_lo, s5
	v_mov_b32_e32 v37, 0
	ds_read_b64 v[39:40], v37 offset:136
	s_waitcnt lgkmcnt(0)
	v_mul_f32_e32 v37, v38, v40
	v_mul_f32_e32 v40, v41, v40
	v_fma_f32 v37, v41, v39, -v37
	v_fmac_f32_e32 v40, v38, v39
	buffer_store_dword v37, off, s[0:3], 0 offset:136
	buffer_store_dword v40, off, s[0:3], 0 offset:140
.LBB81_83:
	s_or_b32 exec_lo, exec_lo, s4
	s_mov_b32 s5, -1
	s_waitcnt_vscnt null, 0x0
	s_barrier
	buffer_gl0_inv
.LBB81_84:
	s_and_b32 vcc_lo, exec_lo, s5
	s_cbranch_vccz .LBB81_86
; %bb.85:
	s_lshl_b64 s[4:5], s[6:7], 2
	v_mov_b32_e32 v37, 0
	s_add_u32 s4, s10, s4
	s_addc_u32 s5, s11, s5
	global_load_dword v37, v37, s[4:5]
	s_waitcnt vmcnt(0)
	v_cmp_ne_u32_e32 vcc_lo, 0, v37
	s_cbranch_vccz .LBB81_87
.LBB81_86:
	s_endpgm
.LBB81_87:
	v_lshl_add_u32 v37, v0, 3, 0x90
	s_mov_b32 s4, exec_lo
	v_cmpx_eq_u32_e32 17, v0
	s_cbranch_execz .LBB81_89
; %bb.88:
	s_clause 0x1
	buffer_load_dword v38, off, s[0:3], 0 offset:128
	buffer_load_dword v39, off, s[0:3], 0 offset:132
	v_mov_b32_e32 v40, 0
	buffer_store_dword v40, off, s[0:3], 0 offset:128
	buffer_store_dword v40, off, s[0:3], 0 offset:132
	s_waitcnt vmcnt(0)
	ds_write_b64 v37, v[38:39]
.LBB81_89:
	s_or_b32 exec_lo, exec_lo, s4
	s_waitcnt lgkmcnt(0)
	s_waitcnt_vscnt null, 0x0
	s_barrier
	buffer_gl0_inv
	s_clause 0x3
	buffer_load_dword v41, off, s[0:3], 0 offset:140
	buffer_load_dword v42, off, s[0:3], 0 offset:136
	;; [unrolled: 1-line block ×4, first 2 shown]
	v_mov_b32_e32 v38, 0
	s_mov_b32 s4, exec_lo
	ds_read_b64 v[39:40], v38 offset:280
	s_waitcnt vmcnt(3) lgkmcnt(0)
	v_mul_f32_e32 v45, v40, v41
	v_mul_f32_e32 v41, v39, v41
	s_waitcnt vmcnt(2)
	v_fma_f32 v39, v39, v42, -v45
	v_fmac_f32_e32 v41, v40, v42
	v_add_f32_e32 v39, 0, v39
	v_add_f32_e32 v40, 0, v41
	s_waitcnt vmcnt(1)
	v_sub_f32_e32 v39, v43, v39
	s_waitcnt vmcnt(0)
	v_sub_f32_e32 v40, v44, v40
	buffer_store_dword v39, off, s[0:3], 0 offset:128
	buffer_store_dword v40, off, s[0:3], 0 offset:132
	v_cmpx_lt_u32_e32 15, v0
	s_cbranch_execz .LBB81_91
; %bb.90:
	s_clause 0x1
	buffer_load_dword v39, off, s[0:3], 0 offset:120
	buffer_load_dword v40, off, s[0:3], 0 offset:124
	buffer_store_dword v38, off, s[0:3], 0 offset:120
	buffer_store_dword v38, off, s[0:3], 0 offset:124
	s_waitcnt vmcnt(0)
	ds_write_b64 v37, v[39:40]
.LBB81_91:
	s_or_b32 exec_lo, exec_lo, s4
	s_waitcnt lgkmcnt(0)
	s_waitcnt_vscnt null, 0x0
	s_barrier
	buffer_gl0_inv
	s_clause 0x5
	buffer_load_dword v42, off, s[0:3], 0 offset:132
	buffer_load_dword v43, off, s[0:3], 0 offset:140
	;; [unrolled: 1-line block ×6, first 2 shown]
	ds_read_b128 v[38:41], v38 offset:272
	s_mov_b32 s4, exec_lo
	s_waitcnt vmcnt(5) lgkmcnt(0)
	v_mul_f32_e32 v48, v39, v42
	v_mul_f32_e32 v42, v38, v42
	s_waitcnt vmcnt(4)
	v_mul_f32_e32 v49, v40, v43
	v_mul_f32_e32 v43, v41, v43
	s_waitcnt vmcnt(3)
	v_fma_f32 v38, v38, v44, -v48
	v_fmac_f32_e32 v42, v39, v44
	s_waitcnt vmcnt(2)
	v_fmac_f32_e32 v49, v41, v45
	v_fma_f32 v39, v40, v45, -v43
	v_add_f32_e32 v38, 0, v38
	v_add_f32_e32 v40, 0, v42
	;; [unrolled: 1-line block ×4, first 2 shown]
	s_waitcnt vmcnt(1)
	v_sub_f32_e32 v38, v46, v38
	s_waitcnt vmcnt(0)
	v_sub_f32_e32 v39, v47, v39
	buffer_store_dword v38, off, s[0:3], 0 offset:120
	buffer_store_dword v39, off, s[0:3], 0 offset:124
	v_cmpx_lt_u32_e32 14, v0
	s_cbranch_execz .LBB81_93
; %bb.92:
	s_clause 0x1
	buffer_load_dword v38, off, s[0:3], 0 offset:112
	buffer_load_dword v39, off, s[0:3], 0 offset:116
	v_mov_b32_e32 v40, 0
	buffer_store_dword v40, off, s[0:3], 0 offset:112
	buffer_store_dword v40, off, s[0:3], 0 offset:116
	s_waitcnt vmcnt(0)
	ds_write_b64 v37, v[38:39]
.LBB81_93:
	s_or_b32 exec_lo, exec_lo, s4
	s_waitcnt lgkmcnt(0)
	s_waitcnt_vscnt null, 0x0
	s_barrier
	buffer_gl0_inv
	s_clause 0x7
	buffer_load_dword v45, off, s[0:3], 0 offset:124
	buffer_load_dword v46, off, s[0:3], 0 offset:132
	buffer_load_dword v47, off, s[0:3], 0 offset:140
	buffer_load_dword v48, off, s[0:3], 0 offset:120
	buffer_load_dword v49, off, s[0:3], 0 offset:128
	buffer_load_dword v50, off, s[0:3], 0 offset:136
	buffer_load_dword v51, off, s[0:3], 0 offset:112
	buffer_load_dword v52, off, s[0:3], 0 offset:116
	v_mov_b32_e32 v38, 0
	ds_read2_b64 v[39:42], v38 offset0:33 offset1:34
	ds_read_b64 v[43:44], v38 offset:280
	s_mov_b32 s4, exec_lo
	s_waitcnt vmcnt(7) lgkmcnt(1)
	v_mul_f32_e32 v53, v40, v45
	v_mul_f32_e32 v45, v39, v45
	s_waitcnt vmcnt(6)
	v_mul_f32_e32 v54, v41, v46
	v_mul_f32_e32 v46, v42, v46
	s_waitcnt vmcnt(5) lgkmcnt(0)
	v_mul_f32_e32 v55, v43, v47
	s_waitcnt vmcnt(4)
	v_fma_f32 v39, v39, v48, -v53
	v_fmac_f32_e32 v45, v40, v48
	v_mul_f32_e32 v40, v44, v47
	s_waitcnt vmcnt(3)
	v_fma_f32 v41, v41, v49, -v46
	v_fmac_f32_e32 v54, v42, v49
	v_add_f32_e32 v39, 0, v39
	v_add_f32_e32 v42, 0, v45
	s_waitcnt vmcnt(2)
	v_fma_f32 v40, v43, v50, -v40
	v_fmac_f32_e32 v55, v44, v50
	v_add_f32_e32 v39, v39, v41
	v_add_f32_e32 v41, v42, v54
	;; [unrolled: 1-line block ×4, first 2 shown]
	s_waitcnt vmcnt(1)
	v_sub_f32_e32 v39, v51, v39
	s_waitcnt vmcnt(0)
	v_sub_f32_e32 v40, v52, v40
	buffer_store_dword v39, off, s[0:3], 0 offset:112
	buffer_store_dword v40, off, s[0:3], 0 offset:116
	v_cmpx_lt_u32_e32 13, v0
	s_cbranch_execz .LBB81_95
; %bb.94:
	s_clause 0x1
	buffer_load_dword v39, off, s[0:3], 0 offset:104
	buffer_load_dword v40, off, s[0:3], 0 offset:108
	buffer_store_dword v38, off, s[0:3], 0 offset:104
	buffer_store_dword v38, off, s[0:3], 0 offset:108
	s_waitcnt vmcnt(0)
	ds_write_b64 v37, v[39:40]
.LBB81_95:
	s_or_b32 exec_lo, exec_lo, s4
	s_waitcnt lgkmcnt(0)
	s_waitcnt_vscnt null, 0x0
	s_barrier
	buffer_gl0_inv
	s_clause 0x9
	buffer_load_dword v47, off, s[0:3], 0 offset:116
	buffer_load_dword v48, off, s[0:3], 0 offset:124
	;; [unrolled: 1-line block ×10, first 2 shown]
	ds_read_b128 v[39:42], v38 offset:256
	ds_read_b128 v[43:46], v38 offset:272
	s_mov_b32 s4, exec_lo
	s_waitcnt vmcnt(9) lgkmcnt(1)
	v_mul_f32_e32 v38, v39, v47
	v_mul_f32_e32 v47, v40, v47
	s_waitcnt vmcnt(8)
	v_mul_f32_e32 v57, v41, v48
	v_mul_f32_e32 v48, v42, v48
	s_waitcnt vmcnt(7) lgkmcnt(0)
	v_mul_f32_e32 v58, v43, v49
	s_waitcnt vmcnt(5)
	v_fmac_f32_e32 v38, v40, v51
	v_fma_f32 v39, v39, v51, -v47
	v_mul_f32_e32 v40, v44, v49
	s_waitcnt vmcnt(4)
	v_fma_f32 v41, v41, v52, -v48
	v_fmac_f32_e32 v57, v42, v52
	v_add_f32_e32 v38, 0, v38
	v_add_f32_e32 v39, 0, v39
	v_mul_f32_e32 v42, v46, v50
	s_waitcnt vmcnt(3)
	v_fma_f32 v40, v43, v53, -v40
	v_mul_f32_e32 v59, v45, v50
	v_fmac_f32_e32 v58, v44, v53
	v_add_f32_e32 v39, v39, v41
	v_add_f32_e32 v38, v38, v57
	s_waitcnt vmcnt(2)
	v_fma_f32 v41, v45, v54, -v42
	v_fmac_f32_e32 v59, v46, v54
	v_add_f32_e32 v39, v39, v40
	v_add_f32_e32 v38, v38, v58
	;; [unrolled: 1-line block ×4, first 2 shown]
	s_waitcnt vmcnt(1)
	v_sub_f32_e32 v39, v55, v39
	s_waitcnt vmcnt(0)
	v_sub_f32_e32 v38, v56, v38
	buffer_store_dword v39, off, s[0:3], 0 offset:104
	buffer_store_dword v38, off, s[0:3], 0 offset:108
	v_cmpx_lt_u32_e32 12, v0
	s_cbranch_execz .LBB81_97
; %bb.96:
	s_clause 0x1
	buffer_load_dword v38, off, s[0:3], 0 offset:96
	buffer_load_dword v39, off, s[0:3], 0 offset:100
	v_mov_b32_e32 v40, 0
	buffer_store_dword v40, off, s[0:3], 0 offset:96
	buffer_store_dword v40, off, s[0:3], 0 offset:100
	s_waitcnt vmcnt(0)
	ds_write_b64 v37, v[38:39]
.LBB81_97:
	s_or_b32 exec_lo, exec_lo, s4
	s_waitcnt lgkmcnt(0)
	s_waitcnt_vscnt null, 0x0
	s_barrier
	buffer_gl0_inv
	s_clause 0xb
	buffer_load_dword v49, off, s[0:3], 0 offset:108
	buffer_load_dword v50, off, s[0:3], 0 offset:116
	;; [unrolled: 1-line block ×12, first 2 shown]
	v_mov_b32_e32 v38, 0
	ds_read2_b64 v[39:42], v38 offset0:31 offset1:32
	ds_read2_b64 v[43:46], v38 offset0:33 offset1:34
	ds_read_b64 v[47:48], v38 offset:280
	s_mov_b32 s4, exec_lo
	s_waitcnt vmcnt(11) lgkmcnt(2)
	v_mul_f32_e32 v61, v39, v49
	v_mul_f32_e32 v49, v40, v49
	s_waitcnt vmcnt(10)
	v_mul_f32_e32 v62, v41, v50
	v_mul_f32_e32 v50, v42, v50
	s_waitcnt vmcnt(9) lgkmcnt(1)
	v_mul_f32_e32 v63, v43, v51
	s_waitcnt vmcnt(6)
	v_fmac_f32_e32 v61, v40, v54
	v_fma_f32 v39, v39, v54, -v49
	v_mul_f32_e32 v40, v44, v51
	s_waitcnt vmcnt(5)
	v_fma_f32 v41, v41, v55, -v50
	v_fmac_f32_e32 v62, v42, v55
	v_add_f32_e32 v42, 0, v61
	v_add_f32_e32 v39, 0, v39
	v_mul_f32_e32 v49, v46, v52
	s_waitcnt vmcnt(4)
	v_fma_f32 v40, v43, v56, -v40
	v_mul_f32_e32 v64, v45, v52
	v_fmac_f32_e32 v63, v44, v56
	v_add_f32_e32 v39, v39, v41
	v_add_f32_e32 v41, v42, v62
	s_waitcnt lgkmcnt(0)
	v_mul_f32_e32 v42, v48, v53
	s_waitcnt vmcnt(3)
	v_fma_f32 v43, v45, v57, -v49
	v_mul_f32_e32 v65, v47, v53
	v_add_f32_e32 v39, v39, v40
	v_fmac_f32_e32 v64, v46, v57
	v_add_f32_e32 v40, v41, v63
	s_waitcnt vmcnt(2)
	v_fma_f32 v41, v47, v58, -v42
	v_fmac_f32_e32 v65, v48, v58
	v_add_f32_e32 v39, v39, v43
	v_add_f32_e32 v40, v40, v64
	;; [unrolled: 1-line block ×4, first 2 shown]
	s_waitcnt vmcnt(1)
	v_sub_f32_e32 v39, v59, v39
	s_waitcnt vmcnt(0)
	v_sub_f32_e32 v40, v60, v40
	buffer_store_dword v39, off, s[0:3], 0 offset:96
	buffer_store_dword v40, off, s[0:3], 0 offset:100
	v_cmpx_lt_u32_e32 11, v0
	s_cbranch_execz .LBB81_99
; %bb.98:
	s_clause 0x1
	buffer_load_dword v39, off, s[0:3], 0 offset:88
	buffer_load_dword v40, off, s[0:3], 0 offset:92
	buffer_store_dword v38, off, s[0:3], 0 offset:88
	buffer_store_dword v38, off, s[0:3], 0 offset:92
	s_waitcnt vmcnt(0)
	ds_write_b64 v37, v[39:40]
.LBB81_99:
	s_or_b32 exec_lo, exec_lo, s4
	s_waitcnt lgkmcnt(0)
	s_waitcnt_vscnt null, 0x0
	s_barrier
	buffer_gl0_inv
	s_clause 0xd
	buffer_load_dword v51, off, s[0:3], 0 offset:100
	buffer_load_dword v52, off, s[0:3], 0 offset:108
	;; [unrolled: 1-line block ×14, first 2 shown]
	ds_read_b128 v[39:42], v38 offset:240
	ds_read_b128 v[43:46], v38 offset:256
	;; [unrolled: 1-line block ×3, first 2 shown]
	s_mov_b32 s4, exec_lo
	s_waitcnt vmcnt(13) lgkmcnt(2)
	v_mul_f32_e32 v38, v39, v51
	v_mul_f32_e32 v51, v40, v51
	s_waitcnt vmcnt(12)
	v_mul_f32_e32 v65, v41, v52
	v_mul_f32_e32 v52, v42, v52
	s_waitcnt vmcnt(11) lgkmcnt(1)
	v_mul_f32_e32 v66, v43, v53
	s_waitcnt vmcnt(10)
	v_mul_f32_e32 v67, v45, v54
	s_waitcnt vmcnt(7)
	v_fma_f32 v39, v39, v57, -v51
	v_fmac_f32_e32 v38, v40, v57
	v_mul_f32_e32 v40, v44, v53
	s_waitcnt vmcnt(6)
	v_fma_f32 v41, v41, v58, -v52
	v_fmac_f32_e32 v65, v42, v58
	v_add_f32_e32 v39, 0, v39
	v_add_f32_e32 v38, 0, v38
	v_mul_f32_e32 v42, v46, v54
	s_waitcnt vmcnt(5)
	v_fma_f32 v40, v43, v59, -v40
	v_fmac_f32_e32 v66, v44, v59
	v_add_f32_e32 v39, v39, v41
	v_add_f32_e32 v38, v38, v65
	s_waitcnt lgkmcnt(0)
	v_mul_f32_e32 v41, v48, v55
	s_waitcnt vmcnt(4)
	v_fma_f32 v42, v45, v60, -v42
	v_mul_f32_e32 v68, v47, v55
	v_add_f32_e32 v39, v39, v40
	v_fmac_f32_e32 v67, v46, v60
	v_add_f32_e32 v38, v38, v66
	v_mul_f32_e32 v40, v50, v56
	s_waitcnt vmcnt(3)
	v_fma_f32 v41, v47, v61, -v41
	v_add_f32_e32 v39, v39, v42
	v_mul_f32_e32 v69, v49, v56
	v_fmac_f32_e32 v68, v48, v61
	v_add_f32_e32 v38, v38, v67
	s_waitcnt vmcnt(2)
	v_fma_f32 v40, v49, v62, -v40
	v_add_f32_e32 v39, v39, v41
	v_fmac_f32_e32 v69, v50, v62
	v_add_f32_e32 v38, v38, v68
	v_add_f32_e32 v39, v39, v40
	;; [unrolled: 1-line block ×3, first 2 shown]
	s_waitcnt vmcnt(1)
	v_sub_f32_e32 v39, v63, v39
	s_waitcnt vmcnt(0)
	v_sub_f32_e32 v38, v64, v38
	buffer_store_dword v39, off, s[0:3], 0 offset:88
	buffer_store_dword v38, off, s[0:3], 0 offset:92
	v_cmpx_lt_u32_e32 10, v0
	s_cbranch_execz .LBB81_101
; %bb.100:
	s_clause 0x1
	buffer_load_dword v38, off, s[0:3], 0 offset:80
	buffer_load_dword v39, off, s[0:3], 0 offset:84
	v_mov_b32_e32 v40, 0
	buffer_store_dword v40, off, s[0:3], 0 offset:80
	buffer_store_dword v40, off, s[0:3], 0 offset:84
	s_waitcnt vmcnt(0)
	ds_write_b64 v37, v[38:39]
.LBB81_101:
	s_or_b32 exec_lo, exec_lo, s4
	s_waitcnt lgkmcnt(0)
	s_waitcnt_vscnt null, 0x0
	s_barrier
	buffer_gl0_inv
	s_clause 0xf
	buffer_load_dword v53, off, s[0:3], 0 offset:92
	buffer_load_dword v54, off, s[0:3], 0 offset:100
	;; [unrolled: 1-line block ×16, first 2 shown]
	v_mov_b32_e32 v38, 0
	ds_read2_b64 v[39:42], v38 offset0:29 offset1:30
	ds_read2_b64 v[43:46], v38 offset0:31 offset1:32
	;; [unrolled: 1-line block ×3, first 2 shown]
	ds_read_b64 v[51:52], v38 offset:280
	s_mov_b32 s4, exec_lo
	s_waitcnt vmcnt(15) lgkmcnt(3)
	v_mul_f32_e32 v69, v39, v53
	v_mul_f32_e32 v53, v40, v53
	s_waitcnt vmcnt(14)
	v_mul_f32_e32 v70, v41, v54
	v_mul_f32_e32 v54, v42, v54
	s_waitcnt vmcnt(13) lgkmcnt(2)
	v_mul_f32_e32 v71, v43, v55
	s_waitcnt vmcnt(12)
	v_mul_f32_e32 v72, v45, v56
	s_waitcnt vmcnt(11) lgkmcnt(1)
	v_mul_f32_e32 v73, v47, v57
	s_waitcnt vmcnt(8)
	v_fma_f32 v39, v39, v60, -v53
	v_fmac_f32_e32 v69, v40, v60
	v_mul_f32_e32 v40, v44, v55
	s_waitcnt vmcnt(7)
	v_fma_f32 v41, v41, v61, -v54
	v_fmac_f32_e32 v70, v42, v61
	v_add_f32_e32 v39, 0, v39
	v_add_f32_e32 v42, 0, v69
	v_mul_f32_e32 v53, v46, v56
	s_waitcnt vmcnt(6)
	v_fma_f32 v40, v43, v62, -v40
	v_fmac_f32_e32 v71, v44, v62
	v_add_f32_e32 v39, v39, v41
	v_add_f32_e32 v41, v42, v70
	;; [unrolled: 6-line block ×3, first 2 shown]
	v_mul_f32_e32 v41, v50, v58
	s_waitcnt vmcnt(4)
	v_fma_f32 v42, v47, v64, -v42
	v_mul_f32_e32 v74, v49, v58
	v_add_f32_e32 v39, v39, v43
	v_fmac_f32_e32 v73, v48, v64
	v_add_f32_e32 v40, v40, v72
	s_waitcnt lgkmcnt(0)
	v_mul_f32_e32 v43, v52, v59
	s_waitcnt vmcnt(3)
	v_fma_f32 v41, v49, v65, -v41
	v_add_f32_e32 v39, v39, v42
	v_mul_f32_e32 v75, v51, v59
	v_fmac_f32_e32 v74, v50, v65
	v_add_f32_e32 v40, v40, v73
	s_waitcnt vmcnt(2)
	v_fma_f32 v42, v51, v66, -v43
	v_add_f32_e32 v39, v39, v41
	v_fmac_f32_e32 v75, v52, v66
	v_add_f32_e32 v40, v40, v74
	v_add_f32_e32 v39, v39, v42
	;; [unrolled: 1-line block ×3, first 2 shown]
	s_waitcnt vmcnt(1)
	v_sub_f32_e32 v39, v67, v39
	s_waitcnt vmcnt(0)
	v_sub_f32_e32 v40, v68, v40
	buffer_store_dword v39, off, s[0:3], 0 offset:80
	buffer_store_dword v40, off, s[0:3], 0 offset:84
	v_cmpx_lt_u32_e32 9, v0
	s_cbranch_execz .LBB81_103
; %bb.102:
	s_clause 0x1
	buffer_load_dword v39, off, s[0:3], 0 offset:72
	buffer_load_dword v40, off, s[0:3], 0 offset:76
	buffer_store_dword v38, off, s[0:3], 0 offset:72
	buffer_store_dword v38, off, s[0:3], 0 offset:76
	s_waitcnt vmcnt(0)
	ds_write_b64 v37, v[39:40]
.LBB81_103:
	s_or_b32 exec_lo, exec_lo, s4
	s_waitcnt lgkmcnt(0)
	s_waitcnt_vscnt null, 0x0
	s_barrier
	buffer_gl0_inv
	s_clause 0x11
	buffer_load_dword v55, off, s[0:3], 0 offset:84
	buffer_load_dword v56, off, s[0:3], 0 offset:92
	;; [unrolled: 1-line block ×18, first 2 shown]
	ds_read_b128 v[39:42], v38 offset:224
	ds_read_b128 v[43:46], v38 offset:240
	;; [unrolled: 1-line block ×4, first 2 shown]
	s_mov_b32 s4, exec_lo
	s_waitcnt vmcnt(17) lgkmcnt(3)
	v_mul_f32_e32 v38, v39, v55
	v_mul_f32_e32 v55, v40, v55
	s_waitcnt vmcnt(16)
	v_mul_f32_e32 v73, v41, v56
	v_mul_f32_e32 v56, v42, v56
	s_waitcnt vmcnt(15) lgkmcnt(2)
	v_mul_f32_e32 v74, v43, v57
	s_waitcnt vmcnt(14)
	v_mul_f32_e32 v75, v45, v58
	s_waitcnt vmcnt(13) lgkmcnt(1)
	v_mul_f32_e32 v76, v47, v59
	s_waitcnt vmcnt(12)
	v_mul_f32_e32 v77, v49, v60
	s_waitcnt vmcnt(9)
	v_fma_f32 v39, v39, v63, -v55
	v_fmac_f32_e32 v38, v40, v63
	v_mul_f32_e32 v40, v44, v57
	s_waitcnt vmcnt(8)
	v_fma_f32 v41, v41, v64, -v56
	v_fmac_f32_e32 v73, v42, v64
	v_add_f32_e32 v39, 0, v39
	v_add_f32_e32 v38, 0, v38
	v_mul_f32_e32 v42, v46, v58
	s_waitcnt vmcnt(7)
	v_fma_f32 v40, v43, v65, -v40
	v_fmac_f32_e32 v74, v44, v65
	v_add_f32_e32 v39, v39, v41
	v_add_f32_e32 v38, v38, v73
	;; [unrolled: 6-line block ×4, first 2 shown]
	s_waitcnt lgkmcnt(0)
	v_mul_f32_e32 v42, v52, v61
	s_waitcnt vmcnt(4)
	v_fma_f32 v40, v49, v68, -v40
	v_mul_f32_e32 v78, v51, v61
	v_add_f32_e32 v39, v39, v41
	v_fmac_f32_e32 v77, v50, v68
	v_add_f32_e32 v38, v38, v76
	v_mul_f32_e32 v41, v54, v62
	s_waitcnt vmcnt(3)
	v_fma_f32 v42, v51, v69, -v42
	v_add_f32_e32 v39, v39, v40
	v_mul_f32_e32 v79, v53, v62
	v_fmac_f32_e32 v78, v52, v69
	v_add_f32_e32 v38, v38, v77
	s_waitcnt vmcnt(2)
	v_fma_f32 v40, v53, v70, -v41
	v_add_f32_e32 v39, v39, v42
	v_fmac_f32_e32 v79, v54, v70
	v_add_f32_e32 v38, v38, v78
	v_add_f32_e32 v39, v39, v40
	;; [unrolled: 1-line block ×3, first 2 shown]
	s_waitcnt vmcnt(1)
	v_sub_f32_e32 v39, v71, v39
	s_waitcnt vmcnt(0)
	v_sub_f32_e32 v38, v72, v38
	buffer_store_dword v39, off, s[0:3], 0 offset:72
	buffer_store_dword v38, off, s[0:3], 0 offset:76
	v_cmpx_lt_u32_e32 8, v0
	s_cbranch_execz .LBB81_105
; %bb.104:
	s_clause 0x1
	buffer_load_dword v38, off, s[0:3], 0 offset:64
	buffer_load_dword v39, off, s[0:3], 0 offset:68
	v_mov_b32_e32 v40, 0
	buffer_store_dword v40, off, s[0:3], 0 offset:64
	buffer_store_dword v40, off, s[0:3], 0 offset:68
	s_waitcnt vmcnt(0)
	ds_write_b64 v37, v[38:39]
.LBB81_105:
	s_or_b32 exec_lo, exec_lo, s4
	s_waitcnt lgkmcnt(0)
	s_waitcnt_vscnt null, 0x0
	s_barrier
	buffer_gl0_inv
	s_clause 0x13
	buffer_load_dword v57, off, s[0:3], 0 offset:76
	buffer_load_dword v58, off, s[0:3], 0 offset:84
	;; [unrolled: 1-line block ×20, first 2 shown]
	v_mov_b32_e32 v38, 0
	ds_read2_b64 v[39:42], v38 offset0:27 offset1:28
	ds_read2_b64 v[43:46], v38 offset0:29 offset1:30
	;; [unrolled: 1-line block ×4, first 2 shown]
	ds_read_b64 v[55:56], v38 offset:280
	s_mov_b32 s4, exec_lo
	s_waitcnt vmcnt(19) lgkmcnt(4)
	v_mul_f32_e32 v77, v39, v57
	v_mul_f32_e32 v57, v40, v57
	s_waitcnt vmcnt(18)
	v_mul_f32_e32 v78, v41, v58
	v_mul_f32_e32 v58, v42, v58
	s_waitcnt vmcnt(17) lgkmcnt(3)
	v_mul_f32_e32 v79, v43, v59
	s_waitcnt vmcnt(16)
	v_mul_f32_e32 v80, v45, v60
	s_waitcnt vmcnt(15) lgkmcnt(2)
	v_mul_f32_e32 v81, v47, v61
	s_waitcnt vmcnt(14)
	;; [unrolled: 4-line block ×3, first 2 shown]
	v_fma_f32 v39, v39, v66, -v57
	v_fmac_f32_e32 v77, v40, v66
	v_mul_f32_e32 v40, v44, v59
	s_waitcnt vmcnt(9)
	v_fma_f32 v41, v41, v67, -v58
	v_fmac_f32_e32 v78, v42, v67
	v_add_f32_e32 v39, 0, v39
	v_add_f32_e32 v42, 0, v77
	v_mul_f32_e32 v57, v46, v60
	s_waitcnt vmcnt(8)
	v_fma_f32 v40, v43, v68, -v40
	v_fmac_f32_e32 v79, v44, v68
	v_add_f32_e32 v39, v39, v41
	v_add_f32_e32 v41, v42, v78
	;; [unrolled: 6-line block ×5, first 2 shown]
	v_mul_f32_e32 v42, v54, v64
	s_waitcnt vmcnt(4)
	v_fma_f32 v43, v51, v72, -v43
	v_mul_f32_e32 v84, v53, v64
	v_add_f32_e32 v39, v39, v41
	v_fmac_f32_e32 v83, v52, v72
	v_add_f32_e32 v40, v40, v82
	s_waitcnt lgkmcnt(0)
	v_mul_f32_e32 v41, v56, v65
	s_waitcnt vmcnt(3)
	v_fma_f32 v42, v53, v73, -v42
	v_add_f32_e32 v39, v39, v43
	v_mul_f32_e32 v85, v55, v65
	v_fmac_f32_e32 v84, v54, v73
	v_add_f32_e32 v40, v40, v83
	s_waitcnt vmcnt(2)
	v_fma_f32 v41, v55, v74, -v41
	v_add_f32_e32 v39, v39, v42
	v_fmac_f32_e32 v85, v56, v74
	v_add_f32_e32 v40, v40, v84
	v_add_f32_e32 v39, v39, v41
	;; [unrolled: 1-line block ×3, first 2 shown]
	s_waitcnt vmcnt(1)
	v_sub_f32_e32 v39, v75, v39
	s_waitcnt vmcnt(0)
	v_sub_f32_e32 v40, v76, v40
	buffer_store_dword v39, off, s[0:3], 0 offset:64
	buffer_store_dword v40, off, s[0:3], 0 offset:68
	v_cmpx_lt_u32_e32 7, v0
	s_cbranch_execz .LBB81_107
; %bb.106:
	s_clause 0x1
	buffer_load_dword v39, off, s[0:3], 0 offset:56
	buffer_load_dword v40, off, s[0:3], 0 offset:60
	buffer_store_dword v38, off, s[0:3], 0 offset:56
	buffer_store_dword v38, off, s[0:3], 0 offset:60
	s_waitcnt vmcnt(0)
	ds_write_b64 v37, v[39:40]
.LBB81_107:
	s_or_b32 exec_lo, exec_lo, s4
	s_waitcnt lgkmcnt(0)
	s_waitcnt_vscnt null, 0x0
	s_barrier
	buffer_gl0_inv
	s_clause 0x15
	buffer_load_dword v59, off, s[0:3], 0 offset:68
	buffer_load_dword v60, off, s[0:3], 0 offset:76
	;; [unrolled: 1-line block ×22, first 2 shown]
	ds_read_b128 v[39:42], v38 offset:208
	ds_read_b128 v[43:46], v38 offset:224
	;; [unrolled: 1-line block ×5, first 2 shown]
	s_mov_b32 s4, exec_lo
	s_waitcnt vmcnt(21) lgkmcnt(4)
	v_mul_f32_e32 v38, v39, v59
	v_mul_f32_e32 v59, v40, v59
	s_waitcnt vmcnt(20)
	v_mul_f32_e32 v81, v41, v60
	v_mul_f32_e32 v60, v42, v60
	s_waitcnt vmcnt(19) lgkmcnt(3)
	v_mul_f32_e32 v82, v43, v61
	s_waitcnt vmcnt(18)
	v_mul_f32_e32 v83, v45, v62
	s_waitcnt vmcnt(17) lgkmcnt(2)
	v_mul_f32_e32 v84, v47, v63
	s_waitcnt vmcnt(16)
	;; [unrolled: 4-line block ×3, first 2 shown]
	v_mul_f32_e32 v87, v53, v66
	s_waitcnt vmcnt(11)
	v_fma_f32 v39, v39, v69, -v59
	v_fmac_f32_e32 v38, v40, v69
	v_mul_f32_e32 v40, v44, v61
	s_waitcnt vmcnt(10)
	v_fma_f32 v41, v41, v70, -v60
	v_fmac_f32_e32 v81, v42, v70
	v_add_f32_e32 v39, 0, v39
	v_add_f32_e32 v38, 0, v38
	v_mul_f32_e32 v42, v46, v62
	s_waitcnt vmcnt(9)
	v_fma_f32 v40, v43, v71, -v40
	v_fmac_f32_e32 v82, v44, v71
	v_add_f32_e32 v39, v39, v41
	v_add_f32_e32 v38, v38, v81
	;; [unrolled: 6-line block ×6, first 2 shown]
	s_waitcnt lgkmcnt(0)
	v_mul_f32_e32 v40, v56, v67
	s_waitcnt vmcnt(4)
	v_fma_f32 v41, v53, v76, -v41
	v_mul_f32_e32 v88, v55, v67
	v_add_f32_e32 v39, v39, v42
	v_fmac_f32_e32 v87, v54, v76
	v_add_f32_e32 v38, v38, v86
	v_mul_f32_e32 v42, v58, v68
	s_waitcnt vmcnt(3)
	v_fma_f32 v40, v55, v77, -v40
	v_add_f32_e32 v39, v39, v41
	v_mul_f32_e32 v89, v57, v68
	v_fmac_f32_e32 v88, v56, v77
	v_add_f32_e32 v38, v38, v87
	s_waitcnt vmcnt(2)
	v_fma_f32 v41, v57, v78, -v42
	v_add_f32_e32 v39, v39, v40
	v_fmac_f32_e32 v89, v58, v78
	v_add_f32_e32 v38, v38, v88
	v_add_f32_e32 v39, v39, v41
	;; [unrolled: 1-line block ×3, first 2 shown]
	s_waitcnt vmcnt(1)
	v_sub_f32_e32 v39, v79, v39
	s_waitcnt vmcnt(0)
	v_sub_f32_e32 v38, v80, v38
	buffer_store_dword v39, off, s[0:3], 0 offset:56
	buffer_store_dword v38, off, s[0:3], 0 offset:60
	v_cmpx_lt_u32_e32 6, v0
	s_cbranch_execz .LBB81_109
; %bb.108:
	s_clause 0x1
	buffer_load_dword v38, off, s[0:3], 0 offset:48
	buffer_load_dword v39, off, s[0:3], 0 offset:52
	v_mov_b32_e32 v40, 0
	buffer_store_dword v40, off, s[0:3], 0 offset:48
	buffer_store_dword v40, off, s[0:3], 0 offset:52
	s_waitcnt vmcnt(0)
	ds_write_b64 v37, v[38:39]
.LBB81_109:
	s_or_b32 exec_lo, exec_lo, s4
	s_waitcnt lgkmcnt(0)
	s_waitcnt_vscnt null, 0x0
	s_barrier
	buffer_gl0_inv
	s_clause 0x17
	buffer_load_dword v61, off, s[0:3], 0 offset:60
	buffer_load_dword v62, off, s[0:3], 0 offset:68
	;; [unrolled: 1-line block ×24, first 2 shown]
	v_mov_b32_e32 v38, 0
	ds_read2_b64 v[39:42], v38 offset0:25 offset1:26
	ds_read2_b64 v[43:46], v38 offset0:27 offset1:28
	;; [unrolled: 1-line block ×5, first 2 shown]
	ds_read_b64 v[59:60], v38 offset:280
	s_mov_b32 s4, exec_lo
	s_waitcnt vmcnt(23) lgkmcnt(5)
	v_mul_f32_e32 v85, v39, v61
	v_mul_f32_e32 v61, v40, v61
	s_waitcnt vmcnt(22)
	v_mul_f32_e32 v86, v41, v62
	v_mul_f32_e32 v62, v42, v62
	s_waitcnt vmcnt(21) lgkmcnt(4)
	v_mul_f32_e32 v87, v43, v63
	s_waitcnt vmcnt(20)
	v_mul_f32_e32 v88, v45, v64
	s_waitcnt vmcnt(19) lgkmcnt(3)
	v_mul_f32_e32 v89, v47, v65
	s_waitcnt vmcnt(18)
	;; [unrolled: 4-line block ×4, first 2 shown]
	v_fma_f32 v39, v39, v72, -v61
	v_fmac_f32_e32 v85, v40, v72
	v_mul_f32_e32 v40, v44, v63
	s_waitcnt vmcnt(11)
	v_fma_f32 v41, v41, v73, -v62
	v_fmac_f32_e32 v86, v42, v73
	v_add_f32_e32 v39, 0, v39
	v_add_f32_e32 v42, 0, v85
	v_mul_f32_e32 v61, v46, v64
	s_waitcnt vmcnt(10)
	v_fma_f32 v40, v43, v74, -v40
	v_fmac_f32_e32 v87, v44, v74
	v_add_f32_e32 v39, v39, v41
	v_add_f32_e32 v41, v42, v86
	;; [unrolled: 6-line block ×7, first 2 shown]
	v_mul_f32_e32 v43, v58, v70
	s_waitcnt vmcnt(4)
	v_fma_f32 v41, v55, v80, -v41
	v_mul_f32_e32 v94, v57, v70
	v_add_f32_e32 v39, v39, v42
	v_fmac_f32_e32 v93, v56, v80
	v_add_f32_e32 v40, v40, v92
	s_waitcnt lgkmcnt(0)
	v_mul_f32_e32 v42, v60, v71
	s_waitcnt vmcnt(3)
	v_fma_f32 v43, v57, v81, -v43
	v_add_f32_e32 v39, v39, v41
	v_mul_f32_e32 v95, v59, v71
	v_fmac_f32_e32 v94, v58, v81
	v_add_f32_e32 v40, v40, v93
	s_waitcnt vmcnt(2)
	v_fma_f32 v41, v59, v82, -v42
	v_add_f32_e32 v39, v39, v43
	v_fmac_f32_e32 v95, v60, v82
	v_add_f32_e32 v40, v40, v94
	v_add_f32_e32 v39, v39, v41
	;; [unrolled: 1-line block ×3, first 2 shown]
	s_waitcnt vmcnt(1)
	v_sub_f32_e32 v39, v83, v39
	s_waitcnt vmcnt(0)
	v_sub_f32_e32 v40, v84, v40
	buffer_store_dword v39, off, s[0:3], 0 offset:48
	buffer_store_dword v40, off, s[0:3], 0 offset:52
	v_cmpx_lt_u32_e32 5, v0
	s_cbranch_execz .LBB81_111
; %bb.110:
	s_clause 0x1
	buffer_load_dword v39, off, s[0:3], 0 offset:40
	buffer_load_dword v40, off, s[0:3], 0 offset:44
	buffer_store_dword v38, off, s[0:3], 0 offset:40
	buffer_store_dword v38, off, s[0:3], 0 offset:44
	s_waitcnt vmcnt(0)
	ds_write_b64 v37, v[39:40]
.LBB81_111:
	s_or_b32 exec_lo, exec_lo, s4
	s_waitcnt lgkmcnt(0)
	s_waitcnt_vscnt null, 0x0
	s_barrier
	buffer_gl0_inv
	s_clause 0x19
	buffer_load_dword v63, off, s[0:3], 0 offset:52
	buffer_load_dword v64, off, s[0:3], 0 offset:60
	;; [unrolled: 1-line block ×26, first 2 shown]
	ds_read_b128 v[39:42], v38 offset:192
	ds_read_b128 v[43:46], v38 offset:208
	;; [unrolled: 1-line block ×6, first 2 shown]
	s_mov_b32 s4, exec_lo
	s_waitcnt vmcnt(25) lgkmcnt(5)
	v_mul_f32_e32 v38, v39, v63
	v_mul_f32_e32 v63, v40, v63
	s_waitcnt vmcnt(24)
	v_mul_f32_e32 v89, v41, v64
	v_mul_f32_e32 v64, v42, v64
	s_waitcnt vmcnt(23) lgkmcnt(4)
	v_mul_f32_e32 v90, v43, v65
	s_waitcnt vmcnt(22)
	v_mul_f32_e32 v91, v45, v66
	s_waitcnt vmcnt(21) lgkmcnt(3)
	v_mul_f32_e32 v92, v47, v67
	s_waitcnt vmcnt(20)
	;; [unrolled: 4-line block ×4, first 2 shown]
	v_mul_f32_e32 v97, v57, v72
	s_waitcnt vmcnt(13)
	v_fma_f32 v39, v39, v75, -v63
	v_fmac_f32_e32 v38, v40, v75
	v_mul_f32_e32 v40, v44, v65
	s_waitcnt vmcnt(12)
	v_fma_f32 v41, v41, v76, -v64
	v_fmac_f32_e32 v89, v42, v76
	v_add_f32_e32 v39, 0, v39
	v_add_f32_e32 v38, 0, v38
	v_mul_f32_e32 v42, v46, v66
	s_waitcnt vmcnt(11)
	v_fma_f32 v40, v43, v77, -v40
	v_fmac_f32_e32 v90, v44, v77
	v_add_f32_e32 v39, v39, v41
	v_add_f32_e32 v38, v38, v89
	;; [unrolled: 6-line block ×8, first 2 shown]
	s_waitcnt lgkmcnt(0)
	v_mul_f32_e32 v41, v60, v73
	s_waitcnt vmcnt(4)
	v_fma_f32 v42, v57, v84, -v42
	v_mul_f32_e32 v98, v59, v73
	v_add_f32_e32 v39, v39, v40
	v_fmac_f32_e32 v97, v58, v84
	v_add_f32_e32 v38, v38, v96
	v_mul_f32_e32 v40, v62, v74
	s_waitcnt vmcnt(3)
	v_fma_f32 v41, v59, v85, -v41
	v_add_f32_e32 v39, v39, v42
	v_mul_f32_e32 v99, v61, v74
	v_fmac_f32_e32 v98, v60, v85
	v_add_f32_e32 v38, v38, v97
	s_waitcnt vmcnt(2)
	v_fma_f32 v40, v61, v86, -v40
	v_add_f32_e32 v39, v39, v41
	v_fmac_f32_e32 v99, v62, v86
	v_add_f32_e32 v38, v38, v98
	v_add_f32_e32 v39, v39, v40
	;; [unrolled: 1-line block ×3, first 2 shown]
	s_waitcnt vmcnt(1)
	v_sub_f32_e32 v39, v87, v39
	s_waitcnt vmcnt(0)
	v_sub_f32_e32 v38, v88, v38
	buffer_store_dword v39, off, s[0:3], 0 offset:40
	buffer_store_dword v38, off, s[0:3], 0 offset:44
	v_cmpx_lt_u32_e32 4, v0
	s_cbranch_execz .LBB81_113
; %bb.112:
	s_clause 0x1
	buffer_load_dword v38, off, s[0:3], 0 offset:32
	buffer_load_dword v39, off, s[0:3], 0 offset:36
	v_mov_b32_e32 v40, 0
	buffer_store_dword v40, off, s[0:3], 0 offset:32
	buffer_store_dword v40, off, s[0:3], 0 offset:36
	s_waitcnt vmcnt(0)
	ds_write_b64 v37, v[38:39]
.LBB81_113:
	s_or_b32 exec_lo, exec_lo, s4
	s_waitcnt lgkmcnt(0)
	s_waitcnt_vscnt null, 0x0
	s_barrier
	buffer_gl0_inv
	s_clause 0x1b
	buffer_load_dword v65, off, s[0:3], 0 offset:44
	buffer_load_dword v66, off, s[0:3], 0 offset:52
	;; [unrolled: 1-line block ×28, first 2 shown]
	v_mov_b32_e32 v38, 0
	ds_read2_b64 v[39:42], v38 offset0:23 offset1:24
	ds_read2_b64 v[43:46], v38 offset0:25 offset1:26
	;; [unrolled: 1-line block ×6, first 2 shown]
	ds_read_b64 v[63:64], v38 offset:280
	s_mov_b32 s4, exec_lo
	s_waitcnt vmcnt(27) lgkmcnt(6)
	v_mul_f32_e32 v93, v39, v65
	v_mul_f32_e32 v65, v40, v65
	s_waitcnt vmcnt(26)
	v_mul_f32_e32 v94, v41, v66
	v_mul_f32_e32 v66, v42, v66
	s_waitcnt vmcnt(25) lgkmcnt(5)
	v_mul_f32_e32 v95, v43, v67
	s_waitcnt vmcnt(24)
	v_mul_f32_e32 v96, v45, v68
	s_waitcnt vmcnt(23) lgkmcnt(4)
	v_mul_f32_e32 v97, v47, v69
	s_waitcnt vmcnt(22)
	;; [unrolled: 4-line block ×5, first 2 shown]
	v_fma_f32 v39, v39, v78, -v65
	v_fmac_f32_e32 v93, v40, v78
	v_mul_f32_e32 v40, v44, v67
	s_waitcnt vmcnt(13)
	v_fma_f32 v41, v41, v79, -v66
	v_fmac_f32_e32 v94, v42, v79
	v_add_f32_e32 v39, 0, v39
	v_add_f32_e32 v42, 0, v93
	v_mul_f32_e32 v65, v46, v68
	s_waitcnt vmcnt(12)
	v_fma_f32 v40, v43, v80, -v40
	v_fmac_f32_e32 v95, v44, v80
	v_add_f32_e32 v39, v39, v41
	v_add_f32_e32 v41, v42, v94
	v_mul_f32_e32 v42, v48, v69
	s_waitcnt vmcnt(11)
	v_fma_f32 v43, v45, v81, -v65
	v_fmac_f32_e32 v96, v46, v81
	v_add_f32_e32 v39, v39, v40
	v_add_f32_e32 v40, v41, v95
	v_mul_f32_e32 v41, v50, v70
	s_waitcnt vmcnt(10)
	v_fma_f32 v42, v47, v82, -v42
	v_fmac_f32_e32 v97, v48, v82
	v_add_f32_e32 v39, v39, v43
	v_add_f32_e32 v40, v40, v96
	v_mul_f32_e32 v43, v52, v71
	s_waitcnt vmcnt(9)
	v_fma_f32 v41, v49, v83, -v41
	v_fmac_f32_e32 v98, v50, v83
	v_add_f32_e32 v39, v39, v42
	v_add_f32_e32 v40, v40, v97
	v_mul_f32_e32 v42, v54, v72
	s_waitcnt vmcnt(8)
	v_fma_f32 v43, v51, v84, -v43
	v_fmac_f32_e32 v99, v52, v84
	v_add_f32_e32 v39, v39, v41
	v_add_f32_e32 v40, v40, v98
	v_mul_f32_e32 v41, v56, v73
	s_waitcnt vmcnt(7)
	v_fma_f32 v42, v53, v85, -v42
	v_fmac_f32_e32 v100, v54, v85
	v_add_f32_e32 v39, v39, v43
	v_add_f32_e32 v40, v40, v99
	v_mul_f32_e32 v43, v58, v74
	s_waitcnt vmcnt(6)
	v_fma_f32 v41, v55, v86, -v41
	v_fmac_f32_e32 v101, v56, v86
	v_add_f32_e32 v39, v39, v42
	v_add_f32_e32 v40, v40, v100
	v_mul_f32_e32 v42, v60, v75
	s_waitcnt vmcnt(5)
	v_fma_f32 v43, v57, v87, -v43
	v_fmac_f32_e32 v102, v58, v87
	v_add_f32_e32 v39, v39, v41
	v_add_f32_e32 v40, v40, v101
	v_mul_f32_e32 v41, v62, v76
	s_waitcnt vmcnt(4)
	v_fma_f32 v42, v59, v88, -v42
	v_mul_f32_e32 v104, v61, v76
	v_add_f32_e32 v39, v39, v43
	v_fmac_f32_e32 v103, v60, v88
	v_add_f32_e32 v40, v40, v102
	s_waitcnt lgkmcnt(0)
	v_mul_f32_e32 v43, v64, v77
	s_waitcnt vmcnt(3)
	v_fma_f32 v41, v61, v89, -v41
	v_add_f32_e32 v39, v39, v42
	v_mul_f32_e32 v105, v63, v77
	v_fmac_f32_e32 v104, v62, v89
	v_add_f32_e32 v40, v40, v103
	s_waitcnt vmcnt(2)
	v_fma_f32 v42, v63, v90, -v43
	v_add_f32_e32 v39, v39, v41
	v_fmac_f32_e32 v105, v64, v90
	v_add_f32_e32 v40, v40, v104
	v_add_f32_e32 v39, v39, v42
	;; [unrolled: 1-line block ×3, first 2 shown]
	s_waitcnt vmcnt(1)
	v_sub_f32_e32 v39, v91, v39
	s_waitcnt vmcnt(0)
	v_sub_f32_e32 v40, v92, v40
	buffer_store_dword v39, off, s[0:3], 0 offset:32
	buffer_store_dword v40, off, s[0:3], 0 offset:36
	v_cmpx_lt_u32_e32 3, v0
	s_cbranch_execz .LBB81_115
; %bb.114:
	s_clause 0x1
	buffer_load_dword v39, off, s[0:3], 0 offset:24
	buffer_load_dword v40, off, s[0:3], 0 offset:28
	buffer_store_dword v38, off, s[0:3], 0 offset:24
	buffer_store_dword v38, off, s[0:3], 0 offset:28
	s_waitcnt vmcnt(0)
	ds_write_b64 v37, v[39:40]
.LBB81_115:
	s_or_b32 exec_lo, exec_lo, s4
	s_waitcnt lgkmcnt(0)
	s_waitcnt_vscnt null, 0x0
	s_barrier
	buffer_gl0_inv
	s_clause 0x1d
	buffer_load_dword v67, off, s[0:3], 0 offset:36
	buffer_load_dword v68, off, s[0:3], 0 offset:44
	;; [unrolled: 1-line block ×30, first 2 shown]
	ds_read_b128 v[39:42], v38 offset:176
	ds_read_b128 v[43:46], v38 offset:192
	;; [unrolled: 1-line block ×7, first 2 shown]
	s_mov_b32 s4, exec_lo
	s_waitcnt vmcnt(29) lgkmcnt(6)
	v_mul_f32_e32 v38, v39, v67
	v_mul_f32_e32 v67, v40, v67
	s_waitcnt vmcnt(28)
	v_mul_f32_e32 v97, v41, v68
	v_mul_f32_e32 v68, v42, v68
	s_waitcnt vmcnt(27) lgkmcnt(5)
	v_mul_f32_e32 v98, v43, v69
	s_waitcnt vmcnt(26)
	v_mul_f32_e32 v99, v45, v70
	s_waitcnt vmcnt(25) lgkmcnt(4)
	v_mul_f32_e32 v100, v47, v71
	s_waitcnt vmcnt(24)
	;; [unrolled: 4-line block ×5, first 2 shown]
	v_mul_f32_e32 v107, v61, v78
	s_waitcnt vmcnt(15)
	v_fma_f32 v39, v39, v81, -v67
	v_fmac_f32_e32 v38, v40, v81
	v_mul_f32_e32 v40, v44, v69
	s_waitcnt vmcnt(14)
	v_fma_f32 v41, v41, v82, -v68
	v_fmac_f32_e32 v97, v42, v82
	v_add_f32_e32 v39, 0, v39
	v_add_f32_e32 v38, 0, v38
	v_mul_f32_e32 v42, v46, v70
	s_waitcnt vmcnt(13)
	v_fma_f32 v40, v43, v83, -v40
	v_fmac_f32_e32 v98, v44, v83
	v_add_f32_e32 v39, v39, v41
	v_add_f32_e32 v38, v38, v97
	;; [unrolled: 6-line block ×10, first 2 shown]
	s_waitcnt lgkmcnt(0)
	v_mul_f32_e32 v42, v64, v79
	s_waitcnt vmcnt(4)
	v_fma_f32 v40, v61, v92, -v40
	v_mul_f32_e32 v108, v63, v79
	v_add_f32_e32 v39, v39, v41
	v_fmac_f32_e32 v107, v62, v92
	v_add_f32_e32 v38, v38, v106
	v_mul_f32_e32 v41, v66, v80
	s_waitcnt vmcnt(3)
	v_fma_f32 v42, v63, v93, -v42
	v_add_f32_e32 v39, v39, v40
	v_mul_f32_e32 v109, v65, v80
	v_fmac_f32_e32 v108, v64, v93
	v_add_f32_e32 v38, v38, v107
	s_waitcnt vmcnt(2)
	v_fma_f32 v40, v65, v94, -v41
	v_add_f32_e32 v39, v39, v42
	v_fmac_f32_e32 v109, v66, v94
	v_add_f32_e32 v38, v38, v108
	v_add_f32_e32 v39, v39, v40
	;; [unrolled: 1-line block ×3, first 2 shown]
	s_waitcnt vmcnt(1)
	v_sub_f32_e32 v39, v95, v39
	s_waitcnt vmcnt(0)
	v_sub_f32_e32 v38, v96, v38
	buffer_store_dword v39, off, s[0:3], 0 offset:24
	buffer_store_dword v38, off, s[0:3], 0 offset:28
	v_cmpx_lt_u32_e32 2, v0
	s_cbranch_execz .LBB81_117
; %bb.116:
	s_clause 0x1
	buffer_load_dword v38, off, s[0:3], 0 offset:16
	buffer_load_dword v39, off, s[0:3], 0 offset:20
	v_mov_b32_e32 v40, 0
	buffer_store_dword v40, off, s[0:3], 0 offset:16
	buffer_store_dword v40, off, s[0:3], 0 offset:20
	s_waitcnt vmcnt(0)
	ds_write_b64 v37, v[38:39]
.LBB81_117:
	s_or_b32 exec_lo, exec_lo, s4
	s_waitcnt lgkmcnt(0)
	s_waitcnt_vscnt null, 0x0
	s_barrier
	buffer_gl0_inv
	s_clause 0x1f
	buffer_load_dword v69, off, s[0:3], 0 offset:28
	buffer_load_dword v70, off, s[0:3], 0 offset:36
	;; [unrolled: 1-line block ×32, first 2 shown]
	v_mov_b32_e32 v38, 0
	ds_read2_b64 v[39:42], v38 offset0:21 offset1:22
	ds_read2_b64 v[43:46], v38 offset0:23 offset1:24
	;; [unrolled: 1-line block ×7, first 2 shown]
	ds_read_b64 v[67:68], v38 offset:280
	s_mov_b32 s4, exec_lo
	s_waitcnt vmcnt(31) lgkmcnt(7)
	v_mul_f32_e32 v101, v39, v69
	v_mul_f32_e32 v69, v40, v69
	s_waitcnt vmcnt(30)
	v_mul_f32_e32 v102, v41, v70
	v_mul_f32_e32 v70, v42, v70
	s_waitcnt vmcnt(29) lgkmcnt(6)
	v_mul_f32_e32 v103, v43, v71
	s_waitcnt vmcnt(28)
	v_mul_f32_e32 v104, v45, v72
	s_waitcnt vmcnt(27) lgkmcnt(5)
	v_mul_f32_e32 v105, v47, v73
	s_waitcnt vmcnt(26)
	;; [unrolled: 4-line block ×6, first 2 shown]
	v_fma_f32 v39, v39, v84, -v69
	v_fmac_f32_e32 v101, v40, v84
	v_mul_f32_e32 v40, v44, v71
	s_waitcnt vmcnt(15)
	v_fma_f32 v41, v41, v85, -v70
	v_fmac_f32_e32 v102, v42, v85
	v_add_f32_e32 v39, 0, v39
	v_add_f32_e32 v42, 0, v101
	v_mul_f32_e32 v69, v46, v72
	s_waitcnt vmcnt(14)
	v_fma_f32 v40, v43, v86, -v40
	v_fmac_f32_e32 v103, v44, v86
	v_add_f32_e32 v39, v39, v41
	v_add_f32_e32 v41, v42, v102
	;; [unrolled: 6-line block ×11, first 2 shown]
	v_mul_f32_e32 v42, v66, v82
	s_waitcnt vmcnt(4)
	v_fma_f32 v43, v63, v96, -v43
	v_mul_f32_e32 v114, v65, v82
	v_add_f32_e32 v39, v39, v41
	v_fmac_f32_e32 v113, v64, v96
	v_add_f32_e32 v40, v40, v112
	s_waitcnt lgkmcnt(0)
	v_mul_f32_e32 v41, v68, v83
	s_waitcnt vmcnt(3)
	v_fma_f32 v42, v65, v97, -v42
	v_add_f32_e32 v39, v39, v43
	v_mul_f32_e32 v115, v67, v83
	v_fmac_f32_e32 v114, v66, v97
	v_add_f32_e32 v40, v40, v113
	s_waitcnt vmcnt(2)
	v_fma_f32 v41, v67, v98, -v41
	v_add_f32_e32 v39, v39, v42
	v_fmac_f32_e32 v115, v68, v98
	v_add_f32_e32 v40, v40, v114
	v_add_f32_e32 v39, v39, v41
	;; [unrolled: 1-line block ×3, first 2 shown]
	s_waitcnt vmcnt(1)
	v_sub_f32_e32 v39, v99, v39
	s_waitcnt vmcnt(0)
	v_sub_f32_e32 v40, v100, v40
	buffer_store_dword v39, off, s[0:3], 0 offset:16
	buffer_store_dword v40, off, s[0:3], 0 offset:20
	v_cmpx_lt_u32_e32 1, v0
	s_cbranch_execz .LBB81_119
; %bb.118:
	s_clause 0x1
	buffer_load_dword v39, off, s[0:3], 0 offset:8
	buffer_load_dword v40, off, s[0:3], 0 offset:12
	buffer_store_dword v38, off, s[0:3], 0 offset:8
	buffer_store_dword v38, off, s[0:3], 0 offset:12
	s_waitcnt vmcnt(0)
	ds_write_b64 v37, v[39:40]
.LBB81_119:
	s_or_b32 exec_lo, exec_lo, s4
	s_waitcnt lgkmcnt(0)
	s_waitcnt_vscnt null, 0x0
	s_barrier
	buffer_gl0_inv
	s_clause 0x21
	buffer_load_dword v71, off, s[0:3], 0 offset:20
	buffer_load_dword v72, off, s[0:3], 0 offset:28
	;; [unrolled: 1-line block ×34, first 2 shown]
	ds_read_b128 v[39:42], v38 offset:160
	ds_read_b128 v[43:46], v38 offset:176
	;; [unrolled: 1-line block ×8, first 2 shown]
	s_mov_b32 s4, exec_lo
	s_waitcnt vmcnt(33) lgkmcnt(7)
	v_mul_f32_e32 v38, v39, v71
	v_mul_f32_e32 v71, v40, v71
	s_waitcnt vmcnt(32)
	v_mul_f32_e32 v105, v41, v72
	v_mul_f32_e32 v72, v42, v72
	s_waitcnt vmcnt(31) lgkmcnt(6)
	v_mul_f32_e32 v106, v43, v73
	s_waitcnt vmcnt(30)
	v_mul_f32_e32 v107, v45, v74
	s_waitcnt vmcnt(29) lgkmcnt(5)
	v_mul_f32_e32 v108, v47, v75
	s_waitcnt vmcnt(28)
	;; [unrolled: 4-line block ×6, first 2 shown]
	v_mul_f32_e32 v117, v65, v84
	s_waitcnt vmcnt(17)
	v_fma_f32 v39, v39, v87, -v71
	v_fmac_f32_e32 v38, v40, v87
	v_mul_f32_e32 v40, v44, v73
	s_waitcnt vmcnt(16)
	v_fma_f32 v41, v41, v88, -v72
	v_fmac_f32_e32 v105, v42, v88
	v_add_f32_e32 v39, 0, v39
	v_add_f32_e32 v38, 0, v38
	v_mul_f32_e32 v42, v46, v74
	s_waitcnt vmcnt(15)
	v_fma_f32 v40, v43, v89, -v40
	v_fmac_f32_e32 v106, v44, v89
	v_add_f32_e32 v39, v39, v41
	v_add_f32_e32 v38, v38, v105
	;; [unrolled: 6-line block ×12, first 2 shown]
	s_waitcnt lgkmcnt(0)
	v_mul_f32_e32 v40, v68, v85
	s_waitcnt vmcnt(4)
	v_fma_f32 v41, v65, v100, -v41
	v_mul_f32_e32 v118, v67, v85
	v_add_f32_e32 v39, v39, v42
	v_fmac_f32_e32 v117, v66, v100
	v_add_f32_e32 v38, v38, v116
	v_mul_f32_e32 v42, v70, v86
	s_waitcnt vmcnt(3)
	v_fma_f32 v40, v67, v101, -v40
	v_add_f32_e32 v39, v39, v41
	v_mul_f32_e32 v119, v69, v86
	v_fmac_f32_e32 v118, v68, v101
	v_add_f32_e32 v38, v38, v117
	s_waitcnt vmcnt(2)
	v_fma_f32 v41, v69, v102, -v42
	v_add_f32_e32 v39, v39, v40
	v_fmac_f32_e32 v119, v70, v102
	v_add_f32_e32 v38, v38, v118
	v_add_f32_e32 v39, v39, v41
	v_add_f32_e32 v38, v38, v119
	s_waitcnt vmcnt(1)
	v_sub_f32_e32 v39, v103, v39
	s_waitcnt vmcnt(0)
	v_sub_f32_e32 v38, v104, v38
	buffer_store_dword v39, off, s[0:3], 0 offset:8
	buffer_store_dword v38, off, s[0:3], 0 offset:12
	v_cmpx_ne_u32_e32 0, v0
	s_cbranch_execz .LBB81_121
; %bb.120:
	s_clause 0x1
	buffer_load_dword v38, off, s[0:3], 0
	buffer_load_dword v39, off, s[0:3], 0 offset:4
	v_mov_b32_e32 v0, 0
	buffer_store_dword v0, off, s[0:3], 0
	buffer_store_dword v0, off, s[0:3], 0 offset:4
	s_waitcnt vmcnt(0)
	ds_write_b64 v37, v[38:39]
.LBB81_121:
	s_or_b32 exec_lo, exec_lo, s4
	s_waitcnt lgkmcnt(0)
	s_waitcnt_vscnt null, 0x0
	s_barrier
	buffer_gl0_inv
	s_clause 0x23
	buffer_load_dword v73, off, s[0:3], 0 offset:12
	buffer_load_dword v74, off, s[0:3], 0 offset:20
	;; [unrolled: 1-line block ×34, first 2 shown]
	buffer_load_dword v105, off, s[0:3], 0
	buffer_load_dword v106, off, s[0:3], 0 offset:4
	v_mov_b32_e32 v38, 0
	ds_read2_b64 v[39:42], v38 offset0:19 offset1:20
	ds_read2_b64 v[43:46], v38 offset0:21 offset1:22
	;; [unrolled: 1-line block ×8, first 2 shown]
	ds_read_b64 v[71:72], v38 offset:280
	s_and_b32 vcc_lo, exec_lo, s16
	s_waitcnt vmcnt(35) lgkmcnt(8)
	v_mul_f32_e32 v107, v39, v73
	v_mul_f32_e32 v73, v40, v73
	s_waitcnt vmcnt(34)
	v_mul_f32_e32 v108, v41, v74
	v_mul_f32_e32 v74, v42, v74
	s_waitcnt vmcnt(33) lgkmcnt(7)
	v_mul_f32_e32 v109, v43, v75
	s_waitcnt vmcnt(32)
	v_mul_f32_e32 v110, v45, v76
	s_waitcnt vmcnt(31) lgkmcnt(6)
	v_mul_f32_e32 v111, v47, v77
	s_waitcnt vmcnt(30)
	;; [unrolled: 4-line block ×7, first 2 shown]
	v_fma_f32 v39, v39, v89, -v73
	v_fmac_f32_e32 v107, v40, v89
	v_mul_f32_e32 v40, v44, v75
	s_waitcnt vmcnt(17)
	v_fma_f32 v41, v41, v90, -v74
	v_fmac_f32_e32 v108, v42, v90
	v_add_f32_e32 v39, 0, v39
	v_add_f32_e32 v42, 0, v107
	v_mul_f32_e32 v73, v46, v76
	s_waitcnt vmcnt(16)
	v_fma_f32 v40, v43, v91, -v40
	v_fmac_f32_e32 v109, v44, v91
	v_add_f32_e32 v39, v39, v41
	v_add_f32_e32 v41, v42, v108
	v_mul_f32_e32 v42, v48, v77
	s_waitcnt vmcnt(15)
	v_fma_f32 v43, v45, v92, -v73
	v_fmac_f32_e32 v110, v46, v92
	v_add_f32_e32 v39, v39, v40
	v_add_f32_e32 v40, v41, v109
	v_mul_f32_e32 v41, v50, v78
	s_waitcnt vmcnt(14)
	v_fma_f32 v42, v47, v93, -v42
	v_fmac_f32_e32 v111, v48, v93
	v_add_f32_e32 v39, v39, v43
	v_add_f32_e32 v40, v40, v110
	v_mul_f32_e32 v43, v52, v79
	s_waitcnt vmcnt(13)
	v_fma_f32 v41, v49, v94, -v41
	v_fmac_f32_e32 v112, v50, v94
	v_add_f32_e32 v39, v39, v42
	v_add_f32_e32 v40, v40, v111
	v_mul_f32_e32 v42, v54, v80
	s_waitcnt vmcnt(12)
	v_fma_f32 v43, v51, v95, -v43
	v_fmac_f32_e32 v113, v52, v95
	v_add_f32_e32 v39, v39, v41
	v_add_f32_e32 v40, v40, v112
	v_mul_f32_e32 v41, v56, v81
	s_waitcnt vmcnt(11)
	v_fma_f32 v42, v53, v96, -v42
	v_fmac_f32_e32 v114, v54, v96
	v_add_f32_e32 v39, v39, v43
	v_add_f32_e32 v40, v40, v113
	v_mul_f32_e32 v43, v58, v82
	s_waitcnt vmcnt(10)
	v_fma_f32 v41, v55, v97, -v41
	v_fmac_f32_e32 v115, v56, v97
	v_add_f32_e32 v39, v39, v42
	v_add_f32_e32 v40, v40, v114
	v_mul_f32_e32 v42, v60, v83
	s_waitcnt vmcnt(9)
	v_fma_f32 v43, v57, v98, -v43
	v_fmac_f32_e32 v116, v58, v98
	v_add_f32_e32 v39, v39, v41
	v_add_f32_e32 v40, v40, v115
	v_mul_f32_e32 v41, v62, v84
	s_waitcnt vmcnt(8)
	v_fma_f32 v42, v59, v99, -v42
	v_fmac_f32_e32 v117, v60, v99
	v_add_f32_e32 v39, v39, v43
	v_add_f32_e32 v40, v40, v116
	v_mul_f32_e32 v43, v64, v85
	s_waitcnt vmcnt(7)
	v_fma_f32 v41, v61, v100, -v41
	v_fmac_f32_e32 v118, v62, v100
	v_add_f32_e32 v39, v39, v42
	v_add_f32_e32 v40, v40, v117
	v_mul_f32_e32 v42, v66, v86
	s_waitcnt vmcnt(6)
	v_fma_f32 v43, v63, v101, -v43
	v_fmac_f32_e32 v119, v64, v101
	v_add_f32_e32 v39, v39, v41
	v_add_f32_e32 v40, v40, v118
	v_mul_f32_e32 v41, v68, v87
	s_waitcnt vmcnt(5)
	v_fma_f32 v42, v65, v102, -v42
	v_fmac_f32_e32 v120, v66, v102
	v_add_f32_e32 v39, v39, v43
	v_add_f32_e32 v40, v40, v119
	v_mul_f32_e32 v43, v70, v0
	s_waitcnt vmcnt(4)
	v_fma_f32 v41, v67, v103, -v41
	v_mul_f32_e32 v122, v69, v0
	v_add_f32_e32 v39, v39, v42
	v_fmac_f32_e32 v121, v68, v103
	v_add_f32_e32 v40, v40, v120
	s_waitcnt lgkmcnt(0)
	v_mul_f32_e32 v42, v72, v88
	s_waitcnt vmcnt(2)
	v_fma_f32 v43, v69, v37, -v43
	v_add_f32_e32 v39, v39, v41
	v_mul_f32_e32 v123, v71, v88
	v_fmac_f32_e32 v122, v70, v37
	v_add_f32_e32 v40, v40, v121
	v_fma_f32 v41, v71, v104, -v42
	v_add_f32_e32 v39, v39, v43
	v_fmac_f32_e32 v123, v72, v104
	v_add_f32_e32 v40, v40, v122
	v_add_f32_e32 v39, v39, v41
	;; [unrolled: 1-line block ×3, first 2 shown]
	s_waitcnt vmcnt(1)
	v_sub_f32_e32 v39, v105, v39
	s_waitcnt vmcnt(0)
	v_sub_f32_e32 v40, v106, v40
	buffer_store_dword v39, off, s[0:3], 0
	buffer_store_dword v40, off, s[0:3], 0 offset:4
	s_cbranch_vccz .LBB81_156
; %bb.122:
	global_load_dword v38, v38, s[12:13] offset:64
	s_waitcnt vmcnt(0)
	v_add_nc_u32_e32 v38, -1, v38
	v_cmp_ne_u32_e32 vcc_lo, 16, v38
	s_cbranch_vccz .LBB81_124
; %bb.123:
	v_lshlrev_b32_e32 v38, 3, v38
	s_clause 0x1
	buffer_load_dword v39, v38, s[0:3], 0 offen offset:4
	buffer_load_dword v40, v38, s[0:3], 0 offen
	s_waitcnt vmcnt(1)
	buffer_store_dword v39, off, s[0:3], 0 offset:132
	s_waitcnt vmcnt(0)
	buffer_store_dword v40, off, s[0:3], 0 offset:128
	buffer_store_dword v0, v38, s[0:3], 0 offen offset:4
	buffer_store_dword v37, v38, s[0:3], 0 offen
.LBB81_124:
	v_mov_b32_e32 v0, 0
	global_load_dword v37, v0, s[12:13] offset:60
	s_waitcnt vmcnt(0)
	v_add_nc_u32_e32 v37, -1, v37
	v_cmp_eq_u32_e32 vcc_lo, 15, v37
	s_cbranch_vccnz .LBB81_126
; %bb.125:
	v_lshlrev_b32_e32 v37, 3, v37
	s_clause 0x3
	buffer_load_dword v38, v37, s[0:3], 0 offen
	buffer_load_dword v39, v37, s[0:3], 0 offen offset:4
	buffer_load_dword v40, off, s[0:3], 0 offset:120
	buffer_load_dword v41, off, s[0:3], 0 offset:124
	s_waitcnt vmcnt(3)
	buffer_store_dword v38, off, s[0:3], 0 offset:120
	s_waitcnt vmcnt(2)
	buffer_store_dword v39, off, s[0:3], 0 offset:124
	s_waitcnt vmcnt(1)
	buffer_store_dword v40, v37, s[0:3], 0 offen
	s_waitcnt vmcnt(0)
	buffer_store_dword v41, v37, s[0:3], 0 offen offset:4
.LBB81_126:
	global_load_dword v0, v0, s[12:13] offset:56
	s_waitcnt vmcnt(0)
	v_add_nc_u32_e32 v0, -1, v0
	v_cmp_eq_u32_e32 vcc_lo, 14, v0
	s_cbranch_vccnz .LBB81_128
; %bb.127:
	v_lshlrev_b32_e32 v0, 3, v0
	s_clause 0x3
	buffer_load_dword v37, v0, s[0:3], 0 offen
	buffer_load_dword v38, v0, s[0:3], 0 offen offset:4
	buffer_load_dword v39, off, s[0:3], 0 offset:116
	buffer_load_dword v40, off, s[0:3], 0 offset:112
	s_waitcnt vmcnt(3)
	buffer_store_dword v37, off, s[0:3], 0 offset:112
	s_waitcnt vmcnt(2)
	buffer_store_dword v38, off, s[0:3], 0 offset:116
	s_waitcnt vmcnt(1)
	buffer_store_dword v39, v0, s[0:3], 0 offen offset:4
	s_waitcnt vmcnt(0)
	buffer_store_dword v40, v0, s[0:3], 0 offen
.LBB81_128:
	v_mov_b32_e32 v0, 0
	global_load_dword v37, v0, s[12:13] offset:52
	s_waitcnt vmcnt(0)
	v_add_nc_u32_e32 v37, -1, v37
	v_cmp_eq_u32_e32 vcc_lo, 13, v37
	s_cbranch_vccnz .LBB81_130
; %bb.129:
	v_lshlrev_b32_e32 v37, 3, v37
	s_clause 0x3
	buffer_load_dword v38, v37, s[0:3], 0 offen
	buffer_load_dword v39, v37, s[0:3], 0 offen offset:4
	buffer_load_dword v40, off, s[0:3], 0 offset:104
	buffer_load_dword v41, off, s[0:3], 0 offset:108
	s_waitcnt vmcnt(3)
	buffer_store_dword v38, off, s[0:3], 0 offset:104
	s_waitcnt vmcnt(2)
	buffer_store_dword v39, off, s[0:3], 0 offset:108
	s_waitcnt vmcnt(1)
	buffer_store_dword v40, v37, s[0:3], 0 offen
	s_waitcnt vmcnt(0)
	buffer_store_dword v41, v37, s[0:3], 0 offen offset:4
.LBB81_130:
	global_load_dword v0, v0, s[12:13] offset:48
	s_waitcnt vmcnt(0)
	v_add_nc_u32_e32 v0, -1, v0
	v_cmp_eq_u32_e32 vcc_lo, 12, v0
	s_cbranch_vccnz .LBB81_132
; %bb.131:
	v_lshlrev_b32_e32 v0, 3, v0
	s_clause 0x3
	buffer_load_dword v37, v0, s[0:3], 0 offen
	buffer_load_dword v38, v0, s[0:3], 0 offen offset:4
	buffer_load_dword v39, off, s[0:3], 0 offset:100
	buffer_load_dword v40, off, s[0:3], 0 offset:96
	s_waitcnt vmcnt(3)
	buffer_store_dword v37, off, s[0:3], 0 offset:96
	s_waitcnt vmcnt(2)
	buffer_store_dword v38, off, s[0:3], 0 offset:100
	s_waitcnt vmcnt(1)
	buffer_store_dword v39, v0, s[0:3], 0 offen offset:4
	s_waitcnt vmcnt(0)
	buffer_store_dword v40, v0, s[0:3], 0 offen
.LBB81_132:
	;; [unrolled: 43-line block ×7, first 2 shown]
	v_mov_b32_e32 v0, 0
	global_load_dword v37, v0, s[12:13] offset:4
	s_waitcnt vmcnt(0)
	v_add_nc_u32_e32 v37, -1, v37
	v_cmp_eq_u32_e32 vcc_lo, 1, v37
	s_cbranch_vccnz .LBB81_154
; %bb.153:
	v_lshlrev_b32_e32 v37, 3, v37
	s_clause 0x3
	buffer_load_dword v38, v37, s[0:3], 0 offen
	buffer_load_dword v39, v37, s[0:3], 0 offen offset:4
	buffer_load_dword v40, off, s[0:3], 0 offset:8
	buffer_load_dword v41, off, s[0:3], 0 offset:12
	s_waitcnt vmcnt(3)
	buffer_store_dword v38, off, s[0:3], 0 offset:8
	s_waitcnt vmcnt(2)
	buffer_store_dword v39, off, s[0:3], 0 offset:12
	s_waitcnt vmcnt(1)
	buffer_store_dword v40, v37, s[0:3], 0 offen
	s_waitcnt vmcnt(0)
	buffer_store_dword v41, v37, s[0:3], 0 offen offset:4
.LBB81_154:
	global_load_dword v0, v0, s[12:13]
	s_waitcnt vmcnt(0)
	v_add_nc_u32_e32 v0, -1, v0
	v_cmp_eq_u32_e32 vcc_lo, 0, v0
	s_cbranch_vccnz .LBB81_156
; %bb.155:
	v_lshlrev_b32_e32 v0, 3, v0
	s_clause 0x3
	buffer_load_dword v37, v0, s[0:3], 0 offen
	buffer_load_dword v38, v0, s[0:3], 0 offen offset:4
	buffer_load_dword v39, off, s[0:3], 0 offset:4
	buffer_load_dword v40, off, s[0:3], 0
	s_waitcnt vmcnt(3)
	buffer_store_dword v37, off, s[0:3], 0
	s_waitcnt vmcnt(2)
	buffer_store_dword v38, off, s[0:3], 0 offset:4
	s_waitcnt vmcnt(1)
	buffer_store_dword v39, v0, s[0:3], 0 offen offset:4
	s_waitcnt vmcnt(0)
	buffer_store_dword v40, v0, s[0:3], 0 offen
.LBB81_156:
	s_clause 0x1
	buffer_load_dword v37, off, s[0:3], 0
	buffer_load_dword v38, off, s[0:3], 0 offset:4
	s_waitcnt vmcnt(0)
	flat_store_dwordx2 v[1:2], v[37:38]
	s_clause 0x1
	buffer_load_dword v0, off, s[0:3], 0 offset:8
	buffer_load_dword v1, off, s[0:3], 0 offset:12
	s_waitcnt vmcnt(0)
	flat_store_dwordx2 v[3:4], v[0:1]
	s_clause 0x1
	buffer_load_dword v0, off, s[0:3], 0 offset:16
	;; [unrolled: 5-line block ×17, first 2 shown]
	buffer_load_dword v1, off, s[0:3], 0 offset:140
	s_waitcnt vmcnt(0)
	flat_store_dwordx2 v[35:36], v[0:1]
	s_endpgm
	.section	.rodata,"a",@progbits
	.p2align	6, 0x0
	.amdhsa_kernel _ZN9rocsolver6v33100L18getri_kernel_smallILi18E19rocblas_complex_numIfEPKPS3_EEvT1_iilPiilS8_bb
		.amdhsa_group_segment_fixed_size 292
		.amdhsa_private_segment_fixed_size 160
		.amdhsa_kernarg_size 60
		.amdhsa_user_sgpr_count 6
		.amdhsa_user_sgpr_private_segment_buffer 1
		.amdhsa_user_sgpr_dispatch_ptr 0
		.amdhsa_user_sgpr_queue_ptr 0
		.amdhsa_user_sgpr_kernarg_segment_ptr 1
		.amdhsa_user_sgpr_dispatch_id 0
		.amdhsa_user_sgpr_flat_scratch_init 0
		.amdhsa_user_sgpr_private_segment_size 0
		.amdhsa_wavefront_size32 1
		.amdhsa_uses_dynamic_stack 0
		.amdhsa_system_sgpr_private_segment_wavefront_offset 1
		.amdhsa_system_sgpr_workgroup_id_x 1
		.amdhsa_system_sgpr_workgroup_id_y 0
		.amdhsa_system_sgpr_workgroup_id_z 0
		.amdhsa_system_sgpr_workgroup_info 0
		.amdhsa_system_vgpr_workitem_id 0
		.amdhsa_next_free_vgpr 124
		.amdhsa_next_free_sgpr 20
		.amdhsa_reserve_vcc 1
		.amdhsa_reserve_flat_scratch 0
		.amdhsa_float_round_mode_32 0
		.amdhsa_float_round_mode_16_64 0
		.amdhsa_float_denorm_mode_32 3
		.amdhsa_float_denorm_mode_16_64 3
		.amdhsa_dx10_clamp 1
		.amdhsa_ieee_mode 1
		.amdhsa_fp16_overflow 0
		.amdhsa_workgroup_processor_mode 1
		.amdhsa_memory_ordered 1
		.amdhsa_forward_progress 1
		.amdhsa_shared_vgpr_count 0
		.amdhsa_exception_fp_ieee_invalid_op 0
		.amdhsa_exception_fp_denorm_src 0
		.amdhsa_exception_fp_ieee_div_zero 0
		.amdhsa_exception_fp_ieee_overflow 0
		.amdhsa_exception_fp_ieee_underflow 0
		.amdhsa_exception_fp_ieee_inexact 0
		.amdhsa_exception_int_div_zero 0
	.end_amdhsa_kernel
	.section	.text._ZN9rocsolver6v33100L18getri_kernel_smallILi18E19rocblas_complex_numIfEPKPS3_EEvT1_iilPiilS8_bb,"axG",@progbits,_ZN9rocsolver6v33100L18getri_kernel_smallILi18E19rocblas_complex_numIfEPKPS3_EEvT1_iilPiilS8_bb,comdat
.Lfunc_end81:
	.size	_ZN9rocsolver6v33100L18getri_kernel_smallILi18E19rocblas_complex_numIfEPKPS3_EEvT1_iilPiilS8_bb, .Lfunc_end81-_ZN9rocsolver6v33100L18getri_kernel_smallILi18E19rocblas_complex_numIfEPKPS3_EEvT1_iilPiilS8_bb
                                        ; -- End function
	.set _ZN9rocsolver6v33100L18getri_kernel_smallILi18E19rocblas_complex_numIfEPKPS3_EEvT1_iilPiilS8_bb.num_vgpr, 124
	.set _ZN9rocsolver6v33100L18getri_kernel_smallILi18E19rocblas_complex_numIfEPKPS3_EEvT1_iilPiilS8_bb.num_agpr, 0
	.set _ZN9rocsolver6v33100L18getri_kernel_smallILi18E19rocblas_complex_numIfEPKPS3_EEvT1_iilPiilS8_bb.numbered_sgpr, 20
	.set _ZN9rocsolver6v33100L18getri_kernel_smallILi18E19rocblas_complex_numIfEPKPS3_EEvT1_iilPiilS8_bb.num_named_barrier, 0
	.set _ZN9rocsolver6v33100L18getri_kernel_smallILi18E19rocblas_complex_numIfEPKPS3_EEvT1_iilPiilS8_bb.private_seg_size, 160
	.set _ZN9rocsolver6v33100L18getri_kernel_smallILi18E19rocblas_complex_numIfEPKPS3_EEvT1_iilPiilS8_bb.uses_vcc, 1
	.set _ZN9rocsolver6v33100L18getri_kernel_smallILi18E19rocblas_complex_numIfEPKPS3_EEvT1_iilPiilS8_bb.uses_flat_scratch, 0
	.set _ZN9rocsolver6v33100L18getri_kernel_smallILi18E19rocblas_complex_numIfEPKPS3_EEvT1_iilPiilS8_bb.has_dyn_sized_stack, 0
	.set _ZN9rocsolver6v33100L18getri_kernel_smallILi18E19rocblas_complex_numIfEPKPS3_EEvT1_iilPiilS8_bb.has_recursion, 0
	.set _ZN9rocsolver6v33100L18getri_kernel_smallILi18E19rocblas_complex_numIfEPKPS3_EEvT1_iilPiilS8_bb.has_indirect_call, 0
	.section	.AMDGPU.csdata,"",@progbits
; Kernel info:
; codeLenInByte = 19868
; TotalNumSgprs: 22
; NumVgprs: 124
; ScratchSize: 160
; MemoryBound: 0
; FloatMode: 240
; IeeeMode: 1
; LDSByteSize: 292 bytes/workgroup (compile time only)
; SGPRBlocks: 0
; VGPRBlocks: 15
; NumSGPRsForWavesPerEU: 22
; NumVGPRsForWavesPerEU: 124
; Occupancy: 8
; WaveLimiterHint : 1
; COMPUTE_PGM_RSRC2:SCRATCH_EN: 1
; COMPUTE_PGM_RSRC2:USER_SGPR: 6
; COMPUTE_PGM_RSRC2:TRAP_HANDLER: 0
; COMPUTE_PGM_RSRC2:TGID_X_EN: 1
; COMPUTE_PGM_RSRC2:TGID_Y_EN: 0
; COMPUTE_PGM_RSRC2:TGID_Z_EN: 0
; COMPUTE_PGM_RSRC2:TIDIG_COMP_CNT: 0
	.section	.text._ZN9rocsolver6v33100L18getri_kernel_smallILi19E19rocblas_complex_numIfEPKPS3_EEvT1_iilPiilS8_bb,"axG",@progbits,_ZN9rocsolver6v33100L18getri_kernel_smallILi19E19rocblas_complex_numIfEPKPS3_EEvT1_iilPiilS8_bb,comdat
	.globl	_ZN9rocsolver6v33100L18getri_kernel_smallILi19E19rocblas_complex_numIfEPKPS3_EEvT1_iilPiilS8_bb ; -- Begin function _ZN9rocsolver6v33100L18getri_kernel_smallILi19E19rocblas_complex_numIfEPKPS3_EEvT1_iilPiilS8_bb
	.p2align	8
	.type	_ZN9rocsolver6v33100L18getri_kernel_smallILi19E19rocblas_complex_numIfEPKPS3_EEvT1_iilPiilS8_bb,@function
_ZN9rocsolver6v33100L18getri_kernel_smallILi19E19rocblas_complex_numIfEPKPS3_EEvT1_iilPiilS8_bb: ; @_ZN9rocsolver6v33100L18getri_kernel_smallILi19E19rocblas_complex_numIfEPKPS3_EEvT1_iilPiilS8_bb
; %bb.0:
	s_add_u32 s0, s0, s7
	s_addc_u32 s1, s1, 0
	s_mov_b32 s7, exec_lo
	v_cmpx_gt_u32_e32 19, v0
	s_cbranch_execz .LBB82_90
; %bb.1:
	s_clause 0x2
	s_load_dword s17, s[4:5], 0x38
	s_load_dwordx2 s[12:13], s[4:5], 0x0
	s_load_dwordx4 s[8:11], s[4:5], 0x28
	s_waitcnt lgkmcnt(0)
	s_bitcmp1_b32 s17, 8
	s_cselect_b32 s16, -1, 0
	s_ashr_i32 s7, s6, 31
	s_lshl_b64 s[14:15], s[6:7], 3
	s_add_u32 s12, s12, s14
	s_addc_u32 s13, s13, s15
	s_load_dwordx2 s[14:15], s[12:13], 0x0
	s_bfe_u32 s12, s17, 0x10008
	s_cmp_eq_u32 s12, 0
                                        ; implicit-def: $sgpr12_sgpr13
	s_cbranch_scc1 .LBB82_3
; %bb.2:
	s_clause 0x1
	s_load_dword s12, s[4:5], 0x20
	s_load_dwordx2 s[18:19], s[4:5], 0x18
	s_mul_i32 s13, s8, s7
	s_mul_hi_u32 s17, s8, s6
	s_mul_i32 s9, s9, s6
	s_add_i32 s13, s17, s13
	s_mul_i32 s8, s8, s6
	s_add_i32 s9, s13, s9
	s_lshl_b64 s[8:9], s[8:9], 2
	s_waitcnt lgkmcnt(0)
	s_ashr_i32 s13, s12, 31
	s_add_u32 s17, s18, s8
	s_addc_u32 s18, s19, s9
	s_lshl_b64 s[8:9], s[12:13], 2
	s_add_u32 s12, s17, s8
	s_addc_u32 s13, s18, s9
.LBB82_3:
	s_clause 0x1
	s_load_dwordx2 s[8:9], s[4:5], 0x8
	s_load_dword s4, s[4:5], 0x38
	v_lshlrev_b32_e32 v41, 3, v0
	s_waitcnt lgkmcnt(0)
	s_ashr_i32 s19, s8, 31
	s_mov_b32 s18, s8
	v_add3_u32 v9, s9, s9, v0
	s_lshl_b64 s[18:19], s[18:19], 3
	s_add_u32 s5, s14, s18
	s_addc_u32 s8, s15, s19
	v_add_co_u32 v1, s14, s5, v41
	v_add_co_ci_u32_e64 v2, null, s8, 0, s14
	s_mov_b32 s14, s9
	s_ashr_i32 s15, s9, 31
	v_ashrrev_i32_e32 v10, 31, v9
	flat_load_dwordx2 v[5:6], v[1:2]
	s_lshl_b64 s[14:15], s[14:15], 3
	v_add_nc_u32_e32 v12, s9, v9
	v_add_co_u32 v3, vcc_lo, v1, s14
	v_add_co_ci_u32_e64 v4, null, s15, v2, vcc_lo
	v_ashrrev_i32_e32 v13, 31, v12
	s_bitcmp0_b32 s4, 0
	s_waitcnt vmcnt(0) lgkmcnt(0)
	buffer_store_dword v6, off, s[0:3], 0 offset:4
	buffer_store_dword v5, off, s[0:3], 0
	flat_load_dwordx2 v[7:8], v[3:4]
	v_lshlrev_b64 v[5:6], 3, v[9:10]
	s_waitcnt vmcnt(0) lgkmcnt(0)
	buffer_store_dword v8, off, s[0:3], 0 offset:12
	buffer_store_dword v7, off, s[0:3], 0 offset:8
	v_add_co_u32 v5, vcc_lo, s5, v5
	v_add_co_ci_u32_e64 v6, null, s8, v6, vcc_lo
	v_lshlrev_b64 v[7:8], 3, v[12:13]
	flat_load_dwordx2 v[10:11], v[5:6]
	s_waitcnt vmcnt(0) lgkmcnt(0)
	buffer_store_dword v11, off, s[0:3], 0 offset:20
	buffer_store_dword v10, off, s[0:3], 0 offset:16
	v_add_co_u32 v7, vcc_lo, s5, v7
	v_add_co_ci_u32_e64 v8, null, s8, v8, vcc_lo
	v_add_nc_u32_e32 v11, s9, v12
	flat_load_dwordx2 v[13:14], v[7:8]
	s_waitcnt vmcnt(0) lgkmcnt(0)
	buffer_store_dword v14, off, s[0:3], 0 offset:28
	buffer_store_dword v13, off, s[0:3], 0 offset:24
	v_ashrrev_i32_e32 v12, 31, v11
	v_add_nc_u32_e32 v15, s9, v11
	v_lshlrev_b64 v[9:10], 3, v[11:12]
	v_ashrrev_i32_e32 v16, 31, v15
	v_add_nc_u32_e32 v18, s9, v15
	v_add_co_u32 v9, vcc_lo, s5, v9
	v_add_co_ci_u32_e64 v10, null, s8, v10, vcc_lo
	v_lshlrev_b64 v[11:12], 3, v[15:16]
	v_ashrrev_i32_e32 v19, 31, v18
	flat_load_dwordx2 v[13:14], v[9:10]
	s_waitcnt vmcnt(0) lgkmcnt(0)
	buffer_store_dword v14, off, s[0:3], 0 offset:36
	buffer_store_dword v13, off, s[0:3], 0 offset:32
	v_add_co_u32 v11, vcc_lo, s5, v11
	v_add_co_ci_u32_e64 v12, null, s8, v12, vcc_lo
	v_lshlrev_b64 v[13:14], 3, v[18:19]
	flat_load_dwordx2 v[16:17], v[11:12]
	s_waitcnt vmcnt(0) lgkmcnt(0)
	buffer_store_dword v17, off, s[0:3], 0 offset:44
	buffer_store_dword v16, off, s[0:3], 0 offset:40
	v_add_co_u32 v13, vcc_lo, s5, v13
	v_add_co_ci_u32_e64 v14, null, s8, v14, vcc_lo
	v_add_nc_u32_e32 v17, s9, v18
	flat_load_dwordx2 v[19:20], v[13:14]
	s_waitcnt vmcnt(0) lgkmcnt(0)
	buffer_store_dword v20, off, s[0:3], 0 offset:52
	buffer_store_dword v19, off, s[0:3], 0 offset:48
	v_ashrrev_i32_e32 v18, 31, v17
	v_add_nc_u32_e32 v21, s9, v17
	v_lshlrev_b64 v[15:16], 3, v[17:18]
	v_ashrrev_i32_e32 v22, 31, v21
	v_add_nc_u32_e32 v24, s9, v21
	v_add_co_u32 v15, vcc_lo, s5, v15
	v_add_co_ci_u32_e64 v16, null, s8, v16, vcc_lo
	v_lshlrev_b64 v[17:18], 3, v[21:22]
	v_ashrrev_i32_e32 v25, 31, v24
	flat_load_dwordx2 v[19:20], v[15:16]
	;; [unrolled: 27-line block ×4, first 2 shown]
	s_waitcnt vmcnt(0) lgkmcnt(0)
	buffer_store_dword v32, off, s[0:3], 0 offset:108
	buffer_store_dword v31, off, s[0:3], 0 offset:104
	v_add_co_u32 v29, vcc_lo, s5, v29
	v_add_co_ci_u32_e64 v30, null, s8, v30, vcc_lo
	v_lshlrev_b64 v[31:32], 3, v[36:37]
	flat_load_dwordx2 v[34:35], v[29:30]
	s_waitcnt vmcnt(0) lgkmcnt(0)
	buffer_store_dword v35, off, s[0:3], 0 offset:116
	buffer_store_dword v34, off, s[0:3], 0 offset:112
	v_add_co_u32 v31, vcc_lo, s5, v31
	v_add_co_ci_u32_e64 v32, null, s8, v32, vcc_lo
	v_add_nc_u32_e32 v35, s9, v36
	flat_load_dwordx2 v[37:38], v[31:32]
	s_waitcnt vmcnt(0) lgkmcnt(0)
	buffer_store_dword v38, off, s[0:3], 0 offset:124
	buffer_store_dword v37, off, s[0:3], 0 offset:120
	v_ashrrev_i32_e32 v36, 31, v35
	v_add_nc_u32_e32 v39, s9, v35
	v_lshlrev_b64 v[33:34], 3, v[35:36]
	v_ashrrev_i32_e32 v40, 31, v39
	v_add_co_u32 v33, vcc_lo, s5, v33
	v_add_co_ci_u32_e64 v34, null, s8, v34, vcc_lo
	v_lshlrev_b64 v[35:36], 3, v[39:40]
	flat_load_dwordx2 v[37:38], v[33:34]
	s_waitcnt vmcnt(0) lgkmcnt(0)
	buffer_store_dword v38, off, s[0:3], 0 offset:132
	buffer_store_dword v37, off, s[0:3], 0 offset:128
	v_add_co_u32 v35, vcc_lo, s5, v35
	v_add_co_ci_u32_e64 v36, null, s8, v36, vcc_lo
	v_add_nc_u32_e32 v37, s9, v39
	flat_load_dwordx2 v[42:43], v[35:36]
	s_waitcnt vmcnt(0) lgkmcnt(0)
	buffer_store_dword v43, off, s[0:3], 0 offset:140
	buffer_store_dword v42, off, s[0:3], 0 offset:136
	v_ashrrev_i32_e32 v38, 31, v37
	v_lshlrev_b64 v[37:38], 3, v[37:38]
	v_add_co_u32 v37, vcc_lo, s5, v37
	v_add_co_ci_u32_e64 v38, null, s8, v38, vcc_lo
	s_mov_b32 s5, -1
	flat_load_dwordx2 v[39:40], v[37:38]
	s_waitcnt vmcnt(0) lgkmcnt(0)
	buffer_store_dword v40, off, s[0:3], 0 offset:148
	buffer_store_dword v39, off, s[0:3], 0 offset:144
	s_cbranch_scc1 .LBB82_88
; %bb.4:
	v_cmp_eq_u32_e64 s4, 0, v0
	s_and_saveexec_b32 s5, s4
; %bb.5:
	v_mov_b32_e32 v39, 0
	ds_write_b32 v39, v39 offset:152
; %bb.6:
	s_or_b32 exec_lo, exec_lo, s5
	v_lshl_add_u32 v43, v0, 3, 0
	s_waitcnt lgkmcnt(0)
	s_waitcnt_vscnt null, 0x0
	s_barrier
	buffer_gl0_inv
	s_clause 0x1
	buffer_load_dword v39, v43, s[0:3], 0 offen
	buffer_load_dword v40, v43, s[0:3], 0 offen offset:4
	s_waitcnt vmcnt(1)
	v_cmp_eq_f32_e32 vcc_lo, 0, v39
	s_waitcnt vmcnt(0)
	v_cmp_eq_f32_e64 s5, 0, v40
	s_and_b32 s5, vcc_lo, s5
	s_and_saveexec_b32 s8, s5
	s_cbranch_execz .LBB82_10
; %bb.7:
	v_mov_b32_e32 v39, 0
	s_mov_b32 s9, 0
	ds_read_b32 v40, v39 offset:152
	s_waitcnt lgkmcnt(0)
	v_readfirstlane_b32 s5, v40
	v_add_nc_u32_e32 v40, 1, v0
	s_cmp_eq_u32 s5, 0
	v_cmp_gt_i32_e32 vcc_lo, s5, v40
	s_cselect_b32 s14, -1, 0
	s_or_b32 s14, s14, vcc_lo
	s_and_b32 exec_lo, exec_lo, s14
	s_cbranch_execz .LBB82_10
; %bb.8:
	v_mov_b32_e32 v42, s5
.LBB82_9:                               ; =>This Inner Loop Header: Depth=1
	ds_cmpst_rtn_b32 v42, v39, v42, v40 offset:152
	s_waitcnt lgkmcnt(0)
	v_cmp_ne_u32_e32 vcc_lo, 0, v42
	v_cmp_le_i32_e64 s5, v42, v40
	s_and_b32 s5, vcc_lo, s5
	s_and_b32 s5, exec_lo, s5
	s_or_b32 s9, s5, s9
	s_andn2_b32 exec_lo, exec_lo, s9
	s_cbranch_execnz .LBB82_9
.LBB82_10:
	s_or_b32 exec_lo, exec_lo, s8
	v_mov_b32_e32 v39, 0
	s_barrier
	buffer_gl0_inv
	ds_read_b32 v40, v39 offset:152
	s_and_saveexec_b32 s5, s4
	s_cbranch_execz .LBB82_12
; %bb.11:
	s_lshl_b64 s[8:9], s[6:7], 2
	s_add_u32 s8, s10, s8
	s_addc_u32 s9, s11, s9
	s_waitcnt lgkmcnt(0)
	global_store_dword v39, v40, s[8:9]
.LBB82_12:
	s_or_b32 exec_lo, exec_lo, s5
	s_waitcnt lgkmcnt(0)
	v_cmp_ne_u32_e32 vcc_lo, 0, v40
	s_mov_b32 s5, 0
	s_cbranch_vccnz .LBB82_88
; %bb.13:
	s_clause 0x1
	buffer_load_dword v40, v43, s[0:3], 0 offen
	buffer_load_dword v42, v43, s[0:3], 0 offen offset:4
                                        ; implicit-def: $vgpr45
                                        ; implicit-def: $vgpr44
                                        ; implicit-def: $vgpr39
	s_waitcnt vmcnt(0)
	v_cmp_ngt_f32_e64 s5, |v40|, |v42|
	s_and_saveexec_b32 s8, s5
	s_xor_b32 s5, exec_lo, s8
	s_cbranch_execz .LBB82_15
; %bb.14:
	v_div_scale_f32 v39, null, v42, v42, v40
	v_div_scale_f32 v46, vcc_lo, v40, v42, v40
	v_rcp_f32_e32 v44, v39
	v_fma_f32 v45, -v39, v44, 1.0
	v_fmac_f32_e32 v44, v45, v44
	v_mul_f32_e32 v45, v46, v44
	v_fma_f32 v47, -v39, v45, v46
	v_fmac_f32_e32 v45, v47, v44
	v_fma_f32 v39, -v39, v45, v46
	v_div_fmas_f32 v39, v39, v44, v45
	v_div_fixup_f32 v39, v39, v42, v40
	v_fmac_f32_e32 v42, v40, v39
	v_div_scale_f32 v40, null, v42, v42, 1.0
	v_rcp_f32_e32 v44, v40
	v_fma_f32 v45, -v40, v44, 1.0
	v_fmac_f32_e32 v44, v45, v44
	v_div_scale_f32 v45, vcc_lo, 1.0, v42, 1.0
	v_mul_f32_e32 v46, v45, v44
	v_fma_f32 v47, -v40, v46, v45
	v_fmac_f32_e32 v46, v47, v44
	v_fma_f32 v40, -v40, v46, v45
	v_div_fmas_f32 v40, v40, v44, v46
	v_div_fixup_f32 v40, v40, v42, 1.0
                                        ; implicit-def: $vgpr42
	v_mul_f32_e32 v45, v39, v40
	v_xor_b32_e32 v44, 0x80000000, v40
                                        ; implicit-def: $vgpr40
	v_xor_b32_e32 v39, 0x80000000, v45
.LBB82_15:
	s_andn2_saveexec_b32 s5, s5
	s_cbranch_execz .LBB82_17
; %bb.16:
	v_div_scale_f32 v39, null, v40, v40, v42
	v_div_scale_f32 v46, vcc_lo, v42, v40, v42
	v_rcp_f32_e32 v44, v39
	v_fma_f32 v45, -v39, v44, 1.0
	v_fmac_f32_e32 v44, v45, v44
	v_mul_f32_e32 v45, v46, v44
	v_fma_f32 v47, -v39, v45, v46
	v_fmac_f32_e32 v45, v47, v44
	v_fma_f32 v39, -v39, v45, v46
	v_div_fmas_f32 v39, v39, v44, v45
	v_div_fixup_f32 v44, v39, v40, v42
	v_fmac_f32_e32 v40, v42, v44
	v_div_scale_f32 v39, null, v40, v40, 1.0
	v_div_scale_f32 v46, vcc_lo, 1.0, v40, 1.0
	v_rcp_f32_e32 v42, v39
	v_fma_f32 v45, -v39, v42, 1.0
	v_fmac_f32_e32 v42, v45, v42
	v_mul_f32_e32 v45, v46, v42
	v_fma_f32 v47, -v39, v45, v46
	v_fmac_f32_e32 v45, v47, v42
	v_fma_f32 v39, -v39, v45, v46
	v_div_fmas_f32 v39, v39, v42, v45
	v_div_fixup_f32 v45, v39, v40, 1.0
	v_xor_b32_e32 v39, 0x80000000, v45
	v_mul_f32_e64 v44, v44, -v45
.LBB82_17:
	s_or_b32 exec_lo, exec_lo, s5
	buffer_store_dword v45, v43, s[0:3], 0 offen
	buffer_store_dword v44, v43, s[0:3], 0 offen offset:4
	s_clause 0x1
	buffer_load_dword v46, off, s[0:3], 0 offset:12
	buffer_load_dword v45, off, s[0:3], 0 offset:8
	v_xor_b32_e32 v40, 0x80000000, v44
	v_add_nc_u32_e32 v42, 0xa0, v41
	s_waitcnt vmcnt(0)
	ds_write2_b64 v41, v[39:40], v[45:46] offset1:20
	s_waitcnt lgkmcnt(0)
	s_waitcnt_vscnt null, 0x0
	s_barrier
	buffer_gl0_inv
	s_and_saveexec_b32 s5, s4
	s_cbranch_execz .LBB82_19
; %bb.18:
	s_clause 0x1
	buffer_load_dword v46, v43, s[0:3], 0 offen offset:4
	buffer_load_dword v47, v43, s[0:3], 0 offen
	ds_read_b64 v[39:40], v42
	v_mov_b32_e32 v44, 0
	ds_read_b64 v[44:45], v44 offset:8
	s_waitcnt vmcnt(1) lgkmcnt(1)
	v_mul_f32_e32 v48, v39, v46
	v_mul_f32_e32 v46, v40, v46
	s_waitcnt vmcnt(0)
	v_fmac_f32_e32 v48, v40, v47
	v_fma_f32 v39, v39, v47, -v46
	v_add_f32_e32 v40, 0, v48
	v_add_f32_e32 v39, 0, v39
	s_waitcnt lgkmcnt(0)
	v_mul_f32_e32 v46, v40, v45
	v_mul_f32_e32 v45, v39, v45
	v_fma_f32 v39, v39, v44, -v46
	v_fmac_f32_e32 v45, v40, v44
	buffer_store_dword v39, off, s[0:3], 0 offset:8
	buffer_store_dword v45, off, s[0:3], 0 offset:12
.LBB82_19:
	s_or_b32 exec_lo, exec_lo, s5
	s_waitcnt_vscnt null, 0x0
	s_barrier
	buffer_gl0_inv
	s_clause 0x1
	buffer_load_dword v39, off, s[0:3], 0 offset:16
	buffer_load_dword v40, off, s[0:3], 0 offset:20
	s_mov_b32 s5, exec_lo
	s_waitcnt vmcnt(0)
	ds_write_b64 v42, v[39:40]
	s_waitcnt lgkmcnt(0)
	s_barrier
	buffer_gl0_inv
	v_cmpx_gt_u32_e32 2, v0
	s_cbranch_execz .LBB82_23
; %bb.20:
	s_clause 0x1
	buffer_load_dword v44, v43, s[0:3], 0 offen offset:4
	buffer_load_dword v43, v43, s[0:3], 0 offen
	ds_read_b64 v[39:40], v42
	s_waitcnt vmcnt(1) lgkmcnt(0)
	v_mul_f32_e32 v45, v40, v44
	v_mul_f32_e32 v44, v39, v44
	s_waitcnt vmcnt(0)
	v_fma_f32 v39, v39, v43, -v45
	v_fmac_f32_e32 v44, v40, v43
	v_add_f32_e32 v40, 0, v39
	v_add_f32_e32 v39, 0, v44
	s_and_saveexec_b32 s8, s4
	s_cbranch_execz .LBB82_22
; %bb.21:
	s_clause 0x1
	buffer_load_dword v45, off, s[0:3], 0 offset:12
	buffer_load_dword v46, off, s[0:3], 0 offset:8
	v_mov_b32_e32 v43, 0
	ds_read_b64 v[43:44], v43 offset:168
	s_waitcnt vmcnt(1) lgkmcnt(0)
	v_mul_f32_e32 v47, v43, v45
	v_mul_f32_e32 v45, v44, v45
	s_waitcnt vmcnt(0)
	v_fmac_f32_e32 v47, v44, v46
	v_fma_f32 v43, v43, v46, -v45
	v_add_f32_e32 v39, v39, v47
	v_add_f32_e32 v40, v40, v43
.LBB82_22:
	s_or_b32 exec_lo, exec_lo, s8
	v_mov_b32_e32 v43, 0
	ds_read_b64 v[43:44], v43 offset:16
	s_waitcnt lgkmcnt(0)
	v_mul_f32_e32 v45, v39, v44
	v_mul_f32_e32 v44, v40, v44
	v_fma_f32 v40, v40, v43, -v45
	v_fmac_f32_e32 v44, v39, v43
	buffer_store_dword v40, off, s[0:3], 0 offset:16
	buffer_store_dword v44, off, s[0:3], 0 offset:20
.LBB82_23:
	s_or_b32 exec_lo, exec_lo, s5
	s_waitcnt_vscnt null, 0x0
	s_barrier
	buffer_gl0_inv
	s_clause 0x1
	buffer_load_dword v43, off, s[0:3], 0 offset:24
	buffer_load_dword v44, off, s[0:3], 0 offset:28
	v_add_nc_u32_e32 v39, -1, v0
	s_mov_b32 s4, exec_lo
	s_waitcnt vmcnt(0)
	ds_write_b64 v42, v[43:44]
	s_waitcnt lgkmcnt(0)
	s_barrier
	buffer_gl0_inv
	v_cmpx_gt_u32_e32 3, v0
	s_cbranch_execz .LBB82_27
; %bb.24:
	v_add_nc_u32_e32 v43, -1, v0
	v_add_nc_u32_e32 v44, 0xa0, v41
	v_mov_b32_e32 v45, v41
	v_mov_b32_e32 v40, 0
	;; [unrolled: 1-line block ×3, first 2 shown]
	s_mov_b32 s5, 0
	.p2align	6
.LBB82_25:                              ; =>This Inner Loop Header: Depth=1
	s_clause 0x1
	buffer_load_dword v49, v45, s[0:3], 0 offen offset:4
	buffer_load_dword v50, v45, s[0:3], 0 offen
	ds_read_b64 v[47:48], v44
	v_add_nc_u32_e32 v43, 1, v43
	v_add_nc_u32_e32 v44, 8, v44
	;; [unrolled: 1-line block ×3, first 2 shown]
	v_cmp_lt_u32_e32 vcc_lo, 1, v43
	s_or_b32 s5, vcc_lo, s5
	s_waitcnt vmcnt(1) lgkmcnt(0)
	v_mul_f32_e32 v51, v48, v49
	v_mul_f32_e32 v49, v47, v49
	s_waitcnt vmcnt(0)
	v_fma_f32 v47, v47, v50, -v51
	v_fmac_f32_e32 v49, v48, v50
	v_add_f32_e32 v46, v46, v47
	v_add_f32_e32 v40, v40, v49
	s_andn2_b32 exec_lo, exec_lo, s5
	s_cbranch_execnz .LBB82_25
; %bb.26:
	s_or_b32 exec_lo, exec_lo, s5
	v_mov_b32_e32 v43, 0
	ds_read_b64 v[43:44], v43 offset:24
	s_waitcnt lgkmcnt(0)
	v_mul_f32_e32 v45, v40, v44
	v_mul_f32_e32 v44, v46, v44
	v_fma_f32 v45, v46, v43, -v45
	v_fmac_f32_e32 v44, v40, v43
	buffer_store_dword v45, off, s[0:3], 0 offset:24
	buffer_store_dword v44, off, s[0:3], 0 offset:28
.LBB82_27:
	s_or_b32 exec_lo, exec_lo, s4
	s_waitcnt_vscnt null, 0x0
	s_barrier
	buffer_gl0_inv
	s_clause 0x1
	buffer_load_dword v43, off, s[0:3], 0 offset:32
	buffer_load_dword v44, off, s[0:3], 0 offset:36
	s_mov_b32 s4, exec_lo
	s_waitcnt vmcnt(0)
	ds_write_b64 v42, v[43:44]
	s_waitcnt lgkmcnt(0)
	s_barrier
	buffer_gl0_inv
	v_cmpx_gt_u32_e32 4, v0
	s_cbranch_execz .LBB82_31
; %bb.28:
	v_add_nc_u32_e32 v43, -1, v0
	v_add_nc_u32_e32 v44, 0xa0, v41
	v_mov_b32_e32 v45, v41
	v_mov_b32_e32 v40, 0
	;; [unrolled: 1-line block ×3, first 2 shown]
	s_mov_b32 s5, 0
	.p2align	6
.LBB82_29:                              ; =>This Inner Loop Header: Depth=1
	s_clause 0x1
	buffer_load_dword v49, v45, s[0:3], 0 offen offset:4
	buffer_load_dword v50, v45, s[0:3], 0 offen
	ds_read_b64 v[47:48], v44
	v_add_nc_u32_e32 v43, 1, v43
	v_add_nc_u32_e32 v44, 8, v44
	;; [unrolled: 1-line block ×3, first 2 shown]
	v_cmp_lt_u32_e32 vcc_lo, 2, v43
	s_or_b32 s5, vcc_lo, s5
	s_waitcnt vmcnt(1) lgkmcnt(0)
	v_mul_f32_e32 v51, v48, v49
	v_mul_f32_e32 v49, v47, v49
	s_waitcnt vmcnt(0)
	v_fma_f32 v47, v47, v50, -v51
	v_fmac_f32_e32 v49, v48, v50
	v_add_f32_e32 v46, v46, v47
	v_add_f32_e32 v40, v40, v49
	s_andn2_b32 exec_lo, exec_lo, s5
	s_cbranch_execnz .LBB82_29
; %bb.30:
	s_or_b32 exec_lo, exec_lo, s5
	v_mov_b32_e32 v43, 0
	ds_read_b64 v[43:44], v43 offset:32
	s_waitcnt lgkmcnt(0)
	v_mul_f32_e32 v45, v40, v44
	v_mul_f32_e32 v44, v46, v44
	v_fma_f32 v45, v46, v43, -v45
	v_fmac_f32_e32 v44, v40, v43
	buffer_store_dword v45, off, s[0:3], 0 offset:32
	buffer_store_dword v44, off, s[0:3], 0 offset:36
.LBB82_31:
	s_or_b32 exec_lo, exec_lo, s4
	s_waitcnt_vscnt null, 0x0
	s_barrier
	buffer_gl0_inv
	s_clause 0x1
	buffer_load_dword v43, off, s[0:3], 0 offset:40
	buffer_load_dword v44, off, s[0:3], 0 offset:44
	s_mov_b32 s4, exec_lo
	s_waitcnt vmcnt(0)
	ds_write_b64 v42, v[43:44]
	s_waitcnt lgkmcnt(0)
	s_barrier
	buffer_gl0_inv
	v_cmpx_gt_u32_e32 5, v0
	s_cbranch_execz .LBB82_35
; %bb.32:
	v_add_nc_u32_e32 v43, -1, v0
	v_add_nc_u32_e32 v44, 0xa0, v41
	v_mov_b32_e32 v45, v41
	v_mov_b32_e32 v40, 0
	v_mov_b32_e32 v46, 0
	s_mov_b32 s5, 0
	.p2align	6
.LBB82_33:                              ; =>This Inner Loop Header: Depth=1
	s_clause 0x1
	buffer_load_dword v49, v45, s[0:3], 0 offen offset:4
	buffer_load_dword v50, v45, s[0:3], 0 offen
	ds_read_b64 v[47:48], v44
	v_add_nc_u32_e32 v43, 1, v43
	v_add_nc_u32_e32 v44, 8, v44
	;; [unrolled: 1-line block ×3, first 2 shown]
	v_cmp_lt_u32_e32 vcc_lo, 3, v43
	s_or_b32 s5, vcc_lo, s5
	s_waitcnt vmcnt(1) lgkmcnt(0)
	v_mul_f32_e32 v51, v48, v49
	v_mul_f32_e32 v49, v47, v49
	s_waitcnt vmcnt(0)
	v_fma_f32 v47, v47, v50, -v51
	v_fmac_f32_e32 v49, v48, v50
	v_add_f32_e32 v46, v46, v47
	v_add_f32_e32 v40, v40, v49
	s_andn2_b32 exec_lo, exec_lo, s5
	s_cbranch_execnz .LBB82_33
; %bb.34:
	s_or_b32 exec_lo, exec_lo, s5
	v_mov_b32_e32 v43, 0
	ds_read_b64 v[43:44], v43 offset:40
	s_waitcnt lgkmcnt(0)
	v_mul_f32_e32 v45, v40, v44
	v_mul_f32_e32 v44, v46, v44
	v_fma_f32 v45, v46, v43, -v45
	v_fmac_f32_e32 v44, v40, v43
	buffer_store_dword v45, off, s[0:3], 0 offset:40
	buffer_store_dword v44, off, s[0:3], 0 offset:44
.LBB82_35:
	s_or_b32 exec_lo, exec_lo, s4
	s_waitcnt_vscnt null, 0x0
	s_barrier
	buffer_gl0_inv
	s_clause 0x1
	buffer_load_dword v43, off, s[0:3], 0 offset:48
	buffer_load_dword v44, off, s[0:3], 0 offset:52
	s_mov_b32 s4, exec_lo
	s_waitcnt vmcnt(0)
	ds_write_b64 v42, v[43:44]
	s_waitcnt lgkmcnt(0)
	s_barrier
	buffer_gl0_inv
	v_cmpx_gt_u32_e32 6, v0
	s_cbranch_execz .LBB82_39
; %bb.36:
	v_add_nc_u32_e32 v43, -1, v0
	v_add_nc_u32_e32 v44, 0xa0, v41
	v_mov_b32_e32 v45, v41
	v_mov_b32_e32 v40, 0
	v_mov_b32_e32 v46, 0
	s_mov_b32 s5, 0
	.p2align	6
.LBB82_37:                              ; =>This Inner Loop Header: Depth=1
	s_clause 0x1
	buffer_load_dword v49, v45, s[0:3], 0 offen offset:4
	buffer_load_dword v50, v45, s[0:3], 0 offen
	ds_read_b64 v[47:48], v44
	v_add_nc_u32_e32 v43, 1, v43
	v_add_nc_u32_e32 v44, 8, v44
	;; [unrolled: 1-line block ×3, first 2 shown]
	v_cmp_lt_u32_e32 vcc_lo, 4, v43
	s_or_b32 s5, vcc_lo, s5
	s_waitcnt vmcnt(1) lgkmcnt(0)
	v_mul_f32_e32 v51, v48, v49
	v_mul_f32_e32 v49, v47, v49
	s_waitcnt vmcnt(0)
	v_fma_f32 v47, v47, v50, -v51
	v_fmac_f32_e32 v49, v48, v50
	v_add_f32_e32 v46, v46, v47
	v_add_f32_e32 v40, v40, v49
	s_andn2_b32 exec_lo, exec_lo, s5
	s_cbranch_execnz .LBB82_37
; %bb.38:
	s_or_b32 exec_lo, exec_lo, s5
	v_mov_b32_e32 v43, 0
	ds_read_b64 v[43:44], v43 offset:48
	s_waitcnt lgkmcnt(0)
	v_mul_f32_e32 v45, v40, v44
	v_mul_f32_e32 v44, v46, v44
	v_fma_f32 v45, v46, v43, -v45
	v_fmac_f32_e32 v44, v40, v43
	buffer_store_dword v45, off, s[0:3], 0 offset:48
	buffer_store_dword v44, off, s[0:3], 0 offset:52
.LBB82_39:
	s_or_b32 exec_lo, exec_lo, s4
	s_waitcnt_vscnt null, 0x0
	s_barrier
	buffer_gl0_inv
	s_clause 0x1
	buffer_load_dword v43, off, s[0:3], 0 offset:56
	buffer_load_dword v44, off, s[0:3], 0 offset:60
	s_mov_b32 s4, exec_lo
	s_waitcnt vmcnt(0)
	ds_write_b64 v42, v[43:44]
	s_waitcnt lgkmcnt(0)
	s_barrier
	buffer_gl0_inv
	v_cmpx_gt_u32_e32 7, v0
	s_cbranch_execz .LBB82_43
; %bb.40:
	v_add_nc_u32_e32 v43, -1, v0
	v_add_nc_u32_e32 v44, 0xa0, v41
	v_mov_b32_e32 v45, v41
	v_mov_b32_e32 v40, 0
	;; [unrolled: 1-line block ×3, first 2 shown]
	s_mov_b32 s5, 0
	.p2align	6
.LBB82_41:                              ; =>This Inner Loop Header: Depth=1
	s_clause 0x1
	buffer_load_dword v49, v45, s[0:3], 0 offen offset:4
	buffer_load_dword v50, v45, s[0:3], 0 offen
	ds_read_b64 v[47:48], v44
	v_add_nc_u32_e32 v43, 1, v43
	v_add_nc_u32_e32 v44, 8, v44
	;; [unrolled: 1-line block ×3, first 2 shown]
	v_cmp_lt_u32_e32 vcc_lo, 5, v43
	s_or_b32 s5, vcc_lo, s5
	s_waitcnt vmcnt(1) lgkmcnt(0)
	v_mul_f32_e32 v51, v48, v49
	v_mul_f32_e32 v49, v47, v49
	s_waitcnt vmcnt(0)
	v_fma_f32 v47, v47, v50, -v51
	v_fmac_f32_e32 v49, v48, v50
	v_add_f32_e32 v46, v46, v47
	v_add_f32_e32 v40, v40, v49
	s_andn2_b32 exec_lo, exec_lo, s5
	s_cbranch_execnz .LBB82_41
; %bb.42:
	s_or_b32 exec_lo, exec_lo, s5
	v_mov_b32_e32 v43, 0
	ds_read_b64 v[43:44], v43 offset:56
	s_waitcnt lgkmcnt(0)
	v_mul_f32_e32 v45, v40, v44
	v_mul_f32_e32 v44, v46, v44
	v_fma_f32 v45, v46, v43, -v45
	v_fmac_f32_e32 v44, v40, v43
	buffer_store_dword v45, off, s[0:3], 0 offset:56
	buffer_store_dword v44, off, s[0:3], 0 offset:60
.LBB82_43:
	s_or_b32 exec_lo, exec_lo, s4
	s_waitcnt_vscnt null, 0x0
	s_barrier
	buffer_gl0_inv
	s_clause 0x1
	buffer_load_dword v43, off, s[0:3], 0 offset:64
	buffer_load_dword v44, off, s[0:3], 0 offset:68
	s_mov_b32 s4, exec_lo
	s_waitcnt vmcnt(0)
	ds_write_b64 v42, v[43:44]
	s_waitcnt lgkmcnt(0)
	s_barrier
	buffer_gl0_inv
	v_cmpx_gt_u32_e32 8, v0
	s_cbranch_execz .LBB82_47
; %bb.44:
	v_add_nc_u32_e32 v43, -1, v0
	v_add_nc_u32_e32 v44, 0xa0, v41
	v_mov_b32_e32 v45, v41
	v_mov_b32_e32 v40, 0
	;; [unrolled: 1-line block ×3, first 2 shown]
	s_mov_b32 s5, 0
	.p2align	6
.LBB82_45:                              ; =>This Inner Loop Header: Depth=1
	s_clause 0x1
	buffer_load_dword v49, v45, s[0:3], 0 offen offset:4
	buffer_load_dword v50, v45, s[0:3], 0 offen
	ds_read_b64 v[47:48], v44
	v_add_nc_u32_e32 v43, 1, v43
	v_add_nc_u32_e32 v44, 8, v44
	;; [unrolled: 1-line block ×3, first 2 shown]
	v_cmp_lt_u32_e32 vcc_lo, 6, v43
	s_or_b32 s5, vcc_lo, s5
	s_waitcnt vmcnt(1) lgkmcnt(0)
	v_mul_f32_e32 v51, v48, v49
	v_mul_f32_e32 v49, v47, v49
	s_waitcnt vmcnt(0)
	v_fma_f32 v47, v47, v50, -v51
	v_fmac_f32_e32 v49, v48, v50
	v_add_f32_e32 v46, v46, v47
	v_add_f32_e32 v40, v40, v49
	s_andn2_b32 exec_lo, exec_lo, s5
	s_cbranch_execnz .LBB82_45
; %bb.46:
	s_or_b32 exec_lo, exec_lo, s5
	v_mov_b32_e32 v43, 0
	ds_read_b64 v[43:44], v43 offset:64
	s_waitcnt lgkmcnt(0)
	v_mul_f32_e32 v45, v40, v44
	v_mul_f32_e32 v44, v46, v44
	v_fma_f32 v45, v46, v43, -v45
	v_fmac_f32_e32 v44, v40, v43
	buffer_store_dword v45, off, s[0:3], 0 offset:64
	buffer_store_dword v44, off, s[0:3], 0 offset:68
.LBB82_47:
	s_or_b32 exec_lo, exec_lo, s4
	s_waitcnt_vscnt null, 0x0
	s_barrier
	buffer_gl0_inv
	s_clause 0x1
	buffer_load_dword v43, off, s[0:3], 0 offset:72
	buffer_load_dword v44, off, s[0:3], 0 offset:76
	s_mov_b32 s4, exec_lo
	s_waitcnt vmcnt(0)
	ds_write_b64 v42, v[43:44]
	s_waitcnt lgkmcnt(0)
	s_barrier
	buffer_gl0_inv
	v_cmpx_gt_u32_e32 9, v0
	s_cbranch_execz .LBB82_51
; %bb.48:
	v_add_nc_u32_e32 v43, -1, v0
	v_add_nc_u32_e32 v44, 0xa0, v41
	v_mov_b32_e32 v45, v41
	v_mov_b32_e32 v40, 0
	;; [unrolled: 1-line block ×3, first 2 shown]
	s_mov_b32 s5, 0
	.p2align	6
.LBB82_49:                              ; =>This Inner Loop Header: Depth=1
	s_clause 0x1
	buffer_load_dword v49, v45, s[0:3], 0 offen offset:4
	buffer_load_dword v50, v45, s[0:3], 0 offen
	ds_read_b64 v[47:48], v44
	v_add_nc_u32_e32 v43, 1, v43
	v_add_nc_u32_e32 v44, 8, v44
	;; [unrolled: 1-line block ×3, first 2 shown]
	v_cmp_lt_u32_e32 vcc_lo, 7, v43
	s_or_b32 s5, vcc_lo, s5
	s_waitcnt vmcnt(1) lgkmcnt(0)
	v_mul_f32_e32 v51, v48, v49
	v_mul_f32_e32 v49, v47, v49
	s_waitcnt vmcnt(0)
	v_fma_f32 v47, v47, v50, -v51
	v_fmac_f32_e32 v49, v48, v50
	v_add_f32_e32 v46, v46, v47
	v_add_f32_e32 v40, v40, v49
	s_andn2_b32 exec_lo, exec_lo, s5
	s_cbranch_execnz .LBB82_49
; %bb.50:
	s_or_b32 exec_lo, exec_lo, s5
	v_mov_b32_e32 v43, 0
	ds_read_b64 v[43:44], v43 offset:72
	s_waitcnt lgkmcnt(0)
	v_mul_f32_e32 v45, v40, v44
	v_mul_f32_e32 v44, v46, v44
	v_fma_f32 v45, v46, v43, -v45
	v_fmac_f32_e32 v44, v40, v43
	buffer_store_dword v45, off, s[0:3], 0 offset:72
	buffer_store_dword v44, off, s[0:3], 0 offset:76
.LBB82_51:
	s_or_b32 exec_lo, exec_lo, s4
	s_waitcnt_vscnt null, 0x0
	s_barrier
	buffer_gl0_inv
	s_clause 0x1
	buffer_load_dword v43, off, s[0:3], 0 offset:80
	buffer_load_dword v44, off, s[0:3], 0 offset:84
	s_mov_b32 s4, exec_lo
	s_waitcnt vmcnt(0)
	ds_write_b64 v42, v[43:44]
	s_waitcnt lgkmcnt(0)
	s_barrier
	buffer_gl0_inv
	v_cmpx_gt_u32_e32 10, v0
	s_cbranch_execz .LBB82_55
; %bb.52:
	v_add_nc_u32_e32 v43, -1, v0
	v_add_nc_u32_e32 v44, 0xa0, v41
	v_mov_b32_e32 v45, v41
	v_mov_b32_e32 v40, 0
	;; [unrolled: 1-line block ×3, first 2 shown]
	s_mov_b32 s5, 0
	.p2align	6
.LBB82_53:                              ; =>This Inner Loop Header: Depth=1
	s_clause 0x1
	buffer_load_dword v49, v45, s[0:3], 0 offen offset:4
	buffer_load_dword v50, v45, s[0:3], 0 offen
	ds_read_b64 v[47:48], v44
	v_add_nc_u32_e32 v43, 1, v43
	v_add_nc_u32_e32 v44, 8, v44
	;; [unrolled: 1-line block ×3, first 2 shown]
	v_cmp_lt_u32_e32 vcc_lo, 8, v43
	s_or_b32 s5, vcc_lo, s5
	s_waitcnt vmcnt(1) lgkmcnt(0)
	v_mul_f32_e32 v51, v48, v49
	v_mul_f32_e32 v49, v47, v49
	s_waitcnt vmcnt(0)
	v_fma_f32 v47, v47, v50, -v51
	v_fmac_f32_e32 v49, v48, v50
	v_add_f32_e32 v46, v46, v47
	v_add_f32_e32 v40, v40, v49
	s_andn2_b32 exec_lo, exec_lo, s5
	s_cbranch_execnz .LBB82_53
; %bb.54:
	s_or_b32 exec_lo, exec_lo, s5
	v_mov_b32_e32 v43, 0
	ds_read_b64 v[43:44], v43 offset:80
	s_waitcnt lgkmcnt(0)
	v_mul_f32_e32 v45, v40, v44
	v_mul_f32_e32 v44, v46, v44
	v_fma_f32 v45, v46, v43, -v45
	v_fmac_f32_e32 v44, v40, v43
	buffer_store_dword v45, off, s[0:3], 0 offset:80
	buffer_store_dword v44, off, s[0:3], 0 offset:84
.LBB82_55:
	s_or_b32 exec_lo, exec_lo, s4
	s_waitcnt_vscnt null, 0x0
	s_barrier
	buffer_gl0_inv
	s_clause 0x1
	buffer_load_dword v43, off, s[0:3], 0 offset:88
	buffer_load_dword v44, off, s[0:3], 0 offset:92
	s_mov_b32 s4, exec_lo
	s_waitcnt vmcnt(0)
	ds_write_b64 v42, v[43:44]
	s_waitcnt lgkmcnt(0)
	s_barrier
	buffer_gl0_inv
	v_cmpx_gt_u32_e32 11, v0
	s_cbranch_execz .LBB82_59
; %bb.56:
	v_add_nc_u32_e32 v43, -1, v0
	v_add_nc_u32_e32 v44, 0xa0, v41
	v_mov_b32_e32 v45, v41
	v_mov_b32_e32 v40, 0
	;; [unrolled: 1-line block ×3, first 2 shown]
	s_mov_b32 s5, 0
	.p2align	6
.LBB82_57:                              ; =>This Inner Loop Header: Depth=1
	s_clause 0x1
	buffer_load_dword v49, v45, s[0:3], 0 offen offset:4
	buffer_load_dword v50, v45, s[0:3], 0 offen
	ds_read_b64 v[47:48], v44
	v_add_nc_u32_e32 v43, 1, v43
	v_add_nc_u32_e32 v44, 8, v44
	;; [unrolled: 1-line block ×3, first 2 shown]
	v_cmp_lt_u32_e32 vcc_lo, 9, v43
	s_or_b32 s5, vcc_lo, s5
	s_waitcnt vmcnt(1) lgkmcnt(0)
	v_mul_f32_e32 v51, v48, v49
	v_mul_f32_e32 v49, v47, v49
	s_waitcnt vmcnt(0)
	v_fma_f32 v47, v47, v50, -v51
	v_fmac_f32_e32 v49, v48, v50
	v_add_f32_e32 v46, v46, v47
	v_add_f32_e32 v40, v40, v49
	s_andn2_b32 exec_lo, exec_lo, s5
	s_cbranch_execnz .LBB82_57
; %bb.58:
	s_or_b32 exec_lo, exec_lo, s5
	v_mov_b32_e32 v43, 0
	ds_read_b64 v[43:44], v43 offset:88
	s_waitcnt lgkmcnt(0)
	v_mul_f32_e32 v45, v40, v44
	v_mul_f32_e32 v44, v46, v44
	v_fma_f32 v45, v46, v43, -v45
	v_fmac_f32_e32 v44, v40, v43
	buffer_store_dword v45, off, s[0:3], 0 offset:88
	buffer_store_dword v44, off, s[0:3], 0 offset:92
.LBB82_59:
	s_or_b32 exec_lo, exec_lo, s4
	s_waitcnt_vscnt null, 0x0
	s_barrier
	buffer_gl0_inv
	s_clause 0x1
	buffer_load_dword v43, off, s[0:3], 0 offset:96
	buffer_load_dword v44, off, s[0:3], 0 offset:100
	s_mov_b32 s4, exec_lo
	s_waitcnt vmcnt(0)
	ds_write_b64 v42, v[43:44]
	s_waitcnt lgkmcnt(0)
	s_barrier
	buffer_gl0_inv
	v_cmpx_gt_u32_e32 12, v0
	s_cbranch_execz .LBB82_63
; %bb.60:
	v_add_nc_u32_e32 v43, -1, v0
	v_add_nc_u32_e32 v44, 0xa0, v41
	v_mov_b32_e32 v45, v41
	v_mov_b32_e32 v40, 0
	;; [unrolled: 1-line block ×3, first 2 shown]
	s_mov_b32 s5, 0
	.p2align	6
.LBB82_61:                              ; =>This Inner Loop Header: Depth=1
	s_clause 0x1
	buffer_load_dword v49, v45, s[0:3], 0 offen offset:4
	buffer_load_dword v50, v45, s[0:3], 0 offen
	ds_read_b64 v[47:48], v44
	v_add_nc_u32_e32 v43, 1, v43
	v_add_nc_u32_e32 v44, 8, v44
	;; [unrolled: 1-line block ×3, first 2 shown]
	v_cmp_lt_u32_e32 vcc_lo, 10, v43
	s_or_b32 s5, vcc_lo, s5
	s_waitcnt vmcnt(1) lgkmcnt(0)
	v_mul_f32_e32 v51, v48, v49
	v_mul_f32_e32 v49, v47, v49
	s_waitcnt vmcnt(0)
	v_fma_f32 v47, v47, v50, -v51
	v_fmac_f32_e32 v49, v48, v50
	v_add_f32_e32 v46, v46, v47
	v_add_f32_e32 v40, v40, v49
	s_andn2_b32 exec_lo, exec_lo, s5
	s_cbranch_execnz .LBB82_61
; %bb.62:
	s_or_b32 exec_lo, exec_lo, s5
	v_mov_b32_e32 v43, 0
	ds_read_b64 v[43:44], v43 offset:96
	s_waitcnt lgkmcnt(0)
	v_mul_f32_e32 v45, v40, v44
	v_mul_f32_e32 v44, v46, v44
	v_fma_f32 v45, v46, v43, -v45
	v_fmac_f32_e32 v44, v40, v43
	buffer_store_dword v45, off, s[0:3], 0 offset:96
	buffer_store_dword v44, off, s[0:3], 0 offset:100
.LBB82_63:
	s_or_b32 exec_lo, exec_lo, s4
	s_waitcnt_vscnt null, 0x0
	s_barrier
	buffer_gl0_inv
	s_clause 0x1
	buffer_load_dword v43, off, s[0:3], 0 offset:104
	buffer_load_dword v44, off, s[0:3], 0 offset:108
	s_mov_b32 s4, exec_lo
	s_waitcnt vmcnt(0)
	ds_write_b64 v42, v[43:44]
	s_waitcnt lgkmcnt(0)
	s_barrier
	buffer_gl0_inv
	v_cmpx_gt_u32_e32 13, v0
	s_cbranch_execz .LBB82_67
; %bb.64:
	v_add_nc_u32_e32 v43, -1, v0
	v_add_nc_u32_e32 v44, 0xa0, v41
	v_mov_b32_e32 v45, v41
	v_mov_b32_e32 v40, 0
	;; [unrolled: 1-line block ×3, first 2 shown]
	s_mov_b32 s5, 0
	.p2align	6
.LBB82_65:                              ; =>This Inner Loop Header: Depth=1
	s_clause 0x1
	buffer_load_dword v49, v45, s[0:3], 0 offen offset:4
	buffer_load_dword v50, v45, s[0:3], 0 offen
	ds_read_b64 v[47:48], v44
	v_add_nc_u32_e32 v43, 1, v43
	v_add_nc_u32_e32 v44, 8, v44
	v_add_nc_u32_e32 v45, 8, v45
	v_cmp_lt_u32_e32 vcc_lo, 11, v43
	s_or_b32 s5, vcc_lo, s5
	s_waitcnt vmcnt(1) lgkmcnt(0)
	v_mul_f32_e32 v51, v48, v49
	v_mul_f32_e32 v49, v47, v49
	s_waitcnt vmcnt(0)
	v_fma_f32 v47, v47, v50, -v51
	v_fmac_f32_e32 v49, v48, v50
	v_add_f32_e32 v46, v46, v47
	v_add_f32_e32 v40, v40, v49
	s_andn2_b32 exec_lo, exec_lo, s5
	s_cbranch_execnz .LBB82_65
; %bb.66:
	s_or_b32 exec_lo, exec_lo, s5
	v_mov_b32_e32 v43, 0
	ds_read_b64 v[43:44], v43 offset:104
	s_waitcnt lgkmcnt(0)
	v_mul_f32_e32 v45, v40, v44
	v_mul_f32_e32 v44, v46, v44
	v_fma_f32 v45, v46, v43, -v45
	v_fmac_f32_e32 v44, v40, v43
	buffer_store_dword v45, off, s[0:3], 0 offset:104
	buffer_store_dword v44, off, s[0:3], 0 offset:108
.LBB82_67:
	s_or_b32 exec_lo, exec_lo, s4
	s_waitcnt_vscnt null, 0x0
	s_barrier
	buffer_gl0_inv
	s_clause 0x1
	buffer_load_dword v43, off, s[0:3], 0 offset:112
	buffer_load_dword v44, off, s[0:3], 0 offset:116
	s_mov_b32 s4, exec_lo
	s_waitcnt vmcnt(0)
	ds_write_b64 v42, v[43:44]
	s_waitcnt lgkmcnt(0)
	s_barrier
	buffer_gl0_inv
	v_cmpx_gt_u32_e32 14, v0
	s_cbranch_execz .LBB82_71
; %bb.68:
	v_add_nc_u32_e32 v43, -1, v0
	v_add_nc_u32_e32 v44, 0xa0, v41
	v_mov_b32_e32 v45, v41
	v_mov_b32_e32 v40, 0
	;; [unrolled: 1-line block ×3, first 2 shown]
	s_mov_b32 s5, 0
	.p2align	6
.LBB82_69:                              ; =>This Inner Loop Header: Depth=1
	s_clause 0x1
	buffer_load_dword v49, v45, s[0:3], 0 offen offset:4
	buffer_load_dword v50, v45, s[0:3], 0 offen
	ds_read_b64 v[47:48], v44
	v_add_nc_u32_e32 v43, 1, v43
	v_add_nc_u32_e32 v44, 8, v44
	;; [unrolled: 1-line block ×3, first 2 shown]
	v_cmp_lt_u32_e32 vcc_lo, 12, v43
	s_or_b32 s5, vcc_lo, s5
	s_waitcnt vmcnt(1) lgkmcnt(0)
	v_mul_f32_e32 v51, v48, v49
	v_mul_f32_e32 v49, v47, v49
	s_waitcnt vmcnt(0)
	v_fma_f32 v47, v47, v50, -v51
	v_fmac_f32_e32 v49, v48, v50
	v_add_f32_e32 v46, v46, v47
	v_add_f32_e32 v40, v40, v49
	s_andn2_b32 exec_lo, exec_lo, s5
	s_cbranch_execnz .LBB82_69
; %bb.70:
	s_or_b32 exec_lo, exec_lo, s5
	v_mov_b32_e32 v43, 0
	ds_read_b64 v[43:44], v43 offset:112
	s_waitcnt lgkmcnt(0)
	v_mul_f32_e32 v45, v40, v44
	v_mul_f32_e32 v44, v46, v44
	v_fma_f32 v45, v46, v43, -v45
	v_fmac_f32_e32 v44, v40, v43
	buffer_store_dword v45, off, s[0:3], 0 offset:112
	buffer_store_dword v44, off, s[0:3], 0 offset:116
.LBB82_71:
	s_or_b32 exec_lo, exec_lo, s4
	s_waitcnt_vscnt null, 0x0
	s_barrier
	buffer_gl0_inv
	s_clause 0x1
	buffer_load_dword v43, off, s[0:3], 0 offset:120
	buffer_load_dword v44, off, s[0:3], 0 offset:124
	s_mov_b32 s4, exec_lo
	s_waitcnt vmcnt(0)
	ds_write_b64 v42, v[43:44]
	s_waitcnt lgkmcnt(0)
	s_barrier
	buffer_gl0_inv
	v_cmpx_gt_u32_e32 15, v0
	s_cbranch_execz .LBB82_75
; %bb.72:
	v_add_nc_u32_e32 v43, -1, v0
	v_add_nc_u32_e32 v44, 0xa0, v41
	v_mov_b32_e32 v45, v41
	v_mov_b32_e32 v40, 0
	;; [unrolled: 1-line block ×3, first 2 shown]
	s_mov_b32 s5, 0
	.p2align	6
.LBB82_73:                              ; =>This Inner Loop Header: Depth=1
	s_clause 0x1
	buffer_load_dword v49, v45, s[0:3], 0 offen offset:4
	buffer_load_dword v50, v45, s[0:3], 0 offen
	ds_read_b64 v[47:48], v44
	v_add_nc_u32_e32 v43, 1, v43
	v_add_nc_u32_e32 v44, 8, v44
	;; [unrolled: 1-line block ×3, first 2 shown]
	v_cmp_lt_u32_e32 vcc_lo, 13, v43
	s_or_b32 s5, vcc_lo, s5
	s_waitcnt vmcnt(1) lgkmcnt(0)
	v_mul_f32_e32 v51, v48, v49
	v_mul_f32_e32 v49, v47, v49
	s_waitcnt vmcnt(0)
	v_fma_f32 v47, v47, v50, -v51
	v_fmac_f32_e32 v49, v48, v50
	v_add_f32_e32 v46, v46, v47
	v_add_f32_e32 v40, v40, v49
	s_andn2_b32 exec_lo, exec_lo, s5
	s_cbranch_execnz .LBB82_73
; %bb.74:
	s_or_b32 exec_lo, exec_lo, s5
	v_mov_b32_e32 v43, 0
	ds_read_b64 v[43:44], v43 offset:120
	s_waitcnt lgkmcnt(0)
	v_mul_f32_e32 v45, v40, v44
	v_mul_f32_e32 v44, v46, v44
	v_fma_f32 v45, v46, v43, -v45
	v_fmac_f32_e32 v44, v40, v43
	buffer_store_dword v45, off, s[0:3], 0 offset:120
	buffer_store_dword v44, off, s[0:3], 0 offset:124
.LBB82_75:
	s_or_b32 exec_lo, exec_lo, s4
	s_waitcnt_vscnt null, 0x0
	s_barrier
	buffer_gl0_inv
	s_clause 0x1
	buffer_load_dword v43, off, s[0:3], 0 offset:128
	buffer_load_dword v44, off, s[0:3], 0 offset:132
	s_mov_b32 s4, exec_lo
	s_waitcnt vmcnt(0)
	ds_write_b64 v42, v[43:44]
	s_waitcnt lgkmcnt(0)
	s_barrier
	buffer_gl0_inv
	v_cmpx_gt_u32_e32 16, v0
	s_cbranch_execz .LBB82_79
; %bb.76:
	v_add_nc_u32_e32 v43, -1, v0
	v_add_nc_u32_e32 v44, 0xa0, v41
	v_mov_b32_e32 v45, v41
	v_mov_b32_e32 v40, 0
	;; [unrolled: 1-line block ×3, first 2 shown]
	s_mov_b32 s5, 0
	.p2align	6
.LBB82_77:                              ; =>This Inner Loop Header: Depth=1
	s_clause 0x1
	buffer_load_dword v49, v45, s[0:3], 0 offen offset:4
	buffer_load_dword v50, v45, s[0:3], 0 offen
	ds_read_b64 v[47:48], v44
	v_add_nc_u32_e32 v43, 1, v43
	v_add_nc_u32_e32 v44, 8, v44
	;; [unrolled: 1-line block ×3, first 2 shown]
	v_cmp_lt_u32_e32 vcc_lo, 14, v43
	s_or_b32 s5, vcc_lo, s5
	s_waitcnt vmcnt(1) lgkmcnt(0)
	v_mul_f32_e32 v51, v48, v49
	v_mul_f32_e32 v49, v47, v49
	s_waitcnt vmcnt(0)
	v_fma_f32 v47, v47, v50, -v51
	v_fmac_f32_e32 v49, v48, v50
	v_add_f32_e32 v46, v46, v47
	v_add_f32_e32 v40, v40, v49
	s_andn2_b32 exec_lo, exec_lo, s5
	s_cbranch_execnz .LBB82_77
; %bb.78:
	s_or_b32 exec_lo, exec_lo, s5
	v_mov_b32_e32 v43, 0
	ds_read_b64 v[43:44], v43 offset:128
	s_waitcnt lgkmcnt(0)
	v_mul_f32_e32 v45, v40, v44
	v_mul_f32_e32 v44, v46, v44
	v_fma_f32 v45, v46, v43, -v45
	v_fmac_f32_e32 v44, v40, v43
	buffer_store_dword v45, off, s[0:3], 0 offset:128
	buffer_store_dword v44, off, s[0:3], 0 offset:132
.LBB82_79:
	s_or_b32 exec_lo, exec_lo, s4
	s_waitcnt_vscnt null, 0x0
	s_barrier
	buffer_gl0_inv
	s_clause 0x1
	buffer_load_dword v43, off, s[0:3], 0 offset:136
	buffer_load_dword v44, off, s[0:3], 0 offset:140
	s_mov_b32 s4, exec_lo
	s_waitcnt vmcnt(0)
	ds_write_b64 v42, v[43:44]
	s_waitcnt lgkmcnt(0)
	s_barrier
	buffer_gl0_inv
	v_cmpx_gt_u32_e32 17, v0
	s_cbranch_execz .LBB82_83
; %bb.80:
	v_add_nc_u32_e32 v43, -1, v0
	v_add_nc_u32_e32 v44, 0xa0, v41
	v_mov_b32_e32 v45, v41
	v_mov_b32_e32 v40, 0
	;; [unrolled: 1-line block ×3, first 2 shown]
	s_mov_b32 s5, 0
	.p2align	6
.LBB82_81:                              ; =>This Inner Loop Header: Depth=1
	s_clause 0x1
	buffer_load_dword v49, v45, s[0:3], 0 offen offset:4
	buffer_load_dword v50, v45, s[0:3], 0 offen
	ds_read_b64 v[47:48], v44
	v_add_nc_u32_e32 v43, 1, v43
	v_add_nc_u32_e32 v44, 8, v44
	;; [unrolled: 1-line block ×3, first 2 shown]
	v_cmp_lt_u32_e32 vcc_lo, 15, v43
	s_or_b32 s5, vcc_lo, s5
	s_waitcnt vmcnt(1) lgkmcnt(0)
	v_mul_f32_e32 v51, v48, v49
	v_mul_f32_e32 v49, v47, v49
	s_waitcnt vmcnt(0)
	v_fma_f32 v47, v47, v50, -v51
	v_fmac_f32_e32 v49, v48, v50
	v_add_f32_e32 v46, v46, v47
	v_add_f32_e32 v40, v40, v49
	s_andn2_b32 exec_lo, exec_lo, s5
	s_cbranch_execnz .LBB82_81
; %bb.82:
	s_or_b32 exec_lo, exec_lo, s5
	v_mov_b32_e32 v43, 0
	ds_read_b64 v[43:44], v43 offset:136
	s_waitcnt lgkmcnt(0)
	v_mul_f32_e32 v45, v40, v44
	v_mul_f32_e32 v44, v46, v44
	v_fma_f32 v45, v46, v43, -v45
	v_fmac_f32_e32 v44, v40, v43
	buffer_store_dword v45, off, s[0:3], 0 offset:136
	buffer_store_dword v44, off, s[0:3], 0 offset:140
.LBB82_83:
	s_or_b32 exec_lo, exec_lo, s4
	s_waitcnt_vscnt null, 0x0
	s_barrier
	buffer_gl0_inv
	s_clause 0x1
	buffer_load_dword v43, off, s[0:3], 0 offset:144
	buffer_load_dword v44, off, s[0:3], 0 offset:148
	s_mov_b32 s4, exec_lo
	s_waitcnt vmcnt(0)
	ds_write_b64 v42, v[43:44]
	s_waitcnt lgkmcnt(0)
	s_barrier
	buffer_gl0_inv
	v_cmpx_ne_u32_e32 18, v0
	s_cbranch_execz .LBB82_87
; %bb.84:
	v_mov_b32_e32 v40, 0
	v_mov_b32_e32 v43, 0
	s_mov_b32 s5, 0
	.p2align	6
.LBB82_85:                              ; =>This Inner Loop Header: Depth=1
	s_clause 0x1
	buffer_load_dword v46, v41, s[0:3], 0 offen offset:4
	buffer_load_dword v47, v41, s[0:3], 0 offen
	ds_read_b64 v[44:45], v42
	v_add_nc_u32_e32 v39, 1, v39
	v_add_nc_u32_e32 v42, 8, v42
	;; [unrolled: 1-line block ×3, first 2 shown]
	v_cmp_lt_u32_e32 vcc_lo, 16, v39
	s_or_b32 s5, vcc_lo, s5
	s_waitcnt vmcnt(1) lgkmcnt(0)
	v_mul_f32_e32 v48, v45, v46
	v_mul_f32_e32 v46, v44, v46
	s_waitcnt vmcnt(0)
	v_fma_f32 v44, v44, v47, -v48
	v_fmac_f32_e32 v46, v45, v47
	v_add_f32_e32 v43, v43, v44
	v_add_f32_e32 v40, v40, v46
	s_andn2_b32 exec_lo, exec_lo, s5
	s_cbranch_execnz .LBB82_85
; %bb.86:
	s_or_b32 exec_lo, exec_lo, s5
	v_mov_b32_e32 v39, 0
	ds_read_b64 v[41:42], v39 offset:144
	s_waitcnt lgkmcnt(0)
	v_mul_f32_e32 v39, v40, v42
	v_mul_f32_e32 v42, v43, v42
	v_fma_f32 v39, v43, v41, -v39
	v_fmac_f32_e32 v42, v40, v41
	buffer_store_dword v39, off, s[0:3], 0 offset:144
	buffer_store_dword v42, off, s[0:3], 0 offset:148
.LBB82_87:
	s_or_b32 exec_lo, exec_lo, s4
	s_mov_b32 s5, -1
	s_waitcnt_vscnt null, 0x0
	s_barrier
	buffer_gl0_inv
.LBB82_88:
	s_and_b32 vcc_lo, exec_lo, s5
	s_cbranch_vccz .LBB82_90
; %bb.89:
	s_lshl_b64 s[4:5], s[6:7], 2
	v_mov_b32_e32 v39, 0
	s_add_u32 s4, s10, s4
	s_addc_u32 s5, s11, s5
	global_load_dword v39, v39, s[4:5]
	s_waitcnt vmcnt(0)
	v_cmp_ne_u32_e32 vcc_lo, 0, v39
	s_cbranch_vccz .LBB82_91
.LBB82_90:
	s_endpgm
.LBB82_91:
	v_lshl_add_u32 v39, v0, 3, 0xa0
	s_mov_b32 s4, exec_lo
	v_cmpx_eq_u32_e32 18, v0
	s_cbranch_execz .LBB82_93
; %bb.92:
	s_clause 0x1
	buffer_load_dword v40, off, s[0:3], 0 offset:136
	buffer_load_dword v41, off, s[0:3], 0 offset:140
	v_mov_b32_e32 v42, 0
	buffer_store_dword v42, off, s[0:3], 0 offset:136
	buffer_store_dword v42, off, s[0:3], 0 offset:140
	s_waitcnt vmcnt(0)
	ds_write_b64 v39, v[40:41]
.LBB82_93:
	s_or_b32 exec_lo, exec_lo, s4
	s_waitcnt lgkmcnt(0)
	s_waitcnt_vscnt null, 0x0
	s_barrier
	buffer_gl0_inv
	s_clause 0x3
	buffer_load_dword v43, off, s[0:3], 0 offset:148
	buffer_load_dword v44, off, s[0:3], 0 offset:144
	;; [unrolled: 1-line block ×4, first 2 shown]
	v_mov_b32_e32 v40, 0
	s_mov_b32 s4, exec_lo
	ds_read_b64 v[41:42], v40 offset:304
	s_waitcnt vmcnt(3) lgkmcnt(0)
	v_mul_f32_e32 v47, v42, v43
	v_mul_f32_e32 v43, v41, v43
	s_waitcnt vmcnt(2)
	v_fma_f32 v41, v41, v44, -v47
	v_fmac_f32_e32 v43, v42, v44
	v_add_f32_e32 v41, 0, v41
	v_add_f32_e32 v42, 0, v43
	s_waitcnt vmcnt(1)
	v_sub_f32_e32 v41, v45, v41
	s_waitcnt vmcnt(0)
	v_sub_f32_e32 v42, v46, v42
	buffer_store_dword v41, off, s[0:3], 0 offset:136
	buffer_store_dword v42, off, s[0:3], 0 offset:140
	v_cmpx_lt_u32_e32 16, v0
	s_cbranch_execz .LBB82_95
; %bb.94:
	s_clause 0x1
	buffer_load_dword v41, off, s[0:3], 0 offset:128
	buffer_load_dword v42, off, s[0:3], 0 offset:132
	buffer_store_dword v40, off, s[0:3], 0 offset:128
	buffer_store_dword v40, off, s[0:3], 0 offset:132
	s_waitcnt vmcnt(0)
	ds_write_b64 v39, v[41:42]
.LBB82_95:
	s_or_b32 exec_lo, exec_lo, s4
	s_waitcnt lgkmcnt(0)
	s_waitcnt_vscnt null, 0x0
	s_barrier
	buffer_gl0_inv
	s_clause 0x5
	buffer_load_dword v44, off, s[0:3], 0 offset:140
	buffer_load_dword v45, off, s[0:3], 0 offset:148
	;; [unrolled: 1-line block ×6, first 2 shown]
	ds_read2_b64 v[40:43], v40 offset0:37 offset1:38
	s_mov_b32 s4, exec_lo
	s_waitcnt vmcnt(5) lgkmcnt(0)
	v_mul_f32_e32 v50, v41, v44
	v_mul_f32_e32 v44, v40, v44
	s_waitcnt vmcnt(4)
	v_mul_f32_e32 v51, v42, v45
	v_mul_f32_e32 v45, v43, v45
	s_waitcnt vmcnt(3)
	v_fma_f32 v40, v40, v46, -v50
	v_fmac_f32_e32 v44, v41, v46
	s_waitcnt vmcnt(2)
	v_fmac_f32_e32 v51, v43, v47
	v_fma_f32 v41, v42, v47, -v45
	v_add_f32_e32 v40, 0, v40
	v_add_f32_e32 v42, 0, v44
	;; [unrolled: 1-line block ×4, first 2 shown]
	s_waitcnt vmcnt(1)
	v_sub_f32_e32 v40, v48, v40
	s_waitcnt vmcnt(0)
	v_sub_f32_e32 v41, v49, v41
	buffer_store_dword v40, off, s[0:3], 0 offset:128
	buffer_store_dword v41, off, s[0:3], 0 offset:132
	v_cmpx_lt_u32_e32 15, v0
	s_cbranch_execz .LBB82_97
; %bb.96:
	s_clause 0x1
	buffer_load_dword v40, off, s[0:3], 0 offset:120
	buffer_load_dword v41, off, s[0:3], 0 offset:124
	v_mov_b32_e32 v42, 0
	buffer_store_dword v42, off, s[0:3], 0 offset:120
	buffer_store_dword v42, off, s[0:3], 0 offset:124
	s_waitcnt vmcnt(0)
	ds_write_b64 v39, v[40:41]
.LBB82_97:
	s_or_b32 exec_lo, exec_lo, s4
	s_waitcnt lgkmcnt(0)
	s_waitcnt_vscnt null, 0x0
	s_barrier
	buffer_gl0_inv
	s_clause 0x7
	buffer_load_dword v47, off, s[0:3], 0 offset:132
	buffer_load_dword v48, off, s[0:3], 0 offset:140
	;; [unrolled: 1-line block ×8, first 2 shown]
	v_mov_b32_e32 v40, 0
	ds_read_b128 v[41:44], v40 offset:288
	ds_read_b64 v[45:46], v40 offset:304
	s_mov_b32 s4, exec_lo
	s_waitcnt vmcnt(7) lgkmcnt(1)
	v_mul_f32_e32 v55, v42, v47
	v_mul_f32_e32 v47, v41, v47
	s_waitcnt vmcnt(6)
	v_mul_f32_e32 v56, v43, v48
	v_mul_f32_e32 v48, v44, v48
	s_waitcnt vmcnt(5) lgkmcnt(0)
	v_mul_f32_e32 v57, v45, v49
	s_waitcnt vmcnt(4)
	v_fma_f32 v41, v41, v50, -v55
	v_fmac_f32_e32 v47, v42, v50
	v_mul_f32_e32 v42, v46, v49
	s_waitcnt vmcnt(3)
	v_fma_f32 v43, v43, v51, -v48
	v_fmac_f32_e32 v56, v44, v51
	v_add_f32_e32 v41, 0, v41
	v_add_f32_e32 v44, 0, v47
	s_waitcnt vmcnt(2)
	v_fma_f32 v42, v45, v52, -v42
	v_fmac_f32_e32 v57, v46, v52
	v_add_f32_e32 v41, v41, v43
	v_add_f32_e32 v43, v44, v56
	;; [unrolled: 1-line block ×4, first 2 shown]
	s_waitcnt vmcnt(1)
	v_sub_f32_e32 v41, v53, v41
	s_waitcnt vmcnt(0)
	v_sub_f32_e32 v42, v54, v42
	buffer_store_dword v41, off, s[0:3], 0 offset:120
	buffer_store_dword v42, off, s[0:3], 0 offset:124
	v_cmpx_lt_u32_e32 14, v0
	s_cbranch_execz .LBB82_99
; %bb.98:
	s_clause 0x1
	buffer_load_dword v41, off, s[0:3], 0 offset:112
	buffer_load_dword v42, off, s[0:3], 0 offset:116
	buffer_store_dword v40, off, s[0:3], 0 offset:112
	buffer_store_dword v40, off, s[0:3], 0 offset:116
	s_waitcnt vmcnt(0)
	ds_write_b64 v39, v[41:42]
.LBB82_99:
	s_or_b32 exec_lo, exec_lo, s4
	s_waitcnt lgkmcnt(0)
	s_waitcnt_vscnt null, 0x0
	s_barrier
	buffer_gl0_inv
	s_clause 0x9
	buffer_load_dword v49, off, s[0:3], 0 offset:124
	buffer_load_dword v50, off, s[0:3], 0 offset:132
	;; [unrolled: 1-line block ×10, first 2 shown]
	ds_read2_b64 v[41:44], v40 offset0:35 offset1:36
	ds_read2_b64 v[45:48], v40 offset0:37 offset1:38
	s_mov_b32 s4, exec_lo
	s_waitcnt vmcnt(9) lgkmcnt(1)
	v_mul_f32_e32 v40, v41, v49
	v_mul_f32_e32 v49, v42, v49
	s_waitcnt vmcnt(8)
	v_mul_f32_e32 v59, v43, v50
	v_mul_f32_e32 v50, v44, v50
	s_waitcnt vmcnt(7) lgkmcnt(0)
	v_mul_f32_e32 v60, v45, v51
	s_waitcnt vmcnt(5)
	v_fmac_f32_e32 v40, v42, v53
	v_fma_f32 v41, v41, v53, -v49
	v_mul_f32_e32 v42, v46, v51
	s_waitcnt vmcnt(4)
	v_fma_f32 v43, v43, v54, -v50
	v_fmac_f32_e32 v59, v44, v54
	v_add_f32_e32 v40, 0, v40
	v_add_f32_e32 v41, 0, v41
	v_mul_f32_e32 v44, v48, v52
	s_waitcnt vmcnt(3)
	v_fma_f32 v42, v45, v55, -v42
	v_mul_f32_e32 v61, v47, v52
	v_fmac_f32_e32 v60, v46, v55
	v_add_f32_e32 v41, v41, v43
	v_add_f32_e32 v40, v40, v59
	s_waitcnt vmcnt(2)
	v_fma_f32 v43, v47, v56, -v44
	v_fmac_f32_e32 v61, v48, v56
	v_add_f32_e32 v41, v41, v42
	v_add_f32_e32 v40, v40, v60
	;; [unrolled: 1-line block ×4, first 2 shown]
	s_waitcnt vmcnt(1)
	v_sub_f32_e32 v41, v57, v41
	s_waitcnt vmcnt(0)
	v_sub_f32_e32 v40, v58, v40
	buffer_store_dword v41, off, s[0:3], 0 offset:112
	buffer_store_dword v40, off, s[0:3], 0 offset:116
	v_cmpx_lt_u32_e32 13, v0
	s_cbranch_execz .LBB82_101
; %bb.100:
	s_clause 0x1
	buffer_load_dword v40, off, s[0:3], 0 offset:104
	buffer_load_dword v41, off, s[0:3], 0 offset:108
	v_mov_b32_e32 v42, 0
	buffer_store_dword v42, off, s[0:3], 0 offset:104
	buffer_store_dword v42, off, s[0:3], 0 offset:108
	s_waitcnt vmcnt(0)
	ds_write_b64 v39, v[40:41]
.LBB82_101:
	s_or_b32 exec_lo, exec_lo, s4
	s_waitcnt lgkmcnt(0)
	s_waitcnt_vscnt null, 0x0
	s_barrier
	buffer_gl0_inv
	s_clause 0xb
	buffer_load_dword v51, off, s[0:3], 0 offset:116
	buffer_load_dword v52, off, s[0:3], 0 offset:124
	;; [unrolled: 1-line block ×12, first 2 shown]
	v_mov_b32_e32 v40, 0
	ds_read_b128 v[41:44], v40 offset:272
	ds_read_b128 v[45:48], v40 offset:288
	ds_read_b64 v[49:50], v40 offset:304
	s_mov_b32 s4, exec_lo
	s_waitcnt vmcnt(11) lgkmcnt(2)
	v_mul_f32_e32 v63, v41, v51
	v_mul_f32_e32 v51, v42, v51
	s_waitcnt vmcnt(10)
	v_mul_f32_e32 v64, v43, v52
	v_mul_f32_e32 v52, v44, v52
	s_waitcnt vmcnt(9) lgkmcnt(1)
	v_mul_f32_e32 v65, v45, v53
	s_waitcnt vmcnt(6)
	v_fmac_f32_e32 v63, v42, v56
	v_fma_f32 v41, v41, v56, -v51
	v_mul_f32_e32 v42, v46, v53
	s_waitcnt vmcnt(5)
	v_fma_f32 v43, v43, v57, -v52
	v_fmac_f32_e32 v64, v44, v57
	v_add_f32_e32 v44, 0, v63
	v_add_f32_e32 v41, 0, v41
	v_mul_f32_e32 v51, v48, v54
	s_waitcnt vmcnt(4)
	v_fma_f32 v42, v45, v58, -v42
	v_mul_f32_e32 v66, v47, v54
	v_fmac_f32_e32 v65, v46, v58
	v_add_f32_e32 v41, v41, v43
	v_add_f32_e32 v43, v44, v64
	s_waitcnt lgkmcnt(0)
	v_mul_f32_e32 v44, v50, v55
	s_waitcnt vmcnt(3)
	v_fma_f32 v45, v47, v59, -v51
	v_mul_f32_e32 v67, v49, v55
	v_add_f32_e32 v41, v41, v42
	v_fmac_f32_e32 v66, v48, v59
	v_add_f32_e32 v42, v43, v65
	s_waitcnt vmcnt(2)
	v_fma_f32 v43, v49, v60, -v44
	v_fmac_f32_e32 v67, v50, v60
	v_add_f32_e32 v41, v41, v45
	v_add_f32_e32 v42, v42, v66
	;; [unrolled: 1-line block ×4, first 2 shown]
	s_waitcnt vmcnt(1)
	v_sub_f32_e32 v41, v61, v41
	s_waitcnt vmcnt(0)
	v_sub_f32_e32 v42, v62, v42
	buffer_store_dword v41, off, s[0:3], 0 offset:104
	buffer_store_dword v42, off, s[0:3], 0 offset:108
	v_cmpx_lt_u32_e32 12, v0
	s_cbranch_execz .LBB82_103
; %bb.102:
	s_clause 0x1
	buffer_load_dword v41, off, s[0:3], 0 offset:96
	buffer_load_dword v42, off, s[0:3], 0 offset:100
	buffer_store_dword v40, off, s[0:3], 0 offset:96
	buffer_store_dword v40, off, s[0:3], 0 offset:100
	s_waitcnt vmcnt(0)
	ds_write_b64 v39, v[41:42]
.LBB82_103:
	s_or_b32 exec_lo, exec_lo, s4
	s_waitcnt lgkmcnt(0)
	s_waitcnt_vscnt null, 0x0
	s_barrier
	buffer_gl0_inv
	s_clause 0xd
	buffer_load_dword v53, off, s[0:3], 0 offset:108
	buffer_load_dword v54, off, s[0:3], 0 offset:116
	;; [unrolled: 1-line block ×14, first 2 shown]
	ds_read2_b64 v[41:44], v40 offset0:33 offset1:34
	ds_read2_b64 v[45:48], v40 offset0:35 offset1:36
	;; [unrolled: 1-line block ×3, first 2 shown]
	s_mov_b32 s4, exec_lo
	s_waitcnt vmcnt(13) lgkmcnt(2)
	v_mul_f32_e32 v40, v41, v53
	v_mul_f32_e32 v53, v42, v53
	s_waitcnt vmcnt(12)
	v_mul_f32_e32 v67, v43, v54
	v_mul_f32_e32 v54, v44, v54
	s_waitcnt vmcnt(11) lgkmcnt(1)
	v_mul_f32_e32 v68, v45, v55
	s_waitcnt vmcnt(10)
	v_mul_f32_e32 v69, v47, v56
	s_waitcnt vmcnt(7)
	v_fma_f32 v41, v41, v59, -v53
	v_fmac_f32_e32 v40, v42, v59
	v_mul_f32_e32 v42, v46, v55
	s_waitcnt vmcnt(6)
	v_fma_f32 v43, v43, v60, -v54
	v_fmac_f32_e32 v67, v44, v60
	v_add_f32_e32 v41, 0, v41
	v_add_f32_e32 v40, 0, v40
	v_mul_f32_e32 v44, v48, v56
	s_waitcnt vmcnt(5)
	v_fma_f32 v42, v45, v61, -v42
	v_fmac_f32_e32 v68, v46, v61
	v_add_f32_e32 v41, v41, v43
	v_add_f32_e32 v40, v40, v67
	s_waitcnt lgkmcnt(0)
	v_mul_f32_e32 v43, v50, v57
	s_waitcnt vmcnt(4)
	v_fma_f32 v44, v47, v62, -v44
	v_mul_f32_e32 v70, v49, v57
	v_add_f32_e32 v41, v41, v42
	v_fmac_f32_e32 v69, v48, v62
	v_add_f32_e32 v40, v40, v68
	v_mul_f32_e32 v42, v52, v58
	s_waitcnt vmcnt(3)
	v_fma_f32 v43, v49, v63, -v43
	v_add_f32_e32 v41, v41, v44
	v_mul_f32_e32 v71, v51, v58
	v_fmac_f32_e32 v70, v50, v63
	v_add_f32_e32 v40, v40, v69
	s_waitcnt vmcnt(2)
	v_fma_f32 v42, v51, v64, -v42
	v_add_f32_e32 v41, v41, v43
	v_fmac_f32_e32 v71, v52, v64
	v_add_f32_e32 v40, v40, v70
	v_add_f32_e32 v41, v41, v42
	;; [unrolled: 1-line block ×3, first 2 shown]
	s_waitcnt vmcnt(1)
	v_sub_f32_e32 v41, v65, v41
	s_waitcnt vmcnt(0)
	v_sub_f32_e32 v40, v66, v40
	buffer_store_dword v41, off, s[0:3], 0 offset:96
	buffer_store_dword v40, off, s[0:3], 0 offset:100
	v_cmpx_lt_u32_e32 11, v0
	s_cbranch_execz .LBB82_105
; %bb.104:
	s_clause 0x1
	buffer_load_dword v40, off, s[0:3], 0 offset:88
	buffer_load_dword v41, off, s[0:3], 0 offset:92
	v_mov_b32_e32 v42, 0
	buffer_store_dword v42, off, s[0:3], 0 offset:88
	buffer_store_dword v42, off, s[0:3], 0 offset:92
	s_waitcnt vmcnt(0)
	ds_write_b64 v39, v[40:41]
.LBB82_105:
	s_or_b32 exec_lo, exec_lo, s4
	s_waitcnt lgkmcnt(0)
	s_waitcnt_vscnt null, 0x0
	s_barrier
	buffer_gl0_inv
	s_clause 0xf
	buffer_load_dword v55, off, s[0:3], 0 offset:100
	buffer_load_dword v56, off, s[0:3], 0 offset:108
	;; [unrolled: 1-line block ×16, first 2 shown]
	v_mov_b32_e32 v40, 0
	ds_read_b128 v[41:44], v40 offset:256
	ds_read_b128 v[45:48], v40 offset:272
	;; [unrolled: 1-line block ×3, first 2 shown]
	ds_read_b64 v[53:54], v40 offset:304
	s_mov_b32 s4, exec_lo
	s_waitcnt vmcnt(15) lgkmcnt(3)
	v_mul_f32_e32 v71, v41, v55
	v_mul_f32_e32 v55, v42, v55
	s_waitcnt vmcnt(14)
	v_mul_f32_e32 v72, v43, v56
	v_mul_f32_e32 v56, v44, v56
	s_waitcnt vmcnt(13) lgkmcnt(2)
	v_mul_f32_e32 v73, v45, v57
	s_waitcnt vmcnt(12)
	v_mul_f32_e32 v74, v47, v58
	s_waitcnt vmcnt(11) lgkmcnt(1)
	v_mul_f32_e32 v75, v49, v59
	s_waitcnt vmcnt(8)
	v_fma_f32 v41, v41, v62, -v55
	v_fmac_f32_e32 v71, v42, v62
	v_mul_f32_e32 v42, v46, v57
	s_waitcnt vmcnt(7)
	v_fma_f32 v43, v43, v63, -v56
	v_fmac_f32_e32 v72, v44, v63
	v_add_f32_e32 v41, 0, v41
	v_add_f32_e32 v44, 0, v71
	v_mul_f32_e32 v55, v48, v58
	s_waitcnt vmcnt(6)
	v_fma_f32 v42, v45, v64, -v42
	v_fmac_f32_e32 v73, v46, v64
	v_add_f32_e32 v41, v41, v43
	v_add_f32_e32 v43, v44, v72
	;; [unrolled: 6-line block ×3, first 2 shown]
	v_mul_f32_e32 v43, v52, v60
	s_waitcnt vmcnt(4)
	v_fma_f32 v44, v49, v66, -v44
	v_mul_f32_e32 v76, v51, v60
	v_add_f32_e32 v41, v41, v45
	v_fmac_f32_e32 v75, v50, v66
	v_add_f32_e32 v42, v42, v74
	s_waitcnt lgkmcnt(0)
	v_mul_f32_e32 v45, v54, v61
	s_waitcnt vmcnt(3)
	v_fma_f32 v43, v51, v67, -v43
	v_add_f32_e32 v41, v41, v44
	v_mul_f32_e32 v77, v53, v61
	v_fmac_f32_e32 v76, v52, v67
	v_add_f32_e32 v42, v42, v75
	s_waitcnt vmcnt(2)
	v_fma_f32 v44, v53, v68, -v45
	v_add_f32_e32 v41, v41, v43
	v_fmac_f32_e32 v77, v54, v68
	v_add_f32_e32 v42, v42, v76
	v_add_f32_e32 v41, v41, v44
	;; [unrolled: 1-line block ×3, first 2 shown]
	s_waitcnt vmcnt(1)
	v_sub_f32_e32 v41, v69, v41
	s_waitcnt vmcnt(0)
	v_sub_f32_e32 v42, v70, v42
	buffer_store_dword v41, off, s[0:3], 0 offset:88
	buffer_store_dword v42, off, s[0:3], 0 offset:92
	v_cmpx_lt_u32_e32 10, v0
	s_cbranch_execz .LBB82_107
; %bb.106:
	s_clause 0x1
	buffer_load_dword v41, off, s[0:3], 0 offset:80
	buffer_load_dword v42, off, s[0:3], 0 offset:84
	buffer_store_dword v40, off, s[0:3], 0 offset:80
	buffer_store_dword v40, off, s[0:3], 0 offset:84
	s_waitcnt vmcnt(0)
	ds_write_b64 v39, v[41:42]
.LBB82_107:
	s_or_b32 exec_lo, exec_lo, s4
	s_waitcnt lgkmcnt(0)
	s_waitcnt_vscnt null, 0x0
	s_barrier
	buffer_gl0_inv
	s_clause 0x11
	buffer_load_dword v57, off, s[0:3], 0 offset:92
	buffer_load_dword v58, off, s[0:3], 0 offset:100
	;; [unrolled: 1-line block ×18, first 2 shown]
	ds_read2_b64 v[41:44], v40 offset0:31 offset1:32
	ds_read2_b64 v[45:48], v40 offset0:33 offset1:34
	;; [unrolled: 1-line block ×4, first 2 shown]
	s_mov_b32 s4, exec_lo
	s_waitcnt vmcnt(17) lgkmcnt(3)
	v_mul_f32_e32 v40, v41, v57
	v_mul_f32_e32 v57, v42, v57
	s_waitcnt vmcnt(16)
	v_mul_f32_e32 v75, v43, v58
	v_mul_f32_e32 v58, v44, v58
	s_waitcnt vmcnt(15) lgkmcnt(2)
	v_mul_f32_e32 v76, v45, v59
	s_waitcnt vmcnt(14)
	v_mul_f32_e32 v77, v47, v60
	s_waitcnt vmcnt(13) lgkmcnt(1)
	v_mul_f32_e32 v78, v49, v61
	s_waitcnt vmcnt(12)
	v_mul_f32_e32 v79, v51, v62
	s_waitcnt vmcnt(9)
	v_fma_f32 v41, v41, v65, -v57
	v_fmac_f32_e32 v40, v42, v65
	v_mul_f32_e32 v42, v46, v59
	s_waitcnt vmcnt(8)
	v_fma_f32 v43, v43, v66, -v58
	v_fmac_f32_e32 v75, v44, v66
	v_add_f32_e32 v41, 0, v41
	v_add_f32_e32 v40, 0, v40
	v_mul_f32_e32 v44, v48, v60
	s_waitcnt vmcnt(7)
	v_fma_f32 v42, v45, v67, -v42
	v_fmac_f32_e32 v76, v46, v67
	v_add_f32_e32 v41, v41, v43
	v_add_f32_e32 v40, v40, v75
	;; [unrolled: 6-line block ×4, first 2 shown]
	s_waitcnt lgkmcnt(0)
	v_mul_f32_e32 v44, v54, v63
	s_waitcnt vmcnt(4)
	v_fma_f32 v42, v51, v70, -v42
	v_mul_f32_e32 v80, v53, v63
	v_add_f32_e32 v41, v41, v43
	v_fmac_f32_e32 v79, v52, v70
	v_add_f32_e32 v40, v40, v78
	v_mul_f32_e32 v43, v56, v64
	s_waitcnt vmcnt(3)
	v_fma_f32 v44, v53, v71, -v44
	v_add_f32_e32 v41, v41, v42
	v_mul_f32_e32 v81, v55, v64
	v_fmac_f32_e32 v80, v54, v71
	v_add_f32_e32 v40, v40, v79
	s_waitcnt vmcnt(2)
	v_fma_f32 v42, v55, v72, -v43
	v_add_f32_e32 v41, v41, v44
	v_fmac_f32_e32 v81, v56, v72
	v_add_f32_e32 v40, v40, v80
	v_add_f32_e32 v41, v41, v42
	;; [unrolled: 1-line block ×3, first 2 shown]
	s_waitcnt vmcnt(1)
	v_sub_f32_e32 v41, v73, v41
	s_waitcnt vmcnt(0)
	v_sub_f32_e32 v40, v74, v40
	buffer_store_dword v41, off, s[0:3], 0 offset:80
	buffer_store_dword v40, off, s[0:3], 0 offset:84
	v_cmpx_lt_u32_e32 9, v0
	s_cbranch_execz .LBB82_109
; %bb.108:
	s_clause 0x1
	buffer_load_dword v40, off, s[0:3], 0 offset:72
	buffer_load_dword v41, off, s[0:3], 0 offset:76
	v_mov_b32_e32 v42, 0
	buffer_store_dword v42, off, s[0:3], 0 offset:72
	buffer_store_dword v42, off, s[0:3], 0 offset:76
	s_waitcnt vmcnt(0)
	ds_write_b64 v39, v[40:41]
.LBB82_109:
	s_or_b32 exec_lo, exec_lo, s4
	s_waitcnt lgkmcnt(0)
	s_waitcnt_vscnt null, 0x0
	s_barrier
	buffer_gl0_inv
	s_clause 0x13
	buffer_load_dword v59, off, s[0:3], 0 offset:84
	buffer_load_dword v60, off, s[0:3], 0 offset:92
	buffer_load_dword v61, off, s[0:3], 0 offset:100
	buffer_load_dword v62, off, s[0:3], 0 offset:108
	buffer_load_dword v63, off, s[0:3], 0 offset:116
	buffer_load_dword v64, off, s[0:3], 0 offset:124
	buffer_load_dword v65, off, s[0:3], 0 offset:132
	buffer_load_dword v66, off, s[0:3], 0 offset:140
	buffer_load_dword v67, off, s[0:3], 0 offset:148
	buffer_load_dword v68, off, s[0:3], 0 offset:80
	buffer_load_dword v69, off, s[0:3], 0 offset:88
	buffer_load_dword v70, off, s[0:3], 0 offset:96
	buffer_load_dword v71, off, s[0:3], 0 offset:104
	buffer_load_dword v72, off, s[0:3], 0 offset:112
	buffer_load_dword v73, off, s[0:3], 0 offset:120
	buffer_load_dword v74, off, s[0:3], 0 offset:128
	buffer_load_dword v75, off, s[0:3], 0 offset:136
	buffer_load_dword v76, off, s[0:3], 0 offset:144
	buffer_load_dword v77, off, s[0:3], 0 offset:72
	buffer_load_dword v78, off, s[0:3], 0 offset:76
	v_mov_b32_e32 v40, 0
	ds_read_b128 v[41:44], v40 offset:240
	ds_read_b128 v[45:48], v40 offset:256
	;; [unrolled: 1-line block ×4, first 2 shown]
	ds_read_b64 v[57:58], v40 offset:304
	s_mov_b32 s4, exec_lo
	s_waitcnt vmcnt(19) lgkmcnt(4)
	v_mul_f32_e32 v79, v41, v59
	v_mul_f32_e32 v59, v42, v59
	s_waitcnt vmcnt(18)
	v_mul_f32_e32 v80, v43, v60
	v_mul_f32_e32 v60, v44, v60
	s_waitcnt vmcnt(17) lgkmcnt(3)
	v_mul_f32_e32 v81, v45, v61
	s_waitcnt vmcnt(16)
	v_mul_f32_e32 v82, v47, v62
	s_waitcnt vmcnt(15) lgkmcnt(2)
	v_mul_f32_e32 v83, v49, v63
	s_waitcnt vmcnt(14)
	;; [unrolled: 4-line block ×3, first 2 shown]
	v_fma_f32 v41, v41, v68, -v59
	v_fmac_f32_e32 v79, v42, v68
	v_mul_f32_e32 v42, v46, v61
	s_waitcnt vmcnt(9)
	v_fma_f32 v43, v43, v69, -v60
	v_fmac_f32_e32 v80, v44, v69
	v_add_f32_e32 v41, 0, v41
	v_add_f32_e32 v44, 0, v79
	v_mul_f32_e32 v59, v48, v62
	s_waitcnt vmcnt(8)
	v_fma_f32 v42, v45, v70, -v42
	v_fmac_f32_e32 v81, v46, v70
	v_add_f32_e32 v41, v41, v43
	v_add_f32_e32 v43, v44, v80
	;; [unrolled: 6-line block ×5, first 2 shown]
	v_mul_f32_e32 v44, v56, v66
	s_waitcnt vmcnt(4)
	v_fma_f32 v45, v53, v74, -v45
	v_mul_f32_e32 v86, v55, v66
	v_add_f32_e32 v41, v41, v43
	v_fmac_f32_e32 v85, v54, v74
	v_add_f32_e32 v42, v42, v84
	s_waitcnt lgkmcnt(0)
	v_mul_f32_e32 v43, v58, v67
	s_waitcnt vmcnt(3)
	v_fma_f32 v44, v55, v75, -v44
	v_add_f32_e32 v41, v41, v45
	v_mul_f32_e32 v87, v57, v67
	v_fmac_f32_e32 v86, v56, v75
	v_add_f32_e32 v42, v42, v85
	s_waitcnt vmcnt(2)
	v_fma_f32 v43, v57, v76, -v43
	v_add_f32_e32 v41, v41, v44
	v_fmac_f32_e32 v87, v58, v76
	v_add_f32_e32 v42, v42, v86
	v_add_f32_e32 v41, v41, v43
	;; [unrolled: 1-line block ×3, first 2 shown]
	s_waitcnt vmcnt(1)
	v_sub_f32_e32 v41, v77, v41
	s_waitcnt vmcnt(0)
	v_sub_f32_e32 v42, v78, v42
	buffer_store_dword v41, off, s[0:3], 0 offset:72
	buffer_store_dword v42, off, s[0:3], 0 offset:76
	v_cmpx_lt_u32_e32 8, v0
	s_cbranch_execz .LBB82_111
; %bb.110:
	s_clause 0x1
	buffer_load_dword v41, off, s[0:3], 0 offset:64
	buffer_load_dword v42, off, s[0:3], 0 offset:68
	buffer_store_dword v40, off, s[0:3], 0 offset:64
	buffer_store_dword v40, off, s[0:3], 0 offset:68
	s_waitcnt vmcnt(0)
	ds_write_b64 v39, v[41:42]
.LBB82_111:
	s_or_b32 exec_lo, exec_lo, s4
	s_waitcnt lgkmcnt(0)
	s_waitcnt_vscnt null, 0x0
	s_barrier
	buffer_gl0_inv
	s_clause 0x15
	buffer_load_dword v61, off, s[0:3], 0 offset:76
	buffer_load_dword v62, off, s[0:3], 0 offset:84
	;; [unrolled: 1-line block ×22, first 2 shown]
	ds_read2_b64 v[41:44], v40 offset0:29 offset1:30
	ds_read2_b64 v[45:48], v40 offset0:31 offset1:32
	;; [unrolled: 1-line block ×5, first 2 shown]
	s_mov_b32 s4, exec_lo
	s_waitcnt vmcnt(21) lgkmcnt(4)
	v_mul_f32_e32 v40, v41, v61
	v_mul_f32_e32 v61, v42, v61
	s_waitcnt vmcnt(20)
	v_mul_f32_e32 v83, v43, v62
	v_mul_f32_e32 v62, v44, v62
	s_waitcnt vmcnt(19) lgkmcnt(3)
	v_mul_f32_e32 v84, v45, v63
	s_waitcnt vmcnt(18)
	v_mul_f32_e32 v85, v47, v64
	s_waitcnt vmcnt(17) lgkmcnt(2)
	v_mul_f32_e32 v86, v49, v65
	s_waitcnt vmcnt(16)
	;; [unrolled: 4-line block ×3, first 2 shown]
	v_mul_f32_e32 v89, v55, v68
	s_waitcnt vmcnt(11)
	v_fma_f32 v41, v41, v71, -v61
	v_fmac_f32_e32 v40, v42, v71
	v_mul_f32_e32 v42, v46, v63
	s_waitcnt vmcnt(10)
	v_fma_f32 v43, v43, v72, -v62
	v_fmac_f32_e32 v83, v44, v72
	v_add_f32_e32 v41, 0, v41
	v_add_f32_e32 v40, 0, v40
	v_mul_f32_e32 v44, v48, v64
	s_waitcnt vmcnt(9)
	v_fma_f32 v42, v45, v73, -v42
	v_fmac_f32_e32 v84, v46, v73
	v_add_f32_e32 v41, v41, v43
	v_add_f32_e32 v40, v40, v83
	;; [unrolled: 6-line block ×6, first 2 shown]
	s_waitcnt lgkmcnt(0)
	v_mul_f32_e32 v42, v58, v69
	s_waitcnt vmcnt(4)
	v_fma_f32 v43, v55, v78, -v43
	v_mul_f32_e32 v90, v57, v69
	v_add_f32_e32 v41, v41, v44
	v_fmac_f32_e32 v89, v56, v78
	v_add_f32_e32 v40, v40, v88
	v_mul_f32_e32 v44, v60, v70
	s_waitcnt vmcnt(3)
	v_fma_f32 v42, v57, v79, -v42
	v_add_f32_e32 v41, v41, v43
	v_mul_f32_e32 v91, v59, v70
	v_fmac_f32_e32 v90, v58, v79
	v_add_f32_e32 v40, v40, v89
	s_waitcnt vmcnt(2)
	v_fma_f32 v43, v59, v80, -v44
	v_add_f32_e32 v41, v41, v42
	v_fmac_f32_e32 v91, v60, v80
	v_add_f32_e32 v40, v40, v90
	v_add_f32_e32 v41, v41, v43
	;; [unrolled: 1-line block ×3, first 2 shown]
	s_waitcnt vmcnt(1)
	v_sub_f32_e32 v41, v81, v41
	s_waitcnt vmcnt(0)
	v_sub_f32_e32 v40, v82, v40
	buffer_store_dword v41, off, s[0:3], 0 offset:64
	buffer_store_dword v40, off, s[0:3], 0 offset:68
	v_cmpx_lt_u32_e32 7, v0
	s_cbranch_execz .LBB82_113
; %bb.112:
	s_clause 0x1
	buffer_load_dword v40, off, s[0:3], 0 offset:56
	buffer_load_dword v41, off, s[0:3], 0 offset:60
	v_mov_b32_e32 v42, 0
	buffer_store_dword v42, off, s[0:3], 0 offset:56
	buffer_store_dword v42, off, s[0:3], 0 offset:60
	s_waitcnt vmcnt(0)
	ds_write_b64 v39, v[40:41]
.LBB82_113:
	s_or_b32 exec_lo, exec_lo, s4
	s_waitcnt lgkmcnt(0)
	s_waitcnt_vscnt null, 0x0
	s_barrier
	buffer_gl0_inv
	s_clause 0x17
	buffer_load_dword v63, off, s[0:3], 0 offset:68
	buffer_load_dword v64, off, s[0:3], 0 offset:76
	buffer_load_dword v65, off, s[0:3], 0 offset:84
	buffer_load_dword v66, off, s[0:3], 0 offset:92
	buffer_load_dword v67, off, s[0:3], 0 offset:100
	buffer_load_dword v68, off, s[0:3], 0 offset:108
	buffer_load_dword v69, off, s[0:3], 0 offset:116
	buffer_load_dword v70, off, s[0:3], 0 offset:124
	buffer_load_dword v71, off, s[0:3], 0 offset:132
	buffer_load_dword v72, off, s[0:3], 0 offset:140
	buffer_load_dword v73, off, s[0:3], 0 offset:148
	buffer_load_dword v74, off, s[0:3], 0 offset:64
	buffer_load_dword v75, off, s[0:3], 0 offset:72
	buffer_load_dword v76, off, s[0:3], 0 offset:80
	buffer_load_dword v77, off, s[0:3], 0 offset:88
	buffer_load_dword v78, off, s[0:3], 0 offset:96
	buffer_load_dword v79, off, s[0:3], 0 offset:104
	buffer_load_dword v80, off, s[0:3], 0 offset:112
	buffer_load_dword v81, off, s[0:3], 0 offset:120
	buffer_load_dword v82, off, s[0:3], 0 offset:128
	buffer_load_dword v83, off, s[0:3], 0 offset:136
	buffer_load_dword v84, off, s[0:3], 0 offset:144
	buffer_load_dword v85, off, s[0:3], 0 offset:56
	buffer_load_dword v86, off, s[0:3], 0 offset:60
	v_mov_b32_e32 v40, 0
	ds_read_b128 v[41:44], v40 offset:224
	ds_read_b128 v[45:48], v40 offset:240
	;; [unrolled: 1-line block ×5, first 2 shown]
	ds_read_b64 v[61:62], v40 offset:304
	s_mov_b32 s4, exec_lo
	s_waitcnt vmcnt(23) lgkmcnt(5)
	v_mul_f32_e32 v87, v41, v63
	v_mul_f32_e32 v63, v42, v63
	s_waitcnt vmcnt(22)
	v_mul_f32_e32 v88, v43, v64
	v_mul_f32_e32 v64, v44, v64
	s_waitcnt vmcnt(21) lgkmcnt(4)
	v_mul_f32_e32 v89, v45, v65
	s_waitcnt vmcnt(20)
	v_mul_f32_e32 v90, v47, v66
	s_waitcnt vmcnt(19) lgkmcnt(3)
	v_mul_f32_e32 v91, v49, v67
	s_waitcnt vmcnt(18)
	;; [unrolled: 4-line block ×4, first 2 shown]
	v_fma_f32 v41, v41, v74, -v63
	v_fmac_f32_e32 v87, v42, v74
	v_mul_f32_e32 v42, v46, v65
	s_waitcnt vmcnt(11)
	v_fma_f32 v43, v43, v75, -v64
	v_fmac_f32_e32 v88, v44, v75
	v_add_f32_e32 v41, 0, v41
	v_add_f32_e32 v44, 0, v87
	v_mul_f32_e32 v63, v48, v66
	s_waitcnt vmcnt(10)
	v_fma_f32 v42, v45, v76, -v42
	v_fmac_f32_e32 v89, v46, v76
	v_add_f32_e32 v41, v41, v43
	v_add_f32_e32 v43, v44, v88
	;; [unrolled: 6-line block ×7, first 2 shown]
	v_mul_f32_e32 v45, v60, v72
	s_waitcnt vmcnt(4)
	v_fma_f32 v43, v57, v82, -v43
	v_mul_f32_e32 v96, v59, v72
	v_add_f32_e32 v41, v41, v44
	v_fmac_f32_e32 v95, v58, v82
	v_add_f32_e32 v42, v42, v94
	s_waitcnt lgkmcnt(0)
	v_mul_f32_e32 v44, v62, v73
	s_waitcnt vmcnt(3)
	v_fma_f32 v45, v59, v83, -v45
	v_add_f32_e32 v41, v41, v43
	v_mul_f32_e32 v97, v61, v73
	v_fmac_f32_e32 v96, v60, v83
	v_add_f32_e32 v42, v42, v95
	s_waitcnt vmcnt(2)
	v_fma_f32 v43, v61, v84, -v44
	v_add_f32_e32 v41, v41, v45
	v_fmac_f32_e32 v97, v62, v84
	v_add_f32_e32 v42, v42, v96
	v_add_f32_e32 v41, v41, v43
	;; [unrolled: 1-line block ×3, first 2 shown]
	s_waitcnt vmcnt(1)
	v_sub_f32_e32 v41, v85, v41
	s_waitcnt vmcnt(0)
	v_sub_f32_e32 v42, v86, v42
	buffer_store_dword v41, off, s[0:3], 0 offset:56
	buffer_store_dword v42, off, s[0:3], 0 offset:60
	v_cmpx_lt_u32_e32 6, v0
	s_cbranch_execz .LBB82_115
; %bb.114:
	s_clause 0x1
	buffer_load_dword v41, off, s[0:3], 0 offset:48
	buffer_load_dword v42, off, s[0:3], 0 offset:52
	buffer_store_dword v40, off, s[0:3], 0 offset:48
	buffer_store_dword v40, off, s[0:3], 0 offset:52
	s_waitcnt vmcnt(0)
	ds_write_b64 v39, v[41:42]
.LBB82_115:
	s_or_b32 exec_lo, exec_lo, s4
	s_waitcnt lgkmcnt(0)
	s_waitcnt_vscnt null, 0x0
	s_barrier
	buffer_gl0_inv
	s_clause 0x19
	buffer_load_dword v65, off, s[0:3], 0 offset:60
	buffer_load_dword v66, off, s[0:3], 0 offset:68
	buffer_load_dword v67, off, s[0:3], 0 offset:76
	buffer_load_dword v68, off, s[0:3], 0 offset:84
	buffer_load_dword v69, off, s[0:3], 0 offset:92
	buffer_load_dword v70, off, s[0:3], 0 offset:100
	buffer_load_dword v71, off, s[0:3], 0 offset:108
	buffer_load_dword v72, off, s[0:3], 0 offset:116
	buffer_load_dword v73, off, s[0:3], 0 offset:124
	buffer_load_dword v74, off, s[0:3], 0 offset:132
	buffer_load_dword v75, off, s[0:3], 0 offset:140
	buffer_load_dword v76, off, s[0:3], 0 offset:148
	buffer_load_dword v77, off, s[0:3], 0 offset:56
	buffer_load_dword v78, off, s[0:3], 0 offset:64
	buffer_load_dword v79, off, s[0:3], 0 offset:72
	buffer_load_dword v80, off, s[0:3], 0 offset:80
	buffer_load_dword v81, off, s[0:3], 0 offset:88
	buffer_load_dword v82, off, s[0:3], 0 offset:96
	buffer_load_dword v83, off, s[0:3], 0 offset:104
	buffer_load_dword v84, off, s[0:3], 0 offset:112
	buffer_load_dword v85, off, s[0:3], 0 offset:120
	buffer_load_dword v86, off, s[0:3], 0 offset:128
	buffer_load_dword v87, off, s[0:3], 0 offset:136
	buffer_load_dword v88, off, s[0:3], 0 offset:144
	buffer_load_dword v89, off, s[0:3], 0 offset:48
	buffer_load_dword v90, off, s[0:3], 0 offset:52
	ds_read2_b64 v[41:44], v40 offset0:27 offset1:28
	ds_read2_b64 v[45:48], v40 offset0:29 offset1:30
	;; [unrolled: 1-line block ×6, first 2 shown]
	s_mov_b32 s4, exec_lo
	s_waitcnt vmcnt(25) lgkmcnt(5)
	v_mul_f32_e32 v40, v41, v65
	v_mul_f32_e32 v65, v42, v65
	s_waitcnt vmcnt(24)
	v_mul_f32_e32 v91, v43, v66
	v_mul_f32_e32 v66, v44, v66
	s_waitcnt vmcnt(23) lgkmcnt(4)
	v_mul_f32_e32 v92, v45, v67
	s_waitcnt vmcnt(22)
	v_mul_f32_e32 v93, v47, v68
	s_waitcnt vmcnt(21) lgkmcnt(3)
	v_mul_f32_e32 v94, v49, v69
	s_waitcnt vmcnt(20)
	;; [unrolled: 4-line block ×4, first 2 shown]
	v_mul_f32_e32 v99, v59, v74
	s_waitcnt vmcnt(13)
	v_fma_f32 v41, v41, v77, -v65
	v_fmac_f32_e32 v40, v42, v77
	v_mul_f32_e32 v42, v46, v67
	s_waitcnt vmcnt(12)
	v_fma_f32 v43, v43, v78, -v66
	v_fmac_f32_e32 v91, v44, v78
	v_add_f32_e32 v41, 0, v41
	v_add_f32_e32 v40, 0, v40
	v_mul_f32_e32 v44, v48, v68
	s_waitcnt vmcnt(11)
	v_fma_f32 v42, v45, v79, -v42
	v_fmac_f32_e32 v92, v46, v79
	v_add_f32_e32 v41, v41, v43
	v_add_f32_e32 v40, v40, v91
	;; [unrolled: 6-line block ×8, first 2 shown]
	s_waitcnt lgkmcnt(0)
	v_mul_f32_e32 v43, v62, v75
	s_waitcnt vmcnt(4)
	v_fma_f32 v44, v59, v86, -v44
	v_mul_f32_e32 v100, v61, v75
	v_add_f32_e32 v41, v41, v42
	v_fmac_f32_e32 v99, v60, v86
	v_add_f32_e32 v40, v40, v98
	v_mul_f32_e32 v42, v64, v76
	s_waitcnt vmcnt(3)
	v_fma_f32 v43, v61, v87, -v43
	v_add_f32_e32 v41, v41, v44
	v_mul_f32_e32 v101, v63, v76
	v_fmac_f32_e32 v100, v62, v87
	v_add_f32_e32 v40, v40, v99
	s_waitcnt vmcnt(2)
	v_fma_f32 v42, v63, v88, -v42
	v_add_f32_e32 v41, v41, v43
	v_fmac_f32_e32 v101, v64, v88
	v_add_f32_e32 v40, v40, v100
	v_add_f32_e32 v41, v41, v42
	;; [unrolled: 1-line block ×3, first 2 shown]
	s_waitcnt vmcnt(1)
	v_sub_f32_e32 v41, v89, v41
	s_waitcnt vmcnt(0)
	v_sub_f32_e32 v40, v90, v40
	buffer_store_dword v41, off, s[0:3], 0 offset:48
	buffer_store_dword v40, off, s[0:3], 0 offset:52
	v_cmpx_lt_u32_e32 5, v0
	s_cbranch_execz .LBB82_117
; %bb.116:
	s_clause 0x1
	buffer_load_dword v40, off, s[0:3], 0 offset:40
	buffer_load_dword v41, off, s[0:3], 0 offset:44
	v_mov_b32_e32 v42, 0
	buffer_store_dword v42, off, s[0:3], 0 offset:40
	buffer_store_dword v42, off, s[0:3], 0 offset:44
	s_waitcnt vmcnt(0)
	ds_write_b64 v39, v[40:41]
.LBB82_117:
	s_or_b32 exec_lo, exec_lo, s4
	s_waitcnt lgkmcnt(0)
	s_waitcnt_vscnt null, 0x0
	s_barrier
	buffer_gl0_inv
	s_clause 0x1b
	buffer_load_dword v67, off, s[0:3], 0 offset:52
	buffer_load_dword v68, off, s[0:3], 0 offset:60
	;; [unrolled: 1-line block ×28, first 2 shown]
	v_mov_b32_e32 v40, 0
	ds_read_b128 v[41:44], v40 offset:208
	ds_read_b128 v[45:48], v40 offset:224
	;; [unrolled: 1-line block ×6, first 2 shown]
	ds_read_b64 v[65:66], v40 offset:304
	s_mov_b32 s4, exec_lo
	s_waitcnt vmcnt(27) lgkmcnt(6)
	v_mul_f32_e32 v95, v41, v67
	v_mul_f32_e32 v67, v42, v67
	s_waitcnt vmcnt(26)
	v_mul_f32_e32 v96, v43, v68
	v_mul_f32_e32 v68, v44, v68
	s_waitcnt vmcnt(25) lgkmcnt(5)
	v_mul_f32_e32 v97, v45, v69
	s_waitcnt vmcnt(24)
	v_mul_f32_e32 v98, v47, v70
	s_waitcnt vmcnt(23) lgkmcnt(4)
	v_mul_f32_e32 v99, v49, v71
	s_waitcnt vmcnt(22)
	;; [unrolled: 4-line block ×5, first 2 shown]
	v_fma_f32 v41, v41, v80, -v67
	v_fmac_f32_e32 v95, v42, v80
	v_mul_f32_e32 v42, v46, v69
	s_waitcnt vmcnt(13)
	v_fma_f32 v43, v43, v81, -v68
	v_fmac_f32_e32 v96, v44, v81
	v_add_f32_e32 v41, 0, v41
	v_add_f32_e32 v44, 0, v95
	v_mul_f32_e32 v67, v48, v70
	s_waitcnt vmcnt(12)
	v_fma_f32 v42, v45, v82, -v42
	v_fmac_f32_e32 v97, v46, v82
	v_add_f32_e32 v41, v41, v43
	v_add_f32_e32 v43, v44, v96
	;; [unrolled: 6-line block ×9, first 2 shown]
	v_mul_f32_e32 v43, v64, v78
	s_waitcnt vmcnt(4)
	v_fma_f32 v44, v61, v90, -v44
	v_mul_f32_e32 v106, v63, v78
	v_add_f32_e32 v41, v41, v45
	v_fmac_f32_e32 v105, v62, v90
	v_add_f32_e32 v42, v42, v104
	s_waitcnt lgkmcnt(0)
	v_mul_f32_e32 v45, v66, v79
	s_waitcnt vmcnt(3)
	v_fma_f32 v43, v63, v91, -v43
	v_add_f32_e32 v41, v41, v44
	v_mul_f32_e32 v107, v65, v79
	v_fmac_f32_e32 v106, v64, v91
	v_add_f32_e32 v42, v42, v105
	s_waitcnt vmcnt(2)
	v_fma_f32 v44, v65, v92, -v45
	v_add_f32_e32 v41, v41, v43
	v_fmac_f32_e32 v107, v66, v92
	v_add_f32_e32 v42, v42, v106
	v_add_f32_e32 v41, v41, v44
	;; [unrolled: 1-line block ×3, first 2 shown]
	s_waitcnt vmcnt(1)
	v_sub_f32_e32 v41, v93, v41
	s_waitcnt vmcnt(0)
	v_sub_f32_e32 v42, v94, v42
	buffer_store_dword v41, off, s[0:3], 0 offset:40
	buffer_store_dword v42, off, s[0:3], 0 offset:44
	v_cmpx_lt_u32_e32 4, v0
	s_cbranch_execz .LBB82_119
; %bb.118:
	s_clause 0x1
	buffer_load_dword v41, off, s[0:3], 0 offset:32
	buffer_load_dword v42, off, s[0:3], 0 offset:36
	buffer_store_dword v40, off, s[0:3], 0 offset:32
	buffer_store_dword v40, off, s[0:3], 0 offset:36
	s_waitcnt vmcnt(0)
	ds_write_b64 v39, v[41:42]
.LBB82_119:
	s_or_b32 exec_lo, exec_lo, s4
	s_waitcnt lgkmcnt(0)
	s_waitcnt_vscnt null, 0x0
	s_barrier
	buffer_gl0_inv
	s_clause 0x1d
	buffer_load_dword v69, off, s[0:3], 0 offset:44
	buffer_load_dword v70, off, s[0:3], 0 offset:52
	;; [unrolled: 1-line block ×30, first 2 shown]
	ds_read2_b64 v[41:44], v40 offset0:25 offset1:26
	ds_read2_b64 v[45:48], v40 offset0:27 offset1:28
	;; [unrolled: 1-line block ×7, first 2 shown]
	s_mov_b32 s4, exec_lo
	s_waitcnt vmcnt(29) lgkmcnt(6)
	v_mul_f32_e32 v40, v41, v69
	v_mul_f32_e32 v69, v42, v69
	s_waitcnt vmcnt(28)
	v_mul_f32_e32 v99, v43, v70
	v_mul_f32_e32 v70, v44, v70
	s_waitcnt vmcnt(27) lgkmcnt(5)
	v_mul_f32_e32 v100, v45, v71
	s_waitcnt vmcnt(26)
	v_mul_f32_e32 v101, v47, v72
	s_waitcnt vmcnt(25) lgkmcnt(4)
	v_mul_f32_e32 v102, v49, v73
	s_waitcnt vmcnt(24)
	;; [unrolled: 4-line block ×5, first 2 shown]
	v_mul_f32_e32 v109, v63, v80
	s_waitcnt vmcnt(15)
	v_fma_f32 v41, v41, v83, -v69
	v_fmac_f32_e32 v40, v42, v83
	v_mul_f32_e32 v42, v46, v71
	s_waitcnt vmcnt(14)
	v_fma_f32 v43, v43, v84, -v70
	v_fmac_f32_e32 v99, v44, v84
	v_add_f32_e32 v41, 0, v41
	v_add_f32_e32 v40, 0, v40
	v_mul_f32_e32 v44, v48, v72
	s_waitcnt vmcnt(13)
	v_fma_f32 v42, v45, v85, -v42
	v_fmac_f32_e32 v100, v46, v85
	v_add_f32_e32 v41, v41, v43
	v_add_f32_e32 v40, v40, v99
	;; [unrolled: 6-line block ×10, first 2 shown]
	s_waitcnt lgkmcnt(0)
	v_mul_f32_e32 v44, v66, v81
	s_waitcnt vmcnt(4)
	v_fma_f32 v42, v63, v94, -v42
	v_mul_f32_e32 v110, v65, v81
	v_add_f32_e32 v41, v41, v43
	v_fmac_f32_e32 v109, v64, v94
	v_add_f32_e32 v40, v40, v108
	v_mul_f32_e32 v43, v68, v82
	s_waitcnt vmcnt(3)
	v_fma_f32 v44, v65, v95, -v44
	v_add_f32_e32 v41, v41, v42
	v_mul_f32_e32 v111, v67, v82
	v_fmac_f32_e32 v110, v66, v95
	v_add_f32_e32 v40, v40, v109
	s_waitcnt vmcnt(2)
	v_fma_f32 v42, v67, v96, -v43
	v_add_f32_e32 v41, v41, v44
	v_fmac_f32_e32 v111, v68, v96
	v_add_f32_e32 v40, v40, v110
	v_add_f32_e32 v41, v41, v42
	;; [unrolled: 1-line block ×3, first 2 shown]
	s_waitcnt vmcnt(1)
	v_sub_f32_e32 v41, v97, v41
	s_waitcnt vmcnt(0)
	v_sub_f32_e32 v40, v98, v40
	buffer_store_dword v41, off, s[0:3], 0 offset:32
	buffer_store_dword v40, off, s[0:3], 0 offset:36
	v_cmpx_lt_u32_e32 3, v0
	s_cbranch_execz .LBB82_121
; %bb.120:
	s_clause 0x1
	buffer_load_dword v40, off, s[0:3], 0 offset:24
	buffer_load_dword v41, off, s[0:3], 0 offset:28
	v_mov_b32_e32 v42, 0
	buffer_store_dword v42, off, s[0:3], 0 offset:24
	buffer_store_dword v42, off, s[0:3], 0 offset:28
	s_waitcnt vmcnt(0)
	ds_write_b64 v39, v[40:41]
.LBB82_121:
	s_or_b32 exec_lo, exec_lo, s4
	s_waitcnt lgkmcnt(0)
	s_waitcnt_vscnt null, 0x0
	s_barrier
	buffer_gl0_inv
	s_clause 0x1f
	buffer_load_dword v71, off, s[0:3], 0 offset:36
	buffer_load_dword v72, off, s[0:3], 0 offset:44
	;; [unrolled: 1-line block ×32, first 2 shown]
	v_mov_b32_e32 v40, 0
	ds_read_b128 v[41:44], v40 offset:192
	ds_read_b128 v[45:48], v40 offset:208
	;; [unrolled: 1-line block ×7, first 2 shown]
	ds_read_b64 v[69:70], v40 offset:304
	s_mov_b32 s4, exec_lo
	s_waitcnt vmcnt(31) lgkmcnt(7)
	v_mul_f32_e32 v103, v41, v71
	v_mul_f32_e32 v71, v42, v71
	s_waitcnt vmcnt(30)
	v_mul_f32_e32 v104, v43, v72
	v_mul_f32_e32 v72, v44, v72
	s_waitcnt vmcnt(29) lgkmcnt(6)
	v_mul_f32_e32 v105, v45, v73
	s_waitcnt vmcnt(28)
	v_mul_f32_e32 v106, v47, v74
	s_waitcnt vmcnt(27) lgkmcnt(5)
	v_mul_f32_e32 v107, v49, v75
	s_waitcnt vmcnt(26)
	;; [unrolled: 4-line block ×6, first 2 shown]
	v_fma_f32 v41, v41, v86, -v71
	v_fmac_f32_e32 v103, v42, v86
	v_mul_f32_e32 v42, v46, v73
	s_waitcnt vmcnt(15)
	v_fma_f32 v43, v43, v87, -v72
	v_fmac_f32_e32 v104, v44, v87
	v_add_f32_e32 v41, 0, v41
	v_add_f32_e32 v44, 0, v103
	v_mul_f32_e32 v71, v48, v74
	s_waitcnt vmcnt(14)
	v_fma_f32 v42, v45, v88, -v42
	v_fmac_f32_e32 v105, v46, v88
	v_add_f32_e32 v41, v41, v43
	v_add_f32_e32 v43, v44, v104
	;; [unrolled: 6-line block ×11, first 2 shown]
	v_mul_f32_e32 v44, v68, v84
	s_waitcnt vmcnt(4)
	v_fma_f32 v45, v65, v98, -v45
	v_mul_f32_e32 v116, v67, v84
	v_add_f32_e32 v41, v41, v43
	v_fmac_f32_e32 v115, v66, v98
	v_add_f32_e32 v42, v42, v114
	s_waitcnt lgkmcnt(0)
	v_mul_f32_e32 v43, v70, v85
	s_waitcnt vmcnt(3)
	v_fma_f32 v44, v67, v99, -v44
	v_add_f32_e32 v41, v41, v45
	v_mul_f32_e32 v117, v69, v85
	v_fmac_f32_e32 v116, v68, v99
	v_add_f32_e32 v42, v42, v115
	s_waitcnt vmcnt(2)
	v_fma_f32 v43, v69, v100, -v43
	v_add_f32_e32 v41, v41, v44
	v_fmac_f32_e32 v117, v70, v100
	v_add_f32_e32 v42, v42, v116
	v_add_f32_e32 v41, v41, v43
	v_add_f32_e32 v42, v42, v117
	s_waitcnt vmcnt(1)
	v_sub_f32_e32 v41, v101, v41
	s_waitcnt vmcnt(0)
	v_sub_f32_e32 v42, v102, v42
	buffer_store_dword v41, off, s[0:3], 0 offset:24
	buffer_store_dword v42, off, s[0:3], 0 offset:28
	v_cmpx_lt_u32_e32 2, v0
	s_cbranch_execz .LBB82_123
; %bb.122:
	s_clause 0x1
	buffer_load_dword v41, off, s[0:3], 0 offset:16
	buffer_load_dword v42, off, s[0:3], 0 offset:20
	buffer_store_dword v40, off, s[0:3], 0 offset:16
	buffer_store_dword v40, off, s[0:3], 0 offset:20
	s_waitcnt vmcnt(0)
	ds_write_b64 v39, v[41:42]
.LBB82_123:
	s_or_b32 exec_lo, exec_lo, s4
	s_waitcnt lgkmcnt(0)
	s_waitcnt_vscnt null, 0x0
	s_barrier
	buffer_gl0_inv
	s_clause 0x21
	buffer_load_dword v73, off, s[0:3], 0 offset:28
	buffer_load_dword v74, off, s[0:3], 0 offset:36
	;; [unrolled: 1-line block ×34, first 2 shown]
	ds_read2_b64 v[41:44], v40 offset0:23 offset1:24
	ds_read2_b64 v[45:48], v40 offset0:25 offset1:26
	;; [unrolled: 1-line block ×8, first 2 shown]
	s_mov_b32 s4, exec_lo
	s_waitcnt vmcnt(33) lgkmcnt(7)
	v_mul_f32_e32 v40, v41, v73
	v_mul_f32_e32 v73, v42, v73
	s_waitcnt vmcnt(32)
	v_mul_f32_e32 v107, v43, v74
	v_mul_f32_e32 v74, v44, v74
	s_waitcnt vmcnt(31) lgkmcnt(6)
	v_mul_f32_e32 v108, v45, v75
	s_waitcnt vmcnt(30)
	v_mul_f32_e32 v109, v47, v76
	s_waitcnt vmcnt(29) lgkmcnt(5)
	v_mul_f32_e32 v110, v49, v77
	s_waitcnt vmcnt(28)
	;; [unrolled: 4-line block ×6, first 2 shown]
	v_mul_f32_e32 v119, v67, v86
	s_waitcnt vmcnt(17)
	v_fma_f32 v41, v41, v89, -v73
	v_fmac_f32_e32 v40, v42, v89
	v_mul_f32_e32 v42, v46, v75
	s_waitcnt vmcnt(16)
	v_fma_f32 v43, v43, v90, -v74
	v_fmac_f32_e32 v107, v44, v90
	v_add_f32_e32 v41, 0, v41
	v_add_f32_e32 v40, 0, v40
	v_mul_f32_e32 v44, v48, v76
	s_waitcnt vmcnt(15)
	v_fma_f32 v42, v45, v91, -v42
	v_fmac_f32_e32 v108, v46, v91
	v_add_f32_e32 v41, v41, v43
	v_add_f32_e32 v40, v40, v107
	;; [unrolled: 6-line block ×12, first 2 shown]
	s_waitcnt lgkmcnt(0)
	v_mul_f32_e32 v42, v70, v87
	s_waitcnt vmcnt(4)
	v_fma_f32 v43, v67, v102, -v43
	v_mul_f32_e32 v120, v69, v87
	v_add_f32_e32 v41, v41, v44
	v_fmac_f32_e32 v119, v68, v102
	v_add_f32_e32 v40, v40, v118
	v_mul_f32_e32 v44, v72, v88
	s_waitcnt vmcnt(3)
	v_fma_f32 v42, v69, v103, -v42
	v_add_f32_e32 v41, v41, v43
	v_mul_f32_e32 v121, v71, v88
	v_fmac_f32_e32 v120, v70, v103
	v_add_f32_e32 v40, v40, v119
	s_waitcnt vmcnt(2)
	v_fma_f32 v43, v71, v104, -v44
	v_add_f32_e32 v41, v41, v42
	v_fmac_f32_e32 v121, v72, v104
	v_add_f32_e32 v40, v40, v120
	v_add_f32_e32 v41, v41, v43
	;; [unrolled: 1-line block ×3, first 2 shown]
	s_waitcnt vmcnt(1)
	v_sub_f32_e32 v41, v105, v41
	s_waitcnt vmcnt(0)
	v_sub_f32_e32 v40, v106, v40
	buffer_store_dword v41, off, s[0:3], 0 offset:16
	buffer_store_dword v40, off, s[0:3], 0 offset:20
	v_cmpx_lt_u32_e32 1, v0
	s_cbranch_execz .LBB82_125
; %bb.124:
	s_clause 0x1
	buffer_load_dword v40, off, s[0:3], 0 offset:8
	buffer_load_dword v41, off, s[0:3], 0 offset:12
	v_mov_b32_e32 v42, 0
	buffer_store_dword v42, off, s[0:3], 0 offset:8
	buffer_store_dword v42, off, s[0:3], 0 offset:12
	s_waitcnt vmcnt(0)
	ds_write_b64 v39, v[40:41]
.LBB82_125:
	s_or_b32 exec_lo, exec_lo, s4
	s_waitcnt lgkmcnt(0)
	s_waitcnt_vscnt null, 0x0
	s_barrier
	buffer_gl0_inv
	s_clause 0x23
	buffer_load_dword v75, off, s[0:3], 0 offset:20
	buffer_load_dword v76, off, s[0:3], 0 offset:28
	;; [unrolled: 1-line block ×36, first 2 shown]
	v_mov_b32_e32 v40, 0
	ds_read_b128 v[41:44], v40 offset:176
	ds_read_b128 v[45:48], v40 offset:192
	;; [unrolled: 1-line block ×8, first 2 shown]
	ds_read_b64 v[73:74], v40 offset:304
	s_mov_b32 s4, exec_lo
	s_waitcnt vmcnt(35) lgkmcnt(8)
	v_mul_f32_e32 v111, v41, v75
	v_mul_f32_e32 v75, v42, v75
	s_waitcnt vmcnt(34)
	v_mul_f32_e32 v112, v43, v76
	v_mul_f32_e32 v76, v44, v76
	s_waitcnt vmcnt(33) lgkmcnt(7)
	v_mul_f32_e32 v113, v45, v77
	s_waitcnt vmcnt(32)
	v_mul_f32_e32 v114, v47, v78
	s_waitcnt vmcnt(31) lgkmcnt(6)
	v_mul_f32_e32 v115, v49, v79
	s_waitcnt vmcnt(30)
	;; [unrolled: 4-line block ×7, first 2 shown]
	v_fma_f32 v41, v41, v92, -v75
	v_fmac_f32_e32 v111, v42, v92
	v_mul_f32_e32 v42, v46, v77
	s_waitcnt vmcnt(17)
	v_fma_f32 v43, v43, v93, -v76
	v_fmac_f32_e32 v112, v44, v93
	v_add_f32_e32 v41, 0, v41
	v_add_f32_e32 v44, 0, v111
	v_mul_f32_e32 v75, v48, v78
	s_waitcnt vmcnt(16)
	v_fma_f32 v42, v45, v94, -v42
	v_fmac_f32_e32 v113, v46, v94
	v_add_f32_e32 v41, v41, v43
	v_add_f32_e32 v43, v44, v112
	;; [unrolled: 6-line block ×13, first 2 shown]
	v_mul_f32_e32 v45, v72, v90
	s_waitcnt vmcnt(4)
	v_fma_f32 v43, v69, v106, -v43
	v_mul_f32_e32 v126, v71, v90
	v_add_f32_e32 v41, v41, v44
	v_fmac_f32_e32 v125, v70, v106
	v_add_f32_e32 v42, v42, v124
	s_waitcnt lgkmcnt(0)
	v_mul_f32_e32 v44, v74, v91
	s_waitcnt vmcnt(3)
	v_fma_f32 v45, v71, v107, -v45
	v_add_f32_e32 v41, v41, v43
	v_mul_f32_e32 v127, v73, v91
	v_fmac_f32_e32 v126, v72, v107
	v_add_f32_e32 v42, v42, v125
	s_waitcnt vmcnt(2)
	v_fma_f32 v43, v73, v108, -v44
	v_add_f32_e32 v41, v41, v45
	v_fmac_f32_e32 v127, v74, v108
	v_add_f32_e32 v42, v42, v126
	v_add_f32_e32 v41, v41, v43
	;; [unrolled: 1-line block ×3, first 2 shown]
	s_waitcnt vmcnt(1)
	v_sub_f32_e32 v41, v109, v41
	s_waitcnt vmcnt(0)
	v_sub_f32_e32 v42, v110, v42
	buffer_store_dword v41, off, s[0:3], 0 offset:8
	buffer_store_dword v42, off, s[0:3], 0 offset:12
	v_cmpx_ne_u32_e32 0, v0
	s_cbranch_execz .LBB82_127
; %bb.126:
	s_clause 0x1
	buffer_load_dword v41, off, s[0:3], 0
	buffer_load_dword v42, off, s[0:3], 0 offset:4
	buffer_store_dword v40, off, s[0:3], 0
	buffer_store_dword v40, off, s[0:3], 0 offset:4
	s_waitcnt vmcnt(0)
	ds_write_b64 v39, v[41:42]
.LBB82_127:
	s_or_b32 exec_lo, exec_lo, s4
	s_waitcnt lgkmcnt(0)
	s_waitcnt_vscnt null, 0x0
	s_barrier
	buffer_gl0_inv
	s_clause 0x25
	buffer_load_dword v0, off, s[0:3], 0 offset:12
	buffer_load_dword v39, off, s[0:3], 0 offset:20
	;; [unrolled: 1-line block ×36, first 2 shown]
	buffer_load_dword v111, off, s[0:3], 0
	buffer_load_dword v112, off, s[0:3], 0 offset:4
	ds_read2_b64 v[41:44], v40 offset0:21 offset1:22
	ds_read2_b64 v[45:48], v40 offset0:23 offset1:24
	;; [unrolled: 1-line block ×9, first 2 shown]
	s_and_b32 vcc_lo, exec_lo, s16
	s_waitcnt vmcnt(37) lgkmcnt(8)
	v_mul_f32_e32 v40, v41, v0
	v_mul_f32_e32 v0, v42, v0
	s_waitcnt vmcnt(36)
	v_mul_f32_e32 v113, v43, v39
	v_mul_f32_e32 v39, v44, v39
	s_waitcnt vmcnt(35) lgkmcnt(7)
	v_mul_f32_e32 v114, v45, v77
	s_waitcnt vmcnt(34)
	v_mul_f32_e32 v115, v47, v78
	s_waitcnt vmcnt(33) lgkmcnt(6)
	v_mul_f32_e32 v116, v49, v79
	s_waitcnt vmcnt(32)
	;; [unrolled: 4-line block ×7, first 2 shown]
	v_mul_f32_e32 v127, v71, v90
	s_waitcnt vmcnt(19)
	v_fma_f32 v0, v41, v93, -v0
	v_fmac_f32_e32 v40, v42, v93
	v_mul_f32_e32 v41, v46, v77
	s_waitcnt vmcnt(18)
	v_fma_f32 v39, v43, v94, -v39
	v_fmac_f32_e32 v113, v44, v94
	v_add_f32_e32 v0, 0, v0
	v_add_f32_e32 v40, 0, v40
	v_mul_f32_e32 v42, v48, v78
	s_waitcnt vmcnt(17)
	v_fma_f32 v41, v45, v95, -v41
	v_fmac_f32_e32 v114, v46, v95
	v_add_f32_e32 v0, v0, v39
	v_add_f32_e32 v39, v40, v113
	;; [unrolled: 6-line block ×14, first 2 shown]
	s_waitcnt lgkmcnt(0)
	v_mul_f32_e32 v40, v74, v91
	s_waitcnt vmcnt(4)
	v_fma_f32 v42, v71, v108, -v42
	v_mul_f32_e32 v128, v73, v91
	v_add_f32_e32 v0, v0, v41
	v_fmac_f32_e32 v127, v72, v108
	v_add_f32_e32 v39, v39, v126
	v_mul_f32_e32 v41, v76, v92
	s_waitcnt vmcnt(3)
	v_fma_f32 v40, v73, v109, -v40
	v_add_f32_e32 v0, v0, v42
	v_mul_f32_e32 v129, v75, v92
	v_fmac_f32_e32 v128, v74, v109
	v_add_f32_e32 v39, v39, v127
	s_waitcnt vmcnt(2)
	v_fma_f32 v41, v75, v110, -v41
	v_add_f32_e32 v0, v0, v40
	v_fmac_f32_e32 v129, v76, v110
	v_add_f32_e32 v39, v39, v128
	v_add_f32_e32 v0, v0, v41
	;; [unrolled: 1-line block ×3, first 2 shown]
	s_waitcnt vmcnt(1)
	v_sub_f32_e32 v0, v111, v0
	s_waitcnt vmcnt(0)
	v_sub_f32_e32 v39, v112, v39
	buffer_store_dword v0, off, s[0:3], 0
	buffer_store_dword v39, off, s[0:3], 0 offset:4
	s_cbranch_vccz .LBB82_164
; %bb.128:
	v_mov_b32_e32 v0, 0
	global_load_dword v39, v0, s[12:13] offset:68
	s_waitcnt vmcnt(0)
	v_add_nc_u32_e32 v39, -1, v39
	v_cmp_ne_u32_e32 vcc_lo, 17, v39
	s_cbranch_vccz .LBB82_130
; %bb.129:
	v_lshlrev_b32_e32 v39, 3, v39
	s_clause 0x3
	buffer_load_dword v40, v39, s[0:3], 0 offen
	buffer_load_dword v41, v39, s[0:3], 0 offen offset:4
	buffer_load_dword v42, off, s[0:3], 0 offset:136
	buffer_load_dword v43, off, s[0:3], 0 offset:140
	s_waitcnt vmcnt(3)
	buffer_store_dword v40, off, s[0:3], 0 offset:136
	s_waitcnt vmcnt(2)
	buffer_store_dword v41, off, s[0:3], 0 offset:140
	s_waitcnt vmcnt(1)
	buffer_store_dword v42, v39, s[0:3], 0 offen
	s_waitcnt vmcnt(0)
	buffer_store_dword v43, v39, s[0:3], 0 offen offset:4
.LBB82_130:
	global_load_dword v0, v0, s[12:13] offset:64
	s_waitcnt vmcnt(0)
	v_add_nc_u32_e32 v0, -1, v0
	v_cmp_eq_u32_e32 vcc_lo, 16, v0
	s_cbranch_vccnz .LBB82_132
; %bb.131:
	v_lshlrev_b32_e32 v0, 3, v0
	s_clause 0x3
	buffer_load_dword v39, v0, s[0:3], 0 offen
	buffer_load_dword v40, v0, s[0:3], 0 offen offset:4
	buffer_load_dword v41, off, s[0:3], 0 offset:132
	buffer_load_dword v42, off, s[0:3], 0 offset:128
	s_waitcnt vmcnt(3)
	buffer_store_dword v39, off, s[0:3], 0 offset:128
	s_waitcnt vmcnt(2)
	buffer_store_dword v40, off, s[0:3], 0 offset:132
	s_waitcnt vmcnt(1)
	buffer_store_dword v41, v0, s[0:3], 0 offen offset:4
	s_waitcnt vmcnt(0)
	buffer_store_dword v42, v0, s[0:3], 0 offen
.LBB82_132:
	v_mov_b32_e32 v0, 0
	global_load_dword v39, v0, s[12:13] offset:60
	s_waitcnt vmcnt(0)
	v_add_nc_u32_e32 v39, -1, v39
	v_cmp_eq_u32_e32 vcc_lo, 15, v39
	s_cbranch_vccnz .LBB82_134
; %bb.133:
	v_lshlrev_b32_e32 v39, 3, v39
	s_clause 0x3
	buffer_load_dword v40, v39, s[0:3], 0 offen
	buffer_load_dword v41, v39, s[0:3], 0 offen offset:4
	buffer_load_dword v42, off, s[0:3], 0 offset:120
	buffer_load_dword v43, off, s[0:3], 0 offset:124
	s_waitcnt vmcnt(3)
	buffer_store_dword v40, off, s[0:3], 0 offset:120
	s_waitcnt vmcnt(2)
	buffer_store_dword v41, off, s[0:3], 0 offset:124
	s_waitcnt vmcnt(1)
	buffer_store_dword v42, v39, s[0:3], 0 offen
	s_waitcnt vmcnt(0)
	buffer_store_dword v43, v39, s[0:3], 0 offen offset:4
.LBB82_134:
	global_load_dword v0, v0, s[12:13] offset:56
	s_waitcnt vmcnt(0)
	v_add_nc_u32_e32 v0, -1, v0
	v_cmp_eq_u32_e32 vcc_lo, 14, v0
	s_cbranch_vccnz .LBB82_136
; %bb.135:
	v_lshlrev_b32_e32 v0, 3, v0
	s_clause 0x3
	buffer_load_dword v39, v0, s[0:3], 0 offen
	buffer_load_dword v40, v0, s[0:3], 0 offen offset:4
	buffer_load_dword v41, off, s[0:3], 0 offset:116
	buffer_load_dword v42, off, s[0:3], 0 offset:112
	s_waitcnt vmcnt(3)
	buffer_store_dword v39, off, s[0:3], 0 offset:112
	s_waitcnt vmcnt(2)
	buffer_store_dword v40, off, s[0:3], 0 offset:116
	s_waitcnt vmcnt(1)
	buffer_store_dword v41, v0, s[0:3], 0 offen offset:4
	s_waitcnt vmcnt(0)
	buffer_store_dword v42, v0, s[0:3], 0 offen
.LBB82_136:
	v_mov_b32_e32 v0, 0
	global_load_dword v39, v0, s[12:13] offset:52
	s_waitcnt vmcnt(0)
	v_add_nc_u32_e32 v39, -1, v39
	v_cmp_eq_u32_e32 vcc_lo, 13, v39
	s_cbranch_vccnz .LBB82_138
; %bb.137:
	v_lshlrev_b32_e32 v39, 3, v39
	s_clause 0x3
	buffer_load_dword v40, v39, s[0:3], 0 offen
	buffer_load_dword v41, v39, s[0:3], 0 offen offset:4
	buffer_load_dword v42, off, s[0:3], 0 offset:104
	buffer_load_dword v43, off, s[0:3], 0 offset:108
	s_waitcnt vmcnt(3)
	buffer_store_dword v40, off, s[0:3], 0 offset:104
	s_waitcnt vmcnt(2)
	buffer_store_dword v41, off, s[0:3], 0 offset:108
	s_waitcnt vmcnt(1)
	buffer_store_dword v42, v39, s[0:3], 0 offen
	s_waitcnt vmcnt(0)
	buffer_store_dword v43, v39, s[0:3], 0 offen offset:4
.LBB82_138:
	;; [unrolled: 43-line block ×8, first 2 shown]
	global_load_dword v0, v0, s[12:13]
	s_waitcnt vmcnt(0)
	v_add_nc_u32_e32 v0, -1, v0
	v_cmp_eq_u32_e32 vcc_lo, 0, v0
	s_cbranch_vccnz .LBB82_164
; %bb.163:
	v_lshlrev_b32_e32 v0, 3, v0
	s_clause 0x3
	buffer_load_dword v39, v0, s[0:3], 0 offen
	buffer_load_dword v40, v0, s[0:3], 0 offen offset:4
	buffer_load_dword v41, off, s[0:3], 0 offset:4
	buffer_load_dword v42, off, s[0:3], 0
	s_waitcnt vmcnt(3)
	buffer_store_dword v39, off, s[0:3], 0
	s_waitcnt vmcnt(2)
	buffer_store_dword v40, off, s[0:3], 0 offset:4
	s_waitcnt vmcnt(1)
	buffer_store_dword v41, v0, s[0:3], 0 offen offset:4
	s_waitcnt vmcnt(0)
	buffer_store_dword v42, v0, s[0:3], 0 offen
.LBB82_164:
	s_clause 0x1
	buffer_load_dword v39, off, s[0:3], 0
	buffer_load_dword v40, off, s[0:3], 0 offset:4
	s_waitcnt vmcnt(0)
	flat_store_dwordx2 v[1:2], v[39:40]
	s_clause 0x1
	buffer_load_dword v0, off, s[0:3], 0 offset:8
	buffer_load_dword v1, off, s[0:3], 0 offset:12
	s_waitcnt vmcnt(0)
	flat_store_dwordx2 v[3:4], v[0:1]
	s_clause 0x1
	buffer_load_dword v0, off, s[0:3], 0 offset:16
	;; [unrolled: 5-line block ×18, first 2 shown]
	buffer_load_dword v1, off, s[0:3], 0 offset:148
	s_waitcnt vmcnt(0)
	flat_store_dwordx2 v[37:38], v[0:1]
	s_endpgm
	.section	.rodata,"a",@progbits
	.p2align	6, 0x0
	.amdhsa_kernel _ZN9rocsolver6v33100L18getri_kernel_smallILi19E19rocblas_complex_numIfEPKPS3_EEvT1_iilPiilS8_bb
		.amdhsa_group_segment_fixed_size 312
		.amdhsa_private_segment_fixed_size 160
		.amdhsa_kernarg_size 60
		.amdhsa_user_sgpr_count 6
		.amdhsa_user_sgpr_private_segment_buffer 1
		.amdhsa_user_sgpr_dispatch_ptr 0
		.amdhsa_user_sgpr_queue_ptr 0
		.amdhsa_user_sgpr_kernarg_segment_ptr 1
		.amdhsa_user_sgpr_dispatch_id 0
		.amdhsa_user_sgpr_flat_scratch_init 0
		.amdhsa_user_sgpr_private_segment_size 0
		.amdhsa_wavefront_size32 1
		.amdhsa_uses_dynamic_stack 0
		.amdhsa_system_sgpr_private_segment_wavefront_offset 1
		.amdhsa_system_sgpr_workgroup_id_x 1
		.amdhsa_system_sgpr_workgroup_id_y 0
		.amdhsa_system_sgpr_workgroup_id_z 0
		.amdhsa_system_sgpr_workgroup_info 0
		.amdhsa_system_vgpr_workitem_id 0
		.amdhsa_next_free_vgpr 130
		.amdhsa_next_free_sgpr 20
		.amdhsa_reserve_vcc 1
		.amdhsa_reserve_flat_scratch 0
		.amdhsa_float_round_mode_32 0
		.amdhsa_float_round_mode_16_64 0
		.amdhsa_float_denorm_mode_32 3
		.amdhsa_float_denorm_mode_16_64 3
		.amdhsa_dx10_clamp 1
		.amdhsa_ieee_mode 1
		.amdhsa_fp16_overflow 0
		.amdhsa_workgroup_processor_mode 1
		.amdhsa_memory_ordered 1
		.amdhsa_forward_progress 1
		.amdhsa_shared_vgpr_count 0
		.amdhsa_exception_fp_ieee_invalid_op 0
		.amdhsa_exception_fp_denorm_src 0
		.amdhsa_exception_fp_ieee_div_zero 0
		.amdhsa_exception_fp_ieee_overflow 0
		.amdhsa_exception_fp_ieee_underflow 0
		.amdhsa_exception_fp_ieee_inexact 0
		.amdhsa_exception_int_div_zero 0
	.end_amdhsa_kernel
	.section	.text._ZN9rocsolver6v33100L18getri_kernel_smallILi19E19rocblas_complex_numIfEPKPS3_EEvT1_iilPiilS8_bb,"axG",@progbits,_ZN9rocsolver6v33100L18getri_kernel_smallILi19E19rocblas_complex_numIfEPKPS3_EEvT1_iilPiilS8_bb,comdat
.Lfunc_end82:
	.size	_ZN9rocsolver6v33100L18getri_kernel_smallILi19E19rocblas_complex_numIfEPKPS3_EEvT1_iilPiilS8_bb, .Lfunc_end82-_ZN9rocsolver6v33100L18getri_kernel_smallILi19E19rocblas_complex_numIfEPKPS3_EEvT1_iilPiilS8_bb
                                        ; -- End function
	.set _ZN9rocsolver6v33100L18getri_kernel_smallILi19E19rocblas_complex_numIfEPKPS3_EEvT1_iilPiilS8_bb.num_vgpr, 130
	.set _ZN9rocsolver6v33100L18getri_kernel_smallILi19E19rocblas_complex_numIfEPKPS3_EEvT1_iilPiilS8_bb.num_agpr, 0
	.set _ZN9rocsolver6v33100L18getri_kernel_smallILi19E19rocblas_complex_numIfEPKPS3_EEvT1_iilPiilS8_bb.numbered_sgpr, 20
	.set _ZN9rocsolver6v33100L18getri_kernel_smallILi19E19rocblas_complex_numIfEPKPS3_EEvT1_iilPiilS8_bb.num_named_barrier, 0
	.set _ZN9rocsolver6v33100L18getri_kernel_smallILi19E19rocblas_complex_numIfEPKPS3_EEvT1_iilPiilS8_bb.private_seg_size, 160
	.set _ZN9rocsolver6v33100L18getri_kernel_smallILi19E19rocblas_complex_numIfEPKPS3_EEvT1_iilPiilS8_bb.uses_vcc, 1
	.set _ZN9rocsolver6v33100L18getri_kernel_smallILi19E19rocblas_complex_numIfEPKPS3_EEvT1_iilPiilS8_bb.uses_flat_scratch, 0
	.set _ZN9rocsolver6v33100L18getri_kernel_smallILi19E19rocblas_complex_numIfEPKPS3_EEvT1_iilPiilS8_bb.has_dyn_sized_stack, 0
	.set _ZN9rocsolver6v33100L18getri_kernel_smallILi19E19rocblas_complex_numIfEPKPS3_EEvT1_iilPiilS8_bb.has_recursion, 0
	.set _ZN9rocsolver6v33100L18getri_kernel_smallILi19E19rocblas_complex_numIfEPKPS3_EEvT1_iilPiilS8_bb.has_indirect_call, 0
	.section	.AMDGPU.csdata,"",@progbits
; Kernel info:
; codeLenInByte = 21504
; TotalNumSgprs: 22
; NumVgprs: 130
; ScratchSize: 160
; MemoryBound: 0
; FloatMode: 240
; IeeeMode: 1
; LDSByteSize: 312 bytes/workgroup (compile time only)
; SGPRBlocks: 0
; VGPRBlocks: 16
; NumSGPRsForWavesPerEU: 22
; NumVGPRsForWavesPerEU: 130
; Occupancy: 7
; WaveLimiterHint : 1
; COMPUTE_PGM_RSRC2:SCRATCH_EN: 1
; COMPUTE_PGM_RSRC2:USER_SGPR: 6
; COMPUTE_PGM_RSRC2:TRAP_HANDLER: 0
; COMPUTE_PGM_RSRC2:TGID_X_EN: 1
; COMPUTE_PGM_RSRC2:TGID_Y_EN: 0
; COMPUTE_PGM_RSRC2:TGID_Z_EN: 0
; COMPUTE_PGM_RSRC2:TIDIG_COMP_CNT: 0
	.section	.text._ZN9rocsolver6v33100L18getri_kernel_smallILi20E19rocblas_complex_numIfEPKPS3_EEvT1_iilPiilS8_bb,"axG",@progbits,_ZN9rocsolver6v33100L18getri_kernel_smallILi20E19rocblas_complex_numIfEPKPS3_EEvT1_iilPiilS8_bb,comdat
	.globl	_ZN9rocsolver6v33100L18getri_kernel_smallILi20E19rocblas_complex_numIfEPKPS3_EEvT1_iilPiilS8_bb ; -- Begin function _ZN9rocsolver6v33100L18getri_kernel_smallILi20E19rocblas_complex_numIfEPKPS3_EEvT1_iilPiilS8_bb
	.p2align	8
	.type	_ZN9rocsolver6v33100L18getri_kernel_smallILi20E19rocblas_complex_numIfEPKPS3_EEvT1_iilPiilS8_bb,@function
_ZN9rocsolver6v33100L18getri_kernel_smallILi20E19rocblas_complex_numIfEPKPS3_EEvT1_iilPiilS8_bb: ; @_ZN9rocsolver6v33100L18getri_kernel_smallILi20E19rocblas_complex_numIfEPKPS3_EEvT1_iilPiilS8_bb
; %bb.0:
	s_add_u32 s0, s0, s7
	s_addc_u32 s1, s1, 0
	s_mov_b32 s7, exec_lo
	v_cmpx_gt_u32_e32 20, v0
	s_cbranch_execz .LBB83_94
; %bb.1:
	s_clause 0x2
	s_load_dword s17, s[4:5], 0x38
	s_load_dwordx2 s[12:13], s[4:5], 0x0
	s_load_dwordx4 s[8:11], s[4:5], 0x28
	s_waitcnt lgkmcnt(0)
	s_bitcmp1_b32 s17, 8
	s_cselect_b32 s16, -1, 0
	s_ashr_i32 s7, s6, 31
	s_lshl_b64 s[14:15], s[6:7], 3
	s_add_u32 s12, s12, s14
	s_addc_u32 s13, s13, s15
	s_load_dwordx2 s[14:15], s[12:13], 0x0
	s_bfe_u32 s12, s17, 0x10008
	s_cmp_eq_u32 s12, 0
                                        ; implicit-def: $sgpr12_sgpr13
	s_cbranch_scc1 .LBB83_3
; %bb.2:
	s_clause 0x1
	s_load_dword s12, s[4:5], 0x20
	s_load_dwordx2 s[18:19], s[4:5], 0x18
	s_mul_i32 s13, s8, s7
	s_mul_hi_u32 s17, s8, s6
	s_mul_i32 s9, s9, s6
	s_add_i32 s13, s17, s13
	s_mul_i32 s8, s8, s6
	s_add_i32 s9, s13, s9
	s_lshl_b64 s[8:9], s[8:9], 2
	s_waitcnt lgkmcnt(0)
	s_ashr_i32 s13, s12, 31
	s_add_u32 s17, s18, s8
	s_addc_u32 s18, s19, s9
	s_lshl_b64 s[8:9], s[12:13], 2
	s_add_u32 s12, s17, s8
	s_addc_u32 s13, s18, s9
.LBB83_3:
	s_clause 0x1
	s_load_dwordx2 s[8:9], s[4:5], 0x8
	s_load_dword s4, s[4:5], 0x38
	v_lshlrev_b32_e32 v43, 3, v0
	s_waitcnt lgkmcnt(0)
	s_ashr_i32 s19, s8, 31
	s_mov_b32 s18, s8
	v_add3_u32 v9, s9, s9, v0
	s_lshl_b64 s[18:19], s[18:19], 3
	s_add_u32 s5, s14, s18
	s_addc_u32 s8, s15, s19
	v_add_co_u32 v1, s14, s5, v43
	v_add_co_ci_u32_e64 v2, null, s8, 0, s14
	s_mov_b32 s14, s9
	s_ashr_i32 s15, s9, 31
	v_ashrrev_i32_e32 v10, 31, v9
	flat_load_dwordx2 v[5:6], v[1:2]
	s_lshl_b64 s[14:15], s[14:15], 3
	v_add_nc_u32_e32 v12, s9, v9
	v_add_co_u32 v3, vcc_lo, v1, s14
	v_add_co_ci_u32_e64 v4, null, s15, v2, vcc_lo
	v_ashrrev_i32_e32 v13, 31, v12
	s_bitcmp0_b32 s4, 0
	s_waitcnt vmcnt(0) lgkmcnt(0)
	buffer_store_dword v6, off, s[0:3], 0 offset:4
	buffer_store_dword v5, off, s[0:3], 0
	flat_load_dwordx2 v[7:8], v[3:4]
	v_lshlrev_b64 v[5:6], 3, v[9:10]
	s_waitcnt vmcnt(0) lgkmcnt(0)
	buffer_store_dword v8, off, s[0:3], 0 offset:12
	buffer_store_dword v7, off, s[0:3], 0 offset:8
	v_add_co_u32 v5, vcc_lo, s5, v5
	v_add_co_ci_u32_e64 v6, null, s8, v6, vcc_lo
	v_lshlrev_b64 v[7:8], 3, v[12:13]
	flat_load_dwordx2 v[10:11], v[5:6]
	s_waitcnt vmcnt(0) lgkmcnt(0)
	buffer_store_dword v11, off, s[0:3], 0 offset:20
	buffer_store_dword v10, off, s[0:3], 0 offset:16
	v_add_co_u32 v7, vcc_lo, s5, v7
	v_add_co_ci_u32_e64 v8, null, s8, v8, vcc_lo
	v_add_nc_u32_e32 v11, s9, v12
	flat_load_dwordx2 v[13:14], v[7:8]
	s_waitcnt vmcnt(0) lgkmcnt(0)
	buffer_store_dword v14, off, s[0:3], 0 offset:28
	buffer_store_dword v13, off, s[0:3], 0 offset:24
	v_ashrrev_i32_e32 v12, 31, v11
	v_add_nc_u32_e32 v15, s9, v11
	v_lshlrev_b64 v[9:10], 3, v[11:12]
	v_ashrrev_i32_e32 v16, 31, v15
	v_add_nc_u32_e32 v18, s9, v15
	v_add_co_u32 v9, vcc_lo, s5, v9
	v_add_co_ci_u32_e64 v10, null, s8, v10, vcc_lo
	v_lshlrev_b64 v[11:12], 3, v[15:16]
	v_ashrrev_i32_e32 v19, 31, v18
	flat_load_dwordx2 v[13:14], v[9:10]
	s_waitcnt vmcnt(0) lgkmcnt(0)
	buffer_store_dword v14, off, s[0:3], 0 offset:36
	buffer_store_dword v13, off, s[0:3], 0 offset:32
	v_add_co_u32 v11, vcc_lo, s5, v11
	v_add_co_ci_u32_e64 v12, null, s8, v12, vcc_lo
	v_lshlrev_b64 v[13:14], 3, v[18:19]
	flat_load_dwordx2 v[16:17], v[11:12]
	s_waitcnt vmcnt(0) lgkmcnt(0)
	buffer_store_dword v17, off, s[0:3], 0 offset:44
	buffer_store_dword v16, off, s[0:3], 0 offset:40
	v_add_co_u32 v13, vcc_lo, s5, v13
	v_add_co_ci_u32_e64 v14, null, s8, v14, vcc_lo
	v_add_nc_u32_e32 v17, s9, v18
	flat_load_dwordx2 v[19:20], v[13:14]
	s_waitcnt vmcnt(0) lgkmcnt(0)
	buffer_store_dword v20, off, s[0:3], 0 offset:52
	buffer_store_dword v19, off, s[0:3], 0 offset:48
	v_ashrrev_i32_e32 v18, 31, v17
	v_add_nc_u32_e32 v21, s9, v17
	v_lshlrev_b64 v[15:16], 3, v[17:18]
	v_ashrrev_i32_e32 v22, 31, v21
	v_add_nc_u32_e32 v24, s9, v21
	v_add_co_u32 v15, vcc_lo, s5, v15
	v_add_co_ci_u32_e64 v16, null, s8, v16, vcc_lo
	v_lshlrev_b64 v[17:18], 3, v[21:22]
	v_ashrrev_i32_e32 v25, 31, v24
	flat_load_dwordx2 v[19:20], v[15:16]
	;; [unrolled: 27-line block ×4, first 2 shown]
	s_waitcnt vmcnt(0) lgkmcnt(0)
	buffer_store_dword v32, off, s[0:3], 0 offset:108
	buffer_store_dword v31, off, s[0:3], 0 offset:104
	v_add_co_u32 v29, vcc_lo, s5, v29
	v_add_co_ci_u32_e64 v30, null, s8, v30, vcc_lo
	v_lshlrev_b64 v[31:32], 3, v[36:37]
	flat_load_dwordx2 v[34:35], v[29:30]
	s_waitcnt vmcnt(0) lgkmcnt(0)
	buffer_store_dword v35, off, s[0:3], 0 offset:116
	buffer_store_dword v34, off, s[0:3], 0 offset:112
	v_add_co_u32 v31, vcc_lo, s5, v31
	v_add_co_ci_u32_e64 v32, null, s8, v32, vcc_lo
	v_add_nc_u32_e32 v35, s9, v36
	flat_load_dwordx2 v[37:38], v[31:32]
	s_waitcnt vmcnt(0) lgkmcnt(0)
	buffer_store_dword v38, off, s[0:3], 0 offset:124
	buffer_store_dword v37, off, s[0:3], 0 offset:120
	v_ashrrev_i32_e32 v36, 31, v35
	v_add_nc_u32_e32 v39, s9, v35
	v_lshlrev_b64 v[33:34], 3, v[35:36]
	v_ashrrev_i32_e32 v40, 31, v39
	v_add_nc_u32_e32 v44, s9, v39
	v_add_co_u32 v33, vcc_lo, s5, v33
	v_add_co_ci_u32_e64 v34, null, s8, v34, vcc_lo
	v_lshlrev_b64 v[35:36], 3, v[39:40]
	v_ashrrev_i32_e32 v45, 31, v44
	v_add_nc_u32_e32 v39, s9, v44
	flat_load_dwordx2 v[37:38], v[33:34]
	s_waitcnt vmcnt(0) lgkmcnt(0)
	buffer_store_dword v38, off, s[0:3], 0 offset:132
	buffer_store_dword v37, off, s[0:3], 0 offset:128
	v_add_co_u32 v35, vcc_lo, s5, v35
	v_add_co_ci_u32_e64 v36, null, s8, v36, vcc_lo
	v_lshlrev_b64 v[37:38], 3, v[44:45]
	flat_load_dwordx2 v[40:41], v[35:36]
	s_waitcnt vmcnt(0) lgkmcnt(0)
	buffer_store_dword v41, off, s[0:3], 0 offset:140
	buffer_store_dword v40, off, s[0:3], 0 offset:136
	v_add_co_u32 v37, vcc_lo, s5, v37
	v_add_co_ci_u32_e64 v38, null, s8, v38, vcc_lo
	v_ashrrev_i32_e32 v40, 31, v39
	flat_load_dwordx2 v[41:42], v[37:38]
	s_waitcnt vmcnt(0) lgkmcnt(0)
	buffer_store_dword v42, off, s[0:3], 0 offset:148
	buffer_store_dword v41, off, s[0:3], 0 offset:144
	v_lshlrev_b64 v[39:40], 3, v[39:40]
	v_add_co_u32 v39, vcc_lo, s5, v39
	v_add_co_ci_u32_e64 v40, null, s8, v40, vcc_lo
	s_mov_b32 s5, -1
	flat_load_dwordx2 v[41:42], v[39:40]
	s_waitcnt vmcnt(0) lgkmcnt(0)
	buffer_store_dword v42, off, s[0:3], 0 offset:156
	buffer_store_dword v41, off, s[0:3], 0 offset:152
	s_cbranch_scc1 .LBB83_92
; %bb.4:
	v_cmp_eq_u32_e64 s4, 0, v0
	s_and_saveexec_b32 s5, s4
; %bb.5:
	v_mov_b32_e32 v41, 0
	ds_write_b32 v41, v41 offset:320
; %bb.6:
	s_or_b32 exec_lo, exec_lo, s5
	v_lshl_add_u32 v45, v0, 3, 0
	s_waitcnt lgkmcnt(0)
	s_waitcnt_vscnt null, 0x0
	s_barrier
	buffer_gl0_inv
	s_clause 0x1
	buffer_load_dword v41, v45, s[0:3], 0 offen
	buffer_load_dword v42, v45, s[0:3], 0 offen offset:4
	s_waitcnt vmcnt(1)
	v_cmp_eq_f32_e32 vcc_lo, 0, v41
	s_waitcnt vmcnt(0)
	v_cmp_eq_f32_e64 s5, 0, v42
	s_and_b32 s5, vcc_lo, s5
	s_and_saveexec_b32 s8, s5
	s_cbranch_execz .LBB83_10
; %bb.7:
	v_mov_b32_e32 v41, 0
	s_mov_b32 s9, 0
	ds_read_b32 v42, v41 offset:320
	s_waitcnt lgkmcnt(0)
	v_readfirstlane_b32 s5, v42
	v_add_nc_u32_e32 v42, 1, v0
	s_cmp_eq_u32 s5, 0
	v_cmp_gt_i32_e32 vcc_lo, s5, v42
	s_cselect_b32 s14, -1, 0
	s_or_b32 s14, s14, vcc_lo
	s_and_b32 exec_lo, exec_lo, s14
	s_cbranch_execz .LBB83_10
; %bb.8:
	v_mov_b32_e32 v44, s5
.LBB83_9:                               ; =>This Inner Loop Header: Depth=1
	ds_cmpst_rtn_b32 v44, v41, v44, v42 offset:320
	s_waitcnt lgkmcnt(0)
	v_cmp_ne_u32_e32 vcc_lo, 0, v44
	v_cmp_le_i32_e64 s5, v44, v42
	s_and_b32 s5, vcc_lo, s5
	s_and_b32 s5, exec_lo, s5
	s_or_b32 s9, s5, s9
	s_andn2_b32 exec_lo, exec_lo, s9
	s_cbranch_execnz .LBB83_9
.LBB83_10:
	s_or_b32 exec_lo, exec_lo, s8
	v_mov_b32_e32 v41, 0
	s_barrier
	buffer_gl0_inv
	ds_read_b32 v42, v41 offset:320
	s_and_saveexec_b32 s5, s4
	s_cbranch_execz .LBB83_12
; %bb.11:
	s_lshl_b64 s[8:9], s[6:7], 2
	s_add_u32 s8, s10, s8
	s_addc_u32 s9, s11, s9
	s_waitcnt lgkmcnt(0)
	global_store_dword v41, v42, s[8:9]
.LBB83_12:
	s_or_b32 exec_lo, exec_lo, s5
	s_waitcnt lgkmcnt(0)
	v_cmp_ne_u32_e32 vcc_lo, 0, v42
	s_mov_b32 s5, 0
	s_cbranch_vccnz .LBB83_92
; %bb.13:
	s_clause 0x1
	buffer_load_dword v42, v45, s[0:3], 0 offen
	buffer_load_dword v44, v45, s[0:3], 0 offen offset:4
                                        ; implicit-def: $vgpr47
                                        ; implicit-def: $vgpr46
                                        ; implicit-def: $vgpr41
	s_waitcnt vmcnt(0)
	v_cmp_ngt_f32_e64 s5, |v42|, |v44|
	s_and_saveexec_b32 s8, s5
	s_xor_b32 s5, exec_lo, s8
	s_cbranch_execz .LBB83_15
; %bb.14:
	v_div_scale_f32 v41, null, v44, v44, v42
	v_div_scale_f32 v48, vcc_lo, v42, v44, v42
	v_rcp_f32_e32 v46, v41
	v_fma_f32 v47, -v41, v46, 1.0
	v_fmac_f32_e32 v46, v47, v46
	v_mul_f32_e32 v47, v48, v46
	v_fma_f32 v49, -v41, v47, v48
	v_fmac_f32_e32 v47, v49, v46
	v_fma_f32 v41, -v41, v47, v48
	v_div_fmas_f32 v41, v41, v46, v47
	v_div_fixup_f32 v41, v41, v44, v42
	v_fmac_f32_e32 v44, v42, v41
	v_div_scale_f32 v42, null, v44, v44, 1.0
	v_rcp_f32_e32 v46, v42
	v_fma_f32 v47, -v42, v46, 1.0
	v_fmac_f32_e32 v46, v47, v46
	v_div_scale_f32 v47, vcc_lo, 1.0, v44, 1.0
	v_mul_f32_e32 v48, v47, v46
	v_fma_f32 v49, -v42, v48, v47
	v_fmac_f32_e32 v48, v49, v46
	v_fma_f32 v42, -v42, v48, v47
	v_div_fmas_f32 v42, v42, v46, v48
	v_div_fixup_f32 v42, v42, v44, 1.0
                                        ; implicit-def: $vgpr44
	v_mul_f32_e32 v47, v41, v42
	v_xor_b32_e32 v46, 0x80000000, v42
                                        ; implicit-def: $vgpr42
	v_xor_b32_e32 v41, 0x80000000, v47
.LBB83_15:
	s_andn2_saveexec_b32 s5, s5
	s_cbranch_execz .LBB83_17
; %bb.16:
	v_div_scale_f32 v41, null, v42, v42, v44
	v_div_scale_f32 v48, vcc_lo, v44, v42, v44
	v_rcp_f32_e32 v46, v41
	v_fma_f32 v47, -v41, v46, 1.0
	v_fmac_f32_e32 v46, v47, v46
	v_mul_f32_e32 v47, v48, v46
	v_fma_f32 v49, -v41, v47, v48
	v_fmac_f32_e32 v47, v49, v46
	v_fma_f32 v41, -v41, v47, v48
	v_div_fmas_f32 v41, v41, v46, v47
	v_div_fixup_f32 v46, v41, v42, v44
	v_fmac_f32_e32 v42, v44, v46
	v_div_scale_f32 v41, null, v42, v42, 1.0
	v_div_scale_f32 v48, vcc_lo, 1.0, v42, 1.0
	v_rcp_f32_e32 v44, v41
	v_fma_f32 v47, -v41, v44, 1.0
	v_fmac_f32_e32 v44, v47, v44
	v_mul_f32_e32 v47, v48, v44
	v_fma_f32 v49, -v41, v47, v48
	v_fmac_f32_e32 v47, v49, v44
	v_fma_f32 v41, -v41, v47, v48
	v_div_fmas_f32 v41, v41, v44, v47
	v_div_fixup_f32 v47, v41, v42, 1.0
	v_xor_b32_e32 v41, 0x80000000, v47
	v_mul_f32_e64 v46, v46, -v47
.LBB83_17:
	s_or_b32 exec_lo, exec_lo, s5
	buffer_store_dword v47, v45, s[0:3], 0 offen
	buffer_store_dword v46, v45, s[0:3], 0 offen offset:4
	s_clause 0x1
	buffer_load_dword v48, off, s[0:3], 0 offset:12
	buffer_load_dword v47, off, s[0:3], 0 offset:8
	v_xor_b32_e32 v42, 0x80000000, v46
	v_add_nc_u32_e32 v44, 0xa0, v43
	s_waitcnt vmcnt(0)
	ds_write2_b64 v43, v[41:42], v[47:48] offset1:20
	s_waitcnt lgkmcnt(0)
	s_waitcnt_vscnt null, 0x0
	s_barrier
	buffer_gl0_inv
	s_and_saveexec_b32 s5, s4
	s_cbranch_execz .LBB83_19
; %bb.18:
	s_clause 0x1
	buffer_load_dword v48, v45, s[0:3], 0 offen offset:4
	buffer_load_dword v49, v45, s[0:3], 0 offen
	ds_read_b64 v[41:42], v44
	v_mov_b32_e32 v46, 0
	ds_read_b64 v[46:47], v46 offset:8
	s_waitcnt vmcnt(1) lgkmcnt(1)
	v_mul_f32_e32 v50, v41, v48
	v_mul_f32_e32 v48, v42, v48
	s_waitcnt vmcnt(0)
	v_fmac_f32_e32 v50, v42, v49
	v_fma_f32 v41, v41, v49, -v48
	v_add_f32_e32 v42, 0, v50
	v_add_f32_e32 v41, 0, v41
	s_waitcnt lgkmcnt(0)
	v_mul_f32_e32 v48, v42, v47
	v_mul_f32_e32 v47, v41, v47
	v_fma_f32 v41, v41, v46, -v48
	v_fmac_f32_e32 v47, v42, v46
	buffer_store_dword v41, off, s[0:3], 0 offset:8
	buffer_store_dword v47, off, s[0:3], 0 offset:12
.LBB83_19:
	s_or_b32 exec_lo, exec_lo, s5
	s_waitcnt_vscnt null, 0x0
	s_barrier
	buffer_gl0_inv
	s_clause 0x1
	buffer_load_dword v41, off, s[0:3], 0 offset:16
	buffer_load_dword v42, off, s[0:3], 0 offset:20
	s_mov_b32 s5, exec_lo
	s_waitcnt vmcnt(0)
	ds_write_b64 v44, v[41:42]
	s_waitcnt lgkmcnt(0)
	s_barrier
	buffer_gl0_inv
	v_cmpx_gt_u32_e32 2, v0
	s_cbranch_execz .LBB83_23
; %bb.20:
	s_clause 0x1
	buffer_load_dword v46, v45, s[0:3], 0 offen offset:4
	buffer_load_dword v45, v45, s[0:3], 0 offen
	ds_read_b64 v[41:42], v44
	s_waitcnt vmcnt(1) lgkmcnt(0)
	v_mul_f32_e32 v47, v42, v46
	v_mul_f32_e32 v46, v41, v46
	s_waitcnt vmcnt(0)
	v_fma_f32 v41, v41, v45, -v47
	v_fmac_f32_e32 v46, v42, v45
	v_add_f32_e32 v42, 0, v41
	v_add_f32_e32 v41, 0, v46
	s_and_saveexec_b32 s8, s4
	s_cbranch_execz .LBB83_22
; %bb.21:
	s_clause 0x1
	buffer_load_dword v47, off, s[0:3], 0 offset:12
	buffer_load_dword v48, off, s[0:3], 0 offset:8
	v_mov_b32_e32 v45, 0
	ds_read_b64 v[45:46], v45 offset:168
	s_waitcnt vmcnt(1) lgkmcnt(0)
	v_mul_f32_e32 v49, v45, v47
	v_mul_f32_e32 v47, v46, v47
	s_waitcnt vmcnt(0)
	v_fmac_f32_e32 v49, v46, v48
	v_fma_f32 v45, v45, v48, -v47
	v_add_f32_e32 v41, v41, v49
	v_add_f32_e32 v42, v42, v45
.LBB83_22:
	s_or_b32 exec_lo, exec_lo, s8
	v_mov_b32_e32 v45, 0
	ds_read_b64 v[45:46], v45 offset:16
	s_waitcnt lgkmcnt(0)
	v_mul_f32_e32 v47, v41, v46
	v_mul_f32_e32 v46, v42, v46
	v_fma_f32 v42, v42, v45, -v47
	v_fmac_f32_e32 v46, v41, v45
	buffer_store_dword v42, off, s[0:3], 0 offset:16
	buffer_store_dword v46, off, s[0:3], 0 offset:20
.LBB83_23:
	s_or_b32 exec_lo, exec_lo, s5
	s_waitcnt_vscnt null, 0x0
	s_barrier
	buffer_gl0_inv
	s_clause 0x1
	buffer_load_dword v45, off, s[0:3], 0 offset:24
	buffer_load_dword v46, off, s[0:3], 0 offset:28
	v_add_nc_u32_e32 v41, -1, v0
	s_mov_b32 s4, exec_lo
	s_waitcnt vmcnt(0)
	ds_write_b64 v44, v[45:46]
	s_waitcnt lgkmcnt(0)
	s_barrier
	buffer_gl0_inv
	v_cmpx_gt_u32_e32 3, v0
	s_cbranch_execz .LBB83_27
; %bb.24:
	v_add_nc_u32_e32 v45, -1, v0
	v_add_nc_u32_e32 v46, 0xa0, v43
	v_mov_b32_e32 v47, v43
	v_mov_b32_e32 v42, 0
	;; [unrolled: 1-line block ×3, first 2 shown]
	s_mov_b32 s5, 0
	.p2align	6
.LBB83_25:                              ; =>This Inner Loop Header: Depth=1
	s_clause 0x1
	buffer_load_dword v51, v47, s[0:3], 0 offen offset:4
	buffer_load_dword v52, v47, s[0:3], 0 offen
	ds_read_b64 v[49:50], v46
	v_add_nc_u32_e32 v45, 1, v45
	v_add_nc_u32_e32 v46, 8, v46
	;; [unrolled: 1-line block ×3, first 2 shown]
	v_cmp_lt_u32_e32 vcc_lo, 1, v45
	s_or_b32 s5, vcc_lo, s5
	s_waitcnt vmcnt(1) lgkmcnt(0)
	v_mul_f32_e32 v53, v50, v51
	v_mul_f32_e32 v51, v49, v51
	s_waitcnt vmcnt(0)
	v_fma_f32 v49, v49, v52, -v53
	v_fmac_f32_e32 v51, v50, v52
	v_add_f32_e32 v48, v48, v49
	v_add_f32_e32 v42, v42, v51
	s_andn2_b32 exec_lo, exec_lo, s5
	s_cbranch_execnz .LBB83_25
; %bb.26:
	s_or_b32 exec_lo, exec_lo, s5
	v_mov_b32_e32 v45, 0
	ds_read_b64 v[45:46], v45 offset:24
	s_waitcnt lgkmcnt(0)
	v_mul_f32_e32 v47, v42, v46
	v_mul_f32_e32 v46, v48, v46
	v_fma_f32 v47, v48, v45, -v47
	v_fmac_f32_e32 v46, v42, v45
	buffer_store_dword v47, off, s[0:3], 0 offset:24
	buffer_store_dword v46, off, s[0:3], 0 offset:28
.LBB83_27:
	s_or_b32 exec_lo, exec_lo, s4
	s_waitcnt_vscnt null, 0x0
	s_barrier
	buffer_gl0_inv
	s_clause 0x1
	buffer_load_dword v45, off, s[0:3], 0 offset:32
	buffer_load_dword v46, off, s[0:3], 0 offset:36
	s_mov_b32 s4, exec_lo
	s_waitcnt vmcnt(0)
	ds_write_b64 v44, v[45:46]
	s_waitcnt lgkmcnt(0)
	s_barrier
	buffer_gl0_inv
	v_cmpx_gt_u32_e32 4, v0
	s_cbranch_execz .LBB83_31
; %bb.28:
	v_add_nc_u32_e32 v45, -1, v0
	v_add_nc_u32_e32 v46, 0xa0, v43
	v_mov_b32_e32 v47, v43
	v_mov_b32_e32 v42, 0
	;; [unrolled: 1-line block ×3, first 2 shown]
	s_mov_b32 s5, 0
	.p2align	6
.LBB83_29:                              ; =>This Inner Loop Header: Depth=1
	s_clause 0x1
	buffer_load_dword v51, v47, s[0:3], 0 offen offset:4
	buffer_load_dword v52, v47, s[0:3], 0 offen
	ds_read_b64 v[49:50], v46
	v_add_nc_u32_e32 v45, 1, v45
	v_add_nc_u32_e32 v46, 8, v46
	;; [unrolled: 1-line block ×3, first 2 shown]
	v_cmp_lt_u32_e32 vcc_lo, 2, v45
	s_or_b32 s5, vcc_lo, s5
	s_waitcnt vmcnt(1) lgkmcnt(0)
	v_mul_f32_e32 v53, v50, v51
	v_mul_f32_e32 v51, v49, v51
	s_waitcnt vmcnt(0)
	v_fma_f32 v49, v49, v52, -v53
	v_fmac_f32_e32 v51, v50, v52
	v_add_f32_e32 v48, v48, v49
	v_add_f32_e32 v42, v42, v51
	s_andn2_b32 exec_lo, exec_lo, s5
	s_cbranch_execnz .LBB83_29
; %bb.30:
	s_or_b32 exec_lo, exec_lo, s5
	v_mov_b32_e32 v45, 0
	ds_read_b64 v[45:46], v45 offset:32
	s_waitcnt lgkmcnt(0)
	v_mul_f32_e32 v47, v42, v46
	v_mul_f32_e32 v46, v48, v46
	v_fma_f32 v47, v48, v45, -v47
	v_fmac_f32_e32 v46, v42, v45
	buffer_store_dword v47, off, s[0:3], 0 offset:32
	buffer_store_dword v46, off, s[0:3], 0 offset:36
.LBB83_31:
	s_or_b32 exec_lo, exec_lo, s4
	s_waitcnt_vscnt null, 0x0
	s_barrier
	buffer_gl0_inv
	s_clause 0x1
	buffer_load_dword v45, off, s[0:3], 0 offset:40
	buffer_load_dword v46, off, s[0:3], 0 offset:44
	s_mov_b32 s4, exec_lo
	s_waitcnt vmcnt(0)
	ds_write_b64 v44, v[45:46]
	s_waitcnt lgkmcnt(0)
	s_barrier
	buffer_gl0_inv
	v_cmpx_gt_u32_e32 5, v0
	s_cbranch_execz .LBB83_35
; %bb.32:
	v_add_nc_u32_e32 v45, -1, v0
	v_add_nc_u32_e32 v46, 0xa0, v43
	v_mov_b32_e32 v47, v43
	v_mov_b32_e32 v42, 0
	v_mov_b32_e32 v48, 0
	s_mov_b32 s5, 0
	.p2align	6
.LBB83_33:                              ; =>This Inner Loop Header: Depth=1
	s_clause 0x1
	buffer_load_dword v51, v47, s[0:3], 0 offen offset:4
	buffer_load_dword v52, v47, s[0:3], 0 offen
	ds_read_b64 v[49:50], v46
	v_add_nc_u32_e32 v45, 1, v45
	v_add_nc_u32_e32 v46, 8, v46
	;; [unrolled: 1-line block ×3, first 2 shown]
	v_cmp_lt_u32_e32 vcc_lo, 3, v45
	s_or_b32 s5, vcc_lo, s5
	s_waitcnt vmcnt(1) lgkmcnt(0)
	v_mul_f32_e32 v53, v50, v51
	v_mul_f32_e32 v51, v49, v51
	s_waitcnt vmcnt(0)
	v_fma_f32 v49, v49, v52, -v53
	v_fmac_f32_e32 v51, v50, v52
	v_add_f32_e32 v48, v48, v49
	v_add_f32_e32 v42, v42, v51
	s_andn2_b32 exec_lo, exec_lo, s5
	s_cbranch_execnz .LBB83_33
; %bb.34:
	s_or_b32 exec_lo, exec_lo, s5
	v_mov_b32_e32 v45, 0
	ds_read_b64 v[45:46], v45 offset:40
	s_waitcnt lgkmcnt(0)
	v_mul_f32_e32 v47, v42, v46
	v_mul_f32_e32 v46, v48, v46
	v_fma_f32 v47, v48, v45, -v47
	v_fmac_f32_e32 v46, v42, v45
	buffer_store_dword v47, off, s[0:3], 0 offset:40
	buffer_store_dword v46, off, s[0:3], 0 offset:44
.LBB83_35:
	s_or_b32 exec_lo, exec_lo, s4
	s_waitcnt_vscnt null, 0x0
	s_barrier
	buffer_gl0_inv
	s_clause 0x1
	buffer_load_dword v45, off, s[0:3], 0 offset:48
	buffer_load_dword v46, off, s[0:3], 0 offset:52
	s_mov_b32 s4, exec_lo
	s_waitcnt vmcnt(0)
	ds_write_b64 v44, v[45:46]
	s_waitcnt lgkmcnt(0)
	s_barrier
	buffer_gl0_inv
	v_cmpx_gt_u32_e32 6, v0
	s_cbranch_execz .LBB83_39
; %bb.36:
	v_add_nc_u32_e32 v45, -1, v0
	v_add_nc_u32_e32 v46, 0xa0, v43
	v_mov_b32_e32 v47, v43
	v_mov_b32_e32 v42, 0
	;; [unrolled: 1-line block ×3, first 2 shown]
	s_mov_b32 s5, 0
	.p2align	6
.LBB83_37:                              ; =>This Inner Loop Header: Depth=1
	s_clause 0x1
	buffer_load_dword v51, v47, s[0:3], 0 offen offset:4
	buffer_load_dword v52, v47, s[0:3], 0 offen
	ds_read_b64 v[49:50], v46
	v_add_nc_u32_e32 v45, 1, v45
	v_add_nc_u32_e32 v46, 8, v46
	;; [unrolled: 1-line block ×3, first 2 shown]
	v_cmp_lt_u32_e32 vcc_lo, 4, v45
	s_or_b32 s5, vcc_lo, s5
	s_waitcnt vmcnt(1) lgkmcnt(0)
	v_mul_f32_e32 v53, v50, v51
	v_mul_f32_e32 v51, v49, v51
	s_waitcnt vmcnt(0)
	v_fma_f32 v49, v49, v52, -v53
	v_fmac_f32_e32 v51, v50, v52
	v_add_f32_e32 v48, v48, v49
	v_add_f32_e32 v42, v42, v51
	s_andn2_b32 exec_lo, exec_lo, s5
	s_cbranch_execnz .LBB83_37
; %bb.38:
	s_or_b32 exec_lo, exec_lo, s5
	v_mov_b32_e32 v45, 0
	ds_read_b64 v[45:46], v45 offset:48
	s_waitcnt lgkmcnt(0)
	v_mul_f32_e32 v47, v42, v46
	v_mul_f32_e32 v46, v48, v46
	v_fma_f32 v47, v48, v45, -v47
	v_fmac_f32_e32 v46, v42, v45
	buffer_store_dword v47, off, s[0:3], 0 offset:48
	buffer_store_dword v46, off, s[0:3], 0 offset:52
.LBB83_39:
	s_or_b32 exec_lo, exec_lo, s4
	s_waitcnt_vscnt null, 0x0
	s_barrier
	buffer_gl0_inv
	s_clause 0x1
	buffer_load_dword v45, off, s[0:3], 0 offset:56
	buffer_load_dword v46, off, s[0:3], 0 offset:60
	s_mov_b32 s4, exec_lo
	s_waitcnt vmcnt(0)
	ds_write_b64 v44, v[45:46]
	s_waitcnt lgkmcnt(0)
	s_barrier
	buffer_gl0_inv
	v_cmpx_gt_u32_e32 7, v0
	s_cbranch_execz .LBB83_43
; %bb.40:
	v_add_nc_u32_e32 v45, -1, v0
	v_add_nc_u32_e32 v46, 0xa0, v43
	v_mov_b32_e32 v47, v43
	v_mov_b32_e32 v42, 0
	;; [unrolled: 1-line block ×3, first 2 shown]
	s_mov_b32 s5, 0
	.p2align	6
.LBB83_41:                              ; =>This Inner Loop Header: Depth=1
	s_clause 0x1
	buffer_load_dword v51, v47, s[0:3], 0 offen offset:4
	buffer_load_dword v52, v47, s[0:3], 0 offen
	ds_read_b64 v[49:50], v46
	v_add_nc_u32_e32 v45, 1, v45
	v_add_nc_u32_e32 v46, 8, v46
	;; [unrolled: 1-line block ×3, first 2 shown]
	v_cmp_lt_u32_e32 vcc_lo, 5, v45
	s_or_b32 s5, vcc_lo, s5
	s_waitcnt vmcnt(1) lgkmcnt(0)
	v_mul_f32_e32 v53, v50, v51
	v_mul_f32_e32 v51, v49, v51
	s_waitcnt vmcnt(0)
	v_fma_f32 v49, v49, v52, -v53
	v_fmac_f32_e32 v51, v50, v52
	v_add_f32_e32 v48, v48, v49
	v_add_f32_e32 v42, v42, v51
	s_andn2_b32 exec_lo, exec_lo, s5
	s_cbranch_execnz .LBB83_41
; %bb.42:
	s_or_b32 exec_lo, exec_lo, s5
	v_mov_b32_e32 v45, 0
	ds_read_b64 v[45:46], v45 offset:56
	s_waitcnt lgkmcnt(0)
	v_mul_f32_e32 v47, v42, v46
	v_mul_f32_e32 v46, v48, v46
	v_fma_f32 v47, v48, v45, -v47
	v_fmac_f32_e32 v46, v42, v45
	buffer_store_dword v47, off, s[0:3], 0 offset:56
	buffer_store_dword v46, off, s[0:3], 0 offset:60
.LBB83_43:
	s_or_b32 exec_lo, exec_lo, s4
	s_waitcnt_vscnt null, 0x0
	s_barrier
	buffer_gl0_inv
	s_clause 0x1
	buffer_load_dword v45, off, s[0:3], 0 offset:64
	buffer_load_dword v46, off, s[0:3], 0 offset:68
	s_mov_b32 s4, exec_lo
	s_waitcnt vmcnt(0)
	ds_write_b64 v44, v[45:46]
	s_waitcnt lgkmcnt(0)
	s_barrier
	buffer_gl0_inv
	v_cmpx_gt_u32_e32 8, v0
	s_cbranch_execz .LBB83_47
; %bb.44:
	v_add_nc_u32_e32 v45, -1, v0
	v_add_nc_u32_e32 v46, 0xa0, v43
	v_mov_b32_e32 v47, v43
	v_mov_b32_e32 v42, 0
	;; [unrolled: 1-line block ×3, first 2 shown]
	s_mov_b32 s5, 0
	.p2align	6
.LBB83_45:                              ; =>This Inner Loop Header: Depth=1
	s_clause 0x1
	buffer_load_dword v51, v47, s[0:3], 0 offen offset:4
	buffer_load_dword v52, v47, s[0:3], 0 offen
	ds_read_b64 v[49:50], v46
	v_add_nc_u32_e32 v45, 1, v45
	v_add_nc_u32_e32 v46, 8, v46
	;; [unrolled: 1-line block ×3, first 2 shown]
	v_cmp_lt_u32_e32 vcc_lo, 6, v45
	s_or_b32 s5, vcc_lo, s5
	s_waitcnt vmcnt(1) lgkmcnt(0)
	v_mul_f32_e32 v53, v50, v51
	v_mul_f32_e32 v51, v49, v51
	s_waitcnt vmcnt(0)
	v_fma_f32 v49, v49, v52, -v53
	v_fmac_f32_e32 v51, v50, v52
	v_add_f32_e32 v48, v48, v49
	v_add_f32_e32 v42, v42, v51
	s_andn2_b32 exec_lo, exec_lo, s5
	s_cbranch_execnz .LBB83_45
; %bb.46:
	s_or_b32 exec_lo, exec_lo, s5
	v_mov_b32_e32 v45, 0
	ds_read_b64 v[45:46], v45 offset:64
	s_waitcnt lgkmcnt(0)
	v_mul_f32_e32 v47, v42, v46
	v_mul_f32_e32 v46, v48, v46
	v_fma_f32 v47, v48, v45, -v47
	v_fmac_f32_e32 v46, v42, v45
	buffer_store_dword v47, off, s[0:3], 0 offset:64
	buffer_store_dword v46, off, s[0:3], 0 offset:68
.LBB83_47:
	s_or_b32 exec_lo, exec_lo, s4
	s_waitcnt_vscnt null, 0x0
	s_barrier
	buffer_gl0_inv
	s_clause 0x1
	buffer_load_dword v45, off, s[0:3], 0 offset:72
	buffer_load_dword v46, off, s[0:3], 0 offset:76
	s_mov_b32 s4, exec_lo
	s_waitcnt vmcnt(0)
	ds_write_b64 v44, v[45:46]
	s_waitcnt lgkmcnt(0)
	s_barrier
	buffer_gl0_inv
	v_cmpx_gt_u32_e32 9, v0
	s_cbranch_execz .LBB83_51
; %bb.48:
	v_add_nc_u32_e32 v45, -1, v0
	v_add_nc_u32_e32 v46, 0xa0, v43
	v_mov_b32_e32 v47, v43
	v_mov_b32_e32 v42, 0
	;; [unrolled: 1-line block ×3, first 2 shown]
	s_mov_b32 s5, 0
	.p2align	6
.LBB83_49:                              ; =>This Inner Loop Header: Depth=1
	s_clause 0x1
	buffer_load_dword v51, v47, s[0:3], 0 offen offset:4
	buffer_load_dword v52, v47, s[0:3], 0 offen
	ds_read_b64 v[49:50], v46
	v_add_nc_u32_e32 v45, 1, v45
	v_add_nc_u32_e32 v46, 8, v46
	;; [unrolled: 1-line block ×3, first 2 shown]
	v_cmp_lt_u32_e32 vcc_lo, 7, v45
	s_or_b32 s5, vcc_lo, s5
	s_waitcnt vmcnt(1) lgkmcnt(0)
	v_mul_f32_e32 v53, v50, v51
	v_mul_f32_e32 v51, v49, v51
	s_waitcnt vmcnt(0)
	v_fma_f32 v49, v49, v52, -v53
	v_fmac_f32_e32 v51, v50, v52
	v_add_f32_e32 v48, v48, v49
	v_add_f32_e32 v42, v42, v51
	s_andn2_b32 exec_lo, exec_lo, s5
	s_cbranch_execnz .LBB83_49
; %bb.50:
	s_or_b32 exec_lo, exec_lo, s5
	v_mov_b32_e32 v45, 0
	ds_read_b64 v[45:46], v45 offset:72
	s_waitcnt lgkmcnt(0)
	v_mul_f32_e32 v47, v42, v46
	v_mul_f32_e32 v46, v48, v46
	v_fma_f32 v47, v48, v45, -v47
	v_fmac_f32_e32 v46, v42, v45
	buffer_store_dword v47, off, s[0:3], 0 offset:72
	buffer_store_dword v46, off, s[0:3], 0 offset:76
.LBB83_51:
	s_or_b32 exec_lo, exec_lo, s4
	s_waitcnt_vscnt null, 0x0
	s_barrier
	buffer_gl0_inv
	s_clause 0x1
	buffer_load_dword v45, off, s[0:3], 0 offset:80
	buffer_load_dword v46, off, s[0:3], 0 offset:84
	s_mov_b32 s4, exec_lo
	s_waitcnt vmcnt(0)
	ds_write_b64 v44, v[45:46]
	s_waitcnt lgkmcnt(0)
	s_barrier
	buffer_gl0_inv
	v_cmpx_gt_u32_e32 10, v0
	s_cbranch_execz .LBB83_55
; %bb.52:
	v_add_nc_u32_e32 v45, -1, v0
	v_add_nc_u32_e32 v46, 0xa0, v43
	v_mov_b32_e32 v47, v43
	v_mov_b32_e32 v42, 0
	;; [unrolled: 1-line block ×3, first 2 shown]
	s_mov_b32 s5, 0
	.p2align	6
.LBB83_53:                              ; =>This Inner Loop Header: Depth=1
	s_clause 0x1
	buffer_load_dword v51, v47, s[0:3], 0 offen offset:4
	buffer_load_dword v52, v47, s[0:3], 0 offen
	ds_read_b64 v[49:50], v46
	v_add_nc_u32_e32 v45, 1, v45
	v_add_nc_u32_e32 v46, 8, v46
	;; [unrolled: 1-line block ×3, first 2 shown]
	v_cmp_lt_u32_e32 vcc_lo, 8, v45
	s_or_b32 s5, vcc_lo, s5
	s_waitcnt vmcnt(1) lgkmcnt(0)
	v_mul_f32_e32 v53, v50, v51
	v_mul_f32_e32 v51, v49, v51
	s_waitcnt vmcnt(0)
	v_fma_f32 v49, v49, v52, -v53
	v_fmac_f32_e32 v51, v50, v52
	v_add_f32_e32 v48, v48, v49
	v_add_f32_e32 v42, v42, v51
	s_andn2_b32 exec_lo, exec_lo, s5
	s_cbranch_execnz .LBB83_53
; %bb.54:
	s_or_b32 exec_lo, exec_lo, s5
	v_mov_b32_e32 v45, 0
	ds_read_b64 v[45:46], v45 offset:80
	s_waitcnt lgkmcnt(0)
	v_mul_f32_e32 v47, v42, v46
	v_mul_f32_e32 v46, v48, v46
	v_fma_f32 v47, v48, v45, -v47
	v_fmac_f32_e32 v46, v42, v45
	buffer_store_dword v47, off, s[0:3], 0 offset:80
	buffer_store_dword v46, off, s[0:3], 0 offset:84
.LBB83_55:
	s_or_b32 exec_lo, exec_lo, s4
	s_waitcnt_vscnt null, 0x0
	s_barrier
	buffer_gl0_inv
	s_clause 0x1
	buffer_load_dword v45, off, s[0:3], 0 offset:88
	buffer_load_dword v46, off, s[0:3], 0 offset:92
	s_mov_b32 s4, exec_lo
	s_waitcnt vmcnt(0)
	ds_write_b64 v44, v[45:46]
	s_waitcnt lgkmcnt(0)
	s_barrier
	buffer_gl0_inv
	v_cmpx_gt_u32_e32 11, v0
	s_cbranch_execz .LBB83_59
; %bb.56:
	v_add_nc_u32_e32 v45, -1, v0
	v_add_nc_u32_e32 v46, 0xa0, v43
	v_mov_b32_e32 v47, v43
	v_mov_b32_e32 v42, 0
	;; [unrolled: 1-line block ×3, first 2 shown]
	s_mov_b32 s5, 0
	.p2align	6
.LBB83_57:                              ; =>This Inner Loop Header: Depth=1
	s_clause 0x1
	buffer_load_dword v51, v47, s[0:3], 0 offen offset:4
	buffer_load_dword v52, v47, s[0:3], 0 offen
	ds_read_b64 v[49:50], v46
	v_add_nc_u32_e32 v45, 1, v45
	v_add_nc_u32_e32 v46, 8, v46
	;; [unrolled: 1-line block ×3, first 2 shown]
	v_cmp_lt_u32_e32 vcc_lo, 9, v45
	s_or_b32 s5, vcc_lo, s5
	s_waitcnt vmcnt(1) lgkmcnt(0)
	v_mul_f32_e32 v53, v50, v51
	v_mul_f32_e32 v51, v49, v51
	s_waitcnt vmcnt(0)
	v_fma_f32 v49, v49, v52, -v53
	v_fmac_f32_e32 v51, v50, v52
	v_add_f32_e32 v48, v48, v49
	v_add_f32_e32 v42, v42, v51
	s_andn2_b32 exec_lo, exec_lo, s5
	s_cbranch_execnz .LBB83_57
; %bb.58:
	s_or_b32 exec_lo, exec_lo, s5
	v_mov_b32_e32 v45, 0
	ds_read_b64 v[45:46], v45 offset:88
	s_waitcnt lgkmcnt(0)
	v_mul_f32_e32 v47, v42, v46
	v_mul_f32_e32 v46, v48, v46
	v_fma_f32 v47, v48, v45, -v47
	v_fmac_f32_e32 v46, v42, v45
	buffer_store_dword v47, off, s[0:3], 0 offset:88
	buffer_store_dword v46, off, s[0:3], 0 offset:92
.LBB83_59:
	s_or_b32 exec_lo, exec_lo, s4
	s_waitcnt_vscnt null, 0x0
	s_barrier
	buffer_gl0_inv
	s_clause 0x1
	buffer_load_dword v45, off, s[0:3], 0 offset:96
	buffer_load_dword v46, off, s[0:3], 0 offset:100
	s_mov_b32 s4, exec_lo
	s_waitcnt vmcnt(0)
	ds_write_b64 v44, v[45:46]
	s_waitcnt lgkmcnt(0)
	s_barrier
	buffer_gl0_inv
	v_cmpx_gt_u32_e32 12, v0
	s_cbranch_execz .LBB83_63
; %bb.60:
	v_add_nc_u32_e32 v45, -1, v0
	v_add_nc_u32_e32 v46, 0xa0, v43
	v_mov_b32_e32 v47, v43
	v_mov_b32_e32 v42, 0
	;; [unrolled: 1-line block ×3, first 2 shown]
	s_mov_b32 s5, 0
	.p2align	6
.LBB83_61:                              ; =>This Inner Loop Header: Depth=1
	s_clause 0x1
	buffer_load_dword v51, v47, s[0:3], 0 offen offset:4
	buffer_load_dword v52, v47, s[0:3], 0 offen
	ds_read_b64 v[49:50], v46
	v_add_nc_u32_e32 v45, 1, v45
	v_add_nc_u32_e32 v46, 8, v46
	;; [unrolled: 1-line block ×3, first 2 shown]
	v_cmp_lt_u32_e32 vcc_lo, 10, v45
	s_or_b32 s5, vcc_lo, s5
	s_waitcnt vmcnt(1) lgkmcnt(0)
	v_mul_f32_e32 v53, v50, v51
	v_mul_f32_e32 v51, v49, v51
	s_waitcnt vmcnt(0)
	v_fma_f32 v49, v49, v52, -v53
	v_fmac_f32_e32 v51, v50, v52
	v_add_f32_e32 v48, v48, v49
	v_add_f32_e32 v42, v42, v51
	s_andn2_b32 exec_lo, exec_lo, s5
	s_cbranch_execnz .LBB83_61
; %bb.62:
	s_or_b32 exec_lo, exec_lo, s5
	v_mov_b32_e32 v45, 0
	ds_read_b64 v[45:46], v45 offset:96
	s_waitcnt lgkmcnt(0)
	v_mul_f32_e32 v47, v42, v46
	v_mul_f32_e32 v46, v48, v46
	v_fma_f32 v47, v48, v45, -v47
	v_fmac_f32_e32 v46, v42, v45
	buffer_store_dword v47, off, s[0:3], 0 offset:96
	buffer_store_dword v46, off, s[0:3], 0 offset:100
.LBB83_63:
	s_or_b32 exec_lo, exec_lo, s4
	s_waitcnt_vscnt null, 0x0
	s_barrier
	buffer_gl0_inv
	s_clause 0x1
	buffer_load_dword v45, off, s[0:3], 0 offset:104
	buffer_load_dword v46, off, s[0:3], 0 offset:108
	s_mov_b32 s4, exec_lo
	s_waitcnt vmcnt(0)
	ds_write_b64 v44, v[45:46]
	s_waitcnt lgkmcnt(0)
	s_barrier
	buffer_gl0_inv
	v_cmpx_gt_u32_e32 13, v0
	s_cbranch_execz .LBB83_67
; %bb.64:
	v_add_nc_u32_e32 v45, -1, v0
	v_add_nc_u32_e32 v46, 0xa0, v43
	v_mov_b32_e32 v47, v43
	v_mov_b32_e32 v42, 0
	;; [unrolled: 1-line block ×3, first 2 shown]
	s_mov_b32 s5, 0
	.p2align	6
.LBB83_65:                              ; =>This Inner Loop Header: Depth=1
	s_clause 0x1
	buffer_load_dword v51, v47, s[0:3], 0 offen offset:4
	buffer_load_dword v52, v47, s[0:3], 0 offen
	ds_read_b64 v[49:50], v46
	v_add_nc_u32_e32 v45, 1, v45
	v_add_nc_u32_e32 v46, 8, v46
	;; [unrolled: 1-line block ×3, first 2 shown]
	v_cmp_lt_u32_e32 vcc_lo, 11, v45
	s_or_b32 s5, vcc_lo, s5
	s_waitcnt vmcnt(1) lgkmcnt(0)
	v_mul_f32_e32 v53, v50, v51
	v_mul_f32_e32 v51, v49, v51
	s_waitcnt vmcnt(0)
	v_fma_f32 v49, v49, v52, -v53
	v_fmac_f32_e32 v51, v50, v52
	v_add_f32_e32 v48, v48, v49
	v_add_f32_e32 v42, v42, v51
	s_andn2_b32 exec_lo, exec_lo, s5
	s_cbranch_execnz .LBB83_65
; %bb.66:
	s_or_b32 exec_lo, exec_lo, s5
	v_mov_b32_e32 v45, 0
	ds_read_b64 v[45:46], v45 offset:104
	s_waitcnt lgkmcnt(0)
	v_mul_f32_e32 v47, v42, v46
	v_mul_f32_e32 v46, v48, v46
	v_fma_f32 v47, v48, v45, -v47
	v_fmac_f32_e32 v46, v42, v45
	buffer_store_dword v47, off, s[0:3], 0 offset:104
	buffer_store_dword v46, off, s[0:3], 0 offset:108
.LBB83_67:
	s_or_b32 exec_lo, exec_lo, s4
	s_waitcnt_vscnt null, 0x0
	s_barrier
	buffer_gl0_inv
	s_clause 0x1
	buffer_load_dword v45, off, s[0:3], 0 offset:112
	buffer_load_dword v46, off, s[0:3], 0 offset:116
	s_mov_b32 s4, exec_lo
	s_waitcnt vmcnt(0)
	ds_write_b64 v44, v[45:46]
	s_waitcnt lgkmcnt(0)
	s_barrier
	buffer_gl0_inv
	v_cmpx_gt_u32_e32 14, v0
	s_cbranch_execz .LBB83_71
; %bb.68:
	v_add_nc_u32_e32 v45, -1, v0
	v_add_nc_u32_e32 v46, 0xa0, v43
	v_mov_b32_e32 v47, v43
	v_mov_b32_e32 v42, 0
	;; [unrolled: 1-line block ×3, first 2 shown]
	s_mov_b32 s5, 0
	.p2align	6
.LBB83_69:                              ; =>This Inner Loop Header: Depth=1
	s_clause 0x1
	buffer_load_dword v51, v47, s[0:3], 0 offen offset:4
	buffer_load_dword v52, v47, s[0:3], 0 offen
	ds_read_b64 v[49:50], v46
	v_add_nc_u32_e32 v45, 1, v45
	v_add_nc_u32_e32 v46, 8, v46
	;; [unrolled: 1-line block ×3, first 2 shown]
	v_cmp_lt_u32_e32 vcc_lo, 12, v45
	s_or_b32 s5, vcc_lo, s5
	s_waitcnt vmcnt(1) lgkmcnt(0)
	v_mul_f32_e32 v53, v50, v51
	v_mul_f32_e32 v51, v49, v51
	s_waitcnt vmcnt(0)
	v_fma_f32 v49, v49, v52, -v53
	v_fmac_f32_e32 v51, v50, v52
	v_add_f32_e32 v48, v48, v49
	v_add_f32_e32 v42, v42, v51
	s_andn2_b32 exec_lo, exec_lo, s5
	s_cbranch_execnz .LBB83_69
; %bb.70:
	s_or_b32 exec_lo, exec_lo, s5
	v_mov_b32_e32 v45, 0
	ds_read_b64 v[45:46], v45 offset:112
	s_waitcnt lgkmcnt(0)
	v_mul_f32_e32 v47, v42, v46
	v_mul_f32_e32 v46, v48, v46
	v_fma_f32 v47, v48, v45, -v47
	v_fmac_f32_e32 v46, v42, v45
	buffer_store_dword v47, off, s[0:3], 0 offset:112
	buffer_store_dword v46, off, s[0:3], 0 offset:116
.LBB83_71:
	s_or_b32 exec_lo, exec_lo, s4
	s_waitcnt_vscnt null, 0x0
	s_barrier
	buffer_gl0_inv
	s_clause 0x1
	buffer_load_dword v45, off, s[0:3], 0 offset:120
	buffer_load_dword v46, off, s[0:3], 0 offset:124
	s_mov_b32 s4, exec_lo
	s_waitcnt vmcnt(0)
	ds_write_b64 v44, v[45:46]
	s_waitcnt lgkmcnt(0)
	s_barrier
	buffer_gl0_inv
	v_cmpx_gt_u32_e32 15, v0
	s_cbranch_execz .LBB83_75
; %bb.72:
	v_add_nc_u32_e32 v45, -1, v0
	v_add_nc_u32_e32 v46, 0xa0, v43
	v_mov_b32_e32 v47, v43
	v_mov_b32_e32 v42, 0
	;; [unrolled: 1-line block ×3, first 2 shown]
	s_mov_b32 s5, 0
	.p2align	6
.LBB83_73:                              ; =>This Inner Loop Header: Depth=1
	s_clause 0x1
	buffer_load_dword v51, v47, s[0:3], 0 offen offset:4
	buffer_load_dword v52, v47, s[0:3], 0 offen
	ds_read_b64 v[49:50], v46
	v_add_nc_u32_e32 v45, 1, v45
	v_add_nc_u32_e32 v46, 8, v46
	;; [unrolled: 1-line block ×3, first 2 shown]
	v_cmp_lt_u32_e32 vcc_lo, 13, v45
	s_or_b32 s5, vcc_lo, s5
	s_waitcnt vmcnt(1) lgkmcnt(0)
	v_mul_f32_e32 v53, v50, v51
	v_mul_f32_e32 v51, v49, v51
	s_waitcnt vmcnt(0)
	v_fma_f32 v49, v49, v52, -v53
	v_fmac_f32_e32 v51, v50, v52
	v_add_f32_e32 v48, v48, v49
	v_add_f32_e32 v42, v42, v51
	s_andn2_b32 exec_lo, exec_lo, s5
	s_cbranch_execnz .LBB83_73
; %bb.74:
	s_or_b32 exec_lo, exec_lo, s5
	v_mov_b32_e32 v45, 0
	ds_read_b64 v[45:46], v45 offset:120
	s_waitcnt lgkmcnt(0)
	v_mul_f32_e32 v47, v42, v46
	v_mul_f32_e32 v46, v48, v46
	v_fma_f32 v47, v48, v45, -v47
	v_fmac_f32_e32 v46, v42, v45
	buffer_store_dword v47, off, s[0:3], 0 offset:120
	buffer_store_dword v46, off, s[0:3], 0 offset:124
.LBB83_75:
	s_or_b32 exec_lo, exec_lo, s4
	s_waitcnt_vscnt null, 0x0
	s_barrier
	buffer_gl0_inv
	s_clause 0x1
	buffer_load_dword v45, off, s[0:3], 0 offset:128
	buffer_load_dword v46, off, s[0:3], 0 offset:132
	s_mov_b32 s4, exec_lo
	s_waitcnt vmcnt(0)
	ds_write_b64 v44, v[45:46]
	s_waitcnt lgkmcnt(0)
	s_barrier
	buffer_gl0_inv
	v_cmpx_gt_u32_e32 16, v0
	s_cbranch_execz .LBB83_79
; %bb.76:
	v_add_nc_u32_e32 v45, -1, v0
	v_add_nc_u32_e32 v46, 0xa0, v43
	v_mov_b32_e32 v47, v43
	v_mov_b32_e32 v42, 0
	;; [unrolled: 1-line block ×3, first 2 shown]
	s_mov_b32 s5, 0
	.p2align	6
.LBB83_77:                              ; =>This Inner Loop Header: Depth=1
	s_clause 0x1
	buffer_load_dword v51, v47, s[0:3], 0 offen offset:4
	buffer_load_dword v52, v47, s[0:3], 0 offen
	ds_read_b64 v[49:50], v46
	v_add_nc_u32_e32 v45, 1, v45
	v_add_nc_u32_e32 v46, 8, v46
	v_add_nc_u32_e32 v47, 8, v47
	v_cmp_lt_u32_e32 vcc_lo, 14, v45
	s_or_b32 s5, vcc_lo, s5
	s_waitcnt vmcnt(1) lgkmcnt(0)
	v_mul_f32_e32 v53, v50, v51
	v_mul_f32_e32 v51, v49, v51
	s_waitcnt vmcnt(0)
	v_fma_f32 v49, v49, v52, -v53
	v_fmac_f32_e32 v51, v50, v52
	v_add_f32_e32 v48, v48, v49
	v_add_f32_e32 v42, v42, v51
	s_andn2_b32 exec_lo, exec_lo, s5
	s_cbranch_execnz .LBB83_77
; %bb.78:
	s_or_b32 exec_lo, exec_lo, s5
	v_mov_b32_e32 v45, 0
	ds_read_b64 v[45:46], v45 offset:128
	s_waitcnt lgkmcnt(0)
	v_mul_f32_e32 v47, v42, v46
	v_mul_f32_e32 v46, v48, v46
	v_fma_f32 v47, v48, v45, -v47
	v_fmac_f32_e32 v46, v42, v45
	buffer_store_dword v47, off, s[0:3], 0 offset:128
	buffer_store_dword v46, off, s[0:3], 0 offset:132
.LBB83_79:
	s_or_b32 exec_lo, exec_lo, s4
	s_waitcnt_vscnt null, 0x0
	s_barrier
	buffer_gl0_inv
	s_clause 0x1
	buffer_load_dword v45, off, s[0:3], 0 offset:136
	buffer_load_dword v46, off, s[0:3], 0 offset:140
	s_mov_b32 s4, exec_lo
	s_waitcnt vmcnt(0)
	ds_write_b64 v44, v[45:46]
	s_waitcnt lgkmcnt(0)
	s_barrier
	buffer_gl0_inv
	v_cmpx_gt_u32_e32 17, v0
	s_cbranch_execz .LBB83_83
; %bb.80:
	v_add_nc_u32_e32 v45, -1, v0
	v_add_nc_u32_e32 v46, 0xa0, v43
	v_mov_b32_e32 v47, v43
	v_mov_b32_e32 v42, 0
	;; [unrolled: 1-line block ×3, first 2 shown]
	s_mov_b32 s5, 0
	.p2align	6
.LBB83_81:                              ; =>This Inner Loop Header: Depth=1
	s_clause 0x1
	buffer_load_dword v51, v47, s[0:3], 0 offen offset:4
	buffer_load_dword v52, v47, s[0:3], 0 offen
	ds_read_b64 v[49:50], v46
	v_add_nc_u32_e32 v45, 1, v45
	v_add_nc_u32_e32 v46, 8, v46
	;; [unrolled: 1-line block ×3, first 2 shown]
	v_cmp_lt_u32_e32 vcc_lo, 15, v45
	s_or_b32 s5, vcc_lo, s5
	s_waitcnt vmcnt(1) lgkmcnt(0)
	v_mul_f32_e32 v53, v50, v51
	v_mul_f32_e32 v51, v49, v51
	s_waitcnt vmcnt(0)
	v_fma_f32 v49, v49, v52, -v53
	v_fmac_f32_e32 v51, v50, v52
	v_add_f32_e32 v48, v48, v49
	v_add_f32_e32 v42, v42, v51
	s_andn2_b32 exec_lo, exec_lo, s5
	s_cbranch_execnz .LBB83_81
; %bb.82:
	s_or_b32 exec_lo, exec_lo, s5
	v_mov_b32_e32 v45, 0
	ds_read_b64 v[45:46], v45 offset:136
	s_waitcnt lgkmcnt(0)
	v_mul_f32_e32 v47, v42, v46
	v_mul_f32_e32 v46, v48, v46
	v_fma_f32 v47, v48, v45, -v47
	v_fmac_f32_e32 v46, v42, v45
	buffer_store_dword v47, off, s[0:3], 0 offset:136
	buffer_store_dword v46, off, s[0:3], 0 offset:140
.LBB83_83:
	s_or_b32 exec_lo, exec_lo, s4
	s_waitcnt_vscnt null, 0x0
	s_barrier
	buffer_gl0_inv
	s_clause 0x1
	buffer_load_dword v45, off, s[0:3], 0 offset:144
	buffer_load_dword v46, off, s[0:3], 0 offset:148
	s_mov_b32 s4, exec_lo
	s_waitcnt vmcnt(0)
	ds_write_b64 v44, v[45:46]
	s_waitcnt lgkmcnt(0)
	s_barrier
	buffer_gl0_inv
	v_cmpx_gt_u32_e32 18, v0
	s_cbranch_execz .LBB83_87
; %bb.84:
	v_add_nc_u32_e32 v45, -1, v0
	v_add_nc_u32_e32 v46, 0xa0, v43
	v_mov_b32_e32 v47, v43
	v_mov_b32_e32 v42, 0
	;; [unrolled: 1-line block ×3, first 2 shown]
	s_mov_b32 s5, 0
	.p2align	6
.LBB83_85:                              ; =>This Inner Loop Header: Depth=1
	s_clause 0x1
	buffer_load_dword v51, v47, s[0:3], 0 offen offset:4
	buffer_load_dword v52, v47, s[0:3], 0 offen
	ds_read_b64 v[49:50], v46
	v_add_nc_u32_e32 v45, 1, v45
	v_add_nc_u32_e32 v46, 8, v46
	;; [unrolled: 1-line block ×3, first 2 shown]
	v_cmp_lt_u32_e32 vcc_lo, 16, v45
	s_or_b32 s5, vcc_lo, s5
	s_waitcnt vmcnt(1) lgkmcnt(0)
	v_mul_f32_e32 v53, v50, v51
	v_mul_f32_e32 v51, v49, v51
	s_waitcnt vmcnt(0)
	v_fma_f32 v49, v49, v52, -v53
	v_fmac_f32_e32 v51, v50, v52
	v_add_f32_e32 v48, v48, v49
	v_add_f32_e32 v42, v42, v51
	s_andn2_b32 exec_lo, exec_lo, s5
	s_cbranch_execnz .LBB83_85
; %bb.86:
	s_or_b32 exec_lo, exec_lo, s5
	v_mov_b32_e32 v45, 0
	ds_read_b64 v[45:46], v45 offset:144
	s_waitcnt lgkmcnt(0)
	v_mul_f32_e32 v47, v42, v46
	v_mul_f32_e32 v46, v48, v46
	v_fma_f32 v47, v48, v45, -v47
	v_fmac_f32_e32 v46, v42, v45
	buffer_store_dword v47, off, s[0:3], 0 offset:144
	buffer_store_dword v46, off, s[0:3], 0 offset:148
.LBB83_87:
	s_or_b32 exec_lo, exec_lo, s4
	s_waitcnt_vscnt null, 0x0
	s_barrier
	buffer_gl0_inv
	s_clause 0x1
	buffer_load_dword v45, off, s[0:3], 0 offset:152
	buffer_load_dword v46, off, s[0:3], 0 offset:156
	s_mov_b32 s4, exec_lo
	s_waitcnt vmcnt(0)
	ds_write_b64 v44, v[45:46]
	s_waitcnt lgkmcnt(0)
	s_barrier
	buffer_gl0_inv
	v_cmpx_ne_u32_e32 19, v0
	s_cbranch_execz .LBB83_91
; %bb.88:
	v_mov_b32_e32 v42, 0
	v_mov_b32_e32 v45, 0
	s_mov_b32 s5, 0
	.p2align	6
.LBB83_89:                              ; =>This Inner Loop Header: Depth=1
	s_clause 0x1
	buffer_load_dword v48, v43, s[0:3], 0 offen offset:4
	buffer_load_dword v49, v43, s[0:3], 0 offen
	ds_read_b64 v[46:47], v44
	v_add_nc_u32_e32 v41, 1, v41
	v_add_nc_u32_e32 v44, 8, v44
	;; [unrolled: 1-line block ×3, first 2 shown]
	v_cmp_lt_u32_e32 vcc_lo, 17, v41
	s_or_b32 s5, vcc_lo, s5
	s_waitcnt vmcnt(1) lgkmcnt(0)
	v_mul_f32_e32 v50, v47, v48
	v_mul_f32_e32 v48, v46, v48
	s_waitcnt vmcnt(0)
	v_fma_f32 v46, v46, v49, -v50
	v_fmac_f32_e32 v48, v47, v49
	v_add_f32_e32 v45, v45, v46
	v_add_f32_e32 v42, v42, v48
	s_andn2_b32 exec_lo, exec_lo, s5
	s_cbranch_execnz .LBB83_89
; %bb.90:
	s_or_b32 exec_lo, exec_lo, s5
	v_mov_b32_e32 v41, 0
	ds_read_b64 v[43:44], v41 offset:152
	s_waitcnt lgkmcnt(0)
	v_mul_f32_e32 v41, v42, v44
	v_mul_f32_e32 v44, v45, v44
	v_fma_f32 v41, v45, v43, -v41
	v_fmac_f32_e32 v44, v42, v43
	buffer_store_dword v41, off, s[0:3], 0 offset:152
	buffer_store_dword v44, off, s[0:3], 0 offset:156
.LBB83_91:
	s_or_b32 exec_lo, exec_lo, s4
	s_mov_b32 s5, -1
	s_waitcnt_vscnt null, 0x0
	s_barrier
	buffer_gl0_inv
.LBB83_92:
	s_and_b32 vcc_lo, exec_lo, s5
	s_cbranch_vccz .LBB83_94
; %bb.93:
	s_lshl_b64 s[4:5], s[6:7], 2
	v_mov_b32_e32 v41, 0
	s_add_u32 s4, s10, s4
	s_addc_u32 s5, s11, s5
	global_load_dword v41, v41, s[4:5]
	s_waitcnt vmcnt(0)
	v_cmp_ne_u32_e32 vcc_lo, 0, v41
	s_cbranch_vccz .LBB83_95
.LBB83_94:
	s_endpgm
.LBB83_95:
	v_lshl_add_u32 v41, v0, 3, 0xa0
	s_mov_b32 s4, exec_lo
	v_cmpx_eq_u32_e32 19, v0
	s_cbranch_execz .LBB83_97
; %bb.96:
	s_clause 0x1
	buffer_load_dword v42, off, s[0:3], 0 offset:144
	buffer_load_dword v43, off, s[0:3], 0 offset:148
	v_mov_b32_e32 v44, 0
	buffer_store_dword v44, off, s[0:3], 0 offset:144
	buffer_store_dword v44, off, s[0:3], 0 offset:148
	s_waitcnt vmcnt(0)
	ds_write_b64 v41, v[42:43]
.LBB83_97:
	s_or_b32 exec_lo, exec_lo, s4
	s_waitcnt lgkmcnt(0)
	s_waitcnt_vscnt null, 0x0
	s_barrier
	buffer_gl0_inv
	s_clause 0x3
	buffer_load_dword v45, off, s[0:3], 0 offset:156
	buffer_load_dword v46, off, s[0:3], 0 offset:152
	;; [unrolled: 1-line block ×4, first 2 shown]
	v_mov_b32_e32 v42, 0
	s_mov_b32 s4, exec_lo
	ds_read_b64 v[43:44], v42 offset:312
	s_waitcnt vmcnt(3) lgkmcnt(0)
	v_mul_f32_e32 v49, v44, v45
	v_mul_f32_e32 v45, v43, v45
	s_waitcnt vmcnt(2)
	v_fma_f32 v43, v43, v46, -v49
	v_fmac_f32_e32 v45, v44, v46
	v_add_f32_e32 v43, 0, v43
	v_add_f32_e32 v44, 0, v45
	s_waitcnt vmcnt(1)
	v_sub_f32_e32 v43, v47, v43
	s_waitcnt vmcnt(0)
	v_sub_f32_e32 v44, v48, v44
	buffer_store_dword v43, off, s[0:3], 0 offset:144
	buffer_store_dword v44, off, s[0:3], 0 offset:148
	v_cmpx_lt_u32_e32 17, v0
	s_cbranch_execz .LBB83_99
; %bb.98:
	s_clause 0x1
	buffer_load_dword v43, off, s[0:3], 0 offset:136
	buffer_load_dword v44, off, s[0:3], 0 offset:140
	buffer_store_dword v42, off, s[0:3], 0 offset:136
	buffer_store_dword v42, off, s[0:3], 0 offset:140
	s_waitcnt vmcnt(0)
	ds_write_b64 v41, v[43:44]
.LBB83_99:
	s_or_b32 exec_lo, exec_lo, s4
	s_waitcnt lgkmcnt(0)
	s_waitcnt_vscnt null, 0x0
	s_barrier
	buffer_gl0_inv
	s_clause 0x5
	buffer_load_dword v46, off, s[0:3], 0 offset:148
	buffer_load_dword v47, off, s[0:3], 0 offset:156
	;; [unrolled: 1-line block ×6, first 2 shown]
	ds_read_b128 v[42:45], v42 offset:304
	s_mov_b32 s4, exec_lo
	s_waitcnt vmcnt(5) lgkmcnt(0)
	v_mul_f32_e32 v52, v43, v46
	v_mul_f32_e32 v46, v42, v46
	s_waitcnt vmcnt(4)
	v_mul_f32_e32 v53, v44, v47
	v_mul_f32_e32 v47, v45, v47
	s_waitcnt vmcnt(3)
	v_fma_f32 v42, v42, v48, -v52
	v_fmac_f32_e32 v46, v43, v48
	s_waitcnt vmcnt(2)
	v_fmac_f32_e32 v53, v45, v49
	v_fma_f32 v43, v44, v49, -v47
	v_add_f32_e32 v42, 0, v42
	v_add_f32_e32 v44, 0, v46
	;; [unrolled: 1-line block ×4, first 2 shown]
	s_waitcnt vmcnt(1)
	v_sub_f32_e32 v42, v50, v42
	s_waitcnt vmcnt(0)
	v_sub_f32_e32 v43, v51, v43
	buffer_store_dword v42, off, s[0:3], 0 offset:136
	buffer_store_dword v43, off, s[0:3], 0 offset:140
	v_cmpx_lt_u32_e32 16, v0
	s_cbranch_execz .LBB83_101
; %bb.100:
	s_clause 0x1
	buffer_load_dword v42, off, s[0:3], 0 offset:128
	buffer_load_dword v43, off, s[0:3], 0 offset:132
	v_mov_b32_e32 v44, 0
	buffer_store_dword v44, off, s[0:3], 0 offset:128
	buffer_store_dword v44, off, s[0:3], 0 offset:132
	s_waitcnt vmcnt(0)
	ds_write_b64 v41, v[42:43]
.LBB83_101:
	s_or_b32 exec_lo, exec_lo, s4
	s_waitcnt lgkmcnt(0)
	s_waitcnt_vscnt null, 0x0
	s_barrier
	buffer_gl0_inv
	s_clause 0x7
	buffer_load_dword v49, off, s[0:3], 0 offset:140
	buffer_load_dword v50, off, s[0:3], 0 offset:148
	;; [unrolled: 1-line block ×8, first 2 shown]
	v_mov_b32_e32 v42, 0
	ds_read2_b64 v[43:46], v42 offset0:37 offset1:38
	ds_read_b64 v[47:48], v42 offset:312
	s_mov_b32 s4, exec_lo
	s_waitcnt vmcnt(7) lgkmcnt(1)
	v_mul_f32_e32 v57, v44, v49
	v_mul_f32_e32 v49, v43, v49
	s_waitcnt vmcnt(6)
	v_mul_f32_e32 v58, v45, v50
	v_mul_f32_e32 v50, v46, v50
	s_waitcnt vmcnt(5) lgkmcnt(0)
	v_mul_f32_e32 v59, v47, v51
	s_waitcnt vmcnt(4)
	v_fma_f32 v43, v43, v52, -v57
	v_fmac_f32_e32 v49, v44, v52
	v_mul_f32_e32 v44, v48, v51
	s_waitcnt vmcnt(3)
	v_fma_f32 v45, v45, v53, -v50
	v_fmac_f32_e32 v58, v46, v53
	v_add_f32_e32 v43, 0, v43
	v_add_f32_e32 v46, 0, v49
	s_waitcnt vmcnt(2)
	v_fma_f32 v44, v47, v54, -v44
	v_fmac_f32_e32 v59, v48, v54
	v_add_f32_e32 v43, v43, v45
	v_add_f32_e32 v45, v46, v58
	v_add_f32_e32 v43, v43, v44
	v_add_f32_e32 v44, v45, v59
	s_waitcnt vmcnt(1)
	v_sub_f32_e32 v43, v55, v43
	s_waitcnt vmcnt(0)
	v_sub_f32_e32 v44, v56, v44
	buffer_store_dword v43, off, s[0:3], 0 offset:128
	buffer_store_dword v44, off, s[0:3], 0 offset:132
	v_cmpx_lt_u32_e32 15, v0
	s_cbranch_execz .LBB83_103
; %bb.102:
	s_clause 0x1
	buffer_load_dword v43, off, s[0:3], 0 offset:120
	buffer_load_dword v44, off, s[0:3], 0 offset:124
	buffer_store_dword v42, off, s[0:3], 0 offset:120
	buffer_store_dword v42, off, s[0:3], 0 offset:124
	s_waitcnt vmcnt(0)
	ds_write_b64 v41, v[43:44]
.LBB83_103:
	s_or_b32 exec_lo, exec_lo, s4
	s_waitcnt lgkmcnt(0)
	s_waitcnt_vscnt null, 0x0
	s_barrier
	buffer_gl0_inv
	s_clause 0x9
	buffer_load_dword v51, off, s[0:3], 0 offset:132
	buffer_load_dword v52, off, s[0:3], 0 offset:140
	;; [unrolled: 1-line block ×10, first 2 shown]
	ds_read_b128 v[43:46], v42 offset:288
	ds_read_b128 v[47:50], v42 offset:304
	s_mov_b32 s4, exec_lo
	s_waitcnt vmcnt(9) lgkmcnt(1)
	v_mul_f32_e32 v42, v43, v51
	v_mul_f32_e32 v51, v44, v51
	s_waitcnt vmcnt(8)
	v_mul_f32_e32 v61, v45, v52
	v_mul_f32_e32 v52, v46, v52
	s_waitcnt vmcnt(7) lgkmcnt(0)
	v_mul_f32_e32 v62, v47, v53
	s_waitcnt vmcnt(5)
	v_fmac_f32_e32 v42, v44, v55
	v_fma_f32 v43, v43, v55, -v51
	v_mul_f32_e32 v44, v48, v53
	s_waitcnt vmcnt(4)
	v_fma_f32 v45, v45, v56, -v52
	v_fmac_f32_e32 v61, v46, v56
	v_add_f32_e32 v42, 0, v42
	v_add_f32_e32 v43, 0, v43
	v_mul_f32_e32 v46, v50, v54
	s_waitcnt vmcnt(3)
	v_fma_f32 v44, v47, v57, -v44
	v_mul_f32_e32 v63, v49, v54
	v_fmac_f32_e32 v62, v48, v57
	v_add_f32_e32 v43, v43, v45
	v_add_f32_e32 v42, v42, v61
	s_waitcnt vmcnt(2)
	v_fma_f32 v45, v49, v58, -v46
	v_fmac_f32_e32 v63, v50, v58
	v_add_f32_e32 v43, v43, v44
	v_add_f32_e32 v42, v42, v62
	;; [unrolled: 1-line block ×4, first 2 shown]
	s_waitcnt vmcnt(1)
	v_sub_f32_e32 v43, v59, v43
	s_waitcnt vmcnt(0)
	v_sub_f32_e32 v42, v60, v42
	buffer_store_dword v43, off, s[0:3], 0 offset:120
	buffer_store_dword v42, off, s[0:3], 0 offset:124
	v_cmpx_lt_u32_e32 14, v0
	s_cbranch_execz .LBB83_105
; %bb.104:
	s_clause 0x1
	buffer_load_dword v42, off, s[0:3], 0 offset:112
	buffer_load_dword v43, off, s[0:3], 0 offset:116
	v_mov_b32_e32 v44, 0
	buffer_store_dword v44, off, s[0:3], 0 offset:112
	buffer_store_dword v44, off, s[0:3], 0 offset:116
	s_waitcnt vmcnt(0)
	ds_write_b64 v41, v[42:43]
.LBB83_105:
	s_or_b32 exec_lo, exec_lo, s4
	s_waitcnt lgkmcnt(0)
	s_waitcnt_vscnt null, 0x0
	s_barrier
	buffer_gl0_inv
	s_clause 0xb
	buffer_load_dword v53, off, s[0:3], 0 offset:124
	buffer_load_dword v54, off, s[0:3], 0 offset:132
	;; [unrolled: 1-line block ×12, first 2 shown]
	v_mov_b32_e32 v42, 0
	ds_read2_b64 v[43:46], v42 offset0:35 offset1:36
	ds_read2_b64 v[47:50], v42 offset0:37 offset1:38
	ds_read_b64 v[51:52], v42 offset:312
	s_mov_b32 s4, exec_lo
	s_waitcnt vmcnt(11) lgkmcnt(2)
	v_mul_f32_e32 v65, v43, v53
	v_mul_f32_e32 v53, v44, v53
	s_waitcnt vmcnt(10)
	v_mul_f32_e32 v66, v45, v54
	v_mul_f32_e32 v54, v46, v54
	s_waitcnt vmcnt(9) lgkmcnt(1)
	v_mul_f32_e32 v67, v47, v55
	s_waitcnt vmcnt(6)
	v_fmac_f32_e32 v65, v44, v58
	v_fma_f32 v43, v43, v58, -v53
	v_mul_f32_e32 v44, v48, v55
	s_waitcnt vmcnt(5)
	v_fma_f32 v45, v45, v59, -v54
	v_fmac_f32_e32 v66, v46, v59
	v_add_f32_e32 v46, 0, v65
	v_add_f32_e32 v43, 0, v43
	v_mul_f32_e32 v53, v50, v56
	s_waitcnt vmcnt(4)
	v_fma_f32 v44, v47, v60, -v44
	v_mul_f32_e32 v68, v49, v56
	v_fmac_f32_e32 v67, v48, v60
	v_add_f32_e32 v43, v43, v45
	v_add_f32_e32 v45, v46, v66
	s_waitcnt lgkmcnt(0)
	v_mul_f32_e32 v46, v52, v57
	s_waitcnt vmcnt(3)
	v_fma_f32 v47, v49, v61, -v53
	v_mul_f32_e32 v69, v51, v57
	v_add_f32_e32 v43, v43, v44
	v_fmac_f32_e32 v68, v50, v61
	v_add_f32_e32 v44, v45, v67
	s_waitcnt vmcnt(2)
	v_fma_f32 v45, v51, v62, -v46
	v_fmac_f32_e32 v69, v52, v62
	v_add_f32_e32 v43, v43, v47
	v_add_f32_e32 v44, v44, v68
	;; [unrolled: 1-line block ×4, first 2 shown]
	s_waitcnt vmcnt(1)
	v_sub_f32_e32 v43, v63, v43
	s_waitcnt vmcnt(0)
	v_sub_f32_e32 v44, v64, v44
	buffer_store_dword v43, off, s[0:3], 0 offset:112
	buffer_store_dword v44, off, s[0:3], 0 offset:116
	v_cmpx_lt_u32_e32 13, v0
	s_cbranch_execz .LBB83_107
; %bb.106:
	s_clause 0x1
	buffer_load_dword v43, off, s[0:3], 0 offset:104
	buffer_load_dword v44, off, s[0:3], 0 offset:108
	buffer_store_dword v42, off, s[0:3], 0 offset:104
	buffer_store_dword v42, off, s[0:3], 0 offset:108
	s_waitcnt vmcnt(0)
	ds_write_b64 v41, v[43:44]
.LBB83_107:
	s_or_b32 exec_lo, exec_lo, s4
	s_waitcnt lgkmcnt(0)
	s_waitcnt_vscnt null, 0x0
	s_barrier
	buffer_gl0_inv
	s_clause 0xd
	buffer_load_dword v55, off, s[0:3], 0 offset:116
	buffer_load_dword v56, off, s[0:3], 0 offset:124
	;; [unrolled: 1-line block ×14, first 2 shown]
	ds_read_b128 v[43:46], v42 offset:272
	ds_read_b128 v[47:50], v42 offset:288
	;; [unrolled: 1-line block ×3, first 2 shown]
	s_mov_b32 s4, exec_lo
	s_waitcnt vmcnt(13) lgkmcnt(2)
	v_mul_f32_e32 v42, v43, v55
	v_mul_f32_e32 v55, v44, v55
	s_waitcnt vmcnt(12)
	v_mul_f32_e32 v69, v45, v56
	v_mul_f32_e32 v56, v46, v56
	s_waitcnt vmcnt(11) lgkmcnt(1)
	v_mul_f32_e32 v70, v47, v57
	s_waitcnt vmcnt(10)
	v_mul_f32_e32 v71, v49, v58
	s_waitcnt vmcnt(7)
	v_fma_f32 v43, v43, v61, -v55
	v_fmac_f32_e32 v42, v44, v61
	v_mul_f32_e32 v44, v48, v57
	s_waitcnt vmcnt(6)
	v_fma_f32 v45, v45, v62, -v56
	v_fmac_f32_e32 v69, v46, v62
	v_add_f32_e32 v43, 0, v43
	v_add_f32_e32 v42, 0, v42
	v_mul_f32_e32 v46, v50, v58
	s_waitcnt vmcnt(5)
	v_fma_f32 v44, v47, v63, -v44
	v_fmac_f32_e32 v70, v48, v63
	v_add_f32_e32 v43, v43, v45
	v_add_f32_e32 v42, v42, v69
	s_waitcnt lgkmcnt(0)
	v_mul_f32_e32 v45, v52, v59
	s_waitcnt vmcnt(4)
	v_fma_f32 v46, v49, v64, -v46
	v_mul_f32_e32 v72, v51, v59
	v_add_f32_e32 v43, v43, v44
	v_fmac_f32_e32 v71, v50, v64
	v_add_f32_e32 v42, v42, v70
	v_mul_f32_e32 v44, v54, v60
	s_waitcnt vmcnt(3)
	v_fma_f32 v45, v51, v65, -v45
	v_add_f32_e32 v43, v43, v46
	v_mul_f32_e32 v73, v53, v60
	v_fmac_f32_e32 v72, v52, v65
	v_add_f32_e32 v42, v42, v71
	s_waitcnt vmcnt(2)
	v_fma_f32 v44, v53, v66, -v44
	v_add_f32_e32 v43, v43, v45
	v_fmac_f32_e32 v73, v54, v66
	v_add_f32_e32 v42, v42, v72
	v_add_f32_e32 v43, v43, v44
	;; [unrolled: 1-line block ×3, first 2 shown]
	s_waitcnt vmcnt(1)
	v_sub_f32_e32 v43, v67, v43
	s_waitcnt vmcnt(0)
	v_sub_f32_e32 v42, v68, v42
	buffer_store_dword v43, off, s[0:3], 0 offset:104
	buffer_store_dword v42, off, s[0:3], 0 offset:108
	v_cmpx_lt_u32_e32 12, v0
	s_cbranch_execz .LBB83_109
; %bb.108:
	s_clause 0x1
	buffer_load_dword v42, off, s[0:3], 0 offset:96
	buffer_load_dword v43, off, s[0:3], 0 offset:100
	v_mov_b32_e32 v44, 0
	buffer_store_dword v44, off, s[0:3], 0 offset:96
	buffer_store_dword v44, off, s[0:3], 0 offset:100
	s_waitcnt vmcnt(0)
	ds_write_b64 v41, v[42:43]
.LBB83_109:
	s_or_b32 exec_lo, exec_lo, s4
	s_waitcnt lgkmcnt(0)
	s_waitcnt_vscnt null, 0x0
	s_barrier
	buffer_gl0_inv
	s_clause 0xf
	buffer_load_dword v57, off, s[0:3], 0 offset:108
	buffer_load_dword v58, off, s[0:3], 0 offset:116
	;; [unrolled: 1-line block ×16, first 2 shown]
	v_mov_b32_e32 v42, 0
	ds_read2_b64 v[43:46], v42 offset0:33 offset1:34
	ds_read2_b64 v[47:50], v42 offset0:35 offset1:36
	;; [unrolled: 1-line block ×3, first 2 shown]
	ds_read_b64 v[55:56], v42 offset:312
	s_mov_b32 s4, exec_lo
	s_waitcnt vmcnt(15) lgkmcnt(3)
	v_mul_f32_e32 v73, v43, v57
	v_mul_f32_e32 v57, v44, v57
	s_waitcnt vmcnt(14)
	v_mul_f32_e32 v74, v45, v58
	v_mul_f32_e32 v58, v46, v58
	s_waitcnt vmcnt(13) lgkmcnt(2)
	v_mul_f32_e32 v75, v47, v59
	s_waitcnt vmcnt(12)
	v_mul_f32_e32 v76, v49, v60
	s_waitcnt vmcnt(11) lgkmcnt(1)
	v_mul_f32_e32 v77, v51, v61
	s_waitcnt vmcnt(8)
	v_fma_f32 v43, v43, v64, -v57
	v_fmac_f32_e32 v73, v44, v64
	v_mul_f32_e32 v44, v48, v59
	s_waitcnt vmcnt(7)
	v_fma_f32 v45, v45, v65, -v58
	v_fmac_f32_e32 v74, v46, v65
	v_add_f32_e32 v43, 0, v43
	v_add_f32_e32 v46, 0, v73
	v_mul_f32_e32 v57, v50, v60
	s_waitcnt vmcnt(6)
	v_fma_f32 v44, v47, v66, -v44
	v_fmac_f32_e32 v75, v48, v66
	v_add_f32_e32 v43, v43, v45
	v_add_f32_e32 v45, v46, v74
	;; [unrolled: 6-line block ×3, first 2 shown]
	v_mul_f32_e32 v45, v54, v62
	s_waitcnt vmcnt(4)
	v_fma_f32 v46, v51, v68, -v46
	v_mul_f32_e32 v78, v53, v62
	v_add_f32_e32 v43, v43, v47
	v_fmac_f32_e32 v77, v52, v68
	v_add_f32_e32 v44, v44, v76
	s_waitcnt lgkmcnt(0)
	v_mul_f32_e32 v47, v56, v63
	s_waitcnt vmcnt(3)
	v_fma_f32 v45, v53, v69, -v45
	v_add_f32_e32 v43, v43, v46
	v_mul_f32_e32 v79, v55, v63
	v_fmac_f32_e32 v78, v54, v69
	v_add_f32_e32 v44, v44, v77
	s_waitcnt vmcnt(2)
	v_fma_f32 v46, v55, v70, -v47
	v_add_f32_e32 v43, v43, v45
	v_fmac_f32_e32 v79, v56, v70
	v_add_f32_e32 v44, v44, v78
	v_add_f32_e32 v43, v43, v46
	;; [unrolled: 1-line block ×3, first 2 shown]
	s_waitcnt vmcnt(1)
	v_sub_f32_e32 v43, v71, v43
	s_waitcnt vmcnt(0)
	v_sub_f32_e32 v44, v72, v44
	buffer_store_dword v43, off, s[0:3], 0 offset:96
	buffer_store_dword v44, off, s[0:3], 0 offset:100
	v_cmpx_lt_u32_e32 11, v0
	s_cbranch_execz .LBB83_111
; %bb.110:
	s_clause 0x1
	buffer_load_dword v43, off, s[0:3], 0 offset:88
	buffer_load_dword v44, off, s[0:3], 0 offset:92
	buffer_store_dword v42, off, s[0:3], 0 offset:88
	buffer_store_dword v42, off, s[0:3], 0 offset:92
	s_waitcnt vmcnt(0)
	ds_write_b64 v41, v[43:44]
.LBB83_111:
	s_or_b32 exec_lo, exec_lo, s4
	s_waitcnt lgkmcnt(0)
	s_waitcnt_vscnt null, 0x0
	s_barrier
	buffer_gl0_inv
	s_clause 0x11
	buffer_load_dword v59, off, s[0:3], 0 offset:100
	buffer_load_dword v60, off, s[0:3], 0 offset:108
	buffer_load_dword v61, off, s[0:3], 0 offset:116
	buffer_load_dword v62, off, s[0:3], 0 offset:124
	buffer_load_dword v63, off, s[0:3], 0 offset:132
	buffer_load_dword v64, off, s[0:3], 0 offset:140
	buffer_load_dword v65, off, s[0:3], 0 offset:148
	buffer_load_dword v66, off, s[0:3], 0 offset:156
	buffer_load_dword v67, off, s[0:3], 0 offset:96
	buffer_load_dword v68, off, s[0:3], 0 offset:104
	buffer_load_dword v69, off, s[0:3], 0 offset:112
	buffer_load_dword v70, off, s[0:3], 0 offset:120
	buffer_load_dword v71, off, s[0:3], 0 offset:128
	buffer_load_dword v72, off, s[0:3], 0 offset:136
	buffer_load_dword v73, off, s[0:3], 0 offset:144
	buffer_load_dword v74, off, s[0:3], 0 offset:152
	buffer_load_dword v75, off, s[0:3], 0 offset:88
	buffer_load_dword v76, off, s[0:3], 0 offset:92
	ds_read_b128 v[43:46], v42 offset:256
	ds_read_b128 v[47:50], v42 offset:272
	;; [unrolled: 1-line block ×4, first 2 shown]
	s_mov_b32 s4, exec_lo
	s_waitcnt vmcnt(17) lgkmcnt(3)
	v_mul_f32_e32 v42, v43, v59
	v_mul_f32_e32 v59, v44, v59
	s_waitcnt vmcnt(16)
	v_mul_f32_e32 v77, v45, v60
	v_mul_f32_e32 v60, v46, v60
	s_waitcnt vmcnt(15) lgkmcnt(2)
	v_mul_f32_e32 v78, v47, v61
	s_waitcnt vmcnt(14)
	v_mul_f32_e32 v79, v49, v62
	s_waitcnt vmcnt(13) lgkmcnt(1)
	v_mul_f32_e32 v80, v51, v63
	s_waitcnt vmcnt(12)
	v_mul_f32_e32 v81, v53, v64
	s_waitcnt vmcnt(9)
	v_fma_f32 v43, v43, v67, -v59
	v_fmac_f32_e32 v42, v44, v67
	v_mul_f32_e32 v44, v48, v61
	s_waitcnt vmcnt(8)
	v_fma_f32 v45, v45, v68, -v60
	v_fmac_f32_e32 v77, v46, v68
	v_add_f32_e32 v43, 0, v43
	v_add_f32_e32 v42, 0, v42
	v_mul_f32_e32 v46, v50, v62
	s_waitcnt vmcnt(7)
	v_fma_f32 v44, v47, v69, -v44
	v_fmac_f32_e32 v78, v48, v69
	v_add_f32_e32 v43, v43, v45
	v_add_f32_e32 v42, v42, v77
	v_mul_f32_e32 v45, v52, v63
	s_waitcnt vmcnt(6)
	v_fma_f32 v46, v49, v70, -v46
	v_fmac_f32_e32 v79, v50, v70
	v_add_f32_e32 v43, v43, v44
	v_add_f32_e32 v42, v42, v78
	v_mul_f32_e32 v44, v54, v64
	s_waitcnt vmcnt(5)
	v_fma_f32 v45, v51, v71, -v45
	v_fmac_f32_e32 v80, v52, v71
	v_add_f32_e32 v43, v43, v46
	v_add_f32_e32 v42, v42, v79
	s_waitcnt lgkmcnt(0)
	v_mul_f32_e32 v46, v56, v65
	s_waitcnt vmcnt(4)
	v_fma_f32 v44, v53, v72, -v44
	v_mul_f32_e32 v82, v55, v65
	v_add_f32_e32 v43, v43, v45
	v_fmac_f32_e32 v81, v54, v72
	v_add_f32_e32 v42, v42, v80
	v_mul_f32_e32 v45, v58, v66
	s_waitcnt vmcnt(3)
	v_fma_f32 v46, v55, v73, -v46
	v_add_f32_e32 v43, v43, v44
	v_mul_f32_e32 v83, v57, v66
	v_fmac_f32_e32 v82, v56, v73
	v_add_f32_e32 v42, v42, v81
	s_waitcnt vmcnt(2)
	v_fma_f32 v44, v57, v74, -v45
	v_add_f32_e32 v43, v43, v46
	v_fmac_f32_e32 v83, v58, v74
	v_add_f32_e32 v42, v42, v82
	v_add_f32_e32 v43, v43, v44
	;; [unrolled: 1-line block ×3, first 2 shown]
	s_waitcnt vmcnt(1)
	v_sub_f32_e32 v43, v75, v43
	s_waitcnt vmcnt(0)
	v_sub_f32_e32 v42, v76, v42
	buffer_store_dword v43, off, s[0:3], 0 offset:88
	buffer_store_dword v42, off, s[0:3], 0 offset:92
	v_cmpx_lt_u32_e32 10, v0
	s_cbranch_execz .LBB83_113
; %bb.112:
	s_clause 0x1
	buffer_load_dword v42, off, s[0:3], 0 offset:80
	buffer_load_dword v43, off, s[0:3], 0 offset:84
	v_mov_b32_e32 v44, 0
	buffer_store_dword v44, off, s[0:3], 0 offset:80
	buffer_store_dword v44, off, s[0:3], 0 offset:84
	s_waitcnt vmcnt(0)
	ds_write_b64 v41, v[42:43]
.LBB83_113:
	s_or_b32 exec_lo, exec_lo, s4
	s_waitcnt lgkmcnt(0)
	s_waitcnt_vscnt null, 0x0
	s_barrier
	buffer_gl0_inv
	s_clause 0x13
	buffer_load_dword v61, off, s[0:3], 0 offset:92
	buffer_load_dword v62, off, s[0:3], 0 offset:100
	;; [unrolled: 1-line block ×20, first 2 shown]
	v_mov_b32_e32 v42, 0
	ds_read2_b64 v[43:46], v42 offset0:31 offset1:32
	ds_read2_b64 v[47:50], v42 offset0:33 offset1:34
	;; [unrolled: 1-line block ×4, first 2 shown]
	ds_read_b64 v[59:60], v42 offset:312
	s_mov_b32 s4, exec_lo
	s_waitcnt vmcnt(19) lgkmcnt(4)
	v_mul_f32_e32 v81, v43, v61
	v_mul_f32_e32 v61, v44, v61
	s_waitcnt vmcnt(18)
	v_mul_f32_e32 v82, v45, v62
	v_mul_f32_e32 v62, v46, v62
	s_waitcnt vmcnt(17) lgkmcnt(3)
	v_mul_f32_e32 v83, v47, v63
	s_waitcnt vmcnt(16)
	v_mul_f32_e32 v84, v49, v64
	s_waitcnt vmcnt(15) lgkmcnt(2)
	v_mul_f32_e32 v85, v51, v65
	s_waitcnt vmcnt(14)
	v_mul_f32_e32 v86, v53, v66
	s_waitcnt vmcnt(13) lgkmcnt(1)
	v_mul_f32_e32 v87, v55, v67
	s_waitcnt vmcnt(10)
	v_fma_f32 v43, v43, v70, -v61
	v_fmac_f32_e32 v81, v44, v70
	v_mul_f32_e32 v44, v48, v63
	s_waitcnt vmcnt(9)
	v_fma_f32 v45, v45, v71, -v62
	v_fmac_f32_e32 v82, v46, v71
	v_add_f32_e32 v43, 0, v43
	v_add_f32_e32 v46, 0, v81
	v_mul_f32_e32 v61, v50, v64
	s_waitcnt vmcnt(8)
	v_fma_f32 v44, v47, v72, -v44
	v_fmac_f32_e32 v83, v48, v72
	v_add_f32_e32 v43, v43, v45
	v_add_f32_e32 v45, v46, v82
	;; [unrolled: 6-line block ×5, first 2 shown]
	v_mul_f32_e32 v46, v58, v68
	s_waitcnt vmcnt(4)
	v_fma_f32 v47, v55, v76, -v47
	v_mul_f32_e32 v88, v57, v68
	v_add_f32_e32 v43, v43, v45
	v_fmac_f32_e32 v87, v56, v76
	v_add_f32_e32 v44, v44, v86
	s_waitcnt lgkmcnt(0)
	v_mul_f32_e32 v45, v60, v69
	s_waitcnt vmcnt(3)
	v_fma_f32 v46, v57, v77, -v46
	v_add_f32_e32 v43, v43, v47
	v_mul_f32_e32 v89, v59, v69
	v_fmac_f32_e32 v88, v58, v77
	v_add_f32_e32 v44, v44, v87
	s_waitcnt vmcnt(2)
	v_fma_f32 v45, v59, v78, -v45
	v_add_f32_e32 v43, v43, v46
	v_fmac_f32_e32 v89, v60, v78
	v_add_f32_e32 v44, v44, v88
	v_add_f32_e32 v43, v43, v45
	v_add_f32_e32 v44, v44, v89
	s_waitcnt vmcnt(1)
	v_sub_f32_e32 v43, v79, v43
	s_waitcnt vmcnt(0)
	v_sub_f32_e32 v44, v80, v44
	buffer_store_dword v43, off, s[0:3], 0 offset:80
	buffer_store_dword v44, off, s[0:3], 0 offset:84
	v_cmpx_lt_u32_e32 9, v0
	s_cbranch_execz .LBB83_115
; %bb.114:
	s_clause 0x1
	buffer_load_dword v43, off, s[0:3], 0 offset:72
	buffer_load_dword v44, off, s[0:3], 0 offset:76
	buffer_store_dword v42, off, s[0:3], 0 offset:72
	buffer_store_dword v42, off, s[0:3], 0 offset:76
	s_waitcnt vmcnt(0)
	ds_write_b64 v41, v[43:44]
.LBB83_115:
	s_or_b32 exec_lo, exec_lo, s4
	s_waitcnt lgkmcnt(0)
	s_waitcnt_vscnt null, 0x0
	s_barrier
	buffer_gl0_inv
	s_clause 0x15
	buffer_load_dword v63, off, s[0:3], 0 offset:84
	buffer_load_dword v64, off, s[0:3], 0 offset:92
	;; [unrolled: 1-line block ×22, first 2 shown]
	ds_read_b128 v[43:46], v42 offset:240
	ds_read_b128 v[47:50], v42 offset:256
	;; [unrolled: 1-line block ×5, first 2 shown]
	s_mov_b32 s4, exec_lo
	s_waitcnt vmcnt(21) lgkmcnt(4)
	v_mul_f32_e32 v42, v43, v63
	v_mul_f32_e32 v63, v44, v63
	s_waitcnt vmcnt(20)
	v_mul_f32_e32 v85, v45, v64
	v_mul_f32_e32 v64, v46, v64
	s_waitcnt vmcnt(19) lgkmcnt(3)
	v_mul_f32_e32 v86, v47, v65
	s_waitcnt vmcnt(18)
	v_mul_f32_e32 v87, v49, v66
	s_waitcnt vmcnt(17) lgkmcnt(2)
	v_mul_f32_e32 v88, v51, v67
	s_waitcnt vmcnt(16)
	;; [unrolled: 4-line block ×3, first 2 shown]
	v_mul_f32_e32 v91, v57, v70
	s_waitcnt vmcnt(11)
	v_fma_f32 v43, v43, v73, -v63
	v_fmac_f32_e32 v42, v44, v73
	v_mul_f32_e32 v44, v48, v65
	s_waitcnt vmcnt(10)
	v_fma_f32 v45, v45, v74, -v64
	v_fmac_f32_e32 v85, v46, v74
	v_add_f32_e32 v43, 0, v43
	v_add_f32_e32 v42, 0, v42
	v_mul_f32_e32 v46, v50, v66
	s_waitcnt vmcnt(9)
	v_fma_f32 v44, v47, v75, -v44
	v_fmac_f32_e32 v86, v48, v75
	v_add_f32_e32 v43, v43, v45
	v_add_f32_e32 v42, v42, v85
	;; [unrolled: 6-line block ×6, first 2 shown]
	s_waitcnt lgkmcnt(0)
	v_mul_f32_e32 v44, v60, v71
	s_waitcnt vmcnt(4)
	v_fma_f32 v45, v57, v80, -v45
	v_mul_f32_e32 v92, v59, v71
	v_add_f32_e32 v43, v43, v46
	v_fmac_f32_e32 v91, v58, v80
	v_add_f32_e32 v42, v42, v90
	v_mul_f32_e32 v46, v62, v72
	s_waitcnt vmcnt(3)
	v_fma_f32 v44, v59, v81, -v44
	v_add_f32_e32 v43, v43, v45
	v_mul_f32_e32 v93, v61, v72
	v_fmac_f32_e32 v92, v60, v81
	v_add_f32_e32 v42, v42, v91
	s_waitcnt vmcnt(2)
	v_fma_f32 v45, v61, v82, -v46
	v_add_f32_e32 v43, v43, v44
	v_fmac_f32_e32 v93, v62, v82
	v_add_f32_e32 v42, v42, v92
	v_add_f32_e32 v43, v43, v45
	;; [unrolled: 1-line block ×3, first 2 shown]
	s_waitcnt vmcnt(1)
	v_sub_f32_e32 v43, v83, v43
	s_waitcnt vmcnt(0)
	v_sub_f32_e32 v42, v84, v42
	buffer_store_dword v43, off, s[0:3], 0 offset:72
	buffer_store_dword v42, off, s[0:3], 0 offset:76
	v_cmpx_lt_u32_e32 8, v0
	s_cbranch_execz .LBB83_117
; %bb.116:
	s_clause 0x1
	buffer_load_dword v42, off, s[0:3], 0 offset:64
	buffer_load_dword v43, off, s[0:3], 0 offset:68
	v_mov_b32_e32 v44, 0
	buffer_store_dword v44, off, s[0:3], 0 offset:64
	buffer_store_dword v44, off, s[0:3], 0 offset:68
	s_waitcnt vmcnt(0)
	ds_write_b64 v41, v[42:43]
.LBB83_117:
	s_or_b32 exec_lo, exec_lo, s4
	s_waitcnt lgkmcnt(0)
	s_waitcnt_vscnt null, 0x0
	s_barrier
	buffer_gl0_inv
	s_clause 0x17
	buffer_load_dword v65, off, s[0:3], 0 offset:76
	buffer_load_dword v66, off, s[0:3], 0 offset:84
	buffer_load_dword v67, off, s[0:3], 0 offset:92
	buffer_load_dword v68, off, s[0:3], 0 offset:100
	buffer_load_dword v69, off, s[0:3], 0 offset:108
	buffer_load_dword v70, off, s[0:3], 0 offset:116
	buffer_load_dword v71, off, s[0:3], 0 offset:124
	buffer_load_dword v72, off, s[0:3], 0 offset:132
	buffer_load_dword v73, off, s[0:3], 0 offset:140
	buffer_load_dword v74, off, s[0:3], 0 offset:148
	buffer_load_dword v75, off, s[0:3], 0 offset:156
	buffer_load_dword v76, off, s[0:3], 0 offset:72
	buffer_load_dword v77, off, s[0:3], 0 offset:80
	buffer_load_dword v78, off, s[0:3], 0 offset:88
	buffer_load_dword v79, off, s[0:3], 0 offset:96
	buffer_load_dword v80, off, s[0:3], 0 offset:104
	buffer_load_dword v81, off, s[0:3], 0 offset:112
	buffer_load_dword v82, off, s[0:3], 0 offset:120
	buffer_load_dword v83, off, s[0:3], 0 offset:128
	buffer_load_dword v84, off, s[0:3], 0 offset:136
	buffer_load_dword v85, off, s[0:3], 0 offset:144
	buffer_load_dword v86, off, s[0:3], 0 offset:152
	buffer_load_dword v87, off, s[0:3], 0 offset:64
	buffer_load_dword v88, off, s[0:3], 0 offset:68
	v_mov_b32_e32 v42, 0
	ds_read2_b64 v[43:46], v42 offset0:29 offset1:30
	ds_read2_b64 v[47:50], v42 offset0:31 offset1:32
	ds_read2_b64 v[51:54], v42 offset0:33 offset1:34
	ds_read2_b64 v[55:58], v42 offset0:35 offset1:36
	ds_read2_b64 v[59:62], v42 offset0:37 offset1:38
	ds_read_b64 v[63:64], v42 offset:312
	s_mov_b32 s4, exec_lo
	s_waitcnt vmcnt(23) lgkmcnt(5)
	v_mul_f32_e32 v89, v43, v65
	v_mul_f32_e32 v65, v44, v65
	s_waitcnt vmcnt(22)
	v_mul_f32_e32 v90, v45, v66
	v_mul_f32_e32 v66, v46, v66
	s_waitcnt vmcnt(21) lgkmcnt(4)
	v_mul_f32_e32 v91, v47, v67
	s_waitcnt vmcnt(20)
	v_mul_f32_e32 v92, v49, v68
	s_waitcnt vmcnt(19) lgkmcnt(3)
	v_mul_f32_e32 v93, v51, v69
	s_waitcnt vmcnt(18)
	;; [unrolled: 4-line block ×4, first 2 shown]
	v_fma_f32 v43, v43, v76, -v65
	v_fmac_f32_e32 v89, v44, v76
	v_mul_f32_e32 v44, v48, v67
	s_waitcnt vmcnt(11)
	v_fma_f32 v45, v45, v77, -v66
	v_fmac_f32_e32 v90, v46, v77
	v_add_f32_e32 v43, 0, v43
	v_add_f32_e32 v46, 0, v89
	v_mul_f32_e32 v65, v50, v68
	s_waitcnt vmcnt(10)
	v_fma_f32 v44, v47, v78, -v44
	v_fmac_f32_e32 v91, v48, v78
	v_add_f32_e32 v43, v43, v45
	v_add_f32_e32 v45, v46, v90
	;; [unrolled: 6-line block ×7, first 2 shown]
	v_mul_f32_e32 v47, v62, v74
	s_waitcnt vmcnt(4)
	v_fma_f32 v45, v59, v84, -v45
	v_mul_f32_e32 v98, v61, v74
	v_add_f32_e32 v43, v43, v46
	v_fmac_f32_e32 v97, v60, v84
	v_add_f32_e32 v44, v44, v96
	s_waitcnt lgkmcnt(0)
	v_mul_f32_e32 v46, v64, v75
	s_waitcnt vmcnt(3)
	v_fma_f32 v47, v61, v85, -v47
	v_add_f32_e32 v43, v43, v45
	v_mul_f32_e32 v99, v63, v75
	v_fmac_f32_e32 v98, v62, v85
	v_add_f32_e32 v44, v44, v97
	s_waitcnt vmcnt(2)
	v_fma_f32 v45, v63, v86, -v46
	v_add_f32_e32 v43, v43, v47
	v_fmac_f32_e32 v99, v64, v86
	v_add_f32_e32 v44, v44, v98
	v_add_f32_e32 v43, v43, v45
	;; [unrolled: 1-line block ×3, first 2 shown]
	s_waitcnt vmcnt(1)
	v_sub_f32_e32 v43, v87, v43
	s_waitcnt vmcnt(0)
	v_sub_f32_e32 v44, v88, v44
	buffer_store_dword v43, off, s[0:3], 0 offset:64
	buffer_store_dword v44, off, s[0:3], 0 offset:68
	v_cmpx_lt_u32_e32 7, v0
	s_cbranch_execz .LBB83_119
; %bb.118:
	s_clause 0x1
	buffer_load_dword v43, off, s[0:3], 0 offset:56
	buffer_load_dword v44, off, s[0:3], 0 offset:60
	buffer_store_dword v42, off, s[0:3], 0 offset:56
	buffer_store_dword v42, off, s[0:3], 0 offset:60
	s_waitcnt vmcnt(0)
	ds_write_b64 v41, v[43:44]
.LBB83_119:
	s_or_b32 exec_lo, exec_lo, s4
	s_waitcnt lgkmcnt(0)
	s_waitcnt_vscnt null, 0x0
	s_barrier
	buffer_gl0_inv
	s_clause 0x19
	buffer_load_dword v67, off, s[0:3], 0 offset:68
	buffer_load_dword v68, off, s[0:3], 0 offset:76
	buffer_load_dword v69, off, s[0:3], 0 offset:84
	buffer_load_dword v70, off, s[0:3], 0 offset:92
	buffer_load_dword v71, off, s[0:3], 0 offset:100
	buffer_load_dword v72, off, s[0:3], 0 offset:108
	buffer_load_dword v73, off, s[0:3], 0 offset:116
	buffer_load_dword v74, off, s[0:3], 0 offset:124
	buffer_load_dword v75, off, s[0:3], 0 offset:132
	buffer_load_dword v76, off, s[0:3], 0 offset:140
	buffer_load_dword v77, off, s[0:3], 0 offset:148
	buffer_load_dword v78, off, s[0:3], 0 offset:156
	buffer_load_dword v79, off, s[0:3], 0 offset:64
	buffer_load_dword v80, off, s[0:3], 0 offset:72
	buffer_load_dword v81, off, s[0:3], 0 offset:80
	buffer_load_dword v82, off, s[0:3], 0 offset:88
	buffer_load_dword v83, off, s[0:3], 0 offset:96
	buffer_load_dword v84, off, s[0:3], 0 offset:104
	buffer_load_dword v85, off, s[0:3], 0 offset:112
	buffer_load_dword v86, off, s[0:3], 0 offset:120
	buffer_load_dword v87, off, s[0:3], 0 offset:128
	buffer_load_dword v88, off, s[0:3], 0 offset:136
	buffer_load_dword v89, off, s[0:3], 0 offset:144
	buffer_load_dword v90, off, s[0:3], 0 offset:152
	buffer_load_dword v91, off, s[0:3], 0 offset:56
	buffer_load_dword v92, off, s[0:3], 0 offset:60
	ds_read_b128 v[43:46], v42 offset:224
	ds_read_b128 v[47:50], v42 offset:240
	;; [unrolled: 1-line block ×6, first 2 shown]
	s_mov_b32 s4, exec_lo
	s_waitcnt vmcnt(25) lgkmcnt(5)
	v_mul_f32_e32 v42, v43, v67
	v_mul_f32_e32 v67, v44, v67
	s_waitcnt vmcnt(24)
	v_mul_f32_e32 v93, v45, v68
	v_mul_f32_e32 v68, v46, v68
	s_waitcnt vmcnt(23) lgkmcnt(4)
	v_mul_f32_e32 v94, v47, v69
	s_waitcnt vmcnt(22)
	v_mul_f32_e32 v95, v49, v70
	s_waitcnt vmcnt(21) lgkmcnt(3)
	v_mul_f32_e32 v96, v51, v71
	s_waitcnt vmcnt(20)
	;; [unrolled: 4-line block ×4, first 2 shown]
	v_mul_f32_e32 v101, v61, v76
	s_waitcnt vmcnt(13)
	v_fma_f32 v43, v43, v79, -v67
	v_fmac_f32_e32 v42, v44, v79
	v_mul_f32_e32 v44, v48, v69
	s_waitcnt vmcnt(12)
	v_fma_f32 v45, v45, v80, -v68
	v_fmac_f32_e32 v93, v46, v80
	v_add_f32_e32 v43, 0, v43
	v_add_f32_e32 v42, 0, v42
	v_mul_f32_e32 v46, v50, v70
	s_waitcnt vmcnt(11)
	v_fma_f32 v44, v47, v81, -v44
	v_fmac_f32_e32 v94, v48, v81
	v_add_f32_e32 v43, v43, v45
	v_add_f32_e32 v42, v42, v93
	;; [unrolled: 6-line block ×8, first 2 shown]
	s_waitcnt lgkmcnt(0)
	v_mul_f32_e32 v45, v64, v77
	s_waitcnt vmcnt(4)
	v_fma_f32 v46, v61, v88, -v46
	v_mul_f32_e32 v102, v63, v77
	v_add_f32_e32 v43, v43, v44
	v_fmac_f32_e32 v101, v62, v88
	v_add_f32_e32 v42, v42, v100
	v_mul_f32_e32 v44, v66, v78
	s_waitcnt vmcnt(3)
	v_fma_f32 v45, v63, v89, -v45
	v_add_f32_e32 v43, v43, v46
	v_mul_f32_e32 v103, v65, v78
	v_fmac_f32_e32 v102, v64, v89
	v_add_f32_e32 v42, v42, v101
	s_waitcnt vmcnt(2)
	v_fma_f32 v44, v65, v90, -v44
	v_add_f32_e32 v43, v43, v45
	v_fmac_f32_e32 v103, v66, v90
	v_add_f32_e32 v42, v42, v102
	v_add_f32_e32 v43, v43, v44
	;; [unrolled: 1-line block ×3, first 2 shown]
	s_waitcnt vmcnt(1)
	v_sub_f32_e32 v43, v91, v43
	s_waitcnt vmcnt(0)
	v_sub_f32_e32 v42, v92, v42
	buffer_store_dword v43, off, s[0:3], 0 offset:56
	buffer_store_dword v42, off, s[0:3], 0 offset:60
	v_cmpx_lt_u32_e32 6, v0
	s_cbranch_execz .LBB83_121
; %bb.120:
	s_clause 0x1
	buffer_load_dword v42, off, s[0:3], 0 offset:48
	buffer_load_dword v43, off, s[0:3], 0 offset:52
	v_mov_b32_e32 v44, 0
	buffer_store_dword v44, off, s[0:3], 0 offset:48
	buffer_store_dword v44, off, s[0:3], 0 offset:52
	s_waitcnt vmcnt(0)
	ds_write_b64 v41, v[42:43]
.LBB83_121:
	s_or_b32 exec_lo, exec_lo, s4
	s_waitcnt lgkmcnt(0)
	s_waitcnt_vscnt null, 0x0
	s_barrier
	buffer_gl0_inv
	s_clause 0x1b
	buffer_load_dword v69, off, s[0:3], 0 offset:60
	buffer_load_dword v70, off, s[0:3], 0 offset:68
	;; [unrolled: 1-line block ×28, first 2 shown]
	v_mov_b32_e32 v42, 0
	ds_read2_b64 v[43:46], v42 offset0:27 offset1:28
	ds_read2_b64 v[47:50], v42 offset0:29 offset1:30
	;; [unrolled: 1-line block ×6, first 2 shown]
	ds_read_b64 v[67:68], v42 offset:312
	s_mov_b32 s4, exec_lo
	s_waitcnt vmcnt(27) lgkmcnt(6)
	v_mul_f32_e32 v97, v43, v69
	v_mul_f32_e32 v69, v44, v69
	s_waitcnt vmcnt(26)
	v_mul_f32_e32 v98, v45, v70
	v_mul_f32_e32 v70, v46, v70
	s_waitcnt vmcnt(25) lgkmcnt(5)
	v_mul_f32_e32 v99, v47, v71
	s_waitcnt vmcnt(24)
	v_mul_f32_e32 v100, v49, v72
	s_waitcnt vmcnt(23) lgkmcnt(4)
	v_mul_f32_e32 v101, v51, v73
	s_waitcnt vmcnt(22)
	v_mul_f32_e32 v102, v53, v74
	s_waitcnt vmcnt(21) lgkmcnt(3)
	v_mul_f32_e32 v103, v55, v75
	s_waitcnt vmcnt(20)
	v_mul_f32_e32 v104, v57, v76
	s_waitcnt vmcnt(19) lgkmcnt(2)
	v_mul_f32_e32 v105, v59, v77
	s_waitcnt vmcnt(18)
	v_mul_f32_e32 v106, v61, v78
	s_waitcnt vmcnt(17) lgkmcnt(1)
	v_mul_f32_e32 v107, v63, v79
	s_waitcnt vmcnt(14)
	v_fma_f32 v43, v43, v82, -v69
	v_fmac_f32_e32 v97, v44, v82
	v_mul_f32_e32 v44, v48, v71
	s_waitcnt vmcnt(13)
	v_fma_f32 v45, v45, v83, -v70
	v_fmac_f32_e32 v98, v46, v83
	v_add_f32_e32 v43, 0, v43
	v_add_f32_e32 v46, 0, v97
	v_mul_f32_e32 v69, v50, v72
	s_waitcnt vmcnt(12)
	v_fma_f32 v44, v47, v84, -v44
	v_fmac_f32_e32 v99, v48, v84
	v_add_f32_e32 v43, v43, v45
	v_add_f32_e32 v45, v46, v98
	;; [unrolled: 6-line block ×9, first 2 shown]
	v_mul_f32_e32 v45, v66, v80
	s_waitcnt vmcnt(4)
	v_fma_f32 v46, v63, v92, -v46
	v_mul_f32_e32 v108, v65, v80
	v_add_f32_e32 v43, v43, v47
	v_fmac_f32_e32 v107, v64, v92
	v_add_f32_e32 v44, v44, v106
	s_waitcnt lgkmcnt(0)
	v_mul_f32_e32 v47, v68, v81
	s_waitcnt vmcnt(3)
	v_fma_f32 v45, v65, v93, -v45
	v_add_f32_e32 v43, v43, v46
	v_mul_f32_e32 v109, v67, v81
	v_fmac_f32_e32 v108, v66, v93
	v_add_f32_e32 v44, v44, v107
	s_waitcnt vmcnt(2)
	v_fma_f32 v46, v67, v94, -v47
	v_add_f32_e32 v43, v43, v45
	v_fmac_f32_e32 v109, v68, v94
	v_add_f32_e32 v44, v44, v108
	v_add_f32_e32 v43, v43, v46
	;; [unrolled: 1-line block ×3, first 2 shown]
	s_waitcnt vmcnt(1)
	v_sub_f32_e32 v43, v95, v43
	s_waitcnt vmcnt(0)
	v_sub_f32_e32 v44, v96, v44
	buffer_store_dword v43, off, s[0:3], 0 offset:48
	buffer_store_dword v44, off, s[0:3], 0 offset:52
	v_cmpx_lt_u32_e32 5, v0
	s_cbranch_execz .LBB83_123
; %bb.122:
	s_clause 0x1
	buffer_load_dword v43, off, s[0:3], 0 offset:40
	buffer_load_dword v44, off, s[0:3], 0 offset:44
	buffer_store_dword v42, off, s[0:3], 0 offset:40
	buffer_store_dword v42, off, s[0:3], 0 offset:44
	s_waitcnt vmcnt(0)
	ds_write_b64 v41, v[43:44]
.LBB83_123:
	s_or_b32 exec_lo, exec_lo, s4
	s_waitcnt lgkmcnt(0)
	s_waitcnt_vscnt null, 0x0
	s_barrier
	buffer_gl0_inv
	s_clause 0x1d
	buffer_load_dword v71, off, s[0:3], 0 offset:52
	buffer_load_dword v72, off, s[0:3], 0 offset:60
	;; [unrolled: 1-line block ×30, first 2 shown]
	ds_read_b128 v[43:46], v42 offset:208
	ds_read_b128 v[47:50], v42 offset:224
	;; [unrolled: 1-line block ×7, first 2 shown]
	s_mov_b32 s4, exec_lo
	s_waitcnt vmcnt(29) lgkmcnt(6)
	v_mul_f32_e32 v42, v43, v71
	v_mul_f32_e32 v71, v44, v71
	s_waitcnt vmcnt(28)
	v_mul_f32_e32 v101, v45, v72
	v_mul_f32_e32 v72, v46, v72
	s_waitcnt vmcnt(27) lgkmcnt(5)
	v_mul_f32_e32 v102, v47, v73
	s_waitcnt vmcnt(26)
	v_mul_f32_e32 v103, v49, v74
	s_waitcnt vmcnt(25) lgkmcnt(4)
	v_mul_f32_e32 v104, v51, v75
	s_waitcnt vmcnt(24)
	;; [unrolled: 4-line block ×5, first 2 shown]
	v_mul_f32_e32 v111, v65, v82
	s_waitcnt vmcnt(15)
	v_fma_f32 v43, v43, v85, -v71
	v_fmac_f32_e32 v42, v44, v85
	v_mul_f32_e32 v44, v48, v73
	s_waitcnt vmcnt(14)
	v_fma_f32 v45, v45, v86, -v72
	v_fmac_f32_e32 v101, v46, v86
	v_add_f32_e32 v43, 0, v43
	v_add_f32_e32 v42, 0, v42
	v_mul_f32_e32 v46, v50, v74
	s_waitcnt vmcnt(13)
	v_fma_f32 v44, v47, v87, -v44
	v_fmac_f32_e32 v102, v48, v87
	v_add_f32_e32 v43, v43, v45
	v_add_f32_e32 v42, v42, v101
	;; [unrolled: 6-line block ×10, first 2 shown]
	s_waitcnt lgkmcnt(0)
	v_mul_f32_e32 v46, v68, v83
	s_waitcnt vmcnt(4)
	v_fma_f32 v44, v65, v96, -v44
	v_mul_f32_e32 v112, v67, v83
	v_add_f32_e32 v43, v43, v45
	v_fmac_f32_e32 v111, v66, v96
	v_add_f32_e32 v42, v42, v110
	v_mul_f32_e32 v45, v70, v84
	s_waitcnt vmcnt(3)
	v_fma_f32 v46, v67, v97, -v46
	v_add_f32_e32 v43, v43, v44
	v_mul_f32_e32 v113, v69, v84
	v_fmac_f32_e32 v112, v68, v97
	v_add_f32_e32 v42, v42, v111
	s_waitcnt vmcnt(2)
	v_fma_f32 v44, v69, v98, -v45
	v_add_f32_e32 v43, v43, v46
	v_fmac_f32_e32 v113, v70, v98
	v_add_f32_e32 v42, v42, v112
	v_add_f32_e32 v43, v43, v44
	;; [unrolled: 1-line block ×3, first 2 shown]
	s_waitcnt vmcnt(1)
	v_sub_f32_e32 v43, v99, v43
	s_waitcnt vmcnt(0)
	v_sub_f32_e32 v42, v100, v42
	buffer_store_dword v43, off, s[0:3], 0 offset:40
	buffer_store_dword v42, off, s[0:3], 0 offset:44
	v_cmpx_lt_u32_e32 4, v0
	s_cbranch_execz .LBB83_125
; %bb.124:
	s_clause 0x1
	buffer_load_dword v42, off, s[0:3], 0 offset:32
	buffer_load_dword v43, off, s[0:3], 0 offset:36
	v_mov_b32_e32 v44, 0
	buffer_store_dword v44, off, s[0:3], 0 offset:32
	buffer_store_dword v44, off, s[0:3], 0 offset:36
	s_waitcnt vmcnt(0)
	ds_write_b64 v41, v[42:43]
.LBB83_125:
	s_or_b32 exec_lo, exec_lo, s4
	s_waitcnt lgkmcnt(0)
	s_waitcnt_vscnt null, 0x0
	s_barrier
	buffer_gl0_inv
	s_clause 0x1f
	buffer_load_dword v73, off, s[0:3], 0 offset:44
	buffer_load_dword v74, off, s[0:3], 0 offset:52
	;; [unrolled: 1-line block ×32, first 2 shown]
	v_mov_b32_e32 v42, 0
	ds_read2_b64 v[43:46], v42 offset0:25 offset1:26
	ds_read2_b64 v[47:50], v42 offset0:27 offset1:28
	;; [unrolled: 1-line block ×7, first 2 shown]
	ds_read_b64 v[71:72], v42 offset:312
	s_mov_b32 s4, exec_lo
	s_waitcnt vmcnt(31) lgkmcnt(7)
	v_mul_f32_e32 v105, v43, v73
	v_mul_f32_e32 v73, v44, v73
	s_waitcnt vmcnt(30)
	v_mul_f32_e32 v106, v45, v74
	v_mul_f32_e32 v74, v46, v74
	s_waitcnt vmcnt(29) lgkmcnt(6)
	v_mul_f32_e32 v107, v47, v75
	s_waitcnt vmcnt(28)
	v_mul_f32_e32 v108, v49, v76
	s_waitcnt vmcnt(27) lgkmcnt(5)
	v_mul_f32_e32 v109, v51, v77
	s_waitcnt vmcnt(26)
	;; [unrolled: 4-line block ×6, first 2 shown]
	v_fma_f32 v43, v43, v88, -v73
	v_fmac_f32_e32 v105, v44, v88
	v_mul_f32_e32 v44, v48, v75
	s_waitcnt vmcnt(15)
	v_fma_f32 v45, v45, v89, -v74
	v_fmac_f32_e32 v106, v46, v89
	v_add_f32_e32 v43, 0, v43
	v_add_f32_e32 v46, 0, v105
	v_mul_f32_e32 v73, v50, v76
	s_waitcnt vmcnt(14)
	v_fma_f32 v44, v47, v90, -v44
	v_fmac_f32_e32 v107, v48, v90
	v_add_f32_e32 v43, v43, v45
	v_add_f32_e32 v45, v46, v106
	;; [unrolled: 6-line block ×11, first 2 shown]
	v_mul_f32_e32 v46, v70, v86
	s_waitcnt vmcnt(4)
	v_fma_f32 v47, v67, v100, -v47
	v_mul_f32_e32 v118, v69, v86
	v_add_f32_e32 v43, v43, v45
	v_fmac_f32_e32 v117, v68, v100
	v_add_f32_e32 v44, v44, v116
	s_waitcnt lgkmcnt(0)
	v_mul_f32_e32 v45, v72, v87
	s_waitcnt vmcnt(3)
	v_fma_f32 v46, v69, v101, -v46
	v_add_f32_e32 v43, v43, v47
	v_mul_f32_e32 v119, v71, v87
	v_fmac_f32_e32 v118, v70, v101
	v_add_f32_e32 v44, v44, v117
	s_waitcnt vmcnt(2)
	v_fma_f32 v45, v71, v102, -v45
	v_add_f32_e32 v43, v43, v46
	v_fmac_f32_e32 v119, v72, v102
	v_add_f32_e32 v44, v44, v118
	v_add_f32_e32 v43, v43, v45
	;; [unrolled: 1-line block ×3, first 2 shown]
	s_waitcnt vmcnt(1)
	v_sub_f32_e32 v43, v103, v43
	s_waitcnt vmcnt(0)
	v_sub_f32_e32 v44, v104, v44
	buffer_store_dword v43, off, s[0:3], 0 offset:32
	buffer_store_dword v44, off, s[0:3], 0 offset:36
	v_cmpx_lt_u32_e32 3, v0
	s_cbranch_execz .LBB83_127
; %bb.126:
	s_clause 0x1
	buffer_load_dword v43, off, s[0:3], 0 offset:24
	buffer_load_dword v44, off, s[0:3], 0 offset:28
	buffer_store_dword v42, off, s[0:3], 0 offset:24
	buffer_store_dword v42, off, s[0:3], 0 offset:28
	s_waitcnt vmcnt(0)
	ds_write_b64 v41, v[43:44]
.LBB83_127:
	s_or_b32 exec_lo, exec_lo, s4
	s_waitcnt lgkmcnt(0)
	s_waitcnt_vscnt null, 0x0
	s_barrier
	buffer_gl0_inv
	s_clause 0x21
	buffer_load_dword v75, off, s[0:3], 0 offset:36
	buffer_load_dword v76, off, s[0:3], 0 offset:44
	;; [unrolled: 1-line block ×34, first 2 shown]
	ds_read_b128 v[43:46], v42 offset:192
	ds_read_b128 v[47:50], v42 offset:208
	;; [unrolled: 1-line block ×8, first 2 shown]
	s_mov_b32 s4, exec_lo
	s_waitcnt vmcnt(33) lgkmcnt(7)
	v_mul_f32_e32 v42, v43, v75
	v_mul_f32_e32 v75, v44, v75
	s_waitcnt vmcnt(32)
	v_mul_f32_e32 v109, v45, v76
	v_mul_f32_e32 v76, v46, v76
	s_waitcnt vmcnt(31) lgkmcnt(6)
	v_mul_f32_e32 v110, v47, v77
	s_waitcnt vmcnt(30)
	v_mul_f32_e32 v111, v49, v78
	s_waitcnt vmcnt(29) lgkmcnt(5)
	v_mul_f32_e32 v112, v51, v79
	s_waitcnt vmcnt(28)
	;; [unrolled: 4-line block ×6, first 2 shown]
	v_mul_f32_e32 v121, v69, v88
	s_waitcnt vmcnt(17)
	v_fma_f32 v43, v43, v91, -v75
	v_fmac_f32_e32 v42, v44, v91
	v_mul_f32_e32 v44, v48, v77
	s_waitcnt vmcnt(16)
	v_fma_f32 v45, v45, v92, -v76
	v_fmac_f32_e32 v109, v46, v92
	v_add_f32_e32 v43, 0, v43
	v_add_f32_e32 v42, 0, v42
	v_mul_f32_e32 v46, v50, v78
	s_waitcnt vmcnt(15)
	v_fma_f32 v44, v47, v93, -v44
	v_fmac_f32_e32 v110, v48, v93
	v_add_f32_e32 v43, v43, v45
	v_add_f32_e32 v42, v42, v109
	;; [unrolled: 6-line block ×12, first 2 shown]
	s_waitcnt lgkmcnt(0)
	v_mul_f32_e32 v44, v72, v89
	s_waitcnt vmcnt(4)
	v_fma_f32 v45, v69, v104, -v45
	v_mul_f32_e32 v122, v71, v89
	v_add_f32_e32 v43, v43, v46
	v_fmac_f32_e32 v121, v70, v104
	v_add_f32_e32 v42, v42, v120
	v_mul_f32_e32 v46, v74, v90
	s_waitcnt vmcnt(3)
	v_fma_f32 v44, v71, v105, -v44
	v_add_f32_e32 v43, v43, v45
	v_mul_f32_e32 v123, v73, v90
	v_fmac_f32_e32 v122, v72, v105
	v_add_f32_e32 v42, v42, v121
	s_waitcnt vmcnt(2)
	v_fma_f32 v45, v73, v106, -v46
	v_add_f32_e32 v43, v43, v44
	v_fmac_f32_e32 v123, v74, v106
	v_add_f32_e32 v42, v42, v122
	v_add_f32_e32 v43, v43, v45
	;; [unrolled: 1-line block ×3, first 2 shown]
	s_waitcnt vmcnt(1)
	v_sub_f32_e32 v43, v107, v43
	s_waitcnt vmcnt(0)
	v_sub_f32_e32 v42, v108, v42
	buffer_store_dword v43, off, s[0:3], 0 offset:24
	buffer_store_dword v42, off, s[0:3], 0 offset:28
	v_cmpx_lt_u32_e32 2, v0
	s_cbranch_execz .LBB83_129
; %bb.128:
	s_clause 0x1
	buffer_load_dword v42, off, s[0:3], 0 offset:16
	buffer_load_dword v43, off, s[0:3], 0 offset:20
	v_mov_b32_e32 v44, 0
	buffer_store_dword v44, off, s[0:3], 0 offset:16
	buffer_store_dword v44, off, s[0:3], 0 offset:20
	s_waitcnt vmcnt(0)
	ds_write_b64 v41, v[42:43]
.LBB83_129:
	s_or_b32 exec_lo, exec_lo, s4
	s_waitcnt lgkmcnt(0)
	s_waitcnt_vscnt null, 0x0
	s_barrier
	buffer_gl0_inv
	s_clause 0x23
	buffer_load_dword v77, off, s[0:3], 0 offset:28
	buffer_load_dword v78, off, s[0:3], 0 offset:36
	;; [unrolled: 1-line block ×36, first 2 shown]
	v_mov_b32_e32 v42, 0
	ds_read2_b64 v[43:46], v42 offset0:23 offset1:24
	ds_read2_b64 v[47:50], v42 offset0:25 offset1:26
	;; [unrolled: 1-line block ×8, first 2 shown]
	ds_read_b64 v[75:76], v42 offset:312
	s_mov_b32 s4, exec_lo
	s_waitcnt vmcnt(35) lgkmcnt(8)
	v_mul_f32_e32 v113, v43, v77
	v_mul_f32_e32 v77, v44, v77
	s_waitcnt vmcnt(34)
	v_mul_f32_e32 v114, v45, v78
	v_mul_f32_e32 v78, v46, v78
	s_waitcnt vmcnt(33) lgkmcnt(7)
	v_mul_f32_e32 v115, v47, v79
	s_waitcnt vmcnt(32)
	v_mul_f32_e32 v116, v49, v80
	s_waitcnt vmcnt(31) lgkmcnt(6)
	v_mul_f32_e32 v117, v51, v81
	s_waitcnt vmcnt(30)
	;; [unrolled: 4-line block ×7, first 2 shown]
	v_fma_f32 v43, v43, v94, -v77
	v_fmac_f32_e32 v113, v44, v94
	v_mul_f32_e32 v44, v48, v79
	s_waitcnt vmcnt(17)
	v_fma_f32 v45, v45, v95, -v78
	v_fmac_f32_e32 v114, v46, v95
	v_add_f32_e32 v43, 0, v43
	v_add_f32_e32 v46, 0, v113
	v_mul_f32_e32 v77, v50, v80
	s_waitcnt vmcnt(16)
	v_fma_f32 v44, v47, v96, -v44
	v_fmac_f32_e32 v115, v48, v96
	v_add_f32_e32 v43, v43, v45
	v_add_f32_e32 v45, v46, v114
	;; [unrolled: 6-line block ×13, first 2 shown]
	v_mul_f32_e32 v47, v74, v92
	s_waitcnt vmcnt(4)
	v_fma_f32 v45, v71, v108, -v45
	v_mul_f32_e32 v128, v73, v92
	v_add_f32_e32 v43, v43, v46
	v_fmac_f32_e32 v127, v72, v108
	v_add_f32_e32 v44, v44, v126
	s_waitcnt lgkmcnt(0)
	v_mul_f32_e32 v46, v76, v93
	s_waitcnt vmcnt(3)
	v_fma_f32 v47, v73, v109, -v47
	v_add_f32_e32 v43, v43, v45
	v_mul_f32_e32 v129, v75, v93
	v_fmac_f32_e32 v128, v74, v109
	v_add_f32_e32 v44, v44, v127
	s_waitcnt vmcnt(2)
	v_fma_f32 v45, v75, v110, -v46
	v_add_f32_e32 v43, v43, v47
	v_fmac_f32_e32 v129, v76, v110
	v_add_f32_e32 v44, v44, v128
	v_add_f32_e32 v43, v43, v45
	;; [unrolled: 1-line block ×3, first 2 shown]
	s_waitcnt vmcnt(1)
	v_sub_f32_e32 v43, v111, v43
	s_waitcnt vmcnt(0)
	v_sub_f32_e32 v44, v112, v44
	buffer_store_dword v43, off, s[0:3], 0 offset:16
	buffer_store_dword v44, off, s[0:3], 0 offset:20
	v_cmpx_lt_u32_e32 1, v0
	s_cbranch_execz .LBB83_131
; %bb.130:
	s_clause 0x1
	buffer_load_dword v43, off, s[0:3], 0 offset:8
	buffer_load_dword v44, off, s[0:3], 0 offset:12
	buffer_store_dword v42, off, s[0:3], 0 offset:8
	buffer_store_dword v42, off, s[0:3], 0 offset:12
	s_waitcnt vmcnt(0)
	ds_write_b64 v41, v[43:44]
.LBB83_131:
	s_or_b32 exec_lo, exec_lo, s4
	s_waitcnt lgkmcnt(0)
	s_waitcnt_vscnt null, 0x0
	s_barrier
	buffer_gl0_inv
	s_clause 0x25
	buffer_load_dword v79, off, s[0:3], 0 offset:20
	buffer_load_dword v80, off, s[0:3], 0 offset:28
	;; [unrolled: 1-line block ×38, first 2 shown]
	ds_read_b128 v[43:46], v42 offset:176
	ds_read_b128 v[47:50], v42 offset:192
	;; [unrolled: 1-line block ×9, first 2 shown]
	s_mov_b32 s4, exec_lo
	s_waitcnt vmcnt(37) lgkmcnt(8)
	v_mul_f32_e32 v42, v43, v79
	v_mul_f32_e32 v79, v44, v79
	s_waitcnt vmcnt(36)
	v_mul_f32_e32 v117, v45, v80
	v_mul_f32_e32 v80, v46, v80
	s_waitcnt vmcnt(35) lgkmcnt(7)
	v_mul_f32_e32 v118, v47, v81
	s_waitcnt vmcnt(34)
	v_mul_f32_e32 v119, v49, v82
	s_waitcnt vmcnt(33) lgkmcnt(6)
	v_mul_f32_e32 v120, v51, v83
	s_waitcnt vmcnt(32)
	;; [unrolled: 4-line block ×7, first 2 shown]
	v_mul_f32_e32 v131, v73, v94
	s_waitcnt vmcnt(19)
	v_fma_f32 v43, v43, v97, -v79
	v_fmac_f32_e32 v42, v44, v97
	v_mul_f32_e32 v44, v48, v81
	s_waitcnt vmcnt(18)
	v_fma_f32 v45, v45, v98, -v80
	v_fmac_f32_e32 v117, v46, v98
	v_add_f32_e32 v43, 0, v43
	v_add_f32_e32 v42, 0, v42
	v_mul_f32_e32 v46, v50, v82
	s_waitcnt vmcnt(17)
	v_fma_f32 v44, v47, v99, -v44
	v_fmac_f32_e32 v118, v48, v99
	v_add_f32_e32 v43, v43, v45
	v_add_f32_e32 v42, v42, v117
	;; [unrolled: 6-line block ×14, first 2 shown]
	s_waitcnt lgkmcnt(0)
	v_mul_f32_e32 v45, v76, v95
	s_waitcnt vmcnt(4)
	v_fma_f32 v46, v73, v112, -v46
	v_mul_f32_e32 v132, v75, v95
	v_add_f32_e32 v43, v43, v44
	v_fmac_f32_e32 v131, v74, v112
	v_add_f32_e32 v42, v42, v130
	v_mul_f32_e32 v44, v78, v96
	s_waitcnt vmcnt(3)
	v_fma_f32 v45, v75, v113, -v45
	v_add_f32_e32 v43, v43, v46
	v_mul_f32_e32 v133, v77, v96
	v_fmac_f32_e32 v132, v76, v113
	v_add_f32_e32 v42, v42, v131
	s_waitcnt vmcnt(2)
	v_fma_f32 v44, v77, v114, -v44
	v_add_f32_e32 v43, v43, v45
	v_fmac_f32_e32 v133, v78, v114
	v_add_f32_e32 v42, v42, v132
	v_add_f32_e32 v43, v43, v44
	;; [unrolled: 1-line block ×3, first 2 shown]
	s_waitcnt vmcnt(1)
	v_sub_f32_e32 v43, v115, v43
	s_waitcnt vmcnt(0)
	v_sub_f32_e32 v42, v116, v42
	buffer_store_dword v43, off, s[0:3], 0 offset:8
	buffer_store_dword v42, off, s[0:3], 0 offset:12
	v_cmpx_ne_u32_e32 0, v0
	s_cbranch_execz .LBB83_133
; %bb.132:
	s_clause 0x1
	buffer_load_dword v42, off, s[0:3], 0
	buffer_load_dword v43, off, s[0:3], 0 offset:4
	v_mov_b32_e32 v0, 0
	buffer_store_dword v0, off, s[0:3], 0
	buffer_store_dword v0, off, s[0:3], 0 offset:4
	s_waitcnt vmcnt(0)
	ds_write_b64 v41, v[42:43]
.LBB83_133:
	s_or_b32 exec_lo, exec_lo, s4
	s_waitcnt lgkmcnt(0)
	s_waitcnt_vscnt null, 0x0
	s_barrier
	buffer_gl0_inv
	s_clause 0x27
	buffer_load_dword v79, off, s[0:3], 0 offset:12
	buffer_load_dword v80, off, s[0:3], 0 offset:20
	;; [unrolled: 1-line block ×38, first 2 shown]
	buffer_load_dword v117, off, s[0:3], 0
	buffer_load_dword v118, off, s[0:3], 0 offset:4
	v_mov_b32_e32 v0, 0
	ds_read2_b64 v[41:44], v0 offset0:21 offset1:22
	ds_read2_b64 v[45:48], v0 offset0:23 offset1:24
	;; [unrolled: 1-line block ×9, first 2 shown]
	ds_read_b64 v[77:78], v0 offset:312
	s_and_b32 vcc_lo, exec_lo, s16
	s_waitcnt vmcnt(39) lgkmcnt(9)
	v_mul_f32_e32 v119, v41, v79
	v_mul_f32_e32 v79, v42, v79
	s_waitcnt vmcnt(38)
	v_mul_f32_e32 v120, v43, v80
	v_mul_f32_e32 v80, v44, v80
	s_waitcnt vmcnt(37) lgkmcnt(8)
	v_mul_f32_e32 v121, v45, v81
	s_waitcnt vmcnt(36)
	v_mul_f32_e32 v122, v47, v82
	s_waitcnt vmcnt(35) lgkmcnt(7)
	v_mul_f32_e32 v123, v49, v83
	s_waitcnt vmcnt(34)
	;; [unrolled: 4-line block ×8, first 2 shown]
	v_fma_f32 v41, v41, v98, -v79
	v_fmac_f32_e32 v119, v42, v98
	v_mul_f32_e32 v42, v46, v81
	s_waitcnt vmcnt(19)
	v_fma_f32 v43, v43, v99, -v80
	v_fmac_f32_e32 v120, v44, v99
	v_add_f32_e32 v41, 0, v41
	v_add_f32_e32 v44, 0, v119
	v_mul_f32_e32 v79, v48, v82
	s_waitcnt vmcnt(18)
	v_fma_f32 v42, v45, v100, -v42
	v_fmac_f32_e32 v121, v46, v100
	v_add_f32_e32 v41, v41, v43
	v_add_f32_e32 v43, v44, v120
	v_mul_f32_e32 v44, v50, v83
	s_waitcnt vmcnt(17)
	v_fma_f32 v45, v47, v101, -v79
	v_fmac_f32_e32 v122, v48, v101
	v_add_f32_e32 v41, v41, v42
	v_add_f32_e32 v42, v43, v121
	v_mul_f32_e32 v43, v52, v84
	s_waitcnt vmcnt(16)
	v_fma_f32 v44, v49, v102, -v44
	v_fmac_f32_e32 v123, v50, v102
	v_add_f32_e32 v41, v41, v45
	v_add_f32_e32 v42, v42, v122
	v_mul_f32_e32 v45, v54, v85
	s_waitcnt vmcnt(15)
	v_fma_f32 v43, v51, v103, -v43
	v_fmac_f32_e32 v124, v52, v103
	v_add_f32_e32 v41, v41, v44
	v_add_f32_e32 v42, v42, v123
	v_mul_f32_e32 v44, v56, v86
	s_waitcnt vmcnt(14)
	v_fma_f32 v45, v53, v104, -v45
	v_fmac_f32_e32 v125, v54, v104
	v_add_f32_e32 v41, v41, v43
	v_add_f32_e32 v42, v42, v124
	v_mul_f32_e32 v43, v58, v87
	s_waitcnt vmcnt(13)
	v_fma_f32 v44, v55, v105, -v44
	v_fmac_f32_e32 v126, v56, v105
	v_add_f32_e32 v41, v41, v45
	v_add_f32_e32 v42, v42, v125
	v_mul_f32_e32 v45, v60, v88
	s_waitcnt vmcnt(12)
	v_fma_f32 v43, v57, v106, -v43
	v_fmac_f32_e32 v127, v58, v106
	v_add_f32_e32 v41, v41, v44
	v_add_f32_e32 v42, v42, v126
	v_mul_f32_e32 v44, v62, v89
	s_waitcnt vmcnt(11)
	v_fma_f32 v45, v59, v107, -v45
	v_fmac_f32_e32 v128, v60, v107
	v_add_f32_e32 v41, v41, v43
	v_add_f32_e32 v42, v42, v127
	v_mul_f32_e32 v43, v64, v90
	s_waitcnt vmcnt(10)
	v_fma_f32 v44, v61, v108, -v44
	v_fmac_f32_e32 v129, v62, v108
	v_add_f32_e32 v41, v41, v45
	v_add_f32_e32 v42, v42, v128
	v_mul_f32_e32 v45, v66, v91
	s_waitcnt vmcnt(9)
	v_fma_f32 v43, v63, v109, -v43
	v_fmac_f32_e32 v130, v64, v109
	v_add_f32_e32 v41, v41, v44
	v_add_f32_e32 v42, v42, v129
	v_mul_f32_e32 v44, v68, v92
	s_waitcnt vmcnt(8)
	v_fma_f32 v45, v65, v110, -v45
	v_fmac_f32_e32 v131, v66, v110
	v_add_f32_e32 v41, v41, v43
	v_add_f32_e32 v42, v42, v130
	v_mul_f32_e32 v43, v70, v93
	s_waitcnt vmcnt(7)
	v_fma_f32 v44, v67, v111, -v44
	v_fmac_f32_e32 v132, v68, v111
	v_add_f32_e32 v41, v41, v45
	v_add_f32_e32 v42, v42, v131
	v_mul_f32_e32 v45, v72, v94
	s_waitcnt vmcnt(6)
	v_fma_f32 v43, v69, v112, -v43
	v_fmac_f32_e32 v133, v70, v112
	v_add_f32_e32 v41, v41, v44
	v_add_f32_e32 v42, v42, v132
	v_mul_f32_e32 v44, v74, v95
	s_waitcnt vmcnt(5)
	v_fma_f32 v45, v71, v113, -v45
	v_fmac_f32_e32 v134, v72, v113
	v_add_f32_e32 v41, v41, v43
	v_add_f32_e32 v42, v42, v133
	v_mul_f32_e32 v43, v76, v96
	s_waitcnt vmcnt(4)
	v_fma_f32 v44, v73, v114, -v44
	v_mul_f32_e32 v136, v75, v96
	v_add_f32_e32 v41, v41, v45
	v_fmac_f32_e32 v135, v74, v114
	v_add_f32_e32 v42, v42, v134
	s_waitcnt lgkmcnt(0)
	v_mul_f32_e32 v45, v78, v97
	s_waitcnt vmcnt(3)
	v_fma_f32 v43, v75, v115, -v43
	v_add_f32_e32 v41, v41, v44
	v_mul_f32_e32 v137, v77, v97
	v_fmac_f32_e32 v136, v76, v115
	v_add_f32_e32 v42, v42, v135
	s_waitcnt vmcnt(2)
	v_fma_f32 v44, v77, v116, -v45
	v_add_f32_e32 v41, v41, v43
	v_fmac_f32_e32 v137, v78, v116
	v_add_f32_e32 v42, v42, v136
	v_add_f32_e32 v41, v41, v44
	;; [unrolled: 1-line block ×3, first 2 shown]
	s_waitcnt vmcnt(1)
	v_sub_f32_e32 v41, v117, v41
	s_waitcnt vmcnt(0)
	v_sub_f32_e32 v42, v118, v42
	buffer_store_dword v41, off, s[0:3], 0
	buffer_store_dword v42, off, s[0:3], 0 offset:4
	s_cbranch_vccz .LBB83_172
; %bb.134:
	global_load_dword v0, v0, s[12:13] offset:72
	s_waitcnt vmcnt(0)
	v_add_nc_u32_e32 v0, -1, v0
	v_cmp_ne_u32_e32 vcc_lo, 18, v0
	s_cbranch_vccz .LBB83_136
; %bb.135:
	v_lshlrev_b32_e32 v0, 3, v0
	s_clause 0x3
	buffer_load_dword v41, v0, s[0:3], 0 offen
	buffer_load_dword v42, v0, s[0:3], 0 offen offset:4
	buffer_load_dword v43, off, s[0:3], 0 offset:148
	buffer_load_dword v44, off, s[0:3], 0 offset:144
	s_waitcnt vmcnt(3)
	buffer_store_dword v41, off, s[0:3], 0 offset:144
	s_waitcnt vmcnt(2)
	buffer_store_dword v42, off, s[0:3], 0 offset:148
	s_waitcnt vmcnt(1)
	buffer_store_dword v43, v0, s[0:3], 0 offen offset:4
	s_waitcnt vmcnt(0)
	buffer_store_dword v44, v0, s[0:3], 0 offen
.LBB83_136:
	v_mov_b32_e32 v0, 0
	global_load_dword v41, v0, s[12:13] offset:68
	s_waitcnt vmcnt(0)
	v_add_nc_u32_e32 v41, -1, v41
	v_cmp_eq_u32_e32 vcc_lo, 17, v41
	s_cbranch_vccnz .LBB83_138
; %bb.137:
	v_lshlrev_b32_e32 v41, 3, v41
	s_clause 0x3
	buffer_load_dword v42, v41, s[0:3], 0 offen
	buffer_load_dword v43, v41, s[0:3], 0 offen offset:4
	buffer_load_dword v44, off, s[0:3], 0 offset:136
	buffer_load_dword v45, off, s[0:3], 0 offset:140
	s_waitcnt vmcnt(3)
	buffer_store_dword v42, off, s[0:3], 0 offset:136
	s_waitcnt vmcnt(2)
	buffer_store_dword v43, off, s[0:3], 0 offset:140
	s_waitcnt vmcnt(1)
	buffer_store_dword v44, v41, s[0:3], 0 offen
	s_waitcnt vmcnt(0)
	buffer_store_dword v45, v41, s[0:3], 0 offen offset:4
.LBB83_138:
	global_load_dword v0, v0, s[12:13] offset:64
	s_waitcnt vmcnt(0)
	v_add_nc_u32_e32 v0, -1, v0
	v_cmp_eq_u32_e32 vcc_lo, 16, v0
	s_cbranch_vccnz .LBB83_140
; %bb.139:
	v_lshlrev_b32_e32 v0, 3, v0
	s_clause 0x3
	buffer_load_dword v41, v0, s[0:3], 0 offen
	buffer_load_dword v42, v0, s[0:3], 0 offen offset:4
	buffer_load_dword v43, off, s[0:3], 0 offset:132
	buffer_load_dword v44, off, s[0:3], 0 offset:128
	s_waitcnt vmcnt(3)
	buffer_store_dword v41, off, s[0:3], 0 offset:128
	s_waitcnt vmcnt(2)
	buffer_store_dword v42, off, s[0:3], 0 offset:132
	s_waitcnt vmcnt(1)
	buffer_store_dword v43, v0, s[0:3], 0 offen offset:4
	s_waitcnt vmcnt(0)
	buffer_store_dword v44, v0, s[0:3], 0 offen
.LBB83_140:
	v_mov_b32_e32 v0, 0
	global_load_dword v41, v0, s[12:13] offset:60
	s_waitcnt vmcnt(0)
	v_add_nc_u32_e32 v41, -1, v41
	v_cmp_eq_u32_e32 vcc_lo, 15, v41
	s_cbranch_vccnz .LBB83_142
; %bb.141:
	v_lshlrev_b32_e32 v41, 3, v41
	s_clause 0x3
	buffer_load_dword v42, v41, s[0:3], 0 offen
	buffer_load_dword v43, v41, s[0:3], 0 offen offset:4
	buffer_load_dword v44, off, s[0:3], 0 offset:120
	buffer_load_dword v45, off, s[0:3], 0 offset:124
	s_waitcnt vmcnt(3)
	buffer_store_dword v42, off, s[0:3], 0 offset:120
	s_waitcnt vmcnt(2)
	buffer_store_dword v43, off, s[0:3], 0 offset:124
	s_waitcnt vmcnt(1)
	buffer_store_dword v44, v41, s[0:3], 0 offen
	s_waitcnt vmcnt(0)
	buffer_store_dword v45, v41, s[0:3], 0 offen offset:4
.LBB83_142:
	global_load_dword v0, v0, s[12:13] offset:56
	s_waitcnt vmcnt(0)
	v_add_nc_u32_e32 v0, -1, v0
	v_cmp_eq_u32_e32 vcc_lo, 14, v0
	s_cbranch_vccnz .LBB83_144
; %bb.143:
	v_lshlrev_b32_e32 v0, 3, v0
	s_clause 0x3
	buffer_load_dword v41, v0, s[0:3], 0 offen
	buffer_load_dword v42, v0, s[0:3], 0 offen offset:4
	buffer_load_dword v43, off, s[0:3], 0 offset:116
	buffer_load_dword v44, off, s[0:3], 0 offset:112
	s_waitcnt vmcnt(3)
	buffer_store_dword v41, off, s[0:3], 0 offset:112
	s_waitcnt vmcnt(2)
	buffer_store_dword v42, off, s[0:3], 0 offset:116
	s_waitcnt vmcnt(1)
	buffer_store_dword v43, v0, s[0:3], 0 offen offset:4
	s_waitcnt vmcnt(0)
	buffer_store_dword v44, v0, s[0:3], 0 offen
.LBB83_144:
	v_mov_b32_e32 v0, 0
	global_load_dword v41, v0, s[12:13] offset:52
	s_waitcnt vmcnt(0)
	v_add_nc_u32_e32 v41, -1, v41
	v_cmp_eq_u32_e32 vcc_lo, 13, v41
	s_cbranch_vccnz .LBB83_146
; %bb.145:
	v_lshlrev_b32_e32 v41, 3, v41
	s_clause 0x3
	buffer_load_dword v42, v41, s[0:3], 0 offen
	buffer_load_dword v43, v41, s[0:3], 0 offen offset:4
	buffer_load_dword v44, off, s[0:3], 0 offset:104
	buffer_load_dword v45, off, s[0:3], 0 offset:108
	s_waitcnt vmcnt(3)
	buffer_store_dword v42, off, s[0:3], 0 offset:104
	s_waitcnt vmcnt(2)
	buffer_store_dword v43, off, s[0:3], 0 offset:108
	s_waitcnt vmcnt(1)
	buffer_store_dword v44, v41, s[0:3], 0 offen
	s_waitcnt vmcnt(0)
	buffer_store_dword v45, v41, s[0:3], 0 offen offset:4
.LBB83_146:
	global_load_dword v0, v0, s[12:13] offset:48
	s_waitcnt vmcnt(0)
	v_add_nc_u32_e32 v0, -1, v0
	v_cmp_eq_u32_e32 vcc_lo, 12, v0
	s_cbranch_vccnz .LBB83_148
; %bb.147:
	v_lshlrev_b32_e32 v0, 3, v0
	s_clause 0x3
	buffer_load_dword v41, v0, s[0:3], 0 offen
	buffer_load_dword v42, v0, s[0:3], 0 offen offset:4
	buffer_load_dword v43, off, s[0:3], 0 offset:100
	buffer_load_dword v44, off, s[0:3], 0 offset:96
	s_waitcnt vmcnt(3)
	buffer_store_dword v41, off, s[0:3], 0 offset:96
	s_waitcnt vmcnt(2)
	buffer_store_dword v42, off, s[0:3], 0 offset:100
	s_waitcnt vmcnt(1)
	buffer_store_dword v43, v0, s[0:3], 0 offen offset:4
	s_waitcnt vmcnt(0)
	buffer_store_dword v44, v0, s[0:3], 0 offen
.LBB83_148:
	v_mov_b32_e32 v0, 0
	global_load_dword v41, v0, s[12:13] offset:44
	s_waitcnt vmcnt(0)
	v_add_nc_u32_e32 v41, -1, v41
	v_cmp_eq_u32_e32 vcc_lo, 11, v41
	s_cbranch_vccnz .LBB83_150
; %bb.149:
	v_lshlrev_b32_e32 v41, 3, v41
	s_clause 0x3
	buffer_load_dword v42, v41, s[0:3], 0 offen
	buffer_load_dword v43, v41, s[0:3], 0 offen offset:4
	buffer_load_dword v44, off, s[0:3], 0 offset:88
	buffer_load_dword v45, off, s[0:3], 0 offset:92
	s_waitcnt vmcnt(3)
	buffer_store_dword v42, off, s[0:3], 0 offset:88
	s_waitcnt vmcnt(2)
	buffer_store_dword v43, off, s[0:3], 0 offset:92
	s_waitcnt vmcnt(1)
	buffer_store_dword v44, v41, s[0:3], 0 offen
	s_waitcnt vmcnt(0)
	buffer_store_dword v45, v41, s[0:3], 0 offen offset:4
.LBB83_150:
	global_load_dword v0, v0, s[12:13] offset:40
	s_waitcnt vmcnt(0)
	v_add_nc_u32_e32 v0, -1, v0
	v_cmp_eq_u32_e32 vcc_lo, 10, v0
	s_cbranch_vccnz .LBB83_152
; %bb.151:
	v_lshlrev_b32_e32 v0, 3, v0
	s_clause 0x3
	buffer_load_dword v41, v0, s[0:3], 0 offen
	buffer_load_dword v42, v0, s[0:3], 0 offen offset:4
	buffer_load_dword v43, off, s[0:3], 0 offset:84
	buffer_load_dword v44, off, s[0:3], 0 offset:80
	s_waitcnt vmcnt(3)
	buffer_store_dword v41, off, s[0:3], 0 offset:80
	s_waitcnt vmcnt(2)
	buffer_store_dword v42, off, s[0:3], 0 offset:84
	s_waitcnt vmcnt(1)
	buffer_store_dword v43, v0, s[0:3], 0 offen offset:4
	s_waitcnt vmcnt(0)
	buffer_store_dword v44, v0, s[0:3], 0 offen
.LBB83_152:
	v_mov_b32_e32 v0, 0
	global_load_dword v41, v0, s[12:13] offset:36
	s_waitcnt vmcnt(0)
	v_add_nc_u32_e32 v41, -1, v41
	v_cmp_eq_u32_e32 vcc_lo, 9, v41
	s_cbranch_vccnz .LBB83_154
; %bb.153:
	v_lshlrev_b32_e32 v41, 3, v41
	s_clause 0x3
	buffer_load_dword v42, v41, s[0:3], 0 offen
	buffer_load_dword v43, v41, s[0:3], 0 offen offset:4
	buffer_load_dword v44, off, s[0:3], 0 offset:72
	buffer_load_dword v45, off, s[0:3], 0 offset:76
	s_waitcnt vmcnt(3)
	buffer_store_dword v42, off, s[0:3], 0 offset:72
	s_waitcnt vmcnt(2)
	buffer_store_dword v43, off, s[0:3], 0 offset:76
	s_waitcnt vmcnt(1)
	buffer_store_dword v44, v41, s[0:3], 0 offen
	s_waitcnt vmcnt(0)
	buffer_store_dword v45, v41, s[0:3], 0 offen offset:4
.LBB83_154:
	global_load_dword v0, v0, s[12:13] offset:32
	s_waitcnt vmcnt(0)
	v_add_nc_u32_e32 v0, -1, v0
	v_cmp_eq_u32_e32 vcc_lo, 8, v0
	s_cbranch_vccnz .LBB83_156
; %bb.155:
	v_lshlrev_b32_e32 v0, 3, v0
	s_clause 0x3
	buffer_load_dword v41, v0, s[0:3], 0 offen
	buffer_load_dword v42, v0, s[0:3], 0 offen offset:4
	buffer_load_dword v43, off, s[0:3], 0 offset:68
	buffer_load_dword v44, off, s[0:3], 0 offset:64
	s_waitcnt vmcnt(3)
	buffer_store_dword v41, off, s[0:3], 0 offset:64
	s_waitcnt vmcnt(2)
	buffer_store_dword v42, off, s[0:3], 0 offset:68
	s_waitcnt vmcnt(1)
	buffer_store_dword v43, v0, s[0:3], 0 offen offset:4
	s_waitcnt vmcnt(0)
	buffer_store_dword v44, v0, s[0:3], 0 offen
.LBB83_156:
	v_mov_b32_e32 v0, 0
	global_load_dword v41, v0, s[12:13] offset:28
	s_waitcnt vmcnt(0)
	v_add_nc_u32_e32 v41, -1, v41
	v_cmp_eq_u32_e32 vcc_lo, 7, v41
	s_cbranch_vccnz .LBB83_158
; %bb.157:
	v_lshlrev_b32_e32 v41, 3, v41
	s_clause 0x3
	buffer_load_dword v42, v41, s[0:3], 0 offen
	buffer_load_dword v43, v41, s[0:3], 0 offen offset:4
	buffer_load_dword v44, off, s[0:3], 0 offset:56
	buffer_load_dword v45, off, s[0:3], 0 offset:60
	s_waitcnt vmcnt(3)
	buffer_store_dword v42, off, s[0:3], 0 offset:56
	s_waitcnt vmcnt(2)
	buffer_store_dword v43, off, s[0:3], 0 offset:60
	s_waitcnt vmcnt(1)
	buffer_store_dword v44, v41, s[0:3], 0 offen
	s_waitcnt vmcnt(0)
	buffer_store_dword v45, v41, s[0:3], 0 offen offset:4
.LBB83_158:
	global_load_dword v0, v0, s[12:13] offset:24
	s_waitcnt vmcnt(0)
	v_add_nc_u32_e32 v0, -1, v0
	v_cmp_eq_u32_e32 vcc_lo, 6, v0
	s_cbranch_vccnz .LBB83_160
; %bb.159:
	v_lshlrev_b32_e32 v0, 3, v0
	s_clause 0x3
	buffer_load_dword v41, v0, s[0:3], 0 offen
	buffer_load_dword v42, v0, s[0:3], 0 offen offset:4
	buffer_load_dword v43, off, s[0:3], 0 offset:52
	buffer_load_dword v44, off, s[0:3], 0 offset:48
	s_waitcnt vmcnt(3)
	buffer_store_dword v41, off, s[0:3], 0 offset:48
	s_waitcnt vmcnt(2)
	buffer_store_dword v42, off, s[0:3], 0 offset:52
	s_waitcnt vmcnt(1)
	buffer_store_dword v43, v0, s[0:3], 0 offen offset:4
	s_waitcnt vmcnt(0)
	buffer_store_dword v44, v0, s[0:3], 0 offen
.LBB83_160:
	v_mov_b32_e32 v0, 0
	global_load_dword v41, v0, s[12:13] offset:20
	s_waitcnt vmcnt(0)
	v_add_nc_u32_e32 v41, -1, v41
	v_cmp_eq_u32_e32 vcc_lo, 5, v41
	s_cbranch_vccnz .LBB83_162
; %bb.161:
	v_lshlrev_b32_e32 v41, 3, v41
	s_clause 0x3
	buffer_load_dword v42, v41, s[0:3], 0 offen
	buffer_load_dword v43, v41, s[0:3], 0 offen offset:4
	buffer_load_dword v44, off, s[0:3], 0 offset:40
	buffer_load_dword v45, off, s[0:3], 0 offset:44
	s_waitcnt vmcnt(3)
	buffer_store_dword v42, off, s[0:3], 0 offset:40
	s_waitcnt vmcnt(2)
	buffer_store_dword v43, off, s[0:3], 0 offset:44
	s_waitcnt vmcnt(1)
	buffer_store_dword v44, v41, s[0:3], 0 offen
	s_waitcnt vmcnt(0)
	buffer_store_dword v45, v41, s[0:3], 0 offen offset:4
.LBB83_162:
	global_load_dword v0, v0, s[12:13] offset:16
	s_waitcnt vmcnt(0)
	v_add_nc_u32_e32 v0, -1, v0
	v_cmp_eq_u32_e32 vcc_lo, 4, v0
	s_cbranch_vccnz .LBB83_164
; %bb.163:
	v_lshlrev_b32_e32 v0, 3, v0
	s_clause 0x3
	buffer_load_dword v41, v0, s[0:3], 0 offen
	buffer_load_dword v42, v0, s[0:3], 0 offen offset:4
	buffer_load_dword v43, off, s[0:3], 0 offset:36
	buffer_load_dword v44, off, s[0:3], 0 offset:32
	s_waitcnt vmcnt(3)
	buffer_store_dword v41, off, s[0:3], 0 offset:32
	s_waitcnt vmcnt(2)
	buffer_store_dword v42, off, s[0:3], 0 offset:36
	s_waitcnt vmcnt(1)
	buffer_store_dword v43, v0, s[0:3], 0 offen offset:4
	s_waitcnt vmcnt(0)
	buffer_store_dword v44, v0, s[0:3], 0 offen
.LBB83_164:
	v_mov_b32_e32 v0, 0
	global_load_dword v41, v0, s[12:13] offset:12
	s_waitcnt vmcnt(0)
	v_add_nc_u32_e32 v41, -1, v41
	v_cmp_eq_u32_e32 vcc_lo, 3, v41
	s_cbranch_vccnz .LBB83_166
; %bb.165:
	v_lshlrev_b32_e32 v41, 3, v41
	s_clause 0x3
	buffer_load_dword v42, v41, s[0:3], 0 offen
	buffer_load_dword v43, v41, s[0:3], 0 offen offset:4
	buffer_load_dword v44, off, s[0:3], 0 offset:24
	buffer_load_dword v45, off, s[0:3], 0 offset:28
	s_waitcnt vmcnt(3)
	buffer_store_dword v42, off, s[0:3], 0 offset:24
	s_waitcnt vmcnt(2)
	buffer_store_dword v43, off, s[0:3], 0 offset:28
	s_waitcnt vmcnt(1)
	buffer_store_dword v44, v41, s[0:3], 0 offen
	s_waitcnt vmcnt(0)
	buffer_store_dword v45, v41, s[0:3], 0 offen offset:4
.LBB83_166:
	global_load_dword v0, v0, s[12:13] offset:8
	s_waitcnt vmcnt(0)
	v_add_nc_u32_e32 v0, -1, v0
	v_cmp_eq_u32_e32 vcc_lo, 2, v0
	s_cbranch_vccnz .LBB83_168
; %bb.167:
	v_lshlrev_b32_e32 v0, 3, v0
	s_clause 0x3
	buffer_load_dword v41, v0, s[0:3], 0 offen
	buffer_load_dword v42, v0, s[0:3], 0 offen offset:4
	buffer_load_dword v43, off, s[0:3], 0 offset:20
	buffer_load_dword v44, off, s[0:3], 0 offset:16
	s_waitcnt vmcnt(3)
	buffer_store_dword v41, off, s[0:3], 0 offset:16
	s_waitcnt vmcnt(2)
	buffer_store_dword v42, off, s[0:3], 0 offset:20
	s_waitcnt vmcnt(1)
	buffer_store_dword v43, v0, s[0:3], 0 offen offset:4
	s_waitcnt vmcnt(0)
	buffer_store_dword v44, v0, s[0:3], 0 offen
.LBB83_168:
	v_mov_b32_e32 v0, 0
	global_load_dword v41, v0, s[12:13] offset:4
	s_waitcnt vmcnt(0)
	v_add_nc_u32_e32 v41, -1, v41
	v_cmp_eq_u32_e32 vcc_lo, 1, v41
	s_cbranch_vccnz .LBB83_170
; %bb.169:
	v_lshlrev_b32_e32 v41, 3, v41
	s_clause 0x3
	buffer_load_dword v42, v41, s[0:3], 0 offen
	buffer_load_dword v43, v41, s[0:3], 0 offen offset:4
	buffer_load_dword v44, off, s[0:3], 0 offset:8
	buffer_load_dword v45, off, s[0:3], 0 offset:12
	s_waitcnt vmcnt(3)
	buffer_store_dword v42, off, s[0:3], 0 offset:8
	s_waitcnt vmcnt(2)
	buffer_store_dword v43, off, s[0:3], 0 offset:12
	s_waitcnt vmcnt(1)
	buffer_store_dword v44, v41, s[0:3], 0 offen
	s_waitcnt vmcnt(0)
	buffer_store_dword v45, v41, s[0:3], 0 offen offset:4
.LBB83_170:
	global_load_dword v0, v0, s[12:13]
	s_waitcnt vmcnt(0)
	v_add_nc_u32_e32 v0, -1, v0
	v_cmp_eq_u32_e32 vcc_lo, 0, v0
	s_cbranch_vccnz .LBB83_172
; %bb.171:
	v_lshlrev_b32_e32 v0, 3, v0
	s_clause 0x3
	buffer_load_dword v41, v0, s[0:3], 0 offen
	buffer_load_dword v42, v0, s[0:3], 0 offen offset:4
	buffer_load_dword v43, off, s[0:3], 0 offset:4
	buffer_load_dword v44, off, s[0:3], 0
	s_waitcnt vmcnt(3)
	buffer_store_dword v41, off, s[0:3], 0
	s_waitcnt vmcnt(2)
	buffer_store_dword v42, off, s[0:3], 0 offset:4
	s_waitcnt vmcnt(1)
	buffer_store_dword v43, v0, s[0:3], 0 offen offset:4
	s_waitcnt vmcnt(0)
	buffer_store_dword v44, v0, s[0:3], 0 offen
.LBB83_172:
	s_clause 0x1
	buffer_load_dword v41, off, s[0:3], 0
	buffer_load_dword v42, off, s[0:3], 0 offset:4
	s_waitcnt vmcnt(0)
	flat_store_dwordx2 v[1:2], v[41:42]
	s_clause 0x1
	buffer_load_dword v0, off, s[0:3], 0 offset:8
	buffer_load_dword v1, off, s[0:3], 0 offset:12
	s_waitcnt vmcnt(0)
	flat_store_dwordx2 v[3:4], v[0:1]
	s_clause 0x1
	buffer_load_dword v0, off, s[0:3], 0 offset:16
	;; [unrolled: 5-line block ×19, first 2 shown]
	buffer_load_dword v1, off, s[0:3], 0 offset:156
	s_waitcnt vmcnt(0)
	flat_store_dwordx2 v[39:40], v[0:1]
	s_endpgm
	.section	.rodata,"a",@progbits
	.p2align	6, 0x0
	.amdhsa_kernel _ZN9rocsolver6v33100L18getri_kernel_smallILi20E19rocblas_complex_numIfEPKPS3_EEvT1_iilPiilS8_bb
		.amdhsa_group_segment_fixed_size 324
		.amdhsa_private_segment_fixed_size 176
		.amdhsa_kernarg_size 60
		.amdhsa_user_sgpr_count 6
		.amdhsa_user_sgpr_private_segment_buffer 1
		.amdhsa_user_sgpr_dispatch_ptr 0
		.amdhsa_user_sgpr_queue_ptr 0
		.amdhsa_user_sgpr_kernarg_segment_ptr 1
		.amdhsa_user_sgpr_dispatch_id 0
		.amdhsa_user_sgpr_flat_scratch_init 0
		.amdhsa_user_sgpr_private_segment_size 0
		.amdhsa_wavefront_size32 1
		.amdhsa_uses_dynamic_stack 0
		.amdhsa_system_sgpr_private_segment_wavefront_offset 1
		.amdhsa_system_sgpr_workgroup_id_x 1
		.amdhsa_system_sgpr_workgroup_id_y 0
		.amdhsa_system_sgpr_workgroup_id_z 0
		.amdhsa_system_sgpr_workgroup_info 0
		.amdhsa_system_vgpr_workitem_id 0
		.amdhsa_next_free_vgpr 138
		.amdhsa_next_free_sgpr 20
		.amdhsa_reserve_vcc 1
		.amdhsa_reserve_flat_scratch 0
		.amdhsa_float_round_mode_32 0
		.amdhsa_float_round_mode_16_64 0
		.amdhsa_float_denorm_mode_32 3
		.amdhsa_float_denorm_mode_16_64 3
		.amdhsa_dx10_clamp 1
		.amdhsa_ieee_mode 1
		.amdhsa_fp16_overflow 0
		.amdhsa_workgroup_processor_mode 1
		.amdhsa_memory_ordered 1
		.amdhsa_forward_progress 1
		.amdhsa_shared_vgpr_count 0
		.amdhsa_exception_fp_ieee_invalid_op 0
		.amdhsa_exception_fp_denorm_src 0
		.amdhsa_exception_fp_ieee_div_zero 0
		.amdhsa_exception_fp_ieee_overflow 0
		.amdhsa_exception_fp_ieee_underflow 0
		.amdhsa_exception_fp_ieee_inexact 0
		.amdhsa_exception_int_div_zero 0
	.end_amdhsa_kernel
	.section	.text._ZN9rocsolver6v33100L18getri_kernel_smallILi20E19rocblas_complex_numIfEPKPS3_EEvT1_iilPiilS8_bb,"axG",@progbits,_ZN9rocsolver6v33100L18getri_kernel_smallILi20E19rocblas_complex_numIfEPKPS3_EEvT1_iilPiilS8_bb,comdat
.Lfunc_end83:
	.size	_ZN9rocsolver6v33100L18getri_kernel_smallILi20E19rocblas_complex_numIfEPKPS3_EEvT1_iilPiilS8_bb, .Lfunc_end83-_ZN9rocsolver6v33100L18getri_kernel_smallILi20E19rocblas_complex_numIfEPKPS3_EEvT1_iilPiilS8_bb
                                        ; -- End function
	.set _ZN9rocsolver6v33100L18getri_kernel_smallILi20E19rocblas_complex_numIfEPKPS3_EEvT1_iilPiilS8_bb.num_vgpr, 138
	.set _ZN9rocsolver6v33100L18getri_kernel_smallILi20E19rocblas_complex_numIfEPKPS3_EEvT1_iilPiilS8_bb.num_agpr, 0
	.set _ZN9rocsolver6v33100L18getri_kernel_smallILi20E19rocblas_complex_numIfEPKPS3_EEvT1_iilPiilS8_bb.numbered_sgpr, 20
	.set _ZN9rocsolver6v33100L18getri_kernel_smallILi20E19rocblas_complex_numIfEPKPS3_EEvT1_iilPiilS8_bb.num_named_barrier, 0
	.set _ZN9rocsolver6v33100L18getri_kernel_smallILi20E19rocblas_complex_numIfEPKPS3_EEvT1_iilPiilS8_bb.private_seg_size, 176
	.set _ZN9rocsolver6v33100L18getri_kernel_smallILi20E19rocblas_complex_numIfEPKPS3_EEvT1_iilPiilS8_bb.uses_vcc, 1
	.set _ZN9rocsolver6v33100L18getri_kernel_smallILi20E19rocblas_complex_numIfEPKPS3_EEvT1_iilPiilS8_bb.uses_flat_scratch, 0
	.set _ZN9rocsolver6v33100L18getri_kernel_smallILi20E19rocblas_complex_numIfEPKPS3_EEvT1_iilPiilS8_bb.has_dyn_sized_stack, 0
	.set _ZN9rocsolver6v33100L18getri_kernel_smallILi20E19rocblas_complex_numIfEPKPS3_EEvT1_iilPiilS8_bb.has_recursion, 0
	.set _ZN9rocsolver6v33100L18getri_kernel_smallILi20E19rocblas_complex_numIfEPKPS3_EEvT1_iilPiilS8_bb.has_indirect_call, 0
	.section	.AMDGPU.csdata,"",@progbits
; Kernel info:
; codeLenInByte = 23176
; TotalNumSgprs: 22
; NumVgprs: 138
; ScratchSize: 176
; MemoryBound: 0
; FloatMode: 240
; IeeeMode: 1
; LDSByteSize: 324 bytes/workgroup (compile time only)
; SGPRBlocks: 0
; VGPRBlocks: 17
; NumSGPRsForWavesPerEU: 22
; NumVGPRsForWavesPerEU: 138
; Occupancy: 7
; WaveLimiterHint : 1
; COMPUTE_PGM_RSRC2:SCRATCH_EN: 1
; COMPUTE_PGM_RSRC2:USER_SGPR: 6
; COMPUTE_PGM_RSRC2:TRAP_HANDLER: 0
; COMPUTE_PGM_RSRC2:TGID_X_EN: 1
; COMPUTE_PGM_RSRC2:TGID_Y_EN: 0
; COMPUTE_PGM_RSRC2:TGID_Z_EN: 0
; COMPUTE_PGM_RSRC2:TIDIG_COMP_CNT: 0
	.section	.text._ZN9rocsolver6v33100L18getri_kernel_smallILi21E19rocblas_complex_numIfEPKPS3_EEvT1_iilPiilS8_bb,"axG",@progbits,_ZN9rocsolver6v33100L18getri_kernel_smallILi21E19rocblas_complex_numIfEPKPS3_EEvT1_iilPiilS8_bb,comdat
	.globl	_ZN9rocsolver6v33100L18getri_kernel_smallILi21E19rocblas_complex_numIfEPKPS3_EEvT1_iilPiilS8_bb ; -- Begin function _ZN9rocsolver6v33100L18getri_kernel_smallILi21E19rocblas_complex_numIfEPKPS3_EEvT1_iilPiilS8_bb
	.p2align	8
	.type	_ZN9rocsolver6v33100L18getri_kernel_smallILi21E19rocblas_complex_numIfEPKPS3_EEvT1_iilPiilS8_bb,@function
_ZN9rocsolver6v33100L18getri_kernel_smallILi21E19rocblas_complex_numIfEPKPS3_EEvT1_iilPiilS8_bb: ; @_ZN9rocsolver6v33100L18getri_kernel_smallILi21E19rocblas_complex_numIfEPKPS3_EEvT1_iilPiilS8_bb
; %bb.0:
	s_add_u32 s0, s0, s7
	s_addc_u32 s1, s1, 0
	s_mov_b32 s7, exec_lo
	v_cmpx_gt_u32_e32 21, v0
	s_cbranch_execz .LBB84_98
; %bb.1:
	s_clause 0x2
	s_load_dword s17, s[4:5], 0x38
	s_load_dwordx2 s[12:13], s[4:5], 0x0
	s_load_dwordx4 s[8:11], s[4:5], 0x28
	s_waitcnt lgkmcnt(0)
	s_bitcmp1_b32 s17, 8
	s_cselect_b32 s16, -1, 0
	s_ashr_i32 s7, s6, 31
	s_lshl_b64 s[14:15], s[6:7], 3
	s_add_u32 s12, s12, s14
	s_addc_u32 s13, s13, s15
	s_load_dwordx2 s[14:15], s[12:13], 0x0
	s_bfe_u32 s12, s17, 0x10008
	s_cmp_eq_u32 s12, 0
                                        ; implicit-def: $sgpr12_sgpr13
	s_cbranch_scc1 .LBB84_3
; %bb.2:
	s_clause 0x1
	s_load_dword s12, s[4:5], 0x20
	s_load_dwordx2 s[18:19], s[4:5], 0x18
	s_mul_i32 s13, s8, s7
	s_mul_hi_u32 s17, s8, s6
	s_mul_i32 s9, s9, s6
	s_add_i32 s13, s17, s13
	s_mul_i32 s8, s8, s6
	s_add_i32 s9, s13, s9
	s_lshl_b64 s[8:9], s[8:9], 2
	s_waitcnt lgkmcnt(0)
	s_ashr_i32 s13, s12, 31
	s_add_u32 s17, s18, s8
	s_addc_u32 s18, s19, s9
	s_lshl_b64 s[8:9], s[12:13], 2
	s_add_u32 s12, s17, s8
	s_addc_u32 s13, s18, s9
.LBB84_3:
	s_clause 0x1
	s_load_dwordx2 s[8:9], s[4:5], 0x8
	s_load_dword s4, s[4:5], 0x38
	v_lshlrev_b32_e32 v45, 3, v0
	s_waitcnt lgkmcnt(0)
	s_ashr_i32 s19, s8, 31
	s_mov_b32 s18, s8
	v_add3_u32 v9, s9, s9, v0
	s_lshl_b64 s[18:19], s[18:19], 3
	s_add_u32 s5, s14, s18
	s_addc_u32 s8, s15, s19
	v_add_co_u32 v1, s14, s5, v45
	v_add_co_ci_u32_e64 v2, null, s8, 0, s14
	s_mov_b32 s14, s9
	s_ashr_i32 s15, s9, 31
	v_ashrrev_i32_e32 v10, 31, v9
	flat_load_dwordx2 v[5:6], v[1:2]
	s_lshl_b64 s[14:15], s[14:15], 3
	v_add_nc_u32_e32 v12, s9, v9
	v_add_co_u32 v3, vcc_lo, v1, s14
	v_add_co_ci_u32_e64 v4, null, s15, v2, vcc_lo
	v_ashrrev_i32_e32 v13, 31, v12
	s_bitcmp0_b32 s4, 0
	s_waitcnt vmcnt(0) lgkmcnt(0)
	buffer_store_dword v6, off, s[0:3], 0 offset:4
	buffer_store_dword v5, off, s[0:3], 0
	flat_load_dwordx2 v[7:8], v[3:4]
	v_lshlrev_b64 v[5:6], 3, v[9:10]
	s_waitcnt vmcnt(0) lgkmcnt(0)
	buffer_store_dword v8, off, s[0:3], 0 offset:12
	buffer_store_dword v7, off, s[0:3], 0 offset:8
	v_add_co_u32 v5, vcc_lo, s5, v5
	v_add_co_ci_u32_e64 v6, null, s8, v6, vcc_lo
	v_lshlrev_b64 v[7:8], 3, v[12:13]
	flat_load_dwordx2 v[10:11], v[5:6]
	s_waitcnt vmcnt(0) lgkmcnt(0)
	buffer_store_dword v11, off, s[0:3], 0 offset:20
	buffer_store_dword v10, off, s[0:3], 0 offset:16
	v_add_co_u32 v7, vcc_lo, s5, v7
	v_add_co_ci_u32_e64 v8, null, s8, v8, vcc_lo
	v_add_nc_u32_e32 v11, s9, v12
	flat_load_dwordx2 v[13:14], v[7:8]
	s_waitcnt vmcnt(0) lgkmcnt(0)
	buffer_store_dword v14, off, s[0:3], 0 offset:28
	buffer_store_dword v13, off, s[0:3], 0 offset:24
	v_ashrrev_i32_e32 v12, 31, v11
	v_add_nc_u32_e32 v15, s9, v11
	v_lshlrev_b64 v[9:10], 3, v[11:12]
	v_ashrrev_i32_e32 v16, 31, v15
	v_add_nc_u32_e32 v18, s9, v15
	v_add_co_u32 v9, vcc_lo, s5, v9
	v_add_co_ci_u32_e64 v10, null, s8, v10, vcc_lo
	v_lshlrev_b64 v[11:12], 3, v[15:16]
	v_ashrrev_i32_e32 v19, 31, v18
	flat_load_dwordx2 v[13:14], v[9:10]
	s_waitcnt vmcnt(0) lgkmcnt(0)
	buffer_store_dword v14, off, s[0:3], 0 offset:36
	buffer_store_dword v13, off, s[0:3], 0 offset:32
	v_add_co_u32 v11, vcc_lo, s5, v11
	v_add_co_ci_u32_e64 v12, null, s8, v12, vcc_lo
	v_lshlrev_b64 v[13:14], 3, v[18:19]
	flat_load_dwordx2 v[16:17], v[11:12]
	s_waitcnt vmcnt(0) lgkmcnt(0)
	buffer_store_dword v17, off, s[0:3], 0 offset:44
	buffer_store_dword v16, off, s[0:3], 0 offset:40
	v_add_co_u32 v13, vcc_lo, s5, v13
	v_add_co_ci_u32_e64 v14, null, s8, v14, vcc_lo
	v_add_nc_u32_e32 v17, s9, v18
	flat_load_dwordx2 v[19:20], v[13:14]
	s_waitcnt vmcnt(0) lgkmcnt(0)
	buffer_store_dword v20, off, s[0:3], 0 offset:52
	buffer_store_dword v19, off, s[0:3], 0 offset:48
	v_ashrrev_i32_e32 v18, 31, v17
	v_add_nc_u32_e32 v21, s9, v17
	v_lshlrev_b64 v[15:16], 3, v[17:18]
	v_ashrrev_i32_e32 v22, 31, v21
	v_add_nc_u32_e32 v24, s9, v21
	v_add_co_u32 v15, vcc_lo, s5, v15
	v_add_co_ci_u32_e64 v16, null, s8, v16, vcc_lo
	v_lshlrev_b64 v[17:18], 3, v[21:22]
	v_ashrrev_i32_e32 v25, 31, v24
	flat_load_dwordx2 v[19:20], v[15:16]
	s_waitcnt vmcnt(0) lgkmcnt(0)
	buffer_store_dword v20, off, s[0:3], 0 offset:60
	buffer_store_dword v19, off, s[0:3], 0 offset:56
	v_add_co_u32 v17, vcc_lo, s5, v17
	v_add_co_ci_u32_e64 v18, null, s8, v18, vcc_lo
	v_lshlrev_b64 v[19:20], 3, v[24:25]
	flat_load_dwordx2 v[22:23], v[17:18]
	s_waitcnt vmcnt(0) lgkmcnt(0)
	buffer_store_dword v23, off, s[0:3], 0 offset:68
	buffer_store_dword v22, off, s[0:3], 0 offset:64
	v_add_co_u32 v19, vcc_lo, s5, v19
	v_add_co_ci_u32_e64 v20, null, s8, v20, vcc_lo
	v_add_nc_u32_e32 v23, s9, v24
	flat_load_dwordx2 v[25:26], v[19:20]
	s_waitcnt vmcnt(0) lgkmcnt(0)
	buffer_store_dword v26, off, s[0:3], 0 offset:76
	buffer_store_dword v25, off, s[0:3], 0 offset:72
	v_ashrrev_i32_e32 v24, 31, v23
	v_add_nc_u32_e32 v27, s9, v23
	v_lshlrev_b64 v[21:22], 3, v[23:24]
	v_ashrrev_i32_e32 v28, 31, v27
	v_add_nc_u32_e32 v30, s9, v27
	v_add_co_u32 v21, vcc_lo, s5, v21
	v_add_co_ci_u32_e64 v22, null, s8, v22, vcc_lo
	v_lshlrev_b64 v[23:24], 3, v[27:28]
	v_ashrrev_i32_e32 v31, 31, v30
	flat_load_dwordx2 v[25:26], v[21:22]
	s_waitcnt vmcnt(0) lgkmcnt(0)
	buffer_store_dword v26, off, s[0:3], 0 offset:84
	buffer_store_dword v25, off, s[0:3], 0 offset:80
	v_add_co_u32 v23, vcc_lo, s5, v23
	v_add_co_ci_u32_e64 v24, null, s8, v24, vcc_lo
	v_lshlrev_b64 v[25:26], 3, v[30:31]
	flat_load_dwordx2 v[28:29], v[23:24]
	s_waitcnt vmcnt(0) lgkmcnt(0)
	buffer_store_dword v29, off, s[0:3], 0 offset:92
	buffer_store_dword v28, off, s[0:3], 0 offset:88
	v_add_co_u32 v25, vcc_lo, s5, v25
	v_add_co_ci_u32_e64 v26, null, s8, v26, vcc_lo
	v_add_nc_u32_e32 v29, s9, v30
	flat_load_dwordx2 v[31:32], v[25:26]
	s_waitcnt vmcnt(0) lgkmcnt(0)
	buffer_store_dword v32, off, s[0:3], 0 offset:100
	buffer_store_dword v31, off, s[0:3], 0 offset:96
	v_ashrrev_i32_e32 v30, 31, v29
	v_add_nc_u32_e32 v33, s9, v29
	v_lshlrev_b64 v[27:28], 3, v[29:30]
	v_ashrrev_i32_e32 v34, 31, v33
	v_add_nc_u32_e32 v36, s9, v33
	v_add_co_u32 v27, vcc_lo, s5, v27
	v_add_co_ci_u32_e64 v28, null, s8, v28, vcc_lo
	v_lshlrev_b64 v[29:30], 3, v[33:34]
	v_ashrrev_i32_e32 v37, 31, v36
	flat_load_dwordx2 v[31:32], v[27:28]
	s_waitcnt vmcnt(0) lgkmcnt(0)
	buffer_store_dword v32, off, s[0:3], 0 offset:108
	buffer_store_dword v31, off, s[0:3], 0 offset:104
	v_add_co_u32 v29, vcc_lo, s5, v29
	v_add_co_ci_u32_e64 v30, null, s8, v30, vcc_lo
	v_lshlrev_b64 v[31:32], 3, v[36:37]
	flat_load_dwordx2 v[34:35], v[29:30]
	s_waitcnt vmcnt(0) lgkmcnt(0)
	buffer_store_dword v35, off, s[0:3], 0 offset:116
	buffer_store_dword v34, off, s[0:3], 0 offset:112
	v_add_co_u32 v31, vcc_lo, s5, v31
	v_add_co_ci_u32_e64 v32, null, s8, v32, vcc_lo
	v_add_nc_u32_e32 v35, s9, v36
	flat_load_dwordx2 v[37:38], v[31:32]
	s_waitcnt vmcnt(0) lgkmcnt(0)
	buffer_store_dword v38, off, s[0:3], 0 offset:124
	buffer_store_dword v37, off, s[0:3], 0 offset:120
	v_ashrrev_i32_e32 v36, 31, v35
	v_add_nc_u32_e32 v39, s9, v35
	v_lshlrev_b64 v[33:34], 3, v[35:36]
	v_ashrrev_i32_e32 v40, 31, v39
	v_add_nc_u32_e32 v42, s9, v39
	v_add_co_u32 v33, vcc_lo, s5, v33
	v_add_co_ci_u32_e64 v34, null, s8, v34, vcc_lo
	v_lshlrev_b64 v[35:36], 3, v[39:40]
	v_ashrrev_i32_e32 v43, 31, v42
	flat_load_dwordx2 v[37:38], v[33:34]
	s_waitcnt vmcnt(0) lgkmcnt(0)
	buffer_store_dword v38, off, s[0:3], 0 offset:132
	buffer_store_dword v37, off, s[0:3], 0 offset:128
	v_add_co_u32 v35, vcc_lo, s5, v35
	v_add_co_ci_u32_e64 v36, null, s8, v36, vcc_lo
	v_lshlrev_b64 v[37:38], 3, v[42:43]
	flat_load_dwordx2 v[40:41], v[35:36]
	s_waitcnt vmcnt(0) lgkmcnt(0)
	buffer_store_dword v41, off, s[0:3], 0 offset:140
	buffer_store_dword v40, off, s[0:3], 0 offset:136
	v_add_co_u32 v37, vcc_lo, s5, v37
	v_add_co_ci_u32_e64 v38, null, s8, v38, vcc_lo
	v_add_nc_u32_e32 v41, s9, v42
	flat_load_dwordx2 v[43:44], v[37:38]
	s_waitcnt vmcnt(0) lgkmcnt(0)
	buffer_store_dword v44, off, s[0:3], 0 offset:148
	buffer_store_dword v43, off, s[0:3], 0 offset:144
	v_ashrrev_i32_e32 v42, 31, v41
	v_lshlrev_b64 v[39:40], 3, v[41:42]
	v_add_nc_u32_e32 v41, s9, v41
	v_add_co_u32 v39, vcc_lo, s5, v39
	v_add_co_ci_u32_e64 v40, null, s8, v40, vcc_lo
	v_ashrrev_i32_e32 v42, 31, v41
	flat_load_dwordx2 v[43:44], v[39:40]
	s_waitcnt vmcnt(0) lgkmcnt(0)
	buffer_store_dword v44, off, s[0:3], 0 offset:156
	buffer_store_dword v43, off, s[0:3], 0 offset:152
	v_lshlrev_b64 v[41:42], 3, v[41:42]
	v_add_co_u32 v41, vcc_lo, s5, v41
	v_add_co_ci_u32_e64 v42, null, s8, v42, vcc_lo
	s_mov_b32 s5, -1
	flat_load_dwordx2 v[43:44], v[41:42]
	s_waitcnt vmcnt(0) lgkmcnt(0)
	buffer_store_dword v44, off, s[0:3], 0 offset:164
	buffer_store_dword v43, off, s[0:3], 0 offset:160
	s_cbranch_scc1 .LBB84_96
; %bb.4:
	v_cmp_eq_u32_e64 s4, 0, v0
	s_and_saveexec_b32 s5, s4
; %bb.5:
	v_mov_b32_e32 v43, 0
	ds_write_b32 v43, v43 offset:168
; %bb.6:
	s_or_b32 exec_lo, exec_lo, s5
	v_lshl_add_u32 v47, v0, 3, 0
	s_waitcnt lgkmcnt(0)
	s_waitcnt_vscnt null, 0x0
	s_barrier
	buffer_gl0_inv
	s_clause 0x1
	buffer_load_dword v43, v47, s[0:3], 0 offen
	buffer_load_dword v44, v47, s[0:3], 0 offen offset:4
	s_waitcnt vmcnt(1)
	v_cmp_eq_f32_e32 vcc_lo, 0, v43
	s_waitcnt vmcnt(0)
	v_cmp_eq_f32_e64 s5, 0, v44
	s_and_b32 s5, vcc_lo, s5
	s_and_saveexec_b32 s8, s5
	s_cbranch_execz .LBB84_10
; %bb.7:
	v_mov_b32_e32 v43, 0
	s_mov_b32 s9, 0
	ds_read_b32 v44, v43 offset:168
	s_waitcnt lgkmcnt(0)
	v_readfirstlane_b32 s5, v44
	v_add_nc_u32_e32 v44, 1, v0
	s_cmp_eq_u32 s5, 0
	v_cmp_gt_i32_e32 vcc_lo, s5, v44
	s_cselect_b32 s14, -1, 0
	s_or_b32 s14, s14, vcc_lo
	s_and_b32 exec_lo, exec_lo, s14
	s_cbranch_execz .LBB84_10
; %bb.8:
	v_mov_b32_e32 v46, s5
.LBB84_9:                               ; =>This Inner Loop Header: Depth=1
	ds_cmpst_rtn_b32 v46, v43, v46, v44 offset:168
	s_waitcnt lgkmcnt(0)
	v_cmp_ne_u32_e32 vcc_lo, 0, v46
	v_cmp_le_i32_e64 s5, v46, v44
	s_and_b32 s5, vcc_lo, s5
	s_and_b32 s5, exec_lo, s5
	s_or_b32 s9, s5, s9
	s_andn2_b32 exec_lo, exec_lo, s9
	s_cbranch_execnz .LBB84_9
.LBB84_10:
	s_or_b32 exec_lo, exec_lo, s8
	v_mov_b32_e32 v43, 0
	s_barrier
	buffer_gl0_inv
	ds_read_b32 v44, v43 offset:168
	s_and_saveexec_b32 s5, s4
	s_cbranch_execz .LBB84_12
; %bb.11:
	s_lshl_b64 s[8:9], s[6:7], 2
	s_add_u32 s8, s10, s8
	s_addc_u32 s9, s11, s9
	s_waitcnt lgkmcnt(0)
	global_store_dword v43, v44, s[8:9]
.LBB84_12:
	s_or_b32 exec_lo, exec_lo, s5
	s_waitcnt lgkmcnt(0)
	v_cmp_ne_u32_e32 vcc_lo, 0, v44
	s_mov_b32 s5, 0
	s_cbranch_vccnz .LBB84_96
; %bb.13:
	s_clause 0x1
	buffer_load_dword v44, v47, s[0:3], 0 offen
	buffer_load_dword v46, v47, s[0:3], 0 offen offset:4
                                        ; implicit-def: $vgpr49
                                        ; implicit-def: $vgpr48
                                        ; implicit-def: $vgpr43
	s_waitcnt vmcnt(0)
	v_cmp_ngt_f32_e64 s5, |v44|, |v46|
	s_and_saveexec_b32 s8, s5
	s_xor_b32 s5, exec_lo, s8
	s_cbranch_execz .LBB84_15
; %bb.14:
	v_div_scale_f32 v43, null, v46, v46, v44
	v_div_scale_f32 v50, vcc_lo, v44, v46, v44
	v_rcp_f32_e32 v48, v43
	v_fma_f32 v49, -v43, v48, 1.0
	v_fmac_f32_e32 v48, v49, v48
	v_mul_f32_e32 v49, v50, v48
	v_fma_f32 v51, -v43, v49, v50
	v_fmac_f32_e32 v49, v51, v48
	v_fma_f32 v43, -v43, v49, v50
	v_div_fmas_f32 v43, v43, v48, v49
	v_div_fixup_f32 v43, v43, v46, v44
	v_fmac_f32_e32 v46, v44, v43
	v_div_scale_f32 v44, null, v46, v46, 1.0
	v_rcp_f32_e32 v48, v44
	v_fma_f32 v49, -v44, v48, 1.0
	v_fmac_f32_e32 v48, v49, v48
	v_div_scale_f32 v49, vcc_lo, 1.0, v46, 1.0
	v_mul_f32_e32 v50, v49, v48
	v_fma_f32 v51, -v44, v50, v49
	v_fmac_f32_e32 v50, v51, v48
	v_fma_f32 v44, -v44, v50, v49
	v_div_fmas_f32 v44, v44, v48, v50
	v_div_fixup_f32 v44, v44, v46, 1.0
                                        ; implicit-def: $vgpr46
	v_mul_f32_e32 v49, v43, v44
	v_xor_b32_e32 v48, 0x80000000, v44
                                        ; implicit-def: $vgpr44
	v_xor_b32_e32 v43, 0x80000000, v49
.LBB84_15:
	s_andn2_saveexec_b32 s5, s5
	s_cbranch_execz .LBB84_17
; %bb.16:
	v_div_scale_f32 v43, null, v44, v44, v46
	v_div_scale_f32 v50, vcc_lo, v46, v44, v46
	v_rcp_f32_e32 v48, v43
	v_fma_f32 v49, -v43, v48, 1.0
	v_fmac_f32_e32 v48, v49, v48
	v_mul_f32_e32 v49, v50, v48
	v_fma_f32 v51, -v43, v49, v50
	v_fmac_f32_e32 v49, v51, v48
	v_fma_f32 v43, -v43, v49, v50
	v_div_fmas_f32 v43, v43, v48, v49
	v_div_fixup_f32 v48, v43, v44, v46
	v_fmac_f32_e32 v44, v46, v48
	v_div_scale_f32 v43, null, v44, v44, 1.0
	v_div_scale_f32 v50, vcc_lo, 1.0, v44, 1.0
	v_rcp_f32_e32 v46, v43
	v_fma_f32 v49, -v43, v46, 1.0
	v_fmac_f32_e32 v46, v49, v46
	v_mul_f32_e32 v49, v50, v46
	v_fma_f32 v51, -v43, v49, v50
	v_fmac_f32_e32 v49, v51, v46
	v_fma_f32 v43, -v43, v49, v50
	v_div_fmas_f32 v43, v43, v46, v49
	v_div_fixup_f32 v49, v43, v44, 1.0
	v_xor_b32_e32 v43, 0x80000000, v49
	v_mul_f32_e64 v48, v48, -v49
.LBB84_17:
	s_or_b32 exec_lo, exec_lo, s5
	buffer_store_dword v49, v47, s[0:3], 0 offen
	buffer_store_dword v48, v47, s[0:3], 0 offen offset:4
	s_clause 0x1
	buffer_load_dword v50, off, s[0:3], 0 offset:12
	buffer_load_dword v49, off, s[0:3], 0 offset:8
	v_xor_b32_e32 v44, 0x80000000, v48
	v_add_nc_u32_e32 v46, 0xb0, v45
	s_waitcnt vmcnt(0)
	ds_write2_b64 v45, v[43:44], v[49:50] offset1:22
	s_waitcnt lgkmcnt(0)
	s_waitcnt_vscnt null, 0x0
	s_barrier
	buffer_gl0_inv
	s_and_saveexec_b32 s5, s4
	s_cbranch_execz .LBB84_19
; %bb.18:
	s_clause 0x1
	buffer_load_dword v50, v47, s[0:3], 0 offen offset:4
	buffer_load_dword v51, v47, s[0:3], 0 offen
	ds_read_b64 v[43:44], v46
	v_mov_b32_e32 v48, 0
	ds_read_b64 v[48:49], v48 offset:8
	s_waitcnt vmcnt(1) lgkmcnt(1)
	v_mul_f32_e32 v52, v43, v50
	v_mul_f32_e32 v50, v44, v50
	s_waitcnt vmcnt(0)
	v_fmac_f32_e32 v52, v44, v51
	v_fma_f32 v43, v43, v51, -v50
	v_add_f32_e32 v44, 0, v52
	v_add_f32_e32 v43, 0, v43
	s_waitcnt lgkmcnt(0)
	v_mul_f32_e32 v50, v44, v49
	v_mul_f32_e32 v49, v43, v49
	v_fma_f32 v43, v43, v48, -v50
	v_fmac_f32_e32 v49, v44, v48
	buffer_store_dword v43, off, s[0:3], 0 offset:8
	buffer_store_dword v49, off, s[0:3], 0 offset:12
.LBB84_19:
	s_or_b32 exec_lo, exec_lo, s5
	s_waitcnt_vscnt null, 0x0
	s_barrier
	buffer_gl0_inv
	s_clause 0x1
	buffer_load_dword v43, off, s[0:3], 0 offset:16
	buffer_load_dword v44, off, s[0:3], 0 offset:20
	s_mov_b32 s5, exec_lo
	s_waitcnt vmcnt(0)
	ds_write_b64 v46, v[43:44]
	s_waitcnt lgkmcnt(0)
	s_barrier
	buffer_gl0_inv
	v_cmpx_gt_u32_e32 2, v0
	s_cbranch_execz .LBB84_23
; %bb.20:
	s_clause 0x1
	buffer_load_dword v48, v47, s[0:3], 0 offen offset:4
	buffer_load_dword v47, v47, s[0:3], 0 offen
	ds_read_b64 v[43:44], v46
	s_waitcnt vmcnt(1) lgkmcnt(0)
	v_mul_f32_e32 v49, v44, v48
	v_mul_f32_e32 v48, v43, v48
	s_waitcnt vmcnt(0)
	v_fma_f32 v43, v43, v47, -v49
	v_fmac_f32_e32 v48, v44, v47
	v_add_f32_e32 v44, 0, v43
	v_add_f32_e32 v43, 0, v48
	s_and_saveexec_b32 s8, s4
	s_cbranch_execz .LBB84_22
; %bb.21:
	s_clause 0x1
	buffer_load_dword v49, off, s[0:3], 0 offset:12
	buffer_load_dword v50, off, s[0:3], 0 offset:8
	v_mov_b32_e32 v47, 0
	ds_read_b64 v[47:48], v47 offset:184
	s_waitcnt vmcnt(1) lgkmcnt(0)
	v_mul_f32_e32 v51, v47, v49
	v_mul_f32_e32 v49, v48, v49
	s_waitcnt vmcnt(0)
	v_fmac_f32_e32 v51, v48, v50
	v_fma_f32 v47, v47, v50, -v49
	v_add_f32_e32 v43, v43, v51
	v_add_f32_e32 v44, v44, v47
.LBB84_22:
	s_or_b32 exec_lo, exec_lo, s8
	v_mov_b32_e32 v47, 0
	ds_read_b64 v[47:48], v47 offset:16
	s_waitcnt lgkmcnt(0)
	v_mul_f32_e32 v49, v43, v48
	v_mul_f32_e32 v48, v44, v48
	v_fma_f32 v44, v44, v47, -v49
	v_fmac_f32_e32 v48, v43, v47
	buffer_store_dword v44, off, s[0:3], 0 offset:16
	buffer_store_dword v48, off, s[0:3], 0 offset:20
.LBB84_23:
	s_or_b32 exec_lo, exec_lo, s5
	s_waitcnt_vscnt null, 0x0
	s_barrier
	buffer_gl0_inv
	s_clause 0x1
	buffer_load_dword v47, off, s[0:3], 0 offset:24
	buffer_load_dword v48, off, s[0:3], 0 offset:28
	v_add_nc_u32_e32 v43, -1, v0
	s_mov_b32 s4, exec_lo
	s_waitcnt vmcnt(0)
	ds_write_b64 v46, v[47:48]
	s_waitcnt lgkmcnt(0)
	s_barrier
	buffer_gl0_inv
	v_cmpx_gt_u32_e32 3, v0
	s_cbranch_execz .LBB84_27
; %bb.24:
	v_add_nc_u32_e32 v47, -1, v0
	v_add_nc_u32_e32 v48, 0xb0, v45
	v_mov_b32_e32 v49, v45
	v_mov_b32_e32 v44, 0
	;; [unrolled: 1-line block ×3, first 2 shown]
	s_mov_b32 s5, 0
	.p2align	6
.LBB84_25:                              ; =>This Inner Loop Header: Depth=1
	s_clause 0x1
	buffer_load_dword v53, v49, s[0:3], 0 offen offset:4
	buffer_load_dword v54, v49, s[0:3], 0 offen
	ds_read_b64 v[51:52], v48
	v_add_nc_u32_e32 v47, 1, v47
	v_add_nc_u32_e32 v48, 8, v48
	;; [unrolled: 1-line block ×3, first 2 shown]
	v_cmp_lt_u32_e32 vcc_lo, 1, v47
	s_or_b32 s5, vcc_lo, s5
	s_waitcnt vmcnt(1) lgkmcnt(0)
	v_mul_f32_e32 v55, v52, v53
	v_mul_f32_e32 v53, v51, v53
	s_waitcnt vmcnt(0)
	v_fma_f32 v51, v51, v54, -v55
	v_fmac_f32_e32 v53, v52, v54
	v_add_f32_e32 v50, v50, v51
	v_add_f32_e32 v44, v44, v53
	s_andn2_b32 exec_lo, exec_lo, s5
	s_cbranch_execnz .LBB84_25
; %bb.26:
	s_or_b32 exec_lo, exec_lo, s5
	v_mov_b32_e32 v47, 0
	ds_read_b64 v[47:48], v47 offset:24
	s_waitcnt lgkmcnt(0)
	v_mul_f32_e32 v49, v44, v48
	v_mul_f32_e32 v48, v50, v48
	v_fma_f32 v49, v50, v47, -v49
	v_fmac_f32_e32 v48, v44, v47
	buffer_store_dword v49, off, s[0:3], 0 offset:24
	buffer_store_dword v48, off, s[0:3], 0 offset:28
.LBB84_27:
	s_or_b32 exec_lo, exec_lo, s4
	s_waitcnt_vscnt null, 0x0
	s_barrier
	buffer_gl0_inv
	s_clause 0x1
	buffer_load_dword v47, off, s[0:3], 0 offset:32
	buffer_load_dword v48, off, s[0:3], 0 offset:36
	s_mov_b32 s4, exec_lo
	s_waitcnt vmcnt(0)
	ds_write_b64 v46, v[47:48]
	s_waitcnt lgkmcnt(0)
	s_barrier
	buffer_gl0_inv
	v_cmpx_gt_u32_e32 4, v0
	s_cbranch_execz .LBB84_31
; %bb.28:
	v_add_nc_u32_e32 v47, -1, v0
	v_add_nc_u32_e32 v48, 0xb0, v45
	v_mov_b32_e32 v49, v45
	v_mov_b32_e32 v44, 0
	;; [unrolled: 1-line block ×3, first 2 shown]
	s_mov_b32 s5, 0
	.p2align	6
.LBB84_29:                              ; =>This Inner Loop Header: Depth=1
	s_clause 0x1
	buffer_load_dword v53, v49, s[0:3], 0 offen offset:4
	buffer_load_dword v54, v49, s[0:3], 0 offen
	ds_read_b64 v[51:52], v48
	v_add_nc_u32_e32 v47, 1, v47
	v_add_nc_u32_e32 v48, 8, v48
	;; [unrolled: 1-line block ×3, first 2 shown]
	v_cmp_lt_u32_e32 vcc_lo, 2, v47
	s_or_b32 s5, vcc_lo, s5
	s_waitcnt vmcnt(1) lgkmcnt(0)
	v_mul_f32_e32 v55, v52, v53
	v_mul_f32_e32 v53, v51, v53
	s_waitcnt vmcnt(0)
	v_fma_f32 v51, v51, v54, -v55
	v_fmac_f32_e32 v53, v52, v54
	v_add_f32_e32 v50, v50, v51
	v_add_f32_e32 v44, v44, v53
	s_andn2_b32 exec_lo, exec_lo, s5
	s_cbranch_execnz .LBB84_29
; %bb.30:
	s_or_b32 exec_lo, exec_lo, s5
	v_mov_b32_e32 v47, 0
	ds_read_b64 v[47:48], v47 offset:32
	s_waitcnt lgkmcnt(0)
	v_mul_f32_e32 v49, v44, v48
	v_mul_f32_e32 v48, v50, v48
	v_fma_f32 v49, v50, v47, -v49
	v_fmac_f32_e32 v48, v44, v47
	buffer_store_dword v49, off, s[0:3], 0 offset:32
	buffer_store_dword v48, off, s[0:3], 0 offset:36
.LBB84_31:
	s_or_b32 exec_lo, exec_lo, s4
	s_waitcnt_vscnt null, 0x0
	s_barrier
	buffer_gl0_inv
	s_clause 0x1
	buffer_load_dword v47, off, s[0:3], 0 offset:40
	buffer_load_dword v48, off, s[0:3], 0 offset:44
	s_mov_b32 s4, exec_lo
	s_waitcnt vmcnt(0)
	ds_write_b64 v46, v[47:48]
	s_waitcnt lgkmcnt(0)
	s_barrier
	buffer_gl0_inv
	v_cmpx_gt_u32_e32 5, v0
	s_cbranch_execz .LBB84_35
; %bb.32:
	v_add_nc_u32_e32 v47, -1, v0
	v_add_nc_u32_e32 v48, 0xb0, v45
	v_mov_b32_e32 v49, v45
	v_mov_b32_e32 v44, 0
	;; [unrolled: 1-line block ×3, first 2 shown]
	s_mov_b32 s5, 0
	.p2align	6
.LBB84_33:                              ; =>This Inner Loop Header: Depth=1
	s_clause 0x1
	buffer_load_dword v53, v49, s[0:3], 0 offen offset:4
	buffer_load_dword v54, v49, s[0:3], 0 offen
	ds_read_b64 v[51:52], v48
	v_add_nc_u32_e32 v47, 1, v47
	v_add_nc_u32_e32 v48, 8, v48
	;; [unrolled: 1-line block ×3, first 2 shown]
	v_cmp_lt_u32_e32 vcc_lo, 3, v47
	s_or_b32 s5, vcc_lo, s5
	s_waitcnt vmcnt(1) lgkmcnt(0)
	v_mul_f32_e32 v55, v52, v53
	v_mul_f32_e32 v53, v51, v53
	s_waitcnt vmcnt(0)
	v_fma_f32 v51, v51, v54, -v55
	v_fmac_f32_e32 v53, v52, v54
	v_add_f32_e32 v50, v50, v51
	v_add_f32_e32 v44, v44, v53
	s_andn2_b32 exec_lo, exec_lo, s5
	s_cbranch_execnz .LBB84_33
; %bb.34:
	s_or_b32 exec_lo, exec_lo, s5
	v_mov_b32_e32 v47, 0
	ds_read_b64 v[47:48], v47 offset:40
	s_waitcnt lgkmcnt(0)
	v_mul_f32_e32 v49, v44, v48
	v_mul_f32_e32 v48, v50, v48
	v_fma_f32 v49, v50, v47, -v49
	v_fmac_f32_e32 v48, v44, v47
	buffer_store_dword v49, off, s[0:3], 0 offset:40
	buffer_store_dword v48, off, s[0:3], 0 offset:44
.LBB84_35:
	s_or_b32 exec_lo, exec_lo, s4
	s_waitcnt_vscnt null, 0x0
	s_barrier
	buffer_gl0_inv
	s_clause 0x1
	buffer_load_dword v47, off, s[0:3], 0 offset:48
	buffer_load_dword v48, off, s[0:3], 0 offset:52
	s_mov_b32 s4, exec_lo
	s_waitcnt vmcnt(0)
	ds_write_b64 v46, v[47:48]
	s_waitcnt lgkmcnt(0)
	s_barrier
	buffer_gl0_inv
	v_cmpx_gt_u32_e32 6, v0
	s_cbranch_execz .LBB84_39
; %bb.36:
	v_add_nc_u32_e32 v47, -1, v0
	v_add_nc_u32_e32 v48, 0xb0, v45
	v_mov_b32_e32 v49, v45
	v_mov_b32_e32 v44, 0
	;; [unrolled: 1-line block ×3, first 2 shown]
	s_mov_b32 s5, 0
	.p2align	6
.LBB84_37:                              ; =>This Inner Loop Header: Depth=1
	s_clause 0x1
	buffer_load_dword v53, v49, s[0:3], 0 offen offset:4
	buffer_load_dword v54, v49, s[0:3], 0 offen
	ds_read_b64 v[51:52], v48
	v_add_nc_u32_e32 v47, 1, v47
	v_add_nc_u32_e32 v48, 8, v48
	;; [unrolled: 1-line block ×3, first 2 shown]
	v_cmp_lt_u32_e32 vcc_lo, 4, v47
	s_or_b32 s5, vcc_lo, s5
	s_waitcnt vmcnt(1) lgkmcnt(0)
	v_mul_f32_e32 v55, v52, v53
	v_mul_f32_e32 v53, v51, v53
	s_waitcnt vmcnt(0)
	v_fma_f32 v51, v51, v54, -v55
	v_fmac_f32_e32 v53, v52, v54
	v_add_f32_e32 v50, v50, v51
	v_add_f32_e32 v44, v44, v53
	s_andn2_b32 exec_lo, exec_lo, s5
	s_cbranch_execnz .LBB84_37
; %bb.38:
	s_or_b32 exec_lo, exec_lo, s5
	v_mov_b32_e32 v47, 0
	ds_read_b64 v[47:48], v47 offset:48
	s_waitcnt lgkmcnt(0)
	v_mul_f32_e32 v49, v44, v48
	v_mul_f32_e32 v48, v50, v48
	v_fma_f32 v49, v50, v47, -v49
	v_fmac_f32_e32 v48, v44, v47
	buffer_store_dword v49, off, s[0:3], 0 offset:48
	buffer_store_dword v48, off, s[0:3], 0 offset:52
.LBB84_39:
	s_or_b32 exec_lo, exec_lo, s4
	s_waitcnt_vscnt null, 0x0
	s_barrier
	buffer_gl0_inv
	s_clause 0x1
	buffer_load_dword v47, off, s[0:3], 0 offset:56
	buffer_load_dword v48, off, s[0:3], 0 offset:60
	s_mov_b32 s4, exec_lo
	s_waitcnt vmcnt(0)
	ds_write_b64 v46, v[47:48]
	s_waitcnt lgkmcnt(0)
	s_barrier
	buffer_gl0_inv
	v_cmpx_gt_u32_e32 7, v0
	s_cbranch_execz .LBB84_43
; %bb.40:
	v_add_nc_u32_e32 v47, -1, v0
	v_add_nc_u32_e32 v48, 0xb0, v45
	v_mov_b32_e32 v49, v45
	v_mov_b32_e32 v44, 0
	;; [unrolled: 1-line block ×3, first 2 shown]
	s_mov_b32 s5, 0
	.p2align	6
.LBB84_41:                              ; =>This Inner Loop Header: Depth=1
	s_clause 0x1
	buffer_load_dword v53, v49, s[0:3], 0 offen offset:4
	buffer_load_dword v54, v49, s[0:3], 0 offen
	ds_read_b64 v[51:52], v48
	v_add_nc_u32_e32 v47, 1, v47
	v_add_nc_u32_e32 v48, 8, v48
	v_add_nc_u32_e32 v49, 8, v49
	v_cmp_lt_u32_e32 vcc_lo, 5, v47
	s_or_b32 s5, vcc_lo, s5
	s_waitcnt vmcnt(1) lgkmcnt(0)
	v_mul_f32_e32 v55, v52, v53
	v_mul_f32_e32 v53, v51, v53
	s_waitcnt vmcnt(0)
	v_fma_f32 v51, v51, v54, -v55
	v_fmac_f32_e32 v53, v52, v54
	v_add_f32_e32 v50, v50, v51
	v_add_f32_e32 v44, v44, v53
	s_andn2_b32 exec_lo, exec_lo, s5
	s_cbranch_execnz .LBB84_41
; %bb.42:
	s_or_b32 exec_lo, exec_lo, s5
	v_mov_b32_e32 v47, 0
	ds_read_b64 v[47:48], v47 offset:56
	s_waitcnt lgkmcnt(0)
	v_mul_f32_e32 v49, v44, v48
	v_mul_f32_e32 v48, v50, v48
	v_fma_f32 v49, v50, v47, -v49
	v_fmac_f32_e32 v48, v44, v47
	buffer_store_dword v49, off, s[0:3], 0 offset:56
	buffer_store_dword v48, off, s[0:3], 0 offset:60
.LBB84_43:
	s_or_b32 exec_lo, exec_lo, s4
	s_waitcnt_vscnt null, 0x0
	s_barrier
	buffer_gl0_inv
	s_clause 0x1
	buffer_load_dword v47, off, s[0:3], 0 offset:64
	buffer_load_dword v48, off, s[0:3], 0 offset:68
	s_mov_b32 s4, exec_lo
	s_waitcnt vmcnt(0)
	ds_write_b64 v46, v[47:48]
	s_waitcnt lgkmcnt(0)
	s_barrier
	buffer_gl0_inv
	v_cmpx_gt_u32_e32 8, v0
	s_cbranch_execz .LBB84_47
; %bb.44:
	v_add_nc_u32_e32 v47, -1, v0
	v_add_nc_u32_e32 v48, 0xb0, v45
	v_mov_b32_e32 v49, v45
	v_mov_b32_e32 v44, 0
	;; [unrolled: 1-line block ×3, first 2 shown]
	s_mov_b32 s5, 0
	.p2align	6
.LBB84_45:                              ; =>This Inner Loop Header: Depth=1
	s_clause 0x1
	buffer_load_dword v53, v49, s[0:3], 0 offen offset:4
	buffer_load_dword v54, v49, s[0:3], 0 offen
	ds_read_b64 v[51:52], v48
	v_add_nc_u32_e32 v47, 1, v47
	v_add_nc_u32_e32 v48, 8, v48
	;; [unrolled: 1-line block ×3, first 2 shown]
	v_cmp_lt_u32_e32 vcc_lo, 6, v47
	s_or_b32 s5, vcc_lo, s5
	s_waitcnt vmcnt(1) lgkmcnt(0)
	v_mul_f32_e32 v55, v52, v53
	v_mul_f32_e32 v53, v51, v53
	s_waitcnt vmcnt(0)
	v_fma_f32 v51, v51, v54, -v55
	v_fmac_f32_e32 v53, v52, v54
	v_add_f32_e32 v50, v50, v51
	v_add_f32_e32 v44, v44, v53
	s_andn2_b32 exec_lo, exec_lo, s5
	s_cbranch_execnz .LBB84_45
; %bb.46:
	s_or_b32 exec_lo, exec_lo, s5
	v_mov_b32_e32 v47, 0
	ds_read_b64 v[47:48], v47 offset:64
	s_waitcnt lgkmcnt(0)
	v_mul_f32_e32 v49, v44, v48
	v_mul_f32_e32 v48, v50, v48
	v_fma_f32 v49, v50, v47, -v49
	v_fmac_f32_e32 v48, v44, v47
	buffer_store_dword v49, off, s[0:3], 0 offset:64
	buffer_store_dword v48, off, s[0:3], 0 offset:68
.LBB84_47:
	s_or_b32 exec_lo, exec_lo, s4
	s_waitcnt_vscnt null, 0x0
	s_barrier
	buffer_gl0_inv
	s_clause 0x1
	buffer_load_dword v47, off, s[0:3], 0 offset:72
	buffer_load_dword v48, off, s[0:3], 0 offset:76
	s_mov_b32 s4, exec_lo
	s_waitcnt vmcnt(0)
	ds_write_b64 v46, v[47:48]
	s_waitcnt lgkmcnt(0)
	s_barrier
	buffer_gl0_inv
	v_cmpx_gt_u32_e32 9, v0
	s_cbranch_execz .LBB84_51
; %bb.48:
	v_add_nc_u32_e32 v47, -1, v0
	v_add_nc_u32_e32 v48, 0xb0, v45
	v_mov_b32_e32 v49, v45
	v_mov_b32_e32 v44, 0
	;; [unrolled: 1-line block ×3, first 2 shown]
	s_mov_b32 s5, 0
	.p2align	6
.LBB84_49:                              ; =>This Inner Loop Header: Depth=1
	s_clause 0x1
	buffer_load_dword v53, v49, s[0:3], 0 offen offset:4
	buffer_load_dword v54, v49, s[0:3], 0 offen
	ds_read_b64 v[51:52], v48
	v_add_nc_u32_e32 v47, 1, v47
	v_add_nc_u32_e32 v48, 8, v48
	;; [unrolled: 1-line block ×3, first 2 shown]
	v_cmp_lt_u32_e32 vcc_lo, 7, v47
	s_or_b32 s5, vcc_lo, s5
	s_waitcnt vmcnt(1) lgkmcnt(0)
	v_mul_f32_e32 v55, v52, v53
	v_mul_f32_e32 v53, v51, v53
	s_waitcnt vmcnt(0)
	v_fma_f32 v51, v51, v54, -v55
	v_fmac_f32_e32 v53, v52, v54
	v_add_f32_e32 v50, v50, v51
	v_add_f32_e32 v44, v44, v53
	s_andn2_b32 exec_lo, exec_lo, s5
	s_cbranch_execnz .LBB84_49
; %bb.50:
	s_or_b32 exec_lo, exec_lo, s5
	v_mov_b32_e32 v47, 0
	ds_read_b64 v[47:48], v47 offset:72
	s_waitcnt lgkmcnt(0)
	v_mul_f32_e32 v49, v44, v48
	v_mul_f32_e32 v48, v50, v48
	v_fma_f32 v49, v50, v47, -v49
	v_fmac_f32_e32 v48, v44, v47
	buffer_store_dword v49, off, s[0:3], 0 offset:72
	buffer_store_dword v48, off, s[0:3], 0 offset:76
.LBB84_51:
	s_or_b32 exec_lo, exec_lo, s4
	s_waitcnt_vscnt null, 0x0
	s_barrier
	buffer_gl0_inv
	s_clause 0x1
	buffer_load_dword v47, off, s[0:3], 0 offset:80
	buffer_load_dword v48, off, s[0:3], 0 offset:84
	s_mov_b32 s4, exec_lo
	s_waitcnt vmcnt(0)
	ds_write_b64 v46, v[47:48]
	s_waitcnt lgkmcnt(0)
	s_barrier
	buffer_gl0_inv
	v_cmpx_gt_u32_e32 10, v0
	s_cbranch_execz .LBB84_55
; %bb.52:
	v_add_nc_u32_e32 v47, -1, v0
	v_add_nc_u32_e32 v48, 0xb0, v45
	v_mov_b32_e32 v49, v45
	v_mov_b32_e32 v44, 0
	;; [unrolled: 1-line block ×3, first 2 shown]
	s_mov_b32 s5, 0
	.p2align	6
.LBB84_53:                              ; =>This Inner Loop Header: Depth=1
	s_clause 0x1
	buffer_load_dword v53, v49, s[0:3], 0 offen offset:4
	buffer_load_dword v54, v49, s[0:3], 0 offen
	ds_read_b64 v[51:52], v48
	v_add_nc_u32_e32 v47, 1, v47
	v_add_nc_u32_e32 v48, 8, v48
	;; [unrolled: 1-line block ×3, first 2 shown]
	v_cmp_lt_u32_e32 vcc_lo, 8, v47
	s_or_b32 s5, vcc_lo, s5
	s_waitcnt vmcnt(1) lgkmcnt(0)
	v_mul_f32_e32 v55, v52, v53
	v_mul_f32_e32 v53, v51, v53
	s_waitcnt vmcnt(0)
	v_fma_f32 v51, v51, v54, -v55
	v_fmac_f32_e32 v53, v52, v54
	v_add_f32_e32 v50, v50, v51
	v_add_f32_e32 v44, v44, v53
	s_andn2_b32 exec_lo, exec_lo, s5
	s_cbranch_execnz .LBB84_53
; %bb.54:
	s_or_b32 exec_lo, exec_lo, s5
	v_mov_b32_e32 v47, 0
	ds_read_b64 v[47:48], v47 offset:80
	s_waitcnt lgkmcnt(0)
	v_mul_f32_e32 v49, v44, v48
	v_mul_f32_e32 v48, v50, v48
	v_fma_f32 v49, v50, v47, -v49
	v_fmac_f32_e32 v48, v44, v47
	buffer_store_dword v49, off, s[0:3], 0 offset:80
	buffer_store_dword v48, off, s[0:3], 0 offset:84
.LBB84_55:
	s_or_b32 exec_lo, exec_lo, s4
	s_waitcnt_vscnt null, 0x0
	s_barrier
	buffer_gl0_inv
	s_clause 0x1
	buffer_load_dword v47, off, s[0:3], 0 offset:88
	buffer_load_dword v48, off, s[0:3], 0 offset:92
	s_mov_b32 s4, exec_lo
	s_waitcnt vmcnt(0)
	ds_write_b64 v46, v[47:48]
	s_waitcnt lgkmcnt(0)
	s_barrier
	buffer_gl0_inv
	v_cmpx_gt_u32_e32 11, v0
	s_cbranch_execz .LBB84_59
; %bb.56:
	v_add_nc_u32_e32 v47, -1, v0
	v_add_nc_u32_e32 v48, 0xb0, v45
	v_mov_b32_e32 v49, v45
	v_mov_b32_e32 v44, 0
	;; [unrolled: 1-line block ×3, first 2 shown]
	s_mov_b32 s5, 0
	.p2align	6
.LBB84_57:                              ; =>This Inner Loop Header: Depth=1
	s_clause 0x1
	buffer_load_dword v53, v49, s[0:3], 0 offen offset:4
	buffer_load_dword v54, v49, s[0:3], 0 offen
	ds_read_b64 v[51:52], v48
	v_add_nc_u32_e32 v47, 1, v47
	v_add_nc_u32_e32 v48, 8, v48
	;; [unrolled: 1-line block ×3, first 2 shown]
	v_cmp_lt_u32_e32 vcc_lo, 9, v47
	s_or_b32 s5, vcc_lo, s5
	s_waitcnt vmcnt(1) lgkmcnt(0)
	v_mul_f32_e32 v55, v52, v53
	v_mul_f32_e32 v53, v51, v53
	s_waitcnt vmcnt(0)
	v_fma_f32 v51, v51, v54, -v55
	v_fmac_f32_e32 v53, v52, v54
	v_add_f32_e32 v50, v50, v51
	v_add_f32_e32 v44, v44, v53
	s_andn2_b32 exec_lo, exec_lo, s5
	s_cbranch_execnz .LBB84_57
; %bb.58:
	s_or_b32 exec_lo, exec_lo, s5
	v_mov_b32_e32 v47, 0
	ds_read_b64 v[47:48], v47 offset:88
	s_waitcnt lgkmcnt(0)
	v_mul_f32_e32 v49, v44, v48
	v_mul_f32_e32 v48, v50, v48
	v_fma_f32 v49, v50, v47, -v49
	v_fmac_f32_e32 v48, v44, v47
	buffer_store_dword v49, off, s[0:3], 0 offset:88
	buffer_store_dword v48, off, s[0:3], 0 offset:92
.LBB84_59:
	s_or_b32 exec_lo, exec_lo, s4
	s_waitcnt_vscnt null, 0x0
	s_barrier
	buffer_gl0_inv
	s_clause 0x1
	buffer_load_dword v47, off, s[0:3], 0 offset:96
	buffer_load_dword v48, off, s[0:3], 0 offset:100
	s_mov_b32 s4, exec_lo
	s_waitcnt vmcnt(0)
	ds_write_b64 v46, v[47:48]
	s_waitcnt lgkmcnt(0)
	s_barrier
	buffer_gl0_inv
	v_cmpx_gt_u32_e32 12, v0
	s_cbranch_execz .LBB84_63
; %bb.60:
	v_add_nc_u32_e32 v47, -1, v0
	v_add_nc_u32_e32 v48, 0xb0, v45
	v_mov_b32_e32 v49, v45
	v_mov_b32_e32 v44, 0
	;; [unrolled: 1-line block ×3, first 2 shown]
	s_mov_b32 s5, 0
	.p2align	6
.LBB84_61:                              ; =>This Inner Loop Header: Depth=1
	s_clause 0x1
	buffer_load_dword v53, v49, s[0:3], 0 offen offset:4
	buffer_load_dword v54, v49, s[0:3], 0 offen
	ds_read_b64 v[51:52], v48
	v_add_nc_u32_e32 v47, 1, v47
	v_add_nc_u32_e32 v48, 8, v48
	;; [unrolled: 1-line block ×3, first 2 shown]
	v_cmp_lt_u32_e32 vcc_lo, 10, v47
	s_or_b32 s5, vcc_lo, s5
	s_waitcnt vmcnt(1) lgkmcnt(0)
	v_mul_f32_e32 v55, v52, v53
	v_mul_f32_e32 v53, v51, v53
	s_waitcnt vmcnt(0)
	v_fma_f32 v51, v51, v54, -v55
	v_fmac_f32_e32 v53, v52, v54
	v_add_f32_e32 v50, v50, v51
	v_add_f32_e32 v44, v44, v53
	s_andn2_b32 exec_lo, exec_lo, s5
	s_cbranch_execnz .LBB84_61
; %bb.62:
	s_or_b32 exec_lo, exec_lo, s5
	v_mov_b32_e32 v47, 0
	ds_read_b64 v[47:48], v47 offset:96
	s_waitcnt lgkmcnt(0)
	v_mul_f32_e32 v49, v44, v48
	v_mul_f32_e32 v48, v50, v48
	v_fma_f32 v49, v50, v47, -v49
	v_fmac_f32_e32 v48, v44, v47
	buffer_store_dword v49, off, s[0:3], 0 offset:96
	buffer_store_dword v48, off, s[0:3], 0 offset:100
.LBB84_63:
	s_or_b32 exec_lo, exec_lo, s4
	s_waitcnt_vscnt null, 0x0
	s_barrier
	buffer_gl0_inv
	s_clause 0x1
	buffer_load_dword v47, off, s[0:3], 0 offset:104
	buffer_load_dword v48, off, s[0:3], 0 offset:108
	s_mov_b32 s4, exec_lo
	s_waitcnt vmcnt(0)
	ds_write_b64 v46, v[47:48]
	s_waitcnt lgkmcnt(0)
	s_barrier
	buffer_gl0_inv
	v_cmpx_gt_u32_e32 13, v0
	s_cbranch_execz .LBB84_67
; %bb.64:
	v_add_nc_u32_e32 v47, -1, v0
	v_add_nc_u32_e32 v48, 0xb0, v45
	v_mov_b32_e32 v49, v45
	v_mov_b32_e32 v44, 0
	;; [unrolled: 1-line block ×3, first 2 shown]
	s_mov_b32 s5, 0
	.p2align	6
.LBB84_65:                              ; =>This Inner Loop Header: Depth=1
	s_clause 0x1
	buffer_load_dword v53, v49, s[0:3], 0 offen offset:4
	buffer_load_dword v54, v49, s[0:3], 0 offen
	ds_read_b64 v[51:52], v48
	v_add_nc_u32_e32 v47, 1, v47
	v_add_nc_u32_e32 v48, 8, v48
	;; [unrolled: 1-line block ×3, first 2 shown]
	v_cmp_lt_u32_e32 vcc_lo, 11, v47
	s_or_b32 s5, vcc_lo, s5
	s_waitcnt vmcnt(1) lgkmcnt(0)
	v_mul_f32_e32 v55, v52, v53
	v_mul_f32_e32 v53, v51, v53
	s_waitcnt vmcnt(0)
	v_fma_f32 v51, v51, v54, -v55
	v_fmac_f32_e32 v53, v52, v54
	v_add_f32_e32 v50, v50, v51
	v_add_f32_e32 v44, v44, v53
	s_andn2_b32 exec_lo, exec_lo, s5
	s_cbranch_execnz .LBB84_65
; %bb.66:
	s_or_b32 exec_lo, exec_lo, s5
	v_mov_b32_e32 v47, 0
	ds_read_b64 v[47:48], v47 offset:104
	s_waitcnt lgkmcnt(0)
	v_mul_f32_e32 v49, v44, v48
	v_mul_f32_e32 v48, v50, v48
	v_fma_f32 v49, v50, v47, -v49
	v_fmac_f32_e32 v48, v44, v47
	buffer_store_dword v49, off, s[0:3], 0 offset:104
	buffer_store_dword v48, off, s[0:3], 0 offset:108
.LBB84_67:
	s_or_b32 exec_lo, exec_lo, s4
	s_waitcnt_vscnt null, 0x0
	s_barrier
	buffer_gl0_inv
	s_clause 0x1
	buffer_load_dword v47, off, s[0:3], 0 offset:112
	buffer_load_dword v48, off, s[0:3], 0 offset:116
	s_mov_b32 s4, exec_lo
	s_waitcnt vmcnt(0)
	ds_write_b64 v46, v[47:48]
	s_waitcnt lgkmcnt(0)
	s_barrier
	buffer_gl0_inv
	v_cmpx_gt_u32_e32 14, v0
	s_cbranch_execz .LBB84_71
; %bb.68:
	v_add_nc_u32_e32 v47, -1, v0
	v_add_nc_u32_e32 v48, 0xb0, v45
	v_mov_b32_e32 v49, v45
	v_mov_b32_e32 v44, 0
	;; [unrolled: 1-line block ×3, first 2 shown]
	s_mov_b32 s5, 0
	.p2align	6
.LBB84_69:                              ; =>This Inner Loop Header: Depth=1
	s_clause 0x1
	buffer_load_dword v53, v49, s[0:3], 0 offen offset:4
	buffer_load_dword v54, v49, s[0:3], 0 offen
	ds_read_b64 v[51:52], v48
	v_add_nc_u32_e32 v47, 1, v47
	v_add_nc_u32_e32 v48, 8, v48
	;; [unrolled: 1-line block ×3, first 2 shown]
	v_cmp_lt_u32_e32 vcc_lo, 12, v47
	s_or_b32 s5, vcc_lo, s5
	s_waitcnt vmcnt(1) lgkmcnt(0)
	v_mul_f32_e32 v55, v52, v53
	v_mul_f32_e32 v53, v51, v53
	s_waitcnt vmcnt(0)
	v_fma_f32 v51, v51, v54, -v55
	v_fmac_f32_e32 v53, v52, v54
	v_add_f32_e32 v50, v50, v51
	v_add_f32_e32 v44, v44, v53
	s_andn2_b32 exec_lo, exec_lo, s5
	s_cbranch_execnz .LBB84_69
; %bb.70:
	s_or_b32 exec_lo, exec_lo, s5
	v_mov_b32_e32 v47, 0
	ds_read_b64 v[47:48], v47 offset:112
	s_waitcnt lgkmcnt(0)
	v_mul_f32_e32 v49, v44, v48
	v_mul_f32_e32 v48, v50, v48
	v_fma_f32 v49, v50, v47, -v49
	v_fmac_f32_e32 v48, v44, v47
	buffer_store_dword v49, off, s[0:3], 0 offset:112
	buffer_store_dword v48, off, s[0:3], 0 offset:116
.LBB84_71:
	s_or_b32 exec_lo, exec_lo, s4
	s_waitcnt_vscnt null, 0x0
	s_barrier
	buffer_gl0_inv
	s_clause 0x1
	buffer_load_dword v47, off, s[0:3], 0 offset:120
	buffer_load_dword v48, off, s[0:3], 0 offset:124
	s_mov_b32 s4, exec_lo
	s_waitcnt vmcnt(0)
	ds_write_b64 v46, v[47:48]
	s_waitcnt lgkmcnt(0)
	s_barrier
	buffer_gl0_inv
	v_cmpx_gt_u32_e32 15, v0
	s_cbranch_execz .LBB84_75
; %bb.72:
	v_add_nc_u32_e32 v47, -1, v0
	v_add_nc_u32_e32 v48, 0xb0, v45
	v_mov_b32_e32 v49, v45
	v_mov_b32_e32 v44, 0
	;; [unrolled: 1-line block ×3, first 2 shown]
	s_mov_b32 s5, 0
	.p2align	6
.LBB84_73:                              ; =>This Inner Loop Header: Depth=1
	s_clause 0x1
	buffer_load_dword v53, v49, s[0:3], 0 offen offset:4
	buffer_load_dword v54, v49, s[0:3], 0 offen
	ds_read_b64 v[51:52], v48
	v_add_nc_u32_e32 v47, 1, v47
	v_add_nc_u32_e32 v48, 8, v48
	;; [unrolled: 1-line block ×3, first 2 shown]
	v_cmp_lt_u32_e32 vcc_lo, 13, v47
	s_or_b32 s5, vcc_lo, s5
	s_waitcnt vmcnt(1) lgkmcnt(0)
	v_mul_f32_e32 v55, v52, v53
	v_mul_f32_e32 v53, v51, v53
	s_waitcnt vmcnt(0)
	v_fma_f32 v51, v51, v54, -v55
	v_fmac_f32_e32 v53, v52, v54
	v_add_f32_e32 v50, v50, v51
	v_add_f32_e32 v44, v44, v53
	s_andn2_b32 exec_lo, exec_lo, s5
	s_cbranch_execnz .LBB84_73
; %bb.74:
	s_or_b32 exec_lo, exec_lo, s5
	v_mov_b32_e32 v47, 0
	ds_read_b64 v[47:48], v47 offset:120
	s_waitcnt lgkmcnt(0)
	v_mul_f32_e32 v49, v44, v48
	v_mul_f32_e32 v48, v50, v48
	v_fma_f32 v49, v50, v47, -v49
	v_fmac_f32_e32 v48, v44, v47
	buffer_store_dword v49, off, s[0:3], 0 offset:120
	buffer_store_dword v48, off, s[0:3], 0 offset:124
.LBB84_75:
	s_or_b32 exec_lo, exec_lo, s4
	s_waitcnt_vscnt null, 0x0
	s_barrier
	buffer_gl0_inv
	s_clause 0x1
	buffer_load_dword v47, off, s[0:3], 0 offset:128
	buffer_load_dword v48, off, s[0:3], 0 offset:132
	s_mov_b32 s4, exec_lo
	s_waitcnt vmcnt(0)
	ds_write_b64 v46, v[47:48]
	s_waitcnt lgkmcnt(0)
	s_barrier
	buffer_gl0_inv
	v_cmpx_gt_u32_e32 16, v0
	s_cbranch_execz .LBB84_79
; %bb.76:
	v_add_nc_u32_e32 v47, -1, v0
	v_add_nc_u32_e32 v48, 0xb0, v45
	v_mov_b32_e32 v49, v45
	v_mov_b32_e32 v44, 0
	;; [unrolled: 1-line block ×3, first 2 shown]
	s_mov_b32 s5, 0
	.p2align	6
.LBB84_77:                              ; =>This Inner Loop Header: Depth=1
	s_clause 0x1
	buffer_load_dword v53, v49, s[0:3], 0 offen offset:4
	buffer_load_dword v54, v49, s[0:3], 0 offen
	ds_read_b64 v[51:52], v48
	v_add_nc_u32_e32 v47, 1, v47
	v_add_nc_u32_e32 v48, 8, v48
	v_add_nc_u32_e32 v49, 8, v49
	v_cmp_lt_u32_e32 vcc_lo, 14, v47
	s_or_b32 s5, vcc_lo, s5
	s_waitcnt vmcnt(1) lgkmcnt(0)
	v_mul_f32_e32 v55, v52, v53
	v_mul_f32_e32 v53, v51, v53
	s_waitcnt vmcnt(0)
	v_fma_f32 v51, v51, v54, -v55
	v_fmac_f32_e32 v53, v52, v54
	v_add_f32_e32 v50, v50, v51
	v_add_f32_e32 v44, v44, v53
	s_andn2_b32 exec_lo, exec_lo, s5
	s_cbranch_execnz .LBB84_77
; %bb.78:
	s_or_b32 exec_lo, exec_lo, s5
	v_mov_b32_e32 v47, 0
	ds_read_b64 v[47:48], v47 offset:128
	s_waitcnt lgkmcnt(0)
	v_mul_f32_e32 v49, v44, v48
	v_mul_f32_e32 v48, v50, v48
	v_fma_f32 v49, v50, v47, -v49
	v_fmac_f32_e32 v48, v44, v47
	buffer_store_dword v49, off, s[0:3], 0 offset:128
	buffer_store_dword v48, off, s[0:3], 0 offset:132
.LBB84_79:
	s_or_b32 exec_lo, exec_lo, s4
	s_waitcnt_vscnt null, 0x0
	s_barrier
	buffer_gl0_inv
	s_clause 0x1
	buffer_load_dword v47, off, s[0:3], 0 offset:136
	buffer_load_dword v48, off, s[0:3], 0 offset:140
	s_mov_b32 s4, exec_lo
	s_waitcnt vmcnt(0)
	ds_write_b64 v46, v[47:48]
	s_waitcnt lgkmcnt(0)
	s_barrier
	buffer_gl0_inv
	v_cmpx_gt_u32_e32 17, v0
	s_cbranch_execz .LBB84_83
; %bb.80:
	v_add_nc_u32_e32 v47, -1, v0
	v_add_nc_u32_e32 v48, 0xb0, v45
	v_mov_b32_e32 v49, v45
	v_mov_b32_e32 v44, 0
	;; [unrolled: 1-line block ×3, first 2 shown]
	s_mov_b32 s5, 0
	.p2align	6
.LBB84_81:                              ; =>This Inner Loop Header: Depth=1
	s_clause 0x1
	buffer_load_dword v53, v49, s[0:3], 0 offen offset:4
	buffer_load_dword v54, v49, s[0:3], 0 offen
	ds_read_b64 v[51:52], v48
	v_add_nc_u32_e32 v47, 1, v47
	v_add_nc_u32_e32 v48, 8, v48
	;; [unrolled: 1-line block ×3, first 2 shown]
	v_cmp_lt_u32_e32 vcc_lo, 15, v47
	s_or_b32 s5, vcc_lo, s5
	s_waitcnt vmcnt(1) lgkmcnt(0)
	v_mul_f32_e32 v55, v52, v53
	v_mul_f32_e32 v53, v51, v53
	s_waitcnt vmcnt(0)
	v_fma_f32 v51, v51, v54, -v55
	v_fmac_f32_e32 v53, v52, v54
	v_add_f32_e32 v50, v50, v51
	v_add_f32_e32 v44, v44, v53
	s_andn2_b32 exec_lo, exec_lo, s5
	s_cbranch_execnz .LBB84_81
; %bb.82:
	s_or_b32 exec_lo, exec_lo, s5
	v_mov_b32_e32 v47, 0
	ds_read_b64 v[47:48], v47 offset:136
	s_waitcnt lgkmcnt(0)
	v_mul_f32_e32 v49, v44, v48
	v_mul_f32_e32 v48, v50, v48
	v_fma_f32 v49, v50, v47, -v49
	v_fmac_f32_e32 v48, v44, v47
	buffer_store_dword v49, off, s[0:3], 0 offset:136
	buffer_store_dword v48, off, s[0:3], 0 offset:140
.LBB84_83:
	s_or_b32 exec_lo, exec_lo, s4
	s_waitcnt_vscnt null, 0x0
	s_barrier
	buffer_gl0_inv
	s_clause 0x1
	buffer_load_dword v47, off, s[0:3], 0 offset:144
	buffer_load_dword v48, off, s[0:3], 0 offset:148
	s_mov_b32 s4, exec_lo
	s_waitcnt vmcnt(0)
	ds_write_b64 v46, v[47:48]
	s_waitcnt lgkmcnt(0)
	s_barrier
	buffer_gl0_inv
	v_cmpx_gt_u32_e32 18, v0
	s_cbranch_execz .LBB84_87
; %bb.84:
	v_add_nc_u32_e32 v47, -1, v0
	v_add_nc_u32_e32 v48, 0xb0, v45
	v_mov_b32_e32 v49, v45
	v_mov_b32_e32 v44, 0
	;; [unrolled: 1-line block ×3, first 2 shown]
	s_mov_b32 s5, 0
	.p2align	6
.LBB84_85:                              ; =>This Inner Loop Header: Depth=1
	s_clause 0x1
	buffer_load_dword v53, v49, s[0:3], 0 offen offset:4
	buffer_load_dword v54, v49, s[0:3], 0 offen
	ds_read_b64 v[51:52], v48
	v_add_nc_u32_e32 v47, 1, v47
	v_add_nc_u32_e32 v48, 8, v48
	;; [unrolled: 1-line block ×3, first 2 shown]
	v_cmp_lt_u32_e32 vcc_lo, 16, v47
	s_or_b32 s5, vcc_lo, s5
	s_waitcnt vmcnt(1) lgkmcnt(0)
	v_mul_f32_e32 v55, v52, v53
	v_mul_f32_e32 v53, v51, v53
	s_waitcnt vmcnt(0)
	v_fma_f32 v51, v51, v54, -v55
	v_fmac_f32_e32 v53, v52, v54
	v_add_f32_e32 v50, v50, v51
	v_add_f32_e32 v44, v44, v53
	s_andn2_b32 exec_lo, exec_lo, s5
	s_cbranch_execnz .LBB84_85
; %bb.86:
	s_or_b32 exec_lo, exec_lo, s5
	v_mov_b32_e32 v47, 0
	ds_read_b64 v[47:48], v47 offset:144
	s_waitcnt lgkmcnt(0)
	v_mul_f32_e32 v49, v44, v48
	v_mul_f32_e32 v48, v50, v48
	v_fma_f32 v49, v50, v47, -v49
	v_fmac_f32_e32 v48, v44, v47
	buffer_store_dword v49, off, s[0:3], 0 offset:144
	buffer_store_dword v48, off, s[0:3], 0 offset:148
.LBB84_87:
	s_or_b32 exec_lo, exec_lo, s4
	s_waitcnt_vscnt null, 0x0
	s_barrier
	buffer_gl0_inv
	s_clause 0x1
	buffer_load_dword v47, off, s[0:3], 0 offset:152
	buffer_load_dword v48, off, s[0:3], 0 offset:156
	s_mov_b32 s4, exec_lo
	s_waitcnt vmcnt(0)
	ds_write_b64 v46, v[47:48]
	s_waitcnt lgkmcnt(0)
	s_barrier
	buffer_gl0_inv
	v_cmpx_gt_u32_e32 19, v0
	s_cbranch_execz .LBB84_91
; %bb.88:
	v_add_nc_u32_e32 v47, -1, v0
	v_add_nc_u32_e32 v48, 0xb0, v45
	v_mov_b32_e32 v49, v45
	v_mov_b32_e32 v44, 0
	;; [unrolled: 1-line block ×3, first 2 shown]
	s_mov_b32 s5, 0
	.p2align	6
.LBB84_89:                              ; =>This Inner Loop Header: Depth=1
	s_clause 0x1
	buffer_load_dword v53, v49, s[0:3], 0 offen offset:4
	buffer_load_dword v54, v49, s[0:3], 0 offen
	ds_read_b64 v[51:52], v48
	v_add_nc_u32_e32 v47, 1, v47
	v_add_nc_u32_e32 v48, 8, v48
	;; [unrolled: 1-line block ×3, first 2 shown]
	v_cmp_lt_u32_e32 vcc_lo, 17, v47
	s_or_b32 s5, vcc_lo, s5
	s_waitcnt vmcnt(1) lgkmcnt(0)
	v_mul_f32_e32 v55, v52, v53
	v_mul_f32_e32 v53, v51, v53
	s_waitcnt vmcnt(0)
	v_fma_f32 v51, v51, v54, -v55
	v_fmac_f32_e32 v53, v52, v54
	v_add_f32_e32 v50, v50, v51
	v_add_f32_e32 v44, v44, v53
	s_andn2_b32 exec_lo, exec_lo, s5
	s_cbranch_execnz .LBB84_89
; %bb.90:
	s_or_b32 exec_lo, exec_lo, s5
	v_mov_b32_e32 v47, 0
	ds_read_b64 v[47:48], v47 offset:152
	s_waitcnt lgkmcnt(0)
	v_mul_f32_e32 v49, v44, v48
	v_mul_f32_e32 v48, v50, v48
	v_fma_f32 v49, v50, v47, -v49
	v_fmac_f32_e32 v48, v44, v47
	buffer_store_dword v49, off, s[0:3], 0 offset:152
	buffer_store_dword v48, off, s[0:3], 0 offset:156
.LBB84_91:
	s_or_b32 exec_lo, exec_lo, s4
	s_waitcnt_vscnt null, 0x0
	s_barrier
	buffer_gl0_inv
	s_clause 0x1
	buffer_load_dword v47, off, s[0:3], 0 offset:160
	buffer_load_dword v48, off, s[0:3], 0 offset:164
	s_mov_b32 s4, exec_lo
	s_waitcnt vmcnt(0)
	ds_write_b64 v46, v[47:48]
	s_waitcnt lgkmcnt(0)
	s_barrier
	buffer_gl0_inv
	v_cmpx_ne_u32_e32 20, v0
	s_cbranch_execz .LBB84_95
; %bb.92:
	v_mov_b32_e32 v44, 0
	v_mov_b32_e32 v47, 0
	s_mov_b32 s5, 0
	.p2align	6
.LBB84_93:                              ; =>This Inner Loop Header: Depth=1
	s_clause 0x1
	buffer_load_dword v50, v45, s[0:3], 0 offen offset:4
	buffer_load_dword v51, v45, s[0:3], 0 offen
	ds_read_b64 v[48:49], v46
	v_add_nc_u32_e32 v43, 1, v43
	v_add_nc_u32_e32 v46, 8, v46
	;; [unrolled: 1-line block ×3, first 2 shown]
	v_cmp_lt_u32_e32 vcc_lo, 18, v43
	s_or_b32 s5, vcc_lo, s5
	s_waitcnt vmcnt(1) lgkmcnt(0)
	v_mul_f32_e32 v52, v49, v50
	v_mul_f32_e32 v50, v48, v50
	s_waitcnt vmcnt(0)
	v_fma_f32 v48, v48, v51, -v52
	v_fmac_f32_e32 v50, v49, v51
	v_add_f32_e32 v47, v47, v48
	v_add_f32_e32 v44, v44, v50
	s_andn2_b32 exec_lo, exec_lo, s5
	s_cbranch_execnz .LBB84_93
; %bb.94:
	s_or_b32 exec_lo, exec_lo, s5
	v_mov_b32_e32 v43, 0
	ds_read_b64 v[45:46], v43 offset:160
	s_waitcnt lgkmcnt(0)
	v_mul_f32_e32 v43, v44, v46
	v_mul_f32_e32 v46, v47, v46
	v_fma_f32 v43, v47, v45, -v43
	v_fmac_f32_e32 v46, v44, v45
	buffer_store_dword v43, off, s[0:3], 0 offset:160
	buffer_store_dword v46, off, s[0:3], 0 offset:164
.LBB84_95:
	s_or_b32 exec_lo, exec_lo, s4
	s_mov_b32 s5, -1
	s_waitcnt_vscnt null, 0x0
	s_barrier
	buffer_gl0_inv
.LBB84_96:
	s_and_b32 vcc_lo, exec_lo, s5
	s_cbranch_vccz .LBB84_98
; %bb.97:
	s_lshl_b64 s[4:5], s[6:7], 2
	v_mov_b32_e32 v43, 0
	s_add_u32 s4, s10, s4
	s_addc_u32 s5, s11, s5
	global_load_dword v43, v43, s[4:5]
	s_waitcnt vmcnt(0)
	v_cmp_ne_u32_e32 vcc_lo, 0, v43
	s_cbranch_vccz .LBB84_99
.LBB84_98:
	s_endpgm
.LBB84_99:
	v_lshl_add_u32 v43, v0, 3, 0xb0
	s_mov_b32 s4, exec_lo
	v_cmpx_eq_u32_e32 20, v0
	s_cbranch_execz .LBB84_101
; %bb.100:
	s_clause 0x1
	buffer_load_dword v44, off, s[0:3], 0 offset:152
	buffer_load_dword v45, off, s[0:3], 0 offset:156
	v_mov_b32_e32 v46, 0
	buffer_store_dword v46, off, s[0:3], 0 offset:152
	buffer_store_dword v46, off, s[0:3], 0 offset:156
	s_waitcnt vmcnt(0)
	ds_write_b64 v43, v[44:45]
.LBB84_101:
	s_or_b32 exec_lo, exec_lo, s4
	s_waitcnt lgkmcnt(0)
	s_waitcnt_vscnt null, 0x0
	s_barrier
	buffer_gl0_inv
	s_clause 0x3
	buffer_load_dword v47, off, s[0:3], 0 offset:164
	buffer_load_dword v48, off, s[0:3], 0 offset:160
	;; [unrolled: 1-line block ×4, first 2 shown]
	v_mov_b32_e32 v44, 0
	s_mov_b32 s4, exec_lo
	ds_read_b64 v[45:46], v44 offset:336
	s_waitcnt vmcnt(3) lgkmcnt(0)
	v_mul_f32_e32 v51, v46, v47
	v_mul_f32_e32 v47, v45, v47
	s_waitcnt vmcnt(2)
	v_fma_f32 v45, v45, v48, -v51
	v_fmac_f32_e32 v47, v46, v48
	v_add_f32_e32 v45, 0, v45
	v_add_f32_e32 v46, 0, v47
	s_waitcnt vmcnt(1)
	v_sub_f32_e32 v45, v49, v45
	s_waitcnt vmcnt(0)
	v_sub_f32_e32 v46, v50, v46
	buffer_store_dword v45, off, s[0:3], 0 offset:152
	buffer_store_dword v46, off, s[0:3], 0 offset:156
	v_cmpx_lt_u32_e32 18, v0
	s_cbranch_execz .LBB84_103
; %bb.102:
	s_clause 0x1
	buffer_load_dword v45, off, s[0:3], 0 offset:144
	buffer_load_dword v46, off, s[0:3], 0 offset:148
	buffer_store_dword v44, off, s[0:3], 0 offset:144
	buffer_store_dword v44, off, s[0:3], 0 offset:148
	s_waitcnt vmcnt(0)
	ds_write_b64 v43, v[45:46]
.LBB84_103:
	s_or_b32 exec_lo, exec_lo, s4
	s_waitcnt lgkmcnt(0)
	s_waitcnt_vscnt null, 0x0
	s_barrier
	buffer_gl0_inv
	s_clause 0x5
	buffer_load_dword v48, off, s[0:3], 0 offset:156
	buffer_load_dword v49, off, s[0:3], 0 offset:164
	;; [unrolled: 1-line block ×6, first 2 shown]
	ds_read2_b64 v[44:47], v44 offset0:41 offset1:42
	s_mov_b32 s4, exec_lo
	s_waitcnt vmcnt(5) lgkmcnt(0)
	v_mul_f32_e32 v54, v45, v48
	v_mul_f32_e32 v48, v44, v48
	s_waitcnt vmcnt(4)
	v_mul_f32_e32 v55, v46, v49
	v_mul_f32_e32 v49, v47, v49
	s_waitcnt vmcnt(3)
	v_fma_f32 v44, v44, v50, -v54
	v_fmac_f32_e32 v48, v45, v50
	s_waitcnt vmcnt(2)
	v_fmac_f32_e32 v55, v47, v51
	v_fma_f32 v45, v46, v51, -v49
	v_add_f32_e32 v44, 0, v44
	v_add_f32_e32 v46, 0, v48
	;; [unrolled: 1-line block ×4, first 2 shown]
	s_waitcnt vmcnt(1)
	v_sub_f32_e32 v44, v52, v44
	s_waitcnt vmcnt(0)
	v_sub_f32_e32 v45, v53, v45
	buffer_store_dword v44, off, s[0:3], 0 offset:144
	buffer_store_dword v45, off, s[0:3], 0 offset:148
	v_cmpx_lt_u32_e32 17, v0
	s_cbranch_execz .LBB84_105
; %bb.104:
	s_clause 0x1
	buffer_load_dword v44, off, s[0:3], 0 offset:136
	buffer_load_dword v45, off, s[0:3], 0 offset:140
	v_mov_b32_e32 v46, 0
	buffer_store_dword v46, off, s[0:3], 0 offset:136
	buffer_store_dword v46, off, s[0:3], 0 offset:140
	s_waitcnt vmcnt(0)
	ds_write_b64 v43, v[44:45]
.LBB84_105:
	s_or_b32 exec_lo, exec_lo, s4
	s_waitcnt lgkmcnt(0)
	s_waitcnt_vscnt null, 0x0
	s_barrier
	buffer_gl0_inv
	s_clause 0x7
	buffer_load_dword v51, off, s[0:3], 0 offset:148
	buffer_load_dword v52, off, s[0:3], 0 offset:156
	;; [unrolled: 1-line block ×8, first 2 shown]
	v_mov_b32_e32 v44, 0
	ds_read_b128 v[45:48], v44 offset:320
	ds_read_b64 v[49:50], v44 offset:336
	s_mov_b32 s4, exec_lo
	s_waitcnt vmcnt(7) lgkmcnt(1)
	v_mul_f32_e32 v59, v46, v51
	v_mul_f32_e32 v51, v45, v51
	s_waitcnt vmcnt(6)
	v_mul_f32_e32 v60, v47, v52
	v_mul_f32_e32 v52, v48, v52
	s_waitcnt vmcnt(5) lgkmcnt(0)
	v_mul_f32_e32 v61, v49, v53
	s_waitcnt vmcnt(4)
	v_fma_f32 v45, v45, v54, -v59
	v_fmac_f32_e32 v51, v46, v54
	v_mul_f32_e32 v46, v50, v53
	s_waitcnt vmcnt(3)
	v_fma_f32 v47, v47, v55, -v52
	v_fmac_f32_e32 v60, v48, v55
	v_add_f32_e32 v45, 0, v45
	v_add_f32_e32 v48, 0, v51
	s_waitcnt vmcnt(2)
	v_fma_f32 v46, v49, v56, -v46
	v_fmac_f32_e32 v61, v50, v56
	v_add_f32_e32 v45, v45, v47
	v_add_f32_e32 v47, v48, v60
	;; [unrolled: 1-line block ×4, first 2 shown]
	s_waitcnt vmcnt(1)
	v_sub_f32_e32 v45, v57, v45
	s_waitcnt vmcnt(0)
	v_sub_f32_e32 v46, v58, v46
	buffer_store_dword v45, off, s[0:3], 0 offset:136
	buffer_store_dword v46, off, s[0:3], 0 offset:140
	v_cmpx_lt_u32_e32 16, v0
	s_cbranch_execz .LBB84_107
; %bb.106:
	s_clause 0x1
	buffer_load_dword v45, off, s[0:3], 0 offset:128
	buffer_load_dword v46, off, s[0:3], 0 offset:132
	buffer_store_dword v44, off, s[0:3], 0 offset:128
	buffer_store_dword v44, off, s[0:3], 0 offset:132
	s_waitcnt vmcnt(0)
	ds_write_b64 v43, v[45:46]
.LBB84_107:
	s_or_b32 exec_lo, exec_lo, s4
	s_waitcnt lgkmcnt(0)
	s_waitcnt_vscnt null, 0x0
	s_barrier
	buffer_gl0_inv
	s_clause 0x9
	buffer_load_dword v53, off, s[0:3], 0 offset:140
	buffer_load_dword v54, off, s[0:3], 0 offset:148
	;; [unrolled: 1-line block ×10, first 2 shown]
	ds_read2_b64 v[45:48], v44 offset0:39 offset1:40
	ds_read2_b64 v[49:52], v44 offset0:41 offset1:42
	s_mov_b32 s4, exec_lo
	s_waitcnt vmcnt(9) lgkmcnt(1)
	v_mul_f32_e32 v44, v45, v53
	v_mul_f32_e32 v53, v46, v53
	s_waitcnt vmcnt(8)
	v_mul_f32_e32 v63, v47, v54
	v_mul_f32_e32 v54, v48, v54
	s_waitcnt vmcnt(7) lgkmcnt(0)
	v_mul_f32_e32 v64, v49, v55
	s_waitcnt vmcnt(5)
	v_fmac_f32_e32 v44, v46, v57
	v_fma_f32 v45, v45, v57, -v53
	v_mul_f32_e32 v46, v50, v55
	s_waitcnt vmcnt(4)
	v_fma_f32 v47, v47, v58, -v54
	v_fmac_f32_e32 v63, v48, v58
	v_add_f32_e32 v44, 0, v44
	v_add_f32_e32 v45, 0, v45
	v_mul_f32_e32 v48, v52, v56
	s_waitcnt vmcnt(3)
	v_fma_f32 v46, v49, v59, -v46
	v_mul_f32_e32 v65, v51, v56
	v_fmac_f32_e32 v64, v50, v59
	v_add_f32_e32 v45, v45, v47
	v_add_f32_e32 v44, v44, v63
	s_waitcnt vmcnt(2)
	v_fma_f32 v47, v51, v60, -v48
	v_fmac_f32_e32 v65, v52, v60
	v_add_f32_e32 v45, v45, v46
	v_add_f32_e32 v44, v44, v64
	;; [unrolled: 1-line block ×4, first 2 shown]
	s_waitcnt vmcnt(1)
	v_sub_f32_e32 v45, v61, v45
	s_waitcnt vmcnt(0)
	v_sub_f32_e32 v44, v62, v44
	buffer_store_dword v45, off, s[0:3], 0 offset:128
	buffer_store_dword v44, off, s[0:3], 0 offset:132
	v_cmpx_lt_u32_e32 15, v0
	s_cbranch_execz .LBB84_109
; %bb.108:
	s_clause 0x1
	buffer_load_dword v44, off, s[0:3], 0 offset:120
	buffer_load_dword v45, off, s[0:3], 0 offset:124
	v_mov_b32_e32 v46, 0
	buffer_store_dword v46, off, s[0:3], 0 offset:120
	buffer_store_dword v46, off, s[0:3], 0 offset:124
	s_waitcnt vmcnt(0)
	ds_write_b64 v43, v[44:45]
.LBB84_109:
	s_or_b32 exec_lo, exec_lo, s4
	s_waitcnt lgkmcnt(0)
	s_waitcnt_vscnt null, 0x0
	s_barrier
	buffer_gl0_inv
	s_clause 0xb
	buffer_load_dword v55, off, s[0:3], 0 offset:132
	buffer_load_dword v56, off, s[0:3], 0 offset:140
	;; [unrolled: 1-line block ×12, first 2 shown]
	v_mov_b32_e32 v44, 0
	ds_read_b128 v[45:48], v44 offset:304
	ds_read_b128 v[49:52], v44 offset:320
	ds_read_b64 v[53:54], v44 offset:336
	s_mov_b32 s4, exec_lo
	s_waitcnt vmcnt(11) lgkmcnt(2)
	v_mul_f32_e32 v67, v45, v55
	v_mul_f32_e32 v55, v46, v55
	s_waitcnt vmcnt(10)
	v_mul_f32_e32 v68, v47, v56
	v_mul_f32_e32 v56, v48, v56
	s_waitcnt vmcnt(9) lgkmcnt(1)
	v_mul_f32_e32 v69, v49, v57
	s_waitcnt vmcnt(6)
	v_fmac_f32_e32 v67, v46, v60
	v_fma_f32 v45, v45, v60, -v55
	v_mul_f32_e32 v46, v50, v57
	s_waitcnt vmcnt(5)
	v_fma_f32 v47, v47, v61, -v56
	v_fmac_f32_e32 v68, v48, v61
	v_add_f32_e32 v48, 0, v67
	v_add_f32_e32 v45, 0, v45
	v_mul_f32_e32 v55, v52, v58
	s_waitcnt vmcnt(4)
	v_fma_f32 v46, v49, v62, -v46
	v_mul_f32_e32 v70, v51, v58
	v_fmac_f32_e32 v69, v50, v62
	v_add_f32_e32 v45, v45, v47
	v_add_f32_e32 v47, v48, v68
	s_waitcnt lgkmcnt(0)
	v_mul_f32_e32 v48, v54, v59
	s_waitcnt vmcnt(3)
	v_fma_f32 v49, v51, v63, -v55
	v_mul_f32_e32 v71, v53, v59
	v_add_f32_e32 v45, v45, v46
	v_fmac_f32_e32 v70, v52, v63
	v_add_f32_e32 v46, v47, v69
	s_waitcnt vmcnt(2)
	v_fma_f32 v47, v53, v64, -v48
	v_fmac_f32_e32 v71, v54, v64
	v_add_f32_e32 v45, v45, v49
	v_add_f32_e32 v46, v46, v70
	;; [unrolled: 1-line block ×4, first 2 shown]
	s_waitcnt vmcnt(1)
	v_sub_f32_e32 v45, v65, v45
	s_waitcnt vmcnt(0)
	v_sub_f32_e32 v46, v66, v46
	buffer_store_dword v45, off, s[0:3], 0 offset:120
	buffer_store_dword v46, off, s[0:3], 0 offset:124
	v_cmpx_lt_u32_e32 14, v0
	s_cbranch_execz .LBB84_111
; %bb.110:
	s_clause 0x1
	buffer_load_dword v45, off, s[0:3], 0 offset:112
	buffer_load_dword v46, off, s[0:3], 0 offset:116
	buffer_store_dword v44, off, s[0:3], 0 offset:112
	buffer_store_dword v44, off, s[0:3], 0 offset:116
	s_waitcnt vmcnt(0)
	ds_write_b64 v43, v[45:46]
.LBB84_111:
	s_or_b32 exec_lo, exec_lo, s4
	s_waitcnt lgkmcnt(0)
	s_waitcnt_vscnt null, 0x0
	s_barrier
	buffer_gl0_inv
	s_clause 0xd
	buffer_load_dword v57, off, s[0:3], 0 offset:124
	buffer_load_dword v58, off, s[0:3], 0 offset:132
	;; [unrolled: 1-line block ×14, first 2 shown]
	ds_read2_b64 v[45:48], v44 offset0:37 offset1:38
	ds_read2_b64 v[49:52], v44 offset0:39 offset1:40
	ds_read2_b64 v[53:56], v44 offset0:41 offset1:42
	s_mov_b32 s4, exec_lo
	s_waitcnt vmcnt(13) lgkmcnt(2)
	v_mul_f32_e32 v44, v45, v57
	v_mul_f32_e32 v57, v46, v57
	s_waitcnt vmcnt(12)
	v_mul_f32_e32 v71, v47, v58
	v_mul_f32_e32 v58, v48, v58
	s_waitcnt vmcnt(11) lgkmcnt(1)
	v_mul_f32_e32 v72, v49, v59
	s_waitcnt vmcnt(10)
	v_mul_f32_e32 v73, v51, v60
	s_waitcnt vmcnt(7)
	v_fma_f32 v45, v45, v63, -v57
	v_fmac_f32_e32 v44, v46, v63
	v_mul_f32_e32 v46, v50, v59
	s_waitcnt vmcnt(6)
	v_fma_f32 v47, v47, v64, -v58
	v_fmac_f32_e32 v71, v48, v64
	v_add_f32_e32 v45, 0, v45
	v_add_f32_e32 v44, 0, v44
	v_mul_f32_e32 v48, v52, v60
	s_waitcnt vmcnt(5)
	v_fma_f32 v46, v49, v65, -v46
	v_fmac_f32_e32 v72, v50, v65
	v_add_f32_e32 v45, v45, v47
	v_add_f32_e32 v44, v44, v71
	s_waitcnt lgkmcnt(0)
	v_mul_f32_e32 v47, v54, v61
	s_waitcnt vmcnt(4)
	v_fma_f32 v48, v51, v66, -v48
	v_mul_f32_e32 v74, v53, v61
	v_add_f32_e32 v45, v45, v46
	v_fmac_f32_e32 v73, v52, v66
	v_add_f32_e32 v44, v44, v72
	v_mul_f32_e32 v46, v56, v62
	s_waitcnt vmcnt(3)
	v_fma_f32 v47, v53, v67, -v47
	v_add_f32_e32 v45, v45, v48
	v_mul_f32_e32 v75, v55, v62
	v_fmac_f32_e32 v74, v54, v67
	v_add_f32_e32 v44, v44, v73
	s_waitcnt vmcnt(2)
	v_fma_f32 v46, v55, v68, -v46
	v_add_f32_e32 v45, v45, v47
	v_fmac_f32_e32 v75, v56, v68
	v_add_f32_e32 v44, v44, v74
	v_add_f32_e32 v45, v45, v46
	v_add_f32_e32 v44, v44, v75
	s_waitcnt vmcnt(1)
	v_sub_f32_e32 v45, v69, v45
	s_waitcnt vmcnt(0)
	v_sub_f32_e32 v44, v70, v44
	buffer_store_dword v45, off, s[0:3], 0 offset:112
	buffer_store_dword v44, off, s[0:3], 0 offset:116
	v_cmpx_lt_u32_e32 13, v0
	s_cbranch_execz .LBB84_113
; %bb.112:
	s_clause 0x1
	buffer_load_dword v44, off, s[0:3], 0 offset:104
	buffer_load_dword v45, off, s[0:3], 0 offset:108
	v_mov_b32_e32 v46, 0
	buffer_store_dword v46, off, s[0:3], 0 offset:104
	buffer_store_dword v46, off, s[0:3], 0 offset:108
	s_waitcnt vmcnt(0)
	ds_write_b64 v43, v[44:45]
.LBB84_113:
	s_or_b32 exec_lo, exec_lo, s4
	s_waitcnt lgkmcnt(0)
	s_waitcnt_vscnt null, 0x0
	s_barrier
	buffer_gl0_inv
	s_clause 0xf
	buffer_load_dword v59, off, s[0:3], 0 offset:116
	buffer_load_dword v60, off, s[0:3], 0 offset:124
	buffer_load_dword v61, off, s[0:3], 0 offset:132
	buffer_load_dword v62, off, s[0:3], 0 offset:140
	buffer_load_dword v63, off, s[0:3], 0 offset:148
	buffer_load_dword v64, off, s[0:3], 0 offset:156
	buffer_load_dword v65, off, s[0:3], 0 offset:164
	buffer_load_dword v66, off, s[0:3], 0 offset:112
	buffer_load_dword v67, off, s[0:3], 0 offset:120
	buffer_load_dword v68, off, s[0:3], 0 offset:128
	buffer_load_dword v69, off, s[0:3], 0 offset:136
	buffer_load_dword v70, off, s[0:3], 0 offset:144
	buffer_load_dword v71, off, s[0:3], 0 offset:152
	buffer_load_dword v72, off, s[0:3], 0 offset:160
	buffer_load_dword v73, off, s[0:3], 0 offset:104
	buffer_load_dword v74, off, s[0:3], 0 offset:108
	v_mov_b32_e32 v44, 0
	ds_read_b128 v[45:48], v44 offset:288
	ds_read_b128 v[49:52], v44 offset:304
	;; [unrolled: 1-line block ×3, first 2 shown]
	ds_read_b64 v[57:58], v44 offset:336
	s_mov_b32 s4, exec_lo
	s_waitcnt vmcnt(15) lgkmcnt(3)
	v_mul_f32_e32 v75, v45, v59
	v_mul_f32_e32 v59, v46, v59
	s_waitcnt vmcnt(14)
	v_mul_f32_e32 v76, v47, v60
	v_mul_f32_e32 v60, v48, v60
	s_waitcnt vmcnt(13) lgkmcnt(2)
	v_mul_f32_e32 v77, v49, v61
	s_waitcnt vmcnt(12)
	v_mul_f32_e32 v78, v51, v62
	s_waitcnt vmcnt(11) lgkmcnt(1)
	v_mul_f32_e32 v79, v53, v63
	s_waitcnt vmcnt(8)
	v_fma_f32 v45, v45, v66, -v59
	v_fmac_f32_e32 v75, v46, v66
	v_mul_f32_e32 v46, v50, v61
	s_waitcnt vmcnt(7)
	v_fma_f32 v47, v47, v67, -v60
	v_fmac_f32_e32 v76, v48, v67
	v_add_f32_e32 v45, 0, v45
	v_add_f32_e32 v48, 0, v75
	v_mul_f32_e32 v59, v52, v62
	s_waitcnt vmcnt(6)
	v_fma_f32 v46, v49, v68, -v46
	v_fmac_f32_e32 v77, v50, v68
	v_add_f32_e32 v45, v45, v47
	v_add_f32_e32 v47, v48, v76
	;; [unrolled: 6-line block ×3, first 2 shown]
	v_mul_f32_e32 v47, v56, v64
	s_waitcnt vmcnt(4)
	v_fma_f32 v48, v53, v70, -v48
	v_mul_f32_e32 v80, v55, v64
	v_add_f32_e32 v45, v45, v49
	v_fmac_f32_e32 v79, v54, v70
	v_add_f32_e32 v46, v46, v78
	s_waitcnt lgkmcnt(0)
	v_mul_f32_e32 v49, v58, v65
	s_waitcnt vmcnt(3)
	v_fma_f32 v47, v55, v71, -v47
	v_add_f32_e32 v45, v45, v48
	v_mul_f32_e32 v81, v57, v65
	v_fmac_f32_e32 v80, v56, v71
	v_add_f32_e32 v46, v46, v79
	s_waitcnt vmcnt(2)
	v_fma_f32 v48, v57, v72, -v49
	v_add_f32_e32 v45, v45, v47
	v_fmac_f32_e32 v81, v58, v72
	v_add_f32_e32 v46, v46, v80
	v_add_f32_e32 v45, v45, v48
	;; [unrolled: 1-line block ×3, first 2 shown]
	s_waitcnt vmcnt(1)
	v_sub_f32_e32 v45, v73, v45
	s_waitcnt vmcnt(0)
	v_sub_f32_e32 v46, v74, v46
	buffer_store_dword v45, off, s[0:3], 0 offset:104
	buffer_store_dword v46, off, s[0:3], 0 offset:108
	v_cmpx_lt_u32_e32 12, v0
	s_cbranch_execz .LBB84_115
; %bb.114:
	s_clause 0x1
	buffer_load_dword v45, off, s[0:3], 0 offset:96
	buffer_load_dword v46, off, s[0:3], 0 offset:100
	buffer_store_dword v44, off, s[0:3], 0 offset:96
	buffer_store_dword v44, off, s[0:3], 0 offset:100
	s_waitcnt vmcnt(0)
	ds_write_b64 v43, v[45:46]
.LBB84_115:
	s_or_b32 exec_lo, exec_lo, s4
	s_waitcnt lgkmcnt(0)
	s_waitcnt_vscnt null, 0x0
	s_barrier
	buffer_gl0_inv
	s_clause 0x11
	buffer_load_dword v61, off, s[0:3], 0 offset:108
	buffer_load_dword v62, off, s[0:3], 0 offset:116
	buffer_load_dword v63, off, s[0:3], 0 offset:124
	buffer_load_dword v64, off, s[0:3], 0 offset:132
	buffer_load_dword v65, off, s[0:3], 0 offset:140
	buffer_load_dword v66, off, s[0:3], 0 offset:148
	buffer_load_dword v67, off, s[0:3], 0 offset:156
	buffer_load_dword v68, off, s[0:3], 0 offset:164
	buffer_load_dword v69, off, s[0:3], 0 offset:104
	buffer_load_dword v70, off, s[0:3], 0 offset:112
	buffer_load_dword v71, off, s[0:3], 0 offset:120
	buffer_load_dword v72, off, s[0:3], 0 offset:128
	buffer_load_dword v73, off, s[0:3], 0 offset:136
	buffer_load_dword v74, off, s[0:3], 0 offset:144
	buffer_load_dword v75, off, s[0:3], 0 offset:152
	buffer_load_dword v76, off, s[0:3], 0 offset:160
	buffer_load_dword v77, off, s[0:3], 0 offset:96
	buffer_load_dword v78, off, s[0:3], 0 offset:100
	ds_read2_b64 v[45:48], v44 offset0:35 offset1:36
	ds_read2_b64 v[49:52], v44 offset0:37 offset1:38
	;; [unrolled: 1-line block ×4, first 2 shown]
	s_mov_b32 s4, exec_lo
	s_waitcnt vmcnt(17) lgkmcnt(3)
	v_mul_f32_e32 v44, v45, v61
	v_mul_f32_e32 v61, v46, v61
	s_waitcnt vmcnt(16)
	v_mul_f32_e32 v79, v47, v62
	v_mul_f32_e32 v62, v48, v62
	s_waitcnt vmcnt(15) lgkmcnt(2)
	v_mul_f32_e32 v80, v49, v63
	s_waitcnt vmcnt(14)
	v_mul_f32_e32 v81, v51, v64
	s_waitcnt vmcnt(13) lgkmcnt(1)
	v_mul_f32_e32 v82, v53, v65
	s_waitcnt vmcnt(12)
	v_mul_f32_e32 v83, v55, v66
	s_waitcnt vmcnt(9)
	v_fma_f32 v45, v45, v69, -v61
	v_fmac_f32_e32 v44, v46, v69
	v_mul_f32_e32 v46, v50, v63
	s_waitcnt vmcnt(8)
	v_fma_f32 v47, v47, v70, -v62
	v_fmac_f32_e32 v79, v48, v70
	v_add_f32_e32 v45, 0, v45
	v_add_f32_e32 v44, 0, v44
	v_mul_f32_e32 v48, v52, v64
	s_waitcnt vmcnt(7)
	v_fma_f32 v46, v49, v71, -v46
	v_fmac_f32_e32 v80, v50, v71
	v_add_f32_e32 v45, v45, v47
	v_add_f32_e32 v44, v44, v79
	;; [unrolled: 6-line block ×4, first 2 shown]
	s_waitcnt lgkmcnt(0)
	v_mul_f32_e32 v48, v58, v67
	s_waitcnt vmcnt(4)
	v_fma_f32 v46, v55, v74, -v46
	v_mul_f32_e32 v84, v57, v67
	v_add_f32_e32 v45, v45, v47
	v_fmac_f32_e32 v83, v56, v74
	v_add_f32_e32 v44, v44, v82
	v_mul_f32_e32 v47, v60, v68
	s_waitcnt vmcnt(3)
	v_fma_f32 v48, v57, v75, -v48
	v_add_f32_e32 v45, v45, v46
	v_mul_f32_e32 v85, v59, v68
	v_fmac_f32_e32 v84, v58, v75
	v_add_f32_e32 v44, v44, v83
	s_waitcnt vmcnt(2)
	v_fma_f32 v46, v59, v76, -v47
	v_add_f32_e32 v45, v45, v48
	v_fmac_f32_e32 v85, v60, v76
	v_add_f32_e32 v44, v44, v84
	v_add_f32_e32 v45, v45, v46
	;; [unrolled: 1-line block ×3, first 2 shown]
	s_waitcnt vmcnt(1)
	v_sub_f32_e32 v45, v77, v45
	s_waitcnt vmcnt(0)
	v_sub_f32_e32 v44, v78, v44
	buffer_store_dword v45, off, s[0:3], 0 offset:96
	buffer_store_dword v44, off, s[0:3], 0 offset:100
	v_cmpx_lt_u32_e32 11, v0
	s_cbranch_execz .LBB84_117
; %bb.116:
	s_clause 0x1
	buffer_load_dword v44, off, s[0:3], 0 offset:88
	buffer_load_dword v45, off, s[0:3], 0 offset:92
	v_mov_b32_e32 v46, 0
	buffer_store_dword v46, off, s[0:3], 0 offset:88
	buffer_store_dword v46, off, s[0:3], 0 offset:92
	s_waitcnt vmcnt(0)
	ds_write_b64 v43, v[44:45]
.LBB84_117:
	s_or_b32 exec_lo, exec_lo, s4
	s_waitcnt lgkmcnt(0)
	s_waitcnt_vscnt null, 0x0
	s_barrier
	buffer_gl0_inv
	s_clause 0x13
	buffer_load_dword v63, off, s[0:3], 0 offset:100
	buffer_load_dword v64, off, s[0:3], 0 offset:108
	;; [unrolled: 1-line block ×20, first 2 shown]
	v_mov_b32_e32 v44, 0
	ds_read_b128 v[45:48], v44 offset:272
	ds_read_b128 v[49:52], v44 offset:288
	;; [unrolled: 1-line block ×4, first 2 shown]
	ds_read_b64 v[61:62], v44 offset:336
	s_mov_b32 s4, exec_lo
	s_waitcnt vmcnt(19) lgkmcnt(4)
	v_mul_f32_e32 v83, v45, v63
	v_mul_f32_e32 v63, v46, v63
	s_waitcnt vmcnt(18)
	v_mul_f32_e32 v84, v47, v64
	v_mul_f32_e32 v64, v48, v64
	s_waitcnt vmcnt(17) lgkmcnt(3)
	v_mul_f32_e32 v85, v49, v65
	s_waitcnt vmcnt(16)
	v_mul_f32_e32 v86, v51, v66
	s_waitcnt vmcnt(15) lgkmcnt(2)
	v_mul_f32_e32 v87, v53, v67
	s_waitcnt vmcnt(14)
	v_mul_f32_e32 v88, v55, v68
	s_waitcnt vmcnt(13) lgkmcnt(1)
	v_mul_f32_e32 v89, v57, v69
	s_waitcnt vmcnt(10)
	v_fma_f32 v45, v45, v72, -v63
	v_fmac_f32_e32 v83, v46, v72
	v_mul_f32_e32 v46, v50, v65
	s_waitcnt vmcnt(9)
	v_fma_f32 v47, v47, v73, -v64
	v_fmac_f32_e32 v84, v48, v73
	v_add_f32_e32 v45, 0, v45
	v_add_f32_e32 v48, 0, v83
	v_mul_f32_e32 v63, v52, v66
	s_waitcnt vmcnt(8)
	v_fma_f32 v46, v49, v74, -v46
	v_fmac_f32_e32 v85, v50, v74
	v_add_f32_e32 v45, v45, v47
	v_add_f32_e32 v47, v48, v84
	;; [unrolled: 6-line block ×5, first 2 shown]
	v_mul_f32_e32 v48, v60, v70
	s_waitcnt vmcnt(4)
	v_fma_f32 v49, v57, v78, -v49
	v_mul_f32_e32 v90, v59, v70
	v_add_f32_e32 v45, v45, v47
	v_fmac_f32_e32 v89, v58, v78
	v_add_f32_e32 v46, v46, v88
	s_waitcnt lgkmcnt(0)
	v_mul_f32_e32 v47, v62, v71
	s_waitcnt vmcnt(3)
	v_fma_f32 v48, v59, v79, -v48
	v_add_f32_e32 v45, v45, v49
	v_mul_f32_e32 v91, v61, v71
	v_fmac_f32_e32 v90, v60, v79
	v_add_f32_e32 v46, v46, v89
	s_waitcnt vmcnt(2)
	v_fma_f32 v47, v61, v80, -v47
	v_add_f32_e32 v45, v45, v48
	v_fmac_f32_e32 v91, v62, v80
	v_add_f32_e32 v46, v46, v90
	v_add_f32_e32 v45, v45, v47
	;; [unrolled: 1-line block ×3, first 2 shown]
	s_waitcnt vmcnt(1)
	v_sub_f32_e32 v45, v81, v45
	s_waitcnt vmcnt(0)
	v_sub_f32_e32 v46, v82, v46
	buffer_store_dword v45, off, s[0:3], 0 offset:88
	buffer_store_dword v46, off, s[0:3], 0 offset:92
	v_cmpx_lt_u32_e32 10, v0
	s_cbranch_execz .LBB84_119
; %bb.118:
	s_clause 0x1
	buffer_load_dword v45, off, s[0:3], 0 offset:80
	buffer_load_dword v46, off, s[0:3], 0 offset:84
	buffer_store_dword v44, off, s[0:3], 0 offset:80
	buffer_store_dword v44, off, s[0:3], 0 offset:84
	s_waitcnt vmcnt(0)
	ds_write_b64 v43, v[45:46]
.LBB84_119:
	s_or_b32 exec_lo, exec_lo, s4
	s_waitcnt lgkmcnt(0)
	s_waitcnt_vscnt null, 0x0
	s_barrier
	buffer_gl0_inv
	s_clause 0x15
	buffer_load_dword v65, off, s[0:3], 0 offset:92
	buffer_load_dword v66, off, s[0:3], 0 offset:100
	;; [unrolled: 1-line block ×22, first 2 shown]
	ds_read2_b64 v[45:48], v44 offset0:33 offset1:34
	ds_read2_b64 v[49:52], v44 offset0:35 offset1:36
	;; [unrolled: 1-line block ×5, first 2 shown]
	s_mov_b32 s4, exec_lo
	s_waitcnt vmcnt(21) lgkmcnt(4)
	v_mul_f32_e32 v44, v45, v65
	v_mul_f32_e32 v65, v46, v65
	s_waitcnt vmcnt(20)
	v_mul_f32_e32 v87, v47, v66
	v_mul_f32_e32 v66, v48, v66
	s_waitcnt vmcnt(19) lgkmcnt(3)
	v_mul_f32_e32 v88, v49, v67
	s_waitcnt vmcnt(18)
	v_mul_f32_e32 v89, v51, v68
	s_waitcnt vmcnt(17) lgkmcnt(2)
	v_mul_f32_e32 v90, v53, v69
	s_waitcnt vmcnt(16)
	;; [unrolled: 4-line block ×3, first 2 shown]
	v_mul_f32_e32 v93, v59, v72
	s_waitcnt vmcnt(11)
	v_fma_f32 v45, v45, v75, -v65
	v_fmac_f32_e32 v44, v46, v75
	v_mul_f32_e32 v46, v50, v67
	s_waitcnt vmcnt(10)
	v_fma_f32 v47, v47, v76, -v66
	v_fmac_f32_e32 v87, v48, v76
	v_add_f32_e32 v45, 0, v45
	v_add_f32_e32 v44, 0, v44
	v_mul_f32_e32 v48, v52, v68
	s_waitcnt vmcnt(9)
	v_fma_f32 v46, v49, v77, -v46
	v_fmac_f32_e32 v88, v50, v77
	v_add_f32_e32 v45, v45, v47
	v_add_f32_e32 v44, v44, v87
	;; [unrolled: 6-line block ×6, first 2 shown]
	s_waitcnt lgkmcnt(0)
	v_mul_f32_e32 v46, v62, v73
	s_waitcnt vmcnt(4)
	v_fma_f32 v47, v59, v82, -v47
	v_mul_f32_e32 v94, v61, v73
	v_add_f32_e32 v45, v45, v48
	v_fmac_f32_e32 v93, v60, v82
	v_add_f32_e32 v44, v44, v92
	v_mul_f32_e32 v48, v64, v74
	s_waitcnt vmcnt(3)
	v_fma_f32 v46, v61, v83, -v46
	v_add_f32_e32 v45, v45, v47
	v_mul_f32_e32 v95, v63, v74
	v_fmac_f32_e32 v94, v62, v83
	v_add_f32_e32 v44, v44, v93
	s_waitcnt vmcnt(2)
	v_fma_f32 v47, v63, v84, -v48
	v_add_f32_e32 v45, v45, v46
	v_fmac_f32_e32 v95, v64, v84
	v_add_f32_e32 v44, v44, v94
	v_add_f32_e32 v45, v45, v47
	;; [unrolled: 1-line block ×3, first 2 shown]
	s_waitcnt vmcnt(1)
	v_sub_f32_e32 v45, v85, v45
	s_waitcnt vmcnt(0)
	v_sub_f32_e32 v44, v86, v44
	buffer_store_dword v45, off, s[0:3], 0 offset:80
	buffer_store_dword v44, off, s[0:3], 0 offset:84
	v_cmpx_lt_u32_e32 9, v0
	s_cbranch_execz .LBB84_121
; %bb.120:
	s_clause 0x1
	buffer_load_dword v44, off, s[0:3], 0 offset:72
	buffer_load_dword v45, off, s[0:3], 0 offset:76
	v_mov_b32_e32 v46, 0
	buffer_store_dword v46, off, s[0:3], 0 offset:72
	buffer_store_dword v46, off, s[0:3], 0 offset:76
	s_waitcnt vmcnt(0)
	ds_write_b64 v43, v[44:45]
.LBB84_121:
	s_or_b32 exec_lo, exec_lo, s4
	s_waitcnt lgkmcnt(0)
	s_waitcnt_vscnt null, 0x0
	s_barrier
	buffer_gl0_inv
	s_clause 0x17
	buffer_load_dword v67, off, s[0:3], 0 offset:84
	buffer_load_dword v68, off, s[0:3], 0 offset:92
	;; [unrolled: 1-line block ×24, first 2 shown]
	v_mov_b32_e32 v44, 0
	ds_read_b128 v[45:48], v44 offset:256
	ds_read_b128 v[49:52], v44 offset:272
	;; [unrolled: 1-line block ×5, first 2 shown]
	ds_read_b64 v[65:66], v44 offset:336
	s_mov_b32 s4, exec_lo
	s_waitcnt vmcnt(23) lgkmcnt(5)
	v_mul_f32_e32 v91, v45, v67
	v_mul_f32_e32 v67, v46, v67
	s_waitcnt vmcnt(22)
	v_mul_f32_e32 v92, v47, v68
	v_mul_f32_e32 v68, v48, v68
	s_waitcnt vmcnt(21) lgkmcnt(4)
	v_mul_f32_e32 v93, v49, v69
	s_waitcnt vmcnt(20)
	v_mul_f32_e32 v94, v51, v70
	s_waitcnt vmcnt(19) lgkmcnt(3)
	v_mul_f32_e32 v95, v53, v71
	s_waitcnt vmcnt(18)
	;; [unrolled: 4-line block ×4, first 2 shown]
	v_fma_f32 v45, v45, v78, -v67
	v_fmac_f32_e32 v91, v46, v78
	v_mul_f32_e32 v46, v50, v69
	s_waitcnt vmcnt(11)
	v_fma_f32 v47, v47, v79, -v68
	v_fmac_f32_e32 v92, v48, v79
	v_add_f32_e32 v45, 0, v45
	v_add_f32_e32 v48, 0, v91
	v_mul_f32_e32 v67, v52, v70
	s_waitcnt vmcnt(10)
	v_fma_f32 v46, v49, v80, -v46
	v_fmac_f32_e32 v93, v50, v80
	v_add_f32_e32 v45, v45, v47
	v_add_f32_e32 v47, v48, v92
	;; [unrolled: 6-line block ×7, first 2 shown]
	v_mul_f32_e32 v49, v64, v76
	s_waitcnt vmcnt(4)
	v_fma_f32 v47, v61, v86, -v47
	v_mul_f32_e32 v100, v63, v76
	v_add_f32_e32 v45, v45, v48
	v_fmac_f32_e32 v99, v62, v86
	v_add_f32_e32 v46, v46, v98
	s_waitcnt lgkmcnt(0)
	v_mul_f32_e32 v48, v66, v77
	s_waitcnt vmcnt(3)
	v_fma_f32 v49, v63, v87, -v49
	v_add_f32_e32 v45, v45, v47
	v_mul_f32_e32 v101, v65, v77
	v_fmac_f32_e32 v100, v64, v87
	v_add_f32_e32 v46, v46, v99
	s_waitcnt vmcnt(2)
	v_fma_f32 v47, v65, v88, -v48
	v_add_f32_e32 v45, v45, v49
	v_fmac_f32_e32 v101, v66, v88
	v_add_f32_e32 v46, v46, v100
	v_add_f32_e32 v45, v45, v47
	;; [unrolled: 1-line block ×3, first 2 shown]
	s_waitcnt vmcnt(1)
	v_sub_f32_e32 v45, v89, v45
	s_waitcnt vmcnt(0)
	v_sub_f32_e32 v46, v90, v46
	buffer_store_dword v45, off, s[0:3], 0 offset:72
	buffer_store_dword v46, off, s[0:3], 0 offset:76
	v_cmpx_lt_u32_e32 8, v0
	s_cbranch_execz .LBB84_123
; %bb.122:
	s_clause 0x1
	buffer_load_dword v45, off, s[0:3], 0 offset:64
	buffer_load_dword v46, off, s[0:3], 0 offset:68
	buffer_store_dword v44, off, s[0:3], 0 offset:64
	buffer_store_dword v44, off, s[0:3], 0 offset:68
	s_waitcnt vmcnt(0)
	ds_write_b64 v43, v[45:46]
.LBB84_123:
	s_or_b32 exec_lo, exec_lo, s4
	s_waitcnt lgkmcnt(0)
	s_waitcnt_vscnt null, 0x0
	s_barrier
	buffer_gl0_inv
	s_clause 0x19
	buffer_load_dword v69, off, s[0:3], 0 offset:76
	buffer_load_dword v70, off, s[0:3], 0 offset:84
	;; [unrolled: 1-line block ×26, first 2 shown]
	ds_read2_b64 v[45:48], v44 offset0:31 offset1:32
	ds_read2_b64 v[49:52], v44 offset0:33 offset1:34
	;; [unrolled: 1-line block ×6, first 2 shown]
	s_mov_b32 s4, exec_lo
	s_waitcnt vmcnt(25) lgkmcnt(5)
	v_mul_f32_e32 v44, v45, v69
	v_mul_f32_e32 v69, v46, v69
	s_waitcnt vmcnt(24)
	v_mul_f32_e32 v95, v47, v70
	v_mul_f32_e32 v70, v48, v70
	s_waitcnt vmcnt(23) lgkmcnt(4)
	v_mul_f32_e32 v96, v49, v71
	s_waitcnt vmcnt(22)
	v_mul_f32_e32 v97, v51, v72
	s_waitcnt vmcnt(21) lgkmcnt(3)
	v_mul_f32_e32 v98, v53, v73
	s_waitcnt vmcnt(20)
	;; [unrolled: 4-line block ×4, first 2 shown]
	v_mul_f32_e32 v103, v63, v78
	s_waitcnt vmcnt(13)
	v_fma_f32 v45, v45, v81, -v69
	v_fmac_f32_e32 v44, v46, v81
	v_mul_f32_e32 v46, v50, v71
	s_waitcnt vmcnt(12)
	v_fma_f32 v47, v47, v82, -v70
	v_fmac_f32_e32 v95, v48, v82
	v_add_f32_e32 v45, 0, v45
	v_add_f32_e32 v44, 0, v44
	v_mul_f32_e32 v48, v52, v72
	s_waitcnt vmcnt(11)
	v_fma_f32 v46, v49, v83, -v46
	v_fmac_f32_e32 v96, v50, v83
	v_add_f32_e32 v45, v45, v47
	v_add_f32_e32 v44, v44, v95
	;; [unrolled: 6-line block ×8, first 2 shown]
	s_waitcnt lgkmcnt(0)
	v_mul_f32_e32 v47, v66, v79
	s_waitcnt vmcnt(4)
	v_fma_f32 v48, v63, v90, -v48
	v_mul_f32_e32 v104, v65, v79
	v_add_f32_e32 v45, v45, v46
	v_fmac_f32_e32 v103, v64, v90
	v_add_f32_e32 v44, v44, v102
	v_mul_f32_e32 v46, v68, v80
	s_waitcnt vmcnt(3)
	v_fma_f32 v47, v65, v91, -v47
	v_add_f32_e32 v45, v45, v48
	v_mul_f32_e32 v105, v67, v80
	v_fmac_f32_e32 v104, v66, v91
	v_add_f32_e32 v44, v44, v103
	s_waitcnt vmcnt(2)
	v_fma_f32 v46, v67, v92, -v46
	v_add_f32_e32 v45, v45, v47
	v_fmac_f32_e32 v105, v68, v92
	v_add_f32_e32 v44, v44, v104
	v_add_f32_e32 v45, v45, v46
	;; [unrolled: 1-line block ×3, first 2 shown]
	s_waitcnt vmcnt(1)
	v_sub_f32_e32 v45, v93, v45
	s_waitcnt vmcnt(0)
	v_sub_f32_e32 v44, v94, v44
	buffer_store_dword v45, off, s[0:3], 0 offset:64
	buffer_store_dword v44, off, s[0:3], 0 offset:68
	v_cmpx_lt_u32_e32 7, v0
	s_cbranch_execz .LBB84_125
; %bb.124:
	s_clause 0x1
	buffer_load_dword v44, off, s[0:3], 0 offset:56
	buffer_load_dword v45, off, s[0:3], 0 offset:60
	v_mov_b32_e32 v46, 0
	buffer_store_dword v46, off, s[0:3], 0 offset:56
	buffer_store_dword v46, off, s[0:3], 0 offset:60
	s_waitcnt vmcnt(0)
	ds_write_b64 v43, v[44:45]
.LBB84_125:
	s_or_b32 exec_lo, exec_lo, s4
	s_waitcnt lgkmcnt(0)
	s_waitcnt_vscnt null, 0x0
	s_barrier
	buffer_gl0_inv
	s_clause 0x1b
	buffer_load_dword v71, off, s[0:3], 0 offset:68
	buffer_load_dword v72, off, s[0:3], 0 offset:76
	;; [unrolled: 1-line block ×28, first 2 shown]
	v_mov_b32_e32 v44, 0
	ds_read_b128 v[45:48], v44 offset:240
	ds_read_b128 v[49:52], v44 offset:256
	;; [unrolled: 1-line block ×6, first 2 shown]
	ds_read_b64 v[69:70], v44 offset:336
	s_mov_b32 s4, exec_lo
	s_waitcnt vmcnt(27) lgkmcnt(6)
	v_mul_f32_e32 v99, v45, v71
	v_mul_f32_e32 v71, v46, v71
	s_waitcnt vmcnt(26)
	v_mul_f32_e32 v100, v47, v72
	v_mul_f32_e32 v72, v48, v72
	s_waitcnt vmcnt(25) lgkmcnt(5)
	v_mul_f32_e32 v101, v49, v73
	s_waitcnt vmcnt(24)
	v_mul_f32_e32 v102, v51, v74
	s_waitcnt vmcnt(23) lgkmcnt(4)
	v_mul_f32_e32 v103, v53, v75
	s_waitcnt vmcnt(22)
	;; [unrolled: 4-line block ×5, first 2 shown]
	v_fma_f32 v45, v45, v84, -v71
	v_fmac_f32_e32 v99, v46, v84
	v_mul_f32_e32 v46, v50, v73
	s_waitcnt vmcnt(13)
	v_fma_f32 v47, v47, v85, -v72
	v_fmac_f32_e32 v100, v48, v85
	v_add_f32_e32 v45, 0, v45
	v_add_f32_e32 v48, 0, v99
	v_mul_f32_e32 v71, v52, v74
	s_waitcnt vmcnt(12)
	v_fma_f32 v46, v49, v86, -v46
	v_fmac_f32_e32 v101, v50, v86
	v_add_f32_e32 v45, v45, v47
	v_add_f32_e32 v47, v48, v100
	;; [unrolled: 6-line block ×9, first 2 shown]
	v_mul_f32_e32 v47, v68, v82
	s_waitcnt vmcnt(4)
	v_fma_f32 v48, v65, v94, -v48
	v_mul_f32_e32 v110, v67, v82
	v_add_f32_e32 v45, v45, v49
	v_fmac_f32_e32 v109, v66, v94
	v_add_f32_e32 v46, v46, v108
	s_waitcnt lgkmcnt(0)
	v_mul_f32_e32 v49, v70, v83
	s_waitcnt vmcnt(3)
	v_fma_f32 v47, v67, v95, -v47
	v_add_f32_e32 v45, v45, v48
	v_mul_f32_e32 v111, v69, v83
	v_fmac_f32_e32 v110, v68, v95
	v_add_f32_e32 v46, v46, v109
	s_waitcnt vmcnt(2)
	v_fma_f32 v48, v69, v96, -v49
	v_add_f32_e32 v45, v45, v47
	v_fmac_f32_e32 v111, v70, v96
	v_add_f32_e32 v46, v46, v110
	v_add_f32_e32 v45, v45, v48
	;; [unrolled: 1-line block ×3, first 2 shown]
	s_waitcnt vmcnt(1)
	v_sub_f32_e32 v45, v97, v45
	s_waitcnt vmcnt(0)
	v_sub_f32_e32 v46, v98, v46
	buffer_store_dword v45, off, s[0:3], 0 offset:56
	buffer_store_dword v46, off, s[0:3], 0 offset:60
	v_cmpx_lt_u32_e32 6, v0
	s_cbranch_execz .LBB84_127
; %bb.126:
	s_clause 0x1
	buffer_load_dword v45, off, s[0:3], 0 offset:48
	buffer_load_dword v46, off, s[0:3], 0 offset:52
	buffer_store_dword v44, off, s[0:3], 0 offset:48
	buffer_store_dword v44, off, s[0:3], 0 offset:52
	s_waitcnt vmcnt(0)
	ds_write_b64 v43, v[45:46]
.LBB84_127:
	s_or_b32 exec_lo, exec_lo, s4
	s_waitcnt lgkmcnt(0)
	s_waitcnt_vscnt null, 0x0
	s_barrier
	buffer_gl0_inv
	s_clause 0x1d
	buffer_load_dword v73, off, s[0:3], 0 offset:60
	buffer_load_dword v74, off, s[0:3], 0 offset:68
	;; [unrolled: 1-line block ×30, first 2 shown]
	ds_read2_b64 v[45:48], v44 offset0:29 offset1:30
	ds_read2_b64 v[49:52], v44 offset0:31 offset1:32
	;; [unrolled: 1-line block ×7, first 2 shown]
	s_mov_b32 s4, exec_lo
	s_waitcnt vmcnt(29) lgkmcnt(6)
	v_mul_f32_e32 v44, v45, v73
	v_mul_f32_e32 v73, v46, v73
	s_waitcnt vmcnt(28)
	v_mul_f32_e32 v103, v47, v74
	v_mul_f32_e32 v74, v48, v74
	s_waitcnt vmcnt(27) lgkmcnt(5)
	v_mul_f32_e32 v104, v49, v75
	s_waitcnt vmcnt(26)
	v_mul_f32_e32 v105, v51, v76
	s_waitcnt vmcnt(25) lgkmcnt(4)
	v_mul_f32_e32 v106, v53, v77
	s_waitcnt vmcnt(24)
	v_mul_f32_e32 v107, v55, v78
	s_waitcnt vmcnt(23) lgkmcnt(3)
	v_mul_f32_e32 v108, v57, v79
	s_waitcnt vmcnt(22)
	v_mul_f32_e32 v109, v59, v80
	s_waitcnt vmcnt(21) lgkmcnt(2)
	v_mul_f32_e32 v110, v61, v81
	s_waitcnt vmcnt(20)
	v_mul_f32_e32 v111, v63, v82
	s_waitcnt vmcnt(19) lgkmcnt(1)
	v_mul_f32_e32 v112, v65, v83
	s_waitcnt vmcnt(18)
	v_mul_f32_e32 v113, v67, v84
	s_waitcnt vmcnt(15)
	v_fma_f32 v45, v45, v87, -v73
	v_fmac_f32_e32 v44, v46, v87
	v_mul_f32_e32 v46, v50, v75
	s_waitcnt vmcnt(14)
	v_fma_f32 v47, v47, v88, -v74
	v_fmac_f32_e32 v103, v48, v88
	v_add_f32_e32 v45, 0, v45
	v_add_f32_e32 v44, 0, v44
	v_mul_f32_e32 v48, v52, v76
	s_waitcnt vmcnt(13)
	v_fma_f32 v46, v49, v89, -v46
	v_fmac_f32_e32 v104, v50, v89
	v_add_f32_e32 v45, v45, v47
	v_add_f32_e32 v44, v44, v103
	;; [unrolled: 6-line block ×10, first 2 shown]
	s_waitcnt lgkmcnt(0)
	v_mul_f32_e32 v48, v70, v85
	s_waitcnt vmcnt(4)
	v_fma_f32 v46, v67, v98, -v46
	v_mul_f32_e32 v114, v69, v85
	v_add_f32_e32 v45, v45, v47
	v_fmac_f32_e32 v113, v68, v98
	v_add_f32_e32 v44, v44, v112
	v_mul_f32_e32 v47, v72, v86
	s_waitcnt vmcnt(3)
	v_fma_f32 v48, v69, v99, -v48
	v_add_f32_e32 v45, v45, v46
	v_mul_f32_e32 v115, v71, v86
	v_fmac_f32_e32 v114, v70, v99
	v_add_f32_e32 v44, v44, v113
	s_waitcnt vmcnt(2)
	v_fma_f32 v46, v71, v100, -v47
	v_add_f32_e32 v45, v45, v48
	v_fmac_f32_e32 v115, v72, v100
	v_add_f32_e32 v44, v44, v114
	v_add_f32_e32 v45, v45, v46
	v_add_f32_e32 v44, v44, v115
	s_waitcnt vmcnt(1)
	v_sub_f32_e32 v45, v101, v45
	s_waitcnt vmcnt(0)
	v_sub_f32_e32 v44, v102, v44
	buffer_store_dword v45, off, s[0:3], 0 offset:48
	buffer_store_dword v44, off, s[0:3], 0 offset:52
	v_cmpx_lt_u32_e32 5, v0
	s_cbranch_execz .LBB84_129
; %bb.128:
	s_clause 0x1
	buffer_load_dword v44, off, s[0:3], 0 offset:40
	buffer_load_dword v45, off, s[0:3], 0 offset:44
	v_mov_b32_e32 v46, 0
	buffer_store_dword v46, off, s[0:3], 0 offset:40
	buffer_store_dword v46, off, s[0:3], 0 offset:44
	s_waitcnt vmcnt(0)
	ds_write_b64 v43, v[44:45]
.LBB84_129:
	s_or_b32 exec_lo, exec_lo, s4
	s_waitcnt lgkmcnt(0)
	s_waitcnt_vscnt null, 0x0
	s_barrier
	buffer_gl0_inv
	s_clause 0x1f
	buffer_load_dword v75, off, s[0:3], 0 offset:52
	buffer_load_dword v76, off, s[0:3], 0 offset:60
	;; [unrolled: 1-line block ×32, first 2 shown]
	v_mov_b32_e32 v44, 0
	ds_read_b128 v[45:48], v44 offset:224
	ds_read_b128 v[49:52], v44 offset:240
	;; [unrolled: 1-line block ×7, first 2 shown]
	ds_read_b64 v[73:74], v44 offset:336
	s_mov_b32 s4, exec_lo
	s_waitcnt vmcnt(31) lgkmcnt(7)
	v_mul_f32_e32 v107, v45, v75
	v_mul_f32_e32 v75, v46, v75
	s_waitcnt vmcnt(30)
	v_mul_f32_e32 v108, v47, v76
	v_mul_f32_e32 v76, v48, v76
	s_waitcnt vmcnt(29) lgkmcnt(6)
	v_mul_f32_e32 v109, v49, v77
	s_waitcnt vmcnt(28)
	v_mul_f32_e32 v110, v51, v78
	s_waitcnt vmcnt(27) lgkmcnt(5)
	v_mul_f32_e32 v111, v53, v79
	s_waitcnt vmcnt(26)
	;; [unrolled: 4-line block ×6, first 2 shown]
	v_fma_f32 v45, v45, v90, -v75
	v_fmac_f32_e32 v107, v46, v90
	v_mul_f32_e32 v46, v50, v77
	s_waitcnt vmcnt(15)
	v_fma_f32 v47, v47, v91, -v76
	v_fmac_f32_e32 v108, v48, v91
	v_add_f32_e32 v45, 0, v45
	v_add_f32_e32 v48, 0, v107
	v_mul_f32_e32 v75, v52, v78
	s_waitcnt vmcnt(14)
	v_fma_f32 v46, v49, v92, -v46
	v_fmac_f32_e32 v109, v50, v92
	v_add_f32_e32 v45, v45, v47
	v_add_f32_e32 v47, v48, v108
	;; [unrolled: 6-line block ×11, first 2 shown]
	v_mul_f32_e32 v48, v72, v88
	s_waitcnt vmcnt(4)
	v_fma_f32 v49, v69, v102, -v49
	v_mul_f32_e32 v120, v71, v88
	v_add_f32_e32 v45, v45, v47
	v_fmac_f32_e32 v119, v70, v102
	v_add_f32_e32 v46, v46, v118
	s_waitcnt lgkmcnt(0)
	v_mul_f32_e32 v47, v74, v89
	s_waitcnt vmcnt(3)
	v_fma_f32 v48, v71, v103, -v48
	v_add_f32_e32 v45, v45, v49
	v_mul_f32_e32 v121, v73, v89
	v_fmac_f32_e32 v120, v72, v103
	v_add_f32_e32 v46, v46, v119
	s_waitcnt vmcnt(2)
	v_fma_f32 v47, v73, v104, -v47
	v_add_f32_e32 v45, v45, v48
	v_fmac_f32_e32 v121, v74, v104
	v_add_f32_e32 v46, v46, v120
	v_add_f32_e32 v45, v45, v47
	;; [unrolled: 1-line block ×3, first 2 shown]
	s_waitcnt vmcnt(1)
	v_sub_f32_e32 v45, v105, v45
	s_waitcnt vmcnt(0)
	v_sub_f32_e32 v46, v106, v46
	buffer_store_dword v45, off, s[0:3], 0 offset:40
	buffer_store_dword v46, off, s[0:3], 0 offset:44
	v_cmpx_lt_u32_e32 4, v0
	s_cbranch_execz .LBB84_131
; %bb.130:
	s_clause 0x1
	buffer_load_dword v45, off, s[0:3], 0 offset:32
	buffer_load_dword v46, off, s[0:3], 0 offset:36
	buffer_store_dword v44, off, s[0:3], 0 offset:32
	buffer_store_dword v44, off, s[0:3], 0 offset:36
	s_waitcnt vmcnt(0)
	ds_write_b64 v43, v[45:46]
.LBB84_131:
	s_or_b32 exec_lo, exec_lo, s4
	s_waitcnt lgkmcnt(0)
	s_waitcnt_vscnt null, 0x0
	s_barrier
	buffer_gl0_inv
	s_clause 0x21
	buffer_load_dword v77, off, s[0:3], 0 offset:44
	buffer_load_dword v78, off, s[0:3], 0 offset:52
	;; [unrolled: 1-line block ×34, first 2 shown]
	ds_read2_b64 v[45:48], v44 offset0:27 offset1:28
	ds_read2_b64 v[49:52], v44 offset0:29 offset1:30
	;; [unrolled: 1-line block ×8, first 2 shown]
	s_mov_b32 s4, exec_lo
	s_waitcnt vmcnt(33) lgkmcnt(7)
	v_mul_f32_e32 v44, v45, v77
	v_mul_f32_e32 v77, v46, v77
	s_waitcnt vmcnt(32)
	v_mul_f32_e32 v111, v47, v78
	v_mul_f32_e32 v78, v48, v78
	s_waitcnt vmcnt(31) lgkmcnt(6)
	v_mul_f32_e32 v112, v49, v79
	s_waitcnt vmcnt(30)
	v_mul_f32_e32 v113, v51, v80
	s_waitcnt vmcnt(29) lgkmcnt(5)
	v_mul_f32_e32 v114, v53, v81
	s_waitcnt vmcnt(28)
	;; [unrolled: 4-line block ×6, first 2 shown]
	v_mul_f32_e32 v123, v71, v90
	s_waitcnt vmcnt(17)
	v_fma_f32 v45, v45, v93, -v77
	v_fmac_f32_e32 v44, v46, v93
	v_mul_f32_e32 v46, v50, v79
	s_waitcnt vmcnt(16)
	v_fma_f32 v47, v47, v94, -v78
	v_fmac_f32_e32 v111, v48, v94
	v_add_f32_e32 v45, 0, v45
	v_add_f32_e32 v44, 0, v44
	v_mul_f32_e32 v48, v52, v80
	s_waitcnt vmcnt(15)
	v_fma_f32 v46, v49, v95, -v46
	v_fmac_f32_e32 v112, v50, v95
	v_add_f32_e32 v45, v45, v47
	v_add_f32_e32 v44, v44, v111
	;; [unrolled: 6-line block ×12, first 2 shown]
	s_waitcnt lgkmcnt(0)
	v_mul_f32_e32 v46, v74, v91
	s_waitcnt vmcnt(4)
	v_fma_f32 v47, v71, v106, -v47
	v_mul_f32_e32 v124, v73, v91
	v_add_f32_e32 v45, v45, v48
	v_fmac_f32_e32 v123, v72, v106
	v_add_f32_e32 v44, v44, v122
	v_mul_f32_e32 v48, v76, v92
	s_waitcnt vmcnt(3)
	v_fma_f32 v46, v73, v107, -v46
	v_add_f32_e32 v45, v45, v47
	v_mul_f32_e32 v125, v75, v92
	v_fmac_f32_e32 v124, v74, v107
	v_add_f32_e32 v44, v44, v123
	s_waitcnt vmcnt(2)
	v_fma_f32 v47, v75, v108, -v48
	v_add_f32_e32 v45, v45, v46
	v_fmac_f32_e32 v125, v76, v108
	v_add_f32_e32 v44, v44, v124
	v_add_f32_e32 v45, v45, v47
	;; [unrolled: 1-line block ×3, first 2 shown]
	s_waitcnt vmcnt(1)
	v_sub_f32_e32 v45, v109, v45
	s_waitcnt vmcnt(0)
	v_sub_f32_e32 v44, v110, v44
	buffer_store_dword v45, off, s[0:3], 0 offset:32
	buffer_store_dword v44, off, s[0:3], 0 offset:36
	v_cmpx_lt_u32_e32 3, v0
	s_cbranch_execz .LBB84_133
; %bb.132:
	s_clause 0x1
	buffer_load_dword v44, off, s[0:3], 0 offset:24
	buffer_load_dword v45, off, s[0:3], 0 offset:28
	v_mov_b32_e32 v46, 0
	buffer_store_dword v46, off, s[0:3], 0 offset:24
	buffer_store_dword v46, off, s[0:3], 0 offset:28
	s_waitcnt vmcnt(0)
	ds_write_b64 v43, v[44:45]
.LBB84_133:
	s_or_b32 exec_lo, exec_lo, s4
	s_waitcnt lgkmcnt(0)
	s_waitcnt_vscnt null, 0x0
	s_barrier
	buffer_gl0_inv
	s_clause 0x23
	buffer_load_dword v79, off, s[0:3], 0 offset:36
	buffer_load_dword v80, off, s[0:3], 0 offset:44
	;; [unrolled: 1-line block ×36, first 2 shown]
	v_mov_b32_e32 v44, 0
	ds_read_b128 v[45:48], v44 offset:208
	ds_read_b128 v[49:52], v44 offset:224
	;; [unrolled: 1-line block ×8, first 2 shown]
	ds_read_b64 v[77:78], v44 offset:336
	s_mov_b32 s4, exec_lo
	s_waitcnt vmcnt(35) lgkmcnt(8)
	v_mul_f32_e32 v115, v45, v79
	v_mul_f32_e32 v79, v46, v79
	s_waitcnt vmcnt(34)
	v_mul_f32_e32 v116, v47, v80
	v_mul_f32_e32 v80, v48, v80
	s_waitcnt vmcnt(33) lgkmcnt(7)
	v_mul_f32_e32 v117, v49, v81
	s_waitcnt vmcnt(32)
	v_mul_f32_e32 v118, v51, v82
	s_waitcnt vmcnt(31) lgkmcnt(6)
	v_mul_f32_e32 v119, v53, v83
	s_waitcnt vmcnt(30)
	v_mul_f32_e32 v120, v55, v84
	s_waitcnt vmcnt(29) lgkmcnt(5)
	v_mul_f32_e32 v121, v57, v85
	s_waitcnt vmcnt(28)
	v_mul_f32_e32 v122, v59, v86
	s_waitcnt vmcnt(27) lgkmcnt(4)
	v_mul_f32_e32 v123, v61, v87
	s_waitcnt vmcnt(26)
	v_mul_f32_e32 v124, v63, v88
	s_waitcnt vmcnt(25) lgkmcnt(3)
	v_mul_f32_e32 v125, v65, v89
	s_waitcnt vmcnt(24)
	v_mul_f32_e32 v126, v67, v90
	s_waitcnt vmcnt(23) lgkmcnt(2)
	v_mul_f32_e32 v127, v69, v91
	s_waitcnt vmcnt(22)
	v_mul_f32_e32 v128, v71, v92
	s_waitcnt vmcnt(21) lgkmcnt(1)
	v_mul_f32_e32 v129, v73, v93
	s_waitcnt vmcnt(18)
	v_fma_f32 v45, v45, v96, -v79
	v_fmac_f32_e32 v115, v46, v96
	v_mul_f32_e32 v46, v50, v81
	s_waitcnt vmcnt(17)
	v_fma_f32 v47, v47, v97, -v80
	v_fmac_f32_e32 v116, v48, v97
	v_add_f32_e32 v45, 0, v45
	v_add_f32_e32 v48, 0, v115
	v_mul_f32_e32 v79, v52, v82
	s_waitcnt vmcnt(16)
	v_fma_f32 v46, v49, v98, -v46
	v_fmac_f32_e32 v117, v50, v98
	v_add_f32_e32 v45, v45, v47
	v_add_f32_e32 v47, v48, v116
	;; [unrolled: 6-line block ×13, first 2 shown]
	v_mul_f32_e32 v49, v76, v94
	s_waitcnt vmcnt(4)
	v_fma_f32 v47, v73, v110, -v47
	v_mul_f32_e32 v130, v75, v94
	v_add_f32_e32 v45, v45, v48
	v_fmac_f32_e32 v129, v74, v110
	v_add_f32_e32 v46, v46, v128
	s_waitcnt lgkmcnt(0)
	v_mul_f32_e32 v48, v78, v95
	s_waitcnt vmcnt(3)
	v_fma_f32 v49, v75, v111, -v49
	v_add_f32_e32 v45, v45, v47
	v_mul_f32_e32 v131, v77, v95
	v_fmac_f32_e32 v130, v76, v111
	v_add_f32_e32 v46, v46, v129
	s_waitcnt vmcnt(2)
	v_fma_f32 v47, v77, v112, -v48
	v_add_f32_e32 v45, v45, v49
	v_fmac_f32_e32 v131, v78, v112
	v_add_f32_e32 v46, v46, v130
	v_add_f32_e32 v45, v45, v47
	;; [unrolled: 1-line block ×3, first 2 shown]
	s_waitcnt vmcnt(1)
	v_sub_f32_e32 v45, v113, v45
	s_waitcnt vmcnt(0)
	v_sub_f32_e32 v46, v114, v46
	buffer_store_dword v45, off, s[0:3], 0 offset:24
	buffer_store_dword v46, off, s[0:3], 0 offset:28
	v_cmpx_lt_u32_e32 2, v0
	s_cbranch_execz .LBB84_135
; %bb.134:
	s_clause 0x1
	buffer_load_dword v45, off, s[0:3], 0 offset:16
	buffer_load_dword v46, off, s[0:3], 0 offset:20
	buffer_store_dword v44, off, s[0:3], 0 offset:16
	buffer_store_dword v44, off, s[0:3], 0 offset:20
	s_waitcnt vmcnt(0)
	ds_write_b64 v43, v[45:46]
.LBB84_135:
	s_or_b32 exec_lo, exec_lo, s4
	s_waitcnt lgkmcnt(0)
	s_waitcnt_vscnt null, 0x0
	s_barrier
	buffer_gl0_inv
	s_clause 0x25
	buffer_load_dword v81, off, s[0:3], 0 offset:28
	buffer_load_dword v82, off, s[0:3], 0 offset:36
	;; [unrolled: 1-line block ×38, first 2 shown]
	ds_read2_b64 v[45:48], v44 offset0:25 offset1:26
	ds_read2_b64 v[49:52], v44 offset0:27 offset1:28
	;; [unrolled: 1-line block ×9, first 2 shown]
	s_mov_b32 s4, exec_lo
	s_waitcnt vmcnt(37) lgkmcnt(8)
	v_mul_f32_e32 v44, v45, v81
	v_mul_f32_e32 v81, v46, v81
	s_waitcnt vmcnt(36)
	v_mul_f32_e32 v119, v47, v82
	v_mul_f32_e32 v82, v48, v82
	s_waitcnt vmcnt(35) lgkmcnt(7)
	v_mul_f32_e32 v120, v49, v83
	s_waitcnt vmcnt(34)
	v_mul_f32_e32 v121, v51, v84
	s_waitcnt vmcnt(33) lgkmcnt(6)
	v_mul_f32_e32 v122, v53, v85
	s_waitcnt vmcnt(32)
	v_mul_f32_e32 v123, v55, v86
	s_waitcnt vmcnt(31) lgkmcnt(5)
	v_mul_f32_e32 v124, v57, v87
	s_waitcnt vmcnt(30)
	v_mul_f32_e32 v125, v59, v88
	s_waitcnt vmcnt(29) lgkmcnt(4)
	v_mul_f32_e32 v126, v61, v89
	s_waitcnt vmcnt(28)
	v_mul_f32_e32 v127, v63, v90
	s_waitcnt vmcnt(27) lgkmcnt(3)
	v_mul_f32_e32 v128, v65, v91
	s_waitcnt vmcnt(26)
	v_mul_f32_e32 v129, v67, v92
	s_waitcnt vmcnt(25) lgkmcnt(2)
	v_mul_f32_e32 v130, v69, v93
	s_waitcnt vmcnt(24)
	v_mul_f32_e32 v131, v71, v94
	s_waitcnt vmcnt(23) lgkmcnt(1)
	v_mul_f32_e32 v132, v73, v95
	s_waitcnt vmcnt(22)
	v_mul_f32_e32 v133, v75, v96
	s_waitcnt vmcnt(19)
	v_fma_f32 v45, v45, v99, -v81
	v_fmac_f32_e32 v44, v46, v99
	v_mul_f32_e32 v46, v50, v83
	s_waitcnt vmcnt(18)
	v_fma_f32 v47, v47, v100, -v82
	v_fmac_f32_e32 v119, v48, v100
	v_add_f32_e32 v45, 0, v45
	v_add_f32_e32 v44, 0, v44
	v_mul_f32_e32 v48, v52, v84
	s_waitcnt vmcnt(17)
	v_fma_f32 v46, v49, v101, -v46
	v_fmac_f32_e32 v120, v50, v101
	v_add_f32_e32 v45, v45, v47
	v_add_f32_e32 v44, v44, v119
	;; [unrolled: 6-line block ×14, first 2 shown]
	s_waitcnt lgkmcnt(0)
	v_mul_f32_e32 v47, v78, v97
	s_waitcnt vmcnt(4)
	v_fma_f32 v48, v75, v114, -v48
	v_mul_f32_e32 v134, v77, v97
	v_add_f32_e32 v45, v45, v46
	v_fmac_f32_e32 v133, v76, v114
	v_add_f32_e32 v44, v44, v132
	v_mul_f32_e32 v46, v80, v98
	s_waitcnt vmcnt(3)
	v_fma_f32 v47, v77, v115, -v47
	v_add_f32_e32 v45, v45, v48
	v_mul_f32_e32 v135, v79, v98
	v_fmac_f32_e32 v134, v78, v115
	v_add_f32_e32 v44, v44, v133
	s_waitcnt vmcnt(2)
	v_fma_f32 v46, v79, v116, -v46
	v_add_f32_e32 v45, v45, v47
	v_fmac_f32_e32 v135, v80, v116
	v_add_f32_e32 v44, v44, v134
	v_add_f32_e32 v45, v45, v46
	;; [unrolled: 1-line block ×3, first 2 shown]
	s_waitcnt vmcnt(1)
	v_sub_f32_e32 v45, v117, v45
	s_waitcnt vmcnt(0)
	v_sub_f32_e32 v44, v118, v44
	buffer_store_dword v45, off, s[0:3], 0 offset:16
	buffer_store_dword v44, off, s[0:3], 0 offset:20
	v_cmpx_lt_u32_e32 1, v0
	s_cbranch_execz .LBB84_137
; %bb.136:
	s_clause 0x1
	buffer_load_dword v44, off, s[0:3], 0 offset:8
	buffer_load_dword v45, off, s[0:3], 0 offset:12
	v_mov_b32_e32 v46, 0
	buffer_store_dword v46, off, s[0:3], 0 offset:8
	buffer_store_dword v46, off, s[0:3], 0 offset:12
	s_waitcnt vmcnt(0)
	ds_write_b64 v43, v[44:45]
.LBB84_137:
	s_or_b32 exec_lo, exec_lo, s4
	s_waitcnt lgkmcnt(0)
	s_waitcnt_vscnt null, 0x0
	s_barrier
	buffer_gl0_inv
	s_clause 0x27
	buffer_load_dword v83, off, s[0:3], 0 offset:20
	buffer_load_dword v84, off, s[0:3], 0 offset:28
	;; [unrolled: 1-line block ×40, first 2 shown]
	v_mov_b32_e32 v44, 0
	ds_read_b128 v[45:48], v44 offset:192
	ds_read_b128 v[49:52], v44 offset:208
	;; [unrolled: 1-line block ×9, first 2 shown]
	ds_read_b64 v[81:82], v44 offset:336
	s_mov_b32 s4, exec_lo
	s_waitcnt vmcnt(39) lgkmcnt(9)
	v_mul_f32_e32 v123, v45, v83
	v_mul_f32_e32 v83, v46, v83
	s_waitcnt vmcnt(38)
	v_mul_f32_e32 v124, v47, v84
	v_mul_f32_e32 v84, v48, v84
	s_waitcnt vmcnt(37) lgkmcnt(8)
	v_mul_f32_e32 v125, v49, v85
	s_waitcnt vmcnt(36)
	v_mul_f32_e32 v126, v51, v86
	s_waitcnt vmcnt(35) lgkmcnt(7)
	v_mul_f32_e32 v127, v53, v87
	s_waitcnt vmcnt(34)
	v_mul_f32_e32 v128, v55, v88
	s_waitcnt vmcnt(33) lgkmcnt(6)
	v_mul_f32_e32 v129, v57, v89
	s_waitcnt vmcnt(32)
	v_mul_f32_e32 v130, v59, v90
	s_waitcnt vmcnt(31) lgkmcnt(5)
	v_mul_f32_e32 v131, v61, v91
	s_waitcnt vmcnt(30)
	v_mul_f32_e32 v132, v63, v92
	s_waitcnt vmcnt(29) lgkmcnt(4)
	v_mul_f32_e32 v133, v65, v93
	s_waitcnt vmcnt(28)
	v_mul_f32_e32 v134, v67, v94
	s_waitcnt vmcnt(27) lgkmcnt(3)
	v_mul_f32_e32 v135, v69, v95
	s_waitcnt vmcnt(26)
	v_mul_f32_e32 v136, v71, v96
	s_waitcnt vmcnt(25) lgkmcnt(2)
	v_mul_f32_e32 v137, v73, v97
	s_waitcnt vmcnt(24)
	v_mul_f32_e32 v138, v75, v98
	s_waitcnt vmcnt(23) lgkmcnt(1)
	v_mul_f32_e32 v139, v77, v99
	s_waitcnt vmcnt(20)
	v_fma_f32 v45, v45, v102, -v83
	v_fmac_f32_e32 v123, v46, v102
	v_mul_f32_e32 v46, v50, v85
	s_waitcnt vmcnt(19)
	v_fma_f32 v47, v47, v103, -v84
	v_fmac_f32_e32 v124, v48, v103
	v_add_f32_e32 v45, 0, v45
	v_add_f32_e32 v48, 0, v123
	v_mul_f32_e32 v83, v52, v86
	s_waitcnt vmcnt(18)
	v_fma_f32 v46, v49, v104, -v46
	v_fmac_f32_e32 v125, v50, v104
	v_add_f32_e32 v45, v45, v47
	v_add_f32_e32 v47, v48, v124
	;; [unrolled: 6-line block ×15, first 2 shown]
	v_mul_f32_e32 v47, v80, v100
	s_waitcnt vmcnt(4)
	v_fma_f32 v48, v77, v118, -v48
	v_mul_f32_e32 v140, v79, v100
	v_add_f32_e32 v45, v45, v49
	v_fmac_f32_e32 v139, v78, v118
	v_add_f32_e32 v46, v46, v138
	s_waitcnt lgkmcnt(0)
	v_mul_f32_e32 v49, v82, v101
	s_waitcnt vmcnt(3)
	v_fma_f32 v47, v79, v119, -v47
	v_add_f32_e32 v45, v45, v48
	v_mul_f32_e32 v141, v81, v101
	v_fmac_f32_e32 v140, v80, v119
	v_add_f32_e32 v46, v46, v139
	s_waitcnt vmcnt(2)
	v_fma_f32 v48, v81, v120, -v49
	v_add_f32_e32 v45, v45, v47
	v_fmac_f32_e32 v141, v82, v120
	v_add_f32_e32 v46, v46, v140
	v_add_f32_e32 v45, v45, v48
	;; [unrolled: 1-line block ×3, first 2 shown]
	s_waitcnt vmcnt(1)
	v_sub_f32_e32 v45, v121, v45
	s_waitcnt vmcnt(0)
	v_sub_f32_e32 v46, v122, v46
	buffer_store_dword v45, off, s[0:3], 0 offset:8
	buffer_store_dword v46, off, s[0:3], 0 offset:12
	v_cmpx_ne_u32_e32 0, v0
	s_cbranch_execz .LBB84_139
; %bb.138:
	s_clause 0x1
	buffer_load_dword v45, off, s[0:3], 0
	buffer_load_dword v46, off, s[0:3], 0 offset:4
	buffer_store_dword v44, off, s[0:3], 0
	buffer_store_dword v44, off, s[0:3], 0 offset:4
	s_waitcnt vmcnt(0)
	ds_write_b64 v43, v[45:46]
.LBB84_139:
	s_or_b32 exec_lo, exec_lo, s4
	s_waitcnt lgkmcnt(0)
	s_waitcnt_vscnt null, 0x0
	s_barrier
	buffer_gl0_inv
	s_clause 0x29
	buffer_load_dword v0, off, s[0:3], 0 offset:12
	buffer_load_dword v43, off, s[0:3], 0 offset:20
	;; [unrolled: 1-line block ×40, first 2 shown]
	buffer_load_dword v123, off, s[0:3], 0
	buffer_load_dword v124, off, s[0:3], 0 offset:4
	ds_read2_b64 v[45:48], v44 offset0:23 offset1:24
	ds_read2_b64 v[49:52], v44 offset0:25 offset1:26
	ds_read2_b64 v[53:56], v44 offset0:27 offset1:28
	ds_read2_b64 v[57:60], v44 offset0:29 offset1:30
	ds_read2_b64 v[61:64], v44 offset0:31 offset1:32
	ds_read2_b64 v[65:68], v44 offset0:33 offset1:34
	ds_read2_b64 v[69:72], v44 offset0:35 offset1:36
	ds_read2_b64 v[73:76], v44 offset0:37 offset1:38
	ds_read2_b64 v[77:80], v44 offset0:39 offset1:40
	ds_read2_b64 v[81:84], v44 offset0:41 offset1:42
	s_and_b32 vcc_lo, exec_lo, s16
	s_waitcnt vmcnt(41) lgkmcnt(9)
	v_mul_f32_e32 v44, v45, v0
	v_mul_f32_e32 v0, v46, v0
	s_waitcnt vmcnt(40)
	v_mul_f32_e32 v125, v47, v43
	v_mul_f32_e32 v43, v48, v43
	s_waitcnt vmcnt(39) lgkmcnt(8)
	v_mul_f32_e32 v126, v49, v85
	s_waitcnt vmcnt(38)
	v_mul_f32_e32 v127, v51, v86
	s_waitcnt vmcnt(37) lgkmcnt(7)
	v_mul_f32_e32 v128, v53, v87
	s_waitcnt vmcnt(36)
	;; [unrolled: 4-line block ×8, first 2 shown]
	v_mul_f32_e32 v141, v79, v100
	s_waitcnt vmcnt(21)
	v_fma_f32 v0, v45, v103, -v0
	v_fmac_f32_e32 v44, v46, v103
	v_mul_f32_e32 v45, v50, v85
	s_waitcnt vmcnt(20)
	v_fma_f32 v43, v47, v104, -v43
	v_fmac_f32_e32 v125, v48, v104
	v_add_f32_e32 v0, 0, v0
	v_add_f32_e32 v44, 0, v44
	v_mul_f32_e32 v46, v52, v86
	s_waitcnt vmcnt(19)
	v_fma_f32 v45, v49, v105, -v45
	v_fmac_f32_e32 v126, v50, v105
	v_add_f32_e32 v0, v0, v43
	v_add_f32_e32 v43, v44, v125
	;; [unrolled: 6-line block ×16, first 2 shown]
	s_waitcnt lgkmcnt(0)
	v_mul_f32_e32 v46, v82, v101
	s_waitcnt vmcnt(4)
	v_fma_f32 v45, v79, v120, -v45
	v_mul_f32_e32 v142, v81, v101
	v_add_f32_e32 v0, v0, v44
	v_fmac_f32_e32 v141, v80, v120
	v_add_f32_e32 v43, v43, v140
	v_mul_f32_e32 v44, v84, v102
	s_waitcnt vmcnt(3)
	v_fma_f32 v46, v81, v121, -v46
	v_add_f32_e32 v0, v0, v45
	v_mul_f32_e32 v143, v83, v102
	v_fmac_f32_e32 v142, v82, v121
	v_add_f32_e32 v43, v43, v141
	s_waitcnt vmcnt(2)
	v_fma_f32 v44, v83, v122, -v44
	v_add_f32_e32 v0, v0, v46
	v_fmac_f32_e32 v143, v84, v122
	v_add_f32_e32 v43, v43, v142
	v_add_f32_e32 v0, v0, v44
	;; [unrolled: 1-line block ×3, first 2 shown]
	s_waitcnt vmcnt(1)
	v_sub_f32_e32 v0, v123, v0
	s_waitcnt vmcnt(0)
	v_sub_f32_e32 v43, v124, v43
	buffer_store_dword v0, off, s[0:3], 0
	buffer_store_dword v43, off, s[0:3], 0 offset:4
	s_cbranch_vccz .LBB84_180
; %bb.140:
	v_mov_b32_e32 v0, 0
	global_load_dword v43, v0, s[12:13] offset:76
	s_waitcnt vmcnt(0)
	v_add_nc_u32_e32 v43, -1, v43
	v_cmp_ne_u32_e32 vcc_lo, 19, v43
	s_cbranch_vccz .LBB84_142
; %bb.141:
	v_lshlrev_b32_e32 v43, 3, v43
	s_clause 0x3
	buffer_load_dword v44, v43, s[0:3], 0 offen
	buffer_load_dword v45, v43, s[0:3], 0 offen offset:4
	buffer_load_dword v46, off, s[0:3], 0 offset:152
	buffer_load_dword v47, off, s[0:3], 0 offset:156
	s_waitcnt vmcnt(3)
	buffer_store_dword v44, off, s[0:3], 0 offset:152
	s_waitcnt vmcnt(2)
	buffer_store_dword v45, off, s[0:3], 0 offset:156
	s_waitcnt vmcnt(1)
	buffer_store_dword v46, v43, s[0:3], 0 offen
	s_waitcnt vmcnt(0)
	buffer_store_dword v47, v43, s[0:3], 0 offen offset:4
.LBB84_142:
	global_load_dword v0, v0, s[12:13] offset:72
	s_waitcnt vmcnt(0)
	v_add_nc_u32_e32 v0, -1, v0
	v_cmp_eq_u32_e32 vcc_lo, 18, v0
	s_cbranch_vccnz .LBB84_144
; %bb.143:
	v_lshlrev_b32_e32 v0, 3, v0
	s_clause 0x3
	buffer_load_dword v43, v0, s[0:3], 0 offen
	buffer_load_dword v44, v0, s[0:3], 0 offen offset:4
	buffer_load_dword v45, off, s[0:3], 0 offset:148
	buffer_load_dword v46, off, s[0:3], 0 offset:144
	s_waitcnt vmcnt(3)
	buffer_store_dword v43, off, s[0:3], 0 offset:144
	s_waitcnt vmcnt(2)
	buffer_store_dword v44, off, s[0:3], 0 offset:148
	s_waitcnt vmcnt(1)
	buffer_store_dword v45, v0, s[0:3], 0 offen offset:4
	s_waitcnt vmcnt(0)
	buffer_store_dword v46, v0, s[0:3], 0 offen
.LBB84_144:
	v_mov_b32_e32 v0, 0
	global_load_dword v43, v0, s[12:13] offset:68
	s_waitcnt vmcnt(0)
	v_add_nc_u32_e32 v43, -1, v43
	v_cmp_eq_u32_e32 vcc_lo, 17, v43
	s_cbranch_vccnz .LBB84_146
; %bb.145:
	v_lshlrev_b32_e32 v43, 3, v43
	s_clause 0x3
	buffer_load_dword v44, v43, s[0:3], 0 offen
	buffer_load_dword v45, v43, s[0:3], 0 offen offset:4
	buffer_load_dword v46, off, s[0:3], 0 offset:136
	buffer_load_dword v47, off, s[0:3], 0 offset:140
	s_waitcnt vmcnt(3)
	buffer_store_dword v44, off, s[0:3], 0 offset:136
	s_waitcnt vmcnt(2)
	buffer_store_dword v45, off, s[0:3], 0 offset:140
	s_waitcnt vmcnt(1)
	buffer_store_dword v46, v43, s[0:3], 0 offen
	s_waitcnt vmcnt(0)
	buffer_store_dword v47, v43, s[0:3], 0 offen offset:4
.LBB84_146:
	global_load_dword v0, v0, s[12:13] offset:64
	s_waitcnt vmcnt(0)
	v_add_nc_u32_e32 v0, -1, v0
	v_cmp_eq_u32_e32 vcc_lo, 16, v0
	s_cbranch_vccnz .LBB84_148
; %bb.147:
	v_lshlrev_b32_e32 v0, 3, v0
	s_clause 0x3
	buffer_load_dword v43, v0, s[0:3], 0 offen
	buffer_load_dword v44, v0, s[0:3], 0 offen offset:4
	buffer_load_dword v45, off, s[0:3], 0 offset:132
	buffer_load_dword v46, off, s[0:3], 0 offset:128
	s_waitcnt vmcnt(3)
	buffer_store_dword v43, off, s[0:3], 0 offset:128
	s_waitcnt vmcnt(2)
	buffer_store_dword v44, off, s[0:3], 0 offset:132
	s_waitcnt vmcnt(1)
	buffer_store_dword v45, v0, s[0:3], 0 offen offset:4
	s_waitcnt vmcnt(0)
	buffer_store_dword v46, v0, s[0:3], 0 offen
.LBB84_148:
	v_mov_b32_e32 v0, 0
	global_load_dword v43, v0, s[12:13] offset:60
	s_waitcnt vmcnt(0)
	v_add_nc_u32_e32 v43, -1, v43
	v_cmp_eq_u32_e32 vcc_lo, 15, v43
	s_cbranch_vccnz .LBB84_150
; %bb.149:
	v_lshlrev_b32_e32 v43, 3, v43
	s_clause 0x3
	buffer_load_dword v44, v43, s[0:3], 0 offen
	buffer_load_dword v45, v43, s[0:3], 0 offen offset:4
	buffer_load_dword v46, off, s[0:3], 0 offset:120
	buffer_load_dword v47, off, s[0:3], 0 offset:124
	s_waitcnt vmcnt(3)
	buffer_store_dword v44, off, s[0:3], 0 offset:120
	s_waitcnt vmcnt(2)
	buffer_store_dword v45, off, s[0:3], 0 offset:124
	s_waitcnt vmcnt(1)
	buffer_store_dword v46, v43, s[0:3], 0 offen
	s_waitcnt vmcnt(0)
	buffer_store_dword v47, v43, s[0:3], 0 offen offset:4
.LBB84_150:
	;; [unrolled: 43-line block ×9, first 2 shown]
	global_load_dword v0, v0, s[12:13]
	s_waitcnt vmcnt(0)
	v_add_nc_u32_e32 v0, -1, v0
	v_cmp_eq_u32_e32 vcc_lo, 0, v0
	s_cbranch_vccnz .LBB84_180
; %bb.179:
	v_lshlrev_b32_e32 v0, 3, v0
	s_clause 0x3
	buffer_load_dword v43, v0, s[0:3], 0 offen
	buffer_load_dword v44, v0, s[0:3], 0 offen offset:4
	buffer_load_dword v45, off, s[0:3], 0 offset:4
	buffer_load_dword v46, off, s[0:3], 0
	s_waitcnt vmcnt(3)
	buffer_store_dword v43, off, s[0:3], 0
	s_waitcnt vmcnt(2)
	buffer_store_dword v44, off, s[0:3], 0 offset:4
	s_waitcnt vmcnt(1)
	buffer_store_dword v45, v0, s[0:3], 0 offen offset:4
	s_waitcnt vmcnt(0)
	buffer_store_dword v46, v0, s[0:3], 0 offen
.LBB84_180:
	s_clause 0x1
	buffer_load_dword v43, off, s[0:3], 0
	buffer_load_dword v44, off, s[0:3], 0 offset:4
	s_waitcnt vmcnt(0)
	flat_store_dwordx2 v[1:2], v[43:44]
	s_clause 0x1
	buffer_load_dword v0, off, s[0:3], 0 offset:8
	buffer_load_dword v1, off, s[0:3], 0 offset:12
	s_waitcnt vmcnt(0)
	flat_store_dwordx2 v[3:4], v[0:1]
	s_clause 0x1
	buffer_load_dword v0, off, s[0:3], 0 offset:16
	;; [unrolled: 5-line block ×20, first 2 shown]
	buffer_load_dword v1, off, s[0:3], 0 offset:164
	s_waitcnt vmcnt(0)
	flat_store_dwordx2 v[41:42], v[0:1]
	s_endpgm
	.section	.rodata,"a",@progbits
	.p2align	6, 0x0
	.amdhsa_kernel _ZN9rocsolver6v33100L18getri_kernel_smallILi21E19rocblas_complex_numIfEPKPS3_EEvT1_iilPiilS8_bb
		.amdhsa_group_segment_fixed_size 344
		.amdhsa_private_segment_fixed_size 176
		.amdhsa_kernarg_size 60
		.amdhsa_user_sgpr_count 6
		.amdhsa_user_sgpr_private_segment_buffer 1
		.amdhsa_user_sgpr_dispatch_ptr 0
		.amdhsa_user_sgpr_queue_ptr 0
		.amdhsa_user_sgpr_kernarg_segment_ptr 1
		.amdhsa_user_sgpr_dispatch_id 0
		.amdhsa_user_sgpr_flat_scratch_init 0
		.amdhsa_user_sgpr_private_segment_size 0
		.amdhsa_wavefront_size32 1
		.amdhsa_uses_dynamic_stack 0
		.amdhsa_system_sgpr_private_segment_wavefront_offset 1
		.amdhsa_system_sgpr_workgroup_id_x 1
		.amdhsa_system_sgpr_workgroup_id_y 0
		.amdhsa_system_sgpr_workgroup_id_z 0
		.amdhsa_system_sgpr_workgroup_info 0
		.amdhsa_system_vgpr_workitem_id 0
		.amdhsa_next_free_vgpr 144
		.amdhsa_next_free_sgpr 20
		.amdhsa_reserve_vcc 1
		.amdhsa_reserve_flat_scratch 0
		.amdhsa_float_round_mode_32 0
		.amdhsa_float_round_mode_16_64 0
		.amdhsa_float_denorm_mode_32 3
		.amdhsa_float_denorm_mode_16_64 3
		.amdhsa_dx10_clamp 1
		.amdhsa_ieee_mode 1
		.amdhsa_fp16_overflow 0
		.amdhsa_workgroup_processor_mode 1
		.amdhsa_memory_ordered 1
		.amdhsa_forward_progress 1
		.amdhsa_shared_vgpr_count 0
		.amdhsa_exception_fp_ieee_invalid_op 0
		.amdhsa_exception_fp_denorm_src 0
		.amdhsa_exception_fp_ieee_div_zero 0
		.amdhsa_exception_fp_ieee_overflow 0
		.amdhsa_exception_fp_ieee_underflow 0
		.amdhsa_exception_fp_ieee_inexact 0
		.amdhsa_exception_int_div_zero 0
	.end_amdhsa_kernel
	.section	.text._ZN9rocsolver6v33100L18getri_kernel_smallILi21E19rocblas_complex_numIfEPKPS3_EEvT1_iilPiilS8_bb,"axG",@progbits,_ZN9rocsolver6v33100L18getri_kernel_smallILi21E19rocblas_complex_numIfEPKPS3_EEvT1_iilPiilS8_bb,comdat
.Lfunc_end84:
	.size	_ZN9rocsolver6v33100L18getri_kernel_smallILi21E19rocblas_complex_numIfEPKPS3_EEvT1_iilPiilS8_bb, .Lfunc_end84-_ZN9rocsolver6v33100L18getri_kernel_smallILi21E19rocblas_complex_numIfEPKPS3_EEvT1_iilPiilS8_bb
                                        ; -- End function
	.set _ZN9rocsolver6v33100L18getri_kernel_smallILi21E19rocblas_complex_numIfEPKPS3_EEvT1_iilPiilS8_bb.num_vgpr, 144
	.set _ZN9rocsolver6v33100L18getri_kernel_smallILi21E19rocblas_complex_numIfEPKPS3_EEvT1_iilPiilS8_bb.num_agpr, 0
	.set _ZN9rocsolver6v33100L18getri_kernel_smallILi21E19rocblas_complex_numIfEPKPS3_EEvT1_iilPiilS8_bb.numbered_sgpr, 20
	.set _ZN9rocsolver6v33100L18getri_kernel_smallILi21E19rocblas_complex_numIfEPKPS3_EEvT1_iilPiilS8_bb.num_named_barrier, 0
	.set _ZN9rocsolver6v33100L18getri_kernel_smallILi21E19rocblas_complex_numIfEPKPS3_EEvT1_iilPiilS8_bb.private_seg_size, 176
	.set _ZN9rocsolver6v33100L18getri_kernel_smallILi21E19rocblas_complex_numIfEPKPS3_EEvT1_iilPiilS8_bb.uses_vcc, 1
	.set _ZN9rocsolver6v33100L18getri_kernel_smallILi21E19rocblas_complex_numIfEPKPS3_EEvT1_iilPiilS8_bb.uses_flat_scratch, 0
	.set _ZN9rocsolver6v33100L18getri_kernel_smallILi21E19rocblas_complex_numIfEPKPS3_EEvT1_iilPiilS8_bb.has_dyn_sized_stack, 0
	.set _ZN9rocsolver6v33100L18getri_kernel_smallILi21E19rocblas_complex_numIfEPKPS3_EEvT1_iilPiilS8_bb.has_recursion, 0
	.set _ZN9rocsolver6v33100L18getri_kernel_smallILi21E19rocblas_complex_numIfEPKPS3_EEvT1_iilPiilS8_bb.has_indirect_call, 0
	.section	.AMDGPU.csdata,"",@progbits
; Kernel info:
; codeLenInByte = 24832
; TotalNumSgprs: 22
; NumVgprs: 144
; ScratchSize: 176
; MemoryBound: 0
; FloatMode: 240
; IeeeMode: 1
; LDSByteSize: 344 bytes/workgroup (compile time only)
; SGPRBlocks: 0
; VGPRBlocks: 17
; NumSGPRsForWavesPerEU: 22
; NumVGPRsForWavesPerEU: 144
; Occupancy: 7
; WaveLimiterHint : 1
; COMPUTE_PGM_RSRC2:SCRATCH_EN: 1
; COMPUTE_PGM_RSRC2:USER_SGPR: 6
; COMPUTE_PGM_RSRC2:TRAP_HANDLER: 0
; COMPUTE_PGM_RSRC2:TGID_X_EN: 1
; COMPUTE_PGM_RSRC2:TGID_Y_EN: 0
; COMPUTE_PGM_RSRC2:TGID_Z_EN: 0
; COMPUTE_PGM_RSRC2:TIDIG_COMP_CNT: 0
	.section	.text._ZN9rocsolver6v33100L18getri_kernel_smallILi22E19rocblas_complex_numIfEPKPS3_EEvT1_iilPiilS8_bb,"axG",@progbits,_ZN9rocsolver6v33100L18getri_kernel_smallILi22E19rocblas_complex_numIfEPKPS3_EEvT1_iilPiilS8_bb,comdat
	.globl	_ZN9rocsolver6v33100L18getri_kernel_smallILi22E19rocblas_complex_numIfEPKPS3_EEvT1_iilPiilS8_bb ; -- Begin function _ZN9rocsolver6v33100L18getri_kernel_smallILi22E19rocblas_complex_numIfEPKPS3_EEvT1_iilPiilS8_bb
	.p2align	8
	.type	_ZN9rocsolver6v33100L18getri_kernel_smallILi22E19rocblas_complex_numIfEPKPS3_EEvT1_iilPiilS8_bb,@function
_ZN9rocsolver6v33100L18getri_kernel_smallILi22E19rocblas_complex_numIfEPKPS3_EEvT1_iilPiilS8_bb: ; @_ZN9rocsolver6v33100L18getri_kernel_smallILi22E19rocblas_complex_numIfEPKPS3_EEvT1_iilPiilS8_bb
; %bb.0:
	s_add_u32 s0, s0, s7
	s_addc_u32 s1, s1, 0
	s_mov_b32 s7, exec_lo
	v_cmpx_gt_u32_e32 22, v0
	s_cbranch_execz .LBB85_102
; %bb.1:
	s_clause 0x2
	s_load_dword s17, s[4:5], 0x38
	s_load_dwordx2 s[12:13], s[4:5], 0x0
	s_load_dwordx4 s[8:11], s[4:5], 0x28
	s_waitcnt lgkmcnt(0)
	s_bitcmp1_b32 s17, 8
	s_cselect_b32 s16, -1, 0
	s_ashr_i32 s7, s6, 31
	s_lshl_b64 s[14:15], s[6:7], 3
	s_add_u32 s12, s12, s14
	s_addc_u32 s13, s13, s15
	s_load_dwordx2 s[14:15], s[12:13], 0x0
	s_bfe_u32 s12, s17, 0x10008
	s_cmp_eq_u32 s12, 0
                                        ; implicit-def: $sgpr12_sgpr13
	s_cbranch_scc1 .LBB85_3
; %bb.2:
	s_clause 0x1
	s_load_dword s12, s[4:5], 0x20
	s_load_dwordx2 s[18:19], s[4:5], 0x18
	s_mul_i32 s13, s8, s7
	s_mul_hi_u32 s17, s8, s6
	s_mul_i32 s9, s9, s6
	s_add_i32 s13, s17, s13
	s_mul_i32 s8, s8, s6
	s_add_i32 s9, s13, s9
	s_lshl_b64 s[8:9], s[8:9], 2
	s_waitcnt lgkmcnt(0)
	s_ashr_i32 s13, s12, 31
	s_add_u32 s17, s18, s8
	s_addc_u32 s18, s19, s9
	s_lshl_b64 s[8:9], s[12:13], 2
	s_add_u32 s12, s17, s8
	s_addc_u32 s13, s18, s9
.LBB85_3:
	s_clause 0x1
	s_load_dwordx2 s[8:9], s[4:5], 0x8
	s_load_dword s4, s[4:5], 0x38
	v_lshlrev_b32_e32 v47, 3, v0
	s_waitcnt lgkmcnt(0)
	s_ashr_i32 s19, s8, 31
	s_mov_b32 s18, s8
	v_add3_u32 v9, s9, s9, v0
	s_lshl_b64 s[18:19], s[18:19], 3
	s_add_u32 s5, s14, s18
	s_addc_u32 s8, s15, s19
	v_add_co_u32 v1, s14, s5, v47
	v_add_co_ci_u32_e64 v2, null, s8, 0, s14
	s_mov_b32 s14, s9
	s_ashr_i32 s15, s9, 31
	v_ashrrev_i32_e32 v10, 31, v9
	flat_load_dwordx2 v[5:6], v[1:2]
	s_lshl_b64 s[14:15], s[14:15], 3
	v_add_nc_u32_e32 v12, s9, v9
	v_add_co_u32 v3, vcc_lo, v1, s14
	v_add_co_ci_u32_e64 v4, null, s15, v2, vcc_lo
	v_ashrrev_i32_e32 v13, 31, v12
	s_bitcmp0_b32 s4, 0
	s_waitcnt vmcnt(0) lgkmcnt(0)
	buffer_store_dword v6, off, s[0:3], 0 offset:4
	buffer_store_dword v5, off, s[0:3], 0
	flat_load_dwordx2 v[7:8], v[3:4]
	v_lshlrev_b64 v[5:6], 3, v[9:10]
	s_waitcnt vmcnt(0) lgkmcnt(0)
	buffer_store_dword v8, off, s[0:3], 0 offset:12
	buffer_store_dword v7, off, s[0:3], 0 offset:8
	v_add_co_u32 v5, vcc_lo, s5, v5
	v_add_co_ci_u32_e64 v6, null, s8, v6, vcc_lo
	v_lshlrev_b64 v[7:8], 3, v[12:13]
	flat_load_dwordx2 v[10:11], v[5:6]
	s_waitcnt vmcnt(0) lgkmcnt(0)
	buffer_store_dword v11, off, s[0:3], 0 offset:20
	buffer_store_dword v10, off, s[0:3], 0 offset:16
	v_add_co_u32 v7, vcc_lo, s5, v7
	v_add_co_ci_u32_e64 v8, null, s8, v8, vcc_lo
	v_add_nc_u32_e32 v11, s9, v12
	flat_load_dwordx2 v[13:14], v[7:8]
	s_waitcnt vmcnt(0) lgkmcnt(0)
	buffer_store_dword v14, off, s[0:3], 0 offset:28
	buffer_store_dword v13, off, s[0:3], 0 offset:24
	v_ashrrev_i32_e32 v12, 31, v11
	v_add_nc_u32_e32 v15, s9, v11
	v_lshlrev_b64 v[9:10], 3, v[11:12]
	v_ashrrev_i32_e32 v16, 31, v15
	v_add_nc_u32_e32 v18, s9, v15
	v_add_co_u32 v9, vcc_lo, s5, v9
	v_add_co_ci_u32_e64 v10, null, s8, v10, vcc_lo
	v_lshlrev_b64 v[11:12], 3, v[15:16]
	v_ashrrev_i32_e32 v19, 31, v18
	flat_load_dwordx2 v[13:14], v[9:10]
	s_waitcnt vmcnt(0) lgkmcnt(0)
	buffer_store_dword v14, off, s[0:3], 0 offset:36
	buffer_store_dword v13, off, s[0:3], 0 offset:32
	v_add_co_u32 v11, vcc_lo, s5, v11
	v_add_co_ci_u32_e64 v12, null, s8, v12, vcc_lo
	v_lshlrev_b64 v[13:14], 3, v[18:19]
	flat_load_dwordx2 v[16:17], v[11:12]
	s_waitcnt vmcnt(0) lgkmcnt(0)
	buffer_store_dword v17, off, s[0:3], 0 offset:44
	buffer_store_dword v16, off, s[0:3], 0 offset:40
	v_add_co_u32 v13, vcc_lo, s5, v13
	v_add_co_ci_u32_e64 v14, null, s8, v14, vcc_lo
	v_add_nc_u32_e32 v17, s9, v18
	flat_load_dwordx2 v[19:20], v[13:14]
	s_waitcnt vmcnt(0) lgkmcnt(0)
	buffer_store_dword v20, off, s[0:3], 0 offset:52
	buffer_store_dword v19, off, s[0:3], 0 offset:48
	v_ashrrev_i32_e32 v18, 31, v17
	v_add_nc_u32_e32 v21, s9, v17
	v_lshlrev_b64 v[15:16], 3, v[17:18]
	v_ashrrev_i32_e32 v22, 31, v21
	v_add_nc_u32_e32 v24, s9, v21
	v_add_co_u32 v15, vcc_lo, s5, v15
	v_add_co_ci_u32_e64 v16, null, s8, v16, vcc_lo
	v_lshlrev_b64 v[17:18], 3, v[21:22]
	v_ashrrev_i32_e32 v25, 31, v24
	flat_load_dwordx2 v[19:20], v[15:16]
	;; [unrolled: 27-line block ×5, first 2 shown]
	s_waitcnt vmcnt(0) lgkmcnt(0)
	buffer_store_dword v38, off, s[0:3], 0 offset:132
	buffer_store_dword v37, off, s[0:3], 0 offset:128
	v_add_co_u32 v35, vcc_lo, s5, v35
	v_add_co_ci_u32_e64 v36, null, s8, v36, vcc_lo
	v_lshlrev_b64 v[37:38], 3, v[42:43]
	flat_load_dwordx2 v[40:41], v[35:36]
	s_waitcnt vmcnt(0) lgkmcnt(0)
	buffer_store_dword v41, off, s[0:3], 0 offset:140
	buffer_store_dword v40, off, s[0:3], 0 offset:136
	v_add_co_u32 v37, vcc_lo, s5, v37
	v_add_co_ci_u32_e64 v38, null, s8, v38, vcc_lo
	v_add_nc_u32_e32 v41, s9, v42
	flat_load_dwordx2 v[43:44], v[37:38]
	s_waitcnt vmcnt(0) lgkmcnt(0)
	buffer_store_dword v44, off, s[0:3], 0 offset:148
	buffer_store_dword v43, off, s[0:3], 0 offset:144
	v_ashrrev_i32_e32 v42, 31, v41
	v_add_nc_u32_e32 v45, s9, v41
	v_lshlrev_b64 v[39:40], 3, v[41:42]
	v_ashrrev_i32_e32 v46, 31, v45
	v_add_co_u32 v39, vcc_lo, s5, v39
	v_add_co_ci_u32_e64 v40, null, s8, v40, vcc_lo
	v_lshlrev_b64 v[41:42], 3, v[45:46]
	flat_load_dwordx2 v[43:44], v[39:40]
	s_waitcnt vmcnt(0) lgkmcnt(0)
	buffer_store_dword v44, off, s[0:3], 0 offset:156
	buffer_store_dword v43, off, s[0:3], 0 offset:152
	v_add_co_u32 v41, vcc_lo, s5, v41
	v_add_co_ci_u32_e64 v42, null, s8, v42, vcc_lo
	v_add_nc_u32_e32 v43, s9, v45
	flat_load_dwordx2 v[48:49], v[41:42]
	s_waitcnt vmcnt(0) lgkmcnt(0)
	buffer_store_dword v49, off, s[0:3], 0 offset:164
	buffer_store_dword v48, off, s[0:3], 0 offset:160
	v_ashrrev_i32_e32 v44, 31, v43
	v_lshlrev_b64 v[43:44], 3, v[43:44]
	v_add_co_u32 v43, vcc_lo, s5, v43
	v_add_co_ci_u32_e64 v44, null, s8, v44, vcc_lo
	s_mov_b32 s5, -1
	flat_load_dwordx2 v[45:46], v[43:44]
	s_waitcnt vmcnt(0) lgkmcnt(0)
	buffer_store_dword v46, off, s[0:3], 0 offset:172
	buffer_store_dword v45, off, s[0:3], 0 offset:168
	s_cbranch_scc1 .LBB85_100
; %bb.4:
	v_cmp_eq_u32_e64 s4, 0, v0
	s_and_saveexec_b32 s5, s4
; %bb.5:
	v_mov_b32_e32 v45, 0
	ds_write_b32 v45, v45 offset:352
; %bb.6:
	s_or_b32 exec_lo, exec_lo, s5
	v_lshl_add_u32 v49, v0, 3, 0
	s_waitcnt lgkmcnt(0)
	s_waitcnt_vscnt null, 0x0
	s_barrier
	buffer_gl0_inv
	s_clause 0x1
	buffer_load_dword v45, v49, s[0:3], 0 offen
	buffer_load_dword v46, v49, s[0:3], 0 offen offset:4
	s_waitcnt vmcnt(1)
	v_cmp_eq_f32_e32 vcc_lo, 0, v45
	s_waitcnt vmcnt(0)
	v_cmp_eq_f32_e64 s5, 0, v46
	s_and_b32 s5, vcc_lo, s5
	s_and_saveexec_b32 s8, s5
	s_cbranch_execz .LBB85_10
; %bb.7:
	v_mov_b32_e32 v45, 0
	s_mov_b32 s9, 0
	ds_read_b32 v46, v45 offset:352
	s_waitcnt lgkmcnt(0)
	v_readfirstlane_b32 s5, v46
	v_add_nc_u32_e32 v46, 1, v0
	s_cmp_eq_u32 s5, 0
	v_cmp_gt_i32_e32 vcc_lo, s5, v46
	s_cselect_b32 s14, -1, 0
	s_or_b32 s14, s14, vcc_lo
	s_and_b32 exec_lo, exec_lo, s14
	s_cbranch_execz .LBB85_10
; %bb.8:
	v_mov_b32_e32 v48, s5
.LBB85_9:                               ; =>This Inner Loop Header: Depth=1
	ds_cmpst_rtn_b32 v48, v45, v48, v46 offset:352
	s_waitcnt lgkmcnt(0)
	v_cmp_ne_u32_e32 vcc_lo, 0, v48
	v_cmp_le_i32_e64 s5, v48, v46
	s_and_b32 s5, vcc_lo, s5
	s_and_b32 s5, exec_lo, s5
	s_or_b32 s9, s5, s9
	s_andn2_b32 exec_lo, exec_lo, s9
	s_cbranch_execnz .LBB85_9
.LBB85_10:
	s_or_b32 exec_lo, exec_lo, s8
	v_mov_b32_e32 v45, 0
	s_barrier
	buffer_gl0_inv
	ds_read_b32 v46, v45 offset:352
	s_and_saveexec_b32 s5, s4
	s_cbranch_execz .LBB85_12
; %bb.11:
	s_lshl_b64 s[8:9], s[6:7], 2
	s_add_u32 s8, s10, s8
	s_addc_u32 s9, s11, s9
	s_waitcnt lgkmcnt(0)
	global_store_dword v45, v46, s[8:9]
.LBB85_12:
	s_or_b32 exec_lo, exec_lo, s5
	s_waitcnt lgkmcnt(0)
	v_cmp_ne_u32_e32 vcc_lo, 0, v46
	s_mov_b32 s5, 0
	s_cbranch_vccnz .LBB85_100
; %bb.13:
	s_clause 0x1
	buffer_load_dword v46, v49, s[0:3], 0 offen
	buffer_load_dword v48, v49, s[0:3], 0 offen offset:4
                                        ; implicit-def: $vgpr51
                                        ; implicit-def: $vgpr50
                                        ; implicit-def: $vgpr45
	s_waitcnt vmcnt(0)
	v_cmp_ngt_f32_e64 s5, |v46|, |v48|
	s_and_saveexec_b32 s8, s5
	s_xor_b32 s5, exec_lo, s8
	s_cbranch_execz .LBB85_15
; %bb.14:
	v_div_scale_f32 v45, null, v48, v48, v46
	v_div_scale_f32 v52, vcc_lo, v46, v48, v46
	v_rcp_f32_e32 v50, v45
	v_fma_f32 v51, -v45, v50, 1.0
	v_fmac_f32_e32 v50, v51, v50
	v_mul_f32_e32 v51, v52, v50
	v_fma_f32 v53, -v45, v51, v52
	v_fmac_f32_e32 v51, v53, v50
	v_fma_f32 v45, -v45, v51, v52
	v_div_fmas_f32 v45, v45, v50, v51
	v_div_fixup_f32 v45, v45, v48, v46
	v_fmac_f32_e32 v48, v46, v45
	v_div_scale_f32 v46, null, v48, v48, 1.0
	v_rcp_f32_e32 v50, v46
	v_fma_f32 v51, -v46, v50, 1.0
	v_fmac_f32_e32 v50, v51, v50
	v_div_scale_f32 v51, vcc_lo, 1.0, v48, 1.0
	v_mul_f32_e32 v52, v51, v50
	v_fma_f32 v53, -v46, v52, v51
	v_fmac_f32_e32 v52, v53, v50
	v_fma_f32 v46, -v46, v52, v51
	v_div_fmas_f32 v46, v46, v50, v52
	v_div_fixup_f32 v46, v46, v48, 1.0
                                        ; implicit-def: $vgpr48
	v_mul_f32_e32 v51, v45, v46
	v_xor_b32_e32 v50, 0x80000000, v46
                                        ; implicit-def: $vgpr46
	v_xor_b32_e32 v45, 0x80000000, v51
.LBB85_15:
	s_andn2_saveexec_b32 s5, s5
	s_cbranch_execz .LBB85_17
; %bb.16:
	v_div_scale_f32 v45, null, v46, v46, v48
	v_div_scale_f32 v52, vcc_lo, v48, v46, v48
	v_rcp_f32_e32 v50, v45
	v_fma_f32 v51, -v45, v50, 1.0
	v_fmac_f32_e32 v50, v51, v50
	v_mul_f32_e32 v51, v52, v50
	v_fma_f32 v53, -v45, v51, v52
	v_fmac_f32_e32 v51, v53, v50
	v_fma_f32 v45, -v45, v51, v52
	v_div_fmas_f32 v45, v45, v50, v51
	v_div_fixup_f32 v50, v45, v46, v48
	v_fmac_f32_e32 v46, v48, v50
	v_div_scale_f32 v45, null, v46, v46, 1.0
	v_div_scale_f32 v52, vcc_lo, 1.0, v46, 1.0
	v_rcp_f32_e32 v48, v45
	v_fma_f32 v51, -v45, v48, 1.0
	v_fmac_f32_e32 v48, v51, v48
	v_mul_f32_e32 v51, v52, v48
	v_fma_f32 v53, -v45, v51, v52
	v_fmac_f32_e32 v51, v53, v48
	v_fma_f32 v45, -v45, v51, v52
	v_div_fmas_f32 v45, v45, v48, v51
	v_div_fixup_f32 v51, v45, v46, 1.0
	v_xor_b32_e32 v45, 0x80000000, v51
	v_mul_f32_e64 v50, v50, -v51
.LBB85_17:
	s_or_b32 exec_lo, exec_lo, s5
	buffer_store_dword v51, v49, s[0:3], 0 offen
	buffer_store_dword v50, v49, s[0:3], 0 offen offset:4
	s_clause 0x1
	buffer_load_dword v52, off, s[0:3], 0 offset:12
	buffer_load_dword v51, off, s[0:3], 0 offset:8
	v_xor_b32_e32 v46, 0x80000000, v50
	v_add_nc_u32_e32 v48, 0xb0, v47
	s_waitcnt vmcnt(0)
	ds_write2_b64 v47, v[45:46], v[51:52] offset1:22
	s_waitcnt lgkmcnt(0)
	s_waitcnt_vscnt null, 0x0
	s_barrier
	buffer_gl0_inv
	s_and_saveexec_b32 s5, s4
	s_cbranch_execz .LBB85_19
; %bb.18:
	s_clause 0x1
	buffer_load_dword v52, v49, s[0:3], 0 offen offset:4
	buffer_load_dword v53, v49, s[0:3], 0 offen
	ds_read_b64 v[45:46], v48
	v_mov_b32_e32 v50, 0
	ds_read_b64 v[50:51], v50 offset:8
	s_waitcnt vmcnt(1) lgkmcnt(1)
	v_mul_f32_e32 v54, v45, v52
	v_mul_f32_e32 v52, v46, v52
	s_waitcnt vmcnt(0)
	v_fmac_f32_e32 v54, v46, v53
	v_fma_f32 v45, v45, v53, -v52
	v_add_f32_e32 v46, 0, v54
	v_add_f32_e32 v45, 0, v45
	s_waitcnt lgkmcnt(0)
	v_mul_f32_e32 v52, v46, v51
	v_mul_f32_e32 v51, v45, v51
	v_fma_f32 v45, v45, v50, -v52
	v_fmac_f32_e32 v51, v46, v50
	buffer_store_dword v45, off, s[0:3], 0 offset:8
	buffer_store_dword v51, off, s[0:3], 0 offset:12
.LBB85_19:
	s_or_b32 exec_lo, exec_lo, s5
	s_waitcnt_vscnt null, 0x0
	s_barrier
	buffer_gl0_inv
	s_clause 0x1
	buffer_load_dword v45, off, s[0:3], 0 offset:16
	buffer_load_dword v46, off, s[0:3], 0 offset:20
	s_mov_b32 s5, exec_lo
	s_waitcnt vmcnt(0)
	ds_write_b64 v48, v[45:46]
	s_waitcnt lgkmcnt(0)
	s_barrier
	buffer_gl0_inv
	v_cmpx_gt_u32_e32 2, v0
	s_cbranch_execz .LBB85_23
; %bb.20:
	s_clause 0x1
	buffer_load_dword v50, v49, s[0:3], 0 offen offset:4
	buffer_load_dword v49, v49, s[0:3], 0 offen
	ds_read_b64 v[45:46], v48
	s_waitcnt vmcnt(1) lgkmcnt(0)
	v_mul_f32_e32 v51, v46, v50
	v_mul_f32_e32 v50, v45, v50
	s_waitcnt vmcnt(0)
	v_fma_f32 v45, v45, v49, -v51
	v_fmac_f32_e32 v50, v46, v49
	v_add_f32_e32 v46, 0, v45
	v_add_f32_e32 v45, 0, v50
	s_and_saveexec_b32 s8, s4
	s_cbranch_execz .LBB85_22
; %bb.21:
	s_clause 0x1
	buffer_load_dword v51, off, s[0:3], 0 offset:12
	buffer_load_dword v52, off, s[0:3], 0 offset:8
	v_mov_b32_e32 v49, 0
	ds_read_b64 v[49:50], v49 offset:184
	s_waitcnt vmcnt(1) lgkmcnt(0)
	v_mul_f32_e32 v53, v49, v51
	v_mul_f32_e32 v51, v50, v51
	s_waitcnt vmcnt(0)
	v_fmac_f32_e32 v53, v50, v52
	v_fma_f32 v49, v49, v52, -v51
	v_add_f32_e32 v45, v45, v53
	v_add_f32_e32 v46, v46, v49
.LBB85_22:
	s_or_b32 exec_lo, exec_lo, s8
	v_mov_b32_e32 v49, 0
	ds_read_b64 v[49:50], v49 offset:16
	s_waitcnt lgkmcnt(0)
	v_mul_f32_e32 v51, v45, v50
	v_mul_f32_e32 v50, v46, v50
	v_fma_f32 v46, v46, v49, -v51
	v_fmac_f32_e32 v50, v45, v49
	buffer_store_dword v46, off, s[0:3], 0 offset:16
	buffer_store_dword v50, off, s[0:3], 0 offset:20
.LBB85_23:
	s_or_b32 exec_lo, exec_lo, s5
	s_waitcnt_vscnt null, 0x0
	s_barrier
	buffer_gl0_inv
	s_clause 0x1
	buffer_load_dword v49, off, s[0:3], 0 offset:24
	buffer_load_dword v50, off, s[0:3], 0 offset:28
	v_add_nc_u32_e32 v45, -1, v0
	s_mov_b32 s4, exec_lo
	s_waitcnt vmcnt(0)
	ds_write_b64 v48, v[49:50]
	s_waitcnt lgkmcnt(0)
	s_barrier
	buffer_gl0_inv
	v_cmpx_gt_u32_e32 3, v0
	s_cbranch_execz .LBB85_27
; %bb.24:
	v_add_nc_u32_e32 v49, -1, v0
	v_add_nc_u32_e32 v50, 0xb0, v47
	v_mov_b32_e32 v51, v47
	v_mov_b32_e32 v46, 0
	;; [unrolled: 1-line block ×3, first 2 shown]
	s_mov_b32 s5, 0
	.p2align	6
.LBB85_25:                              ; =>This Inner Loop Header: Depth=1
	s_clause 0x1
	buffer_load_dword v55, v51, s[0:3], 0 offen offset:4
	buffer_load_dword v56, v51, s[0:3], 0 offen
	ds_read_b64 v[53:54], v50
	v_add_nc_u32_e32 v49, 1, v49
	v_add_nc_u32_e32 v50, 8, v50
	;; [unrolled: 1-line block ×3, first 2 shown]
	v_cmp_lt_u32_e32 vcc_lo, 1, v49
	s_or_b32 s5, vcc_lo, s5
	s_waitcnt vmcnt(1) lgkmcnt(0)
	v_mul_f32_e32 v57, v54, v55
	v_mul_f32_e32 v55, v53, v55
	s_waitcnt vmcnt(0)
	v_fma_f32 v53, v53, v56, -v57
	v_fmac_f32_e32 v55, v54, v56
	v_add_f32_e32 v52, v52, v53
	v_add_f32_e32 v46, v46, v55
	s_andn2_b32 exec_lo, exec_lo, s5
	s_cbranch_execnz .LBB85_25
; %bb.26:
	s_or_b32 exec_lo, exec_lo, s5
	v_mov_b32_e32 v49, 0
	ds_read_b64 v[49:50], v49 offset:24
	s_waitcnt lgkmcnt(0)
	v_mul_f32_e32 v51, v46, v50
	v_mul_f32_e32 v50, v52, v50
	v_fma_f32 v51, v52, v49, -v51
	v_fmac_f32_e32 v50, v46, v49
	buffer_store_dword v51, off, s[0:3], 0 offset:24
	buffer_store_dword v50, off, s[0:3], 0 offset:28
.LBB85_27:
	s_or_b32 exec_lo, exec_lo, s4
	s_waitcnt_vscnt null, 0x0
	s_barrier
	buffer_gl0_inv
	s_clause 0x1
	buffer_load_dword v49, off, s[0:3], 0 offset:32
	buffer_load_dword v50, off, s[0:3], 0 offset:36
	s_mov_b32 s4, exec_lo
	s_waitcnt vmcnt(0)
	ds_write_b64 v48, v[49:50]
	s_waitcnt lgkmcnt(0)
	s_barrier
	buffer_gl0_inv
	v_cmpx_gt_u32_e32 4, v0
	s_cbranch_execz .LBB85_31
; %bb.28:
	v_add_nc_u32_e32 v49, -1, v0
	v_add_nc_u32_e32 v50, 0xb0, v47
	v_mov_b32_e32 v51, v47
	v_mov_b32_e32 v46, 0
	;; [unrolled: 1-line block ×3, first 2 shown]
	s_mov_b32 s5, 0
	.p2align	6
.LBB85_29:                              ; =>This Inner Loop Header: Depth=1
	s_clause 0x1
	buffer_load_dword v55, v51, s[0:3], 0 offen offset:4
	buffer_load_dword v56, v51, s[0:3], 0 offen
	ds_read_b64 v[53:54], v50
	v_add_nc_u32_e32 v49, 1, v49
	v_add_nc_u32_e32 v50, 8, v50
	;; [unrolled: 1-line block ×3, first 2 shown]
	v_cmp_lt_u32_e32 vcc_lo, 2, v49
	s_or_b32 s5, vcc_lo, s5
	s_waitcnt vmcnt(1) lgkmcnt(0)
	v_mul_f32_e32 v57, v54, v55
	v_mul_f32_e32 v55, v53, v55
	s_waitcnt vmcnt(0)
	v_fma_f32 v53, v53, v56, -v57
	v_fmac_f32_e32 v55, v54, v56
	v_add_f32_e32 v52, v52, v53
	v_add_f32_e32 v46, v46, v55
	s_andn2_b32 exec_lo, exec_lo, s5
	s_cbranch_execnz .LBB85_29
; %bb.30:
	s_or_b32 exec_lo, exec_lo, s5
	v_mov_b32_e32 v49, 0
	ds_read_b64 v[49:50], v49 offset:32
	s_waitcnt lgkmcnt(0)
	v_mul_f32_e32 v51, v46, v50
	v_mul_f32_e32 v50, v52, v50
	v_fma_f32 v51, v52, v49, -v51
	v_fmac_f32_e32 v50, v46, v49
	buffer_store_dword v51, off, s[0:3], 0 offset:32
	buffer_store_dword v50, off, s[0:3], 0 offset:36
.LBB85_31:
	s_or_b32 exec_lo, exec_lo, s4
	s_waitcnt_vscnt null, 0x0
	s_barrier
	buffer_gl0_inv
	s_clause 0x1
	buffer_load_dword v49, off, s[0:3], 0 offset:40
	buffer_load_dword v50, off, s[0:3], 0 offset:44
	s_mov_b32 s4, exec_lo
	s_waitcnt vmcnt(0)
	ds_write_b64 v48, v[49:50]
	s_waitcnt lgkmcnt(0)
	s_barrier
	buffer_gl0_inv
	v_cmpx_gt_u32_e32 5, v0
	s_cbranch_execz .LBB85_35
; %bb.32:
	v_add_nc_u32_e32 v49, -1, v0
	v_add_nc_u32_e32 v50, 0xb0, v47
	v_mov_b32_e32 v51, v47
	v_mov_b32_e32 v46, 0
	;; [unrolled: 1-line block ×3, first 2 shown]
	s_mov_b32 s5, 0
	.p2align	6
.LBB85_33:                              ; =>This Inner Loop Header: Depth=1
	s_clause 0x1
	buffer_load_dword v55, v51, s[0:3], 0 offen offset:4
	buffer_load_dword v56, v51, s[0:3], 0 offen
	ds_read_b64 v[53:54], v50
	v_add_nc_u32_e32 v49, 1, v49
	v_add_nc_u32_e32 v50, 8, v50
	;; [unrolled: 1-line block ×3, first 2 shown]
	v_cmp_lt_u32_e32 vcc_lo, 3, v49
	s_or_b32 s5, vcc_lo, s5
	s_waitcnt vmcnt(1) lgkmcnt(0)
	v_mul_f32_e32 v57, v54, v55
	v_mul_f32_e32 v55, v53, v55
	s_waitcnt vmcnt(0)
	v_fma_f32 v53, v53, v56, -v57
	v_fmac_f32_e32 v55, v54, v56
	v_add_f32_e32 v52, v52, v53
	v_add_f32_e32 v46, v46, v55
	s_andn2_b32 exec_lo, exec_lo, s5
	s_cbranch_execnz .LBB85_33
; %bb.34:
	s_or_b32 exec_lo, exec_lo, s5
	v_mov_b32_e32 v49, 0
	ds_read_b64 v[49:50], v49 offset:40
	s_waitcnt lgkmcnt(0)
	v_mul_f32_e32 v51, v46, v50
	v_mul_f32_e32 v50, v52, v50
	v_fma_f32 v51, v52, v49, -v51
	v_fmac_f32_e32 v50, v46, v49
	buffer_store_dword v51, off, s[0:3], 0 offset:40
	buffer_store_dword v50, off, s[0:3], 0 offset:44
.LBB85_35:
	s_or_b32 exec_lo, exec_lo, s4
	s_waitcnt_vscnt null, 0x0
	s_barrier
	buffer_gl0_inv
	s_clause 0x1
	buffer_load_dword v49, off, s[0:3], 0 offset:48
	buffer_load_dword v50, off, s[0:3], 0 offset:52
	s_mov_b32 s4, exec_lo
	s_waitcnt vmcnt(0)
	ds_write_b64 v48, v[49:50]
	s_waitcnt lgkmcnt(0)
	s_barrier
	buffer_gl0_inv
	v_cmpx_gt_u32_e32 6, v0
	s_cbranch_execz .LBB85_39
; %bb.36:
	v_add_nc_u32_e32 v49, -1, v0
	v_add_nc_u32_e32 v50, 0xb0, v47
	v_mov_b32_e32 v51, v47
	v_mov_b32_e32 v46, 0
	;; [unrolled: 1-line block ×3, first 2 shown]
	s_mov_b32 s5, 0
	.p2align	6
.LBB85_37:                              ; =>This Inner Loop Header: Depth=1
	s_clause 0x1
	buffer_load_dword v55, v51, s[0:3], 0 offen offset:4
	buffer_load_dword v56, v51, s[0:3], 0 offen
	ds_read_b64 v[53:54], v50
	v_add_nc_u32_e32 v49, 1, v49
	v_add_nc_u32_e32 v50, 8, v50
	;; [unrolled: 1-line block ×3, first 2 shown]
	v_cmp_lt_u32_e32 vcc_lo, 4, v49
	s_or_b32 s5, vcc_lo, s5
	s_waitcnt vmcnt(1) lgkmcnt(0)
	v_mul_f32_e32 v57, v54, v55
	v_mul_f32_e32 v55, v53, v55
	s_waitcnt vmcnt(0)
	v_fma_f32 v53, v53, v56, -v57
	v_fmac_f32_e32 v55, v54, v56
	v_add_f32_e32 v52, v52, v53
	v_add_f32_e32 v46, v46, v55
	s_andn2_b32 exec_lo, exec_lo, s5
	s_cbranch_execnz .LBB85_37
; %bb.38:
	s_or_b32 exec_lo, exec_lo, s5
	v_mov_b32_e32 v49, 0
	ds_read_b64 v[49:50], v49 offset:48
	s_waitcnt lgkmcnt(0)
	v_mul_f32_e32 v51, v46, v50
	v_mul_f32_e32 v50, v52, v50
	v_fma_f32 v51, v52, v49, -v51
	v_fmac_f32_e32 v50, v46, v49
	buffer_store_dword v51, off, s[0:3], 0 offset:48
	buffer_store_dword v50, off, s[0:3], 0 offset:52
.LBB85_39:
	s_or_b32 exec_lo, exec_lo, s4
	s_waitcnt_vscnt null, 0x0
	s_barrier
	buffer_gl0_inv
	s_clause 0x1
	buffer_load_dword v49, off, s[0:3], 0 offset:56
	buffer_load_dword v50, off, s[0:3], 0 offset:60
	s_mov_b32 s4, exec_lo
	s_waitcnt vmcnt(0)
	ds_write_b64 v48, v[49:50]
	s_waitcnt lgkmcnt(0)
	s_barrier
	buffer_gl0_inv
	v_cmpx_gt_u32_e32 7, v0
	s_cbranch_execz .LBB85_43
; %bb.40:
	v_add_nc_u32_e32 v49, -1, v0
	v_add_nc_u32_e32 v50, 0xb0, v47
	v_mov_b32_e32 v51, v47
	v_mov_b32_e32 v46, 0
	;; [unrolled: 1-line block ×3, first 2 shown]
	s_mov_b32 s5, 0
	.p2align	6
.LBB85_41:                              ; =>This Inner Loop Header: Depth=1
	s_clause 0x1
	buffer_load_dword v55, v51, s[0:3], 0 offen offset:4
	buffer_load_dword v56, v51, s[0:3], 0 offen
	ds_read_b64 v[53:54], v50
	v_add_nc_u32_e32 v49, 1, v49
	v_add_nc_u32_e32 v50, 8, v50
	;; [unrolled: 1-line block ×3, first 2 shown]
	v_cmp_lt_u32_e32 vcc_lo, 5, v49
	s_or_b32 s5, vcc_lo, s5
	s_waitcnt vmcnt(1) lgkmcnt(0)
	v_mul_f32_e32 v57, v54, v55
	v_mul_f32_e32 v55, v53, v55
	s_waitcnt vmcnt(0)
	v_fma_f32 v53, v53, v56, -v57
	v_fmac_f32_e32 v55, v54, v56
	v_add_f32_e32 v52, v52, v53
	v_add_f32_e32 v46, v46, v55
	s_andn2_b32 exec_lo, exec_lo, s5
	s_cbranch_execnz .LBB85_41
; %bb.42:
	s_or_b32 exec_lo, exec_lo, s5
	v_mov_b32_e32 v49, 0
	ds_read_b64 v[49:50], v49 offset:56
	s_waitcnt lgkmcnt(0)
	v_mul_f32_e32 v51, v46, v50
	v_mul_f32_e32 v50, v52, v50
	v_fma_f32 v51, v52, v49, -v51
	v_fmac_f32_e32 v50, v46, v49
	buffer_store_dword v51, off, s[0:3], 0 offset:56
	buffer_store_dword v50, off, s[0:3], 0 offset:60
.LBB85_43:
	s_or_b32 exec_lo, exec_lo, s4
	s_waitcnt_vscnt null, 0x0
	s_barrier
	buffer_gl0_inv
	s_clause 0x1
	buffer_load_dword v49, off, s[0:3], 0 offset:64
	buffer_load_dword v50, off, s[0:3], 0 offset:68
	s_mov_b32 s4, exec_lo
	s_waitcnt vmcnt(0)
	ds_write_b64 v48, v[49:50]
	s_waitcnt lgkmcnt(0)
	s_barrier
	buffer_gl0_inv
	v_cmpx_gt_u32_e32 8, v0
	s_cbranch_execz .LBB85_47
; %bb.44:
	v_add_nc_u32_e32 v49, -1, v0
	v_add_nc_u32_e32 v50, 0xb0, v47
	v_mov_b32_e32 v51, v47
	v_mov_b32_e32 v46, 0
	;; [unrolled: 1-line block ×3, first 2 shown]
	s_mov_b32 s5, 0
	.p2align	6
.LBB85_45:                              ; =>This Inner Loop Header: Depth=1
	s_clause 0x1
	buffer_load_dword v55, v51, s[0:3], 0 offen offset:4
	buffer_load_dword v56, v51, s[0:3], 0 offen
	ds_read_b64 v[53:54], v50
	v_add_nc_u32_e32 v49, 1, v49
	v_add_nc_u32_e32 v50, 8, v50
	;; [unrolled: 1-line block ×3, first 2 shown]
	v_cmp_lt_u32_e32 vcc_lo, 6, v49
	s_or_b32 s5, vcc_lo, s5
	s_waitcnt vmcnt(1) lgkmcnt(0)
	v_mul_f32_e32 v57, v54, v55
	v_mul_f32_e32 v55, v53, v55
	s_waitcnt vmcnt(0)
	v_fma_f32 v53, v53, v56, -v57
	v_fmac_f32_e32 v55, v54, v56
	v_add_f32_e32 v52, v52, v53
	v_add_f32_e32 v46, v46, v55
	s_andn2_b32 exec_lo, exec_lo, s5
	s_cbranch_execnz .LBB85_45
; %bb.46:
	s_or_b32 exec_lo, exec_lo, s5
	v_mov_b32_e32 v49, 0
	ds_read_b64 v[49:50], v49 offset:64
	s_waitcnt lgkmcnt(0)
	v_mul_f32_e32 v51, v46, v50
	v_mul_f32_e32 v50, v52, v50
	v_fma_f32 v51, v52, v49, -v51
	v_fmac_f32_e32 v50, v46, v49
	buffer_store_dword v51, off, s[0:3], 0 offset:64
	buffer_store_dword v50, off, s[0:3], 0 offset:68
.LBB85_47:
	s_or_b32 exec_lo, exec_lo, s4
	s_waitcnt_vscnt null, 0x0
	s_barrier
	buffer_gl0_inv
	s_clause 0x1
	buffer_load_dword v49, off, s[0:3], 0 offset:72
	buffer_load_dword v50, off, s[0:3], 0 offset:76
	s_mov_b32 s4, exec_lo
	s_waitcnt vmcnt(0)
	ds_write_b64 v48, v[49:50]
	s_waitcnt lgkmcnt(0)
	s_barrier
	buffer_gl0_inv
	v_cmpx_gt_u32_e32 9, v0
	s_cbranch_execz .LBB85_51
; %bb.48:
	v_add_nc_u32_e32 v49, -1, v0
	v_add_nc_u32_e32 v50, 0xb0, v47
	v_mov_b32_e32 v51, v47
	v_mov_b32_e32 v46, 0
	;; [unrolled: 1-line block ×3, first 2 shown]
	s_mov_b32 s5, 0
	.p2align	6
.LBB85_49:                              ; =>This Inner Loop Header: Depth=1
	s_clause 0x1
	buffer_load_dword v55, v51, s[0:3], 0 offen offset:4
	buffer_load_dword v56, v51, s[0:3], 0 offen
	ds_read_b64 v[53:54], v50
	v_add_nc_u32_e32 v49, 1, v49
	v_add_nc_u32_e32 v50, 8, v50
	;; [unrolled: 1-line block ×3, first 2 shown]
	v_cmp_lt_u32_e32 vcc_lo, 7, v49
	s_or_b32 s5, vcc_lo, s5
	s_waitcnt vmcnt(1) lgkmcnt(0)
	v_mul_f32_e32 v57, v54, v55
	v_mul_f32_e32 v55, v53, v55
	s_waitcnt vmcnt(0)
	v_fma_f32 v53, v53, v56, -v57
	v_fmac_f32_e32 v55, v54, v56
	v_add_f32_e32 v52, v52, v53
	v_add_f32_e32 v46, v46, v55
	s_andn2_b32 exec_lo, exec_lo, s5
	s_cbranch_execnz .LBB85_49
; %bb.50:
	s_or_b32 exec_lo, exec_lo, s5
	v_mov_b32_e32 v49, 0
	ds_read_b64 v[49:50], v49 offset:72
	s_waitcnt lgkmcnt(0)
	v_mul_f32_e32 v51, v46, v50
	v_mul_f32_e32 v50, v52, v50
	v_fma_f32 v51, v52, v49, -v51
	v_fmac_f32_e32 v50, v46, v49
	buffer_store_dword v51, off, s[0:3], 0 offset:72
	buffer_store_dword v50, off, s[0:3], 0 offset:76
.LBB85_51:
	s_or_b32 exec_lo, exec_lo, s4
	s_waitcnt_vscnt null, 0x0
	s_barrier
	buffer_gl0_inv
	s_clause 0x1
	buffer_load_dword v49, off, s[0:3], 0 offset:80
	buffer_load_dword v50, off, s[0:3], 0 offset:84
	s_mov_b32 s4, exec_lo
	s_waitcnt vmcnt(0)
	ds_write_b64 v48, v[49:50]
	s_waitcnt lgkmcnt(0)
	s_barrier
	buffer_gl0_inv
	v_cmpx_gt_u32_e32 10, v0
	s_cbranch_execz .LBB85_55
; %bb.52:
	v_add_nc_u32_e32 v49, -1, v0
	v_add_nc_u32_e32 v50, 0xb0, v47
	v_mov_b32_e32 v51, v47
	v_mov_b32_e32 v46, 0
	;; [unrolled: 1-line block ×3, first 2 shown]
	s_mov_b32 s5, 0
	.p2align	6
.LBB85_53:                              ; =>This Inner Loop Header: Depth=1
	s_clause 0x1
	buffer_load_dword v55, v51, s[0:3], 0 offen offset:4
	buffer_load_dword v56, v51, s[0:3], 0 offen
	ds_read_b64 v[53:54], v50
	v_add_nc_u32_e32 v49, 1, v49
	v_add_nc_u32_e32 v50, 8, v50
	;; [unrolled: 1-line block ×3, first 2 shown]
	v_cmp_lt_u32_e32 vcc_lo, 8, v49
	s_or_b32 s5, vcc_lo, s5
	s_waitcnt vmcnt(1) lgkmcnt(0)
	v_mul_f32_e32 v57, v54, v55
	v_mul_f32_e32 v55, v53, v55
	s_waitcnt vmcnt(0)
	v_fma_f32 v53, v53, v56, -v57
	v_fmac_f32_e32 v55, v54, v56
	v_add_f32_e32 v52, v52, v53
	v_add_f32_e32 v46, v46, v55
	s_andn2_b32 exec_lo, exec_lo, s5
	s_cbranch_execnz .LBB85_53
; %bb.54:
	s_or_b32 exec_lo, exec_lo, s5
	v_mov_b32_e32 v49, 0
	ds_read_b64 v[49:50], v49 offset:80
	s_waitcnt lgkmcnt(0)
	v_mul_f32_e32 v51, v46, v50
	v_mul_f32_e32 v50, v52, v50
	v_fma_f32 v51, v52, v49, -v51
	v_fmac_f32_e32 v50, v46, v49
	buffer_store_dword v51, off, s[0:3], 0 offset:80
	buffer_store_dword v50, off, s[0:3], 0 offset:84
.LBB85_55:
	s_or_b32 exec_lo, exec_lo, s4
	s_waitcnt_vscnt null, 0x0
	s_barrier
	buffer_gl0_inv
	s_clause 0x1
	buffer_load_dword v49, off, s[0:3], 0 offset:88
	buffer_load_dword v50, off, s[0:3], 0 offset:92
	s_mov_b32 s4, exec_lo
	s_waitcnt vmcnt(0)
	ds_write_b64 v48, v[49:50]
	s_waitcnt lgkmcnt(0)
	s_barrier
	buffer_gl0_inv
	v_cmpx_gt_u32_e32 11, v0
	s_cbranch_execz .LBB85_59
; %bb.56:
	v_add_nc_u32_e32 v49, -1, v0
	v_add_nc_u32_e32 v50, 0xb0, v47
	v_mov_b32_e32 v51, v47
	v_mov_b32_e32 v46, 0
	;; [unrolled: 1-line block ×3, first 2 shown]
	s_mov_b32 s5, 0
	.p2align	6
.LBB85_57:                              ; =>This Inner Loop Header: Depth=1
	s_clause 0x1
	buffer_load_dword v55, v51, s[0:3], 0 offen offset:4
	buffer_load_dword v56, v51, s[0:3], 0 offen
	ds_read_b64 v[53:54], v50
	v_add_nc_u32_e32 v49, 1, v49
	v_add_nc_u32_e32 v50, 8, v50
	;; [unrolled: 1-line block ×3, first 2 shown]
	v_cmp_lt_u32_e32 vcc_lo, 9, v49
	s_or_b32 s5, vcc_lo, s5
	s_waitcnt vmcnt(1) lgkmcnt(0)
	v_mul_f32_e32 v57, v54, v55
	v_mul_f32_e32 v55, v53, v55
	s_waitcnt vmcnt(0)
	v_fma_f32 v53, v53, v56, -v57
	v_fmac_f32_e32 v55, v54, v56
	v_add_f32_e32 v52, v52, v53
	v_add_f32_e32 v46, v46, v55
	s_andn2_b32 exec_lo, exec_lo, s5
	s_cbranch_execnz .LBB85_57
; %bb.58:
	s_or_b32 exec_lo, exec_lo, s5
	v_mov_b32_e32 v49, 0
	ds_read_b64 v[49:50], v49 offset:88
	s_waitcnt lgkmcnt(0)
	v_mul_f32_e32 v51, v46, v50
	v_mul_f32_e32 v50, v52, v50
	v_fma_f32 v51, v52, v49, -v51
	v_fmac_f32_e32 v50, v46, v49
	buffer_store_dword v51, off, s[0:3], 0 offset:88
	buffer_store_dword v50, off, s[0:3], 0 offset:92
.LBB85_59:
	s_or_b32 exec_lo, exec_lo, s4
	s_waitcnt_vscnt null, 0x0
	s_barrier
	buffer_gl0_inv
	s_clause 0x1
	buffer_load_dword v49, off, s[0:3], 0 offset:96
	buffer_load_dword v50, off, s[0:3], 0 offset:100
	s_mov_b32 s4, exec_lo
	s_waitcnt vmcnt(0)
	ds_write_b64 v48, v[49:50]
	s_waitcnt lgkmcnt(0)
	s_barrier
	buffer_gl0_inv
	v_cmpx_gt_u32_e32 12, v0
	s_cbranch_execz .LBB85_63
; %bb.60:
	v_add_nc_u32_e32 v49, -1, v0
	v_add_nc_u32_e32 v50, 0xb0, v47
	v_mov_b32_e32 v51, v47
	v_mov_b32_e32 v46, 0
	v_mov_b32_e32 v52, 0
	s_mov_b32 s5, 0
	.p2align	6
.LBB85_61:                              ; =>This Inner Loop Header: Depth=1
	s_clause 0x1
	buffer_load_dword v55, v51, s[0:3], 0 offen offset:4
	buffer_load_dword v56, v51, s[0:3], 0 offen
	ds_read_b64 v[53:54], v50
	v_add_nc_u32_e32 v49, 1, v49
	v_add_nc_u32_e32 v50, 8, v50
	;; [unrolled: 1-line block ×3, first 2 shown]
	v_cmp_lt_u32_e32 vcc_lo, 10, v49
	s_or_b32 s5, vcc_lo, s5
	s_waitcnt vmcnt(1) lgkmcnt(0)
	v_mul_f32_e32 v57, v54, v55
	v_mul_f32_e32 v55, v53, v55
	s_waitcnt vmcnt(0)
	v_fma_f32 v53, v53, v56, -v57
	v_fmac_f32_e32 v55, v54, v56
	v_add_f32_e32 v52, v52, v53
	v_add_f32_e32 v46, v46, v55
	s_andn2_b32 exec_lo, exec_lo, s5
	s_cbranch_execnz .LBB85_61
; %bb.62:
	s_or_b32 exec_lo, exec_lo, s5
	v_mov_b32_e32 v49, 0
	ds_read_b64 v[49:50], v49 offset:96
	s_waitcnt lgkmcnt(0)
	v_mul_f32_e32 v51, v46, v50
	v_mul_f32_e32 v50, v52, v50
	v_fma_f32 v51, v52, v49, -v51
	v_fmac_f32_e32 v50, v46, v49
	buffer_store_dword v51, off, s[0:3], 0 offset:96
	buffer_store_dword v50, off, s[0:3], 0 offset:100
.LBB85_63:
	s_or_b32 exec_lo, exec_lo, s4
	s_waitcnt_vscnt null, 0x0
	s_barrier
	buffer_gl0_inv
	s_clause 0x1
	buffer_load_dword v49, off, s[0:3], 0 offset:104
	buffer_load_dword v50, off, s[0:3], 0 offset:108
	s_mov_b32 s4, exec_lo
	s_waitcnt vmcnt(0)
	ds_write_b64 v48, v[49:50]
	s_waitcnt lgkmcnt(0)
	s_barrier
	buffer_gl0_inv
	v_cmpx_gt_u32_e32 13, v0
	s_cbranch_execz .LBB85_67
; %bb.64:
	v_add_nc_u32_e32 v49, -1, v0
	v_add_nc_u32_e32 v50, 0xb0, v47
	v_mov_b32_e32 v51, v47
	v_mov_b32_e32 v46, 0
	v_mov_b32_e32 v52, 0
	s_mov_b32 s5, 0
	.p2align	6
.LBB85_65:                              ; =>This Inner Loop Header: Depth=1
	s_clause 0x1
	buffer_load_dword v55, v51, s[0:3], 0 offen offset:4
	buffer_load_dword v56, v51, s[0:3], 0 offen
	ds_read_b64 v[53:54], v50
	v_add_nc_u32_e32 v49, 1, v49
	v_add_nc_u32_e32 v50, 8, v50
	v_add_nc_u32_e32 v51, 8, v51
	v_cmp_lt_u32_e32 vcc_lo, 11, v49
	s_or_b32 s5, vcc_lo, s5
	s_waitcnt vmcnt(1) lgkmcnt(0)
	v_mul_f32_e32 v57, v54, v55
	v_mul_f32_e32 v55, v53, v55
	s_waitcnt vmcnt(0)
	v_fma_f32 v53, v53, v56, -v57
	v_fmac_f32_e32 v55, v54, v56
	v_add_f32_e32 v52, v52, v53
	v_add_f32_e32 v46, v46, v55
	s_andn2_b32 exec_lo, exec_lo, s5
	s_cbranch_execnz .LBB85_65
; %bb.66:
	s_or_b32 exec_lo, exec_lo, s5
	v_mov_b32_e32 v49, 0
	ds_read_b64 v[49:50], v49 offset:104
	s_waitcnt lgkmcnt(0)
	v_mul_f32_e32 v51, v46, v50
	v_mul_f32_e32 v50, v52, v50
	v_fma_f32 v51, v52, v49, -v51
	v_fmac_f32_e32 v50, v46, v49
	buffer_store_dword v51, off, s[0:3], 0 offset:104
	buffer_store_dword v50, off, s[0:3], 0 offset:108
.LBB85_67:
	s_or_b32 exec_lo, exec_lo, s4
	s_waitcnt_vscnt null, 0x0
	s_barrier
	buffer_gl0_inv
	s_clause 0x1
	buffer_load_dword v49, off, s[0:3], 0 offset:112
	buffer_load_dword v50, off, s[0:3], 0 offset:116
	s_mov_b32 s4, exec_lo
	s_waitcnt vmcnt(0)
	ds_write_b64 v48, v[49:50]
	s_waitcnt lgkmcnt(0)
	s_barrier
	buffer_gl0_inv
	v_cmpx_gt_u32_e32 14, v0
	s_cbranch_execz .LBB85_71
; %bb.68:
	v_add_nc_u32_e32 v49, -1, v0
	v_add_nc_u32_e32 v50, 0xb0, v47
	v_mov_b32_e32 v51, v47
	v_mov_b32_e32 v46, 0
	;; [unrolled: 1-line block ×3, first 2 shown]
	s_mov_b32 s5, 0
	.p2align	6
.LBB85_69:                              ; =>This Inner Loop Header: Depth=1
	s_clause 0x1
	buffer_load_dword v55, v51, s[0:3], 0 offen offset:4
	buffer_load_dword v56, v51, s[0:3], 0 offen
	ds_read_b64 v[53:54], v50
	v_add_nc_u32_e32 v49, 1, v49
	v_add_nc_u32_e32 v50, 8, v50
	;; [unrolled: 1-line block ×3, first 2 shown]
	v_cmp_lt_u32_e32 vcc_lo, 12, v49
	s_or_b32 s5, vcc_lo, s5
	s_waitcnt vmcnt(1) lgkmcnt(0)
	v_mul_f32_e32 v57, v54, v55
	v_mul_f32_e32 v55, v53, v55
	s_waitcnt vmcnt(0)
	v_fma_f32 v53, v53, v56, -v57
	v_fmac_f32_e32 v55, v54, v56
	v_add_f32_e32 v52, v52, v53
	v_add_f32_e32 v46, v46, v55
	s_andn2_b32 exec_lo, exec_lo, s5
	s_cbranch_execnz .LBB85_69
; %bb.70:
	s_or_b32 exec_lo, exec_lo, s5
	v_mov_b32_e32 v49, 0
	ds_read_b64 v[49:50], v49 offset:112
	s_waitcnt lgkmcnt(0)
	v_mul_f32_e32 v51, v46, v50
	v_mul_f32_e32 v50, v52, v50
	v_fma_f32 v51, v52, v49, -v51
	v_fmac_f32_e32 v50, v46, v49
	buffer_store_dword v51, off, s[0:3], 0 offset:112
	buffer_store_dword v50, off, s[0:3], 0 offset:116
.LBB85_71:
	s_or_b32 exec_lo, exec_lo, s4
	s_waitcnt_vscnt null, 0x0
	s_barrier
	buffer_gl0_inv
	s_clause 0x1
	buffer_load_dword v49, off, s[0:3], 0 offset:120
	buffer_load_dword v50, off, s[0:3], 0 offset:124
	s_mov_b32 s4, exec_lo
	s_waitcnt vmcnt(0)
	ds_write_b64 v48, v[49:50]
	s_waitcnt lgkmcnt(0)
	s_barrier
	buffer_gl0_inv
	v_cmpx_gt_u32_e32 15, v0
	s_cbranch_execz .LBB85_75
; %bb.72:
	v_add_nc_u32_e32 v49, -1, v0
	v_add_nc_u32_e32 v50, 0xb0, v47
	v_mov_b32_e32 v51, v47
	v_mov_b32_e32 v46, 0
	;; [unrolled: 1-line block ×3, first 2 shown]
	s_mov_b32 s5, 0
	.p2align	6
.LBB85_73:                              ; =>This Inner Loop Header: Depth=1
	s_clause 0x1
	buffer_load_dword v55, v51, s[0:3], 0 offen offset:4
	buffer_load_dword v56, v51, s[0:3], 0 offen
	ds_read_b64 v[53:54], v50
	v_add_nc_u32_e32 v49, 1, v49
	v_add_nc_u32_e32 v50, 8, v50
	;; [unrolled: 1-line block ×3, first 2 shown]
	v_cmp_lt_u32_e32 vcc_lo, 13, v49
	s_or_b32 s5, vcc_lo, s5
	s_waitcnt vmcnt(1) lgkmcnt(0)
	v_mul_f32_e32 v57, v54, v55
	v_mul_f32_e32 v55, v53, v55
	s_waitcnt vmcnt(0)
	v_fma_f32 v53, v53, v56, -v57
	v_fmac_f32_e32 v55, v54, v56
	v_add_f32_e32 v52, v52, v53
	v_add_f32_e32 v46, v46, v55
	s_andn2_b32 exec_lo, exec_lo, s5
	s_cbranch_execnz .LBB85_73
; %bb.74:
	s_or_b32 exec_lo, exec_lo, s5
	v_mov_b32_e32 v49, 0
	ds_read_b64 v[49:50], v49 offset:120
	s_waitcnt lgkmcnt(0)
	v_mul_f32_e32 v51, v46, v50
	v_mul_f32_e32 v50, v52, v50
	v_fma_f32 v51, v52, v49, -v51
	v_fmac_f32_e32 v50, v46, v49
	buffer_store_dword v51, off, s[0:3], 0 offset:120
	buffer_store_dword v50, off, s[0:3], 0 offset:124
.LBB85_75:
	s_or_b32 exec_lo, exec_lo, s4
	s_waitcnt_vscnt null, 0x0
	s_barrier
	buffer_gl0_inv
	s_clause 0x1
	buffer_load_dword v49, off, s[0:3], 0 offset:128
	buffer_load_dword v50, off, s[0:3], 0 offset:132
	s_mov_b32 s4, exec_lo
	s_waitcnt vmcnt(0)
	ds_write_b64 v48, v[49:50]
	s_waitcnt lgkmcnt(0)
	s_barrier
	buffer_gl0_inv
	v_cmpx_gt_u32_e32 16, v0
	s_cbranch_execz .LBB85_79
; %bb.76:
	v_add_nc_u32_e32 v49, -1, v0
	v_add_nc_u32_e32 v50, 0xb0, v47
	v_mov_b32_e32 v51, v47
	v_mov_b32_e32 v46, 0
	;; [unrolled: 1-line block ×3, first 2 shown]
	s_mov_b32 s5, 0
	.p2align	6
.LBB85_77:                              ; =>This Inner Loop Header: Depth=1
	s_clause 0x1
	buffer_load_dword v55, v51, s[0:3], 0 offen offset:4
	buffer_load_dword v56, v51, s[0:3], 0 offen
	ds_read_b64 v[53:54], v50
	v_add_nc_u32_e32 v49, 1, v49
	v_add_nc_u32_e32 v50, 8, v50
	;; [unrolled: 1-line block ×3, first 2 shown]
	v_cmp_lt_u32_e32 vcc_lo, 14, v49
	s_or_b32 s5, vcc_lo, s5
	s_waitcnt vmcnt(1) lgkmcnt(0)
	v_mul_f32_e32 v57, v54, v55
	v_mul_f32_e32 v55, v53, v55
	s_waitcnt vmcnt(0)
	v_fma_f32 v53, v53, v56, -v57
	v_fmac_f32_e32 v55, v54, v56
	v_add_f32_e32 v52, v52, v53
	v_add_f32_e32 v46, v46, v55
	s_andn2_b32 exec_lo, exec_lo, s5
	s_cbranch_execnz .LBB85_77
; %bb.78:
	s_or_b32 exec_lo, exec_lo, s5
	v_mov_b32_e32 v49, 0
	ds_read_b64 v[49:50], v49 offset:128
	s_waitcnt lgkmcnt(0)
	v_mul_f32_e32 v51, v46, v50
	v_mul_f32_e32 v50, v52, v50
	v_fma_f32 v51, v52, v49, -v51
	v_fmac_f32_e32 v50, v46, v49
	buffer_store_dword v51, off, s[0:3], 0 offset:128
	buffer_store_dword v50, off, s[0:3], 0 offset:132
.LBB85_79:
	s_or_b32 exec_lo, exec_lo, s4
	s_waitcnt_vscnt null, 0x0
	s_barrier
	buffer_gl0_inv
	s_clause 0x1
	buffer_load_dword v49, off, s[0:3], 0 offset:136
	buffer_load_dword v50, off, s[0:3], 0 offset:140
	s_mov_b32 s4, exec_lo
	s_waitcnt vmcnt(0)
	ds_write_b64 v48, v[49:50]
	s_waitcnt lgkmcnt(0)
	s_barrier
	buffer_gl0_inv
	v_cmpx_gt_u32_e32 17, v0
	s_cbranch_execz .LBB85_83
; %bb.80:
	v_add_nc_u32_e32 v49, -1, v0
	v_add_nc_u32_e32 v50, 0xb0, v47
	v_mov_b32_e32 v51, v47
	v_mov_b32_e32 v46, 0
	;; [unrolled: 1-line block ×3, first 2 shown]
	s_mov_b32 s5, 0
	.p2align	6
.LBB85_81:                              ; =>This Inner Loop Header: Depth=1
	s_clause 0x1
	buffer_load_dword v55, v51, s[0:3], 0 offen offset:4
	buffer_load_dword v56, v51, s[0:3], 0 offen
	ds_read_b64 v[53:54], v50
	v_add_nc_u32_e32 v49, 1, v49
	v_add_nc_u32_e32 v50, 8, v50
	;; [unrolled: 1-line block ×3, first 2 shown]
	v_cmp_lt_u32_e32 vcc_lo, 15, v49
	s_or_b32 s5, vcc_lo, s5
	s_waitcnt vmcnt(1) lgkmcnt(0)
	v_mul_f32_e32 v57, v54, v55
	v_mul_f32_e32 v55, v53, v55
	s_waitcnt vmcnt(0)
	v_fma_f32 v53, v53, v56, -v57
	v_fmac_f32_e32 v55, v54, v56
	v_add_f32_e32 v52, v52, v53
	v_add_f32_e32 v46, v46, v55
	s_andn2_b32 exec_lo, exec_lo, s5
	s_cbranch_execnz .LBB85_81
; %bb.82:
	s_or_b32 exec_lo, exec_lo, s5
	v_mov_b32_e32 v49, 0
	ds_read_b64 v[49:50], v49 offset:136
	s_waitcnt lgkmcnt(0)
	v_mul_f32_e32 v51, v46, v50
	v_mul_f32_e32 v50, v52, v50
	v_fma_f32 v51, v52, v49, -v51
	v_fmac_f32_e32 v50, v46, v49
	buffer_store_dword v51, off, s[0:3], 0 offset:136
	buffer_store_dword v50, off, s[0:3], 0 offset:140
.LBB85_83:
	s_or_b32 exec_lo, exec_lo, s4
	s_waitcnt_vscnt null, 0x0
	s_barrier
	buffer_gl0_inv
	s_clause 0x1
	buffer_load_dword v49, off, s[0:3], 0 offset:144
	buffer_load_dword v50, off, s[0:3], 0 offset:148
	s_mov_b32 s4, exec_lo
	s_waitcnt vmcnt(0)
	ds_write_b64 v48, v[49:50]
	s_waitcnt lgkmcnt(0)
	s_barrier
	buffer_gl0_inv
	v_cmpx_gt_u32_e32 18, v0
	s_cbranch_execz .LBB85_87
; %bb.84:
	v_add_nc_u32_e32 v49, -1, v0
	v_add_nc_u32_e32 v50, 0xb0, v47
	v_mov_b32_e32 v51, v47
	v_mov_b32_e32 v46, 0
	;; [unrolled: 1-line block ×3, first 2 shown]
	s_mov_b32 s5, 0
	.p2align	6
.LBB85_85:                              ; =>This Inner Loop Header: Depth=1
	s_clause 0x1
	buffer_load_dword v55, v51, s[0:3], 0 offen offset:4
	buffer_load_dword v56, v51, s[0:3], 0 offen
	ds_read_b64 v[53:54], v50
	v_add_nc_u32_e32 v49, 1, v49
	v_add_nc_u32_e32 v50, 8, v50
	v_add_nc_u32_e32 v51, 8, v51
	v_cmp_lt_u32_e32 vcc_lo, 16, v49
	s_or_b32 s5, vcc_lo, s5
	s_waitcnt vmcnt(1) lgkmcnt(0)
	v_mul_f32_e32 v57, v54, v55
	v_mul_f32_e32 v55, v53, v55
	s_waitcnt vmcnt(0)
	v_fma_f32 v53, v53, v56, -v57
	v_fmac_f32_e32 v55, v54, v56
	v_add_f32_e32 v52, v52, v53
	v_add_f32_e32 v46, v46, v55
	s_andn2_b32 exec_lo, exec_lo, s5
	s_cbranch_execnz .LBB85_85
; %bb.86:
	s_or_b32 exec_lo, exec_lo, s5
	v_mov_b32_e32 v49, 0
	ds_read_b64 v[49:50], v49 offset:144
	s_waitcnt lgkmcnt(0)
	v_mul_f32_e32 v51, v46, v50
	v_mul_f32_e32 v50, v52, v50
	v_fma_f32 v51, v52, v49, -v51
	v_fmac_f32_e32 v50, v46, v49
	buffer_store_dword v51, off, s[0:3], 0 offset:144
	buffer_store_dword v50, off, s[0:3], 0 offset:148
.LBB85_87:
	s_or_b32 exec_lo, exec_lo, s4
	s_waitcnt_vscnt null, 0x0
	s_barrier
	buffer_gl0_inv
	s_clause 0x1
	buffer_load_dword v49, off, s[0:3], 0 offset:152
	buffer_load_dword v50, off, s[0:3], 0 offset:156
	s_mov_b32 s4, exec_lo
	s_waitcnt vmcnt(0)
	ds_write_b64 v48, v[49:50]
	s_waitcnt lgkmcnt(0)
	s_barrier
	buffer_gl0_inv
	v_cmpx_gt_u32_e32 19, v0
	s_cbranch_execz .LBB85_91
; %bb.88:
	v_add_nc_u32_e32 v49, -1, v0
	v_add_nc_u32_e32 v50, 0xb0, v47
	v_mov_b32_e32 v51, v47
	v_mov_b32_e32 v46, 0
	;; [unrolled: 1-line block ×3, first 2 shown]
	s_mov_b32 s5, 0
	.p2align	6
.LBB85_89:                              ; =>This Inner Loop Header: Depth=1
	s_clause 0x1
	buffer_load_dword v55, v51, s[0:3], 0 offen offset:4
	buffer_load_dword v56, v51, s[0:3], 0 offen
	ds_read_b64 v[53:54], v50
	v_add_nc_u32_e32 v49, 1, v49
	v_add_nc_u32_e32 v50, 8, v50
	;; [unrolled: 1-line block ×3, first 2 shown]
	v_cmp_lt_u32_e32 vcc_lo, 17, v49
	s_or_b32 s5, vcc_lo, s5
	s_waitcnt vmcnt(1) lgkmcnt(0)
	v_mul_f32_e32 v57, v54, v55
	v_mul_f32_e32 v55, v53, v55
	s_waitcnt vmcnt(0)
	v_fma_f32 v53, v53, v56, -v57
	v_fmac_f32_e32 v55, v54, v56
	v_add_f32_e32 v52, v52, v53
	v_add_f32_e32 v46, v46, v55
	s_andn2_b32 exec_lo, exec_lo, s5
	s_cbranch_execnz .LBB85_89
; %bb.90:
	s_or_b32 exec_lo, exec_lo, s5
	v_mov_b32_e32 v49, 0
	ds_read_b64 v[49:50], v49 offset:152
	s_waitcnt lgkmcnt(0)
	v_mul_f32_e32 v51, v46, v50
	v_mul_f32_e32 v50, v52, v50
	v_fma_f32 v51, v52, v49, -v51
	v_fmac_f32_e32 v50, v46, v49
	buffer_store_dword v51, off, s[0:3], 0 offset:152
	buffer_store_dword v50, off, s[0:3], 0 offset:156
.LBB85_91:
	s_or_b32 exec_lo, exec_lo, s4
	s_waitcnt_vscnt null, 0x0
	s_barrier
	buffer_gl0_inv
	s_clause 0x1
	buffer_load_dword v49, off, s[0:3], 0 offset:160
	buffer_load_dword v50, off, s[0:3], 0 offset:164
	s_mov_b32 s4, exec_lo
	s_waitcnt vmcnt(0)
	ds_write_b64 v48, v[49:50]
	s_waitcnt lgkmcnt(0)
	s_barrier
	buffer_gl0_inv
	v_cmpx_gt_u32_e32 20, v0
	s_cbranch_execz .LBB85_95
; %bb.92:
	v_add_nc_u32_e32 v49, -1, v0
	v_add_nc_u32_e32 v50, 0xb0, v47
	v_mov_b32_e32 v51, v47
	v_mov_b32_e32 v46, 0
	;; [unrolled: 1-line block ×3, first 2 shown]
	s_mov_b32 s5, 0
	.p2align	6
.LBB85_93:                              ; =>This Inner Loop Header: Depth=1
	s_clause 0x1
	buffer_load_dword v55, v51, s[0:3], 0 offen offset:4
	buffer_load_dword v56, v51, s[0:3], 0 offen
	ds_read_b64 v[53:54], v50
	v_add_nc_u32_e32 v49, 1, v49
	v_add_nc_u32_e32 v50, 8, v50
	;; [unrolled: 1-line block ×3, first 2 shown]
	v_cmp_lt_u32_e32 vcc_lo, 18, v49
	s_or_b32 s5, vcc_lo, s5
	s_waitcnt vmcnt(1) lgkmcnt(0)
	v_mul_f32_e32 v57, v54, v55
	v_mul_f32_e32 v55, v53, v55
	s_waitcnt vmcnt(0)
	v_fma_f32 v53, v53, v56, -v57
	v_fmac_f32_e32 v55, v54, v56
	v_add_f32_e32 v52, v52, v53
	v_add_f32_e32 v46, v46, v55
	s_andn2_b32 exec_lo, exec_lo, s5
	s_cbranch_execnz .LBB85_93
; %bb.94:
	s_or_b32 exec_lo, exec_lo, s5
	v_mov_b32_e32 v49, 0
	ds_read_b64 v[49:50], v49 offset:160
	s_waitcnt lgkmcnt(0)
	v_mul_f32_e32 v51, v46, v50
	v_mul_f32_e32 v50, v52, v50
	v_fma_f32 v51, v52, v49, -v51
	v_fmac_f32_e32 v50, v46, v49
	buffer_store_dword v51, off, s[0:3], 0 offset:160
	buffer_store_dword v50, off, s[0:3], 0 offset:164
.LBB85_95:
	s_or_b32 exec_lo, exec_lo, s4
	s_waitcnt_vscnt null, 0x0
	s_barrier
	buffer_gl0_inv
	s_clause 0x1
	buffer_load_dword v49, off, s[0:3], 0 offset:168
	buffer_load_dword v50, off, s[0:3], 0 offset:172
	s_mov_b32 s4, exec_lo
	s_waitcnt vmcnt(0)
	ds_write_b64 v48, v[49:50]
	s_waitcnt lgkmcnt(0)
	s_barrier
	buffer_gl0_inv
	v_cmpx_ne_u32_e32 21, v0
	s_cbranch_execz .LBB85_99
; %bb.96:
	v_mov_b32_e32 v46, 0
	v_mov_b32_e32 v49, 0
	s_mov_b32 s5, 0
	.p2align	6
.LBB85_97:                              ; =>This Inner Loop Header: Depth=1
	s_clause 0x1
	buffer_load_dword v52, v47, s[0:3], 0 offen offset:4
	buffer_load_dword v53, v47, s[0:3], 0 offen
	ds_read_b64 v[50:51], v48
	v_add_nc_u32_e32 v45, 1, v45
	v_add_nc_u32_e32 v48, 8, v48
	;; [unrolled: 1-line block ×3, first 2 shown]
	v_cmp_lt_u32_e32 vcc_lo, 19, v45
	s_or_b32 s5, vcc_lo, s5
	s_waitcnt vmcnt(1) lgkmcnt(0)
	v_mul_f32_e32 v54, v51, v52
	v_mul_f32_e32 v52, v50, v52
	s_waitcnt vmcnt(0)
	v_fma_f32 v50, v50, v53, -v54
	v_fmac_f32_e32 v52, v51, v53
	v_add_f32_e32 v49, v49, v50
	v_add_f32_e32 v46, v46, v52
	s_andn2_b32 exec_lo, exec_lo, s5
	s_cbranch_execnz .LBB85_97
; %bb.98:
	s_or_b32 exec_lo, exec_lo, s5
	v_mov_b32_e32 v45, 0
	ds_read_b64 v[47:48], v45 offset:168
	s_waitcnt lgkmcnt(0)
	v_mul_f32_e32 v45, v46, v48
	v_mul_f32_e32 v48, v49, v48
	v_fma_f32 v45, v49, v47, -v45
	v_fmac_f32_e32 v48, v46, v47
	buffer_store_dword v45, off, s[0:3], 0 offset:168
	buffer_store_dword v48, off, s[0:3], 0 offset:172
.LBB85_99:
	s_or_b32 exec_lo, exec_lo, s4
	s_mov_b32 s5, -1
	s_waitcnt_vscnt null, 0x0
	s_barrier
	buffer_gl0_inv
.LBB85_100:
	s_and_b32 vcc_lo, exec_lo, s5
	s_cbranch_vccz .LBB85_102
; %bb.101:
	s_lshl_b64 s[4:5], s[6:7], 2
	v_mov_b32_e32 v45, 0
	s_add_u32 s4, s10, s4
	s_addc_u32 s5, s11, s5
	global_load_dword v45, v45, s[4:5]
	s_waitcnt vmcnt(0)
	v_cmp_ne_u32_e32 vcc_lo, 0, v45
	s_cbranch_vccz .LBB85_103
.LBB85_102:
	s_endpgm
.LBB85_103:
	v_lshl_add_u32 v45, v0, 3, 0xb0
	s_mov_b32 s4, exec_lo
	v_cmpx_eq_u32_e32 21, v0
	s_cbranch_execz .LBB85_105
; %bb.104:
	s_clause 0x1
	buffer_load_dword v46, off, s[0:3], 0 offset:160
	buffer_load_dword v47, off, s[0:3], 0 offset:164
	v_mov_b32_e32 v48, 0
	buffer_store_dword v48, off, s[0:3], 0 offset:160
	buffer_store_dword v48, off, s[0:3], 0 offset:164
	s_waitcnt vmcnt(0)
	ds_write_b64 v45, v[46:47]
.LBB85_105:
	s_or_b32 exec_lo, exec_lo, s4
	s_waitcnt lgkmcnt(0)
	s_waitcnt_vscnt null, 0x0
	s_barrier
	buffer_gl0_inv
	s_clause 0x3
	buffer_load_dword v49, off, s[0:3], 0 offset:172
	buffer_load_dword v50, off, s[0:3], 0 offset:168
	;; [unrolled: 1-line block ×4, first 2 shown]
	v_mov_b32_e32 v46, 0
	s_mov_b32 s4, exec_lo
	ds_read_b64 v[47:48], v46 offset:344
	s_waitcnt vmcnt(3) lgkmcnt(0)
	v_mul_f32_e32 v53, v48, v49
	v_mul_f32_e32 v49, v47, v49
	s_waitcnt vmcnt(2)
	v_fma_f32 v47, v47, v50, -v53
	v_fmac_f32_e32 v49, v48, v50
	v_add_f32_e32 v47, 0, v47
	v_add_f32_e32 v48, 0, v49
	s_waitcnt vmcnt(1)
	v_sub_f32_e32 v47, v51, v47
	s_waitcnt vmcnt(0)
	v_sub_f32_e32 v48, v52, v48
	buffer_store_dword v47, off, s[0:3], 0 offset:160
	buffer_store_dword v48, off, s[0:3], 0 offset:164
	v_cmpx_lt_u32_e32 19, v0
	s_cbranch_execz .LBB85_107
; %bb.106:
	s_clause 0x1
	buffer_load_dword v47, off, s[0:3], 0 offset:152
	buffer_load_dword v48, off, s[0:3], 0 offset:156
	buffer_store_dword v46, off, s[0:3], 0 offset:152
	buffer_store_dword v46, off, s[0:3], 0 offset:156
	s_waitcnt vmcnt(0)
	ds_write_b64 v45, v[47:48]
.LBB85_107:
	s_or_b32 exec_lo, exec_lo, s4
	s_waitcnt lgkmcnt(0)
	s_waitcnt_vscnt null, 0x0
	s_barrier
	buffer_gl0_inv
	s_clause 0x5
	buffer_load_dword v50, off, s[0:3], 0 offset:164
	buffer_load_dword v51, off, s[0:3], 0 offset:172
	;; [unrolled: 1-line block ×6, first 2 shown]
	ds_read_b128 v[46:49], v46 offset:336
	s_mov_b32 s4, exec_lo
	s_waitcnt vmcnt(5) lgkmcnt(0)
	v_mul_f32_e32 v56, v47, v50
	v_mul_f32_e32 v50, v46, v50
	s_waitcnt vmcnt(4)
	v_mul_f32_e32 v57, v48, v51
	v_mul_f32_e32 v51, v49, v51
	s_waitcnt vmcnt(3)
	v_fma_f32 v46, v46, v52, -v56
	v_fmac_f32_e32 v50, v47, v52
	s_waitcnt vmcnt(2)
	v_fmac_f32_e32 v57, v49, v53
	v_fma_f32 v47, v48, v53, -v51
	v_add_f32_e32 v46, 0, v46
	v_add_f32_e32 v48, 0, v50
	;; [unrolled: 1-line block ×4, first 2 shown]
	s_waitcnt vmcnt(1)
	v_sub_f32_e32 v46, v54, v46
	s_waitcnt vmcnt(0)
	v_sub_f32_e32 v47, v55, v47
	buffer_store_dword v46, off, s[0:3], 0 offset:152
	buffer_store_dword v47, off, s[0:3], 0 offset:156
	v_cmpx_lt_u32_e32 18, v0
	s_cbranch_execz .LBB85_109
; %bb.108:
	s_clause 0x1
	buffer_load_dword v46, off, s[0:3], 0 offset:144
	buffer_load_dword v47, off, s[0:3], 0 offset:148
	v_mov_b32_e32 v48, 0
	buffer_store_dword v48, off, s[0:3], 0 offset:144
	buffer_store_dword v48, off, s[0:3], 0 offset:148
	s_waitcnt vmcnt(0)
	ds_write_b64 v45, v[46:47]
.LBB85_109:
	s_or_b32 exec_lo, exec_lo, s4
	s_waitcnt lgkmcnt(0)
	s_waitcnt_vscnt null, 0x0
	s_barrier
	buffer_gl0_inv
	s_clause 0x7
	buffer_load_dword v53, off, s[0:3], 0 offset:156
	buffer_load_dword v54, off, s[0:3], 0 offset:164
	;; [unrolled: 1-line block ×8, first 2 shown]
	v_mov_b32_e32 v46, 0
	ds_read2_b64 v[47:50], v46 offset0:41 offset1:42
	ds_read_b64 v[51:52], v46 offset:344
	s_mov_b32 s4, exec_lo
	s_waitcnt vmcnt(7) lgkmcnt(1)
	v_mul_f32_e32 v61, v48, v53
	v_mul_f32_e32 v53, v47, v53
	s_waitcnt vmcnt(6)
	v_mul_f32_e32 v62, v49, v54
	v_mul_f32_e32 v54, v50, v54
	s_waitcnt vmcnt(5) lgkmcnt(0)
	v_mul_f32_e32 v63, v51, v55
	s_waitcnt vmcnt(4)
	v_fma_f32 v47, v47, v56, -v61
	v_fmac_f32_e32 v53, v48, v56
	v_mul_f32_e32 v48, v52, v55
	s_waitcnt vmcnt(3)
	v_fma_f32 v49, v49, v57, -v54
	v_fmac_f32_e32 v62, v50, v57
	v_add_f32_e32 v47, 0, v47
	v_add_f32_e32 v50, 0, v53
	s_waitcnt vmcnt(2)
	v_fma_f32 v48, v51, v58, -v48
	v_fmac_f32_e32 v63, v52, v58
	v_add_f32_e32 v47, v47, v49
	v_add_f32_e32 v49, v50, v62
	;; [unrolled: 1-line block ×4, first 2 shown]
	s_waitcnt vmcnt(1)
	v_sub_f32_e32 v47, v59, v47
	s_waitcnt vmcnt(0)
	v_sub_f32_e32 v48, v60, v48
	buffer_store_dword v47, off, s[0:3], 0 offset:144
	buffer_store_dword v48, off, s[0:3], 0 offset:148
	v_cmpx_lt_u32_e32 17, v0
	s_cbranch_execz .LBB85_111
; %bb.110:
	s_clause 0x1
	buffer_load_dword v47, off, s[0:3], 0 offset:136
	buffer_load_dword v48, off, s[0:3], 0 offset:140
	buffer_store_dword v46, off, s[0:3], 0 offset:136
	buffer_store_dword v46, off, s[0:3], 0 offset:140
	s_waitcnt vmcnt(0)
	ds_write_b64 v45, v[47:48]
.LBB85_111:
	s_or_b32 exec_lo, exec_lo, s4
	s_waitcnt lgkmcnt(0)
	s_waitcnt_vscnt null, 0x0
	s_barrier
	buffer_gl0_inv
	s_clause 0x9
	buffer_load_dword v55, off, s[0:3], 0 offset:148
	buffer_load_dword v56, off, s[0:3], 0 offset:156
	;; [unrolled: 1-line block ×10, first 2 shown]
	ds_read_b128 v[47:50], v46 offset:320
	ds_read_b128 v[51:54], v46 offset:336
	s_mov_b32 s4, exec_lo
	s_waitcnt vmcnt(9) lgkmcnt(1)
	v_mul_f32_e32 v46, v47, v55
	v_mul_f32_e32 v55, v48, v55
	s_waitcnt vmcnt(8)
	v_mul_f32_e32 v65, v49, v56
	v_mul_f32_e32 v56, v50, v56
	s_waitcnt vmcnt(7) lgkmcnt(0)
	v_mul_f32_e32 v66, v51, v57
	s_waitcnt vmcnt(5)
	v_fmac_f32_e32 v46, v48, v59
	v_fma_f32 v47, v47, v59, -v55
	v_mul_f32_e32 v48, v52, v57
	s_waitcnt vmcnt(4)
	v_fma_f32 v49, v49, v60, -v56
	v_fmac_f32_e32 v65, v50, v60
	v_add_f32_e32 v46, 0, v46
	v_add_f32_e32 v47, 0, v47
	v_mul_f32_e32 v50, v54, v58
	s_waitcnt vmcnt(3)
	v_fma_f32 v48, v51, v61, -v48
	v_mul_f32_e32 v67, v53, v58
	v_fmac_f32_e32 v66, v52, v61
	v_add_f32_e32 v47, v47, v49
	v_add_f32_e32 v46, v46, v65
	s_waitcnt vmcnt(2)
	v_fma_f32 v49, v53, v62, -v50
	v_fmac_f32_e32 v67, v54, v62
	v_add_f32_e32 v47, v47, v48
	v_add_f32_e32 v46, v46, v66
	;; [unrolled: 1-line block ×4, first 2 shown]
	s_waitcnt vmcnt(1)
	v_sub_f32_e32 v47, v63, v47
	s_waitcnt vmcnt(0)
	v_sub_f32_e32 v46, v64, v46
	buffer_store_dword v47, off, s[0:3], 0 offset:136
	buffer_store_dword v46, off, s[0:3], 0 offset:140
	v_cmpx_lt_u32_e32 16, v0
	s_cbranch_execz .LBB85_113
; %bb.112:
	s_clause 0x1
	buffer_load_dword v46, off, s[0:3], 0 offset:128
	buffer_load_dword v47, off, s[0:3], 0 offset:132
	v_mov_b32_e32 v48, 0
	buffer_store_dword v48, off, s[0:3], 0 offset:128
	buffer_store_dword v48, off, s[0:3], 0 offset:132
	s_waitcnt vmcnt(0)
	ds_write_b64 v45, v[46:47]
.LBB85_113:
	s_or_b32 exec_lo, exec_lo, s4
	s_waitcnt lgkmcnt(0)
	s_waitcnt_vscnt null, 0x0
	s_barrier
	buffer_gl0_inv
	s_clause 0xb
	buffer_load_dword v57, off, s[0:3], 0 offset:140
	buffer_load_dword v58, off, s[0:3], 0 offset:148
	;; [unrolled: 1-line block ×12, first 2 shown]
	v_mov_b32_e32 v46, 0
	ds_read2_b64 v[47:50], v46 offset0:39 offset1:40
	ds_read2_b64 v[51:54], v46 offset0:41 offset1:42
	ds_read_b64 v[55:56], v46 offset:344
	s_mov_b32 s4, exec_lo
	s_waitcnt vmcnt(11) lgkmcnt(2)
	v_mul_f32_e32 v69, v47, v57
	v_mul_f32_e32 v57, v48, v57
	s_waitcnt vmcnt(10)
	v_mul_f32_e32 v70, v49, v58
	v_mul_f32_e32 v58, v50, v58
	s_waitcnt vmcnt(9) lgkmcnt(1)
	v_mul_f32_e32 v71, v51, v59
	s_waitcnt vmcnt(6)
	v_fmac_f32_e32 v69, v48, v62
	v_fma_f32 v47, v47, v62, -v57
	v_mul_f32_e32 v48, v52, v59
	s_waitcnt vmcnt(5)
	v_fma_f32 v49, v49, v63, -v58
	v_fmac_f32_e32 v70, v50, v63
	v_add_f32_e32 v50, 0, v69
	v_add_f32_e32 v47, 0, v47
	v_mul_f32_e32 v57, v54, v60
	s_waitcnt vmcnt(4)
	v_fma_f32 v48, v51, v64, -v48
	v_mul_f32_e32 v72, v53, v60
	v_fmac_f32_e32 v71, v52, v64
	v_add_f32_e32 v47, v47, v49
	v_add_f32_e32 v49, v50, v70
	s_waitcnt lgkmcnt(0)
	v_mul_f32_e32 v50, v56, v61
	s_waitcnt vmcnt(3)
	v_fma_f32 v51, v53, v65, -v57
	v_mul_f32_e32 v73, v55, v61
	v_add_f32_e32 v47, v47, v48
	v_fmac_f32_e32 v72, v54, v65
	v_add_f32_e32 v48, v49, v71
	s_waitcnt vmcnt(2)
	v_fma_f32 v49, v55, v66, -v50
	v_fmac_f32_e32 v73, v56, v66
	v_add_f32_e32 v47, v47, v51
	v_add_f32_e32 v48, v48, v72
	;; [unrolled: 1-line block ×4, first 2 shown]
	s_waitcnt vmcnt(1)
	v_sub_f32_e32 v47, v67, v47
	s_waitcnt vmcnt(0)
	v_sub_f32_e32 v48, v68, v48
	buffer_store_dword v47, off, s[0:3], 0 offset:128
	buffer_store_dword v48, off, s[0:3], 0 offset:132
	v_cmpx_lt_u32_e32 15, v0
	s_cbranch_execz .LBB85_115
; %bb.114:
	s_clause 0x1
	buffer_load_dword v47, off, s[0:3], 0 offset:120
	buffer_load_dword v48, off, s[0:3], 0 offset:124
	buffer_store_dword v46, off, s[0:3], 0 offset:120
	buffer_store_dword v46, off, s[0:3], 0 offset:124
	s_waitcnt vmcnt(0)
	ds_write_b64 v45, v[47:48]
.LBB85_115:
	s_or_b32 exec_lo, exec_lo, s4
	s_waitcnt lgkmcnt(0)
	s_waitcnt_vscnt null, 0x0
	s_barrier
	buffer_gl0_inv
	s_clause 0xd
	buffer_load_dword v59, off, s[0:3], 0 offset:132
	buffer_load_dword v60, off, s[0:3], 0 offset:140
	;; [unrolled: 1-line block ×14, first 2 shown]
	ds_read_b128 v[47:50], v46 offset:304
	ds_read_b128 v[51:54], v46 offset:320
	;; [unrolled: 1-line block ×3, first 2 shown]
	s_mov_b32 s4, exec_lo
	s_waitcnt vmcnt(13) lgkmcnt(2)
	v_mul_f32_e32 v46, v47, v59
	v_mul_f32_e32 v59, v48, v59
	s_waitcnt vmcnt(12)
	v_mul_f32_e32 v73, v49, v60
	v_mul_f32_e32 v60, v50, v60
	s_waitcnt vmcnt(11) lgkmcnt(1)
	v_mul_f32_e32 v74, v51, v61
	s_waitcnt vmcnt(10)
	v_mul_f32_e32 v75, v53, v62
	s_waitcnt vmcnt(7)
	v_fma_f32 v47, v47, v65, -v59
	v_fmac_f32_e32 v46, v48, v65
	v_mul_f32_e32 v48, v52, v61
	s_waitcnt vmcnt(6)
	v_fma_f32 v49, v49, v66, -v60
	v_fmac_f32_e32 v73, v50, v66
	v_add_f32_e32 v47, 0, v47
	v_add_f32_e32 v46, 0, v46
	v_mul_f32_e32 v50, v54, v62
	s_waitcnt vmcnt(5)
	v_fma_f32 v48, v51, v67, -v48
	v_fmac_f32_e32 v74, v52, v67
	v_add_f32_e32 v47, v47, v49
	v_add_f32_e32 v46, v46, v73
	s_waitcnt lgkmcnt(0)
	v_mul_f32_e32 v49, v56, v63
	s_waitcnt vmcnt(4)
	v_fma_f32 v50, v53, v68, -v50
	v_mul_f32_e32 v76, v55, v63
	v_add_f32_e32 v47, v47, v48
	v_fmac_f32_e32 v75, v54, v68
	v_add_f32_e32 v46, v46, v74
	v_mul_f32_e32 v48, v58, v64
	s_waitcnt vmcnt(3)
	v_fma_f32 v49, v55, v69, -v49
	v_add_f32_e32 v47, v47, v50
	v_mul_f32_e32 v77, v57, v64
	v_fmac_f32_e32 v76, v56, v69
	v_add_f32_e32 v46, v46, v75
	s_waitcnt vmcnt(2)
	v_fma_f32 v48, v57, v70, -v48
	v_add_f32_e32 v47, v47, v49
	v_fmac_f32_e32 v77, v58, v70
	v_add_f32_e32 v46, v46, v76
	v_add_f32_e32 v47, v47, v48
	;; [unrolled: 1-line block ×3, first 2 shown]
	s_waitcnt vmcnt(1)
	v_sub_f32_e32 v47, v71, v47
	s_waitcnt vmcnt(0)
	v_sub_f32_e32 v46, v72, v46
	buffer_store_dword v47, off, s[0:3], 0 offset:120
	buffer_store_dword v46, off, s[0:3], 0 offset:124
	v_cmpx_lt_u32_e32 14, v0
	s_cbranch_execz .LBB85_117
; %bb.116:
	s_clause 0x1
	buffer_load_dword v46, off, s[0:3], 0 offset:112
	buffer_load_dword v47, off, s[0:3], 0 offset:116
	v_mov_b32_e32 v48, 0
	buffer_store_dword v48, off, s[0:3], 0 offset:112
	buffer_store_dword v48, off, s[0:3], 0 offset:116
	s_waitcnt vmcnt(0)
	ds_write_b64 v45, v[46:47]
.LBB85_117:
	s_or_b32 exec_lo, exec_lo, s4
	s_waitcnt lgkmcnt(0)
	s_waitcnt_vscnt null, 0x0
	s_barrier
	buffer_gl0_inv
	s_clause 0xf
	buffer_load_dword v61, off, s[0:3], 0 offset:124
	buffer_load_dword v62, off, s[0:3], 0 offset:132
	;; [unrolled: 1-line block ×16, first 2 shown]
	v_mov_b32_e32 v46, 0
	ds_read2_b64 v[47:50], v46 offset0:37 offset1:38
	ds_read2_b64 v[51:54], v46 offset0:39 offset1:40
	;; [unrolled: 1-line block ×3, first 2 shown]
	ds_read_b64 v[59:60], v46 offset:344
	s_mov_b32 s4, exec_lo
	s_waitcnt vmcnt(15) lgkmcnt(3)
	v_mul_f32_e32 v77, v47, v61
	v_mul_f32_e32 v61, v48, v61
	s_waitcnt vmcnt(14)
	v_mul_f32_e32 v78, v49, v62
	v_mul_f32_e32 v62, v50, v62
	s_waitcnt vmcnt(13) lgkmcnt(2)
	v_mul_f32_e32 v79, v51, v63
	s_waitcnt vmcnt(12)
	v_mul_f32_e32 v80, v53, v64
	s_waitcnt vmcnt(11) lgkmcnt(1)
	v_mul_f32_e32 v81, v55, v65
	s_waitcnt vmcnt(8)
	v_fma_f32 v47, v47, v68, -v61
	v_fmac_f32_e32 v77, v48, v68
	v_mul_f32_e32 v48, v52, v63
	s_waitcnt vmcnt(7)
	v_fma_f32 v49, v49, v69, -v62
	v_fmac_f32_e32 v78, v50, v69
	v_add_f32_e32 v47, 0, v47
	v_add_f32_e32 v50, 0, v77
	v_mul_f32_e32 v61, v54, v64
	s_waitcnt vmcnt(6)
	v_fma_f32 v48, v51, v70, -v48
	v_fmac_f32_e32 v79, v52, v70
	v_add_f32_e32 v47, v47, v49
	v_add_f32_e32 v49, v50, v78
	;; [unrolled: 6-line block ×3, first 2 shown]
	v_mul_f32_e32 v49, v58, v66
	s_waitcnt vmcnt(4)
	v_fma_f32 v50, v55, v72, -v50
	v_mul_f32_e32 v82, v57, v66
	v_add_f32_e32 v47, v47, v51
	v_fmac_f32_e32 v81, v56, v72
	v_add_f32_e32 v48, v48, v80
	s_waitcnt lgkmcnt(0)
	v_mul_f32_e32 v51, v60, v67
	s_waitcnt vmcnt(3)
	v_fma_f32 v49, v57, v73, -v49
	v_add_f32_e32 v47, v47, v50
	v_mul_f32_e32 v83, v59, v67
	v_fmac_f32_e32 v82, v58, v73
	v_add_f32_e32 v48, v48, v81
	s_waitcnt vmcnt(2)
	v_fma_f32 v50, v59, v74, -v51
	v_add_f32_e32 v47, v47, v49
	v_fmac_f32_e32 v83, v60, v74
	v_add_f32_e32 v48, v48, v82
	v_add_f32_e32 v47, v47, v50
	;; [unrolled: 1-line block ×3, first 2 shown]
	s_waitcnt vmcnt(1)
	v_sub_f32_e32 v47, v75, v47
	s_waitcnt vmcnt(0)
	v_sub_f32_e32 v48, v76, v48
	buffer_store_dword v47, off, s[0:3], 0 offset:112
	buffer_store_dword v48, off, s[0:3], 0 offset:116
	v_cmpx_lt_u32_e32 13, v0
	s_cbranch_execz .LBB85_119
; %bb.118:
	s_clause 0x1
	buffer_load_dword v47, off, s[0:3], 0 offset:104
	buffer_load_dword v48, off, s[0:3], 0 offset:108
	buffer_store_dword v46, off, s[0:3], 0 offset:104
	buffer_store_dword v46, off, s[0:3], 0 offset:108
	s_waitcnt vmcnt(0)
	ds_write_b64 v45, v[47:48]
.LBB85_119:
	s_or_b32 exec_lo, exec_lo, s4
	s_waitcnt lgkmcnt(0)
	s_waitcnt_vscnt null, 0x0
	s_barrier
	buffer_gl0_inv
	s_clause 0x11
	buffer_load_dword v63, off, s[0:3], 0 offset:116
	buffer_load_dword v64, off, s[0:3], 0 offset:124
	;; [unrolled: 1-line block ×18, first 2 shown]
	ds_read_b128 v[47:50], v46 offset:288
	ds_read_b128 v[51:54], v46 offset:304
	;; [unrolled: 1-line block ×4, first 2 shown]
	s_mov_b32 s4, exec_lo
	s_waitcnt vmcnt(17) lgkmcnt(3)
	v_mul_f32_e32 v46, v47, v63
	v_mul_f32_e32 v63, v48, v63
	s_waitcnt vmcnt(16)
	v_mul_f32_e32 v81, v49, v64
	v_mul_f32_e32 v64, v50, v64
	s_waitcnt vmcnt(15) lgkmcnt(2)
	v_mul_f32_e32 v82, v51, v65
	s_waitcnt vmcnt(14)
	v_mul_f32_e32 v83, v53, v66
	s_waitcnt vmcnt(13) lgkmcnt(1)
	v_mul_f32_e32 v84, v55, v67
	s_waitcnt vmcnt(12)
	v_mul_f32_e32 v85, v57, v68
	s_waitcnt vmcnt(9)
	v_fma_f32 v47, v47, v71, -v63
	v_fmac_f32_e32 v46, v48, v71
	v_mul_f32_e32 v48, v52, v65
	s_waitcnt vmcnt(8)
	v_fma_f32 v49, v49, v72, -v64
	v_fmac_f32_e32 v81, v50, v72
	v_add_f32_e32 v47, 0, v47
	v_add_f32_e32 v46, 0, v46
	v_mul_f32_e32 v50, v54, v66
	s_waitcnt vmcnt(7)
	v_fma_f32 v48, v51, v73, -v48
	v_fmac_f32_e32 v82, v52, v73
	v_add_f32_e32 v47, v47, v49
	v_add_f32_e32 v46, v46, v81
	;; [unrolled: 6-line block ×4, first 2 shown]
	s_waitcnt lgkmcnt(0)
	v_mul_f32_e32 v50, v60, v69
	s_waitcnt vmcnt(4)
	v_fma_f32 v48, v57, v76, -v48
	v_mul_f32_e32 v86, v59, v69
	v_add_f32_e32 v47, v47, v49
	v_fmac_f32_e32 v85, v58, v76
	v_add_f32_e32 v46, v46, v84
	v_mul_f32_e32 v49, v62, v70
	s_waitcnt vmcnt(3)
	v_fma_f32 v50, v59, v77, -v50
	v_add_f32_e32 v47, v47, v48
	v_mul_f32_e32 v87, v61, v70
	v_fmac_f32_e32 v86, v60, v77
	v_add_f32_e32 v46, v46, v85
	s_waitcnt vmcnt(2)
	v_fma_f32 v48, v61, v78, -v49
	v_add_f32_e32 v47, v47, v50
	v_fmac_f32_e32 v87, v62, v78
	v_add_f32_e32 v46, v46, v86
	v_add_f32_e32 v47, v47, v48
	;; [unrolled: 1-line block ×3, first 2 shown]
	s_waitcnt vmcnt(1)
	v_sub_f32_e32 v47, v79, v47
	s_waitcnt vmcnt(0)
	v_sub_f32_e32 v46, v80, v46
	buffer_store_dword v47, off, s[0:3], 0 offset:104
	buffer_store_dword v46, off, s[0:3], 0 offset:108
	v_cmpx_lt_u32_e32 12, v0
	s_cbranch_execz .LBB85_121
; %bb.120:
	s_clause 0x1
	buffer_load_dword v46, off, s[0:3], 0 offset:96
	buffer_load_dword v47, off, s[0:3], 0 offset:100
	v_mov_b32_e32 v48, 0
	buffer_store_dword v48, off, s[0:3], 0 offset:96
	buffer_store_dword v48, off, s[0:3], 0 offset:100
	s_waitcnt vmcnt(0)
	ds_write_b64 v45, v[46:47]
.LBB85_121:
	s_or_b32 exec_lo, exec_lo, s4
	s_waitcnt lgkmcnt(0)
	s_waitcnt_vscnt null, 0x0
	s_barrier
	buffer_gl0_inv
	s_clause 0x13
	buffer_load_dword v65, off, s[0:3], 0 offset:108
	buffer_load_dword v66, off, s[0:3], 0 offset:116
	;; [unrolled: 1-line block ×20, first 2 shown]
	v_mov_b32_e32 v46, 0
	ds_read2_b64 v[47:50], v46 offset0:35 offset1:36
	ds_read2_b64 v[51:54], v46 offset0:37 offset1:38
	;; [unrolled: 1-line block ×4, first 2 shown]
	ds_read_b64 v[63:64], v46 offset:344
	s_mov_b32 s4, exec_lo
	s_waitcnt vmcnt(19) lgkmcnt(4)
	v_mul_f32_e32 v85, v47, v65
	v_mul_f32_e32 v65, v48, v65
	s_waitcnt vmcnt(18)
	v_mul_f32_e32 v86, v49, v66
	v_mul_f32_e32 v66, v50, v66
	s_waitcnt vmcnt(17) lgkmcnt(3)
	v_mul_f32_e32 v87, v51, v67
	s_waitcnt vmcnt(16)
	v_mul_f32_e32 v88, v53, v68
	s_waitcnt vmcnt(15) lgkmcnt(2)
	v_mul_f32_e32 v89, v55, v69
	s_waitcnt vmcnt(14)
	;; [unrolled: 4-line block ×3, first 2 shown]
	v_fma_f32 v47, v47, v74, -v65
	v_fmac_f32_e32 v85, v48, v74
	v_mul_f32_e32 v48, v52, v67
	s_waitcnt vmcnt(9)
	v_fma_f32 v49, v49, v75, -v66
	v_fmac_f32_e32 v86, v50, v75
	v_add_f32_e32 v47, 0, v47
	v_add_f32_e32 v50, 0, v85
	v_mul_f32_e32 v65, v54, v68
	s_waitcnt vmcnt(8)
	v_fma_f32 v48, v51, v76, -v48
	v_fmac_f32_e32 v87, v52, v76
	v_add_f32_e32 v47, v47, v49
	v_add_f32_e32 v49, v50, v86
	;; [unrolled: 6-line block ×5, first 2 shown]
	v_mul_f32_e32 v50, v62, v72
	s_waitcnt vmcnt(4)
	v_fma_f32 v51, v59, v80, -v51
	v_mul_f32_e32 v92, v61, v72
	v_add_f32_e32 v47, v47, v49
	v_fmac_f32_e32 v91, v60, v80
	v_add_f32_e32 v48, v48, v90
	s_waitcnt lgkmcnt(0)
	v_mul_f32_e32 v49, v64, v73
	s_waitcnt vmcnt(3)
	v_fma_f32 v50, v61, v81, -v50
	v_add_f32_e32 v47, v47, v51
	v_mul_f32_e32 v93, v63, v73
	v_fmac_f32_e32 v92, v62, v81
	v_add_f32_e32 v48, v48, v91
	s_waitcnt vmcnt(2)
	v_fma_f32 v49, v63, v82, -v49
	v_add_f32_e32 v47, v47, v50
	v_fmac_f32_e32 v93, v64, v82
	v_add_f32_e32 v48, v48, v92
	v_add_f32_e32 v47, v47, v49
	;; [unrolled: 1-line block ×3, first 2 shown]
	s_waitcnt vmcnt(1)
	v_sub_f32_e32 v47, v83, v47
	s_waitcnt vmcnt(0)
	v_sub_f32_e32 v48, v84, v48
	buffer_store_dword v47, off, s[0:3], 0 offset:96
	buffer_store_dword v48, off, s[0:3], 0 offset:100
	v_cmpx_lt_u32_e32 11, v0
	s_cbranch_execz .LBB85_123
; %bb.122:
	s_clause 0x1
	buffer_load_dword v47, off, s[0:3], 0 offset:88
	buffer_load_dword v48, off, s[0:3], 0 offset:92
	buffer_store_dword v46, off, s[0:3], 0 offset:88
	buffer_store_dword v46, off, s[0:3], 0 offset:92
	s_waitcnt vmcnt(0)
	ds_write_b64 v45, v[47:48]
.LBB85_123:
	s_or_b32 exec_lo, exec_lo, s4
	s_waitcnt lgkmcnt(0)
	s_waitcnt_vscnt null, 0x0
	s_barrier
	buffer_gl0_inv
	s_clause 0x15
	buffer_load_dword v67, off, s[0:3], 0 offset:100
	buffer_load_dword v68, off, s[0:3], 0 offset:108
	;; [unrolled: 1-line block ×22, first 2 shown]
	ds_read_b128 v[47:50], v46 offset:272
	ds_read_b128 v[51:54], v46 offset:288
	ds_read_b128 v[55:58], v46 offset:304
	ds_read_b128 v[59:62], v46 offset:320
	ds_read_b128 v[63:66], v46 offset:336
	s_mov_b32 s4, exec_lo
	s_waitcnt vmcnt(21) lgkmcnt(4)
	v_mul_f32_e32 v46, v47, v67
	v_mul_f32_e32 v67, v48, v67
	s_waitcnt vmcnt(20)
	v_mul_f32_e32 v89, v49, v68
	v_mul_f32_e32 v68, v50, v68
	s_waitcnt vmcnt(19) lgkmcnt(3)
	v_mul_f32_e32 v90, v51, v69
	s_waitcnt vmcnt(18)
	v_mul_f32_e32 v91, v53, v70
	s_waitcnt vmcnt(17) lgkmcnt(2)
	v_mul_f32_e32 v92, v55, v71
	s_waitcnt vmcnt(16)
	;; [unrolled: 4-line block ×3, first 2 shown]
	v_mul_f32_e32 v95, v61, v74
	s_waitcnt vmcnt(11)
	v_fma_f32 v47, v47, v77, -v67
	v_fmac_f32_e32 v46, v48, v77
	v_mul_f32_e32 v48, v52, v69
	s_waitcnt vmcnt(10)
	v_fma_f32 v49, v49, v78, -v68
	v_fmac_f32_e32 v89, v50, v78
	v_add_f32_e32 v47, 0, v47
	v_add_f32_e32 v46, 0, v46
	v_mul_f32_e32 v50, v54, v70
	s_waitcnt vmcnt(9)
	v_fma_f32 v48, v51, v79, -v48
	v_fmac_f32_e32 v90, v52, v79
	v_add_f32_e32 v47, v47, v49
	v_add_f32_e32 v46, v46, v89
	;; [unrolled: 6-line block ×6, first 2 shown]
	s_waitcnt lgkmcnt(0)
	v_mul_f32_e32 v48, v64, v75
	s_waitcnt vmcnt(4)
	v_fma_f32 v49, v61, v84, -v49
	v_mul_f32_e32 v96, v63, v75
	v_add_f32_e32 v47, v47, v50
	v_fmac_f32_e32 v95, v62, v84
	v_add_f32_e32 v46, v46, v94
	v_mul_f32_e32 v50, v66, v76
	s_waitcnt vmcnt(3)
	v_fma_f32 v48, v63, v85, -v48
	v_add_f32_e32 v47, v47, v49
	v_mul_f32_e32 v97, v65, v76
	v_fmac_f32_e32 v96, v64, v85
	v_add_f32_e32 v46, v46, v95
	s_waitcnt vmcnt(2)
	v_fma_f32 v49, v65, v86, -v50
	v_add_f32_e32 v47, v47, v48
	v_fmac_f32_e32 v97, v66, v86
	v_add_f32_e32 v46, v46, v96
	v_add_f32_e32 v47, v47, v49
	;; [unrolled: 1-line block ×3, first 2 shown]
	s_waitcnt vmcnt(1)
	v_sub_f32_e32 v47, v87, v47
	s_waitcnt vmcnt(0)
	v_sub_f32_e32 v46, v88, v46
	buffer_store_dword v47, off, s[0:3], 0 offset:88
	buffer_store_dword v46, off, s[0:3], 0 offset:92
	v_cmpx_lt_u32_e32 10, v0
	s_cbranch_execz .LBB85_125
; %bb.124:
	s_clause 0x1
	buffer_load_dword v46, off, s[0:3], 0 offset:80
	buffer_load_dword v47, off, s[0:3], 0 offset:84
	v_mov_b32_e32 v48, 0
	buffer_store_dword v48, off, s[0:3], 0 offset:80
	buffer_store_dword v48, off, s[0:3], 0 offset:84
	s_waitcnt vmcnt(0)
	ds_write_b64 v45, v[46:47]
.LBB85_125:
	s_or_b32 exec_lo, exec_lo, s4
	s_waitcnt lgkmcnt(0)
	s_waitcnt_vscnt null, 0x0
	s_barrier
	buffer_gl0_inv
	s_clause 0x17
	buffer_load_dword v69, off, s[0:3], 0 offset:92
	buffer_load_dword v70, off, s[0:3], 0 offset:100
	;; [unrolled: 1-line block ×24, first 2 shown]
	v_mov_b32_e32 v46, 0
	ds_read2_b64 v[47:50], v46 offset0:33 offset1:34
	ds_read2_b64 v[51:54], v46 offset0:35 offset1:36
	;; [unrolled: 1-line block ×5, first 2 shown]
	ds_read_b64 v[67:68], v46 offset:344
	s_mov_b32 s4, exec_lo
	s_waitcnt vmcnt(23) lgkmcnt(5)
	v_mul_f32_e32 v93, v47, v69
	v_mul_f32_e32 v69, v48, v69
	s_waitcnt vmcnt(22)
	v_mul_f32_e32 v94, v49, v70
	v_mul_f32_e32 v70, v50, v70
	s_waitcnt vmcnt(21) lgkmcnt(4)
	v_mul_f32_e32 v95, v51, v71
	s_waitcnt vmcnt(20)
	v_mul_f32_e32 v96, v53, v72
	s_waitcnt vmcnt(19) lgkmcnt(3)
	v_mul_f32_e32 v97, v55, v73
	s_waitcnt vmcnt(18)
	;; [unrolled: 4-line block ×4, first 2 shown]
	v_fma_f32 v47, v47, v80, -v69
	v_fmac_f32_e32 v93, v48, v80
	v_mul_f32_e32 v48, v52, v71
	s_waitcnt vmcnt(11)
	v_fma_f32 v49, v49, v81, -v70
	v_fmac_f32_e32 v94, v50, v81
	v_add_f32_e32 v47, 0, v47
	v_add_f32_e32 v50, 0, v93
	v_mul_f32_e32 v69, v54, v72
	s_waitcnt vmcnt(10)
	v_fma_f32 v48, v51, v82, -v48
	v_fmac_f32_e32 v95, v52, v82
	v_add_f32_e32 v47, v47, v49
	v_add_f32_e32 v49, v50, v94
	v_mul_f32_e32 v50, v56, v73
	s_waitcnt vmcnt(9)
	v_fma_f32 v51, v53, v83, -v69
	v_fmac_f32_e32 v96, v54, v83
	v_add_f32_e32 v47, v47, v48
	v_add_f32_e32 v48, v49, v95
	v_mul_f32_e32 v49, v58, v74
	s_waitcnt vmcnt(8)
	v_fma_f32 v50, v55, v84, -v50
	v_fmac_f32_e32 v97, v56, v84
	v_add_f32_e32 v47, v47, v51
	v_add_f32_e32 v48, v48, v96
	v_mul_f32_e32 v51, v60, v75
	s_waitcnt vmcnt(7)
	v_fma_f32 v49, v57, v85, -v49
	v_fmac_f32_e32 v98, v58, v85
	v_add_f32_e32 v47, v47, v50
	v_add_f32_e32 v48, v48, v97
	v_mul_f32_e32 v50, v62, v76
	s_waitcnt vmcnt(6)
	v_fma_f32 v51, v59, v86, -v51
	v_fmac_f32_e32 v99, v60, v86
	v_add_f32_e32 v47, v47, v49
	v_add_f32_e32 v48, v48, v98
	v_mul_f32_e32 v49, v64, v77
	s_waitcnt vmcnt(5)
	v_fma_f32 v50, v61, v87, -v50
	v_fmac_f32_e32 v100, v62, v87
	v_add_f32_e32 v47, v47, v51
	v_add_f32_e32 v48, v48, v99
	v_mul_f32_e32 v51, v66, v78
	s_waitcnt vmcnt(4)
	v_fma_f32 v49, v63, v88, -v49
	v_mul_f32_e32 v102, v65, v78
	v_add_f32_e32 v47, v47, v50
	v_fmac_f32_e32 v101, v64, v88
	v_add_f32_e32 v48, v48, v100
	s_waitcnt lgkmcnt(0)
	v_mul_f32_e32 v50, v68, v79
	s_waitcnt vmcnt(3)
	v_fma_f32 v51, v65, v89, -v51
	v_add_f32_e32 v47, v47, v49
	v_mul_f32_e32 v103, v67, v79
	v_fmac_f32_e32 v102, v66, v89
	v_add_f32_e32 v48, v48, v101
	s_waitcnt vmcnt(2)
	v_fma_f32 v49, v67, v90, -v50
	v_add_f32_e32 v47, v47, v51
	v_fmac_f32_e32 v103, v68, v90
	v_add_f32_e32 v48, v48, v102
	v_add_f32_e32 v47, v47, v49
	;; [unrolled: 1-line block ×3, first 2 shown]
	s_waitcnt vmcnt(1)
	v_sub_f32_e32 v47, v91, v47
	s_waitcnt vmcnt(0)
	v_sub_f32_e32 v48, v92, v48
	buffer_store_dword v47, off, s[0:3], 0 offset:80
	buffer_store_dword v48, off, s[0:3], 0 offset:84
	v_cmpx_lt_u32_e32 9, v0
	s_cbranch_execz .LBB85_127
; %bb.126:
	s_clause 0x1
	buffer_load_dword v47, off, s[0:3], 0 offset:72
	buffer_load_dword v48, off, s[0:3], 0 offset:76
	buffer_store_dword v46, off, s[0:3], 0 offset:72
	buffer_store_dword v46, off, s[0:3], 0 offset:76
	s_waitcnt vmcnt(0)
	ds_write_b64 v45, v[47:48]
.LBB85_127:
	s_or_b32 exec_lo, exec_lo, s4
	s_waitcnt lgkmcnt(0)
	s_waitcnt_vscnt null, 0x0
	s_barrier
	buffer_gl0_inv
	s_clause 0x19
	buffer_load_dword v71, off, s[0:3], 0 offset:84
	buffer_load_dword v72, off, s[0:3], 0 offset:92
	;; [unrolled: 1-line block ×26, first 2 shown]
	ds_read_b128 v[47:50], v46 offset:256
	ds_read_b128 v[51:54], v46 offset:272
	;; [unrolled: 1-line block ×6, first 2 shown]
	s_mov_b32 s4, exec_lo
	s_waitcnt vmcnt(25) lgkmcnt(5)
	v_mul_f32_e32 v46, v47, v71
	v_mul_f32_e32 v71, v48, v71
	s_waitcnt vmcnt(24)
	v_mul_f32_e32 v97, v49, v72
	v_mul_f32_e32 v72, v50, v72
	s_waitcnt vmcnt(23) lgkmcnt(4)
	v_mul_f32_e32 v98, v51, v73
	s_waitcnt vmcnt(22)
	v_mul_f32_e32 v99, v53, v74
	s_waitcnt vmcnt(21) lgkmcnt(3)
	v_mul_f32_e32 v100, v55, v75
	s_waitcnt vmcnt(20)
	;; [unrolled: 4-line block ×4, first 2 shown]
	v_mul_f32_e32 v105, v65, v80
	s_waitcnt vmcnt(13)
	v_fma_f32 v47, v47, v83, -v71
	v_fmac_f32_e32 v46, v48, v83
	v_mul_f32_e32 v48, v52, v73
	s_waitcnt vmcnt(12)
	v_fma_f32 v49, v49, v84, -v72
	v_fmac_f32_e32 v97, v50, v84
	v_add_f32_e32 v47, 0, v47
	v_add_f32_e32 v46, 0, v46
	v_mul_f32_e32 v50, v54, v74
	s_waitcnt vmcnt(11)
	v_fma_f32 v48, v51, v85, -v48
	v_fmac_f32_e32 v98, v52, v85
	v_add_f32_e32 v47, v47, v49
	v_add_f32_e32 v46, v46, v97
	;; [unrolled: 6-line block ×8, first 2 shown]
	s_waitcnt lgkmcnt(0)
	v_mul_f32_e32 v49, v68, v81
	s_waitcnt vmcnt(4)
	v_fma_f32 v50, v65, v92, -v50
	v_mul_f32_e32 v106, v67, v81
	v_add_f32_e32 v47, v47, v48
	v_fmac_f32_e32 v105, v66, v92
	v_add_f32_e32 v46, v46, v104
	v_mul_f32_e32 v48, v70, v82
	s_waitcnt vmcnt(3)
	v_fma_f32 v49, v67, v93, -v49
	v_add_f32_e32 v47, v47, v50
	v_mul_f32_e32 v107, v69, v82
	v_fmac_f32_e32 v106, v68, v93
	v_add_f32_e32 v46, v46, v105
	s_waitcnt vmcnt(2)
	v_fma_f32 v48, v69, v94, -v48
	v_add_f32_e32 v47, v47, v49
	v_fmac_f32_e32 v107, v70, v94
	v_add_f32_e32 v46, v46, v106
	v_add_f32_e32 v47, v47, v48
	;; [unrolled: 1-line block ×3, first 2 shown]
	s_waitcnt vmcnt(1)
	v_sub_f32_e32 v47, v95, v47
	s_waitcnt vmcnt(0)
	v_sub_f32_e32 v46, v96, v46
	buffer_store_dword v47, off, s[0:3], 0 offset:72
	buffer_store_dword v46, off, s[0:3], 0 offset:76
	v_cmpx_lt_u32_e32 8, v0
	s_cbranch_execz .LBB85_129
; %bb.128:
	s_clause 0x1
	buffer_load_dword v46, off, s[0:3], 0 offset:64
	buffer_load_dword v47, off, s[0:3], 0 offset:68
	v_mov_b32_e32 v48, 0
	buffer_store_dword v48, off, s[0:3], 0 offset:64
	buffer_store_dword v48, off, s[0:3], 0 offset:68
	s_waitcnt vmcnt(0)
	ds_write_b64 v45, v[46:47]
.LBB85_129:
	s_or_b32 exec_lo, exec_lo, s4
	s_waitcnt lgkmcnt(0)
	s_waitcnt_vscnt null, 0x0
	s_barrier
	buffer_gl0_inv
	s_clause 0x1b
	buffer_load_dword v73, off, s[0:3], 0 offset:76
	buffer_load_dword v74, off, s[0:3], 0 offset:84
	;; [unrolled: 1-line block ×28, first 2 shown]
	v_mov_b32_e32 v46, 0
	ds_read2_b64 v[47:50], v46 offset0:31 offset1:32
	ds_read2_b64 v[51:54], v46 offset0:33 offset1:34
	;; [unrolled: 1-line block ×6, first 2 shown]
	ds_read_b64 v[71:72], v46 offset:344
	s_mov_b32 s4, exec_lo
	s_waitcnt vmcnt(27) lgkmcnt(6)
	v_mul_f32_e32 v101, v47, v73
	v_mul_f32_e32 v73, v48, v73
	s_waitcnt vmcnt(26)
	v_mul_f32_e32 v102, v49, v74
	v_mul_f32_e32 v74, v50, v74
	s_waitcnt vmcnt(25) lgkmcnt(5)
	v_mul_f32_e32 v103, v51, v75
	s_waitcnt vmcnt(24)
	v_mul_f32_e32 v104, v53, v76
	s_waitcnt vmcnt(23) lgkmcnt(4)
	v_mul_f32_e32 v105, v55, v77
	s_waitcnt vmcnt(22)
	;; [unrolled: 4-line block ×5, first 2 shown]
	v_fma_f32 v47, v47, v86, -v73
	v_fmac_f32_e32 v101, v48, v86
	v_mul_f32_e32 v48, v52, v75
	s_waitcnt vmcnt(13)
	v_fma_f32 v49, v49, v87, -v74
	v_fmac_f32_e32 v102, v50, v87
	v_add_f32_e32 v47, 0, v47
	v_add_f32_e32 v50, 0, v101
	v_mul_f32_e32 v73, v54, v76
	s_waitcnt vmcnt(12)
	v_fma_f32 v48, v51, v88, -v48
	v_fmac_f32_e32 v103, v52, v88
	v_add_f32_e32 v47, v47, v49
	v_add_f32_e32 v49, v50, v102
	;; [unrolled: 6-line block ×9, first 2 shown]
	v_mul_f32_e32 v49, v70, v84
	s_waitcnt vmcnt(4)
	v_fma_f32 v50, v67, v96, -v50
	v_mul_f32_e32 v112, v69, v84
	v_add_f32_e32 v47, v47, v51
	v_fmac_f32_e32 v111, v68, v96
	v_add_f32_e32 v48, v48, v110
	s_waitcnt lgkmcnt(0)
	v_mul_f32_e32 v51, v72, v85
	s_waitcnt vmcnt(3)
	v_fma_f32 v49, v69, v97, -v49
	v_add_f32_e32 v47, v47, v50
	v_mul_f32_e32 v113, v71, v85
	v_fmac_f32_e32 v112, v70, v97
	v_add_f32_e32 v48, v48, v111
	s_waitcnt vmcnt(2)
	v_fma_f32 v50, v71, v98, -v51
	v_add_f32_e32 v47, v47, v49
	v_fmac_f32_e32 v113, v72, v98
	v_add_f32_e32 v48, v48, v112
	v_add_f32_e32 v47, v47, v50
	;; [unrolled: 1-line block ×3, first 2 shown]
	s_waitcnt vmcnt(1)
	v_sub_f32_e32 v47, v99, v47
	s_waitcnt vmcnt(0)
	v_sub_f32_e32 v48, v100, v48
	buffer_store_dword v47, off, s[0:3], 0 offset:64
	buffer_store_dword v48, off, s[0:3], 0 offset:68
	v_cmpx_lt_u32_e32 7, v0
	s_cbranch_execz .LBB85_131
; %bb.130:
	s_clause 0x1
	buffer_load_dword v47, off, s[0:3], 0 offset:56
	buffer_load_dword v48, off, s[0:3], 0 offset:60
	buffer_store_dword v46, off, s[0:3], 0 offset:56
	buffer_store_dword v46, off, s[0:3], 0 offset:60
	s_waitcnt vmcnt(0)
	ds_write_b64 v45, v[47:48]
.LBB85_131:
	s_or_b32 exec_lo, exec_lo, s4
	s_waitcnt lgkmcnt(0)
	s_waitcnt_vscnt null, 0x0
	s_barrier
	buffer_gl0_inv
	s_clause 0x1d
	buffer_load_dword v75, off, s[0:3], 0 offset:68
	buffer_load_dword v76, off, s[0:3], 0 offset:76
	;; [unrolled: 1-line block ×30, first 2 shown]
	ds_read_b128 v[47:50], v46 offset:240
	ds_read_b128 v[51:54], v46 offset:256
	;; [unrolled: 1-line block ×7, first 2 shown]
	s_mov_b32 s4, exec_lo
	s_waitcnt vmcnt(29) lgkmcnt(6)
	v_mul_f32_e32 v46, v47, v75
	v_mul_f32_e32 v75, v48, v75
	s_waitcnt vmcnt(28)
	v_mul_f32_e32 v105, v49, v76
	v_mul_f32_e32 v76, v50, v76
	s_waitcnt vmcnt(27) lgkmcnt(5)
	v_mul_f32_e32 v106, v51, v77
	s_waitcnt vmcnt(26)
	v_mul_f32_e32 v107, v53, v78
	s_waitcnt vmcnt(25) lgkmcnt(4)
	v_mul_f32_e32 v108, v55, v79
	s_waitcnt vmcnt(24)
	;; [unrolled: 4-line block ×5, first 2 shown]
	v_mul_f32_e32 v115, v69, v86
	s_waitcnt vmcnt(15)
	v_fma_f32 v47, v47, v89, -v75
	v_fmac_f32_e32 v46, v48, v89
	v_mul_f32_e32 v48, v52, v77
	s_waitcnt vmcnt(14)
	v_fma_f32 v49, v49, v90, -v76
	v_fmac_f32_e32 v105, v50, v90
	v_add_f32_e32 v47, 0, v47
	v_add_f32_e32 v46, 0, v46
	v_mul_f32_e32 v50, v54, v78
	s_waitcnt vmcnt(13)
	v_fma_f32 v48, v51, v91, -v48
	v_fmac_f32_e32 v106, v52, v91
	v_add_f32_e32 v47, v47, v49
	v_add_f32_e32 v46, v46, v105
	;; [unrolled: 6-line block ×10, first 2 shown]
	s_waitcnt lgkmcnt(0)
	v_mul_f32_e32 v50, v72, v87
	s_waitcnt vmcnt(4)
	v_fma_f32 v48, v69, v100, -v48
	v_mul_f32_e32 v116, v71, v87
	v_add_f32_e32 v47, v47, v49
	v_fmac_f32_e32 v115, v70, v100
	v_add_f32_e32 v46, v46, v114
	v_mul_f32_e32 v49, v74, v88
	s_waitcnt vmcnt(3)
	v_fma_f32 v50, v71, v101, -v50
	v_add_f32_e32 v47, v47, v48
	v_mul_f32_e32 v117, v73, v88
	v_fmac_f32_e32 v116, v72, v101
	v_add_f32_e32 v46, v46, v115
	s_waitcnt vmcnt(2)
	v_fma_f32 v48, v73, v102, -v49
	v_add_f32_e32 v47, v47, v50
	v_fmac_f32_e32 v117, v74, v102
	v_add_f32_e32 v46, v46, v116
	v_add_f32_e32 v47, v47, v48
	;; [unrolled: 1-line block ×3, first 2 shown]
	s_waitcnt vmcnt(1)
	v_sub_f32_e32 v47, v103, v47
	s_waitcnt vmcnt(0)
	v_sub_f32_e32 v46, v104, v46
	buffer_store_dword v47, off, s[0:3], 0 offset:56
	buffer_store_dword v46, off, s[0:3], 0 offset:60
	v_cmpx_lt_u32_e32 6, v0
	s_cbranch_execz .LBB85_133
; %bb.132:
	s_clause 0x1
	buffer_load_dword v46, off, s[0:3], 0 offset:48
	buffer_load_dword v47, off, s[0:3], 0 offset:52
	v_mov_b32_e32 v48, 0
	buffer_store_dword v48, off, s[0:3], 0 offset:48
	buffer_store_dword v48, off, s[0:3], 0 offset:52
	s_waitcnt vmcnt(0)
	ds_write_b64 v45, v[46:47]
.LBB85_133:
	s_or_b32 exec_lo, exec_lo, s4
	s_waitcnt lgkmcnt(0)
	s_waitcnt_vscnt null, 0x0
	s_barrier
	buffer_gl0_inv
	s_clause 0x1f
	buffer_load_dword v77, off, s[0:3], 0 offset:60
	buffer_load_dword v78, off, s[0:3], 0 offset:68
	;; [unrolled: 1-line block ×32, first 2 shown]
	v_mov_b32_e32 v46, 0
	ds_read2_b64 v[47:50], v46 offset0:29 offset1:30
	ds_read2_b64 v[51:54], v46 offset0:31 offset1:32
	;; [unrolled: 1-line block ×7, first 2 shown]
	ds_read_b64 v[75:76], v46 offset:344
	s_mov_b32 s4, exec_lo
	s_waitcnt vmcnt(31) lgkmcnt(7)
	v_mul_f32_e32 v109, v47, v77
	v_mul_f32_e32 v77, v48, v77
	s_waitcnt vmcnt(30)
	v_mul_f32_e32 v110, v49, v78
	v_mul_f32_e32 v78, v50, v78
	s_waitcnt vmcnt(29) lgkmcnt(6)
	v_mul_f32_e32 v111, v51, v79
	s_waitcnt vmcnt(28)
	v_mul_f32_e32 v112, v53, v80
	s_waitcnt vmcnt(27) lgkmcnt(5)
	v_mul_f32_e32 v113, v55, v81
	s_waitcnt vmcnt(26)
	;; [unrolled: 4-line block ×6, first 2 shown]
	v_fma_f32 v47, v47, v92, -v77
	v_fmac_f32_e32 v109, v48, v92
	v_mul_f32_e32 v48, v52, v79
	s_waitcnt vmcnt(15)
	v_fma_f32 v49, v49, v93, -v78
	v_fmac_f32_e32 v110, v50, v93
	v_add_f32_e32 v47, 0, v47
	v_add_f32_e32 v50, 0, v109
	v_mul_f32_e32 v77, v54, v80
	s_waitcnt vmcnt(14)
	v_fma_f32 v48, v51, v94, -v48
	v_fmac_f32_e32 v111, v52, v94
	v_add_f32_e32 v47, v47, v49
	v_add_f32_e32 v49, v50, v110
	;; [unrolled: 6-line block ×11, first 2 shown]
	v_mul_f32_e32 v50, v74, v90
	s_waitcnt vmcnt(4)
	v_fma_f32 v51, v71, v104, -v51
	v_mul_f32_e32 v122, v73, v90
	v_add_f32_e32 v47, v47, v49
	v_fmac_f32_e32 v121, v72, v104
	v_add_f32_e32 v48, v48, v120
	s_waitcnt lgkmcnt(0)
	v_mul_f32_e32 v49, v76, v91
	s_waitcnt vmcnt(3)
	v_fma_f32 v50, v73, v105, -v50
	v_add_f32_e32 v47, v47, v51
	v_mul_f32_e32 v123, v75, v91
	v_fmac_f32_e32 v122, v74, v105
	v_add_f32_e32 v48, v48, v121
	s_waitcnt vmcnt(2)
	v_fma_f32 v49, v75, v106, -v49
	v_add_f32_e32 v47, v47, v50
	v_fmac_f32_e32 v123, v76, v106
	v_add_f32_e32 v48, v48, v122
	v_add_f32_e32 v47, v47, v49
	;; [unrolled: 1-line block ×3, first 2 shown]
	s_waitcnt vmcnt(1)
	v_sub_f32_e32 v47, v107, v47
	s_waitcnt vmcnt(0)
	v_sub_f32_e32 v48, v108, v48
	buffer_store_dword v47, off, s[0:3], 0 offset:48
	buffer_store_dword v48, off, s[0:3], 0 offset:52
	v_cmpx_lt_u32_e32 5, v0
	s_cbranch_execz .LBB85_135
; %bb.134:
	s_clause 0x1
	buffer_load_dword v47, off, s[0:3], 0 offset:40
	buffer_load_dword v48, off, s[0:3], 0 offset:44
	buffer_store_dword v46, off, s[0:3], 0 offset:40
	buffer_store_dword v46, off, s[0:3], 0 offset:44
	s_waitcnt vmcnt(0)
	ds_write_b64 v45, v[47:48]
.LBB85_135:
	s_or_b32 exec_lo, exec_lo, s4
	s_waitcnt lgkmcnt(0)
	s_waitcnt_vscnt null, 0x0
	s_barrier
	buffer_gl0_inv
	s_clause 0x21
	buffer_load_dword v79, off, s[0:3], 0 offset:52
	buffer_load_dword v80, off, s[0:3], 0 offset:60
	;; [unrolled: 1-line block ×34, first 2 shown]
	ds_read_b128 v[47:50], v46 offset:224
	ds_read_b128 v[51:54], v46 offset:240
	;; [unrolled: 1-line block ×8, first 2 shown]
	s_mov_b32 s4, exec_lo
	s_waitcnt vmcnt(33) lgkmcnt(7)
	v_mul_f32_e32 v46, v47, v79
	v_mul_f32_e32 v79, v48, v79
	s_waitcnt vmcnt(32)
	v_mul_f32_e32 v113, v49, v80
	v_mul_f32_e32 v80, v50, v80
	s_waitcnt vmcnt(31) lgkmcnt(6)
	v_mul_f32_e32 v114, v51, v81
	s_waitcnt vmcnt(30)
	v_mul_f32_e32 v115, v53, v82
	s_waitcnt vmcnt(29) lgkmcnt(5)
	v_mul_f32_e32 v116, v55, v83
	s_waitcnt vmcnt(28)
	v_mul_f32_e32 v117, v57, v84
	s_waitcnt vmcnt(27) lgkmcnt(4)
	v_mul_f32_e32 v118, v59, v85
	s_waitcnt vmcnt(26)
	v_mul_f32_e32 v119, v61, v86
	s_waitcnt vmcnt(25) lgkmcnt(3)
	v_mul_f32_e32 v120, v63, v87
	s_waitcnt vmcnt(24)
	v_mul_f32_e32 v121, v65, v88
	s_waitcnt vmcnt(23) lgkmcnt(2)
	v_mul_f32_e32 v122, v67, v89
	s_waitcnt vmcnt(22)
	v_mul_f32_e32 v123, v69, v90
	s_waitcnt vmcnt(21) lgkmcnt(1)
	v_mul_f32_e32 v124, v71, v91
	s_waitcnt vmcnt(20)
	v_mul_f32_e32 v125, v73, v92
	s_waitcnt vmcnt(17)
	v_fma_f32 v47, v47, v95, -v79
	v_fmac_f32_e32 v46, v48, v95
	v_mul_f32_e32 v48, v52, v81
	s_waitcnt vmcnt(16)
	v_fma_f32 v49, v49, v96, -v80
	v_fmac_f32_e32 v113, v50, v96
	v_add_f32_e32 v47, 0, v47
	v_add_f32_e32 v46, 0, v46
	v_mul_f32_e32 v50, v54, v82
	s_waitcnt vmcnt(15)
	v_fma_f32 v48, v51, v97, -v48
	v_fmac_f32_e32 v114, v52, v97
	v_add_f32_e32 v47, v47, v49
	v_add_f32_e32 v46, v46, v113
	;; [unrolled: 6-line block ×12, first 2 shown]
	s_waitcnt lgkmcnt(0)
	v_mul_f32_e32 v48, v76, v93
	s_waitcnt vmcnt(4)
	v_fma_f32 v49, v73, v108, -v49
	v_mul_f32_e32 v126, v75, v93
	v_add_f32_e32 v47, v47, v50
	v_fmac_f32_e32 v125, v74, v108
	v_add_f32_e32 v46, v46, v124
	v_mul_f32_e32 v50, v78, v94
	s_waitcnt vmcnt(3)
	v_fma_f32 v48, v75, v109, -v48
	v_add_f32_e32 v47, v47, v49
	v_mul_f32_e32 v127, v77, v94
	v_fmac_f32_e32 v126, v76, v109
	v_add_f32_e32 v46, v46, v125
	s_waitcnt vmcnt(2)
	v_fma_f32 v49, v77, v110, -v50
	v_add_f32_e32 v47, v47, v48
	v_fmac_f32_e32 v127, v78, v110
	v_add_f32_e32 v46, v46, v126
	v_add_f32_e32 v47, v47, v49
	;; [unrolled: 1-line block ×3, first 2 shown]
	s_waitcnt vmcnt(1)
	v_sub_f32_e32 v47, v111, v47
	s_waitcnt vmcnt(0)
	v_sub_f32_e32 v46, v112, v46
	buffer_store_dword v47, off, s[0:3], 0 offset:40
	buffer_store_dword v46, off, s[0:3], 0 offset:44
	v_cmpx_lt_u32_e32 4, v0
	s_cbranch_execz .LBB85_137
; %bb.136:
	s_clause 0x1
	buffer_load_dword v46, off, s[0:3], 0 offset:32
	buffer_load_dword v47, off, s[0:3], 0 offset:36
	v_mov_b32_e32 v48, 0
	buffer_store_dword v48, off, s[0:3], 0 offset:32
	buffer_store_dword v48, off, s[0:3], 0 offset:36
	s_waitcnt vmcnt(0)
	ds_write_b64 v45, v[46:47]
.LBB85_137:
	s_or_b32 exec_lo, exec_lo, s4
	s_waitcnt lgkmcnt(0)
	s_waitcnt_vscnt null, 0x0
	s_barrier
	buffer_gl0_inv
	s_clause 0x23
	buffer_load_dword v81, off, s[0:3], 0 offset:44
	buffer_load_dword v82, off, s[0:3], 0 offset:52
	;; [unrolled: 1-line block ×36, first 2 shown]
	v_mov_b32_e32 v46, 0
	ds_read2_b64 v[47:50], v46 offset0:27 offset1:28
	ds_read2_b64 v[51:54], v46 offset0:29 offset1:30
	;; [unrolled: 1-line block ×8, first 2 shown]
	ds_read_b64 v[79:80], v46 offset:344
	s_mov_b32 s4, exec_lo
	s_waitcnt vmcnt(35) lgkmcnt(8)
	v_mul_f32_e32 v117, v47, v81
	v_mul_f32_e32 v81, v48, v81
	s_waitcnt vmcnt(34)
	v_mul_f32_e32 v118, v49, v82
	v_mul_f32_e32 v82, v50, v82
	s_waitcnt vmcnt(33) lgkmcnt(7)
	v_mul_f32_e32 v119, v51, v83
	s_waitcnt vmcnt(32)
	v_mul_f32_e32 v120, v53, v84
	s_waitcnt vmcnt(31) lgkmcnt(6)
	v_mul_f32_e32 v121, v55, v85
	s_waitcnt vmcnt(30)
	;; [unrolled: 4-line block ×7, first 2 shown]
	v_fma_f32 v47, v47, v98, -v81
	v_fmac_f32_e32 v117, v48, v98
	v_mul_f32_e32 v48, v52, v83
	s_waitcnt vmcnt(17)
	v_fma_f32 v49, v49, v99, -v82
	v_fmac_f32_e32 v118, v50, v99
	v_add_f32_e32 v47, 0, v47
	v_add_f32_e32 v50, 0, v117
	v_mul_f32_e32 v81, v54, v84
	s_waitcnt vmcnt(16)
	v_fma_f32 v48, v51, v100, -v48
	v_fmac_f32_e32 v119, v52, v100
	v_add_f32_e32 v47, v47, v49
	v_add_f32_e32 v49, v50, v118
	;; [unrolled: 6-line block ×13, first 2 shown]
	v_mul_f32_e32 v51, v78, v96
	s_waitcnt vmcnt(4)
	v_fma_f32 v49, v75, v112, -v49
	v_mul_f32_e32 v132, v77, v96
	v_add_f32_e32 v47, v47, v50
	v_fmac_f32_e32 v131, v76, v112
	v_add_f32_e32 v48, v48, v130
	s_waitcnt lgkmcnt(0)
	v_mul_f32_e32 v50, v80, v97
	s_waitcnt vmcnt(3)
	v_fma_f32 v51, v77, v113, -v51
	v_add_f32_e32 v47, v47, v49
	v_mul_f32_e32 v133, v79, v97
	v_fmac_f32_e32 v132, v78, v113
	v_add_f32_e32 v48, v48, v131
	s_waitcnt vmcnt(2)
	v_fma_f32 v49, v79, v114, -v50
	v_add_f32_e32 v47, v47, v51
	v_fmac_f32_e32 v133, v80, v114
	v_add_f32_e32 v48, v48, v132
	v_add_f32_e32 v47, v47, v49
	;; [unrolled: 1-line block ×3, first 2 shown]
	s_waitcnt vmcnt(1)
	v_sub_f32_e32 v47, v115, v47
	s_waitcnt vmcnt(0)
	v_sub_f32_e32 v48, v116, v48
	buffer_store_dword v47, off, s[0:3], 0 offset:32
	buffer_store_dword v48, off, s[0:3], 0 offset:36
	v_cmpx_lt_u32_e32 3, v0
	s_cbranch_execz .LBB85_139
; %bb.138:
	s_clause 0x1
	buffer_load_dword v47, off, s[0:3], 0 offset:24
	buffer_load_dword v48, off, s[0:3], 0 offset:28
	buffer_store_dword v46, off, s[0:3], 0 offset:24
	buffer_store_dword v46, off, s[0:3], 0 offset:28
	s_waitcnt vmcnt(0)
	ds_write_b64 v45, v[47:48]
.LBB85_139:
	s_or_b32 exec_lo, exec_lo, s4
	s_waitcnt lgkmcnt(0)
	s_waitcnt_vscnt null, 0x0
	s_barrier
	buffer_gl0_inv
	s_clause 0x25
	buffer_load_dword v83, off, s[0:3], 0 offset:36
	buffer_load_dword v84, off, s[0:3], 0 offset:44
	;; [unrolled: 1-line block ×38, first 2 shown]
	ds_read_b128 v[47:50], v46 offset:208
	ds_read_b128 v[51:54], v46 offset:224
	;; [unrolled: 1-line block ×9, first 2 shown]
	s_mov_b32 s4, exec_lo
	s_waitcnt vmcnt(37) lgkmcnt(8)
	v_mul_f32_e32 v46, v47, v83
	v_mul_f32_e32 v83, v48, v83
	s_waitcnt vmcnt(36)
	v_mul_f32_e32 v121, v49, v84
	v_mul_f32_e32 v84, v50, v84
	s_waitcnt vmcnt(35) lgkmcnt(7)
	v_mul_f32_e32 v122, v51, v85
	s_waitcnt vmcnt(34)
	v_mul_f32_e32 v123, v53, v86
	s_waitcnt vmcnt(33) lgkmcnt(6)
	v_mul_f32_e32 v124, v55, v87
	s_waitcnt vmcnt(32)
	;; [unrolled: 4-line block ×7, first 2 shown]
	v_mul_f32_e32 v135, v77, v98
	s_waitcnt vmcnt(19)
	v_fma_f32 v47, v47, v101, -v83
	v_fmac_f32_e32 v46, v48, v101
	v_mul_f32_e32 v48, v52, v85
	s_waitcnt vmcnt(18)
	v_fma_f32 v49, v49, v102, -v84
	v_fmac_f32_e32 v121, v50, v102
	v_add_f32_e32 v47, 0, v47
	v_add_f32_e32 v46, 0, v46
	v_mul_f32_e32 v50, v54, v86
	s_waitcnt vmcnt(17)
	v_fma_f32 v48, v51, v103, -v48
	v_fmac_f32_e32 v122, v52, v103
	v_add_f32_e32 v47, v47, v49
	v_add_f32_e32 v46, v46, v121
	;; [unrolled: 6-line block ×14, first 2 shown]
	s_waitcnt lgkmcnt(0)
	v_mul_f32_e32 v49, v80, v99
	s_waitcnt vmcnt(4)
	v_fma_f32 v50, v77, v116, -v50
	v_mul_f32_e32 v136, v79, v99
	v_add_f32_e32 v47, v47, v48
	v_fmac_f32_e32 v135, v78, v116
	v_add_f32_e32 v46, v46, v134
	v_mul_f32_e32 v48, v82, v100
	s_waitcnt vmcnt(3)
	v_fma_f32 v49, v79, v117, -v49
	v_add_f32_e32 v47, v47, v50
	v_mul_f32_e32 v137, v81, v100
	v_fmac_f32_e32 v136, v80, v117
	v_add_f32_e32 v46, v46, v135
	s_waitcnt vmcnt(2)
	v_fma_f32 v48, v81, v118, -v48
	v_add_f32_e32 v47, v47, v49
	v_fmac_f32_e32 v137, v82, v118
	v_add_f32_e32 v46, v46, v136
	v_add_f32_e32 v47, v47, v48
	;; [unrolled: 1-line block ×3, first 2 shown]
	s_waitcnt vmcnt(1)
	v_sub_f32_e32 v47, v119, v47
	s_waitcnt vmcnt(0)
	v_sub_f32_e32 v46, v120, v46
	buffer_store_dword v47, off, s[0:3], 0 offset:24
	buffer_store_dword v46, off, s[0:3], 0 offset:28
	v_cmpx_lt_u32_e32 2, v0
	s_cbranch_execz .LBB85_141
; %bb.140:
	s_clause 0x1
	buffer_load_dword v46, off, s[0:3], 0 offset:16
	buffer_load_dword v47, off, s[0:3], 0 offset:20
	v_mov_b32_e32 v48, 0
	buffer_store_dword v48, off, s[0:3], 0 offset:16
	buffer_store_dword v48, off, s[0:3], 0 offset:20
	s_waitcnt vmcnt(0)
	ds_write_b64 v45, v[46:47]
.LBB85_141:
	s_or_b32 exec_lo, exec_lo, s4
	s_waitcnt lgkmcnt(0)
	s_waitcnt_vscnt null, 0x0
	s_barrier
	buffer_gl0_inv
	s_clause 0x27
	buffer_load_dword v85, off, s[0:3], 0 offset:28
	buffer_load_dword v86, off, s[0:3], 0 offset:36
	;; [unrolled: 1-line block ×40, first 2 shown]
	v_mov_b32_e32 v46, 0
	ds_read2_b64 v[47:50], v46 offset0:25 offset1:26
	ds_read2_b64 v[51:54], v46 offset0:27 offset1:28
	;; [unrolled: 1-line block ×9, first 2 shown]
	ds_read_b64 v[83:84], v46 offset:344
	s_mov_b32 s4, exec_lo
	s_waitcnt vmcnt(39) lgkmcnt(9)
	v_mul_f32_e32 v125, v47, v85
	v_mul_f32_e32 v85, v48, v85
	s_waitcnt vmcnt(38)
	v_mul_f32_e32 v126, v49, v86
	v_mul_f32_e32 v86, v50, v86
	s_waitcnt vmcnt(37) lgkmcnt(8)
	v_mul_f32_e32 v127, v51, v87
	s_waitcnt vmcnt(36)
	v_mul_f32_e32 v128, v53, v88
	s_waitcnt vmcnt(35) lgkmcnt(7)
	v_mul_f32_e32 v129, v55, v89
	s_waitcnt vmcnt(34)
	;; [unrolled: 4-line block ×8, first 2 shown]
	v_fma_f32 v47, v47, v104, -v85
	v_fmac_f32_e32 v125, v48, v104
	v_mul_f32_e32 v48, v52, v87
	s_waitcnt vmcnt(19)
	v_fma_f32 v49, v49, v105, -v86
	v_fmac_f32_e32 v126, v50, v105
	v_add_f32_e32 v47, 0, v47
	v_add_f32_e32 v50, 0, v125
	v_mul_f32_e32 v85, v54, v88
	s_waitcnt vmcnt(18)
	v_fma_f32 v48, v51, v106, -v48
	v_fmac_f32_e32 v127, v52, v106
	v_add_f32_e32 v47, v47, v49
	v_add_f32_e32 v49, v50, v126
	;; [unrolled: 6-line block ×15, first 2 shown]
	v_mul_f32_e32 v49, v82, v102
	s_waitcnt vmcnt(4)
	v_fma_f32 v50, v79, v120, -v50
	v_mul_f32_e32 v142, v81, v102
	v_add_f32_e32 v47, v47, v51
	v_fmac_f32_e32 v141, v80, v120
	v_add_f32_e32 v48, v48, v140
	s_waitcnt lgkmcnt(0)
	v_mul_f32_e32 v51, v84, v103
	s_waitcnt vmcnt(3)
	v_fma_f32 v49, v81, v121, -v49
	v_add_f32_e32 v47, v47, v50
	v_mul_f32_e32 v143, v83, v103
	v_fmac_f32_e32 v142, v82, v121
	v_add_f32_e32 v48, v48, v141
	s_waitcnt vmcnt(2)
	v_fma_f32 v50, v83, v122, -v51
	v_add_f32_e32 v47, v47, v49
	v_fmac_f32_e32 v143, v84, v122
	v_add_f32_e32 v48, v48, v142
	v_add_f32_e32 v47, v47, v50
	;; [unrolled: 1-line block ×3, first 2 shown]
	s_waitcnt vmcnt(1)
	v_sub_f32_e32 v47, v123, v47
	s_waitcnt vmcnt(0)
	v_sub_f32_e32 v48, v124, v48
	buffer_store_dword v47, off, s[0:3], 0 offset:16
	buffer_store_dword v48, off, s[0:3], 0 offset:20
	v_cmpx_lt_u32_e32 1, v0
	s_cbranch_execz .LBB85_143
; %bb.142:
	s_clause 0x1
	buffer_load_dword v47, off, s[0:3], 0 offset:8
	buffer_load_dword v48, off, s[0:3], 0 offset:12
	buffer_store_dword v46, off, s[0:3], 0 offset:8
	buffer_store_dword v46, off, s[0:3], 0 offset:12
	s_waitcnt vmcnt(0)
	ds_write_b64 v45, v[47:48]
.LBB85_143:
	s_or_b32 exec_lo, exec_lo, s4
	s_waitcnt lgkmcnt(0)
	s_waitcnt_vscnt null, 0x0
	s_barrier
	buffer_gl0_inv
	s_clause 0x29
	buffer_load_dword v87, off, s[0:3], 0 offset:20
	buffer_load_dword v88, off, s[0:3], 0 offset:28
	;; [unrolled: 1-line block ×42, first 2 shown]
	ds_read_b128 v[47:50], v46 offset:192
	ds_read_b128 v[51:54], v46 offset:208
	;; [unrolled: 1-line block ×10, first 2 shown]
	s_mov_b32 s4, exec_lo
	s_waitcnt vmcnt(41) lgkmcnt(9)
	v_mul_f32_e32 v46, v47, v87
	v_mul_f32_e32 v87, v48, v87
	s_waitcnt vmcnt(40)
	v_mul_f32_e32 v129, v49, v88
	v_mul_f32_e32 v88, v50, v88
	s_waitcnt vmcnt(39) lgkmcnt(8)
	v_mul_f32_e32 v130, v51, v89
	s_waitcnt vmcnt(38)
	v_mul_f32_e32 v131, v53, v90
	s_waitcnt vmcnt(37) lgkmcnt(7)
	v_mul_f32_e32 v132, v55, v91
	s_waitcnt vmcnt(36)
	;; [unrolled: 4-line block ×8, first 2 shown]
	v_mul_f32_e32 v145, v81, v104
	s_waitcnt vmcnt(21)
	v_fma_f32 v47, v47, v107, -v87
	v_fmac_f32_e32 v46, v48, v107
	v_mul_f32_e32 v48, v52, v89
	s_waitcnt vmcnt(20)
	v_fma_f32 v49, v49, v108, -v88
	v_fmac_f32_e32 v129, v50, v108
	v_add_f32_e32 v47, 0, v47
	v_add_f32_e32 v46, 0, v46
	v_mul_f32_e32 v50, v54, v90
	s_waitcnt vmcnt(19)
	v_fma_f32 v48, v51, v109, -v48
	v_fmac_f32_e32 v130, v52, v109
	v_add_f32_e32 v47, v47, v49
	v_add_f32_e32 v46, v46, v129
	;; [unrolled: 6-line block ×16, first 2 shown]
	s_waitcnt lgkmcnt(0)
	v_mul_f32_e32 v50, v84, v105
	s_waitcnt vmcnt(4)
	v_fma_f32 v48, v81, v124, -v48
	v_mul_f32_e32 v146, v83, v105
	v_add_f32_e32 v47, v47, v49
	v_fmac_f32_e32 v145, v82, v124
	v_add_f32_e32 v46, v46, v144
	v_mul_f32_e32 v49, v86, v106
	s_waitcnt vmcnt(3)
	v_fma_f32 v50, v83, v125, -v50
	v_add_f32_e32 v47, v47, v48
	v_mul_f32_e32 v147, v85, v106
	v_fmac_f32_e32 v146, v84, v125
	v_add_f32_e32 v46, v46, v145
	s_waitcnt vmcnt(2)
	v_fma_f32 v48, v85, v126, -v49
	v_add_f32_e32 v47, v47, v50
	v_fmac_f32_e32 v147, v86, v126
	v_add_f32_e32 v46, v46, v146
	v_add_f32_e32 v47, v47, v48
	;; [unrolled: 1-line block ×3, first 2 shown]
	s_waitcnt vmcnt(1)
	v_sub_f32_e32 v47, v127, v47
	s_waitcnt vmcnt(0)
	v_sub_f32_e32 v46, v128, v46
	buffer_store_dword v47, off, s[0:3], 0 offset:8
	buffer_store_dword v46, off, s[0:3], 0 offset:12
	v_cmpx_ne_u32_e32 0, v0
	s_cbranch_execz .LBB85_145
; %bb.144:
	s_clause 0x1
	buffer_load_dword v46, off, s[0:3], 0
	buffer_load_dword v47, off, s[0:3], 0 offset:4
	v_mov_b32_e32 v0, 0
	buffer_store_dword v0, off, s[0:3], 0
	buffer_store_dword v0, off, s[0:3], 0 offset:4
	s_waitcnt vmcnt(0)
	ds_write_b64 v45, v[46:47]
.LBB85_145:
	s_or_b32 exec_lo, exec_lo, s4
	s_waitcnt lgkmcnt(0)
	s_waitcnt_vscnt null, 0x0
	s_barrier
	buffer_gl0_inv
	s_clause 0x2b
	buffer_load_dword v87, off, s[0:3], 0 offset:12
	buffer_load_dword v88, off, s[0:3], 0 offset:20
	;; [unrolled: 1-line block ×42, first 2 shown]
	buffer_load_dword v129, off, s[0:3], 0
	buffer_load_dword v130, off, s[0:3], 0 offset:4
	v_mov_b32_e32 v0, 0
	ds_read2_b64 v[45:48], v0 offset0:23 offset1:24
	ds_read2_b64 v[49:52], v0 offset0:25 offset1:26
	;; [unrolled: 1-line block ×10, first 2 shown]
	ds_read_b64 v[85:86], v0 offset:344
	s_and_b32 vcc_lo, exec_lo, s16
	s_waitcnt vmcnt(43) lgkmcnt(10)
	v_mul_f32_e32 v131, v45, v87
	v_mul_f32_e32 v87, v46, v87
	s_waitcnt vmcnt(42)
	v_mul_f32_e32 v132, v47, v88
	v_mul_f32_e32 v88, v48, v88
	s_waitcnt vmcnt(41) lgkmcnt(9)
	v_mul_f32_e32 v133, v49, v89
	s_waitcnt vmcnt(40)
	v_mul_f32_e32 v134, v51, v90
	s_waitcnt vmcnt(39) lgkmcnt(8)
	v_mul_f32_e32 v135, v53, v91
	s_waitcnt vmcnt(38)
	;; [unrolled: 4-line block ×9, first 2 shown]
	v_fma_f32 v45, v45, v108, -v87
	v_fmac_f32_e32 v131, v46, v108
	v_mul_f32_e32 v46, v50, v89
	s_waitcnt vmcnt(21)
	v_fma_f32 v47, v47, v109, -v88
	v_fmac_f32_e32 v132, v48, v109
	v_add_f32_e32 v45, 0, v45
	v_add_f32_e32 v48, 0, v131
	v_mul_f32_e32 v87, v52, v90
	s_waitcnt vmcnt(20)
	v_fma_f32 v46, v49, v110, -v46
	v_fmac_f32_e32 v133, v50, v110
	v_add_f32_e32 v45, v45, v47
	v_add_f32_e32 v47, v48, v132
	;; [unrolled: 6-line block ×17, first 2 shown]
	v_mul_f32_e32 v48, v84, v106
	s_waitcnt vmcnt(4)
	v_fma_f32 v49, v81, v126, -v49
	v_mul_f32_e32 v150, v83, v106
	v_add_f32_e32 v45, v45, v47
	v_fmac_f32_e32 v149, v82, v126
	v_add_f32_e32 v46, v46, v148
	s_waitcnt lgkmcnt(0)
	v_mul_f32_e32 v47, v86, v107
	s_waitcnt vmcnt(3)
	v_fma_f32 v48, v83, v127, -v48
	v_add_f32_e32 v45, v45, v49
	v_mul_f32_e32 v151, v85, v107
	v_fmac_f32_e32 v150, v84, v127
	v_add_f32_e32 v46, v46, v149
	s_waitcnt vmcnt(2)
	v_fma_f32 v47, v85, v128, -v47
	v_add_f32_e32 v45, v45, v48
	v_fmac_f32_e32 v151, v86, v128
	v_add_f32_e32 v46, v46, v150
	v_add_f32_e32 v45, v45, v47
	;; [unrolled: 1-line block ×3, first 2 shown]
	s_waitcnt vmcnt(1)
	v_sub_f32_e32 v45, v129, v45
	s_waitcnt vmcnt(0)
	v_sub_f32_e32 v46, v130, v46
	buffer_store_dword v45, off, s[0:3], 0
	buffer_store_dword v46, off, s[0:3], 0 offset:4
	s_cbranch_vccz .LBB85_188
; %bb.146:
	global_load_dword v0, v0, s[12:13] offset:80
	s_waitcnt vmcnt(0)
	v_add_nc_u32_e32 v0, -1, v0
	v_cmp_ne_u32_e32 vcc_lo, 20, v0
	s_cbranch_vccz .LBB85_148
; %bb.147:
	v_lshlrev_b32_e32 v0, 3, v0
	s_clause 0x3
	buffer_load_dword v45, v0, s[0:3], 0 offen
	buffer_load_dword v46, v0, s[0:3], 0 offen offset:4
	buffer_load_dword v47, off, s[0:3], 0 offset:164
	buffer_load_dword v48, off, s[0:3], 0 offset:160
	s_waitcnt vmcnt(3)
	buffer_store_dword v45, off, s[0:3], 0 offset:160
	s_waitcnt vmcnt(2)
	buffer_store_dword v46, off, s[0:3], 0 offset:164
	s_waitcnt vmcnt(1)
	buffer_store_dword v47, v0, s[0:3], 0 offen offset:4
	s_waitcnt vmcnt(0)
	buffer_store_dword v48, v0, s[0:3], 0 offen
.LBB85_148:
	v_mov_b32_e32 v0, 0
	global_load_dword v45, v0, s[12:13] offset:76
	s_waitcnt vmcnt(0)
	v_add_nc_u32_e32 v45, -1, v45
	v_cmp_eq_u32_e32 vcc_lo, 19, v45
	s_cbranch_vccnz .LBB85_150
; %bb.149:
	v_lshlrev_b32_e32 v45, 3, v45
	s_clause 0x3
	buffer_load_dword v46, v45, s[0:3], 0 offen
	buffer_load_dword v47, v45, s[0:3], 0 offen offset:4
	buffer_load_dword v48, off, s[0:3], 0 offset:152
	buffer_load_dword v49, off, s[0:3], 0 offset:156
	s_waitcnt vmcnt(3)
	buffer_store_dword v46, off, s[0:3], 0 offset:152
	s_waitcnt vmcnt(2)
	buffer_store_dword v47, off, s[0:3], 0 offset:156
	s_waitcnt vmcnt(1)
	buffer_store_dword v48, v45, s[0:3], 0 offen
	s_waitcnt vmcnt(0)
	buffer_store_dword v49, v45, s[0:3], 0 offen offset:4
.LBB85_150:
	global_load_dword v0, v0, s[12:13] offset:72
	s_waitcnt vmcnt(0)
	v_add_nc_u32_e32 v0, -1, v0
	v_cmp_eq_u32_e32 vcc_lo, 18, v0
	s_cbranch_vccnz .LBB85_152
; %bb.151:
	v_lshlrev_b32_e32 v0, 3, v0
	s_clause 0x3
	buffer_load_dword v45, v0, s[0:3], 0 offen
	buffer_load_dword v46, v0, s[0:3], 0 offen offset:4
	buffer_load_dword v47, off, s[0:3], 0 offset:148
	buffer_load_dword v48, off, s[0:3], 0 offset:144
	s_waitcnt vmcnt(3)
	buffer_store_dword v45, off, s[0:3], 0 offset:144
	s_waitcnt vmcnt(2)
	buffer_store_dword v46, off, s[0:3], 0 offset:148
	s_waitcnt vmcnt(1)
	buffer_store_dword v47, v0, s[0:3], 0 offen offset:4
	s_waitcnt vmcnt(0)
	buffer_store_dword v48, v0, s[0:3], 0 offen
.LBB85_152:
	v_mov_b32_e32 v0, 0
	global_load_dword v45, v0, s[12:13] offset:68
	s_waitcnt vmcnt(0)
	v_add_nc_u32_e32 v45, -1, v45
	v_cmp_eq_u32_e32 vcc_lo, 17, v45
	s_cbranch_vccnz .LBB85_154
; %bb.153:
	v_lshlrev_b32_e32 v45, 3, v45
	s_clause 0x3
	buffer_load_dword v46, v45, s[0:3], 0 offen
	buffer_load_dword v47, v45, s[0:3], 0 offen offset:4
	buffer_load_dword v48, off, s[0:3], 0 offset:136
	buffer_load_dword v49, off, s[0:3], 0 offset:140
	s_waitcnt vmcnt(3)
	buffer_store_dword v46, off, s[0:3], 0 offset:136
	s_waitcnt vmcnt(2)
	buffer_store_dword v47, off, s[0:3], 0 offset:140
	s_waitcnt vmcnt(1)
	buffer_store_dword v48, v45, s[0:3], 0 offen
	s_waitcnt vmcnt(0)
	buffer_store_dword v49, v45, s[0:3], 0 offen offset:4
.LBB85_154:
	global_load_dword v0, v0, s[12:13] offset:64
	s_waitcnt vmcnt(0)
	v_add_nc_u32_e32 v0, -1, v0
	v_cmp_eq_u32_e32 vcc_lo, 16, v0
	s_cbranch_vccnz .LBB85_156
; %bb.155:
	v_lshlrev_b32_e32 v0, 3, v0
	s_clause 0x3
	buffer_load_dword v45, v0, s[0:3], 0 offen
	buffer_load_dword v46, v0, s[0:3], 0 offen offset:4
	buffer_load_dword v47, off, s[0:3], 0 offset:132
	buffer_load_dword v48, off, s[0:3], 0 offset:128
	s_waitcnt vmcnt(3)
	buffer_store_dword v45, off, s[0:3], 0 offset:128
	s_waitcnt vmcnt(2)
	buffer_store_dword v46, off, s[0:3], 0 offset:132
	s_waitcnt vmcnt(1)
	buffer_store_dword v47, v0, s[0:3], 0 offen offset:4
	s_waitcnt vmcnt(0)
	buffer_store_dword v48, v0, s[0:3], 0 offen
.LBB85_156:
	;; [unrolled: 43-line block ×9, first 2 shown]
	v_mov_b32_e32 v0, 0
	global_load_dword v45, v0, s[12:13] offset:4
	s_waitcnt vmcnt(0)
	v_add_nc_u32_e32 v45, -1, v45
	v_cmp_eq_u32_e32 vcc_lo, 1, v45
	s_cbranch_vccnz .LBB85_186
; %bb.185:
	v_lshlrev_b32_e32 v45, 3, v45
	s_clause 0x3
	buffer_load_dword v46, v45, s[0:3], 0 offen
	buffer_load_dword v47, v45, s[0:3], 0 offen offset:4
	buffer_load_dword v48, off, s[0:3], 0 offset:8
	buffer_load_dword v49, off, s[0:3], 0 offset:12
	s_waitcnt vmcnt(3)
	buffer_store_dword v46, off, s[0:3], 0 offset:8
	s_waitcnt vmcnt(2)
	buffer_store_dword v47, off, s[0:3], 0 offset:12
	s_waitcnt vmcnt(1)
	buffer_store_dword v48, v45, s[0:3], 0 offen
	s_waitcnt vmcnt(0)
	buffer_store_dword v49, v45, s[0:3], 0 offen offset:4
.LBB85_186:
	global_load_dword v0, v0, s[12:13]
	s_waitcnt vmcnt(0)
	v_add_nc_u32_e32 v0, -1, v0
	v_cmp_eq_u32_e32 vcc_lo, 0, v0
	s_cbranch_vccnz .LBB85_188
; %bb.187:
	v_lshlrev_b32_e32 v0, 3, v0
	s_clause 0x3
	buffer_load_dword v45, v0, s[0:3], 0 offen
	buffer_load_dword v46, v0, s[0:3], 0 offen offset:4
	buffer_load_dword v47, off, s[0:3], 0 offset:4
	buffer_load_dword v48, off, s[0:3], 0
	s_waitcnt vmcnt(3)
	buffer_store_dword v45, off, s[0:3], 0
	s_waitcnt vmcnt(2)
	buffer_store_dword v46, off, s[0:3], 0 offset:4
	s_waitcnt vmcnt(1)
	buffer_store_dword v47, v0, s[0:3], 0 offen offset:4
	s_waitcnt vmcnt(0)
	buffer_store_dword v48, v0, s[0:3], 0 offen
.LBB85_188:
	s_clause 0x1
	buffer_load_dword v45, off, s[0:3], 0
	buffer_load_dword v46, off, s[0:3], 0 offset:4
	s_waitcnt vmcnt(0)
	flat_store_dwordx2 v[1:2], v[45:46]
	s_clause 0x1
	buffer_load_dword v0, off, s[0:3], 0 offset:8
	buffer_load_dword v1, off, s[0:3], 0 offset:12
	s_waitcnt vmcnt(0)
	flat_store_dwordx2 v[3:4], v[0:1]
	s_clause 0x1
	buffer_load_dword v0, off, s[0:3], 0 offset:16
	;; [unrolled: 5-line block ×21, first 2 shown]
	buffer_load_dword v1, off, s[0:3], 0 offset:172
	s_waitcnt vmcnt(0)
	flat_store_dwordx2 v[43:44], v[0:1]
	s_endpgm
	.section	.rodata,"a",@progbits
	.p2align	6, 0x0
	.amdhsa_kernel _ZN9rocsolver6v33100L18getri_kernel_smallILi22E19rocblas_complex_numIfEPKPS3_EEvT1_iilPiilS8_bb
		.amdhsa_group_segment_fixed_size 356
		.amdhsa_private_segment_fixed_size 192
		.amdhsa_kernarg_size 60
		.amdhsa_user_sgpr_count 6
		.amdhsa_user_sgpr_private_segment_buffer 1
		.amdhsa_user_sgpr_dispatch_ptr 0
		.amdhsa_user_sgpr_queue_ptr 0
		.amdhsa_user_sgpr_kernarg_segment_ptr 1
		.amdhsa_user_sgpr_dispatch_id 0
		.amdhsa_user_sgpr_flat_scratch_init 0
		.amdhsa_user_sgpr_private_segment_size 0
		.amdhsa_wavefront_size32 1
		.amdhsa_uses_dynamic_stack 0
		.amdhsa_system_sgpr_private_segment_wavefront_offset 1
		.amdhsa_system_sgpr_workgroup_id_x 1
		.amdhsa_system_sgpr_workgroup_id_y 0
		.amdhsa_system_sgpr_workgroup_id_z 0
		.amdhsa_system_sgpr_workgroup_info 0
		.amdhsa_system_vgpr_workitem_id 0
		.amdhsa_next_free_vgpr 152
		.amdhsa_next_free_sgpr 20
		.amdhsa_reserve_vcc 1
		.amdhsa_reserve_flat_scratch 0
		.amdhsa_float_round_mode_32 0
		.amdhsa_float_round_mode_16_64 0
		.amdhsa_float_denorm_mode_32 3
		.amdhsa_float_denorm_mode_16_64 3
		.amdhsa_dx10_clamp 1
		.amdhsa_ieee_mode 1
		.amdhsa_fp16_overflow 0
		.amdhsa_workgroup_processor_mode 1
		.amdhsa_memory_ordered 1
		.amdhsa_forward_progress 1
		.amdhsa_shared_vgpr_count 0
		.amdhsa_exception_fp_ieee_invalid_op 0
		.amdhsa_exception_fp_denorm_src 0
		.amdhsa_exception_fp_ieee_div_zero 0
		.amdhsa_exception_fp_ieee_overflow 0
		.amdhsa_exception_fp_ieee_underflow 0
		.amdhsa_exception_fp_ieee_inexact 0
		.amdhsa_exception_int_div_zero 0
	.end_amdhsa_kernel
	.section	.text._ZN9rocsolver6v33100L18getri_kernel_smallILi22E19rocblas_complex_numIfEPKPS3_EEvT1_iilPiilS8_bb,"axG",@progbits,_ZN9rocsolver6v33100L18getri_kernel_smallILi22E19rocblas_complex_numIfEPKPS3_EEvT1_iilPiilS8_bb,comdat
.Lfunc_end85:
	.size	_ZN9rocsolver6v33100L18getri_kernel_smallILi22E19rocblas_complex_numIfEPKPS3_EEvT1_iilPiilS8_bb, .Lfunc_end85-_ZN9rocsolver6v33100L18getri_kernel_smallILi22E19rocblas_complex_numIfEPKPS3_EEvT1_iilPiilS8_bb
                                        ; -- End function
	.set _ZN9rocsolver6v33100L18getri_kernel_smallILi22E19rocblas_complex_numIfEPKPS3_EEvT1_iilPiilS8_bb.num_vgpr, 152
	.set _ZN9rocsolver6v33100L18getri_kernel_smallILi22E19rocblas_complex_numIfEPKPS3_EEvT1_iilPiilS8_bb.num_agpr, 0
	.set _ZN9rocsolver6v33100L18getri_kernel_smallILi22E19rocblas_complex_numIfEPKPS3_EEvT1_iilPiilS8_bb.numbered_sgpr, 20
	.set _ZN9rocsolver6v33100L18getri_kernel_smallILi22E19rocblas_complex_numIfEPKPS3_EEvT1_iilPiilS8_bb.num_named_barrier, 0
	.set _ZN9rocsolver6v33100L18getri_kernel_smallILi22E19rocblas_complex_numIfEPKPS3_EEvT1_iilPiilS8_bb.private_seg_size, 192
	.set _ZN9rocsolver6v33100L18getri_kernel_smallILi22E19rocblas_complex_numIfEPKPS3_EEvT1_iilPiilS8_bb.uses_vcc, 1
	.set _ZN9rocsolver6v33100L18getri_kernel_smallILi22E19rocblas_complex_numIfEPKPS3_EEvT1_iilPiilS8_bb.uses_flat_scratch, 0
	.set _ZN9rocsolver6v33100L18getri_kernel_smallILi22E19rocblas_complex_numIfEPKPS3_EEvT1_iilPiilS8_bb.has_dyn_sized_stack, 0
	.set _ZN9rocsolver6v33100L18getri_kernel_smallILi22E19rocblas_complex_numIfEPKPS3_EEvT1_iilPiilS8_bb.has_recursion, 0
	.set _ZN9rocsolver6v33100L18getri_kernel_smallILi22E19rocblas_complex_numIfEPKPS3_EEvT1_iilPiilS8_bb.has_indirect_call, 0
	.section	.AMDGPU.csdata,"",@progbits
; Kernel info:
; codeLenInByte = 26616
; TotalNumSgprs: 22
; NumVgprs: 152
; ScratchSize: 192
; MemoryBound: 0
; FloatMode: 240
; IeeeMode: 1
; LDSByteSize: 356 bytes/workgroup (compile time only)
; SGPRBlocks: 0
; VGPRBlocks: 18
; NumSGPRsForWavesPerEU: 22
; NumVGPRsForWavesPerEU: 152
; Occupancy: 6
; WaveLimiterHint : 1
; COMPUTE_PGM_RSRC2:SCRATCH_EN: 1
; COMPUTE_PGM_RSRC2:USER_SGPR: 6
; COMPUTE_PGM_RSRC2:TRAP_HANDLER: 0
; COMPUTE_PGM_RSRC2:TGID_X_EN: 1
; COMPUTE_PGM_RSRC2:TGID_Y_EN: 0
; COMPUTE_PGM_RSRC2:TGID_Z_EN: 0
; COMPUTE_PGM_RSRC2:TIDIG_COMP_CNT: 0
	.section	.text._ZN9rocsolver6v33100L18getri_kernel_smallILi23E19rocblas_complex_numIfEPKPS3_EEvT1_iilPiilS8_bb,"axG",@progbits,_ZN9rocsolver6v33100L18getri_kernel_smallILi23E19rocblas_complex_numIfEPKPS3_EEvT1_iilPiilS8_bb,comdat
	.globl	_ZN9rocsolver6v33100L18getri_kernel_smallILi23E19rocblas_complex_numIfEPKPS3_EEvT1_iilPiilS8_bb ; -- Begin function _ZN9rocsolver6v33100L18getri_kernel_smallILi23E19rocblas_complex_numIfEPKPS3_EEvT1_iilPiilS8_bb
	.p2align	8
	.type	_ZN9rocsolver6v33100L18getri_kernel_smallILi23E19rocblas_complex_numIfEPKPS3_EEvT1_iilPiilS8_bb,@function
_ZN9rocsolver6v33100L18getri_kernel_smallILi23E19rocblas_complex_numIfEPKPS3_EEvT1_iilPiilS8_bb: ; @_ZN9rocsolver6v33100L18getri_kernel_smallILi23E19rocblas_complex_numIfEPKPS3_EEvT1_iilPiilS8_bb
; %bb.0:
	s_add_u32 s0, s0, s7
	s_addc_u32 s1, s1, 0
	s_mov_b32 s7, exec_lo
	v_cmpx_gt_u32_e32 23, v0
	s_cbranch_execz .LBB86_106
; %bb.1:
	s_clause 0x2
	s_load_dword s17, s[4:5], 0x38
	s_load_dwordx2 s[12:13], s[4:5], 0x0
	s_load_dwordx4 s[8:11], s[4:5], 0x28
	s_waitcnt lgkmcnt(0)
	s_bitcmp1_b32 s17, 8
	s_cselect_b32 s16, -1, 0
	s_ashr_i32 s7, s6, 31
	s_lshl_b64 s[14:15], s[6:7], 3
	s_add_u32 s12, s12, s14
	s_addc_u32 s13, s13, s15
	s_load_dwordx2 s[14:15], s[12:13], 0x0
	s_bfe_u32 s12, s17, 0x10008
	s_cmp_eq_u32 s12, 0
                                        ; implicit-def: $sgpr12_sgpr13
	s_cbranch_scc1 .LBB86_3
; %bb.2:
	s_clause 0x1
	s_load_dword s12, s[4:5], 0x20
	s_load_dwordx2 s[18:19], s[4:5], 0x18
	s_mul_i32 s13, s8, s7
	s_mul_hi_u32 s17, s8, s6
	s_mul_i32 s9, s9, s6
	s_add_i32 s13, s17, s13
	s_mul_i32 s8, s8, s6
	s_add_i32 s9, s13, s9
	s_lshl_b64 s[8:9], s[8:9], 2
	s_waitcnt lgkmcnt(0)
	s_ashr_i32 s13, s12, 31
	s_add_u32 s17, s18, s8
	s_addc_u32 s18, s19, s9
	s_lshl_b64 s[8:9], s[12:13], 2
	s_add_u32 s12, s17, s8
	s_addc_u32 s13, s18, s9
.LBB86_3:
	s_clause 0x1
	s_load_dwordx2 s[8:9], s[4:5], 0x8
	s_load_dword s4, s[4:5], 0x38
	v_lshlrev_b32_e32 v49, 3, v0
	s_waitcnt lgkmcnt(0)
	s_ashr_i32 s19, s8, 31
	s_mov_b32 s18, s8
	v_add3_u32 v9, s9, s9, v0
	s_lshl_b64 s[18:19], s[18:19], 3
	s_add_u32 s5, s14, s18
	s_addc_u32 s8, s15, s19
	v_add_co_u32 v1, s14, s5, v49
	v_add_co_ci_u32_e64 v2, null, s8, 0, s14
	s_mov_b32 s14, s9
	s_ashr_i32 s15, s9, 31
	v_ashrrev_i32_e32 v10, 31, v9
	flat_load_dwordx2 v[5:6], v[1:2]
	s_lshl_b64 s[14:15], s[14:15], 3
	v_add_nc_u32_e32 v12, s9, v9
	v_add_co_u32 v3, vcc_lo, v1, s14
	v_add_co_ci_u32_e64 v4, null, s15, v2, vcc_lo
	v_ashrrev_i32_e32 v13, 31, v12
	s_bitcmp0_b32 s4, 0
	s_waitcnt vmcnt(0) lgkmcnt(0)
	buffer_store_dword v6, off, s[0:3], 0 offset:4
	buffer_store_dword v5, off, s[0:3], 0
	flat_load_dwordx2 v[7:8], v[3:4]
	v_lshlrev_b64 v[5:6], 3, v[9:10]
	s_waitcnt vmcnt(0) lgkmcnt(0)
	buffer_store_dword v8, off, s[0:3], 0 offset:12
	buffer_store_dword v7, off, s[0:3], 0 offset:8
	v_add_co_u32 v5, vcc_lo, s5, v5
	v_add_co_ci_u32_e64 v6, null, s8, v6, vcc_lo
	v_lshlrev_b64 v[7:8], 3, v[12:13]
	flat_load_dwordx2 v[10:11], v[5:6]
	s_waitcnt vmcnt(0) lgkmcnt(0)
	buffer_store_dword v11, off, s[0:3], 0 offset:20
	buffer_store_dword v10, off, s[0:3], 0 offset:16
	v_add_co_u32 v7, vcc_lo, s5, v7
	v_add_co_ci_u32_e64 v8, null, s8, v8, vcc_lo
	v_add_nc_u32_e32 v11, s9, v12
	flat_load_dwordx2 v[13:14], v[7:8]
	s_waitcnt vmcnt(0) lgkmcnt(0)
	buffer_store_dword v14, off, s[0:3], 0 offset:28
	buffer_store_dword v13, off, s[0:3], 0 offset:24
	v_ashrrev_i32_e32 v12, 31, v11
	v_add_nc_u32_e32 v15, s9, v11
	v_lshlrev_b64 v[9:10], 3, v[11:12]
	v_ashrrev_i32_e32 v16, 31, v15
	v_add_nc_u32_e32 v18, s9, v15
	v_add_co_u32 v9, vcc_lo, s5, v9
	v_add_co_ci_u32_e64 v10, null, s8, v10, vcc_lo
	v_lshlrev_b64 v[11:12], 3, v[15:16]
	v_ashrrev_i32_e32 v19, 31, v18
	flat_load_dwordx2 v[13:14], v[9:10]
	s_waitcnt vmcnt(0) lgkmcnt(0)
	buffer_store_dword v14, off, s[0:3], 0 offset:36
	buffer_store_dword v13, off, s[0:3], 0 offset:32
	v_add_co_u32 v11, vcc_lo, s5, v11
	v_add_co_ci_u32_e64 v12, null, s8, v12, vcc_lo
	v_lshlrev_b64 v[13:14], 3, v[18:19]
	flat_load_dwordx2 v[16:17], v[11:12]
	s_waitcnt vmcnt(0) lgkmcnt(0)
	buffer_store_dword v17, off, s[0:3], 0 offset:44
	buffer_store_dword v16, off, s[0:3], 0 offset:40
	v_add_co_u32 v13, vcc_lo, s5, v13
	v_add_co_ci_u32_e64 v14, null, s8, v14, vcc_lo
	v_add_nc_u32_e32 v17, s9, v18
	flat_load_dwordx2 v[19:20], v[13:14]
	s_waitcnt vmcnt(0) lgkmcnt(0)
	buffer_store_dword v20, off, s[0:3], 0 offset:52
	buffer_store_dword v19, off, s[0:3], 0 offset:48
	v_ashrrev_i32_e32 v18, 31, v17
	v_add_nc_u32_e32 v21, s9, v17
	v_lshlrev_b64 v[15:16], 3, v[17:18]
	v_ashrrev_i32_e32 v22, 31, v21
	v_add_nc_u32_e32 v24, s9, v21
	v_add_co_u32 v15, vcc_lo, s5, v15
	v_add_co_ci_u32_e64 v16, null, s8, v16, vcc_lo
	v_lshlrev_b64 v[17:18], 3, v[21:22]
	v_ashrrev_i32_e32 v25, 31, v24
	flat_load_dwordx2 v[19:20], v[15:16]
	;; [unrolled: 27-line block ×5, first 2 shown]
	s_waitcnt vmcnt(0) lgkmcnt(0)
	buffer_store_dword v38, off, s[0:3], 0 offset:132
	buffer_store_dword v37, off, s[0:3], 0 offset:128
	v_add_co_u32 v35, vcc_lo, s5, v35
	v_add_co_ci_u32_e64 v36, null, s8, v36, vcc_lo
	v_lshlrev_b64 v[37:38], 3, v[42:43]
	flat_load_dwordx2 v[40:41], v[35:36]
	s_waitcnt vmcnt(0) lgkmcnt(0)
	buffer_store_dword v41, off, s[0:3], 0 offset:140
	buffer_store_dword v40, off, s[0:3], 0 offset:136
	v_add_co_u32 v37, vcc_lo, s5, v37
	v_add_co_ci_u32_e64 v38, null, s8, v38, vcc_lo
	v_add_nc_u32_e32 v41, s9, v42
	flat_load_dwordx2 v[43:44], v[37:38]
	s_waitcnt vmcnt(0) lgkmcnt(0)
	buffer_store_dword v44, off, s[0:3], 0 offset:148
	buffer_store_dword v43, off, s[0:3], 0 offset:144
	v_ashrrev_i32_e32 v42, 31, v41
	v_add_nc_u32_e32 v45, s9, v41
	v_lshlrev_b64 v[39:40], 3, v[41:42]
	v_ashrrev_i32_e32 v46, 31, v45
	v_add_nc_u32_e32 v50, s9, v45
	v_add_co_u32 v39, vcc_lo, s5, v39
	v_add_co_ci_u32_e64 v40, null, s8, v40, vcc_lo
	v_lshlrev_b64 v[41:42], 3, v[45:46]
	v_ashrrev_i32_e32 v51, 31, v50
	v_add_nc_u32_e32 v45, s9, v50
	flat_load_dwordx2 v[43:44], v[39:40]
	s_waitcnt vmcnt(0) lgkmcnt(0)
	buffer_store_dword v44, off, s[0:3], 0 offset:156
	buffer_store_dword v43, off, s[0:3], 0 offset:152
	v_add_co_u32 v41, vcc_lo, s5, v41
	v_add_co_ci_u32_e64 v42, null, s8, v42, vcc_lo
	v_lshlrev_b64 v[43:44], 3, v[50:51]
	flat_load_dwordx2 v[46:47], v[41:42]
	s_waitcnt vmcnt(0) lgkmcnt(0)
	buffer_store_dword v47, off, s[0:3], 0 offset:164
	buffer_store_dword v46, off, s[0:3], 0 offset:160
	v_add_co_u32 v43, vcc_lo, s5, v43
	v_add_co_ci_u32_e64 v44, null, s8, v44, vcc_lo
	v_ashrrev_i32_e32 v46, 31, v45
	flat_load_dwordx2 v[47:48], v[43:44]
	s_waitcnt vmcnt(0) lgkmcnt(0)
	buffer_store_dword v48, off, s[0:3], 0 offset:172
	buffer_store_dword v47, off, s[0:3], 0 offset:168
	v_lshlrev_b64 v[45:46], 3, v[45:46]
	v_add_co_u32 v45, vcc_lo, s5, v45
	v_add_co_ci_u32_e64 v46, null, s8, v46, vcc_lo
	s_mov_b32 s5, -1
	flat_load_dwordx2 v[47:48], v[45:46]
	s_waitcnt vmcnt(0) lgkmcnt(0)
	buffer_store_dword v48, off, s[0:3], 0 offset:180
	buffer_store_dword v47, off, s[0:3], 0 offset:176
	s_cbranch_scc1 .LBB86_104
; %bb.4:
	v_cmp_eq_u32_e64 s4, 0, v0
	s_and_saveexec_b32 s5, s4
; %bb.5:
	v_mov_b32_e32 v47, 0
	ds_write_b32 v47, v47 offset:184
; %bb.6:
	s_or_b32 exec_lo, exec_lo, s5
	v_lshl_add_u32 v51, v0, 3, 0
	s_waitcnt lgkmcnt(0)
	s_waitcnt_vscnt null, 0x0
	s_barrier
	buffer_gl0_inv
	s_clause 0x1
	buffer_load_dword v47, v51, s[0:3], 0 offen
	buffer_load_dword v48, v51, s[0:3], 0 offen offset:4
	s_waitcnt vmcnt(1)
	v_cmp_eq_f32_e32 vcc_lo, 0, v47
	s_waitcnt vmcnt(0)
	v_cmp_eq_f32_e64 s5, 0, v48
	s_and_b32 s5, vcc_lo, s5
	s_and_saveexec_b32 s8, s5
	s_cbranch_execz .LBB86_10
; %bb.7:
	v_mov_b32_e32 v47, 0
	s_mov_b32 s9, 0
	ds_read_b32 v48, v47 offset:184
	s_waitcnt lgkmcnt(0)
	v_readfirstlane_b32 s5, v48
	v_add_nc_u32_e32 v48, 1, v0
	s_cmp_eq_u32 s5, 0
	v_cmp_gt_i32_e32 vcc_lo, s5, v48
	s_cselect_b32 s14, -1, 0
	s_or_b32 s14, s14, vcc_lo
	s_and_b32 exec_lo, exec_lo, s14
	s_cbranch_execz .LBB86_10
; %bb.8:
	v_mov_b32_e32 v50, s5
.LBB86_9:                               ; =>This Inner Loop Header: Depth=1
	ds_cmpst_rtn_b32 v50, v47, v50, v48 offset:184
	s_waitcnt lgkmcnt(0)
	v_cmp_ne_u32_e32 vcc_lo, 0, v50
	v_cmp_le_i32_e64 s5, v50, v48
	s_and_b32 s5, vcc_lo, s5
	s_and_b32 s5, exec_lo, s5
	s_or_b32 s9, s5, s9
	s_andn2_b32 exec_lo, exec_lo, s9
	s_cbranch_execnz .LBB86_9
.LBB86_10:
	s_or_b32 exec_lo, exec_lo, s8
	v_mov_b32_e32 v47, 0
	s_barrier
	buffer_gl0_inv
	ds_read_b32 v48, v47 offset:184
	s_and_saveexec_b32 s5, s4
	s_cbranch_execz .LBB86_12
; %bb.11:
	s_lshl_b64 s[8:9], s[6:7], 2
	s_add_u32 s8, s10, s8
	s_addc_u32 s9, s11, s9
	s_waitcnt lgkmcnt(0)
	global_store_dword v47, v48, s[8:9]
.LBB86_12:
	s_or_b32 exec_lo, exec_lo, s5
	s_waitcnt lgkmcnt(0)
	v_cmp_ne_u32_e32 vcc_lo, 0, v48
	s_mov_b32 s5, 0
	s_cbranch_vccnz .LBB86_104
; %bb.13:
	s_clause 0x1
	buffer_load_dword v48, v51, s[0:3], 0 offen
	buffer_load_dword v50, v51, s[0:3], 0 offen offset:4
                                        ; implicit-def: $vgpr53
                                        ; implicit-def: $vgpr52
                                        ; implicit-def: $vgpr47
	s_waitcnt vmcnt(0)
	v_cmp_ngt_f32_e64 s5, |v48|, |v50|
	s_and_saveexec_b32 s8, s5
	s_xor_b32 s5, exec_lo, s8
	s_cbranch_execz .LBB86_15
; %bb.14:
	v_div_scale_f32 v47, null, v50, v50, v48
	v_div_scale_f32 v54, vcc_lo, v48, v50, v48
	v_rcp_f32_e32 v52, v47
	v_fma_f32 v53, -v47, v52, 1.0
	v_fmac_f32_e32 v52, v53, v52
	v_mul_f32_e32 v53, v54, v52
	v_fma_f32 v55, -v47, v53, v54
	v_fmac_f32_e32 v53, v55, v52
	v_fma_f32 v47, -v47, v53, v54
	v_div_fmas_f32 v47, v47, v52, v53
	v_div_fixup_f32 v47, v47, v50, v48
	v_fmac_f32_e32 v50, v48, v47
	v_div_scale_f32 v48, null, v50, v50, 1.0
	v_rcp_f32_e32 v52, v48
	v_fma_f32 v53, -v48, v52, 1.0
	v_fmac_f32_e32 v52, v53, v52
	v_div_scale_f32 v53, vcc_lo, 1.0, v50, 1.0
	v_mul_f32_e32 v54, v53, v52
	v_fma_f32 v55, -v48, v54, v53
	v_fmac_f32_e32 v54, v55, v52
	v_fma_f32 v48, -v48, v54, v53
	v_div_fmas_f32 v48, v48, v52, v54
	v_div_fixup_f32 v48, v48, v50, 1.0
                                        ; implicit-def: $vgpr50
	v_mul_f32_e32 v53, v47, v48
	v_xor_b32_e32 v52, 0x80000000, v48
                                        ; implicit-def: $vgpr48
	v_xor_b32_e32 v47, 0x80000000, v53
.LBB86_15:
	s_andn2_saveexec_b32 s5, s5
	s_cbranch_execz .LBB86_17
; %bb.16:
	v_div_scale_f32 v47, null, v48, v48, v50
	v_div_scale_f32 v54, vcc_lo, v50, v48, v50
	v_rcp_f32_e32 v52, v47
	v_fma_f32 v53, -v47, v52, 1.0
	v_fmac_f32_e32 v52, v53, v52
	v_mul_f32_e32 v53, v54, v52
	v_fma_f32 v55, -v47, v53, v54
	v_fmac_f32_e32 v53, v55, v52
	v_fma_f32 v47, -v47, v53, v54
	v_div_fmas_f32 v47, v47, v52, v53
	v_div_fixup_f32 v52, v47, v48, v50
	v_fmac_f32_e32 v48, v50, v52
	v_div_scale_f32 v47, null, v48, v48, 1.0
	v_div_scale_f32 v54, vcc_lo, 1.0, v48, 1.0
	v_rcp_f32_e32 v50, v47
	v_fma_f32 v53, -v47, v50, 1.0
	v_fmac_f32_e32 v50, v53, v50
	v_mul_f32_e32 v53, v54, v50
	v_fma_f32 v55, -v47, v53, v54
	v_fmac_f32_e32 v53, v55, v50
	v_fma_f32 v47, -v47, v53, v54
	v_div_fmas_f32 v47, v47, v50, v53
	v_div_fixup_f32 v53, v47, v48, 1.0
	v_xor_b32_e32 v47, 0x80000000, v53
	v_mul_f32_e64 v52, v52, -v53
.LBB86_17:
	s_or_b32 exec_lo, exec_lo, s5
	buffer_store_dword v53, v51, s[0:3], 0 offen
	buffer_store_dword v52, v51, s[0:3], 0 offen offset:4
	s_clause 0x1
	buffer_load_dword v54, off, s[0:3], 0 offset:12
	buffer_load_dword v53, off, s[0:3], 0 offset:8
	v_xor_b32_e32 v48, 0x80000000, v52
	v_add_nc_u32_e32 v50, 0xc0, v49
	s_waitcnt vmcnt(0)
	ds_write2_b64 v49, v[47:48], v[53:54] offset1:24
	s_waitcnt lgkmcnt(0)
	s_waitcnt_vscnt null, 0x0
	s_barrier
	buffer_gl0_inv
	s_and_saveexec_b32 s5, s4
	s_cbranch_execz .LBB86_19
; %bb.18:
	s_clause 0x1
	buffer_load_dword v54, v51, s[0:3], 0 offen offset:4
	buffer_load_dword v55, v51, s[0:3], 0 offen
	ds_read_b64 v[47:48], v50
	v_mov_b32_e32 v52, 0
	ds_read_b64 v[52:53], v52 offset:8
	s_waitcnt vmcnt(1) lgkmcnt(1)
	v_mul_f32_e32 v56, v47, v54
	v_mul_f32_e32 v54, v48, v54
	s_waitcnt vmcnt(0)
	v_fmac_f32_e32 v56, v48, v55
	v_fma_f32 v47, v47, v55, -v54
	v_add_f32_e32 v48, 0, v56
	v_add_f32_e32 v47, 0, v47
	s_waitcnt lgkmcnt(0)
	v_mul_f32_e32 v54, v48, v53
	v_mul_f32_e32 v53, v47, v53
	v_fma_f32 v47, v47, v52, -v54
	v_fmac_f32_e32 v53, v48, v52
	buffer_store_dword v47, off, s[0:3], 0 offset:8
	buffer_store_dword v53, off, s[0:3], 0 offset:12
.LBB86_19:
	s_or_b32 exec_lo, exec_lo, s5
	s_waitcnt_vscnt null, 0x0
	s_barrier
	buffer_gl0_inv
	s_clause 0x1
	buffer_load_dword v47, off, s[0:3], 0 offset:16
	buffer_load_dword v48, off, s[0:3], 0 offset:20
	s_mov_b32 s5, exec_lo
	s_waitcnt vmcnt(0)
	ds_write_b64 v50, v[47:48]
	s_waitcnt lgkmcnt(0)
	s_barrier
	buffer_gl0_inv
	v_cmpx_gt_u32_e32 2, v0
	s_cbranch_execz .LBB86_23
; %bb.20:
	s_clause 0x1
	buffer_load_dword v52, v51, s[0:3], 0 offen offset:4
	buffer_load_dword v51, v51, s[0:3], 0 offen
	ds_read_b64 v[47:48], v50
	s_waitcnt vmcnt(1) lgkmcnt(0)
	v_mul_f32_e32 v53, v48, v52
	v_mul_f32_e32 v52, v47, v52
	s_waitcnt vmcnt(0)
	v_fma_f32 v47, v47, v51, -v53
	v_fmac_f32_e32 v52, v48, v51
	v_add_f32_e32 v48, 0, v47
	v_add_f32_e32 v47, 0, v52
	s_and_saveexec_b32 s8, s4
	s_cbranch_execz .LBB86_22
; %bb.21:
	s_clause 0x1
	buffer_load_dword v53, off, s[0:3], 0 offset:12
	buffer_load_dword v54, off, s[0:3], 0 offset:8
	v_mov_b32_e32 v51, 0
	ds_read_b64 v[51:52], v51 offset:200
	s_waitcnt vmcnt(1) lgkmcnt(0)
	v_mul_f32_e32 v55, v51, v53
	v_mul_f32_e32 v53, v52, v53
	s_waitcnt vmcnt(0)
	v_fmac_f32_e32 v55, v52, v54
	v_fma_f32 v51, v51, v54, -v53
	v_add_f32_e32 v47, v47, v55
	v_add_f32_e32 v48, v48, v51
.LBB86_22:
	s_or_b32 exec_lo, exec_lo, s8
	v_mov_b32_e32 v51, 0
	ds_read_b64 v[51:52], v51 offset:16
	s_waitcnt lgkmcnt(0)
	v_mul_f32_e32 v53, v47, v52
	v_mul_f32_e32 v52, v48, v52
	v_fma_f32 v48, v48, v51, -v53
	v_fmac_f32_e32 v52, v47, v51
	buffer_store_dword v48, off, s[0:3], 0 offset:16
	buffer_store_dword v52, off, s[0:3], 0 offset:20
.LBB86_23:
	s_or_b32 exec_lo, exec_lo, s5
	s_waitcnt_vscnt null, 0x0
	s_barrier
	buffer_gl0_inv
	s_clause 0x1
	buffer_load_dword v51, off, s[0:3], 0 offset:24
	buffer_load_dword v52, off, s[0:3], 0 offset:28
	v_add_nc_u32_e32 v47, -1, v0
	s_mov_b32 s4, exec_lo
	s_waitcnt vmcnt(0)
	ds_write_b64 v50, v[51:52]
	s_waitcnt lgkmcnt(0)
	s_barrier
	buffer_gl0_inv
	v_cmpx_gt_u32_e32 3, v0
	s_cbranch_execz .LBB86_27
; %bb.24:
	v_add_nc_u32_e32 v51, -1, v0
	v_add_nc_u32_e32 v52, 0xc0, v49
	v_mov_b32_e32 v53, v49
	v_mov_b32_e32 v48, 0
	;; [unrolled: 1-line block ×3, first 2 shown]
	s_mov_b32 s5, 0
	.p2align	6
.LBB86_25:                              ; =>This Inner Loop Header: Depth=1
	s_clause 0x1
	buffer_load_dword v57, v53, s[0:3], 0 offen offset:4
	buffer_load_dword v58, v53, s[0:3], 0 offen
	ds_read_b64 v[55:56], v52
	v_add_nc_u32_e32 v51, 1, v51
	v_add_nc_u32_e32 v52, 8, v52
	;; [unrolled: 1-line block ×3, first 2 shown]
	v_cmp_lt_u32_e32 vcc_lo, 1, v51
	s_or_b32 s5, vcc_lo, s5
	s_waitcnt vmcnt(1) lgkmcnt(0)
	v_mul_f32_e32 v59, v56, v57
	v_mul_f32_e32 v57, v55, v57
	s_waitcnt vmcnt(0)
	v_fma_f32 v55, v55, v58, -v59
	v_fmac_f32_e32 v57, v56, v58
	v_add_f32_e32 v54, v54, v55
	v_add_f32_e32 v48, v48, v57
	s_andn2_b32 exec_lo, exec_lo, s5
	s_cbranch_execnz .LBB86_25
; %bb.26:
	s_or_b32 exec_lo, exec_lo, s5
	v_mov_b32_e32 v51, 0
	ds_read_b64 v[51:52], v51 offset:24
	s_waitcnt lgkmcnt(0)
	v_mul_f32_e32 v53, v48, v52
	v_mul_f32_e32 v52, v54, v52
	v_fma_f32 v53, v54, v51, -v53
	v_fmac_f32_e32 v52, v48, v51
	buffer_store_dword v53, off, s[0:3], 0 offset:24
	buffer_store_dword v52, off, s[0:3], 0 offset:28
.LBB86_27:
	s_or_b32 exec_lo, exec_lo, s4
	s_waitcnt_vscnt null, 0x0
	s_barrier
	buffer_gl0_inv
	s_clause 0x1
	buffer_load_dword v51, off, s[0:3], 0 offset:32
	buffer_load_dword v52, off, s[0:3], 0 offset:36
	s_mov_b32 s4, exec_lo
	s_waitcnt vmcnt(0)
	ds_write_b64 v50, v[51:52]
	s_waitcnt lgkmcnt(0)
	s_barrier
	buffer_gl0_inv
	v_cmpx_gt_u32_e32 4, v0
	s_cbranch_execz .LBB86_31
; %bb.28:
	v_add_nc_u32_e32 v51, -1, v0
	v_add_nc_u32_e32 v52, 0xc0, v49
	v_mov_b32_e32 v53, v49
	v_mov_b32_e32 v48, 0
	;; [unrolled: 1-line block ×3, first 2 shown]
	s_mov_b32 s5, 0
	.p2align	6
.LBB86_29:                              ; =>This Inner Loop Header: Depth=1
	s_clause 0x1
	buffer_load_dword v57, v53, s[0:3], 0 offen offset:4
	buffer_load_dword v58, v53, s[0:3], 0 offen
	ds_read_b64 v[55:56], v52
	v_add_nc_u32_e32 v51, 1, v51
	v_add_nc_u32_e32 v52, 8, v52
	;; [unrolled: 1-line block ×3, first 2 shown]
	v_cmp_lt_u32_e32 vcc_lo, 2, v51
	s_or_b32 s5, vcc_lo, s5
	s_waitcnt vmcnt(1) lgkmcnt(0)
	v_mul_f32_e32 v59, v56, v57
	v_mul_f32_e32 v57, v55, v57
	s_waitcnt vmcnt(0)
	v_fma_f32 v55, v55, v58, -v59
	v_fmac_f32_e32 v57, v56, v58
	v_add_f32_e32 v54, v54, v55
	v_add_f32_e32 v48, v48, v57
	s_andn2_b32 exec_lo, exec_lo, s5
	s_cbranch_execnz .LBB86_29
; %bb.30:
	s_or_b32 exec_lo, exec_lo, s5
	v_mov_b32_e32 v51, 0
	ds_read_b64 v[51:52], v51 offset:32
	s_waitcnt lgkmcnt(0)
	v_mul_f32_e32 v53, v48, v52
	v_mul_f32_e32 v52, v54, v52
	v_fma_f32 v53, v54, v51, -v53
	v_fmac_f32_e32 v52, v48, v51
	buffer_store_dword v53, off, s[0:3], 0 offset:32
	buffer_store_dword v52, off, s[0:3], 0 offset:36
.LBB86_31:
	s_or_b32 exec_lo, exec_lo, s4
	s_waitcnt_vscnt null, 0x0
	s_barrier
	buffer_gl0_inv
	s_clause 0x1
	buffer_load_dword v51, off, s[0:3], 0 offset:40
	buffer_load_dword v52, off, s[0:3], 0 offset:44
	s_mov_b32 s4, exec_lo
	s_waitcnt vmcnt(0)
	ds_write_b64 v50, v[51:52]
	s_waitcnt lgkmcnt(0)
	s_barrier
	buffer_gl0_inv
	v_cmpx_gt_u32_e32 5, v0
	s_cbranch_execz .LBB86_35
; %bb.32:
	v_add_nc_u32_e32 v51, -1, v0
	v_add_nc_u32_e32 v52, 0xc0, v49
	v_mov_b32_e32 v53, v49
	v_mov_b32_e32 v48, 0
	;; [unrolled: 1-line block ×3, first 2 shown]
	s_mov_b32 s5, 0
	.p2align	6
.LBB86_33:                              ; =>This Inner Loop Header: Depth=1
	s_clause 0x1
	buffer_load_dword v57, v53, s[0:3], 0 offen offset:4
	buffer_load_dword v58, v53, s[0:3], 0 offen
	ds_read_b64 v[55:56], v52
	v_add_nc_u32_e32 v51, 1, v51
	v_add_nc_u32_e32 v52, 8, v52
	v_add_nc_u32_e32 v53, 8, v53
	v_cmp_lt_u32_e32 vcc_lo, 3, v51
	s_or_b32 s5, vcc_lo, s5
	s_waitcnt vmcnt(1) lgkmcnt(0)
	v_mul_f32_e32 v59, v56, v57
	v_mul_f32_e32 v57, v55, v57
	s_waitcnt vmcnt(0)
	v_fma_f32 v55, v55, v58, -v59
	v_fmac_f32_e32 v57, v56, v58
	v_add_f32_e32 v54, v54, v55
	v_add_f32_e32 v48, v48, v57
	s_andn2_b32 exec_lo, exec_lo, s5
	s_cbranch_execnz .LBB86_33
; %bb.34:
	s_or_b32 exec_lo, exec_lo, s5
	v_mov_b32_e32 v51, 0
	ds_read_b64 v[51:52], v51 offset:40
	s_waitcnt lgkmcnt(0)
	v_mul_f32_e32 v53, v48, v52
	v_mul_f32_e32 v52, v54, v52
	v_fma_f32 v53, v54, v51, -v53
	v_fmac_f32_e32 v52, v48, v51
	buffer_store_dword v53, off, s[0:3], 0 offset:40
	buffer_store_dword v52, off, s[0:3], 0 offset:44
.LBB86_35:
	s_or_b32 exec_lo, exec_lo, s4
	s_waitcnt_vscnt null, 0x0
	s_barrier
	buffer_gl0_inv
	s_clause 0x1
	buffer_load_dword v51, off, s[0:3], 0 offset:48
	buffer_load_dword v52, off, s[0:3], 0 offset:52
	s_mov_b32 s4, exec_lo
	s_waitcnt vmcnt(0)
	ds_write_b64 v50, v[51:52]
	s_waitcnt lgkmcnt(0)
	s_barrier
	buffer_gl0_inv
	v_cmpx_gt_u32_e32 6, v0
	s_cbranch_execz .LBB86_39
; %bb.36:
	v_add_nc_u32_e32 v51, -1, v0
	v_add_nc_u32_e32 v52, 0xc0, v49
	v_mov_b32_e32 v53, v49
	v_mov_b32_e32 v48, 0
	;; [unrolled: 1-line block ×3, first 2 shown]
	s_mov_b32 s5, 0
	.p2align	6
.LBB86_37:                              ; =>This Inner Loop Header: Depth=1
	s_clause 0x1
	buffer_load_dword v57, v53, s[0:3], 0 offen offset:4
	buffer_load_dword v58, v53, s[0:3], 0 offen
	ds_read_b64 v[55:56], v52
	v_add_nc_u32_e32 v51, 1, v51
	v_add_nc_u32_e32 v52, 8, v52
	;; [unrolled: 1-line block ×3, first 2 shown]
	v_cmp_lt_u32_e32 vcc_lo, 4, v51
	s_or_b32 s5, vcc_lo, s5
	s_waitcnt vmcnt(1) lgkmcnt(0)
	v_mul_f32_e32 v59, v56, v57
	v_mul_f32_e32 v57, v55, v57
	s_waitcnt vmcnt(0)
	v_fma_f32 v55, v55, v58, -v59
	v_fmac_f32_e32 v57, v56, v58
	v_add_f32_e32 v54, v54, v55
	v_add_f32_e32 v48, v48, v57
	s_andn2_b32 exec_lo, exec_lo, s5
	s_cbranch_execnz .LBB86_37
; %bb.38:
	s_or_b32 exec_lo, exec_lo, s5
	v_mov_b32_e32 v51, 0
	ds_read_b64 v[51:52], v51 offset:48
	s_waitcnt lgkmcnt(0)
	v_mul_f32_e32 v53, v48, v52
	v_mul_f32_e32 v52, v54, v52
	v_fma_f32 v53, v54, v51, -v53
	v_fmac_f32_e32 v52, v48, v51
	buffer_store_dword v53, off, s[0:3], 0 offset:48
	buffer_store_dword v52, off, s[0:3], 0 offset:52
.LBB86_39:
	s_or_b32 exec_lo, exec_lo, s4
	s_waitcnt_vscnt null, 0x0
	s_barrier
	buffer_gl0_inv
	s_clause 0x1
	buffer_load_dword v51, off, s[0:3], 0 offset:56
	buffer_load_dword v52, off, s[0:3], 0 offset:60
	s_mov_b32 s4, exec_lo
	s_waitcnt vmcnt(0)
	ds_write_b64 v50, v[51:52]
	s_waitcnt lgkmcnt(0)
	s_barrier
	buffer_gl0_inv
	v_cmpx_gt_u32_e32 7, v0
	s_cbranch_execz .LBB86_43
; %bb.40:
	v_add_nc_u32_e32 v51, -1, v0
	v_add_nc_u32_e32 v52, 0xc0, v49
	v_mov_b32_e32 v53, v49
	v_mov_b32_e32 v48, 0
	;; [unrolled: 1-line block ×3, first 2 shown]
	s_mov_b32 s5, 0
	.p2align	6
.LBB86_41:                              ; =>This Inner Loop Header: Depth=1
	s_clause 0x1
	buffer_load_dword v57, v53, s[0:3], 0 offen offset:4
	buffer_load_dword v58, v53, s[0:3], 0 offen
	ds_read_b64 v[55:56], v52
	v_add_nc_u32_e32 v51, 1, v51
	v_add_nc_u32_e32 v52, 8, v52
	;; [unrolled: 1-line block ×3, first 2 shown]
	v_cmp_lt_u32_e32 vcc_lo, 5, v51
	s_or_b32 s5, vcc_lo, s5
	s_waitcnt vmcnt(1) lgkmcnt(0)
	v_mul_f32_e32 v59, v56, v57
	v_mul_f32_e32 v57, v55, v57
	s_waitcnt vmcnt(0)
	v_fma_f32 v55, v55, v58, -v59
	v_fmac_f32_e32 v57, v56, v58
	v_add_f32_e32 v54, v54, v55
	v_add_f32_e32 v48, v48, v57
	s_andn2_b32 exec_lo, exec_lo, s5
	s_cbranch_execnz .LBB86_41
; %bb.42:
	s_or_b32 exec_lo, exec_lo, s5
	v_mov_b32_e32 v51, 0
	ds_read_b64 v[51:52], v51 offset:56
	s_waitcnt lgkmcnt(0)
	v_mul_f32_e32 v53, v48, v52
	v_mul_f32_e32 v52, v54, v52
	v_fma_f32 v53, v54, v51, -v53
	v_fmac_f32_e32 v52, v48, v51
	buffer_store_dword v53, off, s[0:3], 0 offset:56
	buffer_store_dword v52, off, s[0:3], 0 offset:60
.LBB86_43:
	s_or_b32 exec_lo, exec_lo, s4
	s_waitcnt_vscnt null, 0x0
	s_barrier
	buffer_gl0_inv
	s_clause 0x1
	buffer_load_dword v51, off, s[0:3], 0 offset:64
	buffer_load_dword v52, off, s[0:3], 0 offset:68
	s_mov_b32 s4, exec_lo
	s_waitcnt vmcnt(0)
	ds_write_b64 v50, v[51:52]
	s_waitcnt lgkmcnt(0)
	s_barrier
	buffer_gl0_inv
	v_cmpx_gt_u32_e32 8, v0
	s_cbranch_execz .LBB86_47
; %bb.44:
	v_add_nc_u32_e32 v51, -1, v0
	v_add_nc_u32_e32 v52, 0xc0, v49
	v_mov_b32_e32 v53, v49
	v_mov_b32_e32 v48, 0
	;; [unrolled: 1-line block ×3, first 2 shown]
	s_mov_b32 s5, 0
	.p2align	6
.LBB86_45:                              ; =>This Inner Loop Header: Depth=1
	s_clause 0x1
	buffer_load_dword v57, v53, s[0:3], 0 offen offset:4
	buffer_load_dword v58, v53, s[0:3], 0 offen
	ds_read_b64 v[55:56], v52
	v_add_nc_u32_e32 v51, 1, v51
	v_add_nc_u32_e32 v52, 8, v52
	;; [unrolled: 1-line block ×3, first 2 shown]
	v_cmp_lt_u32_e32 vcc_lo, 6, v51
	s_or_b32 s5, vcc_lo, s5
	s_waitcnt vmcnt(1) lgkmcnt(0)
	v_mul_f32_e32 v59, v56, v57
	v_mul_f32_e32 v57, v55, v57
	s_waitcnt vmcnt(0)
	v_fma_f32 v55, v55, v58, -v59
	v_fmac_f32_e32 v57, v56, v58
	v_add_f32_e32 v54, v54, v55
	v_add_f32_e32 v48, v48, v57
	s_andn2_b32 exec_lo, exec_lo, s5
	s_cbranch_execnz .LBB86_45
; %bb.46:
	s_or_b32 exec_lo, exec_lo, s5
	v_mov_b32_e32 v51, 0
	ds_read_b64 v[51:52], v51 offset:64
	s_waitcnt lgkmcnt(0)
	v_mul_f32_e32 v53, v48, v52
	v_mul_f32_e32 v52, v54, v52
	v_fma_f32 v53, v54, v51, -v53
	v_fmac_f32_e32 v52, v48, v51
	buffer_store_dword v53, off, s[0:3], 0 offset:64
	buffer_store_dword v52, off, s[0:3], 0 offset:68
.LBB86_47:
	s_or_b32 exec_lo, exec_lo, s4
	s_waitcnt_vscnt null, 0x0
	s_barrier
	buffer_gl0_inv
	s_clause 0x1
	buffer_load_dword v51, off, s[0:3], 0 offset:72
	buffer_load_dword v52, off, s[0:3], 0 offset:76
	s_mov_b32 s4, exec_lo
	s_waitcnt vmcnt(0)
	ds_write_b64 v50, v[51:52]
	s_waitcnt lgkmcnt(0)
	s_barrier
	buffer_gl0_inv
	v_cmpx_gt_u32_e32 9, v0
	s_cbranch_execz .LBB86_51
; %bb.48:
	v_add_nc_u32_e32 v51, -1, v0
	v_add_nc_u32_e32 v52, 0xc0, v49
	v_mov_b32_e32 v53, v49
	v_mov_b32_e32 v48, 0
	;; [unrolled: 1-line block ×3, first 2 shown]
	s_mov_b32 s5, 0
	.p2align	6
.LBB86_49:                              ; =>This Inner Loop Header: Depth=1
	s_clause 0x1
	buffer_load_dword v57, v53, s[0:3], 0 offen offset:4
	buffer_load_dword v58, v53, s[0:3], 0 offen
	ds_read_b64 v[55:56], v52
	v_add_nc_u32_e32 v51, 1, v51
	v_add_nc_u32_e32 v52, 8, v52
	;; [unrolled: 1-line block ×3, first 2 shown]
	v_cmp_lt_u32_e32 vcc_lo, 7, v51
	s_or_b32 s5, vcc_lo, s5
	s_waitcnt vmcnt(1) lgkmcnt(0)
	v_mul_f32_e32 v59, v56, v57
	v_mul_f32_e32 v57, v55, v57
	s_waitcnt vmcnt(0)
	v_fma_f32 v55, v55, v58, -v59
	v_fmac_f32_e32 v57, v56, v58
	v_add_f32_e32 v54, v54, v55
	v_add_f32_e32 v48, v48, v57
	s_andn2_b32 exec_lo, exec_lo, s5
	s_cbranch_execnz .LBB86_49
; %bb.50:
	s_or_b32 exec_lo, exec_lo, s5
	v_mov_b32_e32 v51, 0
	ds_read_b64 v[51:52], v51 offset:72
	s_waitcnt lgkmcnt(0)
	v_mul_f32_e32 v53, v48, v52
	v_mul_f32_e32 v52, v54, v52
	v_fma_f32 v53, v54, v51, -v53
	v_fmac_f32_e32 v52, v48, v51
	buffer_store_dword v53, off, s[0:3], 0 offset:72
	buffer_store_dword v52, off, s[0:3], 0 offset:76
.LBB86_51:
	s_or_b32 exec_lo, exec_lo, s4
	s_waitcnt_vscnt null, 0x0
	s_barrier
	buffer_gl0_inv
	s_clause 0x1
	buffer_load_dword v51, off, s[0:3], 0 offset:80
	buffer_load_dword v52, off, s[0:3], 0 offset:84
	s_mov_b32 s4, exec_lo
	s_waitcnt vmcnt(0)
	ds_write_b64 v50, v[51:52]
	s_waitcnt lgkmcnt(0)
	s_barrier
	buffer_gl0_inv
	v_cmpx_gt_u32_e32 10, v0
	s_cbranch_execz .LBB86_55
; %bb.52:
	v_add_nc_u32_e32 v51, -1, v0
	v_add_nc_u32_e32 v52, 0xc0, v49
	v_mov_b32_e32 v53, v49
	v_mov_b32_e32 v48, 0
	v_mov_b32_e32 v54, 0
	s_mov_b32 s5, 0
	.p2align	6
.LBB86_53:                              ; =>This Inner Loop Header: Depth=1
	s_clause 0x1
	buffer_load_dword v57, v53, s[0:3], 0 offen offset:4
	buffer_load_dword v58, v53, s[0:3], 0 offen
	ds_read_b64 v[55:56], v52
	v_add_nc_u32_e32 v51, 1, v51
	v_add_nc_u32_e32 v52, 8, v52
	;; [unrolled: 1-line block ×3, first 2 shown]
	v_cmp_lt_u32_e32 vcc_lo, 8, v51
	s_or_b32 s5, vcc_lo, s5
	s_waitcnt vmcnt(1) lgkmcnt(0)
	v_mul_f32_e32 v59, v56, v57
	v_mul_f32_e32 v57, v55, v57
	s_waitcnt vmcnt(0)
	v_fma_f32 v55, v55, v58, -v59
	v_fmac_f32_e32 v57, v56, v58
	v_add_f32_e32 v54, v54, v55
	v_add_f32_e32 v48, v48, v57
	s_andn2_b32 exec_lo, exec_lo, s5
	s_cbranch_execnz .LBB86_53
; %bb.54:
	s_or_b32 exec_lo, exec_lo, s5
	v_mov_b32_e32 v51, 0
	ds_read_b64 v[51:52], v51 offset:80
	s_waitcnt lgkmcnt(0)
	v_mul_f32_e32 v53, v48, v52
	v_mul_f32_e32 v52, v54, v52
	v_fma_f32 v53, v54, v51, -v53
	v_fmac_f32_e32 v52, v48, v51
	buffer_store_dword v53, off, s[0:3], 0 offset:80
	buffer_store_dword v52, off, s[0:3], 0 offset:84
.LBB86_55:
	s_or_b32 exec_lo, exec_lo, s4
	s_waitcnt_vscnt null, 0x0
	s_barrier
	buffer_gl0_inv
	s_clause 0x1
	buffer_load_dword v51, off, s[0:3], 0 offset:88
	buffer_load_dword v52, off, s[0:3], 0 offset:92
	s_mov_b32 s4, exec_lo
	s_waitcnt vmcnt(0)
	ds_write_b64 v50, v[51:52]
	s_waitcnt lgkmcnt(0)
	s_barrier
	buffer_gl0_inv
	v_cmpx_gt_u32_e32 11, v0
	s_cbranch_execz .LBB86_59
; %bb.56:
	v_add_nc_u32_e32 v51, -1, v0
	v_add_nc_u32_e32 v52, 0xc0, v49
	v_mov_b32_e32 v53, v49
	v_mov_b32_e32 v48, 0
	;; [unrolled: 1-line block ×3, first 2 shown]
	s_mov_b32 s5, 0
	.p2align	6
.LBB86_57:                              ; =>This Inner Loop Header: Depth=1
	s_clause 0x1
	buffer_load_dword v57, v53, s[0:3], 0 offen offset:4
	buffer_load_dword v58, v53, s[0:3], 0 offen
	ds_read_b64 v[55:56], v52
	v_add_nc_u32_e32 v51, 1, v51
	v_add_nc_u32_e32 v52, 8, v52
	;; [unrolled: 1-line block ×3, first 2 shown]
	v_cmp_lt_u32_e32 vcc_lo, 9, v51
	s_or_b32 s5, vcc_lo, s5
	s_waitcnt vmcnt(1) lgkmcnt(0)
	v_mul_f32_e32 v59, v56, v57
	v_mul_f32_e32 v57, v55, v57
	s_waitcnt vmcnt(0)
	v_fma_f32 v55, v55, v58, -v59
	v_fmac_f32_e32 v57, v56, v58
	v_add_f32_e32 v54, v54, v55
	v_add_f32_e32 v48, v48, v57
	s_andn2_b32 exec_lo, exec_lo, s5
	s_cbranch_execnz .LBB86_57
; %bb.58:
	s_or_b32 exec_lo, exec_lo, s5
	v_mov_b32_e32 v51, 0
	ds_read_b64 v[51:52], v51 offset:88
	s_waitcnt lgkmcnt(0)
	v_mul_f32_e32 v53, v48, v52
	v_mul_f32_e32 v52, v54, v52
	v_fma_f32 v53, v54, v51, -v53
	v_fmac_f32_e32 v52, v48, v51
	buffer_store_dword v53, off, s[0:3], 0 offset:88
	buffer_store_dword v52, off, s[0:3], 0 offset:92
.LBB86_59:
	s_or_b32 exec_lo, exec_lo, s4
	s_waitcnt_vscnt null, 0x0
	s_barrier
	buffer_gl0_inv
	s_clause 0x1
	buffer_load_dword v51, off, s[0:3], 0 offset:96
	buffer_load_dword v52, off, s[0:3], 0 offset:100
	s_mov_b32 s4, exec_lo
	s_waitcnt vmcnt(0)
	ds_write_b64 v50, v[51:52]
	s_waitcnt lgkmcnt(0)
	s_barrier
	buffer_gl0_inv
	v_cmpx_gt_u32_e32 12, v0
	s_cbranch_execz .LBB86_63
; %bb.60:
	v_add_nc_u32_e32 v51, -1, v0
	v_add_nc_u32_e32 v52, 0xc0, v49
	v_mov_b32_e32 v53, v49
	v_mov_b32_e32 v48, 0
	;; [unrolled: 1-line block ×3, first 2 shown]
	s_mov_b32 s5, 0
	.p2align	6
.LBB86_61:                              ; =>This Inner Loop Header: Depth=1
	s_clause 0x1
	buffer_load_dword v57, v53, s[0:3], 0 offen offset:4
	buffer_load_dword v58, v53, s[0:3], 0 offen
	ds_read_b64 v[55:56], v52
	v_add_nc_u32_e32 v51, 1, v51
	v_add_nc_u32_e32 v52, 8, v52
	;; [unrolled: 1-line block ×3, first 2 shown]
	v_cmp_lt_u32_e32 vcc_lo, 10, v51
	s_or_b32 s5, vcc_lo, s5
	s_waitcnt vmcnt(1) lgkmcnt(0)
	v_mul_f32_e32 v59, v56, v57
	v_mul_f32_e32 v57, v55, v57
	s_waitcnt vmcnt(0)
	v_fma_f32 v55, v55, v58, -v59
	v_fmac_f32_e32 v57, v56, v58
	v_add_f32_e32 v54, v54, v55
	v_add_f32_e32 v48, v48, v57
	s_andn2_b32 exec_lo, exec_lo, s5
	s_cbranch_execnz .LBB86_61
; %bb.62:
	s_or_b32 exec_lo, exec_lo, s5
	v_mov_b32_e32 v51, 0
	ds_read_b64 v[51:52], v51 offset:96
	s_waitcnt lgkmcnt(0)
	v_mul_f32_e32 v53, v48, v52
	v_mul_f32_e32 v52, v54, v52
	v_fma_f32 v53, v54, v51, -v53
	v_fmac_f32_e32 v52, v48, v51
	buffer_store_dword v53, off, s[0:3], 0 offset:96
	buffer_store_dword v52, off, s[0:3], 0 offset:100
.LBB86_63:
	s_or_b32 exec_lo, exec_lo, s4
	s_waitcnt_vscnt null, 0x0
	s_barrier
	buffer_gl0_inv
	s_clause 0x1
	buffer_load_dword v51, off, s[0:3], 0 offset:104
	buffer_load_dword v52, off, s[0:3], 0 offset:108
	s_mov_b32 s4, exec_lo
	s_waitcnt vmcnt(0)
	ds_write_b64 v50, v[51:52]
	s_waitcnt lgkmcnt(0)
	s_barrier
	buffer_gl0_inv
	v_cmpx_gt_u32_e32 13, v0
	s_cbranch_execz .LBB86_67
; %bb.64:
	v_add_nc_u32_e32 v51, -1, v0
	v_add_nc_u32_e32 v52, 0xc0, v49
	v_mov_b32_e32 v53, v49
	v_mov_b32_e32 v48, 0
	;; [unrolled: 1-line block ×3, first 2 shown]
	s_mov_b32 s5, 0
	.p2align	6
.LBB86_65:                              ; =>This Inner Loop Header: Depth=1
	s_clause 0x1
	buffer_load_dword v57, v53, s[0:3], 0 offen offset:4
	buffer_load_dword v58, v53, s[0:3], 0 offen
	ds_read_b64 v[55:56], v52
	v_add_nc_u32_e32 v51, 1, v51
	v_add_nc_u32_e32 v52, 8, v52
	;; [unrolled: 1-line block ×3, first 2 shown]
	v_cmp_lt_u32_e32 vcc_lo, 11, v51
	s_or_b32 s5, vcc_lo, s5
	s_waitcnt vmcnt(1) lgkmcnt(0)
	v_mul_f32_e32 v59, v56, v57
	v_mul_f32_e32 v57, v55, v57
	s_waitcnt vmcnt(0)
	v_fma_f32 v55, v55, v58, -v59
	v_fmac_f32_e32 v57, v56, v58
	v_add_f32_e32 v54, v54, v55
	v_add_f32_e32 v48, v48, v57
	s_andn2_b32 exec_lo, exec_lo, s5
	s_cbranch_execnz .LBB86_65
; %bb.66:
	s_or_b32 exec_lo, exec_lo, s5
	v_mov_b32_e32 v51, 0
	ds_read_b64 v[51:52], v51 offset:104
	s_waitcnt lgkmcnt(0)
	v_mul_f32_e32 v53, v48, v52
	v_mul_f32_e32 v52, v54, v52
	v_fma_f32 v53, v54, v51, -v53
	v_fmac_f32_e32 v52, v48, v51
	buffer_store_dword v53, off, s[0:3], 0 offset:104
	buffer_store_dword v52, off, s[0:3], 0 offset:108
.LBB86_67:
	s_or_b32 exec_lo, exec_lo, s4
	s_waitcnt_vscnt null, 0x0
	s_barrier
	buffer_gl0_inv
	s_clause 0x1
	buffer_load_dword v51, off, s[0:3], 0 offset:112
	buffer_load_dword v52, off, s[0:3], 0 offset:116
	s_mov_b32 s4, exec_lo
	s_waitcnt vmcnt(0)
	ds_write_b64 v50, v[51:52]
	s_waitcnt lgkmcnt(0)
	s_barrier
	buffer_gl0_inv
	v_cmpx_gt_u32_e32 14, v0
	s_cbranch_execz .LBB86_71
; %bb.68:
	v_add_nc_u32_e32 v51, -1, v0
	v_add_nc_u32_e32 v52, 0xc0, v49
	v_mov_b32_e32 v53, v49
	v_mov_b32_e32 v48, 0
	;; [unrolled: 1-line block ×3, first 2 shown]
	s_mov_b32 s5, 0
	.p2align	6
.LBB86_69:                              ; =>This Inner Loop Header: Depth=1
	s_clause 0x1
	buffer_load_dword v57, v53, s[0:3], 0 offen offset:4
	buffer_load_dword v58, v53, s[0:3], 0 offen
	ds_read_b64 v[55:56], v52
	v_add_nc_u32_e32 v51, 1, v51
	v_add_nc_u32_e32 v52, 8, v52
	;; [unrolled: 1-line block ×3, first 2 shown]
	v_cmp_lt_u32_e32 vcc_lo, 12, v51
	s_or_b32 s5, vcc_lo, s5
	s_waitcnt vmcnt(1) lgkmcnt(0)
	v_mul_f32_e32 v59, v56, v57
	v_mul_f32_e32 v57, v55, v57
	s_waitcnt vmcnt(0)
	v_fma_f32 v55, v55, v58, -v59
	v_fmac_f32_e32 v57, v56, v58
	v_add_f32_e32 v54, v54, v55
	v_add_f32_e32 v48, v48, v57
	s_andn2_b32 exec_lo, exec_lo, s5
	s_cbranch_execnz .LBB86_69
; %bb.70:
	s_or_b32 exec_lo, exec_lo, s5
	v_mov_b32_e32 v51, 0
	ds_read_b64 v[51:52], v51 offset:112
	s_waitcnt lgkmcnt(0)
	v_mul_f32_e32 v53, v48, v52
	v_mul_f32_e32 v52, v54, v52
	v_fma_f32 v53, v54, v51, -v53
	v_fmac_f32_e32 v52, v48, v51
	buffer_store_dword v53, off, s[0:3], 0 offset:112
	buffer_store_dword v52, off, s[0:3], 0 offset:116
.LBB86_71:
	s_or_b32 exec_lo, exec_lo, s4
	s_waitcnt_vscnt null, 0x0
	s_barrier
	buffer_gl0_inv
	s_clause 0x1
	buffer_load_dword v51, off, s[0:3], 0 offset:120
	buffer_load_dword v52, off, s[0:3], 0 offset:124
	s_mov_b32 s4, exec_lo
	s_waitcnt vmcnt(0)
	ds_write_b64 v50, v[51:52]
	s_waitcnt lgkmcnt(0)
	s_barrier
	buffer_gl0_inv
	v_cmpx_gt_u32_e32 15, v0
	s_cbranch_execz .LBB86_75
; %bb.72:
	v_add_nc_u32_e32 v51, -1, v0
	v_add_nc_u32_e32 v52, 0xc0, v49
	v_mov_b32_e32 v53, v49
	v_mov_b32_e32 v48, 0
	;; [unrolled: 1-line block ×3, first 2 shown]
	s_mov_b32 s5, 0
	.p2align	6
.LBB86_73:                              ; =>This Inner Loop Header: Depth=1
	s_clause 0x1
	buffer_load_dword v57, v53, s[0:3], 0 offen offset:4
	buffer_load_dword v58, v53, s[0:3], 0 offen
	ds_read_b64 v[55:56], v52
	v_add_nc_u32_e32 v51, 1, v51
	v_add_nc_u32_e32 v52, 8, v52
	;; [unrolled: 1-line block ×3, first 2 shown]
	v_cmp_lt_u32_e32 vcc_lo, 13, v51
	s_or_b32 s5, vcc_lo, s5
	s_waitcnt vmcnt(1) lgkmcnt(0)
	v_mul_f32_e32 v59, v56, v57
	v_mul_f32_e32 v57, v55, v57
	s_waitcnt vmcnt(0)
	v_fma_f32 v55, v55, v58, -v59
	v_fmac_f32_e32 v57, v56, v58
	v_add_f32_e32 v54, v54, v55
	v_add_f32_e32 v48, v48, v57
	s_andn2_b32 exec_lo, exec_lo, s5
	s_cbranch_execnz .LBB86_73
; %bb.74:
	s_or_b32 exec_lo, exec_lo, s5
	v_mov_b32_e32 v51, 0
	ds_read_b64 v[51:52], v51 offset:120
	s_waitcnt lgkmcnt(0)
	v_mul_f32_e32 v53, v48, v52
	v_mul_f32_e32 v52, v54, v52
	v_fma_f32 v53, v54, v51, -v53
	v_fmac_f32_e32 v52, v48, v51
	buffer_store_dword v53, off, s[0:3], 0 offset:120
	buffer_store_dword v52, off, s[0:3], 0 offset:124
.LBB86_75:
	s_or_b32 exec_lo, exec_lo, s4
	s_waitcnt_vscnt null, 0x0
	s_barrier
	buffer_gl0_inv
	s_clause 0x1
	buffer_load_dword v51, off, s[0:3], 0 offset:128
	buffer_load_dword v52, off, s[0:3], 0 offset:132
	s_mov_b32 s4, exec_lo
	s_waitcnt vmcnt(0)
	ds_write_b64 v50, v[51:52]
	s_waitcnt lgkmcnt(0)
	s_barrier
	buffer_gl0_inv
	v_cmpx_gt_u32_e32 16, v0
	s_cbranch_execz .LBB86_79
; %bb.76:
	v_add_nc_u32_e32 v51, -1, v0
	v_add_nc_u32_e32 v52, 0xc0, v49
	v_mov_b32_e32 v53, v49
	v_mov_b32_e32 v48, 0
	;; [unrolled: 1-line block ×3, first 2 shown]
	s_mov_b32 s5, 0
	.p2align	6
.LBB86_77:                              ; =>This Inner Loop Header: Depth=1
	s_clause 0x1
	buffer_load_dword v57, v53, s[0:3], 0 offen offset:4
	buffer_load_dword v58, v53, s[0:3], 0 offen
	ds_read_b64 v[55:56], v52
	v_add_nc_u32_e32 v51, 1, v51
	v_add_nc_u32_e32 v52, 8, v52
	;; [unrolled: 1-line block ×3, first 2 shown]
	v_cmp_lt_u32_e32 vcc_lo, 14, v51
	s_or_b32 s5, vcc_lo, s5
	s_waitcnt vmcnt(1) lgkmcnt(0)
	v_mul_f32_e32 v59, v56, v57
	v_mul_f32_e32 v57, v55, v57
	s_waitcnt vmcnt(0)
	v_fma_f32 v55, v55, v58, -v59
	v_fmac_f32_e32 v57, v56, v58
	v_add_f32_e32 v54, v54, v55
	v_add_f32_e32 v48, v48, v57
	s_andn2_b32 exec_lo, exec_lo, s5
	s_cbranch_execnz .LBB86_77
; %bb.78:
	s_or_b32 exec_lo, exec_lo, s5
	v_mov_b32_e32 v51, 0
	ds_read_b64 v[51:52], v51 offset:128
	s_waitcnt lgkmcnt(0)
	v_mul_f32_e32 v53, v48, v52
	v_mul_f32_e32 v52, v54, v52
	v_fma_f32 v53, v54, v51, -v53
	v_fmac_f32_e32 v52, v48, v51
	buffer_store_dword v53, off, s[0:3], 0 offset:128
	buffer_store_dword v52, off, s[0:3], 0 offset:132
.LBB86_79:
	s_or_b32 exec_lo, exec_lo, s4
	s_waitcnt_vscnt null, 0x0
	s_barrier
	buffer_gl0_inv
	s_clause 0x1
	buffer_load_dword v51, off, s[0:3], 0 offset:136
	buffer_load_dword v52, off, s[0:3], 0 offset:140
	s_mov_b32 s4, exec_lo
	s_waitcnt vmcnt(0)
	ds_write_b64 v50, v[51:52]
	s_waitcnt lgkmcnt(0)
	s_barrier
	buffer_gl0_inv
	v_cmpx_gt_u32_e32 17, v0
	s_cbranch_execz .LBB86_83
; %bb.80:
	v_add_nc_u32_e32 v51, -1, v0
	v_add_nc_u32_e32 v52, 0xc0, v49
	v_mov_b32_e32 v53, v49
	v_mov_b32_e32 v48, 0
	;; [unrolled: 1-line block ×3, first 2 shown]
	s_mov_b32 s5, 0
	.p2align	6
.LBB86_81:                              ; =>This Inner Loop Header: Depth=1
	s_clause 0x1
	buffer_load_dword v57, v53, s[0:3], 0 offen offset:4
	buffer_load_dword v58, v53, s[0:3], 0 offen
	ds_read_b64 v[55:56], v52
	v_add_nc_u32_e32 v51, 1, v51
	v_add_nc_u32_e32 v52, 8, v52
	;; [unrolled: 1-line block ×3, first 2 shown]
	v_cmp_lt_u32_e32 vcc_lo, 15, v51
	s_or_b32 s5, vcc_lo, s5
	s_waitcnt vmcnt(1) lgkmcnt(0)
	v_mul_f32_e32 v59, v56, v57
	v_mul_f32_e32 v57, v55, v57
	s_waitcnt vmcnt(0)
	v_fma_f32 v55, v55, v58, -v59
	v_fmac_f32_e32 v57, v56, v58
	v_add_f32_e32 v54, v54, v55
	v_add_f32_e32 v48, v48, v57
	s_andn2_b32 exec_lo, exec_lo, s5
	s_cbranch_execnz .LBB86_81
; %bb.82:
	s_or_b32 exec_lo, exec_lo, s5
	v_mov_b32_e32 v51, 0
	ds_read_b64 v[51:52], v51 offset:136
	s_waitcnt lgkmcnt(0)
	v_mul_f32_e32 v53, v48, v52
	v_mul_f32_e32 v52, v54, v52
	v_fma_f32 v53, v54, v51, -v53
	v_fmac_f32_e32 v52, v48, v51
	buffer_store_dword v53, off, s[0:3], 0 offset:136
	buffer_store_dword v52, off, s[0:3], 0 offset:140
.LBB86_83:
	s_or_b32 exec_lo, exec_lo, s4
	s_waitcnt_vscnt null, 0x0
	s_barrier
	buffer_gl0_inv
	s_clause 0x1
	buffer_load_dword v51, off, s[0:3], 0 offset:144
	buffer_load_dword v52, off, s[0:3], 0 offset:148
	s_mov_b32 s4, exec_lo
	s_waitcnt vmcnt(0)
	ds_write_b64 v50, v[51:52]
	s_waitcnt lgkmcnt(0)
	s_barrier
	buffer_gl0_inv
	v_cmpx_gt_u32_e32 18, v0
	s_cbranch_execz .LBB86_87
; %bb.84:
	v_add_nc_u32_e32 v51, -1, v0
	v_add_nc_u32_e32 v52, 0xc0, v49
	v_mov_b32_e32 v53, v49
	v_mov_b32_e32 v48, 0
	;; [unrolled: 1-line block ×3, first 2 shown]
	s_mov_b32 s5, 0
	.p2align	6
.LBB86_85:                              ; =>This Inner Loop Header: Depth=1
	s_clause 0x1
	buffer_load_dword v57, v53, s[0:3], 0 offen offset:4
	buffer_load_dword v58, v53, s[0:3], 0 offen
	ds_read_b64 v[55:56], v52
	v_add_nc_u32_e32 v51, 1, v51
	v_add_nc_u32_e32 v52, 8, v52
	;; [unrolled: 1-line block ×3, first 2 shown]
	v_cmp_lt_u32_e32 vcc_lo, 16, v51
	s_or_b32 s5, vcc_lo, s5
	s_waitcnt vmcnt(1) lgkmcnt(0)
	v_mul_f32_e32 v59, v56, v57
	v_mul_f32_e32 v57, v55, v57
	s_waitcnt vmcnt(0)
	v_fma_f32 v55, v55, v58, -v59
	v_fmac_f32_e32 v57, v56, v58
	v_add_f32_e32 v54, v54, v55
	v_add_f32_e32 v48, v48, v57
	s_andn2_b32 exec_lo, exec_lo, s5
	s_cbranch_execnz .LBB86_85
; %bb.86:
	s_or_b32 exec_lo, exec_lo, s5
	v_mov_b32_e32 v51, 0
	ds_read_b64 v[51:52], v51 offset:144
	s_waitcnt lgkmcnt(0)
	v_mul_f32_e32 v53, v48, v52
	v_mul_f32_e32 v52, v54, v52
	v_fma_f32 v53, v54, v51, -v53
	v_fmac_f32_e32 v52, v48, v51
	buffer_store_dword v53, off, s[0:3], 0 offset:144
	buffer_store_dword v52, off, s[0:3], 0 offset:148
.LBB86_87:
	s_or_b32 exec_lo, exec_lo, s4
	s_waitcnt_vscnt null, 0x0
	s_barrier
	buffer_gl0_inv
	s_clause 0x1
	buffer_load_dword v51, off, s[0:3], 0 offset:152
	buffer_load_dword v52, off, s[0:3], 0 offset:156
	s_mov_b32 s4, exec_lo
	s_waitcnt vmcnt(0)
	ds_write_b64 v50, v[51:52]
	s_waitcnt lgkmcnt(0)
	s_barrier
	buffer_gl0_inv
	v_cmpx_gt_u32_e32 19, v0
	s_cbranch_execz .LBB86_91
; %bb.88:
	v_add_nc_u32_e32 v51, -1, v0
	v_add_nc_u32_e32 v52, 0xc0, v49
	v_mov_b32_e32 v53, v49
	v_mov_b32_e32 v48, 0
	;; [unrolled: 1-line block ×3, first 2 shown]
	s_mov_b32 s5, 0
	.p2align	6
.LBB86_89:                              ; =>This Inner Loop Header: Depth=1
	s_clause 0x1
	buffer_load_dword v57, v53, s[0:3], 0 offen offset:4
	buffer_load_dword v58, v53, s[0:3], 0 offen
	ds_read_b64 v[55:56], v52
	v_add_nc_u32_e32 v51, 1, v51
	v_add_nc_u32_e32 v52, 8, v52
	;; [unrolled: 1-line block ×3, first 2 shown]
	v_cmp_lt_u32_e32 vcc_lo, 17, v51
	s_or_b32 s5, vcc_lo, s5
	s_waitcnt vmcnt(1) lgkmcnt(0)
	v_mul_f32_e32 v59, v56, v57
	v_mul_f32_e32 v57, v55, v57
	s_waitcnt vmcnt(0)
	v_fma_f32 v55, v55, v58, -v59
	v_fmac_f32_e32 v57, v56, v58
	v_add_f32_e32 v54, v54, v55
	v_add_f32_e32 v48, v48, v57
	s_andn2_b32 exec_lo, exec_lo, s5
	s_cbranch_execnz .LBB86_89
; %bb.90:
	s_or_b32 exec_lo, exec_lo, s5
	v_mov_b32_e32 v51, 0
	ds_read_b64 v[51:52], v51 offset:152
	s_waitcnt lgkmcnt(0)
	v_mul_f32_e32 v53, v48, v52
	v_mul_f32_e32 v52, v54, v52
	v_fma_f32 v53, v54, v51, -v53
	v_fmac_f32_e32 v52, v48, v51
	buffer_store_dword v53, off, s[0:3], 0 offset:152
	buffer_store_dword v52, off, s[0:3], 0 offset:156
.LBB86_91:
	s_or_b32 exec_lo, exec_lo, s4
	s_waitcnt_vscnt null, 0x0
	s_barrier
	buffer_gl0_inv
	s_clause 0x1
	buffer_load_dword v51, off, s[0:3], 0 offset:160
	buffer_load_dword v52, off, s[0:3], 0 offset:164
	s_mov_b32 s4, exec_lo
	s_waitcnt vmcnt(0)
	ds_write_b64 v50, v[51:52]
	s_waitcnt lgkmcnt(0)
	s_barrier
	buffer_gl0_inv
	v_cmpx_gt_u32_e32 20, v0
	s_cbranch_execz .LBB86_95
; %bb.92:
	v_add_nc_u32_e32 v51, -1, v0
	v_add_nc_u32_e32 v52, 0xc0, v49
	v_mov_b32_e32 v53, v49
	v_mov_b32_e32 v48, 0
	;; [unrolled: 1-line block ×3, first 2 shown]
	s_mov_b32 s5, 0
	.p2align	6
.LBB86_93:                              ; =>This Inner Loop Header: Depth=1
	s_clause 0x1
	buffer_load_dword v57, v53, s[0:3], 0 offen offset:4
	buffer_load_dword v58, v53, s[0:3], 0 offen
	ds_read_b64 v[55:56], v52
	v_add_nc_u32_e32 v51, 1, v51
	v_add_nc_u32_e32 v52, 8, v52
	;; [unrolled: 1-line block ×3, first 2 shown]
	v_cmp_lt_u32_e32 vcc_lo, 18, v51
	s_or_b32 s5, vcc_lo, s5
	s_waitcnt vmcnt(1) lgkmcnt(0)
	v_mul_f32_e32 v59, v56, v57
	v_mul_f32_e32 v57, v55, v57
	s_waitcnt vmcnt(0)
	v_fma_f32 v55, v55, v58, -v59
	v_fmac_f32_e32 v57, v56, v58
	v_add_f32_e32 v54, v54, v55
	v_add_f32_e32 v48, v48, v57
	s_andn2_b32 exec_lo, exec_lo, s5
	s_cbranch_execnz .LBB86_93
; %bb.94:
	s_or_b32 exec_lo, exec_lo, s5
	v_mov_b32_e32 v51, 0
	ds_read_b64 v[51:52], v51 offset:160
	s_waitcnt lgkmcnt(0)
	v_mul_f32_e32 v53, v48, v52
	v_mul_f32_e32 v52, v54, v52
	v_fma_f32 v53, v54, v51, -v53
	v_fmac_f32_e32 v52, v48, v51
	buffer_store_dword v53, off, s[0:3], 0 offset:160
	buffer_store_dword v52, off, s[0:3], 0 offset:164
.LBB86_95:
	s_or_b32 exec_lo, exec_lo, s4
	s_waitcnt_vscnt null, 0x0
	s_barrier
	buffer_gl0_inv
	s_clause 0x1
	buffer_load_dword v51, off, s[0:3], 0 offset:168
	buffer_load_dword v52, off, s[0:3], 0 offset:172
	s_mov_b32 s4, exec_lo
	s_waitcnt vmcnt(0)
	ds_write_b64 v50, v[51:52]
	s_waitcnt lgkmcnt(0)
	s_barrier
	buffer_gl0_inv
	v_cmpx_gt_u32_e32 21, v0
	s_cbranch_execz .LBB86_99
; %bb.96:
	v_add_nc_u32_e32 v51, -1, v0
	v_add_nc_u32_e32 v52, 0xc0, v49
	v_mov_b32_e32 v53, v49
	v_mov_b32_e32 v48, 0
	;; [unrolled: 1-line block ×3, first 2 shown]
	s_mov_b32 s5, 0
	.p2align	6
.LBB86_97:                              ; =>This Inner Loop Header: Depth=1
	s_clause 0x1
	buffer_load_dword v57, v53, s[0:3], 0 offen offset:4
	buffer_load_dword v58, v53, s[0:3], 0 offen
	ds_read_b64 v[55:56], v52
	v_add_nc_u32_e32 v51, 1, v51
	v_add_nc_u32_e32 v52, 8, v52
	;; [unrolled: 1-line block ×3, first 2 shown]
	v_cmp_lt_u32_e32 vcc_lo, 19, v51
	s_or_b32 s5, vcc_lo, s5
	s_waitcnt vmcnt(1) lgkmcnt(0)
	v_mul_f32_e32 v59, v56, v57
	v_mul_f32_e32 v57, v55, v57
	s_waitcnt vmcnt(0)
	v_fma_f32 v55, v55, v58, -v59
	v_fmac_f32_e32 v57, v56, v58
	v_add_f32_e32 v54, v54, v55
	v_add_f32_e32 v48, v48, v57
	s_andn2_b32 exec_lo, exec_lo, s5
	s_cbranch_execnz .LBB86_97
; %bb.98:
	s_or_b32 exec_lo, exec_lo, s5
	v_mov_b32_e32 v51, 0
	ds_read_b64 v[51:52], v51 offset:168
	s_waitcnt lgkmcnt(0)
	v_mul_f32_e32 v53, v48, v52
	v_mul_f32_e32 v52, v54, v52
	v_fma_f32 v53, v54, v51, -v53
	v_fmac_f32_e32 v52, v48, v51
	buffer_store_dword v53, off, s[0:3], 0 offset:168
	buffer_store_dword v52, off, s[0:3], 0 offset:172
.LBB86_99:
	s_or_b32 exec_lo, exec_lo, s4
	s_waitcnt_vscnt null, 0x0
	s_barrier
	buffer_gl0_inv
	s_clause 0x1
	buffer_load_dword v51, off, s[0:3], 0 offset:176
	buffer_load_dword v52, off, s[0:3], 0 offset:180
	s_mov_b32 s4, exec_lo
	s_waitcnt vmcnt(0)
	ds_write_b64 v50, v[51:52]
	s_waitcnt lgkmcnt(0)
	s_barrier
	buffer_gl0_inv
	v_cmpx_ne_u32_e32 22, v0
	s_cbranch_execz .LBB86_103
; %bb.100:
	v_mov_b32_e32 v48, 0
	v_mov_b32_e32 v51, 0
	s_mov_b32 s5, 0
	.p2align	6
.LBB86_101:                             ; =>This Inner Loop Header: Depth=1
	s_clause 0x1
	buffer_load_dword v54, v49, s[0:3], 0 offen offset:4
	buffer_load_dword v55, v49, s[0:3], 0 offen
	ds_read_b64 v[52:53], v50
	v_add_nc_u32_e32 v47, 1, v47
	v_add_nc_u32_e32 v50, 8, v50
	;; [unrolled: 1-line block ×3, first 2 shown]
	v_cmp_lt_u32_e32 vcc_lo, 20, v47
	s_or_b32 s5, vcc_lo, s5
	s_waitcnt vmcnt(1) lgkmcnt(0)
	v_mul_f32_e32 v56, v53, v54
	v_mul_f32_e32 v54, v52, v54
	s_waitcnt vmcnt(0)
	v_fma_f32 v52, v52, v55, -v56
	v_fmac_f32_e32 v54, v53, v55
	v_add_f32_e32 v51, v51, v52
	v_add_f32_e32 v48, v48, v54
	s_andn2_b32 exec_lo, exec_lo, s5
	s_cbranch_execnz .LBB86_101
; %bb.102:
	s_or_b32 exec_lo, exec_lo, s5
	v_mov_b32_e32 v47, 0
	ds_read_b64 v[49:50], v47 offset:176
	s_waitcnt lgkmcnt(0)
	v_mul_f32_e32 v47, v48, v50
	v_mul_f32_e32 v50, v51, v50
	v_fma_f32 v47, v51, v49, -v47
	v_fmac_f32_e32 v50, v48, v49
	buffer_store_dword v47, off, s[0:3], 0 offset:176
	buffer_store_dword v50, off, s[0:3], 0 offset:180
.LBB86_103:
	s_or_b32 exec_lo, exec_lo, s4
	s_mov_b32 s5, -1
	s_waitcnt_vscnt null, 0x0
	s_barrier
	buffer_gl0_inv
.LBB86_104:
	s_and_b32 vcc_lo, exec_lo, s5
	s_cbranch_vccz .LBB86_106
; %bb.105:
	s_lshl_b64 s[4:5], s[6:7], 2
	v_mov_b32_e32 v47, 0
	s_add_u32 s4, s10, s4
	s_addc_u32 s5, s11, s5
	global_load_dword v47, v47, s[4:5]
	s_waitcnt vmcnt(0)
	v_cmp_ne_u32_e32 vcc_lo, 0, v47
	s_cbranch_vccz .LBB86_107
.LBB86_106:
	s_endpgm
.LBB86_107:
	v_lshl_add_u32 v47, v0, 3, 0xc0
	s_mov_b32 s4, exec_lo
	v_cmpx_eq_u32_e32 22, v0
	s_cbranch_execz .LBB86_109
; %bb.108:
	s_clause 0x1
	buffer_load_dword v48, off, s[0:3], 0 offset:168
	buffer_load_dword v49, off, s[0:3], 0 offset:172
	v_mov_b32_e32 v50, 0
	buffer_store_dword v50, off, s[0:3], 0 offset:168
	buffer_store_dword v50, off, s[0:3], 0 offset:172
	s_waitcnt vmcnt(0)
	ds_write_b64 v47, v[48:49]
.LBB86_109:
	s_or_b32 exec_lo, exec_lo, s4
	s_waitcnt lgkmcnt(0)
	s_waitcnt_vscnt null, 0x0
	s_barrier
	buffer_gl0_inv
	s_clause 0x3
	buffer_load_dword v51, off, s[0:3], 0 offset:180
	buffer_load_dword v52, off, s[0:3], 0 offset:176
	;; [unrolled: 1-line block ×4, first 2 shown]
	v_mov_b32_e32 v48, 0
	s_mov_b32 s4, exec_lo
	ds_read_b64 v[49:50], v48 offset:368
	s_waitcnt vmcnt(3) lgkmcnt(0)
	v_mul_f32_e32 v55, v50, v51
	v_mul_f32_e32 v51, v49, v51
	s_waitcnt vmcnt(2)
	v_fma_f32 v49, v49, v52, -v55
	v_fmac_f32_e32 v51, v50, v52
	v_add_f32_e32 v49, 0, v49
	v_add_f32_e32 v50, 0, v51
	s_waitcnt vmcnt(1)
	v_sub_f32_e32 v49, v53, v49
	s_waitcnt vmcnt(0)
	v_sub_f32_e32 v50, v54, v50
	buffer_store_dword v49, off, s[0:3], 0 offset:168
	buffer_store_dword v50, off, s[0:3], 0 offset:172
	v_cmpx_lt_u32_e32 20, v0
	s_cbranch_execz .LBB86_111
; %bb.110:
	s_clause 0x1
	buffer_load_dword v49, off, s[0:3], 0 offset:160
	buffer_load_dword v50, off, s[0:3], 0 offset:164
	buffer_store_dword v48, off, s[0:3], 0 offset:160
	buffer_store_dword v48, off, s[0:3], 0 offset:164
	s_waitcnt vmcnt(0)
	ds_write_b64 v47, v[49:50]
.LBB86_111:
	s_or_b32 exec_lo, exec_lo, s4
	s_waitcnt lgkmcnt(0)
	s_waitcnt_vscnt null, 0x0
	s_barrier
	buffer_gl0_inv
	s_clause 0x5
	buffer_load_dword v52, off, s[0:3], 0 offset:172
	buffer_load_dword v53, off, s[0:3], 0 offset:180
	;; [unrolled: 1-line block ×6, first 2 shown]
	ds_read2_b64 v[48:51], v48 offset0:45 offset1:46
	s_mov_b32 s4, exec_lo
	s_waitcnt vmcnt(5) lgkmcnt(0)
	v_mul_f32_e32 v58, v49, v52
	v_mul_f32_e32 v52, v48, v52
	s_waitcnt vmcnt(4)
	v_mul_f32_e32 v59, v50, v53
	v_mul_f32_e32 v53, v51, v53
	s_waitcnt vmcnt(3)
	v_fma_f32 v48, v48, v54, -v58
	v_fmac_f32_e32 v52, v49, v54
	s_waitcnt vmcnt(2)
	v_fmac_f32_e32 v59, v51, v55
	v_fma_f32 v49, v50, v55, -v53
	v_add_f32_e32 v48, 0, v48
	v_add_f32_e32 v50, 0, v52
	;; [unrolled: 1-line block ×4, first 2 shown]
	s_waitcnt vmcnt(1)
	v_sub_f32_e32 v48, v56, v48
	s_waitcnt vmcnt(0)
	v_sub_f32_e32 v49, v57, v49
	buffer_store_dword v48, off, s[0:3], 0 offset:160
	buffer_store_dword v49, off, s[0:3], 0 offset:164
	v_cmpx_lt_u32_e32 19, v0
	s_cbranch_execz .LBB86_113
; %bb.112:
	s_clause 0x1
	buffer_load_dword v48, off, s[0:3], 0 offset:152
	buffer_load_dword v49, off, s[0:3], 0 offset:156
	v_mov_b32_e32 v50, 0
	buffer_store_dword v50, off, s[0:3], 0 offset:152
	buffer_store_dword v50, off, s[0:3], 0 offset:156
	s_waitcnt vmcnt(0)
	ds_write_b64 v47, v[48:49]
.LBB86_113:
	s_or_b32 exec_lo, exec_lo, s4
	s_waitcnt lgkmcnt(0)
	s_waitcnt_vscnt null, 0x0
	s_barrier
	buffer_gl0_inv
	s_clause 0x7
	buffer_load_dword v55, off, s[0:3], 0 offset:164
	buffer_load_dword v56, off, s[0:3], 0 offset:172
	;; [unrolled: 1-line block ×8, first 2 shown]
	v_mov_b32_e32 v48, 0
	ds_read_b128 v[49:52], v48 offset:352
	ds_read_b64 v[53:54], v48 offset:368
	s_mov_b32 s4, exec_lo
	s_waitcnt vmcnt(7) lgkmcnt(1)
	v_mul_f32_e32 v63, v50, v55
	v_mul_f32_e32 v55, v49, v55
	s_waitcnt vmcnt(6)
	v_mul_f32_e32 v64, v51, v56
	v_mul_f32_e32 v56, v52, v56
	s_waitcnt vmcnt(5) lgkmcnt(0)
	v_mul_f32_e32 v65, v53, v57
	s_waitcnt vmcnt(4)
	v_fma_f32 v49, v49, v58, -v63
	v_fmac_f32_e32 v55, v50, v58
	v_mul_f32_e32 v50, v54, v57
	s_waitcnt vmcnt(3)
	v_fma_f32 v51, v51, v59, -v56
	v_fmac_f32_e32 v64, v52, v59
	v_add_f32_e32 v49, 0, v49
	v_add_f32_e32 v52, 0, v55
	s_waitcnt vmcnt(2)
	v_fma_f32 v50, v53, v60, -v50
	v_fmac_f32_e32 v65, v54, v60
	v_add_f32_e32 v49, v49, v51
	v_add_f32_e32 v51, v52, v64
	;; [unrolled: 1-line block ×4, first 2 shown]
	s_waitcnt vmcnt(1)
	v_sub_f32_e32 v49, v61, v49
	s_waitcnt vmcnt(0)
	v_sub_f32_e32 v50, v62, v50
	buffer_store_dword v49, off, s[0:3], 0 offset:152
	buffer_store_dword v50, off, s[0:3], 0 offset:156
	v_cmpx_lt_u32_e32 18, v0
	s_cbranch_execz .LBB86_115
; %bb.114:
	s_clause 0x1
	buffer_load_dword v49, off, s[0:3], 0 offset:144
	buffer_load_dword v50, off, s[0:3], 0 offset:148
	buffer_store_dword v48, off, s[0:3], 0 offset:144
	buffer_store_dword v48, off, s[0:3], 0 offset:148
	s_waitcnt vmcnt(0)
	ds_write_b64 v47, v[49:50]
.LBB86_115:
	s_or_b32 exec_lo, exec_lo, s4
	s_waitcnt lgkmcnt(0)
	s_waitcnt_vscnt null, 0x0
	s_barrier
	buffer_gl0_inv
	s_clause 0x9
	buffer_load_dword v57, off, s[0:3], 0 offset:156
	buffer_load_dword v58, off, s[0:3], 0 offset:164
	;; [unrolled: 1-line block ×10, first 2 shown]
	ds_read2_b64 v[49:52], v48 offset0:43 offset1:44
	ds_read2_b64 v[53:56], v48 offset0:45 offset1:46
	s_mov_b32 s4, exec_lo
	s_waitcnt vmcnt(9) lgkmcnt(1)
	v_mul_f32_e32 v48, v49, v57
	v_mul_f32_e32 v57, v50, v57
	s_waitcnt vmcnt(8)
	v_mul_f32_e32 v67, v51, v58
	v_mul_f32_e32 v58, v52, v58
	s_waitcnt vmcnt(7) lgkmcnt(0)
	v_mul_f32_e32 v68, v53, v59
	s_waitcnt vmcnt(5)
	v_fmac_f32_e32 v48, v50, v61
	v_fma_f32 v49, v49, v61, -v57
	v_mul_f32_e32 v50, v54, v59
	s_waitcnt vmcnt(4)
	v_fma_f32 v51, v51, v62, -v58
	v_fmac_f32_e32 v67, v52, v62
	v_add_f32_e32 v48, 0, v48
	v_add_f32_e32 v49, 0, v49
	v_mul_f32_e32 v52, v56, v60
	s_waitcnt vmcnt(3)
	v_fma_f32 v50, v53, v63, -v50
	v_mul_f32_e32 v69, v55, v60
	v_fmac_f32_e32 v68, v54, v63
	v_add_f32_e32 v49, v49, v51
	v_add_f32_e32 v48, v48, v67
	s_waitcnt vmcnt(2)
	v_fma_f32 v51, v55, v64, -v52
	v_fmac_f32_e32 v69, v56, v64
	v_add_f32_e32 v49, v49, v50
	v_add_f32_e32 v48, v48, v68
	;; [unrolled: 1-line block ×4, first 2 shown]
	s_waitcnt vmcnt(1)
	v_sub_f32_e32 v49, v65, v49
	s_waitcnt vmcnt(0)
	v_sub_f32_e32 v48, v66, v48
	buffer_store_dword v49, off, s[0:3], 0 offset:144
	buffer_store_dword v48, off, s[0:3], 0 offset:148
	v_cmpx_lt_u32_e32 17, v0
	s_cbranch_execz .LBB86_117
; %bb.116:
	s_clause 0x1
	buffer_load_dword v48, off, s[0:3], 0 offset:136
	buffer_load_dword v49, off, s[0:3], 0 offset:140
	v_mov_b32_e32 v50, 0
	buffer_store_dword v50, off, s[0:3], 0 offset:136
	buffer_store_dword v50, off, s[0:3], 0 offset:140
	s_waitcnt vmcnt(0)
	ds_write_b64 v47, v[48:49]
.LBB86_117:
	s_or_b32 exec_lo, exec_lo, s4
	s_waitcnt lgkmcnt(0)
	s_waitcnt_vscnt null, 0x0
	s_barrier
	buffer_gl0_inv
	s_clause 0xb
	buffer_load_dword v59, off, s[0:3], 0 offset:148
	buffer_load_dword v60, off, s[0:3], 0 offset:156
	;; [unrolled: 1-line block ×12, first 2 shown]
	v_mov_b32_e32 v48, 0
	ds_read_b128 v[49:52], v48 offset:336
	ds_read_b128 v[53:56], v48 offset:352
	ds_read_b64 v[57:58], v48 offset:368
	s_mov_b32 s4, exec_lo
	s_waitcnt vmcnt(11) lgkmcnt(2)
	v_mul_f32_e32 v71, v49, v59
	v_mul_f32_e32 v59, v50, v59
	s_waitcnt vmcnt(10)
	v_mul_f32_e32 v72, v51, v60
	v_mul_f32_e32 v60, v52, v60
	s_waitcnt vmcnt(9) lgkmcnt(1)
	v_mul_f32_e32 v73, v53, v61
	s_waitcnt vmcnt(6)
	v_fmac_f32_e32 v71, v50, v64
	v_fma_f32 v49, v49, v64, -v59
	v_mul_f32_e32 v50, v54, v61
	s_waitcnt vmcnt(5)
	v_fma_f32 v51, v51, v65, -v60
	v_fmac_f32_e32 v72, v52, v65
	v_add_f32_e32 v52, 0, v71
	v_add_f32_e32 v49, 0, v49
	v_mul_f32_e32 v59, v56, v62
	s_waitcnt vmcnt(4)
	v_fma_f32 v50, v53, v66, -v50
	v_mul_f32_e32 v74, v55, v62
	v_fmac_f32_e32 v73, v54, v66
	v_add_f32_e32 v49, v49, v51
	v_add_f32_e32 v51, v52, v72
	s_waitcnt lgkmcnt(0)
	v_mul_f32_e32 v52, v58, v63
	s_waitcnt vmcnt(3)
	v_fma_f32 v53, v55, v67, -v59
	v_mul_f32_e32 v75, v57, v63
	v_add_f32_e32 v49, v49, v50
	v_fmac_f32_e32 v74, v56, v67
	v_add_f32_e32 v50, v51, v73
	s_waitcnt vmcnt(2)
	v_fma_f32 v51, v57, v68, -v52
	v_fmac_f32_e32 v75, v58, v68
	v_add_f32_e32 v49, v49, v53
	v_add_f32_e32 v50, v50, v74
	;; [unrolled: 1-line block ×4, first 2 shown]
	s_waitcnt vmcnt(1)
	v_sub_f32_e32 v49, v69, v49
	s_waitcnt vmcnt(0)
	v_sub_f32_e32 v50, v70, v50
	buffer_store_dword v49, off, s[0:3], 0 offset:136
	buffer_store_dword v50, off, s[0:3], 0 offset:140
	v_cmpx_lt_u32_e32 16, v0
	s_cbranch_execz .LBB86_119
; %bb.118:
	s_clause 0x1
	buffer_load_dword v49, off, s[0:3], 0 offset:128
	buffer_load_dword v50, off, s[0:3], 0 offset:132
	buffer_store_dword v48, off, s[0:3], 0 offset:128
	buffer_store_dword v48, off, s[0:3], 0 offset:132
	s_waitcnt vmcnt(0)
	ds_write_b64 v47, v[49:50]
.LBB86_119:
	s_or_b32 exec_lo, exec_lo, s4
	s_waitcnt lgkmcnt(0)
	s_waitcnt_vscnt null, 0x0
	s_barrier
	buffer_gl0_inv
	s_clause 0xd
	buffer_load_dword v61, off, s[0:3], 0 offset:140
	buffer_load_dword v62, off, s[0:3], 0 offset:148
	;; [unrolled: 1-line block ×14, first 2 shown]
	ds_read2_b64 v[49:52], v48 offset0:41 offset1:42
	ds_read2_b64 v[53:56], v48 offset0:43 offset1:44
	;; [unrolled: 1-line block ×3, first 2 shown]
	s_mov_b32 s4, exec_lo
	s_waitcnt vmcnt(13) lgkmcnt(2)
	v_mul_f32_e32 v48, v49, v61
	v_mul_f32_e32 v61, v50, v61
	s_waitcnt vmcnt(12)
	v_mul_f32_e32 v75, v51, v62
	v_mul_f32_e32 v62, v52, v62
	s_waitcnt vmcnt(11) lgkmcnt(1)
	v_mul_f32_e32 v76, v53, v63
	s_waitcnt vmcnt(10)
	v_mul_f32_e32 v77, v55, v64
	s_waitcnt vmcnt(7)
	v_fma_f32 v49, v49, v67, -v61
	v_fmac_f32_e32 v48, v50, v67
	v_mul_f32_e32 v50, v54, v63
	s_waitcnt vmcnt(6)
	v_fma_f32 v51, v51, v68, -v62
	v_fmac_f32_e32 v75, v52, v68
	v_add_f32_e32 v49, 0, v49
	v_add_f32_e32 v48, 0, v48
	v_mul_f32_e32 v52, v56, v64
	s_waitcnt vmcnt(5)
	v_fma_f32 v50, v53, v69, -v50
	v_fmac_f32_e32 v76, v54, v69
	v_add_f32_e32 v49, v49, v51
	v_add_f32_e32 v48, v48, v75
	s_waitcnt lgkmcnt(0)
	v_mul_f32_e32 v51, v58, v65
	s_waitcnt vmcnt(4)
	v_fma_f32 v52, v55, v70, -v52
	v_mul_f32_e32 v78, v57, v65
	v_add_f32_e32 v49, v49, v50
	v_fmac_f32_e32 v77, v56, v70
	v_add_f32_e32 v48, v48, v76
	v_mul_f32_e32 v50, v60, v66
	s_waitcnt vmcnt(3)
	v_fma_f32 v51, v57, v71, -v51
	v_add_f32_e32 v49, v49, v52
	v_mul_f32_e32 v79, v59, v66
	v_fmac_f32_e32 v78, v58, v71
	v_add_f32_e32 v48, v48, v77
	s_waitcnt vmcnt(2)
	v_fma_f32 v50, v59, v72, -v50
	v_add_f32_e32 v49, v49, v51
	v_fmac_f32_e32 v79, v60, v72
	v_add_f32_e32 v48, v48, v78
	v_add_f32_e32 v49, v49, v50
	;; [unrolled: 1-line block ×3, first 2 shown]
	s_waitcnt vmcnt(1)
	v_sub_f32_e32 v49, v73, v49
	s_waitcnt vmcnt(0)
	v_sub_f32_e32 v48, v74, v48
	buffer_store_dword v49, off, s[0:3], 0 offset:128
	buffer_store_dword v48, off, s[0:3], 0 offset:132
	v_cmpx_lt_u32_e32 15, v0
	s_cbranch_execz .LBB86_121
; %bb.120:
	s_clause 0x1
	buffer_load_dword v48, off, s[0:3], 0 offset:120
	buffer_load_dword v49, off, s[0:3], 0 offset:124
	v_mov_b32_e32 v50, 0
	buffer_store_dword v50, off, s[0:3], 0 offset:120
	buffer_store_dword v50, off, s[0:3], 0 offset:124
	s_waitcnt vmcnt(0)
	ds_write_b64 v47, v[48:49]
.LBB86_121:
	s_or_b32 exec_lo, exec_lo, s4
	s_waitcnt lgkmcnt(0)
	s_waitcnt_vscnt null, 0x0
	s_barrier
	buffer_gl0_inv
	s_clause 0xf
	buffer_load_dword v63, off, s[0:3], 0 offset:132
	buffer_load_dword v64, off, s[0:3], 0 offset:140
	;; [unrolled: 1-line block ×16, first 2 shown]
	v_mov_b32_e32 v48, 0
	ds_read_b128 v[49:52], v48 offset:320
	ds_read_b128 v[53:56], v48 offset:336
	;; [unrolled: 1-line block ×3, first 2 shown]
	ds_read_b64 v[61:62], v48 offset:368
	s_mov_b32 s4, exec_lo
	s_waitcnt vmcnt(15) lgkmcnt(3)
	v_mul_f32_e32 v79, v49, v63
	v_mul_f32_e32 v63, v50, v63
	s_waitcnt vmcnt(14)
	v_mul_f32_e32 v80, v51, v64
	v_mul_f32_e32 v64, v52, v64
	s_waitcnt vmcnt(13) lgkmcnt(2)
	v_mul_f32_e32 v81, v53, v65
	s_waitcnt vmcnt(12)
	v_mul_f32_e32 v82, v55, v66
	s_waitcnt vmcnt(11) lgkmcnt(1)
	v_mul_f32_e32 v83, v57, v67
	s_waitcnt vmcnt(8)
	v_fma_f32 v49, v49, v70, -v63
	v_fmac_f32_e32 v79, v50, v70
	v_mul_f32_e32 v50, v54, v65
	s_waitcnt vmcnt(7)
	v_fma_f32 v51, v51, v71, -v64
	v_fmac_f32_e32 v80, v52, v71
	v_add_f32_e32 v49, 0, v49
	v_add_f32_e32 v52, 0, v79
	v_mul_f32_e32 v63, v56, v66
	s_waitcnt vmcnt(6)
	v_fma_f32 v50, v53, v72, -v50
	v_fmac_f32_e32 v81, v54, v72
	v_add_f32_e32 v49, v49, v51
	v_add_f32_e32 v51, v52, v80
	v_mul_f32_e32 v52, v58, v67
	s_waitcnt vmcnt(5)
	v_fma_f32 v53, v55, v73, -v63
	v_fmac_f32_e32 v82, v56, v73
	v_add_f32_e32 v49, v49, v50
	v_add_f32_e32 v50, v51, v81
	v_mul_f32_e32 v51, v60, v68
	s_waitcnt vmcnt(4)
	v_fma_f32 v52, v57, v74, -v52
	v_mul_f32_e32 v84, v59, v68
	v_add_f32_e32 v49, v49, v53
	v_fmac_f32_e32 v83, v58, v74
	v_add_f32_e32 v50, v50, v82
	s_waitcnt lgkmcnt(0)
	v_mul_f32_e32 v53, v62, v69
	s_waitcnt vmcnt(3)
	v_fma_f32 v51, v59, v75, -v51
	v_add_f32_e32 v49, v49, v52
	v_mul_f32_e32 v85, v61, v69
	v_fmac_f32_e32 v84, v60, v75
	v_add_f32_e32 v50, v50, v83
	s_waitcnt vmcnt(2)
	v_fma_f32 v52, v61, v76, -v53
	v_add_f32_e32 v49, v49, v51
	v_fmac_f32_e32 v85, v62, v76
	v_add_f32_e32 v50, v50, v84
	v_add_f32_e32 v49, v49, v52
	;; [unrolled: 1-line block ×3, first 2 shown]
	s_waitcnt vmcnt(1)
	v_sub_f32_e32 v49, v77, v49
	s_waitcnt vmcnt(0)
	v_sub_f32_e32 v50, v78, v50
	buffer_store_dword v49, off, s[0:3], 0 offset:120
	buffer_store_dword v50, off, s[0:3], 0 offset:124
	v_cmpx_lt_u32_e32 14, v0
	s_cbranch_execz .LBB86_123
; %bb.122:
	s_clause 0x1
	buffer_load_dword v49, off, s[0:3], 0 offset:112
	buffer_load_dword v50, off, s[0:3], 0 offset:116
	buffer_store_dword v48, off, s[0:3], 0 offset:112
	buffer_store_dword v48, off, s[0:3], 0 offset:116
	s_waitcnt vmcnt(0)
	ds_write_b64 v47, v[49:50]
.LBB86_123:
	s_or_b32 exec_lo, exec_lo, s4
	s_waitcnt lgkmcnt(0)
	s_waitcnt_vscnt null, 0x0
	s_barrier
	buffer_gl0_inv
	s_clause 0x11
	buffer_load_dword v65, off, s[0:3], 0 offset:124
	buffer_load_dword v66, off, s[0:3], 0 offset:132
	;; [unrolled: 1-line block ×18, first 2 shown]
	ds_read2_b64 v[49:52], v48 offset0:39 offset1:40
	ds_read2_b64 v[53:56], v48 offset0:41 offset1:42
	;; [unrolled: 1-line block ×4, first 2 shown]
	s_mov_b32 s4, exec_lo
	s_waitcnt vmcnt(17) lgkmcnt(3)
	v_mul_f32_e32 v48, v49, v65
	v_mul_f32_e32 v65, v50, v65
	s_waitcnt vmcnt(16)
	v_mul_f32_e32 v83, v51, v66
	v_mul_f32_e32 v66, v52, v66
	s_waitcnt vmcnt(15) lgkmcnt(2)
	v_mul_f32_e32 v84, v53, v67
	s_waitcnt vmcnt(14)
	v_mul_f32_e32 v85, v55, v68
	s_waitcnt vmcnt(13) lgkmcnt(1)
	v_mul_f32_e32 v86, v57, v69
	s_waitcnt vmcnt(12)
	v_mul_f32_e32 v87, v59, v70
	s_waitcnt vmcnt(9)
	v_fma_f32 v49, v49, v73, -v65
	v_fmac_f32_e32 v48, v50, v73
	v_mul_f32_e32 v50, v54, v67
	s_waitcnt vmcnt(8)
	v_fma_f32 v51, v51, v74, -v66
	v_fmac_f32_e32 v83, v52, v74
	v_add_f32_e32 v49, 0, v49
	v_add_f32_e32 v48, 0, v48
	v_mul_f32_e32 v52, v56, v68
	s_waitcnt vmcnt(7)
	v_fma_f32 v50, v53, v75, -v50
	v_fmac_f32_e32 v84, v54, v75
	v_add_f32_e32 v49, v49, v51
	v_add_f32_e32 v48, v48, v83
	;; [unrolled: 6-line block ×4, first 2 shown]
	s_waitcnt lgkmcnt(0)
	v_mul_f32_e32 v52, v62, v71
	s_waitcnt vmcnt(4)
	v_fma_f32 v50, v59, v78, -v50
	v_mul_f32_e32 v88, v61, v71
	v_add_f32_e32 v49, v49, v51
	v_fmac_f32_e32 v87, v60, v78
	v_add_f32_e32 v48, v48, v86
	v_mul_f32_e32 v51, v64, v72
	s_waitcnt vmcnt(3)
	v_fma_f32 v52, v61, v79, -v52
	v_add_f32_e32 v49, v49, v50
	v_mul_f32_e32 v89, v63, v72
	v_fmac_f32_e32 v88, v62, v79
	v_add_f32_e32 v48, v48, v87
	s_waitcnt vmcnt(2)
	v_fma_f32 v50, v63, v80, -v51
	v_add_f32_e32 v49, v49, v52
	v_fmac_f32_e32 v89, v64, v80
	v_add_f32_e32 v48, v48, v88
	v_add_f32_e32 v49, v49, v50
	;; [unrolled: 1-line block ×3, first 2 shown]
	s_waitcnt vmcnt(1)
	v_sub_f32_e32 v49, v81, v49
	s_waitcnt vmcnt(0)
	v_sub_f32_e32 v48, v82, v48
	buffer_store_dword v49, off, s[0:3], 0 offset:112
	buffer_store_dword v48, off, s[0:3], 0 offset:116
	v_cmpx_lt_u32_e32 13, v0
	s_cbranch_execz .LBB86_125
; %bb.124:
	s_clause 0x1
	buffer_load_dword v48, off, s[0:3], 0 offset:104
	buffer_load_dword v49, off, s[0:3], 0 offset:108
	v_mov_b32_e32 v50, 0
	buffer_store_dword v50, off, s[0:3], 0 offset:104
	buffer_store_dword v50, off, s[0:3], 0 offset:108
	s_waitcnt vmcnt(0)
	ds_write_b64 v47, v[48:49]
.LBB86_125:
	s_or_b32 exec_lo, exec_lo, s4
	s_waitcnt lgkmcnt(0)
	s_waitcnt_vscnt null, 0x0
	s_barrier
	buffer_gl0_inv
	s_clause 0x13
	buffer_load_dword v67, off, s[0:3], 0 offset:116
	buffer_load_dword v68, off, s[0:3], 0 offset:124
	;; [unrolled: 1-line block ×20, first 2 shown]
	v_mov_b32_e32 v48, 0
	ds_read_b128 v[49:52], v48 offset:304
	ds_read_b128 v[53:56], v48 offset:320
	;; [unrolled: 1-line block ×4, first 2 shown]
	ds_read_b64 v[65:66], v48 offset:368
	s_mov_b32 s4, exec_lo
	s_waitcnt vmcnt(19) lgkmcnt(4)
	v_mul_f32_e32 v87, v49, v67
	v_mul_f32_e32 v67, v50, v67
	s_waitcnt vmcnt(18)
	v_mul_f32_e32 v88, v51, v68
	v_mul_f32_e32 v68, v52, v68
	s_waitcnt vmcnt(17) lgkmcnt(3)
	v_mul_f32_e32 v89, v53, v69
	s_waitcnt vmcnt(16)
	v_mul_f32_e32 v90, v55, v70
	s_waitcnt vmcnt(15) lgkmcnt(2)
	v_mul_f32_e32 v91, v57, v71
	s_waitcnt vmcnt(14)
	;; [unrolled: 4-line block ×3, first 2 shown]
	v_fma_f32 v49, v49, v76, -v67
	v_fmac_f32_e32 v87, v50, v76
	v_mul_f32_e32 v50, v54, v69
	s_waitcnt vmcnt(9)
	v_fma_f32 v51, v51, v77, -v68
	v_fmac_f32_e32 v88, v52, v77
	v_add_f32_e32 v49, 0, v49
	v_add_f32_e32 v52, 0, v87
	v_mul_f32_e32 v67, v56, v70
	s_waitcnt vmcnt(8)
	v_fma_f32 v50, v53, v78, -v50
	v_fmac_f32_e32 v89, v54, v78
	v_add_f32_e32 v49, v49, v51
	v_add_f32_e32 v51, v52, v88
	;; [unrolled: 6-line block ×5, first 2 shown]
	v_mul_f32_e32 v52, v64, v74
	s_waitcnt vmcnt(4)
	v_fma_f32 v53, v61, v82, -v53
	v_mul_f32_e32 v94, v63, v74
	v_add_f32_e32 v49, v49, v51
	v_fmac_f32_e32 v93, v62, v82
	v_add_f32_e32 v50, v50, v92
	s_waitcnt lgkmcnt(0)
	v_mul_f32_e32 v51, v66, v75
	s_waitcnt vmcnt(3)
	v_fma_f32 v52, v63, v83, -v52
	v_add_f32_e32 v49, v49, v53
	v_mul_f32_e32 v95, v65, v75
	v_fmac_f32_e32 v94, v64, v83
	v_add_f32_e32 v50, v50, v93
	s_waitcnt vmcnt(2)
	v_fma_f32 v51, v65, v84, -v51
	v_add_f32_e32 v49, v49, v52
	v_fmac_f32_e32 v95, v66, v84
	v_add_f32_e32 v50, v50, v94
	v_add_f32_e32 v49, v49, v51
	v_add_f32_e32 v50, v50, v95
	s_waitcnt vmcnt(1)
	v_sub_f32_e32 v49, v85, v49
	s_waitcnt vmcnt(0)
	v_sub_f32_e32 v50, v86, v50
	buffer_store_dword v49, off, s[0:3], 0 offset:104
	buffer_store_dword v50, off, s[0:3], 0 offset:108
	v_cmpx_lt_u32_e32 12, v0
	s_cbranch_execz .LBB86_127
; %bb.126:
	s_clause 0x1
	buffer_load_dword v49, off, s[0:3], 0 offset:96
	buffer_load_dword v50, off, s[0:3], 0 offset:100
	buffer_store_dword v48, off, s[0:3], 0 offset:96
	buffer_store_dword v48, off, s[0:3], 0 offset:100
	s_waitcnt vmcnt(0)
	ds_write_b64 v47, v[49:50]
.LBB86_127:
	s_or_b32 exec_lo, exec_lo, s4
	s_waitcnt lgkmcnt(0)
	s_waitcnt_vscnt null, 0x0
	s_barrier
	buffer_gl0_inv
	s_clause 0x15
	buffer_load_dword v69, off, s[0:3], 0 offset:108
	buffer_load_dword v70, off, s[0:3], 0 offset:116
	;; [unrolled: 1-line block ×22, first 2 shown]
	ds_read2_b64 v[49:52], v48 offset0:37 offset1:38
	ds_read2_b64 v[53:56], v48 offset0:39 offset1:40
	;; [unrolled: 1-line block ×5, first 2 shown]
	s_mov_b32 s4, exec_lo
	s_waitcnt vmcnt(21) lgkmcnt(4)
	v_mul_f32_e32 v48, v49, v69
	v_mul_f32_e32 v69, v50, v69
	s_waitcnt vmcnt(20)
	v_mul_f32_e32 v91, v51, v70
	v_mul_f32_e32 v70, v52, v70
	s_waitcnt vmcnt(19) lgkmcnt(3)
	v_mul_f32_e32 v92, v53, v71
	s_waitcnt vmcnt(18)
	v_mul_f32_e32 v93, v55, v72
	s_waitcnt vmcnt(17) lgkmcnt(2)
	v_mul_f32_e32 v94, v57, v73
	s_waitcnt vmcnt(16)
	;; [unrolled: 4-line block ×3, first 2 shown]
	v_mul_f32_e32 v97, v63, v76
	s_waitcnt vmcnt(11)
	v_fma_f32 v49, v49, v79, -v69
	v_fmac_f32_e32 v48, v50, v79
	v_mul_f32_e32 v50, v54, v71
	s_waitcnt vmcnt(10)
	v_fma_f32 v51, v51, v80, -v70
	v_fmac_f32_e32 v91, v52, v80
	v_add_f32_e32 v49, 0, v49
	v_add_f32_e32 v48, 0, v48
	v_mul_f32_e32 v52, v56, v72
	s_waitcnt vmcnt(9)
	v_fma_f32 v50, v53, v81, -v50
	v_fmac_f32_e32 v92, v54, v81
	v_add_f32_e32 v49, v49, v51
	v_add_f32_e32 v48, v48, v91
	;; [unrolled: 6-line block ×6, first 2 shown]
	s_waitcnt lgkmcnt(0)
	v_mul_f32_e32 v50, v66, v77
	s_waitcnt vmcnt(4)
	v_fma_f32 v51, v63, v86, -v51
	v_mul_f32_e32 v98, v65, v77
	v_add_f32_e32 v49, v49, v52
	v_fmac_f32_e32 v97, v64, v86
	v_add_f32_e32 v48, v48, v96
	v_mul_f32_e32 v52, v68, v78
	s_waitcnt vmcnt(3)
	v_fma_f32 v50, v65, v87, -v50
	v_add_f32_e32 v49, v49, v51
	v_mul_f32_e32 v99, v67, v78
	v_fmac_f32_e32 v98, v66, v87
	v_add_f32_e32 v48, v48, v97
	s_waitcnt vmcnt(2)
	v_fma_f32 v51, v67, v88, -v52
	v_add_f32_e32 v49, v49, v50
	v_fmac_f32_e32 v99, v68, v88
	v_add_f32_e32 v48, v48, v98
	v_add_f32_e32 v49, v49, v51
	v_add_f32_e32 v48, v48, v99
	s_waitcnt vmcnt(1)
	v_sub_f32_e32 v49, v89, v49
	s_waitcnt vmcnt(0)
	v_sub_f32_e32 v48, v90, v48
	buffer_store_dword v49, off, s[0:3], 0 offset:96
	buffer_store_dword v48, off, s[0:3], 0 offset:100
	v_cmpx_lt_u32_e32 11, v0
	s_cbranch_execz .LBB86_129
; %bb.128:
	s_clause 0x1
	buffer_load_dword v48, off, s[0:3], 0 offset:88
	buffer_load_dword v49, off, s[0:3], 0 offset:92
	v_mov_b32_e32 v50, 0
	buffer_store_dword v50, off, s[0:3], 0 offset:88
	buffer_store_dword v50, off, s[0:3], 0 offset:92
	s_waitcnt vmcnt(0)
	ds_write_b64 v47, v[48:49]
.LBB86_129:
	s_or_b32 exec_lo, exec_lo, s4
	s_waitcnt lgkmcnt(0)
	s_waitcnt_vscnt null, 0x0
	s_barrier
	buffer_gl0_inv
	s_clause 0x17
	buffer_load_dword v71, off, s[0:3], 0 offset:100
	buffer_load_dword v72, off, s[0:3], 0 offset:108
	;; [unrolled: 1-line block ×24, first 2 shown]
	v_mov_b32_e32 v48, 0
	ds_read_b128 v[49:52], v48 offset:288
	ds_read_b128 v[53:56], v48 offset:304
	ds_read_b128 v[57:60], v48 offset:320
	ds_read_b128 v[61:64], v48 offset:336
	ds_read_b128 v[65:68], v48 offset:352
	ds_read_b64 v[69:70], v48 offset:368
	s_mov_b32 s4, exec_lo
	s_waitcnt vmcnt(23) lgkmcnt(5)
	v_mul_f32_e32 v95, v49, v71
	v_mul_f32_e32 v71, v50, v71
	s_waitcnt vmcnt(22)
	v_mul_f32_e32 v96, v51, v72
	v_mul_f32_e32 v72, v52, v72
	s_waitcnt vmcnt(21) lgkmcnt(4)
	v_mul_f32_e32 v97, v53, v73
	s_waitcnt vmcnt(20)
	v_mul_f32_e32 v98, v55, v74
	s_waitcnt vmcnt(19) lgkmcnt(3)
	v_mul_f32_e32 v99, v57, v75
	s_waitcnt vmcnt(18)
	;; [unrolled: 4-line block ×4, first 2 shown]
	v_fma_f32 v49, v49, v82, -v71
	v_fmac_f32_e32 v95, v50, v82
	v_mul_f32_e32 v50, v54, v73
	s_waitcnt vmcnt(11)
	v_fma_f32 v51, v51, v83, -v72
	v_fmac_f32_e32 v96, v52, v83
	v_add_f32_e32 v49, 0, v49
	v_add_f32_e32 v52, 0, v95
	v_mul_f32_e32 v71, v56, v74
	s_waitcnt vmcnt(10)
	v_fma_f32 v50, v53, v84, -v50
	v_fmac_f32_e32 v97, v54, v84
	v_add_f32_e32 v49, v49, v51
	v_add_f32_e32 v51, v52, v96
	;; [unrolled: 6-line block ×7, first 2 shown]
	v_mul_f32_e32 v53, v68, v80
	s_waitcnt vmcnt(4)
	v_fma_f32 v51, v65, v90, -v51
	v_mul_f32_e32 v104, v67, v80
	v_add_f32_e32 v49, v49, v52
	v_fmac_f32_e32 v103, v66, v90
	v_add_f32_e32 v50, v50, v102
	s_waitcnt lgkmcnt(0)
	v_mul_f32_e32 v52, v70, v81
	s_waitcnt vmcnt(3)
	v_fma_f32 v53, v67, v91, -v53
	v_add_f32_e32 v49, v49, v51
	v_mul_f32_e32 v105, v69, v81
	v_fmac_f32_e32 v104, v68, v91
	v_add_f32_e32 v50, v50, v103
	s_waitcnt vmcnt(2)
	v_fma_f32 v51, v69, v92, -v52
	v_add_f32_e32 v49, v49, v53
	v_fmac_f32_e32 v105, v70, v92
	v_add_f32_e32 v50, v50, v104
	v_add_f32_e32 v49, v49, v51
	;; [unrolled: 1-line block ×3, first 2 shown]
	s_waitcnt vmcnt(1)
	v_sub_f32_e32 v49, v93, v49
	s_waitcnt vmcnt(0)
	v_sub_f32_e32 v50, v94, v50
	buffer_store_dword v49, off, s[0:3], 0 offset:88
	buffer_store_dword v50, off, s[0:3], 0 offset:92
	v_cmpx_lt_u32_e32 10, v0
	s_cbranch_execz .LBB86_131
; %bb.130:
	s_clause 0x1
	buffer_load_dword v49, off, s[0:3], 0 offset:80
	buffer_load_dword v50, off, s[0:3], 0 offset:84
	buffer_store_dword v48, off, s[0:3], 0 offset:80
	buffer_store_dword v48, off, s[0:3], 0 offset:84
	s_waitcnt vmcnt(0)
	ds_write_b64 v47, v[49:50]
.LBB86_131:
	s_or_b32 exec_lo, exec_lo, s4
	s_waitcnt lgkmcnt(0)
	s_waitcnt_vscnt null, 0x0
	s_barrier
	buffer_gl0_inv
	s_clause 0x19
	buffer_load_dword v73, off, s[0:3], 0 offset:92
	buffer_load_dword v74, off, s[0:3], 0 offset:100
	;; [unrolled: 1-line block ×26, first 2 shown]
	ds_read2_b64 v[49:52], v48 offset0:35 offset1:36
	ds_read2_b64 v[53:56], v48 offset0:37 offset1:38
	;; [unrolled: 1-line block ×6, first 2 shown]
	s_mov_b32 s4, exec_lo
	s_waitcnt vmcnt(25) lgkmcnt(5)
	v_mul_f32_e32 v48, v49, v73
	v_mul_f32_e32 v73, v50, v73
	s_waitcnt vmcnt(24)
	v_mul_f32_e32 v99, v51, v74
	v_mul_f32_e32 v74, v52, v74
	s_waitcnt vmcnt(23) lgkmcnt(4)
	v_mul_f32_e32 v100, v53, v75
	s_waitcnt vmcnt(22)
	v_mul_f32_e32 v101, v55, v76
	s_waitcnt vmcnt(21) lgkmcnt(3)
	v_mul_f32_e32 v102, v57, v77
	s_waitcnt vmcnt(20)
	v_mul_f32_e32 v103, v59, v78
	s_waitcnt vmcnt(19) lgkmcnt(2)
	v_mul_f32_e32 v104, v61, v79
	s_waitcnt vmcnt(18)
	v_mul_f32_e32 v105, v63, v80
	s_waitcnt vmcnt(17) lgkmcnt(1)
	v_mul_f32_e32 v106, v65, v81
	s_waitcnt vmcnt(16)
	v_mul_f32_e32 v107, v67, v82
	s_waitcnt vmcnt(13)
	v_fma_f32 v49, v49, v85, -v73
	v_fmac_f32_e32 v48, v50, v85
	v_mul_f32_e32 v50, v54, v75
	s_waitcnt vmcnt(12)
	v_fma_f32 v51, v51, v86, -v74
	v_fmac_f32_e32 v99, v52, v86
	v_add_f32_e32 v49, 0, v49
	v_add_f32_e32 v48, 0, v48
	v_mul_f32_e32 v52, v56, v76
	s_waitcnt vmcnt(11)
	v_fma_f32 v50, v53, v87, -v50
	v_fmac_f32_e32 v100, v54, v87
	v_add_f32_e32 v49, v49, v51
	v_add_f32_e32 v48, v48, v99
	;; [unrolled: 6-line block ×8, first 2 shown]
	s_waitcnt lgkmcnt(0)
	v_mul_f32_e32 v51, v70, v83
	s_waitcnt vmcnt(4)
	v_fma_f32 v52, v67, v94, -v52
	v_mul_f32_e32 v108, v69, v83
	v_add_f32_e32 v49, v49, v50
	v_fmac_f32_e32 v107, v68, v94
	v_add_f32_e32 v48, v48, v106
	v_mul_f32_e32 v50, v72, v84
	s_waitcnt vmcnt(3)
	v_fma_f32 v51, v69, v95, -v51
	v_add_f32_e32 v49, v49, v52
	v_mul_f32_e32 v109, v71, v84
	v_fmac_f32_e32 v108, v70, v95
	v_add_f32_e32 v48, v48, v107
	s_waitcnt vmcnt(2)
	v_fma_f32 v50, v71, v96, -v50
	v_add_f32_e32 v49, v49, v51
	v_fmac_f32_e32 v109, v72, v96
	v_add_f32_e32 v48, v48, v108
	v_add_f32_e32 v49, v49, v50
	;; [unrolled: 1-line block ×3, first 2 shown]
	s_waitcnt vmcnt(1)
	v_sub_f32_e32 v49, v97, v49
	s_waitcnt vmcnt(0)
	v_sub_f32_e32 v48, v98, v48
	buffer_store_dword v49, off, s[0:3], 0 offset:80
	buffer_store_dword v48, off, s[0:3], 0 offset:84
	v_cmpx_lt_u32_e32 9, v0
	s_cbranch_execz .LBB86_133
; %bb.132:
	s_clause 0x1
	buffer_load_dword v48, off, s[0:3], 0 offset:72
	buffer_load_dword v49, off, s[0:3], 0 offset:76
	v_mov_b32_e32 v50, 0
	buffer_store_dword v50, off, s[0:3], 0 offset:72
	buffer_store_dword v50, off, s[0:3], 0 offset:76
	s_waitcnt vmcnt(0)
	ds_write_b64 v47, v[48:49]
.LBB86_133:
	s_or_b32 exec_lo, exec_lo, s4
	s_waitcnt lgkmcnt(0)
	s_waitcnt_vscnt null, 0x0
	s_barrier
	buffer_gl0_inv
	s_clause 0x1b
	buffer_load_dword v75, off, s[0:3], 0 offset:84
	buffer_load_dword v76, off, s[0:3], 0 offset:92
	;; [unrolled: 1-line block ×28, first 2 shown]
	v_mov_b32_e32 v48, 0
	ds_read_b128 v[49:52], v48 offset:272
	ds_read_b128 v[53:56], v48 offset:288
	;; [unrolled: 1-line block ×6, first 2 shown]
	ds_read_b64 v[73:74], v48 offset:368
	s_mov_b32 s4, exec_lo
	s_waitcnt vmcnt(27) lgkmcnt(6)
	v_mul_f32_e32 v103, v49, v75
	v_mul_f32_e32 v75, v50, v75
	s_waitcnt vmcnt(26)
	v_mul_f32_e32 v104, v51, v76
	v_mul_f32_e32 v76, v52, v76
	s_waitcnt vmcnt(25) lgkmcnt(5)
	v_mul_f32_e32 v105, v53, v77
	s_waitcnt vmcnt(24)
	v_mul_f32_e32 v106, v55, v78
	s_waitcnt vmcnt(23) lgkmcnt(4)
	v_mul_f32_e32 v107, v57, v79
	s_waitcnt vmcnt(22)
	;; [unrolled: 4-line block ×5, first 2 shown]
	v_fma_f32 v49, v49, v88, -v75
	v_fmac_f32_e32 v103, v50, v88
	v_mul_f32_e32 v50, v54, v77
	s_waitcnt vmcnt(13)
	v_fma_f32 v51, v51, v89, -v76
	v_fmac_f32_e32 v104, v52, v89
	v_add_f32_e32 v49, 0, v49
	v_add_f32_e32 v52, 0, v103
	v_mul_f32_e32 v75, v56, v78
	s_waitcnt vmcnt(12)
	v_fma_f32 v50, v53, v90, -v50
	v_fmac_f32_e32 v105, v54, v90
	v_add_f32_e32 v49, v49, v51
	v_add_f32_e32 v51, v52, v104
	;; [unrolled: 6-line block ×9, first 2 shown]
	v_mul_f32_e32 v51, v72, v86
	s_waitcnt vmcnt(4)
	v_fma_f32 v52, v69, v98, -v52
	v_mul_f32_e32 v114, v71, v86
	v_add_f32_e32 v49, v49, v53
	v_fmac_f32_e32 v113, v70, v98
	v_add_f32_e32 v50, v50, v112
	s_waitcnt lgkmcnt(0)
	v_mul_f32_e32 v53, v74, v87
	s_waitcnt vmcnt(3)
	v_fma_f32 v51, v71, v99, -v51
	v_add_f32_e32 v49, v49, v52
	v_mul_f32_e32 v115, v73, v87
	v_fmac_f32_e32 v114, v72, v99
	v_add_f32_e32 v50, v50, v113
	s_waitcnt vmcnt(2)
	v_fma_f32 v52, v73, v100, -v53
	v_add_f32_e32 v49, v49, v51
	v_fmac_f32_e32 v115, v74, v100
	v_add_f32_e32 v50, v50, v114
	v_add_f32_e32 v49, v49, v52
	;; [unrolled: 1-line block ×3, first 2 shown]
	s_waitcnt vmcnt(1)
	v_sub_f32_e32 v49, v101, v49
	s_waitcnt vmcnt(0)
	v_sub_f32_e32 v50, v102, v50
	buffer_store_dword v49, off, s[0:3], 0 offset:72
	buffer_store_dword v50, off, s[0:3], 0 offset:76
	v_cmpx_lt_u32_e32 8, v0
	s_cbranch_execz .LBB86_135
; %bb.134:
	s_clause 0x1
	buffer_load_dword v49, off, s[0:3], 0 offset:64
	buffer_load_dword v50, off, s[0:3], 0 offset:68
	buffer_store_dword v48, off, s[0:3], 0 offset:64
	buffer_store_dword v48, off, s[0:3], 0 offset:68
	s_waitcnt vmcnt(0)
	ds_write_b64 v47, v[49:50]
.LBB86_135:
	s_or_b32 exec_lo, exec_lo, s4
	s_waitcnt lgkmcnt(0)
	s_waitcnt_vscnt null, 0x0
	s_barrier
	buffer_gl0_inv
	s_clause 0x1d
	buffer_load_dword v77, off, s[0:3], 0 offset:76
	buffer_load_dword v78, off, s[0:3], 0 offset:84
	;; [unrolled: 1-line block ×30, first 2 shown]
	ds_read2_b64 v[49:52], v48 offset0:33 offset1:34
	ds_read2_b64 v[53:56], v48 offset0:35 offset1:36
	;; [unrolled: 1-line block ×7, first 2 shown]
	s_mov_b32 s4, exec_lo
	s_waitcnt vmcnt(29) lgkmcnt(6)
	v_mul_f32_e32 v48, v49, v77
	v_mul_f32_e32 v77, v50, v77
	s_waitcnt vmcnt(28)
	v_mul_f32_e32 v107, v51, v78
	v_mul_f32_e32 v78, v52, v78
	s_waitcnt vmcnt(27) lgkmcnt(5)
	v_mul_f32_e32 v108, v53, v79
	s_waitcnt vmcnt(26)
	v_mul_f32_e32 v109, v55, v80
	s_waitcnt vmcnt(25) lgkmcnt(4)
	v_mul_f32_e32 v110, v57, v81
	s_waitcnt vmcnt(24)
	;; [unrolled: 4-line block ×5, first 2 shown]
	v_mul_f32_e32 v117, v71, v88
	s_waitcnt vmcnt(15)
	v_fma_f32 v49, v49, v91, -v77
	v_fmac_f32_e32 v48, v50, v91
	v_mul_f32_e32 v50, v54, v79
	s_waitcnt vmcnt(14)
	v_fma_f32 v51, v51, v92, -v78
	v_fmac_f32_e32 v107, v52, v92
	v_add_f32_e32 v49, 0, v49
	v_add_f32_e32 v48, 0, v48
	v_mul_f32_e32 v52, v56, v80
	s_waitcnt vmcnt(13)
	v_fma_f32 v50, v53, v93, -v50
	v_fmac_f32_e32 v108, v54, v93
	v_add_f32_e32 v49, v49, v51
	v_add_f32_e32 v48, v48, v107
	;; [unrolled: 6-line block ×10, first 2 shown]
	s_waitcnt lgkmcnt(0)
	v_mul_f32_e32 v52, v74, v89
	s_waitcnt vmcnt(4)
	v_fma_f32 v50, v71, v102, -v50
	v_mul_f32_e32 v118, v73, v89
	v_add_f32_e32 v49, v49, v51
	v_fmac_f32_e32 v117, v72, v102
	v_add_f32_e32 v48, v48, v116
	v_mul_f32_e32 v51, v76, v90
	s_waitcnt vmcnt(3)
	v_fma_f32 v52, v73, v103, -v52
	v_add_f32_e32 v49, v49, v50
	v_mul_f32_e32 v119, v75, v90
	v_fmac_f32_e32 v118, v74, v103
	v_add_f32_e32 v48, v48, v117
	s_waitcnt vmcnt(2)
	v_fma_f32 v50, v75, v104, -v51
	v_add_f32_e32 v49, v49, v52
	v_fmac_f32_e32 v119, v76, v104
	v_add_f32_e32 v48, v48, v118
	v_add_f32_e32 v49, v49, v50
	;; [unrolled: 1-line block ×3, first 2 shown]
	s_waitcnt vmcnt(1)
	v_sub_f32_e32 v49, v105, v49
	s_waitcnt vmcnt(0)
	v_sub_f32_e32 v48, v106, v48
	buffer_store_dword v49, off, s[0:3], 0 offset:64
	buffer_store_dword v48, off, s[0:3], 0 offset:68
	v_cmpx_lt_u32_e32 7, v0
	s_cbranch_execz .LBB86_137
; %bb.136:
	s_clause 0x1
	buffer_load_dword v48, off, s[0:3], 0 offset:56
	buffer_load_dword v49, off, s[0:3], 0 offset:60
	v_mov_b32_e32 v50, 0
	buffer_store_dword v50, off, s[0:3], 0 offset:56
	buffer_store_dword v50, off, s[0:3], 0 offset:60
	s_waitcnt vmcnt(0)
	ds_write_b64 v47, v[48:49]
.LBB86_137:
	s_or_b32 exec_lo, exec_lo, s4
	s_waitcnt lgkmcnt(0)
	s_waitcnt_vscnt null, 0x0
	s_barrier
	buffer_gl0_inv
	s_clause 0x1f
	buffer_load_dword v79, off, s[0:3], 0 offset:68
	buffer_load_dword v80, off, s[0:3], 0 offset:76
	;; [unrolled: 1-line block ×32, first 2 shown]
	v_mov_b32_e32 v48, 0
	ds_read_b128 v[49:52], v48 offset:256
	ds_read_b128 v[53:56], v48 offset:272
	;; [unrolled: 1-line block ×7, first 2 shown]
	ds_read_b64 v[77:78], v48 offset:368
	s_mov_b32 s4, exec_lo
	s_waitcnt vmcnt(31) lgkmcnt(7)
	v_mul_f32_e32 v111, v49, v79
	v_mul_f32_e32 v79, v50, v79
	s_waitcnt vmcnt(30)
	v_mul_f32_e32 v112, v51, v80
	v_mul_f32_e32 v80, v52, v80
	s_waitcnt vmcnt(29) lgkmcnt(6)
	v_mul_f32_e32 v113, v53, v81
	s_waitcnt vmcnt(28)
	v_mul_f32_e32 v114, v55, v82
	s_waitcnt vmcnt(27) lgkmcnt(5)
	v_mul_f32_e32 v115, v57, v83
	s_waitcnt vmcnt(26)
	;; [unrolled: 4-line block ×6, first 2 shown]
	v_fma_f32 v49, v49, v94, -v79
	v_fmac_f32_e32 v111, v50, v94
	v_mul_f32_e32 v50, v54, v81
	s_waitcnt vmcnt(15)
	v_fma_f32 v51, v51, v95, -v80
	v_fmac_f32_e32 v112, v52, v95
	v_add_f32_e32 v49, 0, v49
	v_add_f32_e32 v52, 0, v111
	v_mul_f32_e32 v79, v56, v82
	s_waitcnt vmcnt(14)
	v_fma_f32 v50, v53, v96, -v50
	v_fmac_f32_e32 v113, v54, v96
	v_add_f32_e32 v49, v49, v51
	v_add_f32_e32 v51, v52, v112
	;; [unrolled: 6-line block ×11, first 2 shown]
	v_mul_f32_e32 v52, v76, v92
	s_waitcnt vmcnt(4)
	v_fma_f32 v53, v73, v106, -v53
	v_mul_f32_e32 v124, v75, v92
	v_add_f32_e32 v49, v49, v51
	v_fmac_f32_e32 v123, v74, v106
	v_add_f32_e32 v50, v50, v122
	s_waitcnt lgkmcnt(0)
	v_mul_f32_e32 v51, v78, v93
	s_waitcnt vmcnt(3)
	v_fma_f32 v52, v75, v107, -v52
	v_add_f32_e32 v49, v49, v53
	v_mul_f32_e32 v125, v77, v93
	v_fmac_f32_e32 v124, v76, v107
	v_add_f32_e32 v50, v50, v123
	s_waitcnt vmcnt(2)
	v_fma_f32 v51, v77, v108, -v51
	v_add_f32_e32 v49, v49, v52
	v_fmac_f32_e32 v125, v78, v108
	v_add_f32_e32 v50, v50, v124
	v_add_f32_e32 v49, v49, v51
	;; [unrolled: 1-line block ×3, first 2 shown]
	s_waitcnt vmcnt(1)
	v_sub_f32_e32 v49, v109, v49
	s_waitcnt vmcnt(0)
	v_sub_f32_e32 v50, v110, v50
	buffer_store_dword v49, off, s[0:3], 0 offset:56
	buffer_store_dword v50, off, s[0:3], 0 offset:60
	v_cmpx_lt_u32_e32 6, v0
	s_cbranch_execz .LBB86_139
; %bb.138:
	s_clause 0x1
	buffer_load_dword v49, off, s[0:3], 0 offset:48
	buffer_load_dword v50, off, s[0:3], 0 offset:52
	buffer_store_dword v48, off, s[0:3], 0 offset:48
	buffer_store_dword v48, off, s[0:3], 0 offset:52
	s_waitcnt vmcnt(0)
	ds_write_b64 v47, v[49:50]
.LBB86_139:
	s_or_b32 exec_lo, exec_lo, s4
	s_waitcnt lgkmcnt(0)
	s_waitcnt_vscnt null, 0x0
	s_barrier
	buffer_gl0_inv
	s_clause 0x21
	buffer_load_dword v81, off, s[0:3], 0 offset:60
	buffer_load_dword v82, off, s[0:3], 0 offset:68
	buffer_load_dword v83, off, s[0:3], 0 offset:76
	buffer_load_dword v84, off, s[0:3], 0 offset:84
	buffer_load_dword v85, off, s[0:3], 0 offset:92
	buffer_load_dword v86, off, s[0:3], 0 offset:100
	buffer_load_dword v87, off, s[0:3], 0 offset:108
	buffer_load_dword v88, off, s[0:3], 0 offset:116
	buffer_load_dword v89, off, s[0:3], 0 offset:124
	buffer_load_dword v90, off, s[0:3], 0 offset:132
	buffer_load_dword v91, off, s[0:3], 0 offset:140
	buffer_load_dword v92, off, s[0:3], 0 offset:148
	buffer_load_dword v93, off, s[0:3], 0 offset:156
	buffer_load_dword v94, off, s[0:3], 0 offset:164
	buffer_load_dword v95, off, s[0:3], 0 offset:172
	buffer_load_dword v96, off, s[0:3], 0 offset:180
	buffer_load_dword v97, off, s[0:3], 0 offset:56
	buffer_load_dword v98, off, s[0:3], 0 offset:64
	buffer_load_dword v99, off, s[0:3], 0 offset:72
	buffer_load_dword v100, off, s[0:3], 0 offset:80
	buffer_load_dword v101, off, s[0:3], 0 offset:88
	buffer_load_dword v102, off, s[0:3], 0 offset:96
	buffer_load_dword v103, off, s[0:3], 0 offset:104
	buffer_load_dword v104, off, s[0:3], 0 offset:112
	buffer_load_dword v105, off, s[0:3], 0 offset:120
	buffer_load_dword v106, off, s[0:3], 0 offset:128
	buffer_load_dword v107, off, s[0:3], 0 offset:136
	buffer_load_dword v108, off, s[0:3], 0 offset:144
	buffer_load_dword v109, off, s[0:3], 0 offset:152
	buffer_load_dword v110, off, s[0:3], 0 offset:160
	buffer_load_dword v111, off, s[0:3], 0 offset:168
	buffer_load_dword v112, off, s[0:3], 0 offset:176
	buffer_load_dword v113, off, s[0:3], 0 offset:48
	buffer_load_dword v114, off, s[0:3], 0 offset:52
	ds_read2_b64 v[49:52], v48 offset0:31 offset1:32
	ds_read2_b64 v[53:56], v48 offset0:33 offset1:34
	;; [unrolled: 1-line block ×8, first 2 shown]
	s_mov_b32 s4, exec_lo
	s_waitcnt vmcnt(33) lgkmcnt(7)
	v_mul_f32_e32 v48, v49, v81
	v_mul_f32_e32 v81, v50, v81
	s_waitcnt vmcnt(32)
	v_mul_f32_e32 v115, v51, v82
	v_mul_f32_e32 v82, v52, v82
	s_waitcnt vmcnt(31) lgkmcnt(6)
	v_mul_f32_e32 v116, v53, v83
	s_waitcnt vmcnt(30)
	v_mul_f32_e32 v117, v55, v84
	s_waitcnt vmcnt(29) lgkmcnt(5)
	v_mul_f32_e32 v118, v57, v85
	s_waitcnt vmcnt(28)
	;; [unrolled: 4-line block ×6, first 2 shown]
	v_mul_f32_e32 v127, v75, v94
	s_waitcnt vmcnt(17)
	v_fma_f32 v49, v49, v97, -v81
	v_fmac_f32_e32 v48, v50, v97
	v_mul_f32_e32 v50, v54, v83
	s_waitcnt vmcnt(16)
	v_fma_f32 v51, v51, v98, -v82
	v_fmac_f32_e32 v115, v52, v98
	v_add_f32_e32 v49, 0, v49
	v_add_f32_e32 v48, 0, v48
	v_mul_f32_e32 v52, v56, v84
	s_waitcnt vmcnt(15)
	v_fma_f32 v50, v53, v99, -v50
	v_fmac_f32_e32 v116, v54, v99
	v_add_f32_e32 v49, v49, v51
	v_add_f32_e32 v48, v48, v115
	;; [unrolled: 6-line block ×12, first 2 shown]
	s_waitcnt lgkmcnt(0)
	v_mul_f32_e32 v50, v78, v95
	s_waitcnt vmcnt(4)
	v_fma_f32 v51, v75, v110, -v51
	v_mul_f32_e32 v128, v77, v95
	v_add_f32_e32 v49, v49, v52
	v_fmac_f32_e32 v127, v76, v110
	v_add_f32_e32 v48, v48, v126
	v_mul_f32_e32 v52, v80, v96
	s_waitcnt vmcnt(3)
	v_fma_f32 v50, v77, v111, -v50
	v_add_f32_e32 v49, v49, v51
	v_mul_f32_e32 v129, v79, v96
	v_fmac_f32_e32 v128, v78, v111
	v_add_f32_e32 v48, v48, v127
	s_waitcnt vmcnt(2)
	v_fma_f32 v51, v79, v112, -v52
	v_add_f32_e32 v49, v49, v50
	v_fmac_f32_e32 v129, v80, v112
	v_add_f32_e32 v48, v48, v128
	v_add_f32_e32 v49, v49, v51
	;; [unrolled: 1-line block ×3, first 2 shown]
	s_waitcnt vmcnt(1)
	v_sub_f32_e32 v49, v113, v49
	s_waitcnt vmcnt(0)
	v_sub_f32_e32 v48, v114, v48
	buffer_store_dword v49, off, s[0:3], 0 offset:48
	buffer_store_dword v48, off, s[0:3], 0 offset:52
	v_cmpx_lt_u32_e32 5, v0
	s_cbranch_execz .LBB86_141
; %bb.140:
	s_clause 0x1
	buffer_load_dword v48, off, s[0:3], 0 offset:40
	buffer_load_dword v49, off, s[0:3], 0 offset:44
	v_mov_b32_e32 v50, 0
	buffer_store_dword v50, off, s[0:3], 0 offset:40
	buffer_store_dword v50, off, s[0:3], 0 offset:44
	s_waitcnt vmcnt(0)
	ds_write_b64 v47, v[48:49]
.LBB86_141:
	s_or_b32 exec_lo, exec_lo, s4
	s_waitcnt lgkmcnt(0)
	s_waitcnt_vscnt null, 0x0
	s_barrier
	buffer_gl0_inv
	s_clause 0x23
	buffer_load_dword v83, off, s[0:3], 0 offset:52
	buffer_load_dword v84, off, s[0:3], 0 offset:60
	;; [unrolled: 1-line block ×36, first 2 shown]
	v_mov_b32_e32 v48, 0
	ds_read_b128 v[49:52], v48 offset:240
	ds_read_b128 v[53:56], v48 offset:256
	ds_read_b128 v[57:60], v48 offset:272
	ds_read_b128 v[61:64], v48 offset:288
	ds_read_b128 v[65:68], v48 offset:304
	ds_read_b128 v[69:72], v48 offset:320
	ds_read_b128 v[73:76], v48 offset:336
	ds_read_b128 v[77:80], v48 offset:352
	ds_read_b64 v[81:82], v48 offset:368
	s_mov_b32 s4, exec_lo
	s_waitcnt vmcnt(35) lgkmcnt(8)
	v_mul_f32_e32 v119, v49, v83
	v_mul_f32_e32 v83, v50, v83
	s_waitcnt vmcnt(34)
	v_mul_f32_e32 v120, v51, v84
	v_mul_f32_e32 v84, v52, v84
	s_waitcnt vmcnt(33) lgkmcnt(7)
	v_mul_f32_e32 v121, v53, v85
	s_waitcnt vmcnt(32)
	v_mul_f32_e32 v122, v55, v86
	s_waitcnt vmcnt(31) lgkmcnt(6)
	v_mul_f32_e32 v123, v57, v87
	s_waitcnt vmcnt(30)
	v_mul_f32_e32 v124, v59, v88
	s_waitcnt vmcnt(29) lgkmcnt(5)
	v_mul_f32_e32 v125, v61, v89
	s_waitcnt vmcnt(28)
	v_mul_f32_e32 v126, v63, v90
	s_waitcnt vmcnt(27) lgkmcnt(4)
	v_mul_f32_e32 v127, v65, v91
	s_waitcnt vmcnt(26)
	v_mul_f32_e32 v128, v67, v92
	s_waitcnt vmcnt(25) lgkmcnt(3)
	v_mul_f32_e32 v129, v69, v93
	s_waitcnt vmcnt(24)
	v_mul_f32_e32 v130, v71, v94
	s_waitcnt vmcnt(23) lgkmcnt(2)
	v_mul_f32_e32 v131, v73, v95
	s_waitcnt vmcnt(22)
	v_mul_f32_e32 v132, v75, v96
	s_waitcnt vmcnt(21) lgkmcnt(1)
	v_mul_f32_e32 v133, v77, v97
	s_waitcnt vmcnt(18)
	v_fma_f32 v49, v49, v100, -v83
	v_fmac_f32_e32 v119, v50, v100
	v_mul_f32_e32 v50, v54, v85
	s_waitcnt vmcnt(17)
	v_fma_f32 v51, v51, v101, -v84
	v_fmac_f32_e32 v120, v52, v101
	v_add_f32_e32 v49, 0, v49
	v_add_f32_e32 v52, 0, v119
	v_mul_f32_e32 v83, v56, v86
	s_waitcnt vmcnt(16)
	v_fma_f32 v50, v53, v102, -v50
	v_fmac_f32_e32 v121, v54, v102
	v_add_f32_e32 v49, v49, v51
	v_add_f32_e32 v51, v52, v120
	;; [unrolled: 6-line block ×13, first 2 shown]
	v_mul_f32_e32 v53, v80, v98
	s_waitcnt vmcnt(4)
	v_fma_f32 v51, v77, v114, -v51
	v_mul_f32_e32 v134, v79, v98
	v_add_f32_e32 v49, v49, v52
	v_fmac_f32_e32 v133, v78, v114
	v_add_f32_e32 v50, v50, v132
	s_waitcnt lgkmcnt(0)
	v_mul_f32_e32 v52, v82, v99
	s_waitcnt vmcnt(3)
	v_fma_f32 v53, v79, v115, -v53
	v_add_f32_e32 v49, v49, v51
	v_mul_f32_e32 v135, v81, v99
	v_fmac_f32_e32 v134, v80, v115
	v_add_f32_e32 v50, v50, v133
	s_waitcnt vmcnt(2)
	v_fma_f32 v51, v81, v116, -v52
	v_add_f32_e32 v49, v49, v53
	v_fmac_f32_e32 v135, v82, v116
	v_add_f32_e32 v50, v50, v134
	v_add_f32_e32 v49, v49, v51
	;; [unrolled: 1-line block ×3, first 2 shown]
	s_waitcnt vmcnt(1)
	v_sub_f32_e32 v49, v117, v49
	s_waitcnt vmcnt(0)
	v_sub_f32_e32 v50, v118, v50
	buffer_store_dword v49, off, s[0:3], 0 offset:40
	buffer_store_dword v50, off, s[0:3], 0 offset:44
	v_cmpx_lt_u32_e32 4, v0
	s_cbranch_execz .LBB86_143
; %bb.142:
	s_clause 0x1
	buffer_load_dword v49, off, s[0:3], 0 offset:32
	buffer_load_dword v50, off, s[0:3], 0 offset:36
	buffer_store_dword v48, off, s[0:3], 0 offset:32
	buffer_store_dword v48, off, s[0:3], 0 offset:36
	s_waitcnt vmcnt(0)
	ds_write_b64 v47, v[49:50]
.LBB86_143:
	s_or_b32 exec_lo, exec_lo, s4
	s_waitcnt lgkmcnt(0)
	s_waitcnt_vscnt null, 0x0
	s_barrier
	buffer_gl0_inv
	s_clause 0x25
	buffer_load_dword v85, off, s[0:3], 0 offset:44
	buffer_load_dword v86, off, s[0:3], 0 offset:52
	;; [unrolled: 1-line block ×38, first 2 shown]
	ds_read2_b64 v[49:52], v48 offset0:29 offset1:30
	ds_read2_b64 v[53:56], v48 offset0:31 offset1:32
	;; [unrolled: 1-line block ×9, first 2 shown]
	s_mov_b32 s4, exec_lo
	s_waitcnt vmcnt(37) lgkmcnt(8)
	v_mul_f32_e32 v48, v49, v85
	v_mul_f32_e32 v85, v50, v85
	s_waitcnt vmcnt(36)
	v_mul_f32_e32 v123, v51, v86
	v_mul_f32_e32 v86, v52, v86
	s_waitcnt vmcnt(35) lgkmcnt(7)
	v_mul_f32_e32 v124, v53, v87
	s_waitcnt vmcnt(34)
	v_mul_f32_e32 v125, v55, v88
	s_waitcnt vmcnt(33) lgkmcnt(6)
	v_mul_f32_e32 v126, v57, v89
	s_waitcnt vmcnt(32)
	;; [unrolled: 4-line block ×7, first 2 shown]
	v_mul_f32_e32 v137, v79, v100
	s_waitcnt vmcnt(19)
	v_fma_f32 v49, v49, v103, -v85
	v_fmac_f32_e32 v48, v50, v103
	v_mul_f32_e32 v50, v54, v87
	s_waitcnt vmcnt(18)
	v_fma_f32 v51, v51, v104, -v86
	v_fmac_f32_e32 v123, v52, v104
	v_add_f32_e32 v49, 0, v49
	v_add_f32_e32 v48, 0, v48
	v_mul_f32_e32 v52, v56, v88
	s_waitcnt vmcnt(17)
	v_fma_f32 v50, v53, v105, -v50
	v_fmac_f32_e32 v124, v54, v105
	v_add_f32_e32 v49, v49, v51
	v_add_f32_e32 v48, v48, v123
	;; [unrolled: 6-line block ×14, first 2 shown]
	s_waitcnt lgkmcnt(0)
	v_mul_f32_e32 v51, v82, v101
	s_waitcnt vmcnt(4)
	v_fma_f32 v52, v79, v118, -v52
	v_mul_f32_e32 v138, v81, v101
	v_add_f32_e32 v49, v49, v50
	v_fmac_f32_e32 v137, v80, v118
	v_add_f32_e32 v48, v48, v136
	v_mul_f32_e32 v50, v84, v102
	s_waitcnt vmcnt(3)
	v_fma_f32 v51, v81, v119, -v51
	v_add_f32_e32 v49, v49, v52
	v_mul_f32_e32 v139, v83, v102
	v_fmac_f32_e32 v138, v82, v119
	v_add_f32_e32 v48, v48, v137
	s_waitcnt vmcnt(2)
	v_fma_f32 v50, v83, v120, -v50
	v_add_f32_e32 v49, v49, v51
	v_fmac_f32_e32 v139, v84, v120
	v_add_f32_e32 v48, v48, v138
	v_add_f32_e32 v49, v49, v50
	;; [unrolled: 1-line block ×3, first 2 shown]
	s_waitcnt vmcnt(1)
	v_sub_f32_e32 v49, v121, v49
	s_waitcnt vmcnt(0)
	v_sub_f32_e32 v48, v122, v48
	buffer_store_dword v49, off, s[0:3], 0 offset:32
	buffer_store_dword v48, off, s[0:3], 0 offset:36
	v_cmpx_lt_u32_e32 3, v0
	s_cbranch_execz .LBB86_145
; %bb.144:
	s_clause 0x1
	buffer_load_dword v48, off, s[0:3], 0 offset:24
	buffer_load_dword v49, off, s[0:3], 0 offset:28
	v_mov_b32_e32 v50, 0
	buffer_store_dword v50, off, s[0:3], 0 offset:24
	buffer_store_dword v50, off, s[0:3], 0 offset:28
	s_waitcnt vmcnt(0)
	ds_write_b64 v47, v[48:49]
.LBB86_145:
	s_or_b32 exec_lo, exec_lo, s4
	s_waitcnt lgkmcnt(0)
	s_waitcnt_vscnt null, 0x0
	s_barrier
	buffer_gl0_inv
	s_clause 0x27
	buffer_load_dword v87, off, s[0:3], 0 offset:36
	buffer_load_dword v88, off, s[0:3], 0 offset:44
	;; [unrolled: 1-line block ×40, first 2 shown]
	v_mov_b32_e32 v48, 0
	ds_read_b128 v[49:52], v48 offset:224
	ds_read_b128 v[53:56], v48 offset:240
	;; [unrolled: 1-line block ×9, first 2 shown]
	ds_read_b64 v[85:86], v48 offset:368
	s_mov_b32 s4, exec_lo
	s_waitcnt vmcnt(39) lgkmcnt(9)
	v_mul_f32_e32 v127, v49, v87
	v_mul_f32_e32 v87, v50, v87
	s_waitcnt vmcnt(38)
	v_mul_f32_e32 v128, v51, v88
	v_mul_f32_e32 v88, v52, v88
	s_waitcnt vmcnt(37) lgkmcnt(8)
	v_mul_f32_e32 v129, v53, v89
	s_waitcnt vmcnt(36)
	v_mul_f32_e32 v130, v55, v90
	s_waitcnt vmcnt(35) lgkmcnt(7)
	v_mul_f32_e32 v131, v57, v91
	s_waitcnt vmcnt(34)
	;; [unrolled: 4-line block ×8, first 2 shown]
	v_fma_f32 v49, v49, v106, -v87
	v_fmac_f32_e32 v127, v50, v106
	v_mul_f32_e32 v50, v54, v89
	s_waitcnt vmcnt(19)
	v_fma_f32 v51, v51, v107, -v88
	v_fmac_f32_e32 v128, v52, v107
	v_add_f32_e32 v49, 0, v49
	v_add_f32_e32 v52, 0, v127
	v_mul_f32_e32 v87, v56, v90
	s_waitcnt vmcnt(18)
	v_fma_f32 v50, v53, v108, -v50
	v_fmac_f32_e32 v129, v54, v108
	v_add_f32_e32 v49, v49, v51
	v_add_f32_e32 v51, v52, v128
	;; [unrolled: 6-line block ×15, first 2 shown]
	v_mul_f32_e32 v51, v84, v104
	s_waitcnt vmcnt(4)
	v_fma_f32 v52, v81, v122, -v52
	v_mul_f32_e32 v144, v83, v104
	v_add_f32_e32 v49, v49, v53
	v_fmac_f32_e32 v143, v82, v122
	v_add_f32_e32 v50, v50, v142
	s_waitcnt lgkmcnt(0)
	v_mul_f32_e32 v53, v86, v105
	s_waitcnt vmcnt(3)
	v_fma_f32 v51, v83, v123, -v51
	v_add_f32_e32 v49, v49, v52
	v_mul_f32_e32 v145, v85, v105
	v_fmac_f32_e32 v144, v84, v123
	v_add_f32_e32 v50, v50, v143
	s_waitcnt vmcnt(2)
	v_fma_f32 v52, v85, v124, -v53
	v_add_f32_e32 v49, v49, v51
	v_fmac_f32_e32 v145, v86, v124
	v_add_f32_e32 v50, v50, v144
	v_add_f32_e32 v49, v49, v52
	;; [unrolled: 1-line block ×3, first 2 shown]
	s_waitcnt vmcnt(1)
	v_sub_f32_e32 v49, v125, v49
	s_waitcnt vmcnt(0)
	v_sub_f32_e32 v50, v126, v50
	buffer_store_dword v49, off, s[0:3], 0 offset:24
	buffer_store_dword v50, off, s[0:3], 0 offset:28
	v_cmpx_lt_u32_e32 2, v0
	s_cbranch_execz .LBB86_147
; %bb.146:
	s_clause 0x1
	buffer_load_dword v49, off, s[0:3], 0 offset:16
	buffer_load_dword v50, off, s[0:3], 0 offset:20
	buffer_store_dword v48, off, s[0:3], 0 offset:16
	buffer_store_dword v48, off, s[0:3], 0 offset:20
	s_waitcnt vmcnt(0)
	ds_write_b64 v47, v[49:50]
.LBB86_147:
	s_or_b32 exec_lo, exec_lo, s4
	s_waitcnt lgkmcnt(0)
	s_waitcnt_vscnt null, 0x0
	s_barrier
	buffer_gl0_inv
	s_clause 0x29
	buffer_load_dword v89, off, s[0:3], 0 offset:28
	buffer_load_dword v90, off, s[0:3], 0 offset:36
	;; [unrolled: 1-line block ×42, first 2 shown]
	ds_read2_b64 v[49:52], v48 offset0:27 offset1:28
	ds_read2_b64 v[53:56], v48 offset0:29 offset1:30
	ds_read2_b64 v[57:60], v48 offset0:31 offset1:32
	ds_read2_b64 v[61:64], v48 offset0:33 offset1:34
	ds_read2_b64 v[65:68], v48 offset0:35 offset1:36
	ds_read2_b64 v[69:72], v48 offset0:37 offset1:38
	ds_read2_b64 v[73:76], v48 offset0:39 offset1:40
	ds_read2_b64 v[77:80], v48 offset0:41 offset1:42
	ds_read2_b64 v[81:84], v48 offset0:43 offset1:44
	ds_read2_b64 v[85:88], v48 offset0:45 offset1:46
	s_mov_b32 s4, exec_lo
	s_waitcnt vmcnt(41) lgkmcnt(9)
	v_mul_f32_e32 v48, v49, v89
	v_mul_f32_e32 v89, v50, v89
	s_waitcnt vmcnt(40)
	v_mul_f32_e32 v131, v51, v90
	v_mul_f32_e32 v90, v52, v90
	s_waitcnt vmcnt(39) lgkmcnt(8)
	v_mul_f32_e32 v132, v53, v91
	s_waitcnt vmcnt(38)
	v_mul_f32_e32 v133, v55, v92
	s_waitcnt vmcnt(37) lgkmcnt(7)
	v_mul_f32_e32 v134, v57, v93
	s_waitcnt vmcnt(36)
	;; [unrolled: 4-line block ×8, first 2 shown]
	v_mul_f32_e32 v147, v83, v106
	s_waitcnt vmcnt(21)
	v_fma_f32 v49, v49, v109, -v89
	v_fmac_f32_e32 v48, v50, v109
	v_mul_f32_e32 v50, v54, v91
	s_waitcnt vmcnt(20)
	v_fma_f32 v51, v51, v110, -v90
	v_fmac_f32_e32 v131, v52, v110
	v_add_f32_e32 v49, 0, v49
	v_add_f32_e32 v48, 0, v48
	v_mul_f32_e32 v52, v56, v92
	s_waitcnt vmcnt(19)
	v_fma_f32 v50, v53, v111, -v50
	v_fmac_f32_e32 v132, v54, v111
	v_add_f32_e32 v49, v49, v51
	v_add_f32_e32 v48, v48, v131
	;; [unrolled: 6-line block ×16, first 2 shown]
	s_waitcnt lgkmcnt(0)
	v_mul_f32_e32 v52, v86, v107
	s_waitcnt vmcnt(4)
	v_fma_f32 v50, v83, v126, -v50
	v_mul_f32_e32 v148, v85, v107
	v_add_f32_e32 v49, v49, v51
	v_fmac_f32_e32 v147, v84, v126
	v_add_f32_e32 v48, v48, v146
	v_mul_f32_e32 v51, v88, v108
	s_waitcnt vmcnt(3)
	v_fma_f32 v52, v85, v127, -v52
	v_add_f32_e32 v49, v49, v50
	v_mul_f32_e32 v149, v87, v108
	v_fmac_f32_e32 v148, v86, v127
	v_add_f32_e32 v48, v48, v147
	s_waitcnt vmcnt(2)
	v_fma_f32 v50, v87, v128, -v51
	v_add_f32_e32 v49, v49, v52
	v_fmac_f32_e32 v149, v88, v128
	v_add_f32_e32 v48, v48, v148
	v_add_f32_e32 v49, v49, v50
	;; [unrolled: 1-line block ×3, first 2 shown]
	s_waitcnt vmcnt(1)
	v_sub_f32_e32 v49, v129, v49
	s_waitcnt vmcnt(0)
	v_sub_f32_e32 v48, v130, v48
	buffer_store_dword v49, off, s[0:3], 0 offset:16
	buffer_store_dword v48, off, s[0:3], 0 offset:20
	v_cmpx_lt_u32_e32 1, v0
	s_cbranch_execz .LBB86_149
; %bb.148:
	s_clause 0x1
	buffer_load_dword v48, off, s[0:3], 0 offset:8
	buffer_load_dword v49, off, s[0:3], 0 offset:12
	v_mov_b32_e32 v50, 0
	buffer_store_dword v50, off, s[0:3], 0 offset:8
	buffer_store_dword v50, off, s[0:3], 0 offset:12
	s_waitcnt vmcnt(0)
	ds_write_b64 v47, v[48:49]
.LBB86_149:
	s_or_b32 exec_lo, exec_lo, s4
	s_waitcnt lgkmcnt(0)
	s_waitcnt_vscnt null, 0x0
	s_barrier
	buffer_gl0_inv
	s_clause 0x2b
	buffer_load_dword v91, off, s[0:3], 0 offset:20
	buffer_load_dword v92, off, s[0:3], 0 offset:28
	buffer_load_dword v93, off, s[0:3], 0 offset:36
	buffer_load_dword v94, off, s[0:3], 0 offset:44
	buffer_load_dword v95, off, s[0:3], 0 offset:52
	buffer_load_dword v96, off, s[0:3], 0 offset:60
	buffer_load_dword v97, off, s[0:3], 0 offset:68
	buffer_load_dword v98, off, s[0:3], 0 offset:76
	buffer_load_dword v99, off, s[0:3], 0 offset:84
	buffer_load_dword v100, off, s[0:3], 0 offset:92
	buffer_load_dword v101, off, s[0:3], 0 offset:100
	buffer_load_dword v102, off, s[0:3], 0 offset:108
	buffer_load_dword v103, off, s[0:3], 0 offset:116
	buffer_load_dword v104, off, s[0:3], 0 offset:124
	buffer_load_dword v105, off, s[0:3], 0 offset:132
	buffer_load_dword v106, off, s[0:3], 0 offset:140
	buffer_load_dword v107, off, s[0:3], 0 offset:148
	buffer_load_dword v108, off, s[0:3], 0 offset:156
	buffer_load_dword v109, off, s[0:3], 0 offset:164
	buffer_load_dword v110, off, s[0:3], 0 offset:172
	buffer_load_dword v111, off, s[0:3], 0 offset:180
	buffer_load_dword v112, off, s[0:3], 0 offset:16
	buffer_load_dword v113, off, s[0:3], 0 offset:24
	buffer_load_dword v114, off, s[0:3], 0 offset:32
	buffer_load_dword v115, off, s[0:3], 0 offset:40
	buffer_load_dword v116, off, s[0:3], 0 offset:48
	buffer_load_dword v117, off, s[0:3], 0 offset:56
	buffer_load_dword v118, off, s[0:3], 0 offset:64
	buffer_load_dword v119, off, s[0:3], 0 offset:72
	buffer_load_dword v120, off, s[0:3], 0 offset:80
	buffer_load_dword v121, off, s[0:3], 0 offset:88
	buffer_load_dword v122, off, s[0:3], 0 offset:96
	buffer_load_dword v123, off, s[0:3], 0 offset:104
	buffer_load_dword v124, off, s[0:3], 0 offset:112
	buffer_load_dword v125, off, s[0:3], 0 offset:120
	buffer_load_dword v126, off, s[0:3], 0 offset:128
	buffer_load_dword v127, off, s[0:3], 0 offset:136
	buffer_load_dword v128, off, s[0:3], 0 offset:144
	buffer_load_dword v129, off, s[0:3], 0 offset:152
	buffer_load_dword v130, off, s[0:3], 0 offset:160
	buffer_load_dword v131, off, s[0:3], 0 offset:168
	buffer_load_dword v132, off, s[0:3], 0 offset:176
	buffer_load_dword v133, off, s[0:3], 0 offset:8
	buffer_load_dword v134, off, s[0:3], 0 offset:12
	v_mov_b32_e32 v48, 0
	ds_read_b128 v[49:52], v48 offset:208
	ds_read_b128 v[53:56], v48 offset:224
	;; [unrolled: 1-line block ×10, first 2 shown]
	ds_read_b64 v[89:90], v48 offset:368
	s_mov_b32 s4, exec_lo
	s_waitcnt vmcnt(43) lgkmcnt(10)
	v_mul_f32_e32 v135, v49, v91
	v_mul_f32_e32 v91, v50, v91
	s_waitcnt vmcnt(42)
	v_mul_f32_e32 v136, v51, v92
	v_mul_f32_e32 v92, v52, v92
	s_waitcnt vmcnt(41) lgkmcnt(9)
	v_mul_f32_e32 v137, v53, v93
	s_waitcnt vmcnt(40)
	v_mul_f32_e32 v138, v55, v94
	s_waitcnt vmcnt(39) lgkmcnt(8)
	v_mul_f32_e32 v139, v57, v95
	s_waitcnt vmcnt(38)
	;; [unrolled: 4-line block ×9, first 2 shown]
	v_fma_f32 v49, v49, v112, -v91
	v_fmac_f32_e32 v135, v50, v112
	v_mul_f32_e32 v50, v54, v93
	s_waitcnt vmcnt(21)
	v_fma_f32 v51, v51, v113, -v92
	v_fmac_f32_e32 v136, v52, v113
	v_add_f32_e32 v49, 0, v49
	v_add_f32_e32 v52, 0, v135
	v_mul_f32_e32 v91, v56, v94
	s_waitcnt vmcnt(20)
	v_fma_f32 v50, v53, v114, -v50
	v_fmac_f32_e32 v137, v54, v114
	v_add_f32_e32 v49, v49, v51
	v_add_f32_e32 v51, v52, v136
	;; [unrolled: 6-line block ×17, first 2 shown]
	v_mul_f32_e32 v52, v88, v110
	s_waitcnt vmcnt(4)
	v_fma_f32 v53, v85, v130, -v53
	v_mul_f32_e32 v154, v87, v110
	v_add_f32_e32 v49, v49, v51
	v_fmac_f32_e32 v153, v86, v130
	v_add_f32_e32 v50, v50, v152
	s_waitcnt lgkmcnt(0)
	v_mul_f32_e32 v51, v90, v111
	s_waitcnt vmcnt(3)
	v_fma_f32 v52, v87, v131, -v52
	v_add_f32_e32 v49, v49, v53
	v_mul_f32_e32 v155, v89, v111
	v_fmac_f32_e32 v154, v88, v131
	v_add_f32_e32 v50, v50, v153
	s_waitcnt vmcnt(2)
	v_fma_f32 v51, v89, v132, -v51
	v_add_f32_e32 v49, v49, v52
	v_fmac_f32_e32 v155, v90, v132
	v_add_f32_e32 v50, v50, v154
	v_add_f32_e32 v49, v49, v51
	;; [unrolled: 1-line block ×3, first 2 shown]
	s_waitcnt vmcnt(1)
	v_sub_f32_e32 v49, v133, v49
	s_waitcnt vmcnt(0)
	v_sub_f32_e32 v50, v134, v50
	buffer_store_dword v49, off, s[0:3], 0 offset:8
	buffer_store_dword v50, off, s[0:3], 0 offset:12
	v_cmpx_ne_u32_e32 0, v0
	s_cbranch_execz .LBB86_151
; %bb.150:
	s_clause 0x1
	buffer_load_dword v49, off, s[0:3], 0
	buffer_load_dword v50, off, s[0:3], 0 offset:4
	buffer_store_dword v48, off, s[0:3], 0
	buffer_store_dword v48, off, s[0:3], 0 offset:4
	s_waitcnt vmcnt(0)
	ds_write_b64 v47, v[49:50]
.LBB86_151:
	s_or_b32 exec_lo, exec_lo, s4
	s_waitcnt lgkmcnt(0)
	s_waitcnt_vscnt null, 0x0
	s_barrier
	buffer_gl0_inv
	s_clause 0x2d
	buffer_load_dword v0, off, s[0:3], 0 offset:12
	buffer_load_dword v47, off, s[0:3], 0 offset:20
	buffer_load_dword v93, off, s[0:3], 0 offset:28
	buffer_load_dword v94, off, s[0:3], 0 offset:36
	buffer_load_dword v95, off, s[0:3], 0 offset:44
	buffer_load_dword v96, off, s[0:3], 0 offset:52
	buffer_load_dword v97, off, s[0:3], 0 offset:60
	buffer_load_dword v98, off, s[0:3], 0 offset:68
	buffer_load_dword v99, off, s[0:3], 0 offset:76
	buffer_load_dword v100, off, s[0:3], 0 offset:84
	buffer_load_dword v101, off, s[0:3], 0 offset:92
	buffer_load_dword v102, off, s[0:3], 0 offset:100
	buffer_load_dword v103, off, s[0:3], 0 offset:108
	buffer_load_dword v104, off, s[0:3], 0 offset:116
	buffer_load_dword v105, off, s[0:3], 0 offset:124
	buffer_load_dword v106, off, s[0:3], 0 offset:132
	buffer_load_dword v107, off, s[0:3], 0 offset:140
	buffer_load_dword v108, off, s[0:3], 0 offset:148
	buffer_load_dword v109, off, s[0:3], 0 offset:156
	buffer_load_dword v110, off, s[0:3], 0 offset:164
	buffer_load_dword v111, off, s[0:3], 0 offset:172
	buffer_load_dword v112, off, s[0:3], 0 offset:180
	buffer_load_dword v113, off, s[0:3], 0 offset:8
	buffer_load_dword v114, off, s[0:3], 0 offset:16
	buffer_load_dword v115, off, s[0:3], 0 offset:24
	buffer_load_dword v116, off, s[0:3], 0 offset:32
	buffer_load_dword v117, off, s[0:3], 0 offset:40
	buffer_load_dword v118, off, s[0:3], 0 offset:48
	buffer_load_dword v119, off, s[0:3], 0 offset:56
	buffer_load_dword v120, off, s[0:3], 0 offset:64
	buffer_load_dword v121, off, s[0:3], 0 offset:72
	buffer_load_dword v122, off, s[0:3], 0 offset:80
	buffer_load_dword v123, off, s[0:3], 0 offset:88
	buffer_load_dword v124, off, s[0:3], 0 offset:96
	buffer_load_dword v125, off, s[0:3], 0 offset:104
	buffer_load_dword v126, off, s[0:3], 0 offset:112
	buffer_load_dword v127, off, s[0:3], 0 offset:120
	buffer_load_dword v128, off, s[0:3], 0 offset:128
	buffer_load_dword v129, off, s[0:3], 0 offset:136
	buffer_load_dword v130, off, s[0:3], 0 offset:144
	buffer_load_dword v131, off, s[0:3], 0 offset:152
	buffer_load_dword v132, off, s[0:3], 0 offset:160
	buffer_load_dword v133, off, s[0:3], 0 offset:168
	buffer_load_dword v134, off, s[0:3], 0 offset:176
	buffer_load_dword v135, off, s[0:3], 0
	buffer_load_dword v136, off, s[0:3], 0 offset:4
	ds_read2_b64 v[49:52], v48 offset0:25 offset1:26
	ds_read2_b64 v[53:56], v48 offset0:27 offset1:28
	;; [unrolled: 1-line block ×11, first 2 shown]
	s_and_b32 vcc_lo, exec_lo, s16
	s_waitcnt vmcnt(45) lgkmcnt(10)
	v_mul_f32_e32 v48, v49, v0
	v_mul_f32_e32 v0, v50, v0
	s_waitcnt vmcnt(44)
	v_mul_f32_e32 v137, v51, v47
	v_mul_f32_e32 v47, v52, v47
	s_waitcnt vmcnt(43) lgkmcnt(9)
	v_mul_f32_e32 v138, v53, v93
	s_waitcnt vmcnt(42)
	v_mul_f32_e32 v139, v55, v94
	s_waitcnt vmcnt(41) lgkmcnt(8)
	v_mul_f32_e32 v140, v57, v95
	s_waitcnt vmcnt(40)
	;; [unrolled: 4-line block ×9, first 2 shown]
	v_mul_f32_e32 v155, v87, v110
	s_waitcnt vmcnt(23)
	v_fma_f32 v0, v49, v113, -v0
	v_fmac_f32_e32 v48, v50, v113
	v_mul_f32_e32 v49, v54, v93
	s_waitcnt vmcnt(22)
	v_fma_f32 v47, v51, v114, -v47
	v_fmac_f32_e32 v137, v52, v114
	v_add_f32_e32 v0, 0, v0
	v_add_f32_e32 v48, 0, v48
	v_mul_f32_e32 v50, v56, v94
	s_waitcnt vmcnt(21)
	v_fma_f32 v49, v53, v115, -v49
	v_fmac_f32_e32 v138, v54, v115
	v_add_f32_e32 v0, v0, v47
	v_add_f32_e32 v47, v48, v137
	;; [unrolled: 6-line block ×18, first 2 shown]
	s_waitcnt lgkmcnt(0)
	v_mul_f32_e32 v49, v90, v111
	s_waitcnt vmcnt(4)
	v_fma_f32 v48, v87, v132, -v48
	v_mul_f32_e32 v156, v89, v111
	v_add_f32_e32 v0, v0, v50
	v_fmac_f32_e32 v155, v88, v132
	v_add_f32_e32 v47, v47, v154
	v_mul_f32_e32 v50, v92, v112
	s_waitcnt vmcnt(3)
	v_fma_f32 v49, v89, v133, -v49
	v_add_f32_e32 v0, v0, v48
	v_mul_f32_e32 v157, v91, v112
	v_fmac_f32_e32 v156, v90, v133
	v_add_f32_e32 v47, v47, v155
	s_waitcnt vmcnt(2)
	v_fma_f32 v48, v91, v134, -v50
	v_add_f32_e32 v0, v0, v49
	v_fmac_f32_e32 v157, v92, v134
	v_add_f32_e32 v47, v47, v156
	v_add_f32_e32 v0, v0, v48
	;; [unrolled: 1-line block ×3, first 2 shown]
	s_waitcnt vmcnt(1)
	v_sub_f32_e32 v0, v135, v0
	s_waitcnt vmcnt(0)
	v_sub_f32_e32 v47, v136, v47
	buffer_store_dword v0, off, s[0:3], 0
	buffer_store_dword v47, off, s[0:3], 0 offset:4
	s_cbranch_vccz .LBB86_196
; %bb.152:
	v_mov_b32_e32 v0, 0
	global_load_dword v47, v0, s[12:13] offset:84
	s_waitcnt vmcnt(0)
	v_add_nc_u32_e32 v47, -1, v47
	v_cmp_ne_u32_e32 vcc_lo, 21, v47
	s_cbranch_vccz .LBB86_154
; %bb.153:
	v_lshlrev_b32_e32 v47, 3, v47
	s_clause 0x3
	buffer_load_dword v48, v47, s[0:3], 0 offen
	buffer_load_dword v49, v47, s[0:3], 0 offen offset:4
	buffer_load_dword v50, off, s[0:3], 0 offset:168
	buffer_load_dword v51, off, s[0:3], 0 offset:172
	s_waitcnt vmcnt(3)
	buffer_store_dword v48, off, s[0:3], 0 offset:168
	s_waitcnt vmcnt(2)
	buffer_store_dword v49, off, s[0:3], 0 offset:172
	s_waitcnt vmcnt(1)
	buffer_store_dword v50, v47, s[0:3], 0 offen
	s_waitcnt vmcnt(0)
	buffer_store_dword v51, v47, s[0:3], 0 offen offset:4
.LBB86_154:
	global_load_dword v0, v0, s[12:13] offset:80
	s_waitcnt vmcnt(0)
	v_add_nc_u32_e32 v0, -1, v0
	v_cmp_eq_u32_e32 vcc_lo, 20, v0
	s_cbranch_vccnz .LBB86_156
; %bb.155:
	v_lshlrev_b32_e32 v0, 3, v0
	s_clause 0x3
	buffer_load_dword v47, v0, s[0:3], 0 offen
	buffer_load_dword v48, v0, s[0:3], 0 offen offset:4
	buffer_load_dword v49, off, s[0:3], 0 offset:164
	buffer_load_dword v50, off, s[0:3], 0 offset:160
	s_waitcnt vmcnt(3)
	buffer_store_dword v47, off, s[0:3], 0 offset:160
	s_waitcnt vmcnt(2)
	buffer_store_dword v48, off, s[0:3], 0 offset:164
	s_waitcnt vmcnt(1)
	buffer_store_dword v49, v0, s[0:3], 0 offen offset:4
	s_waitcnt vmcnt(0)
	buffer_store_dword v50, v0, s[0:3], 0 offen
.LBB86_156:
	v_mov_b32_e32 v0, 0
	global_load_dword v47, v0, s[12:13] offset:76
	s_waitcnt vmcnt(0)
	v_add_nc_u32_e32 v47, -1, v47
	v_cmp_eq_u32_e32 vcc_lo, 19, v47
	s_cbranch_vccnz .LBB86_158
; %bb.157:
	v_lshlrev_b32_e32 v47, 3, v47
	s_clause 0x3
	buffer_load_dword v48, v47, s[0:3], 0 offen
	buffer_load_dword v49, v47, s[0:3], 0 offen offset:4
	buffer_load_dword v50, off, s[0:3], 0 offset:152
	buffer_load_dword v51, off, s[0:3], 0 offset:156
	s_waitcnt vmcnt(3)
	buffer_store_dword v48, off, s[0:3], 0 offset:152
	s_waitcnt vmcnt(2)
	buffer_store_dword v49, off, s[0:3], 0 offset:156
	s_waitcnt vmcnt(1)
	buffer_store_dword v50, v47, s[0:3], 0 offen
	s_waitcnt vmcnt(0)
	buffer_store_dword v51, v47, s[0:3], 0 offen offset:4
.LBB86_158:
	global_load_dword v0, v0, s[12:13] offset:72
	s_waitcnt vmcnt(0)
	v_add_nc_u32_e32 v0, -1, v0
	v_cmp_eq_u32_e32 vcc_lo, 18, v0
	s_cbranch_vccnz .LBB86_160
; %bb.159:
	v_lshlrev_b32_e32 v0, 3, v0
	s_clause 0x3
	buffer_load_dword v47, v0, s[0:3], 0 offen
	buffer_load_dword v48, v0, s[0:3], 0 offen offset:4
	buffer_load_dword v49, off, s[0:3], 0 offset:148
	buffer_load_dword v50, off, s[0:3], 0 offset:144
	s_waitcnt vmcnt(3)
	buffer_store_dword v47, off, s[0:3], 0 offset:144
	s_waitcnt vmcnt(2)
	buffer_store_dword v48, off, s[0:3], 0 offset:148
	s_waitcnt vmcnt(1)
	buffer_store_dword v49, v0, s[0:3], 0 offen offset:4
	s_waitcnt vmcnt(0)
	buffer_store_dword v50, v0, s[0:3], 0 offen
.LBB86_160:
	v_mov_b32_e32 v0, 0
	global_load_dword v47, v0, s[12:13] offset:68
	s_waitcnt vmcnt(0)
	v_add_nc_u32_e32 v47, -1, v47
	v_cmp_eq_u32_e32 vcc_lo, 17, v47
	s_cbranch_vccnz .LBB86_162
; %bb.161:
	v_lshlrev_b32_e32 v47, 3, v47
	s_clause 0x3
	buffer_load_dword v48, v47, s[0:3], 0 offen
	buffer_load_dword v49, v47, s[0:3], 0 offen offset:4
	buffer_load_dword v50, off, s[0:3], 0 offset:136
	buffer_load_dword v51, off, s[0:3], 0 offset:140
	s_waitcnt vmcnt(3)
	buffer_store_dword v48, off, s[0:3], 0 offset:136
	s_waitcnt vmcnt(2)
	buffer_store_dword v49, off, s[0:3], 0 offset:140
	s_waitcnt vmcnt(1)
	buffer_store_dword v50, v47, s[0:3], 0 offen
	s_waitcnt vmcnt(0)
	buffer_store_dword v51, v47, s[0:3], 0 offen offset:4
.LBB86_162:
	;; [unrolled: 43-line block ×10, first 2 shown]
	global_load_dword v0, v0, s[12:13]
	s_waitcnt vmcnt(0)
	v_add_nc_u32_e32 v0, -1, v0
	v_cmp_eq_u32_e32 vcc_lo, 0, v0
	s_cbranch_vccnz .LBB86_196
; %bb.195:
	v_lshlrev_b32_e32 v0, 3, v0
	s_clause 0x3
	buffer_load_dword v47, v0, s[0:3], 0 offen
	buffer_load_dword v48, v0, s[0:3], 0 offen offset:4
	buffer_load_dword v49, off, s[0:3], 0 offset:4
	buffer_load_dword v50, off, s[0:3], 0
	s_waitcnt vmcnt(3)
	buffer_store_dword v47, off, s[0:3], 0
	s_waitcnt vmcnt(2)
	buffer_store_dword v48, off, s[0:3], 0 offset:4
	s_waitcnt vmcnt(1)
	buffer_store_dword v49, v0, s[0:3], 0 offen offset:4
	s_waitcnt vmcnt(0)
	buffer_store_dword v50, v0, s[0:3], 0 offen
.LBB86_196:
	s_clause 0x1
	buffer_load_dword v47, off, s[0:3], 0
	buffer_load_dword v48, off, s[0:3], 0 offset:4
	s_waitcnt vmcnt(0)
	flat_store_dwordx2 v[1:2], v[47:48]
	s_clause 0x1
	buffer_load_dword v0, off, s[0:3], 0 offset:8
	buffer_load_dword v1, off, s[0:3], 0 offset:12
	s_waitcnt vmcnt(0)
	flat_store_dwordx2 v[3:4], v[0:1]
	s_clause 0x1
	buffer_load_dword v0, off, s[0:3], 0 offset:16
	;; [unrolled: 5-line block ×22, first 2 shown]
	buffer_load_dword v1, off, s[0:3], 0 offset:180
	s_waitcnt vmcnt(0)
	flat_store_dwordx2 v[45:46], v[0:1]
	s_endpgm
	.section	.rodata,"a",@progbits
	.p2align	6, 0x0
	.amdhsa_kernel _ZN9rocsolver6v33100L18getri_kernel_smallILi23E19rocblas_complex_numIfEPKPS3_EEvT1_iilPiilS8_bb
		.amdhsa_group_segment_fixed_size 376
		.amdhsa_private_segment_fixed_size 192
		.amdhsa_kernarg_size 60
		.amdhsa_user_sgpr_count 6
		.amdhsa_user_sgpr_private_segment_buffer 1
		.amdhsa_user_sgpr_dispatch_ptr 0
		.amdhsa_user_sgpr_queue_ptr 0
		.amdhsa_user_sgpr_kernarg_segment_ptr 1
		.amdhsa_user_sgpr_dispatch_id 0
		.amdhsa_user_sgpr_flat_scratch_init 0
		.amdhsa_user_sgpr_private_segment_size 0
		.amdhsa_wavefront_size32 1
		.amdhsa_uses_dynamic_stack 0
		.amdhsa_system_sgpr_private_segment_wavefront_offset 1
		.amdhsa_system_sgpr_workgroup_id_x 1
		.amdhsa_system_sgpr_workgroup_id_y 0
		.amdhsa_system_sgpr_workgroup_id_z 0
		.amdhsa_system_sgpr_workgroup_info 0
		.amdhsa_system_vgpr_workitem_id 0
		.amdhsa_next_free_vgpr 158
		.amdhsa_next_free_sgpr 20
		.amdhsa_reserve_vcc 1
		.amdhsa_reserve_flat_scratch 0
		.amdhsa_float_round_mode_32 0
		.amdhsa_float_round_mode_16_64 0
		.amdhsa_float_denorm_mode_32 3
		.amdhsa_float_denorm_mode_16_64 3
		.amdhsa_dx10_clamp 1
		.amdhsa_ieee_mode 1
		.amdhsa_fp16_overflow 0
		.amdhsa_workgroup_processor_mode 1
		.amdhsa_memory_ordered 1
		.amdhsa_forward_progress 1
		.amdhsa_shared_vgpr_count 0
		.amdhsa_exception_fp_ieee_invalid_op 0
		.amdhsa_exception_fp_denorm_src 0
		.amdhsa_exception_fp_ieee_div_zero 0
		.amdhsa_exception_fp_ieee_overflow 0
		.amdhsa_exception_fp_ieee_underflow 0
		.amdhsa_exception_fp_ieee_inexact 0
		.amdhsa_exception_int_div_zero 0
	.end_amdhsa_kernel
	.section	.text._ZN9rocsolver6v33100L18getri_kernel_smallILi23E19rocblas_complex_numIfEPKPS3_EEvT1_iilPiilS8_bb,"axG",@progbits,_ZN9rocsolver6v33100L18getri_kernel_smallILi23E19rocblas_complex_numIfEPKPS3_EEvT1_iilPiilS8_bb,comdat
.Lfunc_end86:
	.size	_ZN9rocsolver6v33100L18getri_kernel_smallILi23E19rocblas_complex_numIfEPKPS3_EEvT1_iilPiilS8_bb, .Lfunc_end86-_ZN9rocsolver6v33100L18getri_kernel_smallILi23E19rocblas_complex_numIfEPKPS3_EEvT1_iilPiilS8_bb
                                        ; -- End function
	.set _ZN9rocsolver6v33100L18getri_kernel_smallILi23E19rocblas_complex_numIfEPKPS3_EEvT1_iilPiilS8_bb.num_vgpr, 158
	.set _ZN9rocsolver6v33100L18getri_kernel_smallILi23E19rocblas_complex_numIfEPKPS3_EEvT1_iilPiilS8_bb.num_agpr, 0
	.set _ZN9rocsolver6v33100L18getri_kernel_smallILi23E19rocblas_complex_numIfEPKPS3_EEvT1_iilPiilS8_bb.numbered_sgpr, 20
	.set _ZN9rocsolver6v33100L18getri_kernel_smallILi23E19rocblas_complex_numIfEPKPS3_EEvT1_iilPiilS8_bb.num_named_barrier, 0
	.set _ZN9rocsolver6v33100L18getri_kernel_smallILi23E19rocblas_complex_numIfEPKPS3_EEvT1_iilPiilS8_bb.private_seg_size, 192
	.set _ZN9rocsolver6v33100L18getri_kernel_smallILi23E19rocblas_complex_numIfEPKPS3_EEvT1_iilPiilS8_bb.uses_vcc, 1
	.set _ZN9rocsolver6v33100L18getri_kernel_smallILi23E19rocblas_complex_numIfEPKPS3_EEvT1_iilPiilS8_bb.uses_flat_scratch, 0
	.set _ZN9rocsolver6v33100L18getri_kernel_smallILi23E19rocblas_complex_numIfEPKPS3_EEvT1_iilPiilS8_bb.has_dyn_sized_stack, 0
	.set _ZN9rocsolver6v33100L18getri_kernel_smallILi23E19rocblas_complex_numIfEPKPS3_EEvT1_iilPiilS8_bb.has_recursion, 0
	.set _ZN9rocsolver6v33100L18getri_kernel_smallILi23E19rocblas_complex_numIfEPKPS3_EEvT1_iilPiilS8_bb.has_indirect_call, 0
	.section	.AMDGPU.csdata,"",@progbits
; Kernel info:
; codeLenInByte = 28448
; TotalNumSgprs: 22
; NumVgprs: 158
; ScratchSize: 192
; MemoryBound: 0
; FloatMode: 240
; IeeeMode: 1
; LDSByteSize: 376 bytes/workgroup (compile time only)
; SGPRBlocks: 0
; VGPRBlocks: 19
; NumSGPRsForWavesPerEU: 22
; NumVGPRsForWavesPerEU: 158
; Occupancy: 6
; WaveLimiterHint : 1
; COMPUTE_PGM_RSRC2:SCRATCH_EN: 1
; COMPUTE_PGM_RSRC2:USER_SGPR: 6
; COMPUTE_PGM_RSRC2:TRAP_HANDLER: 0
; COMPUTE_PGM_RSRC2:TGID_X_EN: 1
; COMPUTE_PGM_RSRC2:TGID_Y_EN: 0
; COMPUTE_PGM_RSRC2:TGID_Z_EN: 0
; COMPUTE_PGM_RSRC2:TIDIG_COMP_CNT: 0
	.section	.text._ZN9rocsolver6v33100L18getri_kernel_smallILi24E19rocblas_complex_numIfEPKPS3_EEvT1_iilPiilS8_bb,"axG",@progbits,_ZN9rocsolver6v33100L18getri_kernel_smallILi24E19rocblas_complex_numIfEPKPS3_EEvT1_iilPiilS8_bb,comdat
	.globl	_ZN9rocsolver6v33100L18getri_kernel_smallILi24E19rocblas_complex_numIfEPKPS3_EEvT1_iilPiilS8_bb ; -- Begin function _ZN9rocsolver6v33100L18getri_kernel_smallILi24E19rocblas_complex_numIfEPKPS3_EEvT1_iilPiilS8_bb
	.p2align	8
	.type	_ZN9rocsolver6v33100L18getri_kernel_smallILi24E19rocblas_complex_numIfEPKPS3_EEvT1_iilPiilS8_bb,@function
_ZN9rocsolver6v33100L18getri_kernel_smallILi24E19rocblas_complex_numIfEPKPS3_EEvT1_iilPiilS8_bb: ; @_ZN9rocsolver6v33100L18getri_kernel_smallILi24E19rocblas_complex_numIfEPKPS3_EEvT1_iilPiilS8_bb
; %bb.0:
	s_add_u32 s0, s0, s7
	s_addc_u32 s1, s1, 0
	s_mov_b32 s7, exec_lo
	v_cmpx_gt_u32_e32 24, v0
	s_cbranch_execz .LBB87_110
; %bb.1:
	s_clause 0x2
	s_load_dword s17, s[4:5], 0x38
	s_load_dwordx2 s[12:13], s[4:5], 0x0
	s_load_dwordx4 s[8:11], s[4:5], 0x28
	s_waitcnt lgkmcnt(0)
	s_bitcmp1_b32 s17, 8
	s_cselect_b32 s16, -1, 0
	s_ashr_i32 s7, s6, 31
	s_lshl_b64 s[14:15], s[6:7], 3
	s_add_u32 s12, s12, s14
	s_addc_u32 s13, s13, s15
	s_load_dwordx2 s[14:15], s[12:13], 0x0
	s_bfe_u32 s12, s17, 0x10008
	s_cmp_eq_u32 s12, 0
                                        ; implicit-def: $sgpr12_sgpr13
	s_cbranch_scc1 .LBB87_3
; %bb.2:
	s_clause 0x1
	s_load_dword s12, s[4:5], 0x20
	s_load_dwordx2 s[18:19], s[4:5], 0x18
	s_mul_i32 s13, s8, s7
	s_mul_hi_u32 s17, s8, s6
	s_mul_i32 s9, s9, s6
	s_add_i32 s13, s17, s13
	s_mul_i32 s8, s8, s6
	s_add_i32 s9, s13, s9
	s_lshl_b64 s[8:9], s[8:9], 2
	s_waitcnt lgkmcnt(0)
	s_ashr_i32 s13, s12, 31
	s_add_u32 s17, s18, s8
	s_addc_u32 s18, s19, s9
	s_lshl_b64 s[8:9], s[12:13], 2
	s_add_u32 s12, s17, s8
	s_addc_u32 s13, s18, s9
.LBB87_3:
	s_clause 0x1
	s_load_dwordx2 s[8:9], s[4:5], 0x8
	s_load_dword s4, s[4:5], 0x38
	v_lshlrev_b32_e32 v51, 3, v0
	s_waitcnt lgkmcnt(0)
	s_ashr_i32 s19, s8, 31
	s_mov_b32 s18, s8
	v_add3_u32 v9, s9, s9, v0
	s_lshl_b64 s[18:19], s[18:19], 3
	s_add_u32 s5, s14, s18
	s_addc_u32 s8, s15, s19
	v_add_co_u32 v1, s14, s5, v51
	v_add_co_ci_u32_e64 v2, null, s8, 0, s14
	s_mov_b32 s14, s9
	s_ashr_i32 s15, s9, 31
	v_ashrrev_i32_e32 v10, 31, v9
	flat_load_dwordx2 v[5:6], v[1:2]
	s_lshl_b64 s[14:15], s[14:15], 3
	v_add_nc_u32_e32 v12, s9, v9
	v_add_co_u32 v3, vcc_lo, v1, s14
	v_add_co_ci_u32_e64 v4, null, s15, v2, vcc_lo
	v_ashrrev_i32_e32 v13, 31, v12
	s_bitcmp0_b32 s4, 0
	s_waitcnt vmcnt(0) lgkmcnt(0)
	buffer_store_dword v6, off, s[0:3], 0 offset:4
	buffer_store_dword v5, off, s[0:3], 0
	flat_load_dwordx2 v[7:8], v[3:4]
	v_lshlrev_b64 v[5:6], 3, v[9:10]
	s_waitcnt vmcnt(0) lgkmcnt(0)
	buffer_store_dword v8, off, s[0:3], 0 offset:12
	buffer_store_dword v7, off, s[0:3], 0 offset:8
	v_add_co_u32 v5, vcc_lo, s5, v5
	v_add_co_ci_u32_e64 v6, null, s8, v6, vcc_lo
	v_lshlrev_b64 v[7:8], 3, v[12:13]
	flat_load_dwordx2 v[10:11], v[5:6]
	s_waitcnt vmcnt(0) lgkmcnt(0)
	buffer_store_dword v11, off, s[0:3], 0 offset:20
	buffer_store_dword v10, off, s[0:3], 0 offset:16
	v_add_co_u32 v7, vcc_lo, s5, v7
	v_add_co_ci_u32_e64 v8, null, s8, v8, vcc_lo
	v_add_nc_u32_e32 v11, s9, v12
	flat_load_dwordx2 v[13:14], v[7:8]
	s_waitcnt vmcnt(0) lgkmcnt(0)
	buffer_store_dword v14, off, s[0:3], 0 offset:28
	buffer_store_dword v13, off, s[0:3], 0 offset:24
	v_ashrrev_i32_e32 v12, 31, v11
	v_add_nc_u32_e32 v15, s9, v11
	v_lshlrev_b64 v[9:10], 3, v[11:12]
	v_ashrrev_i32_e32 v16, 31, v15
	v_add_nc_u32_e32 v18, s9, v15
	v_add_co_u32 v9, vcc_lo, s5, v9
	v_add_co_ci_u32_e64 v10, null, s8, v10, vcc_lo
	v_lshlrev_b64 v[11:12], 3, v[15:16]
	v_ashrrev_i32_e32 v19, 31, v18
	flat_load_dwordx2 v[13:14], v[9:10]
	s_waitcnt vmcnt(0) lgkmcnt(0)
	buffer_store_dword v14, off, s[0:3], 0 offset:36
	buffer_store_dword v13, off, s[0:3], 0 offset:32
	v_add_co_u32 v11, vcc_lo, s5, v11
	v_add_co_ci_u32_e64 v12, null, s8, v12, vcc_lo
	v_lshlrev_b64 v[13:14], 3, v[18:19]
	flat_load_dwordx2 v[16:17], v[11:12]
	s_waitcnt vmcnt(0) lgkmcnt(0)
	buffer_store_dword v17, off, s[0:3], 0 offset:44
	buffer_store_dword v16, off, s[0:3], 0 offset:40
	v_add_co_u32 v13, vcc_lo, s5, v13
	v_add_co_ci_u32_e64 v14, null, s8, v14, vcc_lo
	v_add_nc_u32_e32 v17, s9, v18
	flat_load_dwordx2 v[19:20], v[13:14]
	s_waitcnt vmcnt(0) lgkmcnt(0)
	buffer_store_dword v20, off, s[0:3], 0 offset:52
	buffer_store_dword v19, off, s[0:3], 0 offset:48
	v_ashrrev_i32_e32 v18, 31, v17
	v_add_nc_u32_e32 v21, s9, v17
	v_lshlrev_b64 v[15:16], 3, v[17:18]
	v_ashrrev_i32_e32 v22, 31, v21
	v_add_nc_u32_e32 v24, s9, v21
	v_add_co_u32 v15, vcc_lo, s5, v15
	v_add_co_ci_u32_e64 v16, null, s8, v16, vcc_lo
	v_lshlrev_b64 v[17:18], 3, v[21:22]
	v_ashrrev_i32_e32 v25, 31, v24
	flat_load_dwordx2 v[19:20], v[15:16]
	s_waitcnt vmcnt(0) lgkmcnt(0)
	buffer_store_dword v20, off, s[0:3], 0 offset:60
	buffer_store_dword v19, off, s[0:3], 0 offset:56
	v_add_co_u32 v17, vcc_lo, s5, v17
	v_add_co_ci_u32_e64 v18, null, s8, v18, vcc_lo
	v_lshlrev_b64 v[19:20], 3, v[24:25]
	flat_load_dwordx2 v[22:23], v[17:18]
	s_waitcnt vmcnt(0) lgkmcnt(0)
	buffer_store_dword v23, off, s[0:3], 0 offset:68
	buffer_store_dword v22, off, s[0:3], 0 offset:64
	v_add_co_u32 v19, vcc_lo, s5, v19
	v_add_co_ci_u32_e64 v20, null, s8, v20, vcc_lo
	v_add_nc_u32_e32 v23, s9, v24
	flat_load_dwordx2 v[25:26], v[19:20]
	s_waitcnt vmcnt(0) lgkmcnt(0)
	buffer_store_dword v26, off, s[0:3], 0 offset:76
	buffer_store_dword v25, off, s[0:3], 0 offset:72
	v_ashrrev_i32_e32 v24, 31, v23
	v_add_nc_u32_e32 v27, s9, v23
	v_lshlrev_b64 v[21:22], 3, v[23:24]
	v_ashrrev_i32_e32 v28, 31, v27
	v_add_nc_u32_e32 v30, s9, v27
	v_add_co_u32 v21, vcc_lo, s5, v21
	v_add_co_ci_u32_e64 v22, null, s8, v22, vcc_lo
	v_lshlrev_b64 v[23:24], 3, v[27:28]
	v_ashrrev_i32_e32 v31, 31, v30
	flat_load_dwordx2 v[25:26], v[21:22]
	s_waitcnt vmcnt(0) lgkmcnt(0)
	buffer_store_dword v26, off, s[0:3], 0 offset:84
	buffer_store_dword v25, off, s[0:3], 0 offset:80
	v_add_co_u32 v23, vcc_lo, s5, v23
	v_add_co_ci_u32_e64 v24, null, s8, v24, vcc_lo
	v_lshlrev_b64 v[25:26], 3, v[30:31]
	flat_load_dwordx2 v[28:29], v[23:24]
	s_waitcnt vmcnt(0) lgkmcnt(0)
	buffer_store_dword v29, off, s[0:3], 0 offset:92
	buffer_store_dword v28, off, s[0:3], 0 offset:88
	v_add_co_u32 v25, vcc_lo, s5, v25
	v_add_co_ci_u32_e64 v26, null, s8, v26, vcc_lo
	v_add_nc_u32_e32 v29, s9, v30
	flat_load_dwordx2 v[31:32], v[25:26]
	s_waitcnt vmcnt(0) lgkmcnt(0)
	buffer_store_dword v32, off, s[0:3], 0 offset:100
	buffer_store_dword v31, off, s[0:3], 0 offset:96
	v_ashrrev_i32_e32 v30, 31, v29
	v_add_nc_u32_e32 v33, s9, v29
	v_lshlrev_b64 v[27:28], 3, v[29:30]
	v_ashrrev_i32_e32 v34, 31, v33
	v_add_nc_u32_e32 v36, s9, v33
	v_add_co_u32 v27, vcc_lo, s5, v27
	v_add_co_ci_u32_e64 v28, null, s8, v28, vcc_lo
	v_lshlrev_b64 v[29:30], 3, v[33:34]
	v_ashrrev_i32_e32 v37, 31, v36
	flat_load_dwordx2 v[31:32], v[27:28]
	s_waitcnt vmcnt(0) lgkmcnt(0)
	buffer_store_dword v32, off, s[0:3], 0 offset:108
	buffer_store_dword v31, off, s[0:3], 0 offset:104
	v_add_co_u32 v29, vcc_lo, s5, v29
	v_add_co_ci_u32_e64 v30, null, s8, v30, vcc_lo
	v_lshlrev_b64 v[31:32], 3, v[36:37]
	flat_load_dwordx2 v[34:35], v[29:30]
	s_waitcnt vmcnt(0) lgkmcnt(0)
	buffer_store_dword v35, off, s[0:3], 0 offset:116
	buffer_store_dword v34, off, s[0:3], 0 offset:112
	v_add_co_u32 v31, vcc_lo, s5, v31
	v_add_co_ci_u32_e64 v32, null, s8, v32, vcc_lo
	v_add_nc_u32_e32 v35, s9, v36
	flat_load_dwordx2 v[37:38], v[31:32]
	s_waitcnt vmcnt(0) lgkmcnt(0)
	buffer_store_dword v38, off, s[0:3], 0 offset:124
	buffer_store_dword v37, off, s[0:3], 0 offset:120
	v_ashrrev_i32_e32 v36, 31, v35
	v_add_nc_u32_e32 v39, s9, v35
	v_lshlrev_b64 v[33:34], 3, v[35:36]
	v_ashrrev_i32_e32 v40, 31, v39
	v_add_nc_u32_e32 v42, s9, v39
	v_add_co_u32 v33, vcc_lo, s5, v33
	v_add_co_ci_u32_e64 v34, null, s8, v34, vcc_lo
	v_lshlrev_b64 v[35:36], 3, v[39:40]
	v_ashrrev_i32_e32 v43, 31, v42
	flat_load_dwordx2 v[37:38], v[33:34]
	s_waitcnt vmcnt(0) lgkmcnt(0)
	buffer_store_dword v38, off, s[0:3], 0 offset:132
	buffer_store_dword v37, off, s[0:3], 0 offset:128
	v_add_co_u32 v35, vcc_lo, s5, v35
	v_add_co_ci_u32_e64 v36, null, s8, v36, vcc_lo
	v_lshlrev_b64 v[37:38], 3, v[42:43]
	flat_load_dwordx2 v[40:41], v[35:36]
	s_waitcnt vmcnt(0) lgkmcnt(0)
	buffer_store_dword v41, off, s[0:3], 0 offset:140
	buffer_store_dword v40, off, s[0:3], 0 offset:136
	v_add_co_u32 v37, vcc_lo, s5, v37
	v_add_co_ci_u32_e64 v38, null, s8, v38, vcc_lo
	v_add_nc_u32_e32 v41, s9, v42
	flat_load_dwordx2 v[43:44], v[37:38]
	s_waitcnt vmcnt(0) lgkmcnt(0)
	buffer_store_dword v44, off, s[0:3], 0 offset:148
	buffer_store_dword v43, off, s[0:3], 0 offset:144
	v_ashrrev_i32_e32 v42, 31, v41
	v_add_nc_u32_e32 v45, s9, v41
	v_lshlrev_b64 v[39:40], 3, v[41:42]
	v_ashrrev_i32_e32 v46, 31, v45
	v_add_nc_u32_e32 v48, s9, v45
	v_add_co_u32 v39, vcc_lo, s5, v39
	v_add_co_ci_u32_e64 v40, null, s8, v40, vcc_lo
	v_lshlrev_b64 v[41:42], 3, v[45:46]
	v_ashrrev_i32_e32 v49, 31, v48
	flat_load_dwordx2 v[43:44], v[39:40]
	s_waitcnt vmcnt(0) lgkmcnt(0)
	buffer_store_dword v44, off, s[0:3], 0 offset:156
	buffer_store_dword v43, off, s[0:3], 0 offset:152
	v_add_co_u32 v41, vcc_lo, s5, v41
	v_add_co_ci_u32_e64 v42, null, s8, v42, vcc_lo
	v_lshlrev_b64 v[43:44], 3, v[48:49]
	flat_load_dwordx2 v[46:47], v[41:42]
	s_waitcnt vmcnt(0) lgkmcnt(0)
	buffer_store_dword v47, off, s[0:3], 0 offset:164
	buffer_store_dword v46, off, s[0:3], 0 offset:160
	v_add_co_u32 v43, vcc_lo, s5, v43
	v_add_co_ci_u32_e64 v44, null, s8, v44, vcc_lo
	v_add_nc_u32_e32 v47, s9, v48
	flat_load_dwordx2 v[49:50], v[43:44]
	s_waitcnt vmcnt(0) lgkmcnt(0)
	buffer_store_dword v50, off, s[0:3], 0 offset:172
	buffer_store_dword v49, off, s[0:3], 0 offset:168
	v_ashrrev_i32_e32 v48, 31, v47
	v_lshlrev_b64 v[45:46], 3, v[47:48]
	v_add_nc_u32_e32 v47, s9, v47
	v_add_co_u32 v45, vcc_lo, s5, v45
	v_add_co_ci_u32_e64 v46, null, s8, v46, vcc_lo
	v_ashrrev_i32_e32 v48, 31, v47
	flat_load_dwordx2 v[49:50], v[45:46]
	s_waitcnt vmcnt(0) lgkmcnt(0)
	buffer_store_dword v50, off, s[0:3], 0 offset:180
	buffer_store_dword v49, off, s[0:3], 0 offset:176
	v_lshlrev_b64 v[47:48], 3, v[47:48]
	v_add_co_u32 v47, vcc_lo, s5, v47
	v_add_co_ci_u32_e64 v48, null, s8, v48, vcc_lo
	s_mov_b32 s5, -1
	flat_load_dwordx2 v[49:50], v[47:48]
	s_waitcnt vmcnt(0) lgkmcnt(0)
	buffer_store_dword v50, off, s[0:3], 0 offset:188
	buffer_store_dword v49, off, s[0:3], 0 offset:184
	s_cbranch_scc1 .LBB87_108
; %bb.4:
	v_cmp_eq_u32_e64 s4, 0, v0
	s_and_saveexec_b32 s5, s4
; %bb.5:
	v_mov_b32_e32 v49, 0
	ds_write_b32 v49, v49 offset:384
; %bb.6:
	s_or_b32 exec_lo, exec_lo, s5
	v_lshl_add_u32 v53, v0, 3, 0
	s_waitcnt lgkmcnt(0)
	s_waitcnt_vscnt null, 0x0
	s_barrier
	buffer_gl0_inv
	s_clause 0x1
	buffer_load_dword v49, v53, s[0:3], 0 offen
	buffer_load_dword v50, v53, s[0:3], 0 offen offset:4
	s_waitcnt vmcnt(1)
	v_cmp_eq_f32_e32 vcc_lo, 0, v49
	s_waitcnt vmcnt(0)
	v_cmp_eq_f32_e64 s5, 0, v50
	s_and_b32 s5, vcc_lo, s5
	s_and_saveexec_b32 s8, s5
	s_cbranch_execz .LBB87_10
; %bb.7:
	v_mov_b32_e32 v49, 0
	s_mov_b32 s9, 0
	ds_read_b32 v50, v49 offset:384
	s_waitcnt lgkmcnt(0)
	v_readfirstlane_b32 s5, v50
	v_add_nc_u32_e32 v50, 1, v0
	s_cmp_eq_u32 s5, 0
	v_cmp_gt_i32_e32 vcc_lo, s5, v50
	s_cselect_b32 s14, -1, 0
	s_or_b32 s14, s14, vcc_lo
	s_and_b32 exec_lo, exec_lo, s14
	s_cbranch_execz .LBB87_10
; %bb.8:
	v_mov_b32_e32 v52, s5
.LBB87_9:                               ; =>This Inner Loop Header: Depth=1
	ds_cmpst_rtn_b32 v52, v49, v52, v50 offset:384
	s_waitcnt lgkmcnt(0)
	v_cmp_ne_u32_e32 vcc_lo, 0, v52
	v_cmp_le_i32_e64 s5, v52, v50
	s_and_b32 s5, vcc_lo, s5
	s_and_b32 s5, exec_lo, s5
	s_or_b32 s9, s5, s9
	s_andn2_b32 exec_lo, exec_lo, s9
	s_cbranch_execnz .LBB87_9
.LBB87_10:
	s_or_b32 exec_lo, exec_lo, s8
	v_mov_b32_e32 v49, 0
	s_barrier
	buffer_gl0_inv
	ds_read_b32 v50, v49 offset:384
	s_and_saveexec_b32 s5, s4
	s_cbranch_execz .LBB87_12
; %bb.11:
	s_lshl_b64 s[8:9], s[6:7], 2
	s_add_u32 s8, s10, s8
	s_addc_u32 s9, s11, s9
	s_waitcnt lgkmcnt(0)
	global_store_dword v49, v50, s[8:9]
.LBB87_12:
	s_or_b32 exec_lo, exec_lo, s5
	s_waitcnt lgkmcnt(0)
	v_cmp_ne_u32_e32 vcc_lo, 0, v50
	s_mov_b32 s5, 0
	s_cbranch_vccnz .LBB87_108
; %bb.13:
	s_clause 0x1
	buffer_load_dword v50, v53, s[0:3], 0 offen
	buffer_load_dword v52, v53, s[0:3], 0 offen offset:4
                                        ; implicit-def: $vgpr55
                                        ; implicit-def: $vgpr54
                                        ; implicit-def: $vgpr49
	s_waitcnt vmcnt(0)
	v_cmp_ngt_f32_e64 s5, |v50|, |v52|
	s_and_saveexec_b32 s8, s5
	s_xor_b32 s5, exec_lo, s8
	s_cbranch_execz .LBB87_15
; %bb.14:
	v_div_scale_f32 v49, null, v52, v52, v50
	v_div_scale_f32 v56, vcc_lo, v50, v52, v50
	v_rcp_f32_e32 v54, v49
	v_fma_f32 v55, -v49, v54, 1.0
	v_fmac_f32_e32 v54, v55, v54
	v_mul_f32_e32 v55, v56, v54
	v_fma_f32 v57, -v49, v55, v56
	v_fmac_f32_e32 v55, v57, v54
	v_fma_f32 v49, -v49, v55, v56
	v_div_fmas_f32 v49, v49, v54, v55
	v_div_fixup_f32 v49, v49, v52, v50
	v_fmac_f32_e32 v52, v50, v49
	v_div_scale_f32 v50, null, v52, v52, 1.0
	v_rcp_f32_e32 v54, v50
	v_fma_f32 v55, -v50, v54, 1.0
	v_fmac_f32_e32 v54, v55, v54
	v_div_scale_f32 v55, vcc_lo, 1.0, v52, 1.0
	v_mul_f32_e32 v56, v55, v54
	v_fma_f32 v57, -v50, v56, v55
	v_fmac_f32_e32 v56, v57, v54
	v_fma_f32 v50, -v50, v56, v55
	v_div_fmas_f32 v50, v50, v54, v56
	v_div_fixup_f32 v50, v50, v52, 1.0
                                        ; implicit-def: $vgpr52
	v_mul_f32_e32 v55, v49, v50
	v_xor_b32_e32 v54, 0x80000000, v50
                                        ; implicit-def: $vgpr50
	v_xor_b32_e32 v49, 0x80000000, v55
.LBB87_15:
	s_andn2_saveexec_b32 s5, s5
	s_cbranch_execz .LBB87_17
; %bb.16:
	v_div_scale_f32 v49, null, v50, v50, v52
	v_div_scale_f32 v56, vcc_lo, v52, v50, v52
	v_rcp_f32_e32 v54, v49
	v_fma_f32 v55, -v49, v54, 1.0
	v_fmac_f32_e32 v54, v55, v54
	v_mul_f32_e32 v55, v56, v54
	v_fma_f32 v57, -v49, v55, v56
	v_fmac_f32_e32 v55, v57, v54
	v_fma_f32 v49, -v49, v55, v56
	v_div_fmas_f32 v49, v49, v54, v55
	v_div_fixup_f32 v54, v49, v50, v52
	v_fmac_f32_e32 v50, v52, v54
	v_div_scale_f32 v49, null, v50, v50, 1.0
	v_div_scale_f32 v56, vcc_lo, 1.0, v50, 1.0
	v_rcp_f32_e32 v52, v49
	v_fma_f32 v55, -v49, v52, 1.0
	v_fmac_f32_e32 v52, v55, v52
	v_mul_f32_e32 v55, v56, v52
	v_fma_f32 v57, -v49, v55, v56
	v_fmac_f32_e32 v55, v57, v52
	v_fma_f32 v49, -v49, v55, v56
	v_div_fmas_f32 v49, v49, v52, v55
	v_div_fixup_f32 v55, v49, v50, 1.0
	v_xor_b32_e32 v49, 0x80000000, v55
	v_mul_f32_e64 v54, v54, -v55
.LBB87_17:
	s_or_b32 exec_lo, exec_lo, s5
	buffer_store_dword v55, v53, s[0:3], 0 offen
	buffer_store_dword v54, v53, s[0:3], 0 offen offset:4
	s_clause 0x1
	buffer_load_dword v56, off, s[0:3], 0 offset:12
	buffer_load_dword v55, off, s[0:3], 0 offset:8
	v_xor_b32_e32 v50, 0x80000000, v54
	v_add_nc_u32_e32 v52, 0xc0, v51
	s_waitcnt vmcnt(0)
	ds_write2_b64 v51, v[49:50], v[55:56] offset1:24
	s_waitcnt lgkmcnt(0)
	s_waitcnt_vscnt null, 0x0
	s_barrier
	buffer_gl0_inv
	s_and_saveexec_b32 s5, s4
	s_cbranch_execz .LBB87_19
; %bb.18:
	s_clause 0x1
	buffer_load_dword v56, v53, s[0:3], 0 offen offset:4
	buffer_load_dword v57, v53, s[0:3], 0 offen
	ds_read_b64 v[49:50], v52
	v_mov_b32_e32 v54, 0
	ds_read_b64 v[54:55], v54 offset:8
	s_waitcnt vmcnt(1) lgkmcnt(1)
	v_mul_f32_e32 v58, v49, v56
	v_mul_f32_e32 v56, v50, v56
	s_waitcnt vmcnt(0)
	v_fmac_f32_e32 v58, v50, v57
	v_fma_f32 v49, v49, v57, -v56
	v_add_f32_e32 v50, 0, v58
	v_add_f32_e32 v49, 0, v49
	s_waitcnt lgkmcnt(0)
	v_mul_f32_e32 v56, v50, v55
	v_mul_f32_e32 v55, v49, v55
	v_fma_f32 v49, v49, v54, -v56
	v_fmac_f32_e32 v55, v50, v54
	buffer_store_dword v49, off, s[0:3], 0 offset:8
	buffer_store_dword v55, off, s[0:3], 0 offset:12
.LBB87_19:
	s_or_b32 exec_lo, exec_lo, s5
	s_waitcnt_vscnt null, 0x0
	s_barrier
	buffer_gl0_inv
	s_clause 0x1
	buffer_load_dword v49, off, s[0:3], 0 offset:16
	buffer_load_dword v50, off, s[0:3], 0 offset:20
	s_mov_b32 s5, exec_lo
	s_waitcnt vmcnt(0)
	ds_write_b64 v52, v[49:50]
	s_waitcnt lgkmcnt(0)
	s_barrier
	buffer_gl0_inv
	v_cmpx_gt_u32_e32 2, v0
	s_cbranch_execz .LBB87_23
; %bb.20:
	s_clause 0x1
	buffer_load_dword v54, v53, s[0:3], 0 offen offset:4
	buffer_load_dword v53, v53, s[0:3], 0 offen
	ds_read_b64 v[49:50], v52
	s_waitcnt vmcnt(1) lgkmcnt(0)
	v_mul_f32_e32 v55, v50, v54
	v_mul_f32_e32 v54, v49, v54
	s_waitcnt vmcnt(0)
	v_fma_f32 v49, v49, v53, -v55
	v_fmac_f32_e32 v54, v50, v53
	v_add_f32_e32 v50, 0, v49
	v_add_f32_e32 v49, 0, v54
	s_and_saveexec_b32 s8, s4
	s_cbranch_execz .LBB87_22
; %bb.21:
	s_clause 0x1
	buffer_load_dword v55, off, s[0:3], 0 offset:12
	buffer_load_dword v56, off, s[0:3], 0 offset:8
	v_mov_b32_e32 v53, 0
	ds_read_b64 v[53:54], v53 offset:200
	s_waitcnt vmcnt(1) lgkmcnt(0)
	v_mul_f32_e32 v57, v53, v55
	v_mul_f32_e32 v55, v54, v55
	s_waitcnt vmcnt(0)
	v_fmac_f32_e32 v57, v54, v56
	v_fma_f32 v53, v53, v56, -v55
	v_add_f32_e32 v49, v49, v57
	v_add_f32_e32 v50, v50, v53
.LBB87_22:
	s_or_b32 exec_lo, exec_lo, s8
	v_mov_b32_e32 v53, 0
	ds_read_b64 v[53:54], v53 offset:16
	s_waitcnt lgkmcnt(0)
	v_mul_f32_e32 v55, v49, v54
	v_mul_f32_e32 v54, v50, v54
	v_fma_f32 v50, v50, v53, -v55
	v_fmac_f32_e32 v54, v49, v53
	buffer_store_dword v50, off, s[0:3], 0 offset:16
	buffer_store_dword v54, off, s[0:3], 0 offset:20
.LBB87_23:
	s_or_b32 exec_lo, exec_lo, s5
	s_waitcnt_vscnt null, 0x0
	s_barrier
	buffer_gl0_inv
	s_clause 0x1
	buffer_load_dword v53, off, s[0:3], 0 offset:24
	buffer_load_dword v54, off, s[0:3], 0 offset:28
	v_add_nc_u32_e32 v49, -1, v0
	s_mov_b32 s4, exec_lo
	s_waitcnt vmcnt(0)
	ds_write_b64 v52, v[53:54]
	s_waitcnt lgkmcnt(0)
	s_barrier
	buffer_gl0_inv
	v_cmpx_gt_u32_e32 3, v0
	s_cbranch_execz .LBB87_27
; %bb.24:
	v_add_nc_u32_e32 v53, -1, v0
	v_add_nc_u32_e32 v54, 0xc0, v51
	v_mov_b32_e32 v55, v51
	v_mov_b32_e32 v50, 0
	;; [unrolled: 1-line block ×3, first 2 shown]
	s_mov_b32 s5, 0
	.p2align	6
.LBB87_25:                              ; =>This Inner Loop Header: Depth=1
	s_clause 0x1
	buffer_load_dword v59, v55, s[0:3], 0 offen offset:4
	buffer_load_dword v60, v55, s[0:3], 0 offen
	ds_read_b64 v[57:58], v54
	v_add_nc_u32_e32 v53, 1, v53
	v_add_nc_u32_e32 v54, 8, v54
	;; [unrolled: 1-line block ×3, first 2 shown]
	v_cmp_lt_u32_e32 vcc_lo, 1, v53
	s_or_b32 s5, vcc_lo, s5
	s_waitcnt vmcnt(1) lgkmcnt(0)
	v_mul_f32_e32 v61, v58, v59
	v_mul_f32_e32 v59, v57, v59
	s_waitcnt vmcnt(0)
	v_fma_f32 v57, v57, v60, -v61
	v_fmac_f32_e32 v59, v58, v60
	v_add_f32_e32 v56, v56, v57
	v_add_f32_e32 v50, v50, v59
	s_andn2_b32 exec_lo, exec_lo, s5
	s_cbranch_execnz .LBB87_25
; %bb.26:
	s_or_b32 exec_lo, exec_lo, s5
	v_mov_b32_e32 v53, 0
	ds_read_b64 v[53:54], v53 offset:24
	s_waitcnt lgkmcnt(0)
	v_mul_f32_e32 v55, v50, v54
	v_mul_f32_e32 v54, v56, v54
	v_fma_f32 v55, v56, v53, -v55
	v_fmac_f32_e32 v54, v50, v53
	buffer_store_dword v55, off, s[0:3], 0 offset:24
	buffer_store_dword v54, off, s[0:3], 0 offset:28
.LBB87_27:
	s_or_b32 exec_lo, exec_lo, s4
	s_waitcnt_vscnt null, 0x0
	s_barrier
	buffer_gl0_inv
	s_clause 0x1
	buffer_load_dword v53, off, s[0:3], 0 offset:32
	buffer_load_dword v54, off, s[0:3], 0 offset:36
	s_mov_b32 s4, exec_lo
	s_waitcnt vmcnt(0)
	ds_write_b64 v52, v[53:54]
	s_waitcnt lgkmcnt(0)
	s_barrier
	buffer_gl0_inv
	v_cmpx_gt_u32_e32 4, v0
	s_cbranch_execz .LBB87_31
; %bb.28:
	v_add_nc_u32_e32 v53, -1, v0
	v_add_nc_u32_e32 v54, 0xc0, v51
	v_mov_b32_e32 v55, v51
	v_mov_b32_e32 v50, 0
	;; [unrolled: 1-line block ×3, first 2 shown]
	s_mov_b32 s5, 0
	.p2align	6
.LBB87_29:                              ; =>This Inner Loop Header: Depth=1
	s_clause 0x1
	buffer_load_dword v59, v55, s[0:3], 0 offen offset:4
	buffer_load_dword v60, v55, s[0:3], 0 offen
	ds_read_b64 v[57:58], v54
	v_add_nc_u32_e32 v53, 1, v53
	v_add_nc_u32_e32 v54, 8, v54
	;; [unrolled: 1-line block ×3, first 2 shown]
	v_cmp_lt_u32_e32 vcc_lo, 2, v53
	s_or_b32 s5, vcc_lo, s5
	s_waitcnt vmcnt(1) lgkmcnt(0)
	v_mul_f32_e32 v61, v58, v59
	v_mul_f32_e32 v59, v57, v59
	s_waitcnt vmcnt(0)
	v_fma_f32 v57, v57, v60, -v61
	v_fmac_f32_e32 v59, v58, v60
	v_add_f32_e32 v56, v56, v57
	v_add_f32_e32 v50, v50, v59
	s_andn2_b32 exec_lo, exec_lo, s5
	s_cbranch_execnz .LBB87_29
; %bb.30:
	s_or_b32 exec_lo, exec_lo, s5
	v_mov_b32_e32 v53, 0
	ds_read_b64 v[53:54], v53 offset:32
	s_waitcnt lgkmcnt(0)
	v_mul_f32_e32 v55, v50, v54
	v_mul_f32_e32 v54, v56, v54
	v_fma_f32 v55, v56, v53, -v55
	v_fmac_f32_e32 v54, v50, v53
	buffer_store_dword v55, off, s[0:3], 0 offset:32
	buffer_store_dword v54, off, s[0:3], 0 offset:36
.LBB87_31:
	s_or_b32 exec_lo, exec_lo, s4
	s_waitcnt_vscnt null, 0x0
	s_barrier
	buffer_gl0_inv
	s_clause 0x1
	buffer_load_dword v53, off, s[0:3], 0 offset:40
	buffer_load_dword v54, off, s[0:3], 0 offset:44
	s_mov_b32 s4, exec_lo
	s_waitcnt vmcnt(0)
	ds_write_b64 v52, v[53:54]
	s_waitcnt lgkmcnt(0)
	s_barrier
	buffer_gl0_inv
	v_cmpx_gt_u32_e32 5, v0
	s_cbranch_execz .LBB87_35
; %bb.32:
	v_add_nc_u32_e32 v53, -1, v0
	v_add_nc_u32_e32 v54, 0xc0, v51
	v_mov_b32_e32 v55, v51
	v_mov_b32_e32 v50, 0
	;; [unrolled: 1-line block ×3, first 2 shown]
	s_mov_b32 s5, 0
	.p2align	6
.LBB87_33:                              ; =>This Inner Loop Header: Depth=1
	s_clause 0x1
	buffer_load_dword v59, v55, s[0:3], 0 offen offset:4
	buffer_load_dword v60, v55, s[0:3], 0 offen
	ds_read_b64 v[57:58], v54
	v_add_nc_u32_e32 v53, 1, v53
	v_add_nc_u32_e32 v54, 8, v54
	;; [unrolled: 1-line block ×3, first 2 shown]
	v_cmp_lt_u32_e32 vcc_lo, 3, v53
	s_or_b32 s5, vcc_lo, s5
	s_waitcnt vmcnt(1) lgkmcnt(0)
	v_mul_f32_e32 v61, v58, v59
	v_mul_f32_e32 v59, v57, v59
	s_waitcnt vmcnt(0)
	v_fma_f32 v57, v57, v60, -v61
	v_fmac_f32_e32 v59, v58, v60
	v_add_f32_e32 v56, v56, v57
	v_add_f32_e32 v50, v50, v59
	s_andn2_b32 exec_lo, exec_lo, s5
	s_cbranch_execnz .LBB87_33
; %bb.34:
	s_or_b32 exec_lo, exec_lo, s5
	v_mov_b32_e32 v53, 0
	ds_read_b64 v[53:54], v53 offset:40
	s_waitcnt lgkmcnt(0)
	v_mul_f32_e32 v55, v50, v54
	v_mul_f32_e32 v54, v56, v54
	v_fma_f32 v55, v56, v53, -v55
	v_fmac_f32_e32 v54, v50, v53
	buffer_store_dword v55, off, s[0:3], 0 offset:40
	buffer_store_dword v54, off, s[0:3], 0 offset:44
.LBB87_35:
	s_or_b32 exec_lo, exec_lo, s4
	s_waitcnt_vscnt null, 0x0
	s_barrier
	buffer_gl0_inv
	s_clause 0x1
	buffer_load_dword v53, off, s[0:3], 0 offset:48
	buffer_load_dword v54, off, s[0:3], 0 offset:52
	s_mov_b32 s4, exec_lo
	s_waitcnt vmcnt(0)
	ds_write_b64 v52, v[53:54]
	s_waitcnt lgkmcnt(0)
	s_barrier
	buffer_gl0_inv
	v_cmpx_gt_u32_e32 6, v0
	s_cbranch_execz .LBB87_39
; %bb.36:
	v_add_nc_u32_e32 v53, -1, v0
	v_add_nc_u32_e32 v54, 0xc0, v51
	v_mov_b32_e32 v55, v51
	v_mov_b32_e32 v50, 0
	;; [unrolled: 1-line block ×3, first 2 shown]
	s_mov_b32 s5, 0
	.p2align	6
.LBB87_37:                              ; =>This Inner Loop Header: Depth=1
	s_clause 0x1
	buffer_load_dword v59, v55, s[0:3], 0 offen offset:4
	buffer_load_dword v60, v55, s[0:3], 0 offen
	ds_read_b64 v[57:58], v54
	v_add_nc_u32_e32 v53, 1, v53
	v_add_nc_u32_e32 v54, 8, v54
	v_add_nc_u32_e32 v55, 8, v55
	v_cmp_lt_u32_e32 vcc_lo, 4, v53
	s_or_b32 s5, vcc_lo, s5
	s_waitcnt vmcnt(1) lgkmcnt(0)
	v_mul_f32_e32 v61, v58, v59
	v_mul_f32_e32 v59, v57, v59
	s_waitcnt vmcnt(0)
	v_fma_f32 v57, v57, v60, -v61
	v_fmac_f32_e32 v59, v58, v60
	v_add_f32_e32 v56, v56, v57
	v_add_f32_e32 v50, v50, v59
	s_andn2_b32 exec_lo, exec_lo, s5
	s_cbranch_execnz .LBB87_37
; %bb.38:
	s_or_b32 exec_lo, exec_lo, s5
	v_mov_b32_e32 v53, 0
	ds_read_b64 v[53:54], v53 offset:48
	s_waitcnt lgkmcnt(0)
	v_mul_f32_e32 v55, v50, v54
	v_mul_f32_e32 v54, v56, v54
	v_fma_f32 v55, v56, v53, -v55
	v_fmac_f32_e32 v54, v50, v53
	buffer_store_dword v55, off, s[0:3], 0 offset:48
	buffer_store_dword v54, off, s[0:3], 0 offset:52
.LBB87_39:
	s_or_b32 exec_lo, exec_lo, s4
	s_waitcnt_vscnt null, 0x0
	s_barrier
	buffer_gl0_inv
	s_clause 0x1
	buffer_load_dword v53, off, s[0:3], 0 offset:56
	buffer_load_dword v54, off, s[0:3], 0 offset:60
	s_mov_b32 s4, exec_lo
	s_waitcnt vmcnt(0)
	ds_write_b64 v52, v[53:54]
	s_waitcnt lgkmcnt(0)
	s_barrier
	buffer_gl0_inv
	v_cmpx_gt_u32_e32 7, v0
	s_cbranch_execz .LBB87_43
; %bb.40:
	v_add_nc_u32_e32 v53, -1, v0
	v_add_nc_u32_e32 v54, 0xc0, v51
	v_mov_b32_e32 v55, v51
	v_mov_b32_e32 v50, 0
	v_mov_b32_e32 v56, 0
	s_mov_b32 s5, 0
	.p2align	6
.LBB87_41:                              ; =>This Inner Loop Header: Depth=1
	s_clause 0x1
	buffer_load_dword v59, v55, s[0:3], 0 offen offset:4
	buffer_load_dword v60, v55, s[0:3], 0 offen
	ds_read_b64 v[57:58], v54
	v_add_nc_u32_e32 v53, 1, v53
	v_add_nc_u32_e32 v54, 8, v54
	;; [unrolled: 1-line block ×3, first 2 shown]
	v_cmp_lt_u32_e32 vcc_lo, 5, v53
	s_or_b32 s5, vcc_lo, s5
	s_waitcnt vmcnt(1) lgkmcnt(0)
	v_mul_f32_e32 v61, v58, v59
	v_mul_f32_e32 v59, v57, v59
	s_waitcnt vmcnt(0)
	v_fma_f32 v57, v57, v60, -v61
	v_fmac_f32_e32 v59, v58, v60
	v_add_f32_e32 v56, v56, v57
	v_add_f32_e32 v50, v50, v59
	s_andn2_b32 exec_lo, exec_lo, s5
	s_cbranch_execnz .LBB87_41
; %bb.42:
	s_or_b32 exec_lo, exec_lo, s5
	v_mov_b32_e32 v53, 0
	ds_read_b64 v[53:54], v53 offset:56
	s_waitcnt lgkmcnt(0)
	v_mul_f32_e32 v55, v50, v54
	v_mul_f32_e32 v54, v56, v54
	v_fma_f32 v55, v56, v53, -v55
	v_fmac_f32_e32 v54, v50, v53
	buffer_store_dword v55, off, s[0:3], 0 offset:56
	buffer_store_dword v54, off, s[0:3], 0 offset:60
.LBB87_43:
	s_or_b32 exec_lo, exec_lo, s4
	s_waitcnt_vscnt null, 0x0
	s_barrier
	buffer_gl0_inv
	s_clause 0x1
	buffer_load_dword v53, off, s[0:3], 0 offset:64
	buffer_load_dword v54, off, s[0:3], 0 offset:68
	s_mov_b32 s4, exec_lo
	s_waitcnt vmcnt(0)
	ds_write_b64 v52, v[53:54]
	s_waitcnt lgkmcnt(0)
	s_barrier
	buffer_gl0_inv
	v_cmpx_gt_u32_e32 8, v0
	s_cbranch_execz .LBB87_47
; %bb.44:
	v_add_nc_u32_e32 v53, -1, v0
	v_add_nc_u32_e32 v54, 0xc0, v51
	v_mov_b32_e32 v55, v51
	v_mov_b32_e32 v50, 0
	;; [unrolled: 1-line block ×3, first 2 shown]
	s_mov_b32 s5, 0
	.p2align	6
.LBB87_45:                              ; =>This Inner Loop Header: Depth=1
	s_clause 0x1
	buffer_load_dword v59, v55, s[0:3], 0 offen offset:4
	buffer_load_dword v60, v55, s[0:3], 0 offen
	ds_read_b64 v[57:58], v54
	v_add_nc_u32_e32 v53, 1, v53
	v_add_nc_u32_e32 v54, 8, v54
	;; [unrolled: 1-line block ×3, first 2 shown]
	v_cmp_lt_u32_e32 vcc_lo, 6, v53
	s_or_b32 s5, vcc_lo, s5
	s_waitcnt vmcnt(1) lgkmcnt(0)
	v_mul_f32_e32 v61, v58, v59
	v_mul_f32_e32 v59, v57, v59
	s_waitcnt vmcnt(0)
	v_fma_f32 v57, v57, v60, -v61
	v_fmac_f32_e32 v59, v58, v60
	v_add_f32_e32 v56, v56, v57
	v_add_f32_e32 v50, v50, v59
	s_andn2_b32 exec_lo, exec_lo, s5
	s_cbranch_execnz .LBB87_45
; %bb.46:
	s_or_b32 exec_lo, exec_lo, s5
	v_mov_b32_e32 v53, 0
	ds_read_b64 v[53:54], v53 offset:64
	s_waitcnt lgkmcnt(0)
	v_mul_f32_e32 v55, v50, v54
	v_mul_f32_e32 v54, v56, v54
	v_fma_f32 v55, v56, v53, -v55
	v_fmac_f32_e32 v54, v50, v53
	buffer_store_dword v55, off, s[0:3], 0 offset:64
	buffer_store_dword v54, off, s[0:3], 0 offset:68
.LBB87_47:
	s_or_b32 exec_lo, exec_lo, s4
	s_waitcnt_vscnt null, 0x0
	s_barrier
	buffer_gl0_inv
	s_clause 0x1
	buffer_load_dword v53, off, s[0:3], 0 offset:72
	buffer_load_dword v54, off, s[0:3], 0 offset:76
	s_mov_b32 s4, exec_lo
	s_waitcnt vmcnt(0)
	ds_write_b64 v52, v[53:54]
	s_waitcnt lgkmcnt(0)
	s_barrier
	buffer_gl0_inv
	v_cmpx_gt_u32_e32 9, v0
	s_cbranch_execz .LBB87_51
; %bb.48:
	v_add_nc_u32_e32 v53, -1, v0
	v_add_nc_u32_e32 v54, 0xc0, v51
	v_mov_b32_e32 v55, v51
	v_mov_b32_e32 v50, 0
	;; [unrolled: 1-line block ×3, first 2 shown]
	s_mov_b32 s5, 0
	.p2align	6
.LBB87_49:                              ; =>This Inner Loop Header: Depth=1
	s_clause 0x1
	buffer_load_dword v59, v55, s[0:3], 0 offen offset:4
	buffer_load_dword v60, v55, s[0:3], 0 offen
	ds_read_b64 v[57:58], v54
	v_add_nc_u32_e32 v53, 1, v53
	v_add_nc_u32_e32 v54, 8, v54
	;; [unrolled: 1-line block ×3, first 2 shown]
	v_cmp_lt_u32_e32 vcc_lo, 7, v53
	s_or_b32 s5, vcc_lo, s5
	s_waitcnt vmcnt(1) lgkmcnt(0)
	v_mul_f32_e32 v61, v58, v59
	v_mul_f32_e32 v59, v57, v59
	s_waitcnt vmcnt(0)
	v_fma_f32 v57, v57, v60, -v61
	v_fmac_f32_e32 v59, v58, v60
	v_add_f32_e32 v56, v56, v57
	v_add_f32_e32 v50, v50, v59
	s_andn2_b32 exec_lo, exec_lo, s5
	s_cbranch_execnz .LBB87_49
; %bb.50:
	s_or_b32 exec_lo, exec_lo, s5
	v_mov_b32_e32 v53, 0
	ds_read_b64 v[53:54], v53 offset:72
	s_waitcnt lgkmcnt(0)
	v_mul_f32_e32 v55, v50, v54
	v_mul_f32_e32 v54, v56, v54
	v_fma_f32 v55, v56, v53, -v55
	v_fmac_f32_e32 v54, v50, v53
	buffer_store_dword v55, off, s[0:3], 0 offset:72
	buffer_store_dword v54, off, s[0:3], 0 offset:76
.LBB87_51:
	s_or_b32 exec_lo, exec_lo, s4
	s_waitcnt_vscnt null, 0x0
	s_barrier
	buffer_gl0_inv
	s_clause 0x1
	buffer_load_dword v53, off, s[0:3], 0 offset:80
	buffer_load_dword v54, off, s[0:3], 0 offset:84
	s_mov_b32 s4, exec_lo
	s_waitcnt vmcnt(0)
	ds_write_b64 v52, v[53:54]
	s_waitcnt lgkmcnt(0)
	s_barrier
	buffer_gl0_inv
	v_cmpx_gt_u32_e32 10, v0
	s_cbranch_execz .LBB87_55
; %bb.52:
	v_add_nc_u32_e32 v53, -1, v0
	v_add_nc_u32_e32 v54, 0xc0, v51
	v_mov_b32_e32 v55, v51
	v_mov_b32_e32 v50, 0
	;; [unrolled: 1-line block ×3, first 2 shown]
	s_mov_b32 s5, 0
	.p2align	6
.LBB87_53:                              ; =>This Inner Loop Header: Depth=1
	s_clause 0x1
	buffer_load_dword v59, v55, s[0:3], 0 offen offset:4
	buffer_load_dword v60, v55, s[0:3], 0 offen
	ds_read_b64 v[57:58], v54
	v_add_nc_u32_e32 v53, 1, v53
	v_add_nc_u32_e32 v54, 8, v54
	;; [unrolled: 1-line block ×3, first 2 shown]
	v_cmp_lt_u32_e32 vcc_lo, 8, v53
	s_or_b32 s5, vcc_lo, s5
	s_waitcnt vmcnt(1) lgkmcnt(0)
	v_mul_f32_e32 v61, v58, v59
	v_mul_f32_e32 v59, v57, v59
	s_waitcnt vmcnt(0)
	v_fma_f32 v57, v57, v60, -v61
	v_fmac_f32_e32 v59, v58, v60
	v_add_f32_e32 v56, v56, v57
	v_add_f32_e32 v50, v50, v59
	s_andn2_b32 exec_lo, exec_lo, s5
	s_cbranch_execnz .LBB87_53
; %bb.54:
	s_or_b32 exec_lo, exec_lo, s5
	v_mov_b32_e32 v53, 0
	ds_read_b64 v[53:54], v53 offset:80
	s_waitcnt lgkmcnt(0)
	v_mul_f32_e32 v55, v50, v54
	v_mul_f32_e32 v54, v56, v54
	v_fma_f32 v55, v56, v53, -v55
	v_fmac_f32_e32 v54, v50, v53
	buffer_store_dword v55, off, s[0:3], 0 offset:80
	buffer_store_dword v54, off, s[0:3], 0 offset:84
.LBB87_55:
	s_or_b32 exec_lo, exec_lo, s4
	s_waitcnt_vscnt null, 0x0
	s_barrier
	buffer_gl0_inv
	s_clause 0x1
	buffer_load_dword v53, off, s[0:3], 0 offset:88
	buffer_load_dword v54, off, s[0:3], 0 offset:92
	s_mov_b32 s4, exec_lo
	s_waitcnt vmcnt(0)
	ds_write_b64 v52, v[53:54]
	s_waitcnt lgkmcnt(0)
	s_barrier
	buffer_gl0_inv
	v_cmpx_gt_u32_e32 11, v0
	s_cbranch_execz .LBB87_59
; %bb.56:
	v_add_nc_u32_e32 v53, -1, v0
	v_add_nc_u32_e32 v54, 0xc0, v51
	v_mov_b32_e32 v55, v51
	v_mov_b32_e32 v50, 0
	;; [unrolled: 1-line block ×3, first 2 shown]
	s_mov_b32 s5, 0
	.p2align	6
.LBB87_57:                              ; =>This Inner Loop Header: Depth=1
	s_clause 0x1
	buffer_load_dword v59, v55, s[0:3], 0 offen offset:4
	buffer_load_dword v60, v55, s[0:3], 0 offen
	ds_read_b64 v[57:58], v54
	v_add_nc_u32_e32 v53, 1, v53
	v_add_nc_u32_e32 v54, 8, v54
	;; [unrolled: 1-line block ×3, first 2 shown]
	v_cmp_lt_u32_e32 vcc_lo, 9, v53
	s_or_b32 s5, vcc_lo, s5
	s_waitcnt vmcnt(1) lgkmcnt(0)
	v_mul_f32_e32 v61, v58, v59
	v_mul_f32_e32 v59, v57, v59
	s_waitcnt vmcnt(0)
	v_fma_f32 v57, v57, v60, -v61
	v_fmac_f32_e32 v59, v58, v60
	v_add_f32_e32 v56, v56, v57
	v_add_f32_e32 v50, v50, v59
	s_andn2_b32 exec_lo, exec_lo, s5
	s_cbranch_execnz .LBB87_57
; %bb.58:
	s_or_b32 exec_lo, exec_lo, s5
	v_mov_b32_e32 v53, 0
	ds_read_b64 v[53:54], v53 offset:88
	s_waitcnt lgkmcnt(0)
	v_mul_f32_e32 v55, v50, v54
	v_mul_f32_e32 v54, v56, v54
	v_fma_f32 v55, v56, v53, -v55
	v_fmac_f32_e32 v54, v50, v53
	buffer_store_dword v55, off, s[0:3], 0 offset:88
	buffer_store_dword v54, off, s[0:3], 0 offset:92
.LBB87_59:
	s_or_b32 exec_lo, exec_lo, s4
	s_waitcnt_vscnt null, 0x0
	s_barrier
	buffer_gl0_inv
	s_clause 0x1
	buffer_load_dword v53, off, s[0:3], 0 offset:96
	buffer_load_dword v54, off, s[0:3], 0 offset:100
	s_mov_b32 s4, exec_lo
	s_waitcnt vmcnt(0)
	ds_write_b64 v52, v[53:54]
	s_waitcnt lgkmcnt(0)
	s_barrier
	buffer_gl0_inv
	v_cmpx_gt_u32_e32 12, v0
	s_cbranch_execz .LBB87_63
; %bb.60:
	v_add_nc_u32_e32 v53, -1, v0
	v_add_nc_u32_e32 v54, 0xc0, v51
	v_mov_b32_e32 v55, v51
	v_mov_b32_e32 v50, 0
	;; [unrolled: 1-line block ×3, first 2 shown]
	s_mov_b32 s5, 0
	.p2align	6
.LBB87_61:                              ; =>This Inner Loop Header: Depth=1
	s_clause 0x1
	buffer_load_dword v59, v55, s[0:3], 0 offen offset:4
	buffer_load_dword v60, v55, s[0:3], 0 offen
	ds_read_b64 v[57:58], v54
	v_add_nc_u32_e32 v53, 1, v53
	v_add_nc_u32_e32 v54, 8, v54
	;; [unrolled: 1-line block ×3, first 2 shown]
	v_cmp_lt_u32_e32 vcc_lo, 10, v53
	s_or_b32 s5, vcc_lo, s5
	s_waitcnt vmcnt(1) lgkmcnt(0)
	v_mul_f32_e32 v61, v58, v59
	v_mul_f32_e32 v59, v57, v59
	s_waitcnt vmcnt(0)
	v_fma_f32 v57, v57, v60, -v61
	v_fmac_f32_e32 v59, v58, v60
	v_add_f32_e32 v56, v56, v57
	v_add_f32_e32 v50, v50, v59
	s_andn2_b32 exec_lo, exec_lo, s5
	s_cbranch_execnz .LBB87_61
; %bb.62:
	s_or_b32 exec_lo, exec_lo, s5
	v_mov_b32_e32 v53, 0
	ds_read_b64 v[53:54], v53 offset:96
	s_waitcnt lgkmcnt(0)
	v_mul_f32_e32 v55, v50, v54
	v_mul_f32_e32 v54, v56, v54
	v_fma_f32 v55, v56, v53, -v55
	v_fmac_f32_e32 v54, v50, v53
	buffer_store_dword v55, off, s[0:3], 0 offset:96
	buffer_store_dword v54, off, s[0:3], 0 offset:100
.LBB87_63:
	s_or_b32 exec_lo, exec_lo, s4
	s_waitcnt_vscnt null, 0x0
	s_barrier
	buffer_gl0_inv
	s_clause 0x1
	buffer_load_dword v53, off, s[0:3], 0 offset:104
	buffer_load_dword v54, off, s[0:3], 0 offset:108
	s_mov_b32 s4, exec_lo
	s_waitcnt vmcnt(0)
	ds_write_b64 v52, v[53:54]
	s_waitcnt lgkmcnt(0)
	s_barrier
	buffer_gl0_inv
	v_cmpx_gt_u32_e32 13, v0
	s_cbranch_execz .LBB87_67
; %bb.64:
	v_add_nc_u32_e32 v53, -1, v0
	v_add_nc_u32_e32 v54, 0xc0, v51
	v_mov_b32_e32 v55, v51
	v_mov_b32_e32 v50, 0
	;; [unrolled: 1-line block ×3, first 2 shown]
	s_mov_b32 s5, 0
	.p2align	6
.LBB87_65:                              ; =>This Inner Loop Header: Depth=1
	s_clause 0x1
	buffer_load_dword v59, v55, s[0:3], 0 offen offset:4
	buffer_load_dword v60, v55, s[0:3], 0 offen
	ds_read_b64 v[57:58], v54
	v_add_nc_u32_e32 v53, 1, v53
	v_add_nc_u32_e32 v54, 8, v54
	;; [unrolled: 1-line block ×3, first 2 shown]
	v_cmp_lt_u32_e32 vcc_lo, 11, v53
	s_or_b32 s5, vcc_lo, s5
	s_waitcnt vmcnt(1) lgkmcnt(0)
	v_mul_f32_e32 v61, v58, v59
	v_mul_f32_e32 v59, v57, v59
	s_waitcnt vmcnt(0)
	v_fma_f32 v57, v57, v60, -v61
	v_fmac_f32_e32 v59, v58, v60
	v_add_f32_e32 v56, v56, v57
	v_add_f32_e32 v50, v50, v59
	s_andn2_b32 exec_lo, exec_lo, s5
	s_cbranch_execnz .LBB87_65
; %bb.66:
	s_or_b32 exec_lo, exec_lo, s5
	v_mov_b32_e32 v53, 0
	ds_read_b64 v[53:54], v53 offset:104
	s_waitcnt lgkmcnt(0)
	v_mul_f32_e32 v55, v50, v54
	v_mul_f32_e32 v54, v56, v54
	v_fma_f32 v55, v56, v53, -v55
	v_fmac_f32_e32 v54, v50, v53
	buffer_store_dword v55, off, s[0:3], 0 offset:104
	buffer_store_dword v54, off, s[0:3], 0 offset:108
.LBB87_67:
	s_or_b32 exec_lo, exec_lo, s4
	s_waitcnt_vscnt null, 0x0
	s_barrier
	buffer_gl0_inv
	s_clause 0x1
	buffer_load_dword v53, off, s[0:3], 0 offset:112
	buffer_load_dword v54, off, s[0:3], 0 offset:116
	s_mov_b32 s4, exec_lo
	s_waitcnt vmcnt(0)
	ds_write_b64 v52, v[53:54]
	s_waitcnt lgkmcnt(0)
	s_barrier
	buffer_gl0_inv
	v_cmpx_gt_u32_e32 14, v0
	s_cbranch_execz .LBB87_71
; %bb.68:
	v_add_nc_u32_e32 v53, -1, v0
	v_add_nc_u32_e32 v54, 0xc0, v51
	v_mov_b32_e32 v55, v51
	v_mov_b32_e32 v50, 0
	;; [unrolled: 1-line block ×3, first 2 shown]
	s_mov_b32 s5, 0
	.p2align	6
.LBB87_69:                              ; =>This Inner Loop Header: Depth=1
	s_clause 0x1
	buffer_load_dword v59, v55, s[0:3], 0 offen offset:4
	buffer_load_dword v60, v55, s[0:3], 0 offen
	ds_read_b64 v[57:58], v54
	v_add_nc_u32_e32 v53, 1, v53
	v_add_nc_u32_e32 v54, 8, v54
	;; [unrolled: 1-line block ×3, first 2 shown]
	v_cmp_lt_u32_e32 vcc_lo, 12, v53
	s_or_b32 s5, vcc_lo, s5
	s_waitcnt vmcnt(1) lgkmcnt(0)
	v_mul_f32_e32 v61, v58, v59
	v_mul_f32_e32 v59, v57, v59
	s_waitcnt vmcnt(0)
	v_fma_f32 v57, v57, v60, -v61
	v_fmac_f32_e32 v59, v58, v60
	v_add_f32_e32 v56, v56, v57
	v_add_f32_e32 v50, v50, v59
	s_andn2_b32 exec_lo, exec_lo, s5
	s_cbranch_execnz .LBB87_69
; %bb.70:
	s_or_b32 exec_lo, exec_lo, s5
	v_mov_b32_e32 v53, 0
	ds_read_b64 v[53:54], v53 offset:112
	s_waitcnt lgkmcnt(0)
	v_mul_f32_e32 v55, v50, v54
	v_mul_f32_e32 v54, v56, v54
	v_fma_f32 v55, v56, v53, -v55
	v_fmac_f32_e32 v54, v50, v53
	buffer_store_dword v55, off, s[0:3], 0 offset:112
	buffer_store_dword v54, off, s[0:3], 0 offset:116
.LBB87_71:
	s_or_b32 exec_lo, exec_lo, s4
	s_waitcnt_vscnt null, 0x0
	s_barrier
	buffer_gl0_inv
	s_clause 0x1
	buffer_load_dword v53, off, s[0:3], 0 offset:120
	buffer_load_dword v54, off, s[0:3], 0 offset:124
	s_mov_b32 s4, exec_lo
	s_waitcnt vmcnt(0)
	ds_write_b64 v52, v[53:54]
	s_waitcnt lgkmcnt(0)
	s_barrier
	buffer_gl0_inv
	v_cmpx_gt_u32_e32 15, v0
	s_cbranch_execz .LBB87_75
; %bb.72:
	v_add_nc_u32_e32 v53, -1, v0
	v_add_nc_u32_e32 v54, 0xc0, v51
	v_mov_b32_e32 v55, v51
	v_mov_b32_e32 v50, 0
	;; [unrolled: 1-line block ×3, first 2 shown]
	s_mov_b32 s5, 0
	.p2align	6
.LBB87_73:                              ; =>This Inner Loop Header: Depth=1
	s_clause 0x1
	buffer_load_dword v59, v55, s[0:3], 0 offen offset:4
	buffer_load_dword v60, v55, s[0:3], 0 offen
	ds_read_b64 v[57:58], v54
	v_add_nc_u32_e32 v53, 1, v53
	v_add_nc_u32_e32 v54, 8, v54
	;; [unrolled: 1-line block ×3, first 2 shown]
	v_cmp_lt_u32_e32 vcc_lo, 13, v53
	s_or_b32 s5, vcc_lo, s5
	s_waitcnt vmcnt(1) lgkmcnt(0)
	v_mul_f32_e32 v61, v58, v59
	v_mul_f32_e32 v59, v57, v59
	s_waitcnt vmcnt(0)
	v_fma_f32 v57, v57, v60, -v61
	v_fmac_f32_e32 v59, v58, v60
	v_add_f32_e32 v56, v56, v57
	v_add_f32_e32 v50, v50, v59
	s_andn2_b32 exec_lo, exec_lo, s5
	s_cbranch_execnz .LBB87_73
; %bb.74:
	s_or_b32 exec_lo, exec_lo, s5
	v_mov_b32_e32 v53, 0
	ds_read_b64 v[53:54], v53 offset:120
	s_waitcnt lgkmcnt(0)
	v_mul_f32_e32 v55, v50, v54
	v_mul_f32_e32 v54, v56, v54
	v_fma_f32 v55, v56, v53, -v55
	v_fmac_f32_e32 v54, v50, v53
	buffer_store_dword v55, off, s[0:3], 0 offset:120
	buffer_store_dword v54, off, s[0:3], 0 offset:124
.LBB87_75:
	s_or_b32 exec_lo, exec_lo, s4
	s_waitcnt_vscnt null, 0x0
	s_barrier
	buffer_gl0_inv
	s_clause 0x1
	buffer_load_dword v53, off, s[0:3], 0 offset:128
	buffer_load_dword v54, off, s[0:3], 0 offset:132
	s_mov_b32 s4, exec_lo
	s_waitcnt vmcnt(0)
	ds_write_b64 v52, v[53:54]
	s_waitcnt lgkmcnt(0)
	s_barrier
	buffer_gl0_inv
	v_cmpx_gt_u32_e32 16, v0
	s_cbranch_execz .LBB87_79
; %bb.76:
	v_add_nc_u32_e32 v53, -1, v0
	v_add_nc_u32_e32 v54, 0xc0, v51
	v_mov_b32_e32 v55, v51
	v_mov_b32_e32 v50, 0
	;; [unrolled: 1-line block ×3, first 2 shown]
	s_mov_b32 s5, 0
	.p2align	6
.LBB87_77:                              ; =>This Inner Loop Header: Depth=1
	s_clause 0x1
	buffer_load_dword v59, v55, s[0:3], 0 offen offset:4
	buffer_load_dword v60, v55, s[0:3], 0 offen
	ds_read_b64 v[57:58], v54
	v_add_nc_u32_e32 v53, 1, v53
	v_add_nc_u32_e32 v54, 8, v54
	v_add_nc_u32_e32 v55, 8, v55
	v_cmp_lt_u32_e32 vcc_lo, 14, v53
	s_or_b32 s5, vcc_lo, s5
	s_waitcnt vmcnt(1) lgkmcnt(0)
	v_mul_f32_e32 v61, v58, v59
	v_mul_f32_e32 v59, v57, v59
	s_waitcnt vmcnt(0)
	v_fma_f32 v57, v57, v60, -v61
	v_fmac_f32_e32 v59, v58, v60
	v_add_f32_e32 v56, v56, v57
	v_add_f32_e32 v50, v50, v59
	s_andn2_b32 exec_lo, exec_lo, s5
	s_cbranch_execnz .LBB87_77
; %bb.78:
	s_or_b32 exec_lo, exec_lo, s5
	v_mov_b32_e32 v53, 0
	ds_read_b64 v[53:54], v53 offset:128
	s_waitcnt lgkmcnt(0)
	v_mul_f32_e32 v55, v50, v54
	v_mul_f32_e32 v54, v56, v54
	v_fma_f32 v55, v56, v53, -v55
	v_fmac_f32_e32 v54, v50, v53
	buffer_store_dword v55, off, s[0:3], 0 offset:128
	buffer_store_dword v54, off, s[0:3], 0 offset:132
.LBB87_79:
	s_or_b32 exec_lo, exec_lo, s4
	s_waitcnt_vscnt null, 0x0
	s_barrier
	buffer_gl0_inv
	s_clause 0x1
	buffer_load_dword v53, off, s[0:3], 0 offset:136
	buffer_load_dword v54, off, s[0:3], 0 offset:140
	s_mov_b32 s4, exec_lo
	s_waitcnt vmcnt(0)
	ds_write_b64 v52, v[53:54]
	s_waitcnt lgkmcnt(0)
	s_barrier
	buffer_gl0_inv
	v_cmpx_gt_u32_e32 17, v0
	s_cbranch_execz .LBB87_83
; %bb.80:
	v_add_nc_u32_e32 v53, -1, v0
	v_add_nc_u32_e32 v54, 0xc0, v51
	v_mov_b32_e32 v55, v51
	v_mov_b32_e32 v50, 0
	;; [unrolled: 1-line block ×3, first 2 shown]
	s_mov_b32 s5, 0
	.p2align	6
.LBB87_81:                              ; =>This Inner Loop Header: Depth=1
	s_clause 0x1
	buffer_load_dword v59, v55, s[0:3], 0 offen offset:4
	buffer_load_dword v60, v55, s[0:3], 0 offen
	ds_read_b64 v[57:58], v54
	v_add_nc_u32_e32 v53, 1, v53
	v_add_nc_u32_e32 v54, 8, v54
	;; [unrolled: 1-line block ×3, first 2 shown]
	v_cmp_lt_u32_e32 vcc_lo, 15, v53
	s_or_b32 s5, vcc_lo, s5
	s_waitcnt vmcnt(1) lgkmcnt(0)
	v_mul_f32_e32 v61, v58, v59
	v_mul_f32_e32 v59, v57, v59
	s_waitcnt vmcnt(0)
	v_fma_f32 v57, v57, v60, -v61
	v_fmac_f32_e32 v59, v58, v60
	v_add_f32_e32 v56, v56, v57
	v_add_f32_e32 v50, v50, v59
	s_andn2_b32 exec_lo, exec_lo, s5
	s_cbranch_execnz .LBB87_81
; %bb.82:
	s_or_b32 exec_lo, exec_lo, s5
	v_mov_b32_e32 v53, 0
	ds_read_b64 v[53:54], v53 offset:136
	s_waitcnt lgkmcnt(0)
	v_mul_f32_e32 v55, v50, v54
	v_mul_f32_e32 v54, v56, v54
	v_fma_f32 v55, v56, v53, -v55
	v_fmac_f32_e32 v54, v50, v53
	buffer_store_dword v55, off, s[0:3], 0 offset:136
	buffer_store_dword v54, off, s[0:3], 0 offset:140
.LBB87_83:
	s_or_b32 exec_lo, exec_lo, s4
	s_waitcnt_vscnt null, 0x0
	s_barrier
	buffer_gl0_inv
	s_clause 0x1
	buffer_load_dword v53, off, s[0:3], 0 offset:144
	buffer_load_dword v54, off, s[0:3], 0 offset:148
	s_mov_b32 s4, exec_lo
	s_waitcnt vmcnt(0)
	ds_write_b64 v52, v[53:54]
	s_waitcnt lgkmcnt(0)
	s_barrier
	buffer_gl0_inv
	v_cmpx_gt_u32_e32 18, v0
	s_cbranch_execz .LBB87_87
; %bb.84:
	v_add_nc_u32_e32 v53, -1, v0
	v_add_nc_u32_e32 v54, 0xc0, v51
	v_mov_b32_e32 v55, v51
	v_mov_b32_e32 v50, 0
	;; [unrolled: 1-line block ×3, first 2 shown]
	s_mov_b32 s5, 0
	.p2align	6
.LBB87_85:                              ; =>This Inner Loop Header: Depth=1
	s_clause 0x1
	buffer_load_dword v59, v55, s[0:3], 0 offen offset:4
	buffer_load_dword v60, v55, s[0:3], 0 offen
	ds_read_b64 v[57:58], v54
	v_add_nc_u32_e32 v53, 1, v53
	v_add_nc_u32_e32 v54, 8, v54
	;; [unrolled: 1-line block ×3, first 2 shown]
	v_cmp_lt_u32_e32 vcc_lo, 16, v53
	s_or_b32 s5, vcc_lo, s5
	s_waitcnt vmcnt(1) lgkmcnt(0)
	v_mul_f32_e32 v61, v58, v59
	v_mul_f32_e32 v59, v57, v59
	s_waitcnt vmcnt(0)
	v_fma_f32 v57, v57, v60, -v61
	v_fmac_f32_e32 v59, v58, v60
	v_add_f32_e32 v56, v56, v57
	v_add_f32_e32 v50, v50, v59
	s_andn2_b32 exec_lo, exec_lo, s5
	s_cbranch_execnz .LBB87_85
; %bb.86:
	s_or_b32 exec_lo, exec_lo, s5
	v_mov_b32_e32 v53, 0
	ds_read_b64 v[53:54], v53 offset:144
	s_waitcnt lgkmcnt(0)
	v_mul_f32_e32 v55, v50, v54
	v_mul_f32_e32 v54, v56, v54
	v_fma_f32 v55, v56, v53, -v55
	v_fmac_f32_e32 v54, v50, v53
	buffer_store_dword v55, off, s[0:3], 0 offset:144
	buffer_store_dword v54, off, s[0:3], 0 offset:148
.LBB87_87:
	s_or_b32 exec_lo, exec_lo, s4
	s_waitcnt_vscnt null, 0x0
	s_barrier
	buffer_gl0_inv
	s_clause 0x1
	buffer_load_dword v53, off, s[0:3], 0 offset:152
	buffer_load_dword v54, off, s[0:3], 0 offset:156
	s_mov_b32 s4, exec_lo
	s_waitcnt vmcnt(0)
	ds_write_b64 v52, v[53:54]
	s_waitcnt lgkmcnt(0)
	s_barrier
	buffer_gl0_inv
	v_cmpx_gt_u32_e32 19, v0
	s_cbranch_execz .LBB87_91
; %bb.88:
	v_add_nc_u32_e32 v53, -1, v0
	v_add_nc_u32_e32 v54, 0xc0, v51
	v_mov_b32_e32 v55, v51
	v_mov_b32_e32 v50, 0
	;; [unrolled: 1-line block ×3, first 2 shown]
	s_mov_b32 s5, 0
	.p2align	6
.LBB87_89:                              ; =>This Inner Loop Header: Depth=1
	s_clause 0x1
	buffer_load_dword v59, v55, s[0:3], 0 offen offset:4
	buffer_load_dword v60, v55, s[0:3], 0 offen
	ds_read_b64 v[57:58], v54
	v_add_nc_u32_e32 v53, 1, v53
	v_add_nc_u32_e32 v54, 8, v54
	;; [unrolled: 1-line block ×3, first 2 shown]
	v_cmp_lt_u32_e32 vcc_lo, 17, v53
	s_or_b32 s5, vcc_lo, s5
	s_waitcnt vmcnt(1) lgkmcnt(0)
	v_mul_f32_e32 v61, v58, v59
	v_mul_f32_e32 v59, v57, v59
	s_waitcnt vmcnt(0)
	v_fma_f32 v57, v57, v60, -v61
	v_fmac_f32_e32 v59, v58, v60
	v_add_f32_e32 v56, v56, v57
	v_add_f32_e32 v50, v50, v59
	s_andn2_b32 exec_lo, exec_lo, s5
	s_cbranch_execnz .LBB87_89
; %bb.90:
	s_or_b32 exec_lo, exec_lo, s5
	v_mov_b32_e32 v53, 0
	ds_read_b64 v[53:54], v53 offset:152
	s_waitcnt lgkmcnt(0)
	v_mul_f32_e32 v55, v50, v54
	v_mul_f32_e32 v54, v56, v54
	v_fma_f32 v55, v56, v53, -v55
	v_fmac_f32_e32 v54, v50, v53
	buffer_store_dword v55, off, s[0:3], 0 offset:152
	buffer_store_dword v54, off, s[0:3], 0 offset:156
.LBB87_91:
	s_or_b32 exec_lo, exec_lo, s4
	s_waitcnt_vscnt null, 0x0
	s_barrier
	buffer_gl0_inv
	s_clause 0x1
	buffer_load_dword v53, off, s[0:3], 0 offset:160
	buffer_load_dword v54, off, s[0:3], 0 offset:164
	s_mov_b32 s4, exec_lo
	s_waitcnt vmcnt(0)
	ds_write_b64 v52, v[53:54]
	s_waitcnt lgkmcnt(0)
	s_barrier
	buffer_gl0_inv
	v_cmpx_gt_u32_e32 20, v0
	s_cbranch_execz .LBB87_95
; %bb.92:
	v_add_nc_u32_e32 v53, -1, v0
	v_add_nc_u32_e32 v54, 0xc0, v51
	v_mov_b32_e32 v55, v51
	v_mov_b32_e32 v50, 0
	;; [unrolled: 1-line block ×3, first 2 shown]
	s_mov_b32 s5, 0
	.p2align	6
.LBB87_93:                              ; =>This Inner Loop Header: Depth=1
	s_clause 0x1
	buffer_load_dword v59, v55, s[0:3], 0 offen offset:4
	buffer_load_dword v60, v55, s[0:3], 0 offen
	ds_read_b64 v[57:58], v54
	v_add_nc_u32_e32 v53, 1, v53
	v_add_nc_u32_e32 v54, 8, v54
	;; [unrolled: 1-line block ×3, first 2 shown]
	v_cmp_lt_u32_e32 vcc_lo, 18, v53
	s_or_b32 s5, vcc_lo, s5
	s_waitcnt vmcnt(1) lgkmcnt(0)
	v_mul_f32_e32 v61, v58, v59
	v_mul_f32_e32 v59, v57, v59
	s_waitcnt vmcnt(0)
	v_fma_f32 v57, v57, v60, -v61
	v_fmac_f32_e32 v59, v58, v60
	v_add_f32_e32 v56, v56, v57
	v_add_f32_e32 v50, v50, v59
	s_andn2_b32 exec_lo, exec_lo, s5
	s_cbranch_execnz .LBB87_93
; %bb.94:
	s_or_b32 exec_lo, exec_lo, s5
	v_mov_b32_e32 v53, 0
	ds_read_b64 v[53:54], v53 offset:160
	s_waitcnt lgkmcnt(0)
	v_mul_f32_e32 v55, v50, v54
	v_mul_f32_e32 v54, v56, v54
	v_fma_f32 v55, v56, v53, -v55
	v_fmac_f32_e32 v54, v50, v53
	buffer_store_dword v55, off, s[0:3], 0 offset:160
	buffer_store_dword v54, off, s[0:3], 0 offset:164
.LBB87_95:
	s_or_b32 exec_lo, exec_lo, s4
	s_waitcnt_vscnt null, 0x0
	s_barrier
	buffer_gl0_inv
	s_clause 0x1
	buffer_load_dword v53, off, s[0:3], 0 offset:168
	buffer_load_dword v54, off, s[0:3], 0 offset:172
	s_mov_b32 s4, exec_lo
	s_waitcnt vmcnt(0)
	ds_write_b64 v52, v[53:54]
	s_waitcnt lgkmcnt(0)
	s_barrier
	buffer_gl0_inv
	v_cmpx_gt_u32_e32 21, v0
	s_cbranch_execz .LBB87_99
; %bb.96:
	v_add_nc_u32_e32 v53, -1, v0
	v_add_nc_u32_e32 v54, 0xc0, v51
	v_mov_b32_e32 v55, v51
	v_mov_b32_e32 v50, 0
	;; [unrolled: 1-line block ×3, first 2 shown]
	s_mov_b32 s5, 0
	.p2align	6
.LBB87_97:                              ; =>This Inner Loop Header: Depth=1
	s_clause 0x1
	buffer_load_dword v59, v55, s[0:3], 0 offen offset:4
	buffer_load_dword v60, v55, s[0:3], 0 offen
	ds_read_b64 v[57:58], v54
	v_add_nc_u32_e32 v53, 1, v53
	v_add_nc_u32_e32 v54, 8, v54
	;; [unrolled: 1-line block ×3, first 2 shown]
	v_cmp_lt_u32_e32 vcc_lo, 19, v53
	s_or_b32 s5, vcc_lo, s5
	s_waitcnt vmcnt(1) lgkmcnt(0)
	v_mul_f32_e32 v61, v58, v59
	v_mul_f32_e32 v59, v57, v59
	s_waitcnt vmcnt(0)
	v_fma_f32 v57, v57, v60, -v61
	v_fmac_f32_e32 v59, v58, v60
	v_add_f32_e32 v56, v56, v57
	v_add_f32_e32 v50, v50, v59
	s_andn2_b32 exec_lo, exec_lo, s5
	s_cbranch_execnz .LBB87_97
; %bb.98:
	s_or_b32 exec_lo, exec_lo, s5
	v_mov_b32_e32 v53, 0
	ds_read_b64 v[53:54], v53 offset:168
	s_waitcnt lgkmcnt(0)
	v_mul_f32_e32 v55, v50, v54
	v_mul_f32_e32 v54, v56, v54
	v_fma_f32 v55, v56, v53, -v55
	v_fmac_f32_e32 v54, v50, v53
	buffer_store_dword v55, off, s[0:3], 0 offset:168
	buffer_store_dword v54, off, s[0:3], 0 offset:172
.LBB87_99:
	s_or_b32 exec_lo, exec_lo, s4
	s_waitcnt_vscnt null, 0x0
	s_barrier
	buffer_gl0_inv
	s_clause 0x1
	buffer_load_dword v53, off, s[0:3], 0 offset:176
	buffer_load_dword v54, off, s[0:3], 0 offset:180
	s_mov_b32 s4, exec_lo
	s_waitcnt vmcnt(0)
	ds_write_b64 v52, v[53:54]
	s_waitcnt lgkmcnt(0)
	s_barrier
	buffer_gl0_inv
	v_cmpx_gt_u32_e32 22, v0
	s_cbranch_execz .LBB87_103
; %bb.100:
	v_add_nc_u32_e32 v53, -1, v0
	v_add_nc_u32_e32 v54, 0xc0, v51
	v_mov_b32_e32 v55, v51
	v_mov_b32_e32 v50, 0
	;; [unrolled: 1-line block ×3, first 2 shown]
	s_mov_b32 s5, 0
	.p2align	6
.LBB87_101:                             ; =>This Inner Loop Header: Depth=1
	s_clause 0x1
	buffer_load_dword v59, v55, s[0:3], 0 offen offset:4
	buffer_load_dword v60, v55, s[0:3], 0 offen
	ds_read_b64 v[57:58], v54
	v_add_nc_u32_e32 v53, 1, v53
	v_add_nc_u32_e32 v54, 8, v54
	;; [unrolled: 1-line block ×3, first 2 shown]
	v_cmp_lt_u32_e32 vcc_lo, 20, v53
	s_or_b32 s5, vcc_lo, s5
	s_waitcnt vmcnt(1) lgkmcnt(0)
	v_mul_f32_e32 v61, v58, v59
	v_mul_f32_e32 v59, v57, v59
	s_waitcnt vmcnt(0)
	v_fma_f32 v57, v57, v60, -v61
	v_fmac_f32_e32 v59, v58, v60
	v_add_f32_e32 v56, v56, v57
	v_add_f32_e32 v50, v50, v59
	s_andn2_b32 exec_lo, exec_lo, s5
	s_cbranch_execnz .LBB87_101
; %bb.102:
	s_or_b32 exec_lo, exec_lo, s5
	v_mov_b32_e32 v53, 0
	ds_read_b64 v[53:54], v53 offset:176
	s_waitcnt lgkmcnt(0)
	v_mul_f32_e32 v55, v50, v54
	v_mul_f32_e32 v54, v56, v54
	v_fma_f32 v55, v56, v53, -v55
	v_fmac_f32_e32 v54, v50, v53
	buffer_store_dword v55, off, s[0:3], 0 offset:176
	buffer_store_dword v54, off, s[0:3], 0 offset:180
.LBB87_103:
	s_or_b32 exec_lo, exec_lo, s4
	s_waitcnt_vscnt null, 0x0
	s_barrier
	buffer_gl0_inv
	s_clause 0x1
	buffer_load_dword v53, off, s[0:3], 0 offset:184
	buffer_load_dword v54, off, s[0:3], 0 offset:188
	s_mov_b32 s4, exec_lo
	s_waitcnt vmcnt(0)
	ds_write_b64 v52, v[53:54]
	s_waitcnt lgkmcnt(0)
	s_barrier
	buffer_gl0_inv
	v_cmpx_ne_u32_e32 23, v0
	s_cbranch_execz .LBB87_107
; %bb.104:
	v_mov_b32_e32 v50, 0
	v_mov_b32_e32 v53, 0
	s_mov_b32 s5, 0
	.p2align	6
.LBB87_105:                             ; =>This Inner Loop Header: Depth=1
	s_clause 0x1
	buffer_load_dword v56, v51, s[0:3], 0 offen offset:4
	buffer_load_dword v57, v51, s[0:3], 0 offen
	ds_read_b64 v[54:55], v52
	v_add_nc_u32_e32 v49, 1, v49
	v_add_nc_u32_e32 v52, 8, v52
	;; [unrolled: 1-line block ×3, first 2 shown]
	v_cmp_lt_u32_e32 vcc_lo, 21, v49
	s_or_b32 s5, vcc_lo, s5
	s_waitcnt vmcnt(1) lgkmcnt(0)
	v_mul_f32_e32 v58, v55, v56
	v_mul_f32_e32 v56, v54, v56
	s_waitcnt vmcnt(0)
	v_fma_f32 v54, v54, v57, -v58
	v_fmac_f32_e32 v56, v55, v57
	v_add_f32_e32 v53, v53, v54
	v_add_f32_e32 v50, v50, v56
	s_andn2_b32 exec_lo, exec_lo, s5
	s_cbranch_execnz .LBB87_105
; %bb.106:
	s_or_b32 exec_lo, exec_lo, s5
	v_mov_b32_e32 v49, 0
	ds_read_b64 v[51:52], v49 offset:184
	s_waitcnt lgkmcnt(0)
	v_mul_f32_e32 v49, v50, v52
	v_mul_f32_e32 v52, v53, v52
	v_fma_f32 v49, v53, v51, -v49
	v_fmac_f32_e32 v52, v50, v51
	buffer_store_dword v49, off, s[0:3], 0 offset:184
	buffer_store_dword v52, off, s[0:3], 0 offset:188
.LBB87_107:
	s_or_b32 exec_lo, exec_lo, s4
	s_mov_b32 s5, -1
	s_waitcnt_vscnt null, 0x0
	s_barrier
	buffer_gl0_inv
.LBB87_108:
	s_and_b32 vcc_lo, exec_lo, s5
	s_cbranch_vccz .LBB87_110
; %bb.109:
	s_lshl_b64 s[4:5], s[6:7], 2
	v_mov_b32_e32 v49, 0
	s_add_u32 s4, s10, s4
	s_addc_u32 s5, s11, s5
	global_load_dword v49, v49, s[4:5]
	s_waitcnt vmcnt(0)
	v_cmp_ne_u32_e32 vcc_lo, 0, v49
	s_cbranch_vccz .LBB87_111
.LBB87_110:
	s_endpgm
.LBB87_111:
	v_lshl_add_u32 v49, v0, 3, 0xc0
	s_mov_b32 s4, exec_lo
	v_cmpx_eq_u32_e32 23, v0
	s_cbranch_execz .LBB87_113
; %bb.112:
	s_clause 0x1
	buffer_load_dword v50, off, s[0:3], 0 offset:176
	buffer_load_dword v51, off, s[0:3], 0 offset:180
	v_mov_b32_e32 v52, 0
	buffer_store_dword v52, off, s[0:3], 0 offset:176
	buffer_store_dword v52, off, s[0:3], 0 offset:180
	s_waitcnt vmcnt(0)
	ds_write_b64 v49, v[50:51]
.LBB87_113:
	s_or_b32 exec_lo, exec_lo, s4
	s_waitcnt lgkmcnt(0)
	s_waitcnt_vscnt null, 0x0
	s_barrier
	buffer_gl0_inv
	s_clause 0x3
	buffer_load_dword v53, off, s[0:3], 0 offset:188
	buffer_load_dword v54, off, s[0:3], 0 offset:184
	;; [unrolled: 1-line block ×4, first 2 shown]
	v_mov_b32_e32 v50, 0
	s_mov_b32 s4, exec_lo
	ds_read_b64 v[51:52], v50 offset:376
	s_waitcnt vmcnt(3) lgkmcnt(0)
	v_mul_f32_e32 v57, v52, v53
	v_mul_f32_e32 v53, v51, v53
	s_waitcnt vmcnt(2)
	v_fma_f32 v51, v51, v54, -v57
	v_fmac_f32_e32 v53, v52, v54
	v_add_f32_e32 v51, 0, v51
	v_add_f32_e32 v52, 0, v53
	s_waitcnt vmcnt(1)
	v_sub_f32_e32 v51, v55, v51
	s_waitcnt vmcnt(0)
	v_sub_f32_e32 v52, v56, v52
	buffer_store_dword v51, off, s[0:3], 0 offset:176
	buffer_store_dword v52, off, s[0:3], 0 offset:180
	v_cmpx_lt_u32_e32 21, v0
	s_cbranch_execz .LBB87_115
; %bb.114:
	s_clause 0x1
	buffer_load_dword v51, off, s[0:3], 0 offset:168
	buffer_load_dword v52, off, s[0:3], 0 offset:172
	buffer_store_dword v50, off, s[0:3], 0 offset:168
	buffer_store_dword v50, off, s[0:3], 0 offset:172
	s_waitcnt vmcnt(0)
	ds_write_b64 v49, v[51:52]
.LBB87_115:
	s_or_b32 exec_lo, exec_lo, s4
	s_waitcnt lgkmcnt(0)
	s_waitcnt_vscnt null, 0x0
	s_barrier
	buffer_gl0_inv
	s_clause 0x5
	buffer_load_dword v54, off, s[0:3], 0 offset:180
	buffer_load_dword v55, off, s[0:3], 0 offset:188
	;; [unrolled: 1-line block ×6, first 2 shown]
	ds_read_b128 v[50:53], v50 offset:368
	s_mov_b32 s4, exec_lo
	s_waitcnt vmcnt(5) lgkmcnt(0)
	v_mul_f32_e32 v60, v51, v54
	v_mul_f32_e32 v54, v50, v54
	s_waitcnt vmcnt(4)
	v_mul_f32_e32 v61, v52, v55
	v_mul_f32_e32 v55, v53, v55
	s_waitcnt vmcnt(3)
	v_fma_f32 v50, v50, v56, -v60
	v_fmac_f32_e32 v54, v51, v56
	s_waitcnt vmcnt(2)
	v_fmac_f32_e32 v61, v53, v57
	v_fma_f32 v51, v52, v57, -v55
	v_add_f32_e32 v50, 0, v50
	v_add_f32_e32 v52, 0, v54
	;; [unrolled: 1-line block ×4, first 2 shown]
	s_waitcnt vmcnt(1)
	v_sub_f32_e32 v50, v58, v50
	s_waitcnt vmcnt(0)
	v_sub_f32_e32 v51, v59, v51
	buffer_store_dword v50, off, s[0:3], 0 offset:168
	buffer_store_dword v51, off, s[0:3], 0 offset:172
	v_cmpx_lt_u32_e32 20, v0
	s_cbranch_execz .LBB87_117
; %bb.116:
	s_clause 0x1
	buffer_load_dword v50, off, s[0:3], 0 offset:160
	buffer_load_dword v51, off, s[0:3], 0 offset:164
	v_mov_b32_e32 v52, 0
	buffer_store_dword v52, off, s[0:3], 0 offset:160
	buffer_store_dword v52, off, s[0:3], 0 offset:164
	s_waitcnt vmcnt(0)
	ds_write_b64 v49, v[50:51]
.LBB87_117:
	s_or_b32 exec_lo, exec_lo, s4
	s_waitcnt lgkmcnt(0)
	s_waitcnt_vscnt null, 0x0
	s_barrier
	buffer_gl0_inv
	s_clause 0x7
	buffer_load_dword v57, off, s[0:3], 0 offset:172
	buffer_load_dword v58, off, s[0:3], 0 offset:180
	;; [unrolled: 1-line block ×8, first 2 shown]
	v_mov_b32_e32 v50, 0
	ds_read2_b64 v[51:54], v50 offset0:45 offset1:46
	ds_read_b64 v[55:56], v50 offset:376
	s_mov_b32 s4, exec_lo
	s_waitcnt vmcnt(7) lgkmcnt(1)
	v_mul_f32_e32 v65, v52, v57
	v_mul_f32_e32 v57, v51, v57
	s_waitcnt vmcnt(6)
	v_mul_f32_e32 v66, v53, v58
	v_mul_f32_e32 v58, v54, v58
	s_waitcnt vmcnt(5) lgkmcnt(0)
	v_mul_f32_e32 v67, v55, v59
	s_waitcnt vmcnt(4)
	v_fma_f32 v51, v51, v60, -v65
	v_fmac_f32_e32 v57, v52, v60
	v_mul_f32_e32 v52, v56, v59
	s_waitcnt vmcnt(3)
	v_fma_f32 v53, v53, v61, -v58
	v_fmac_f32_e32 v66, v54, v61
	v_add_f32_e32 v51, 0, v51
	v_add_f32_e32 v54, 0, v57
	s_waitcnt vmcnt(2)
	v_fma_f32 v52, v55, v62, -v52
	v_fmac_f32_e32 v67, v56, v62
	v_add_f32_e32 v51, v51, v53
	v_add_f32_e32 v53, v54, v66
	;; [unrolled: 1-line block ×4, first 2 shown]
	s_waitcnt vmcnt(1)
	v_sub_f32_e32 v51, v63, v51
	s_waitcnt vmcnt(0)
	v_sub_f32_e32 v52, v64, v52
	buffer_store_dword v51, off, s[0:3], 0 offset:160
	buffer_store_dword v52, off, s[0:3], 0 offset:164
	v_cmpx_lt_u32_e32 19, v0
	s_cbranch_execz .LBB87_119
; %bb.118:
	s_clause 0x1
	buffer_load_dword v51, off, s[0:3], 0 offset:152
	buffer_load_dword v52, off, s[0:3], 0 offset:156
	buffer_store_dword v50, off, s[0:3], 0 offset:152
	buffer_store_dword v50, off, s[0:3], 0 offset:156
	s_waitcnt vmcnt(0)
	ds_write_b64 v49, v[51:52]
.LBB87_119:
	s_or_b32 exec_lo, exec_lo, s4
	s_waitcnt lgkmcnt(0)
	s_waitcnt_vscnt null, 0x0
	s_barrier
	buffer_gl0_inv
	s_clause 0x9
	buffer_load_dword v59, off, s[0:3], 0 offset:164
	buffer_load_dword v60, off, s[0:3], 0 offset:172
	;; [unrolled: 1-line block ×10, first 2 shown]
	ds_read_b128 v[51:54], v50 offset:352
	ds_read_b128 v[55:58], v50 offset:368
	s_mov_b32 s4, exec_lo
	s_waitcnt vmcnt(9) lgkmcnt(1)
	v_mul_f32_e32 v50, v51, v59
	v_mul_f32_e32 v59, v52, v59
	s_waitcnt vmcnt(8)
	v_mul_f32_e32 v69, v53, v60
	v_mul_f32_e32 v60, v54, v60
	s_waitcnt vmcnt(7) lgkmcnt(0)
	v_mul_f32_e32 v70, v55, v61
	s_waitcnt vmcnt(5)
	v_fmac_f32_e32 v50, v52, v63
	v_fma_f32 v51, v51, v63, -v59
	v_mul_f32_e32 v52, v56, v61
	s_waitcnt vmcnt(4)
	v_fma_f32 v53, v53, v64, -v60
	v_fmac_f32_e32 v69, v54, v64
	v_add_f32_e32 v50, 0, v50
	v_add_f32_e32 v51, 0, v51
	v_mul_f32_e32 v54, v58, v62
	s_waitcnt vmcnt(3)
	v_fma_f32 v52, v55, v65, -v52
	v_mul_f32_e32 v71, v57, v62
	v_fmac_f32_e32 v70, v56, v65
	v_add_f32_e32 v51, v51, v53
	v_add_f32_e32 v50, v50, v69
	s_waitcnt vmcnt(2)
	v_fma_f32 v53, v57, v66, -v54
	v_fmac_f32_e32 v71, v58, v66
	v_add_f32_e32 v51, v51, v52
	v_add_f32_e32 v50, v50, v70
	;; [unrolled: 1-line block ×4, first 2 shown]
	s_waitcnt vmcnt(1)
	v_sub_f32_e32 v51, v67, v51
	s_waitcnt vmcnt(0)
	v_sub_f32_e32 v50, v68, v50
	buffer_store_dword v51, off, s[0:3], 0 offset:152
	buffer_store_dword v50, off, s[0:3], 0 offset:156
	v_cmpx_lt_u32_e32 18, v0
	s_cbranch_execz .LBB87_121
; %bb.120:
	s_clause 0x1
	buffer_load_dword v50, off, s[0:3], 0 offset:144
	buffer_load_dword v51, off, s[0:3], 0 offset:148
	v_mov_b32_e32 v52, 0
	buffer_store_dword v52, off, s[0:3], 0 offset:144
	buffer_store_dword v52, off, s[0:3], 0 offset:148
	s_waitcnt vmcnt(0)
	ds_write_b64 v49, v[50:51]
.LBB87_121:
	s_or_b32 exec_lo, exec_lo, s4
	s_waitcnt lgkmcnt(0)
	s_waitcnt_vscnt null, 0x0
	s_barrier
	buffer_gl0_inv
	s_clause 0xb
	buffer_load_dword v61, off, s[0:3], 0 offset:156
	buffer_load_dword v62, off, s[0:3], 0 offset:164
	;; [unrolled: 1-line block ×12, first 2 shown]
	v_mov_b32_e32 v50, 0
	ds_read2_b64 v[51:54], v50 offset0:43 offset1:44
	ds_read2_b64 v[55:58], v50 offset0:45 offset1:46
	ds_read_b64 v[59:60], v50 offset:376
	s_mov_b32 s4, exec_lo
	s_waitcnt vmcnt(11) lgkmcnt(2)
	v_mul_f32_e32 v73, v51, v61
	v_mul_f32_e32 v61, v52, v61
	s_waitcnt vmcnt(10)
	v_mul_f32_e32 v74, v53, v62
	v_mul_f32_e32 v62, v54, v62
	s_waitcnt vmcnt(9) lgkmcnt(1)
	v_mul_f32_e32 v75, v55, v63
	s_waitcnt vmcnt(6)
	v_fmac_f32_e32 v73, v52, v66
	v_fma_f32 v51, v51, v66, -v61
	v_mul_f32_e32 v52, v56, v63
	s_waitcnt vmcnt(5)
	v_fma_f32 v53, v53, v67, -v62
	v_fmac_f32_e32 v74, v54, v67
	v_add_f32_e32 v54, 0, v73
	v_add_f32_e32 v51, 0, v51
	v_mul_f32_e32 v61, v58, v64
	s_waitcnt vmcnt(4)
	v_fma_f32 v52, v55, v68, -v52
	v_mul_f32_e32 v76, v57, v64
	v_fmac_f32_e32 v75, v56, v68
	v_add_f32_e32 v51, v51, v53
	v_add_f32_e32 v53, v54, v74
	s_waitcnt lgkmcnt(0)
	v_mul_f32_e32 v54, v60, v65
	s_waitcnt vmcnt(3)
	v_fma_f32 v55, v57, v69, -v61
	v_mul_f32_e32 v77, v59, v65
	v_add_f32_e32 v51, v51, v52
	v_fmac_f32_e32 v76, v58, v69
	v_add_f32_e32 v52, v53, v75
	s_waitcnt vmcnt(2)
	v_fma_f32 v53, v59, v70, -v54
	v_fmac_f32_e32 v77, v60, v70
	v_add_f32_e32 v51, v51, v55
	v_add_f32_e32 v52, v52, v76
	;; [unrolled: 1-line block ×4, first 2 shown]
	s_waitcnt vmcnt(1)
	v_sub_f32_e32 v51, v71, v51
	s_waitcnt vmcnt(0)
	v_sub_f32_e32 v52, v72, v52
	buffer_store_dword v51, off, s[0:3], 0 offset:144
	buffer_store_dword v52, off, s[0:3], 0 offset:148
	v_cmpx_lt_u32_e32 17, v0
	s_cbranch_execz .LBB87_123
; %bb.122:
	s_clause 0x1
	buffer_load_dword v51, off, s[0:3], 0 offset:136
	buffer_load_dword v52, off, s[0:3], 0 offset:140
	buffer_store_dword v50, off, s[0:3], 0 offset:136
	buffer_store_dword v50, off, s[0:3], 0 offset:140
	s_waitcnt vmcnt(0)
	ds_write_b64 v49, v[51:52]
.LBB87_123:
	s_or_b32 exec_lo, exec_lo, s4
	s_waitcnt lgkmcnt(0)
	s_waitcnt_vscnt null, 0x0
	s_barrier
	buffer_gl0_inv
	s_clause 0xd
	buffer_load_dword v63, off, s[0:3], 0 offset:148
	buffer_load_dword v64, off, s[0:3], 0 offset:156
	;; [unrolled: 1-line block ×14, first 2 shown]
	ds_read_b128 v[51:54], v50 offset:336
	ds_read_b128 v[55:58], v50 offset:352
	;; [unrolled: 1-line block ×3, first 2 shown]
	s_mov_b32 s4, exec_lo
	s_waitcnt vmcnt(13) lgkmcnt(2)
	v_mul_f32_e32 v50, v51, v63
	v_mul_f32_e32 v63, v52, v63
	s_waitcnt vmcnt(12)
	v_mul_f32_e32 v77, v53, v64
	v_mul_f32_e32 v64, v54, v64
	s_waitcnt vmcnt(11) lgkmcnt(1)
	v_mul_f32_e32 v78, v55, v65
	s_waitcnt vmcnt(10)
	v_mul_f32_e32 v79, v57, v66
	s_waitcnt vmcnt(7)
	v_fma_f32 v51, v51, v69, -v63
	v_fmac_f32_e32 v50, v52, v69
	v_mul_f32_e32 v52, v56, v65
	s_waitcnt vmcnt(6)
	v_fma_f32 v53, v53, v70, -v64
	v_fmac_f32_e32 v77, v54, v70
	v_add_f32_e32 v51, 0, v51
	v_add_f32_e32 v50, 0, v50
	v_mul_f32_e32 v54, v58, v66
	s_waitcnt vmcnt(5)
	v_fma_f32 v52, v55, v71, -v52
	v_fmac_f32_e32 v78, v56, v71
	v_add_f32_e32 v51, v51, v53
	v_add_f32_e32 v50, v50, v77
	s_waitcnt lgkmcnt(0)
	v_mul_f32_e32 v53, v60, v67
	s_waitcnt vmcnt(4)
	v_fma_f32 v54, v57, v72, -v54
	v_mul_f32_e32 v80, v59, v67
	v_add_f32_e32 v51, v51, v52
	v_fmac_f32_e32 v79, v58, v72
	v_add_f32_e32 v50, v50, v78
	v_mul_f32_e32 v52, v62, v68
	s_waitcnt vmcnt(3)
	v_fma_f32 v53, v59, v73, -v53
	v_add_f32_e32 v51, v51, v54
	v_mul_f32_e32 v81, v61, v68
	v_fmac_f32_e32 v80, v60, v73
	v_add_f32_e32 v50, v50, v79
	s_waitcnt vmcnt(2)
	v_fma_f32 v52, v61, v74, -v52
	v_add_f32_e32 v51, v51, v53
	v_fmac_f32_e32 v81, v62, v74
	v_add_f32_e32 v50, v50, v80
	v_add_f32_e32 v51, v51, v52
	;; [unrolled: 1-line block ×3, first 2 shown]
	s_waitcnt vmcnt(1)
	v_sub_f32_e32 v51, v75, v51
	s_waitcnt vmcnt(0)
	v_sub_f32_e32 v50, v76, v50
	buffer_store_dword v51, off, s[0:3], 0 offset:136
	buffer_store_dword v50, off, s[0:3], 0 offset:140
	v_cmpx_lt_u32_e32 16, v0
	s_cbranch_execz .LBB87_125
; %bb.124:
	s_clause 0x1
	buffer_load_dword v50, off, s[0:3], 0 offset:128
	buffer_load_dword v51, off, s[0:3], 0 offset:132
	v_mov_b32_e32 v52, 0
	buffer_store_dword v52, off, s[0:3], 0 offset:128
	buffer_store_dword v52, off, s[0:3], 0 offset:132
	s_waitcnt vmcnt(0)
	ds_write_b64 v49, v[50:51]
.LBB87_125:
	s_or_b32 exec_lo, exec_lo, s4
	s_waitcnt lgkmcnt(0)
	s_waitcnt_vscnt null, 0x0
	s_barrier
	buffer_gl0_inv
	s_clause 0xf
	buffer_load_dword v65, off, s[0:3], 0 offset:140
	buffer_load_dword v66, off, s[0:3], 0 offset:148
	;; [unrolled: 1-line block ×16, first 2 shown]
	v_mov_b32_e32 v50, 0
	ds_read2_b64 v[51:54], v50 offset0:41 offset1:42
	ds_read2_b64 v[55:58], v50 offset0:43 offset1:44
	;; [unrolled: 1-line block ×3, first 2 shown]
	ds_read_b64 v[63:64], v50 offset:376
	s_mov_b32 s4, exec_lo
	s_waitcnt vmcnt(15) lgkmcnt(3)
	v_mul_f32_e32 v81, v51, v65
	v_mul_f32_e32 v65, v52, v65
	s_waitcnt vmcnt(14)
	v_mul_f32_e32 v82, v53, v66
	v_mul_f32_e32 v66, v54, v66
	s_waitcnt vmcnt(13) lgkmcnt(2)
	v_mul_f32_e32 v83, v55, v67
	s_waitcnt vmcnt(12)
	v_mul_f32_e32 v84, v57, v68
	s_waitcnt vmcnt(11) lgkmcnt(1)
	v_mul_f32_e32 v85, v59, v69
	s_waitcnt vmcnt(8)
	v_fma_f32 v51, v51, v72, -v65
	v_fmac_f32_e32 v81, v52, v72
	v_mul_f32_e32 v52, v56, v67
	s_waitcnt vmcnt(7)
	v_fma_f32 v53, v53, v73, -v66
	v_fmac_f32_e32 v82, v54, v73
	v_add_f32_e32 v51, 0, v51
	v_add_f32_e32 v54, 0, v81
	v_mul_f32_e32 v65, v58, v68
	s_waitcnt vmcnt(6)
	v_fma_f32 v52, v55, v74, -v52
	v_fmac_f32_e32 v83, v56, v74
	v_add_f32_e32 v51, v51, v53
	v_add_f32_e32 v53, v54, v82
	;; [unrolled: 6-line block ×3, first 2 shown]
	v_mul_f32_e32 v53, v62, v70
	s_waitcnt vmcnt(4)
	v_fma_f32 v54, v59, v76, -v54
	v_mul_f32_e32 v86, v61, v70
	v_add_f32_e32 v51, v51, v55
	v_fmac_f32_e32 v85, v60, v76
	v_add_f32_e32 v52, v52, v84
	s_waitcnt lgkmcnt(0)
	v_mul_f32_e32 v55, v64, v71
	s_waitcnt vmcnt(3)
	v_fma_f32 v53, v61, v77, -v53
	v_add_f32_e32 v51, v51, v54
	v_mul_f32_e32 v87, v63, v71
	v_fmac_f32_e32 v86, v62, v77
	v_add_f32_e32 v52, v52, v85
	s_waitcnt vmcnt(2)
	v_fma_f32 v54, v63, v78, -v55
	v_add_f32_e32 v51, v51, v53
	v_fmac_f32_e32 v87, v64, v78
	v_add_f32_e32 v52, v52, v86
	v_add_f32_e32 v51, v51, v54
	v_add_f32_e32 v52, v52, v87
	s_waitcnt vmcnt(1)
	v_sub_f32_e32 v51, v79, v51
	s_waitcnt vmcnt(0)
	v_sub_f32_e32 v52, v80, v52
	buffer_store_dword v51, off, s[0:3], 0 offset:128
	buffer_store_dword v52, off, s[0:3], 0 offset:132
	v_cmpx_lt_u32_e32 15, v0
	s_cbranch_execz .LBB87_127
; %bb.126:
	s_clause 0x1
	buffer_load_dword v51, off, s[0:3], 0 offset:120
	buffer_load_dword v52, off, s[0:3], 0 offset:124
	buffer_store_dword v50, off, s[0:3], 0 offset:120
	buffer_store_dword v50, off, s[0:3], 0 offset:124
	s_waitcnt vmcnt(0)
	ds_write_b64 v49, v[51:52]
.LBB87_127:
	s_or_b32 exec_lo, exec_lo, s4
	s_waitcnt lgkmcnt(0)
	s_waitcnt_vscnt null, 0x0
	s_barrier
	buffer_gl0_inv
	s_clause 0x11
	buffer_load_dword v67, off, s[0:3], 0 offset:132
	buffer_load_dword v68, off, s[0:3], 0 offset:140
	;; [unrolled: 1-line block ×18, first 2 shown]
	ds_read_b128 v[51:54], v50 offset:320
	ds_read_b128 v[55:58], v50 offset:336
	ds_read_b128 v[59:62], v50 offset:352
	ds_read_b128 v[63:66], v50 offset:368
	s_mov_b32 s4, exec_lo
	s_waitcnt vmcnt(17) lgkmcnt(3)
	v_mul_f32_e32 v50, v51, v67
	v_mul_f32_e32 v67, v52, v67
	s_waitcnt vmcnt(16)
	v_mul_f32_e32 v85, v53, v68
	v_mul_f32_e32 v68, v54, v68
	s_waitcnt vmcnt(15) lgkmcnt(2)
	v_mul_f32_e32 v86, v55, v69
	s_waitcnt vmcnt(14)
	v_mul_f32_e32 v87, v57, v70
	s_waitcnt vmcnt(13) lgkmcnt(1)
	v_mul_f32_e32 v88, v59, v71
	s_waitcnt vmcnt(12)
	v_mul_f32_e32 v89, v61, v72
	s_waitcnt vmcnt(9)
	v_fma_f32 v51, v51, v75, -v67
	v_fmac_f32_e32 v50, v52, v75
	v_mul_f32_e32 v52, v56, v69
	s_waitcnt vmcnt(8)
	v_fma_f32 v53, v53, v76, -v68
	v_fmac_f32_e32 v85, v54, v76
	v_add_f32_e32 v51, 0, v51
	v_add_f32_e32 v50, 0, v50
	v_mul_f32_e32 v54, v58, v70
	s_waitcnt vmcnt(7)
	v_fma_f32 v52, v55, v77, -v52
	v_fmac_f32_e32 v86, v56, v77
	v_add_f32_e32 v51, v51, v53
	v_add_f32_e32 v50, v50, v85
	;; [unrolled: 6-line block ×4, first 2 shown]
	s_waitcnt lgkmcnt(0)
	v_mul_f32_e32 v54, v64, v73
	s_waitcnt vmcnt(4)
	v_fma_f32 v52, v61, v80, -v52
	v_mul_f32_e32 v90, v63, v73
	v_add_f32_e32 v51, v51, v53
	v_fmac_f32_e32 v89, v62, v80
	v_add_f32_e32 v50, v50, v88
	v_mul_f32_e32 v53, v66, v74
	s_waitcnt vmcnt(3)
	v_fma_f32 v54, v63, v81, -v54
	v_add_f32_e32 v51, v51, v52
	v_mul_f32_e32 v91, v65, v74
	v_fmac_f32_e32 v90, v64, v81
	v_add_f32_e32 v50, v50, v89
	s_waitcnt vmcnt(2)
	v_fma_f32 v52, v65, v82, -v53
	v_add_f32_e32 v51, v51, v54
	v_fmac_f32_e32 v91, v66, v82
	v_add_f32_e32 v50, v50, v90
	v_add_f32_e32 v51, v51, v52
	;; [unrolled: 1-line block ×3, first 2 shown]
	s_waitcnt vmcnt(1)
	v_sub_f32_e32 v51, v83, v51
	s_waitcnt vmcnt(0)
	v_sub_f32_e32 v50, v84, v50
	buffer_store_dword v51, off, s[0:3], 0 offset:120
	buffer_store_dword v50, off, s[0:3], 0 offset:124
	v_cmpx_lt_u32_e32 14, v0
	s_cbranch_execz .LBB87_129
; %bb.128:
	s_clause 0x1
	buffer_load_dword v50, off, s[0:3], 0 offset:112
	buffer_load_dword v51, off, s[0:3], 0 offset:116
	v_mov_b32_e32 v52, 0
	buffer_store_dword v52, off, s[0:3], 0 offset:112
	buffer_store_dword v52, off, s[0:3], 0 offset:116
	s_waitcnt vmcnt(0)
	ds_write_b64 v49, v[50:51]
.LBB87_129:
	s_or_b32 exec_lo, exec_lo, s4
	s_waitcnt lgkmcnt(0)
	s_waitcnt_vscnt null, 0x0
	s_barrier
	buffer_gl0_inv
	s_clause 0x13
	buffer_load_dword v69, off, s[0:3], 0 offset:124
	buffer_load_dword v70, off, s[0:3], 0 offset:132
	;; [unrolled: 1-line block ×20, first 2 shown]
	v_mov_b32_e32 v50, 0
	ds_read2_b64 v[51:54], v50 offset0:39 offset1:40
	ds_read2_b64 v[55:58], v50 offset0:41 offset1:42
	;; [unrolled: 1-line block ×4, first 2 shown]
	ds_read_b64 v[67:68], v50 offset:376
	s_mov_b32 s4, exec_lo
	s_waitcnt vmcnt(19) lgkmcnt(4)
	v_mul_f32_e32 v89, v51, v69
	v_mul_f32_e32 v69, v52, v69
	s_waitcnt vmcnt(18)
	v_mul_f32_e32 v90, v53, v70
	v_mul_f32_e32 v70, v54, v70
	s_waitcnt vmcnt(17) lgkmcnt(3)
	v_mul_f32_e32 v91, v55, v71
	s_waitcnt vmcnt(16)
	v_mul_f32_e32 v92, v57, v72
	s_waitcnt vmcnt(15) lgkmcnt(2)
	v_mul_f32_e32 v93, v59, v73
	s_waitcnt vmcnt(14)
	;; [unrolled: 4-line block ×3, first 2 shown]
	v_fma_f32 v51, v51, v78, -v69
	v_fmac_f32_e32 v89, v52, v78
	v_mul_f32_e32 v52, v56, v71
	s_waitcnt vmcnt(9)
	v_fma_f32 v53, v53, v79, -v70
	v_fmac_f32_e32 v90, v54, v79
	v_add_f32_e32 v51, 0, v51
	v_add_f32_e32 v54, 0, v89
	v_mul_f32_e32 v69, v58, v72
	s_waitcnt vmcnt(8)
	v_fma_f32 v52, v55, v80, -v52
	v_fmac_f32_e32 v91, v56, v80
	v_add_f32_e32 v51, v51, v53
	v_add_f32_e32 v53, v54, v90
	v_mul_f32_e32 v54, v60, v73
	s_waitcnt vmcnt(7)
	v_fma_f32 v55, v57, v81, -v69
	v_fmac_f32_e32 v92, v58, v81
	v_add_f32_e32 v51, v51, v52
	v_add_f32_e32 v52, v53, v91
	v_mul_f32_e32 v53, v62, v74
	s_waitcnt vmcnt(6)
	v_fma_f32 v54, v59, v82, -v54
	v_fmac_f32_e32 v93, v60, v82
	v_add_f32_e32 v51, v51, v55
	v_add_f32_e32 v52, v52, v92
	v_mul_f32_e32 v55, v64, v75
	s_waitcnt vmcnt(5)
	v_fma_f32 v53, v61, v83, -v53
	v_fmac_f32_e32 v94, v62, v83
	v_add_f32_e32 v51, v51, v54
	v_add_f32_e32 v52, v52, v93
	v_mul_f32_e32 v54, v66, v76
	s_waitcnt vmcnt(4)
	v_fma_f32 v55, v63, v84, -v55
	v_mul_f32_e32 v96, v65, v76
	v_add_f32_e32 v51, v51, v53
	v_fmac_f32_e32 v95, v64, v84
	v_add_f32_e32 v52, v52, v94
	s_waitcnt lgkmcnt(0)
	v_mul_f32_e32 v53, v68, v77
	s_waitcnt vmcnt(3)
	v_fma_f32 v54, v65, v85, -v54
	v_add_f32_e32 v51, v51, v55
	v_mul_f32_e32 v97, v67, v77
	v_fmac_f32_e32 v96, v66, v85
	v_add_f32_e32 v52, v52, v95
	s_waitcnt vmcnt(2)
	v_fma_f32 v53, v67, v86, -v53
	v_add_f32_e32 v51, v51, v54
	v_fmac_f32_e32 v97, v68, v86
	v_add_f32_e32 v52, v52, v96
	v_add_f32_e32 v51, v51, v53
	v_add_f32_e32 v52, v52, v97
	s_waitcnt vmcnt(1)
	v_sub_f32_e32 v51, v87, v51
	s_waitcnt vmcnt(0)
	v_sub_f32_e32 v52, v88, v52
	buffer_store_dword v51, off, s[0:3], 0 offset:112
	buffer_store_dword v52, off, s[0:3], 0 offset:116
	v_cmpx_lt_u32_e32 13, v0
	s_cbranch_execz .LBB87_131
; %bb.130:
	s_clause 0x1
	buffer_load_dword v51, off, s[0:3], 0 offset:104
	buffer_load_dword v52, off, s[0:3], 0 offset:108
	buffer_store_dword v50, off, s[0:3], 0 offset:104
	buffer_store_dword v50, off, s[0:3], 0 offset:108
	s_waitcnt vmcnt(0)
	ds_write_b64 v49, v[51:52]
.LBB87_131:
	s_or_b32 exec_lo, exec_lo, s4
	s_waitcnt lgkmcnt(0)
	s_waitcnt_vscnt null, 0x0
	s_barrier
	buffer_gl0_inv
	s_clause 0x15
	buffer_load_dword v71, off, s[0:3], 0 offset:116
	buffer_load_dword v72, off, s[0:3], 0 offset:124
	;; [unrolled: 1-line block ×22, first 2 shown]
	ds_read_b128 v[51:54], v50 offset:304
	ds_read_b128 v[55:58], v50 offset:320
	;; [unrolled: 1-line block ×5, first 2 shown]
	s_mov_b32 s4, exec_lo
	s_waitcnt vmcnt(21) lgkmcnt(4)
	v_mul_f32_e32 v50, v51, v71
	v_mul_f32_e32 v71, v52, v71
	s_waitcnt vmcnt(20)
	v_mul_f32_e32 v93, v53, v72
	v_mul_f32_e32 v72, v54, v72
	s_waitcnt vmcnt(19) lgkmcnt(3)
	v_mul_f32_e32 v94, v55, v73
	s_waitcnt vmcnt(18)
	v_mul_f32_e32 v95, v57, v74
	s_waitcnt vmcnt(17) lgkmcnt(2)
	v_mul_f32_e32 v96, v59, v75
	s_waitcnt vmcnt(16)
	;; [unrolled: 4-line block ×3, first 2 shown]
	v_mul_f32_e32 v99, v65, v78
	s_waitcnt vmcnt(11)
	v_fma_f32 v51, v51, v81, -v71
	v_fmac_f32_e32 v50, v52, v81
	v_mul_f32_e32 v52, v56, v73
	s_waitcnt vmcnt(10)
	v_fma_f32 v53, v53, v82, -v72
	v_fmac_f32_e32 v93, v54, v82
	v_add_f32_e32 v51, 0, v51
	v_add_f32_e32 v50, 0, v50
	v_mul_f32_e32 v54, v58, v74
	s_waitcnt vmcnt(9)
	v_fma_f32 v52, v55, v83, -v52
	v_fmac_f32_e32 v94, v56, v83
	v_add_f32_e32 v51, v51, v53
	v_add_f32_e32 v50, v50, v93
	;; [unrolled: 6-line block ×6, first 2 shown]
	s_waitcnt lgkmcnt(0)
	v_mul_f32_e32 v52, v68, v79
	s_waitcnt vmcnt(4)
	v_fma_f32 v53, v65, v88, -v53
	v_mul_f32_e32 v100, v67, v79
	v_add_f32_e32 v51, v51, v54
	v_fmac_f32_e32 v99, v66, v88
	v_add_f32_e32 v50, v50, v98
	v_mul_f32_e32 v54, v70, v80
	s_waitcnt vmcnt(3)
	v_fma_f32 v52, v67, v89, -v52
	v_add_f32_e32 v51, v51, v53
	v_mul_f32_e32 v101, v69, v80
	v_fmac_f32_e32 v100, v68, v89
	v_add_f32_e32 v50, v50, v99
	s_waitcnt vmcnt(2)
	v_fma_f32 v53, v69, v90, -v54
	v_add_f32_e32 v51, v51, v52
	v_fmac_f32_e32 v101, v70, v90
	v_add_f32_e32 v50, v50, v100
	v_add_f32_e32 v51, v51, v53
	;; [unrolled: 1-line block ×3, first 2 shown]
	s_waitcnt vmcnt(1)
	v_sub_f32_e32 v51, v91, v51
	s_waitcnt vmcnt(0)
	v_sub_f32_e32 v50, v92, v50
	buffer_store_dword v51, off, s[0:3], 0 offset:104
	buffer_store_dword v50, off, s[0:3], 0 offset:108
	v_cmpx_lt_u32_e32 12, v0
	s_cbranch_execz .LBB87_133
; %bb.132:
	s_clause 0x1
	buffer_load_dword v50, off, s[0:3], 0 offset:96
	buffer_load_dword v51, off, s[0:3], 0 offset:100
	v_mov_b32_e32 v52, 0
	buffer_store_dword v52, off, s[0:3], 0 offset:96
	buffer_store_dword v52, off, s[0:3], 0 offset:100
	s_waitcnt vmcnt(0)
	ds_write_b64 v49, v[50:51]
.LBB87_133:
	s_or_b32 exec_lo, exec_lo, s4
	s_waitcnt lgkmcnt(0)
	s_waitcnt_vscnt null, 0x0
	s_barrier
	buffer_gl0_inv
	s_clause 0x17
	buffer_load_dword v73, off, s[0:3], 0 offset:108
	buffer_load_dword v74, off, s[0:3], 0 offset:116
	;; [unrolled: 1-line block ×24, first 2 shown]
	v_mov_b32_e32 v50, 0
	ds_read2_b64 v[51:54], v50 offset0:37 offset1:38
	ds_read2_b64 v[55:58], v50 offset0:39 offset1:40
	;; [unrolled: 1-line block ×5, first 2 shown]
	ds_read_b64 v[71:72], v50 offset:376
	s_mov_b32 s4, exec_lo
	s_waitcnt vmcnt(23) lgkmcnt(5)
	v_mul_f32_e32 v97, v51, v73
	v_mul_f32_e32 v73, v52, v73
	s_waitcnt vmcnt(22)
	v_mul_f32_e32 v98, v53, v74
	v_mul_f32_e32 v74, v54, v74
	s_waitcnt vmcnt(21) lgkmcnt(4)
	v_mul_f32_e32 v99, v55, v75
	s_waitcnt vmcnt(20)
	v_mul_f32_e32 v100, v57, v76
	s_waitcnt vmcnt(19) lgkmcnt(3)
	v_mul_f32_e32 v101, v59, v77
	s_waitcnt vmcnt(18)
	;; [unrolled: 4-line block ×4, first 2 shown]
	v_fma_f32 v51, v51, v84, -v73
	v_fmac_f32_e32 v97, v52, v84
	v_mul_f32_e32 v52, v56, v75
	s_waitcnt vmcnt(11)
	v_fma_f32 v53, v53, v85, -v74
	v_fmac_f32_e32 v98, v54, v85
	v_add_f32_e32 v51, 0, v51
	v_add_f32_e32 v54, 0, v97
	v_mul_f32_e32 v73, v58, v76
	s_waitcnt vmcnt(10)
	v_fma_f32 v52, v55, v86, -v52
	v_fmac_f32_e32 v99, v56, v86
	v_add_f32_e32 v51, v51, v53
	v_add_f32_e32 v53, v54, v98
	;; [unrolled: 6-line block ×7, first 2 shown]
	v_mul_f32_e32 v55, v70, v82
	s_waitcnt vmcnt(4)
	v_fma_f32 v53, v67, v92, -v53
	v_mul_f32_e32 v106, v69, v82
	v_add_f32_e32 v51, v51, v54
	v_fmac_f32_e32 v105, v68, v92
	v_add_f32_e32 v52, v52, v104
	s_waitcnt lgkmcnt(0)
	v_mul_f32_e32 v54, v72, v83
	s_waitcnt vmcnt(3)
	v_fma_f32 v55, v69, v93, -v55
	v_add_f32_e32 v51, v51, v53
	v_mul_f32_e32 v107, v71, v83
	v_fmac_f32_e32 v106, v70, v93
	v_add_f32_e32 v52, v52, v105
	s_waitcnt vmcnt(2)
	v_fma_f32 v53, v71, v94, -v54
	v_add_f32_e32 v51, v51, v55
	v_fmac_f32_e32 v107, v72, v94
	v_add_f32_e32 v52, v52, v106
	v_add_f32_e32 v51, v51, v53
	;; [unrolled: 1-line block ×3, first 2 shown]
	s_waitcnt vmcnt(1)
	v_sub_f32_e32 v51, v95, v51
	s_waitcnt vmcnt(0)
	v_sub_f32_e32 v52, v96, v52
	buffer_store_dword v51, off, s[0:3], 0 offset:96
	buffer_store_dword v52, off, s[0:3], 0 offset:100
	v_cmpx_lt_u32_e32 11, v0
	s_cbranch_execz .LBB87_135
; %bb.134:
	s_clause 0x1
	buffer_load_dword v51, off, s[0:3], 0 offset:88
	buffer_load_dword v52, off, s[0:3], 0 offset:92
	buffer_store_dword v50, off, s[0:3], 0 offset:88
	buffer_store_dword v50, off, s[0:3], 0 offset:92
	s_waitcnt vmcnt(0)
	ds_write_b64 v49, v[51:52]
.LBB87_135:
	s_or_b32 exec_lo, exec_lo, s4
	s_waitcnt lgkmcnt(0)
	s_waitcnt_vscnt null, 0x0
	s_barrier
	buffer_gl0_inv
	s_clause 0x19
	buffer_load_dword v75, off, s[0:3], 0 offset:100
	buffer_load_dword v76, off, s[0:3], 0 offset:108
	;; [unrolled: 1-line block ×26, first 2 shown]
	ds_read_b128 v[51:54], v50 offset:288
	ds_read_b128 v[55:58], v50 offset:304
	;; [unrolled: 1-line block ×6, first 2 shown]
	s_mov_b32 s4, exec_lo
	s_waitcnt vmcnt(25) lgkmcnt(5)
	v_mul_f32_e32 v50, v51, v75
	v_mul_f32_e32 v75, v52, v75
	s_waitcnt vmcnt(24)
	v_mul_f32_e32 v101, v53, v76
	v_mul_f32_e32 v76, v54, v76
	s_waitcnt vmcnt(23) lgkmcnt(4)
	v_mul_f32_e32 v102, v55, v77
	s_waitcnt vmcnt(22)
	v_mul_f32_e32 v103, v57, v78
	s_waitcnt vmcnt(21) lgkmcnt(3)
	v_mul_f32_e32 v104, v59, v79
	s_waitcnt vmcnt(20)
	v_mul_f32_e32 v105, v61, v80
	s_waitcnt vmcnt(19) lgkmcnt(2)
	v_mul_f32_e32 v106, v63, v81
	s_waitcnt vmcnt(18)
	v_mul_f32_e32 v107, v65, v82
	s_waitcnt vmcnt(17) lgkmcnt(1)
	v_mul_f32_e32 v108, v67, v83
	s_waitcnt vmcnt(16)
	v_mul_f32_e32 v109, v69, v84
	s_waitcnt vmcnt(13)
	v_fma_f32 v51, v51, v87, -v75
	v_fmac_f32_e32 v50, v52, v87
	v_mul_f32_e32 v52, v56, v77
	s_waitcnt vmcnt(12)
	v_fma_f32 v53, v53, v88, -v76
	v_fmac_f32_e32 v101, v54, v88
	v_add_f32_e32 v51, 0, v51
	v_add_f32_e32 v50, 0, v50
	v_mul_f32_e32 v54, v58, v78
	s_waitcnt vmcnt(11)
	v_fma_f32 v52, v55, v89, -v52
	v_fmac_f32_e32 v102, v56, v89
	v_add_f32_e32 v51, v51, v53
	v_add_f32_e32 v50, v50, v101
	;; [unrolled: 6-line block ×8, first 2 shown]
	s_waitcnt lgkmcnt(0)
	v_mul_f32_e32 v53, v72, v85
	s_waitcnt vmcnt(4)
	v_fma_f32 v54, v69, v96, -v54
	v_mul_f32_e32 v110, v71, v85
	v_add_f32_e32 v51, v51, v52
	v_fmac_f32_e32 v109, v70, v96
	v_add_f32_e32 v50, v50, v108
	v_mul_f32_e32 v52, v74, v86
	s_waitcnt vmcnt(3)
	v_fma_f32 v53, v71, v97, -v53
	v_add_f32_e32 v51, v51, v54
	v_mul_f32_e32 v111, v73, v86
	v_fmac_f32_e32 v110, v72, v97
	v_add_f32_e32 v50, v50, v109
	s_waitcnt vmcnt(2)
	v_fma_f32 v52, v73, v98, -v52
	v_add_f32_e32 v51, v51, v53
	v_fmac_f32_e32 v111, v74, v98
	v_add_f32_e32 v50, v50, v110
	v_add_f32_e32 v51, v51, v52
	;; [unrolled: 1-line block ×3, first 2 shown]
	s_waitcnt vmcnt(1)
	v_sub_f32_e32 v51, v99, v51
	s_waitcnt vmcnt(0)
	v_sub_f32_e32 v50, v100, v50
	buffer_store_dword v51, off, s[0:3], 0 offset:88
	buffer_store_dword v50, off, s[0:3], 0 offset:92
	v_cmpx_lt_u32_e32 10, v0
	s_cbranch_execz .LBB87_137
; %bb.136:
	s_clause 0x1
	buffer_load_dword v50, off, s[0:3], 0 offset:80
	buffer_load_dword v51, off, s[0:3], 0 offset:84
	v_mov_b32_e32 v52, 0
	buffer_store_dword v52, off, s[0:3], 0 offset:80
	buffer_store_dword v52, off, s[0:3], 0 offset:84
	s_waitcnt vmcnt(0)
	ds_write_b64 v49, v[50:51]
.LBB87_137:
	s_or_b32 exec_lo, exec_lo, s4
	s_waitcnt lgkmcnt(0)
	s_waitcnt_vscnt null, 0x0
	s_barrier
	buffer_gl0_inv
	s_clause 0x1b
	buffer_load_dword v77, off, s[0:3], 0 offset:92
	buffer_load_dword v78, off, s[0:3], 0 offset:100
	;; [unrolled: 1-line block ×28, first 2 shown]
	v_mov_b32_e32 v50, 0
	ds_read2_b64 v[51:54], v50 offset0:35 offset1:36
	ds_read2_b64 v[55:58], v50 offset0:37 offset1:38
	;; [unrolled: 1-line block ×6, first 2 shown]
	ds_read_b64 v[75:76], v50 offset:376
	s_mov_b32 s4, exec_lo
	s_waitcnt vmcnt(27) lgkmcnt(6)
	v_mul_f32_e32 v105, v51, v77
	v_mul_f32_e32 v77, v52, v77
	s_waitcnt vmcnt(26)
	v_mul_f32_e32 v106, v53, v78
	v_mul_f32_e32 v78, v54, v78
	s_waitcnt vmcnt(25) lgkmcnt(5)
	v_mul_f32_e32 v107, v55, v79
	s_waitcnt vmcnt(24)
	v_mul_f32_e32 v108, v57, v80
	s_waitcnt vmcnt(23) lgkmcnt(4)
	v_mul_f32_e32 v109, v59, v81
	s_waitcnt vmcnt(22)
	;; [unrolled: 4-line block ×5, first 2 shown]
	v_fma_f32 v51, v51, v90, -v77
	v_fmac_f32_e32 v105, v52, v90
	v_mul_f32_e32 v52, v56, v79
	s_waitcnt vmcnt(13)
	v_fma_f32 v53, v53, v91, -v78
	v_fmac_f32_e32 v106, v54, v91
	v_add_f32_e32 v51, 0, v51
	v_add_f32_e32 v54, 0, v105
	v_mul_f32_e32 v77, v58, v80
	s_waitcnt vmcnt(12)
	v_fma_f32 v52, v55, v92, -v52
	v_fmac_f32_e32 v107, v56, v92
	v_add_f32_e32 v51, v51, v53
	v_add_f32_e32 v53, v54, v106
	;; [unrolled: 6-line block ×9, first 2 shown]
	v_mul_f32_e32 v53, v74, v88
	s_waitcnt vmcnt(4)
	v_fma_f32 v54, v71, v100, -v54
	v_mul_f32_e32 v116, v73, v88
	v_add_f32_e32 v51, v51, v55
	v_fmac_f32_e32 v115, v72, v100
	v_add_f32_e32 v52, v52, v114
	s_waitcnt lgkmcnt(0)
	v_mul_f32_e32 v55, v76, v89
	s_waitcnt vmcnt(3)
	v_fma_f32 v53, v73, v101, -v53
	v_add_f32_e32 v51, v51, v54
	v_mul_f32_e32 v117, v75, v89
	v_fmac_f32_e32 v116, v74, v101
	v_add_f32_e32 v52, v52, v115
	s_waitcnt vmcnt(2)
	v_fma_f32 v54, v75, v102, -v55
	v_add_f32_e32 v51, v51, v53
	v_fmac_f32_e32 v117, v76, v102
	v_add_f32_e32 v52, v52, v116
	v_add_f32_e32 v51, v51, v54
	;; [unrolled: 1-line block ×3, first 2 shown]
	s_waitcnt vmcnt(1)
	v_sub_f32_e32 v51, v103, v51
	s_waitcnt vmcnt(0)
	v_sub_f32_e32 v52, v104, v52
	buffer_store_dword v51, off, s[0:3], 0 offset:80
	buffer_store_dword v52, off, s[0:3], 0 offset:84
	v_cmpx_lt_u32_e32 9, v0
	s_cbranch_execz .LBB87_139
; %bb.138:
	s_clause 0x1
	buffer_load_dword v51, off, s[0:3], 0 offset:72
	buffer_load_dword v52, off, s[0:3], 0 offset:76
	buffer_store_dword v50, off, s[0:3], 0 offset:72
	buffer_store_dword v50, off, s[0:3], 0 offset:76
	s_waitcnt vmcnt(0)
	ds_write_b64 v49, v[51:52]
.LBB87_139:
	s_or_b32 exec_lo, exec_lo, s4
	s_waitcnt lgkmcnt(0)
	s_waitcnt_vscnt null, 0x0
	s_barrier
	buffer_gl0_inv
	s_clause 0x1d
	buffer_load_dword v79, off, s[0:3], 0 offset:84
	buffer_load_dword v80, off, s[0:3], 0 offset:92
	;; [unrolled: 1-line block ×30, first 2 shown]
	ds_read_b128 v[51:54], v50 offset:272
	ds_read_b128 v[55:58], v50 offset:288
	;; [unrolled: 1-line block ×7, first 2 shown]
	s_mov_b32 s4, exec_lo
	s_waitcnt vmcnt(29) lgkmcnt(6)
	v_mul_f32_e32 v50, v51, v79
	v_mul_f32_e32 v79, v52, v79
	s_waitcnt vmcnt(28)
	v_mul_f32_e32 v109, v53, v80
	v_mul_f32_e32 v80, v54, v80
	s_waitcnt vmcnt(27) lgkmcnt(5)
	v_mul_f32_e32 v110, v55, v81
	s_waitcnt vmcnt(26)
	v_mul_f32_e32 v111, v57, v82
	s_waitcnt vmcnt(25) lgkmcnt(4)
	v_mul_f32_e32 v112, v59, v83
	s_waitcnt vmcnt(24)
	;; [unrolled: 4-line block ×5, first 2 shown]
	v_mul_f32_e32 v119, v73, v90
	s_waitcnt vmcnt(15)
	v_fma_f32 v51, v51, v93, -v79
	v_fmac_f32_e32 v50, v52, v93
	v_mul_f32_e32 v52, v56, v81
	s_waitcnt vmcnt(14)
	v_fma_f32 v53, v53, v94, -v80
	v_fmac_f32_e32 v109, v54, v94
	v_add_f32_e32 v51, 0, v51
	v_add_f32_e32 v50, 0, v50
	v_mul_f32_e32 v54, v58, v82
	s_waitcnt vmcnt(13)
	v_fma_f32 v52, v55, v95, -v52
	v_fmac_f32_e32 v110, v56, v95
	v_add_f32_e32 v51, v51, v53
	v_add_f32_e32 v50, v50, v109
	v_mul_f32_e32 v53, v60, v83
	s_waitcnt vmcnt(12)
	v_fma_f32 v54, v57, v96, -v54
	v_fmac_f32_e32 v111, v58, v96
	v_add_f32_e32 v51, v51, v52
	v_add_f32_e32 v50, v50, v110
	v_mul_f32_e32 v52, v62, v84
	s_waitcnt vmcnt(11)
	v_fma_f32 v53, v59, v97, -v53
	v_fmac_f32_e32 v112, v60, v97
	v_add_f32_e32 v51, v51, v54
	v_add_f32_e32 v50, v50, v111
	v_mul_f32_e32 v54, v64, v85
	s_waitcnt vmcnt(10)
	v_fma_f32 v52, v61, v98, -v52
	v_fmac_f32_e32 v113, v62, v98
	v_add_f32_e32 v51, v51, v53
	v_add_f32_e32 v50, v50, v112
	v_mul_f32_e32 v53, v66, v86
	s_waitcnt vmcnt(9)
	v_fma_f32 v54, v63, v99, -v54
	v_fmac_f32_e32 v114, v64, v99
	v_add_f32_e32 v51, v51, v52
	v_add_f32_e32 v50, v50, v113
	v_mul_f32_e32 v52, v68, v87
	s_waitcnt vmcnt(8)
	v_fma_f32 v53, v65, v100, -v53
	v_fmac_f32_e32 v115, v66, v100
	v_add_f32_e32 v51, v51, v54
	v_add_f32_e32 v50, v50, v114
	v_mul_f32_e32 v54, v70, v88
	s_waitcnt vmcnt(7)
	v_fma_f32 v52, v67, v101, -v52
	v_fmac_f32_e32 v116, v68, v101
	v_add_f32_e32 v51, v51, v53
	v_add_f32_e32 v50, v50, v115
	v_mul_f32_e32 v53, v72, v89
	s_waitcnt vmcnt(6)
	v_fma_f32 v54, v69, v102, -v54
	v_fmac_f32_e32 v117, v70, v102
	v_add_f32_e32 v51, v51, v52
	v_add_f32_e32 v50, v50, v116
	v_mul_f32_e32 v52, v74, v90
	s_waitcnt vmcnt(5)
	v_fma_f32 v53, v71, v103, -v53
	v_fmac_f32_e32 v118, v72, v103
	v_add_f32_e32 v51, v51, v54
	v_add_f32_e32 v50, v50, v117
	s_waitcnt lgkmcnt(0)
	v_mul_f32_e32 v54, v76, v91
	s_waitcnt vmcnt(4)
	v_fma_f32 v52, v73, v104, -v52
	v_mul_f32_e32 v120, v75, v91
	v_add_f32_e32 v51, v51, v53
	v_fmac_f32_e32 v119, v74, v104
	v_add_f32_e32 v50, v50, v118
	v_mul_f32_e32 v53, v78, v92
	s_waitcnt vmcnt(3)
	v_fma_f32 v54, v75, v105, -v54
	v_add_f32_e32 v51, v51, v52
	v_mul_f32_e32 v121, v77, v92
	v_fmac_f32_e32 v120, v76, v105
	v_add_f32_e32 v50, v50, v119
	s_waitcnt vmcnt(2)
	v_fma_f32 v52, v77, v106, -v53
	v_add_f32_e32 v51, v51, v54
	v_fmac_f32_e32 v121, v78, v106
	v_add_f32_e32 v50, v50, v120
	v_add_f32_e32 v51, v51, v52
	v_add_f32_e32 v50, v50, v121
	s_waitcnt vmcnt(1)
	v_sub_f32_e32 v51, v107, v51
	s_waitcnt vmcnt(0)
	v_sub_f32_e32 v50, v108, v50
	buffer_store_dword v51, off, s[0:3], 0 offset:72
	buffer_store_dword v50, off, s[0:3], 0 offset:76
	v_cmpx_lt_u32_e32 8, v0
	s_cbranch_execz .LBB87_141
; %bb.140:
	s_clause 0x1
	buffer_load_dword v50, off, s[0:3], 0 offset:64
	buffer_load_dword v51, off, s[0:3], 0 offset:68
	v_mov_b32_e32 v52, 0
	buffer_store_dword v52, off, s[0:3], 0 offset:64
	buffer_store_dword v52, off, s[0:3], 0 offset:68
	s_waitcnt vmcnt(0)
	ds_write_b64 v49, v[50:51]
.LBB87_141:
	s_or_b32 exec_lo, exec_lo, s4
	s_waitcnt lgkmcnt(0)
	s_waitcnt_vscnt null, 0x0
	s_barrier
	buffer_gl0_inv
	s_clause 0x1f
	buffer_load_dword v81, off, s[0:3], 0 offset:76
	buffer_load_dword v82, off, s[0:3], 0 offset:84
	;; [unrolled: 1-line block ×32, first 2 shown]
	v_mov_b32_e32 v50, 0
	ds_read2_b64 v[51:54], v50 offset0:33 offset1:34
	ds_read2_b64 v[55:58], v50 offset0:35 offset1:36
	;; [unrolled: 1-line block ×7, first 2 shown]
	ds_read_b64 v[79:80], v50 offset:376
	s_mov_b32 s4, exec_lo
	s_waitcnt vmcnt(31) lgkmcnt(7)
	v_mul_f32_e32 v113, v51, v81
	v_mul_f32_e32 v81, v52, v81
	s_waitcnt vmcnt(30)
	v_mul_f32_e32 v114, v53, v82
	v_mul_f32_e32 v82, v54, v82
	s_waitcnt vmcnt(29) lgkmcnt(6)
	v_mul_f32_e32 v115, v55, v83
	s_waitcnt vmcnt(28)
	v_mul_f32_e32 v116, v57, v84
	s_waitcnt vmcnt(27) lgkmcnt(5)
	v_mul_f32_e32 v117, v59, v85
	s_waitcnt vmcnt(26)
	;; [unrolled: 4-line block ×6, first 2 shown]
	v_fma_f32 v51, v51, v96, -v81
	v_fmac_f32_e32 v113, v52, v96
	v_mul_f32_e32 v52, v56, v83
	s_waitcnt vmcnt(15)
	v_fma_f32 v53, v53, v97, -v82
	v_fmac_f32_e32 v114, v54, v97
	v_add_f32_e32 v51, 0, v51
	v_add_f32_e32 v54, 0, v113
	v_mul_f32_e32 v81, v58, v84
	s_waitcnt vmcnt(14)
	v_fma_f32 v52, v55, v98, -v52
	v_fmac_f32_e32 v115, v56, v98
	v_add_f32_e32 v51, v51, v53
	v_add_f32_e32 v53, v54, v114
	;; [unrolled: 6-line block ×11, first 2 shown]
	v_mul_f32_e32 v54, v78, v94
	s_waitcnt vmcnt(4)
	v_fma_f32 v55, v75, v108, -v55
	v_mul_f32_e32 v126, v77, v94
	v_add_f32_e32 v51, v51, v53
	v_fmac_f32_e32 v125, v76, v108
	v_add_f32_e32 v52, v52, v124
	s_waitcnt lgkmcnt(0)
	v_mul_f32_e32 v53, v80, v95
	s_waitcnt vmcnt(3)
	v_fma_f32 v54, v77, v109, -v54
	v_add_f32_e32 v51, v51, v55
	v_mul_f32_e32 v127, v79, v95
	v_fmac_f32_e32 v126, v78, v109
	v_add_f32_e32 v52, v52, v125
	s_waitcnt vmcnt(2)
	v_fma_f32 v53, v79, v110, -v53
	v_add_f32_e32 v51, v51, v54
	v_fmac_f32_e32 v127, v80, v110
	v_add_f32_e32 v52, v52, v126
	v_add_f32_e32 v51, v51, v53
	;; [unrolled: 1-line block ×3, first 2 shown]
	s_waitcnt vmcnt(1)
	v_sub_f32_e32 v51, v111, v51
	s_waitcnt vmcnt(0)
	v_sub_f32_e32 v52, v112, v52
	buffer_store_dword v51, off, s[0:3], 0 offset:64
	buffer_store_dword v52, off, s[0:3], 0 offset:68
	v_cmpx_lt_u32_e32 7, v0
	s_cbranch_execz .LBB87_143
; %bb.142:
	s_clause 0x1
	buffer_load_dword v51, off, s[0:3], 0 offset:56
	buffer_load_dword v52, off, s[0:3], 0 offset:60
	buffer_store_dword v50, off, s[0:3], 0 offset:56
	buffer_store_dword v50, off, s[0:3], 0 offset:60
	s_waitcnt vmcnt(0)
	ds_write_b64 v49, v[51:52]
.LBB87_143:
	s_or_b32 exec_lo, exec_lo, s4
	s_waitcnt lgkmcnt(0)
	s_waitcnt_vscnt null, 0x0
	s_barrier
	buffer_gl0_inv
	s_clause 0x21
	buffer_load_dword v83, off, s[0:3], 0 offset:68
	buffer_load_dword v84, off, s[0:3], 0 offset:76
	;; [unrolled: 1-line block ×34, first 2 shown]
	ds_read_b128 v[51:54], v50 offset:256
	ds_read_b128 v[55:58], v50 offset:272
	ds_read_b128 v[59:62], v50 offset:288
	ds_read_b128 v[63:66], v50 offset:304
	ds_read_b128 v[67:70], v50 offset:320
	ds_read_b128 v[71:74], v50 offset:336
	ds_read_b128 v[75:78], v50 offset:352
	ds_read_b128 v[79:82], v50 offset:368
	s_mov_b32 s4, exec_lo
	s_waitcnt vmcnt(33) lgkmcnt(7)
	v_mul_f32_e32 v50, v51, v83
	v_mul_f32_e32 v83, v52, v83
	s_waitcnt vmcnt(32)
	v_mul_f32_e32 v117, v53, v84
	v_mul_f32_e32 v84, v54, v84
	s_waitcnt vmcnt(31) lgkmcnt(6)
	v_mul_f32_e32 v118, v55, v85
	s_waitcnt vmcnt(30)
	v_mul_f32_e32 v119, v57, v86
	s_waitcnt vmcnt(29) lgkmcnt(5)
	v_mul_f32_e32 v120, v59, v87
	s_waitcnt vmcnt(28)
	;; [unrolled: 4-line block ×6, first 2 shown]
	v_mul_f32_e32 v129, v77, v96
	s_waitcnt vmcnt(17)
	v_fma_f32 v51, v51, v99, -v83
	v_fmac_f32_e32 v50, v52, v99
	v_mul_f32_e32 v52, v56, v85
	s_waitcnt vmcnt(16)
	v_fma_f32 v53, v53, v100, -v84
	v_fmac_f32_e32 v117, v54, v100
	v_add_f32_e32 v51, 0, v51
	v_add_f32_e32 v50, 0, v50
	v_mul_f32_e32 v54, v58, v86
	s_waitcnt vmcnt(15)
	v_fma_f32 v52, v55, v101, -v52
	v_fmac_f32_e32 v118, v56, v101
	v_add_f32_e32 v51, v51, v53
	v_add_f32_e32 v50, v50, v117
	;; [unrolled: 6-line block ×12, first 2 shown]
	s_waitcnt lgkmcnt(0)
	v_mul_f32_e32 v52, v80, v97
	s_waitcnt vmcnt(4)
	v_fma_f32 v53, v77, v112, -v53
	v_mul_f32_e32 v130, v79, v97
	v_add_f32_e32 v51, v51, v54
	v_fmac_f32_e32 v129, v78, v112
	v_add_f32_e32 v50, v50, v128
	v_mul_f32_e32 v54, v82, v98
	s_waitcnt vmcnt(3)
	v_fma_f32 v52, v79, v113, -v52
	v_add_f32_e32 v51, v51, v53
	v_mul_f32_e32 v131, v81, v98
	v_fmac_f32_e32 v130, v80, v113
	v_add_f32_e32 v50, v50, v129
	s_waitcnt vmcnt(2)
	v_fma_f32 v53, v81, v114, -v54
	v_add_f32_e32 v51, v51, v52
	v_fmac_f32_e32 v131, v82, v114
	v_add_f32_e32 v50, v50, v130
	v_add_f32_e32 v51, v51, v53
	;; [unrolled: 1-line block ×3, first 2 shown]
	s_waitcnt vmcnt(1)
	v_sub_f32_e32 v51, v115, v51
	s_waitcnt vmcnt(0)
	v_sub_f32_e32 v50, v116, v50
	buffer_store_dword v51, off, s[0:3], 0 offset:56
	buffer_store_dword v50, off, s[0:3], 0 offset:60
	v_cmpx_lt_u32_e32 6, v0
	s_cbranch_execz .LBB87_145
; %bb.144:
	s_clause 0x1
	buffer_load_dword v50, off, s[0:3], 0 offset:48
	buffer_load_dword v51, off, s[0:3], 0 offset:52
	v_mov_b32_e32 v52, 0
	buffer_store_dword v52, off, s[0:3], 0 offset:48
	buffer_store_dword v52, off, s[0:3], 0 offset:52
	s_waitcnt vmcnt(0)
	ds_write_b64 v49, v[50:51]
.LBB87_145:
	s_or_b32 exec_lo, exec_lo, s4
	s_waitcnt lgkmcnt(0)
	s_waitcnt_vscnt null, 0x0
	s_barrier
	buffer_gl0_inv
	s_clause 0x23
	buffer_load_dword v85, off, s[0:3], 0 offset:60
	buffer_load_dword v86, off, s[0:3], 0 offset:68
	;; [unrolled: 1-line block ×36, first 2 shown]
	v_mov_b32_e32 v50, 0
	ds_read2_b64 v[51:54], v50 offset0:31 offset1:32
	ds_read2_b64 v[55:58], v50 offset0:33 offset1:34
	;; [unrolled: 1-line block ×8, first 2 shown]
	ds_read_b64 v[83:84], v50 offset:376
	s_mov_b32 s4, exec_lo
	s_waitcnt vmcnt(35) lgkmcnt(8)
	v_mul_f32_e32 v121, v51, v85
	v_mul_f32_e32 v85, v52, v85
	s_waitcnt vmcnt(34)
	v_mul_f32_e32 v122, v53, v86
	v_mul_f32_e32 v86, v54, v86
	s_waitcnt vmcnt(33) lgkmcnt(7)
	v_mul_f32_e32 v123, v55, v87
	s_waitcnt vmcnt(32)
	v_mul_f32_e32 v124, v57, v88
	s_waitcnt vmcnt(31) lgkmcnt(6)
	v_mul_f32_e32 v125, v59, v89
	s_waitcnt vmcnt(30)
	;; [unrolled: 4-line block ×7, first 2 shown]
	v_fma_f32 v51, v51, v102, -v85
	v_fmac_f32_e32 v121, v52, v102
	v_mul_f32_e32 v52, v56, v87
	s_waitcnt vmcnt(17)
	v_fma_f32 v53, v53, v103, -v86
	v_fmac_f32_e32 v122, v54, v103
	v_add_f32_e32 v51, 0, v51
	v_add_f32_e32 v54, 0, v121
	v_mul_f32_e32 v85, v58, v88
	s_waitcnt vmcnt(16)
	v_fma_f32 v52, v55, v104, -v52
	v_fmac_f32_e32 v123, v56, v104
	v_add_f32_e32 v51, v51, v53
	v_add_f32_e32 v53, v54, v122
	;; [unrolled: 6-line block ×13, first 2 shown]
	v_mul_f32_e32 v55, v82, v100
	s_waitcnt vmcnt(4)
	v_fma_f32 v53, v79, v116, -v53
	v_mul_f32_e32 v136, v81, v100
	v_add_f32_e32 v51, v51, v54
	v_fmac_f32_e32 v135, v80, v116
	v_add_f32_e32 v52, v52, v134
	s_waitcnt lgkmcnt(0)
	v_mul_f32_e32 v54, v84, v101
	s_waitcnt vmcnt(3)
	v_fma_f32 v55, v81, v117, -v55
	v_add_f32_e32 v51, v51, v53
	v_mul_f32_e32 v137, v83, v101
	v_fmac_f32_e32 v136, v82, v117
	v_add_f32_e32 v52, v52, v135
	s_waitcnt vmcnt(2)
	v_fma_f32 v53, v83, v118, -v54
	v_add_f32_e32 v51, v51, v55
	v_fmac_f32_e32 v137, v84, v118
	v_add_f32_e32 v52, v52, v136
	v_add_f32_e32 v51, v51, v53
	;; [unrolled: 1-line block ×3, first 2 shown]
	s_waitcnt vmcnt(1)
	v_sub_f32_e32 v51, v119, v51
	s_waitcnt vmcnt(0)
	v_sub_f32_e32 v52, v120, v52
	buffer_store_dword v51, off, s[0:3], 0 offset:48
	buffer_store_dword v52, off, s[0:3], 0 offset:52
	v_cmpx_lt_u32_e32 5, v0
	s_cbranch_execz .LBB87_147
; %bb.146:
	s_clause 0x1
	buffer_load_dword v51, off, s[0:3], 0 offset:40
	buffer_load_dword v52, off, s[0:3], 0 offset:44
	buffer_store_dword v50, off, s[0:3], 0 offset:40
	buffer_store_dword v50, off, s[0:3], 0 offset:44
	s_waitcnt vmcnt(0)
	ds_write_b64 v49, v[51:52]
.LBB87_147:
	s_or_b32 exec_lo, exec_lo, s4
	s_waitcnt lgkmcnt(0)
	s_waitcnt_vscnt null, 0x0
	s_barrier
	buffer_gl0_inv
	s_clause 0x25
	buffer_load_dword v87, off, s[0:3], 0 offset:52
	buffer_load_dword v88, off, s[0:3], 0 offset:60
	;; [unrolled: 1-line block ×38, first 2 shown]
	ds_read_b128 v[51:54], v50 offset:240
	ds_read_b128 v[55:58], v50 offset:256
	;; [unrolled: 1-line block ×9, first 2 shown]
	s_mov_b32 s4, exec_lo
	s_waitcnt vmcnt(37) lgkmcnt(8)
	v_mul_f32_e32 v50, v51, v87
	v_mul_f32_e32 v87, v52, v87
	s_waitcnt vmcnt(36)
	v_mul_f32_e32 v125, v53, v88
	v_mul_f32_e32 v88, v54, v88
	s_waitcnt vmcnt(35) lgkmcnt(7)
	v_mul_f32_e32 v126, v55, v89
	s_waitcnt vmcnt(34)
	v_mul_f32_e32 v127, v57, v90
	s_waitcnt vmcnt(33) lgkmcnt(6)
	v_mul_f32_e32 v128, v59, v91
	s_waitcnt vmcnt(32)
	;; [unrolled: 4-line block ×7, first 2 shown]
	v_mul_f32_e32 v139, v81, v102
	s_waitcnt vmcnt(19)
	v_fma_f32 v51, v51, v105, -v87
	v_fmac_f32_e32 v50, v52, v105
	v_mul_f32_e32 v52, v56, v89
	s_waitcnt vmcnt(18)
	v_fma_f32 v53, v53, v106, -v88
	v_fmac_f32_e32 v125, v54, v106
	v_add_f32_e32 v51, 0, v51
	v_add_f32_e32 v50, 0, v50
	v_mul_f32_e32 v54, v58, v90
	s_waitcnt vmcnt(17)
	v_fma_f32 v52, v55, v107, -v52
	v_fmac_f32_e32 v126, v56, v107
	v_add_f32_e32 v51, v51, v53
	v_add_f32_e32 v50, v50, v125
	;; [unrolled: 6-line block ×14, first 2 shown]
	s_waitcnt lgkmcnt(0)
	v_mul_f32_e32 v53, v84, v103
	s_waitcnt vmcnt(4)
	v_fma_f32 v54, v81, v120, -v54
	v_mul_f32_e32 v140, v83, v103
	v_add_f32_e32 v51, v51, v52
	v_fmac_f32_e32 v139, v82, v120
	v_add_f32_e32 v50, v50, v138
	v_mul_f32_e32 v52, v86, v104
	s_waitcnt vmcnt(3)
	v_fma_f32 v53, v83, v121, -v53
	v_add_f32_e32 v51, v51, v54
	v_mul_f32_e32 v141, v85, v104
	v_fmac_f32_e32 v140, v84, v121
	v_add_f32_e32 v50, v50, v139
	s_waitcnt vmcnt(2)
	v_fma_f32 v52, v85, v122, -v52
	v_add_f32_e32 v51, v51, v53
	v_fmac_f32_e32 v141, v86, v122
	v_add_f32_e32 v50, v50, v140
	v_add_f32_e32 v51, v51, v52
	;; [unrolled: 1-line block ×3, first 2 shown]
	s_waitcnt vmcnt(1)
	v_sub_f32_e32 v51, v123, v51
	s_waitcnt vmcnt(0)
	v_sub_f32_e32 v50, v124, v50
	buffer_store_dword v51, off, s[0:3], 0 offset:40
	buffer_store_dword v50, off, s[0:3], 0 offset:44
	v_cmpx_lt_u32_e32 4, v0
	s_cbranch_execz .LBB87_149
; %bb.148:
	s_clause 0x1
	buffer_load_dword v50, off, s[0:3], 0 offset:32
	buffer_load_dword v51, off, s[0:3], 0 offset:36
	v_mov_b32_e32 v52, 0
	buffer_store_dword v52, off, s[0:3], 0 offset:32
	buffer_store_dword v52, off, s[0:3], 0 offset:36
	s_waitcnt vmcnt(0)
	ds_write_b64 v49, v[50:51]
.LBB87_149:
	s_or_b32 exec_lo, exec_lo, s4
	s_waitcnt lgkmcnt(0)
	s_waitcnt_vscnt null, 0x0
	s_barrier
	buffer_gl0_inv
	s_clause 0x27
	buffer_load_dword v89, off, s[0:3], 0 offset:44
	buffer_load_dword v90, off, s[0:3], 0 offset:52
	;; [unrolled: 1-line block ×40, first 2 shown]
	v_mov_b32_e32 v50, 0
	ds_read2_b64 v[51:54], v50 offset0:29 offset1:30
	ds_read2_b64 v[55:58], v50 offset0:31 offset1:32
	;; [unrolled: 1-line block ×9, first 2 shown]
	ds_read_b64 v[87:88], v50 offset:376
	s_mov_b32 s4, exec_lo
	s_waitcnt vmcnt(39) lgkmcnt(9)
	v_mul_f32_e32 v129, v51, v89
	v_mul_f32_e32 v89, v52, v89
	s_waitcnt vmcnt(38)
	v_mul_f32_e32 v130, v53, v90
	v_mul_f32_e32 v90, v54, v90
	s_waitcnt vmcnt(37) lgkmcnt(8)
	v_mul_f32_e32 v131, v55, v91
	s_waitcnt vmcnt(36)
	v_mul_f32_e32 v132, v57, v92
	s_waitcnt vmcnt(35) lgkmcnt(7)
	v_mul_f32_e32 v133, v59, v93
	s_waitcnt vmcnt(34)
	;; [unrolled: 4-line block ×8, first 2 shown]
	v_fma_f32 v51, v51, v108, -v89
	v_fmac_f32_e32 v129, v52, v108
	v_mul_f32_e32 v52, v56, v91
	s_waitcnt vmcnt(19)
	v_fma_f32 v53, v53, v109, -v90
	v_fmac_f32_e32 v130, v54, v109
	v_add_f32_e32 v51, 0, v51
	v_add_f32_e32 v54, 0, v129
	v_mul_f32_e32 v89, v58, v92
	s_waitcnt vmcnt(18)
	v_fma_f32 v52, v55, v110, -v52
	v_fmac_f32_e32 v131, v56, v110
	v_add_f32_e32 v51, v51, v53
	v_add_f32_e32 v53, v54, v130
	;; [unrolled: 6-line block ×15, first 2 shown]
	v_mul_f32_e32 v53, v86, v106
	s_waitcnt vmcnt(4)
	v_fma_f32 v54, v83, v124, -v54
	v_mul_f32_e32 v146, v85, v106
	v_add_f32_e32 v51, v51, v55
	v_fmac_f32_e32 v145, v84, v124
	v_add_f32_e32 v52, v52, v144
	s_waitcnt lgkmcnt(0)
	v_mul_f32_e32 v55, v88, v107
	s_waitcnt vmcnt(3)
	v_fma_f32 v53, v85, v125, -v53
	v_add_f32_e32 v51, v51, v54
	v_mul_f32_e32 v147, v87, v107
	v_fmac_f32_e32 v146, v86, v125
	v_add_f32_e32 v52, v52, v145
	s_waitcnt vmcnt(2)
	v_fma_f32 v54, v87, v126, -v55
	v_add_f32_e32 v51, v51, v53
	v_fmac_f32_e32 v147, v88, v126
	v_add_f32_e32 v52, v52, v146
	v_add_f32_e32 v51, v51, v54
	;; [unrolled: 1-line block ×3, first 2 shown]
	s_waitcnt vmcnt(1)
	v_sub_f32_e32 v51, v127, v51
	s_waitcnt vmcnt(0)
	v_sub_f32_e32 v52, v128, v52
	buffer_store_dword v51, off, s[0:3], 0 offset:32
	buffer_store_dword v52, off, s[0:3], 0 offset:36
	v_cmpx_lt_u32_e32 3, v0
	s_cbranch_execz .LBB87_151
; %bb.150:
	s_clause 0x1
	buffer_load_dword v51, off, s[0:3], 0 offset:24
	buffer_load_dword v52, off, s[0:3], 0 offset:28
	buffer_store_dword v50, off, s[0:3], 0 offset:24
	buffer_store_dword v50, off, s[0:3], 0 offset:28
	s_waitcnt vmcnt(0)
	ds_write_b64 v49, v[51:52]
.LBB87_151:
	s_or_b32 exec_lo, exec_lo, s4
	s_waitcnt lgkmcnt(0)
	s_waitcnt_vscnt null, 0x0
	s_barrier
	buffer_gl0_inv
	s_clause 0x29
	buffer_load_dword v91, off, s[0:3], 0 offset:36
	buffer_load_dword v92, off, s[0:3], 0 offset:44
	;; [unrolled: 1-line block ×42, first 2 shown]
	ds_read_b128 v[51:54], v50 offset:224
	ds_read_b128 v[55:58], v50 offset:240
	;; [unrolled: 1-line block ×10, first 2 shown]
	s_mov_b32 s4, exec_lo
	s_waitcnt vmcnt(41) lgkmcnt(9)
	v_mul_f32_e32 v50, v51, v91
	v_mul_f32_e32 v91, v52, v91
	s_waitcnt vmcnt(40)
	v_mul_f32_e32 v133, v53, v92
	v_mul_f32_e32 v92, v54, v92
	s_waitcnt vmcnt(39) lgkmcnt(8)
	v_mul_f32_e32 v134, v55, v93
	s_waitcnt vmcnt(38)
	v_mul_f32_e32 v135, v57, v94
	s_waitcnt vmcnt(37) lgkmcnt(7)
	v_mul_f32_e32 v136, v59, v95
	s_waitcnt vmcnt(36)
	;; [unrolled: 4-line block ×8, first 2 shown]
	v_mul_f32_e32 v149, v85, v108
	s_waitcnt vmcnt(21)
	v_fma_f32 v51, v51, v111, -v91
	v_fmac_f32_e32 v50, v52, v111
	v_mul_f32_e32 v52, v56, v93
	s_waitcnt vmcnt(20)
	v_fma_f32 v53, v53, v112, -v92
	v_fmac_f32_e32 v133, v54, v112
	v_add_f32_e32 v51, 0, v51
	v_add_f32_e32 v50, 0, v50
	v_mul_f32_e32 v54, v58, v94
	s_waitcnt vmcnt(19)
	v_fma_f32 v52, v55, v113, -v52
	v_fmac_f32_e32 v134, v56, v113
	v_add_f32_e32 v51, v51, v53
	v_add_f32_e32 v50, v50, v133
	;; [unrolled: 6-line block ×16, first 2 shown]
	s_waitcnt lgkmcnt(0)
	v_mul_f32_e32 v54, v88, v109
	s_waitcnt vmcnt(4)
	v_fma_f32 v52, v85, v128, -v52
	v_mul_f32_e32 v150, v87, v109
	v_add_f32_e32 v51, v51, v53
	v_fmac_f32_e32 v149, v86, v128
	v_add_f32_e32 v50, v50, v148
	v_mul_f32_e32 v53, v90, v110
	s_waitcnt vmcnt(3)
	v_fma_f32 v54, v87, v129, -v54
	v_add_f32_e32 v51, v51, v52
	v_mul_f32_e32 v151, v89, v110
	v_fmac_f32_e32 v150, v88, v129
	v_add_f32_e32 v50, v50, v149
	s_waitcnt vmcnt(2)
	v_fma_f32 v52, v89, v130, -v53
	v_add_f32_e32 v51, v51, v54
	v_fmac_f32_e32 v151, v90, v130
	v_add_f32_e32 v50, v50, v150
	v_add_f32_e32 v51, v51, v52
	;; [unrolled: 1-line block ×3, first 2 shown]
	s_waitcnt vmcnt(1)
	v_sub_f32_e32 v51, v131, v51
	s_waitcnt vmcnt(0)
	v_sub_f32_e32 v50, v132, v50
	buffer_store_dword v51, off, s[0:3], 0 offset:24
	buffer_store_dword v50, off, s[0:3], 0 offset:28
	v_cmpx_lt_u32_e32 2, v0
	s_cbranch_execz .LBB87_153
; %bb.152:
	s_clause 0x1
	buffer_load_dword v50, off, s[0:3], 0 offset:16
	buffer_load_dword v51, off, s[0:3], 0 offset:20
	v_mov_b32_e32 v52, 0
	buffer_store_dword v52, off, s[0:3], 0 offset:16
	buffer_store_dword v52, off, s[0:3], 0 offset:20
	s_waitcnt vmcnt(0)
	ds_write_b64 v49, v[50:51]
.LBB87_153:
	s_or_b32 exec_lo, exec_lo, s4
	s_waitcnt lgkmcnt(0)
	s_waitcnt_vscnt null, 0x0
	s_barrier
	buffer_gl0_inv
	s_clause 0x2b
	buffer_load_dword v93, off, s[0:3], 0 offset:28
	buffer_load_dword v94, off, s[0:3], 0 offset:36
	;; [unrolled: 1-line block ×44, first 2 shown]
	v_mov_b32_e32 v50, 0
	ds_read2_b64 v[51:54], v50 offset0:27 offset1:28
	ds_read2_b64 v[55:58], v50 offset0:29 offset1:30
	;; [unrolled: 1-line block ×10, first 2 shown]
	ds_read_b64 v[91:92], v50 offset:376
	s_mov_b32 s4, exec_lo
	s_waitcnt vmcnt(43) lgkmcnt(10)
	v_mul_f32_e32 v137, v51, v93
	v_mul_f32_e32 v93, v52, v93
	s_waitcnt vmcnt(42)
	v_mul_f32_e32 v138, v53, v94
	v_mul_f32_e32 v94, v54, v94
	s_waitcnt vmcnt(41) lgkmcnt(9)
	v_mul_f32_e32 v139, v55, v95
	s_waitcnt vmcnt(40)
	v_mul_f32_e32 v140, v57, v96
	s_waitcnt vmcnt(39) lgkmcnt(8)
	v_mul_f32_e32 v141, v59, v97
	s_waitcnt vmcnt(38)
	;; [unrolled: 4-line block ×9, first 2 shown]
	v_fma_f32 v51, v51, v114, -v93
	v_fmac_f32_e32 v137, v52, v114
	v_mul_f32_e32 v52, v56, v95
	s_waitcnt vmcnt(21)
	v_fma_f32 v53, v53, v115, -v94
	v_fmac_f32_e32 v138, v54, v115
	v_add_f32_e32 v51, 0, v51
	v_add_f32_e32 v54, 0, v137
	v_mul_f32_e32 v93, v58, v96
	s_waitcnt vmcnt(20)
	v_fma_f32 v52, v55, v116, -v52
	v_fmac_f32_e32 v139, v56, v116
	v_add_f32_e32 v51, v51, v53
	v_add_f32_e32 v53, v54, v138
	;; [unrolled: 6-line block ×17, first 2 shown]
	v_mul_f32_e32 v54, v90, v112
	s_waitcnt vmcnt(4)
	v_fma_f32 v55, v87, v132, -v55
	v_mul_f32_e32 v156, v89, v112
	v_add_f32_e32 v51, v51, v53
	v_fmac_f32_e32 v155, v88, v132
	v_add_f32_e32 v52, v52, v154
	s_waitcnt lgkmcnt(0)
	v_mul_f32_e32 v53, v92, v113
	s_waitcnt vmcnt(3)
	v_fma_f32 v54, v89, v133, -v54
	v_add_f32_e32 v51, v51, v55
	v_mul_f32_e32 v157, v91, v113
	v_fmac_f32_e32 v156, v90, v133
	v_add_f32_e32 v52, v52, v155
	s_waitcnt vmcnt(2)
	v_fma_f32 v53, v91, v134, -v53
	v_add_f32_e32 v51, v51, v54
	v_fmac_f32_e32 v157, v92, v134
	v_add_f32_e32 v52, v52, v156
	v_add_f32_e32 v51, v51, v53
	;; [unrolled: 1-line block ×3, first 2 shown]
	s_waitcnt vmcnt(1)
	v_sub_f32_e32 v51, v135, v51
	s_waitcnt vmcnt(0)
	v_sub_f32_e32 v52, v136, v52
	buffer_store_dword v51, off, s[0:3], 0 offset:16
	buffer_store_dword v52, off, s[0:3], 0 offset:20
	v_cmpx_lt_u32_e32 1, v0
	s_cbranch_execz .LBB87_155
; %bb.154:
	s_clause 0x1
	buffer_load_dword v51, off, s[0:3], 0 offset:8
	buffer_load_dword v52, off, s[0:3], 0 offset:12
	buffer_store_dword v50, off, s[0:3], 0 offset:8
	buffer_store_dword v50, off, s[0:3], 0 offset:12
	s_waitcnt vmcnt(0)
	ds_write_b64 v49, v[51:52]
.LBB87_155:
	s_or_b32 exec_lo, exec_lo, s4
	s_waitcnt lgkmcnt(0)
	s_waitcnt_vscnt null, 0x0
	s_barrier
	buffer_gl0_inv
	s_clause 0x2d
	buffer_load_dword v95, off, s[0:3], 0 offset:20
	buffer_load_dword v96, off, s[0:3], 0 offset:28
	;; [unrolled: 1-line block ×46, first 2 shown]
	ds_read_b128 v[51:54], v50 offset:208
	ds_read_b128 v[55:58], v50 offset:224
	;; [unrolled: 1-line block ×11, first 2 shown]
	s_mov_b32 s4, exec_lo
	s_waitcnt vmcnt(45) lgkmcnt(10)
	v_mul_f32_e32 v50, v51, v95
	v_mul_f32_e32 v95, v52, v95
	s_waitcnt vmcnt(44)
	v_mul_f32_e32 v141, v53, v96
	v_mul_f32_e32 v96, v54, v96
	s_waitcnt vmcnt(43) lgkmcnt(9)
	v_mul_f32_e32 v142, v55, v97
	s_waitcnt vmcnt(42)
	v_mul_f32_e32 v143, v57, v98
	s_waitcnt vmcnt(41) lgkmcnt(8)
	v_mul_f32_e32 v144, v59, v99
	s_waitcnt vmcnt(40)
	;; [unrolled: 4-line block ×9, first 2 shown]
	v_mul_f32_e32 v159, v89, v114
	s_waitcnt vmcnt(23)
	v_fma_f32 v51, v51, v117, -v95
	v_fmac_f32_e32 v50, v52, v117
	v_mul_f32_e32 v52, v56, v97
	s_waitcnt vmcnt(22)
	v_fma_f32 v53, v53, v118, -v96
	v_fmac_f32_e32 v141, v54, v118
	v_add_f32_e32 v51, 0, v51
	v_add_f32_e32 v50, 0, v50
	v_mul_f32_e32 v54, v58, v98
	s_waitcnt vmcnt(21)
	v_fma_f32 v52, v55, v119, -v52
	v_fmac_f32_e32 v142, v56, v119
	v_add_f32_e32 v51, v51, v53
	v_add_f32_e32 v50, v50, v141
	;; [unrolled: 6-line block ×18, first 2 shown]
	s_waitcnt lgkmcnt(0)
	v_mul_f32_e32 v52, v92, v115
	s_waitcnt vmcnt(4)
	v_fma_f32 v53, v89, v136, -v53
	v_mul_f32_e32 v160, v91, v115
	v_add_f32_e32 v51, v51, v54
	v_fmac_f32_e32 v159, v90, v136
	v_add_f32_e32 v50, v50, v158
	v_mul_f32_e32 v54, v94, v116
	s_waitcnt vmcnt(3)
	v_fma_f32 v52, v91, v137, -v52
	v_add_f32_e32 v51, v51, v53
	v_mul_f32_e32 v161, v93, v116
	v_fmac_f32_e32 v160, v92, v137
	v_add_f32_e32 v50, v50, v159
	s_waitcnt vmcnt(2)
	v_fma_f32 v53, v93, v138, -v54
	v_add_f32_e32 v51, v51, v52
	v_fmac_f32_e32 v161, v94, v138
	v_add_f32_e32 v50, v50, v160
	v_add_f32_e32 v51, v51, v53
	v_add_f32_e32 v50, v50, v161
	s_waitcnt vmcnt(1)
	v_sub_f32_e32 v51, v139, v51
	s_waitcnt vmcnt(0)
	v_sub_f32_e32 v50, v140, v50
	buffer_store_dword v51, off, s[0:3], 0 offset:8
	buffer_store_dword v50, off, s[0:3], 0 offset:12
	v_cmpx_ne_u32_e32 0, v0
	s_cbranch_execz .LBB87_157
; %bb.156:
	s_clause 0x1
	buffer_load_dword v50, off, s[0:3], 0
	buffer_load_dword v51, off, s[0:3], 0 offset:4
	v_mov_b32_e32 v0, 0
	buffer_store_dword v0, off, s[0:3], 0
	buffer_store_dword v0, off, s[0:3], 0 offset:4
	s_waitcnt vmcnt(0)
	ds_write_b64 v49, v[50:51]
.LBB87_157:
	s_or_b32 exec_lo, exec_lo, s4
	s_waitcnt lgkmcnt(0)
	s_waitcnt_vscnt null, 0x0
	s_barrier
	buffer_gl0_inv
	s_clause 0x2f
	buffer_load_dword v95, off, s[0:3], 0 offset:12
	buffer_load_dword v96, off, s[0:3], 0 offset:20
	;; [unrolled: 1-line block ×46, first 2 shown]
	buffer_load_dword v141, off, s[0:3], 0
	buffer_load_dword v142, off, s[0:3], 0 offset:4
	v_mov_b32_e32 v0, 0
	ds_read2_b64 v[49:52], v0 offset0:25 offset1:26
	ds_read2_b64 v[53:56], v0 offset0:27 offset1:28
	;; [unrolled: 1-line block ×11, first 2 shown]
	ds_read_b64 v[93:94], v0 offset:376
	s_and_b32 vcc_lo, exec_lo, s16
	s_waitcnt vmcnt(47) lgkmcnt(11)
	v_mul_f32_e32 v143, v49, v95
	v_mul_f32_e32 v95, v50, v95
	s_waitcnt vmcnt(46)
	v_mul_f32_e32 v144, v51, v96
	v_mul_f32_e32 v96, v52, v96
	s_waitcnt vmcnt(45) lgkmcnt(10)
	v_mul_f32_e32 v145, v53, v97
	s_waitcnt vmcnt(44)
	v_mul_f32_e32 v146, v55, v98
	s_waitcnt vmcnt(43) lgkmcnt(9)
	v_mul_f32_e32 v147, v57, v99
	s_waitcnt vmcnt(42)
	;; [unrolled: 4-line block ×10, first 2 shown]
	v_fma_f32 v49, v49, v118, -v95
	v_fmac_f32_e32 v143, v50, v118
	v_mul_f32_e32 v50, v54, v97
	s_waitcnt vmcnt(23)
	v_fma_f32 v51, v51, v119, -v96
	v_fmac_f32_e32 v144, v52, v119
	v_add_f32_e32 v49, 0, v49
	v_add_f32_e32 v52, 0, v143
	v_mul_f32_e32 v95, v56, v98
	s_waitcnt vmcnt(22)
	v_fma_f32 v50, v53, v120, -v50
	v_fmac_f32_e32 v145, v54, v120
	v_add_f32_e32 v49, v49, v51
	v_add_f32_e32 v51, v52, v144
	;; [unrolled: 6-line block ×19, first 2 shown]
	v_mul_f32_e32 v53, v92, v116
	s_waitcnt vmcnt(4)
	v_fma_f32 v51, v89, v138, -v51
	v_mul_f32_e32 v164, v91, v116
	v_add_f32_e32 v49, v49, v52
	v_fmac_f32_e32 v163, v90, v138
	v_add_f32_e32 v50, v50, v162
	s_waitcnt lgkmcnt(0)
	v_mul_f32_e32 v52, v94, v117
	s_waitcnt vmcnt(3)
	v_fma_f32 v53, v91, v139, -v53
	v_add_f32_e32 v49, v49, v51
	v_mul_f32_e32 v165, v93, v117
	v_fmac_f32_e32 v164, v92, v139
	v_add_f32_e32 v50, v50, v163
	s_waitcnt vmcnt(2)
	v_fma_f32 v51, v93, v140, -v52
	v_add_f32_e32 v49, v49, v53
	v_fmac_f32_e32 v165, v94, v140
	v_add_f32_e32 v50, v50, v164
	v_add_f32_e32 v49, v49, v51
	;; [unrolled: 1-line block ×3, first 2 shown]
	s_waitcnt vmcnt(1)
	v_sub_f32_e32 v49, v141, v49
	s_waitcnt vmcnt(0)
	v_sub_f32_e32 v50, v142, v50
	buffer_store_dword v49, off, s[0:3], 0
	buffer_store_dword v50, off, s[0:3], 0 offset:4
	s_cbranch_vccz .LBB87_204
; %bb.158:
	global_load_dword v0, v0, s[12:13] offset:88
	s_waitcnt vmcnt(0)
	v_add_nc_u32_e32 v0, -1, v0
	v_cmp_ne_u32_e32 vcc_lo, 22, v0
	s_cbranch_vccz .LBB87_160
; %bb.159:
	v_lshlrev_b32_e32 v0, 3, v0
	s_clause 0x3
	buffer_load_dword v49, v0, s[0:3], 0 offen
	buffer_load_dword v50, v0, s[0:3], 0 offen offset:4
	buffer_load_dword v51, off, s[0:3], 0 offset:180
	buffer_load_dword v52, off, s[0:3], 0 offset:176
	s_waitcnt vmcnt(3)
	buffer_store_dword v49, off, s[0:3], 0 offset:176
	s_waitcnt vmcnt(2)
	buffer_store_dword v50, off, s[0:3], 0 offset:180
	s_waitcnt vmcnt(1)
	buffer_store_dword v51, v0, s[0:3], 0 offen offset:4
	s_waitcnt vmcnt(0)
	buffer_store_dword v52, v0, s[0:3], 0 offen
.LBB87_160:
	v_mov_b32_e32 v0, 0
	global_load_dword v49, v0, s[12:13] offset:84
	s_waitcnt vmcnt(0)
	v_add_nc_u32_e32 v49, -1, v49
	v_cmp_eq_u32_e32 vcc_lo, 21, v49
	s_cbranch_vccnz .LBB87_162
; %bb.161:
	v_lshlrev_b32_e32 v49, 3, v49
	s_clause 0x3
	buffer_load_dword v50, v49, s[0:3], 0 offen
	buffer_load_dword v51, v49, s[0:3], 0 offen offset:4
	buffer_load_dword v52, off, s[0:3], 0 offset:168
	buffer_load_dword v53, off, s[0:3], 0 offset:172
	s_waitcnt vmcnt(3)
	buffer_store_dword v50, off, s[0:3], 0 offset:168
	s_waitcnt vmcnt(2)
	buffer_store_dword v51, off, s[0:3], 0 offset:172
	s_waitcnt vmcnt(1)
	buffer_store_dword v52, v49, s[0:3], 0 offen
	s_waitcnt vmcnt(0)
	buffer_store_dword v53, v49, s[0:3], 0 offen offset:4
.LBB87_162:
	global_load_dword v0, v0, s[12:13] offset:80
	s_waitcnt vmcnt(0)
	v_add_nc_u32_e32 v0, -1, v0
	v_cmp_eq_u32_e32 vcc_lo, 20, v0
	s_cbranch_vccnz .LBB87_164
; %bb.163:
	v_lshlrev_b32_e32 v0, 3, v0
	s_clause 0x3
	buffer_load_dword v49, v0, s[0:3], 0 offen
	buffer_load_dword v50, v0, s[0:3], 0 offen offset:4
	buffer_load_dword v51, off, s[0:3], 0 offset:164
	buffer_load_dword v52, off, s[0:3], 0 offset:160
	s_waitcnt vmcnt(3)
	buffer_store_dword v49, off, s[0:3], 0 offset:160
	s_waitcnt vmcnt(2)
	buffer_store_dword v50, off, s[0:3], 0 offset:164
	s_waitcnt vmcnt(1)
	buffer_store_dword v51, v0, s[0:3], 0 offen offset:4
	s_waitcnt vmcnt(0)
	buffer_store_dword v52, v0, s[0:3], 0 offen
.LBB87_164:
	v_mov_b32_e32 v0, 0
	global_load_dword v49, v0, s[12:13] offset:76
	s_waitcnt vmcnt(0)
	v_add_nc_u32_e32 v49, -1, v49
	v_cmp_eq_u32_e32 vcc_lo, 19, v49
	s_cbranch_vccnz .LBB87_166
; %bb.165:
	v_lshlrev_b32_e32 v49, 3, v49
	s_clause 0x3
	buffer_load_dword v50, v49, s[0:3], 0 offen
	buffer_load_dword v51, v49, s[0:3], 0 offen offset:4
	buffer_load_dword v52, off, s[0:3], 0 offset:152
	buffer_load_dword v53, off, s[0:3], 0 offset:156
	s_waitcnt vmcnt(3)
	buffer_store_dword v50, off, s[0:3], 0 offset:152
	s_waitcnt vmcnt(2)
	buffer_store_dword v51, off, s[0:3], 0 offset:156
	s_waitcnt vmcnt(1)
	buffer_store_dword v52, v49, s[0:3], 0 offen
	s_waitcnt vmcnt(0)
	buffer_store_dword v53, v49, s[0:3], 0 offen offset:4
.LBB87_166:
	global_load_dword v0, v0, s[12:13] offset:72
	s_waitcnt vmcnt(0)
	v_add_nc_u32_e32 v0, -1, v0
	v_cmp_eq_u32_e32 vcc_lo, 18, v0
	s_cbranch_vccnz .LBB87_168
; %bb.167:
	v_lshlrev_b32_e32 v0, 3, v0
	s_clause 0x3
	buffer_load_dword v49, v0, s[0:3], 0 offen
	buffer_load_dword v50, v0, s[0:3], 0 offen offset:4
	buffer_load_dword v51, off, s[0:3], 0 offset:148
	buffer_load_dword v52, off, s[0:3], 0 offset:144
	s_waitcnt vmcnt(3)
	buffer_store_dword v49, off, s[0:3], 0 offset:144
	s_waitcnt vmcnt(2)
	buffer_store_dword v50, off, s[0:3], 0 offset:148
	s_waitcnt vmcnt(1)
	buffer_store_dword v51, v0, s[0:3], 0 offen offset:4
	s_waitcnt vmcnt(0)
	buffer_store_dword v52, v0, s[0:3], 0 offen
.LBB87_168:
	;; [unrolled: 43-line block ×10, first 2 shown]
	v_mov_b32_e32 v0, 0
	global_load_dword v49, v0, s[12:13] offset:4
	s_waitcnt vmcnt(0)
	v_add_nc_u32_e32 v49, -1, v49
	v_cmp_eq_u32_e32 vcc_lo, 1, v49
	s_cbranch_vccnz .LBB87_202
; %bb.201:
	v_lshlrev_b32_e32 v49, 3, v49
	s_clause 0x3
	buffer_load_dword v50, v49, s[0:3], 0 offen
	buffer_load_dword v51, v49, s[0:3], 0 offen offset:4
	buffer_load_dword v52, off, s[0:3], 0 offset:8
	buffer_load_dword v53, off, s[0:3], 0 offset:12
	s_waitcnt vmcnt(3)
	buffer_store_dword v50, off, s[0:3], 0 offset:8
	s_waitcnt vmcnt(2)
	buffer_store_dword v51, off, s[0:3], 0 offset:12
	s_waitcnt vmcnt(1)
	buffer_store_dword v52, v49, s[0:3], 0 offen
	s_waitcnt vmcnt(0)
	buffer_store_dword v53, v49, s[0:3], 0 offen offset:4
.LBB87_202:
	global_load_dword v0, v0, s[12:13]
	s_waitcnt vmcnt(0)
	v_add_nc_u32_e32 v0, -1, v0
	v_cmp_eq_u32_e32 vcc_lo, 0, v0
	s_cbranch_vccnz .LBB87_204
; %bb.203:
	v_lshlrev_b32_e32 v0, 3, v0
	s_clause 0x3
	buffer_load_dword v49, v0, s[0:3], 0 offen
	buffer_load_dword v50, v0, s[0:3], 0 offen offset:4
	buffer_load_dword v51, off, s[0:3], 0 offset:4
	buffer_load_dword v52, off, s[0:3], 0
	s_waitcnt vmcnt(3)
	buffer_store_dword v49, off, s[0:3], 0
	s_waitcnt vmcnt(2)
	buffer_store_dword v50, off, s[0:3], 0 offset:4
	s_waitcnt vmcnt(1)
	buffer_store_dword v51, v0, s[0:3], 0 offen offset:4
	s_waitcnt vmcnt(0)
	buffer_store_dword v52, v0, s[0:3], 0 offen
.LBB87_204:
	s_clause 0x1
	buffer_load_dword v49, off, s[0:3], 0
	buffer_load_dword v50, off, s[0:3], 0 offset:4
	s_waitcnt vmcnt(0)
	flat_store_dwordx2 v[1:2], v[49:50]
	s_clause 0x1
	buffer_load_dword v0, off, s[0:3], 0 offset:8
	buffer_load_dword v1, off, s[0:3], 0 offset:12
	s_waitcnt vmcnt(0)
	flat_store_dwordx2 v[3:4], v[0:1]
	s_clause 0x1
	buffer_load_dword v0, off, s[0:3], 0 offset:16
	;; [unrolled: 5-line block ×23, first 2 shown]
	buffer_load_dword v1, off, s[0:3], 0 offset:188
	s_waitcnt vmcnt(0)
	flat_store_dwordx2 v[47:48], v[0:1]
	s_endpgm
	.section	.rodata,"a",@progbits
	.p2align	6, 0x0
	.amdhsa_kernel _ZN9rocsolver6v33100L18getri_kernel_smallILi24E19rocblas_complex_numIfEPKPS3_EEvT1_iilPiilS8_bb
		.amdhsa_group_segment_fixed_size 388
		.amdhsa_private_segment_fixed_size 208
		.amdhsa_kernarg_size 60
		.amdhsa_user_sgpr_count 6
		.amdhsa_user_sgpr_private_segment_buffer 1
		.amdhsa_user_sgpr_dispatch_ptr 0
		.amdhsa_user_sgpr_queue_ptr 0
		.amdhsa_user_sgpr_kernarg_segment_ptr 1
		.amdhsa_user_sgpr_dispatch_id 0
		.amdhsa_user_sgpr_flat_scratch_init 0
		.amdhsa_user_sgpr_private_segment_size 0
		.amdhsa_wavefront_size32 1
		.amdhsa_uses_dynamic_stack 0
		.amdhsa_system_sgpr_private_segment_wavefront_offset 1
		.amdhsa_system_sgpr_workgroup_id_x 1
		.amdhsa_system_sgpr_workgroup_id_y 0
		.amdhsa_system_sgpr_workgroup_id_z 0
		.amdhsa_system_sgpr_workgroup_info 0
		.amdhsa_system_vgpr_workitem_id 0
		.amdhsa_next_free_vgpr 166
		.amdhsa_next_free_sgpr 20
		.amdhsa_reserve_vcc 1
		.amdhsa_reserve_flat_scratch 0
		.amdhsa_float_round_mode_32 0
		.amdhsa_float_round_mode_16_64 0
		.amdhsa_float_denorm_mode_32 3
		.amdhsa_float_denorm_mode_16_64 3
		.amdhsa_dx10_clamp 1
		.amdhsa_ieee_mode 1
		.amdhsa_fp16_overflow 0
		.amdhsa_workgroup_processor_mode 1
		.amdhsa_memory_ordered 1
		.amdhsa_forward_progress 1
		.amdhsa_shared_vgpr_count 0
		.amdhsa_exception_fp_ieee_invalid_op 0
		.amdhsa_exception_fp_denorm_src 0
		.amdhsa_exception_fp_ieee_div_zero 0
		.amdhsa_exception_fp_ieee_overflow 0
		.amdhsa_exception_fp_ieee_underflow 0
		.amdhsa_exception_fp_ieee_inexact 0
		.amdhsa_exception_int_div_zero 0
	.end_amdhsa_kernel
	.section	.text._ZN9rocsolver6v33100L18getri_kernel_smallILi24E19rocblas_complex_numIfEPKPS3_EEvT1_iilPiilS8_bb,"axG",@progbits,_ZN9rocsolver6v33100L18getri_kernel_smallILi24E19rocblas_complex_numIfEPKPS3_EEvT1_iilPiilS8_bb,comdat
.Lfunc_end87:
	.size	_ZN9rocsolver6v33100L18getri_kernel_smallILi24E19rocblas_complex_numIfEPKPS3_EEvT1_iilPiilS8_bb, .Lfunc_end87-_ZN9rocsolver6v33100L18getri_kernel_smallILi24E19rocblas_complex_numIfEPKPS3_EEvT1_iilPiilS8_bb
                                        ; -- End function
	.set _ZN9rocsolver6v33100L18getri_kernel_smallILi24E19rocblas_complex_numIfEPKPS3_EEvT1_iilPiilS8_bb.num_vgpr, 166
	.set _ZN9rocsolver6v33100L18getri_kernel_smallILi24E19rocblas_complex_numIfEPKPS3_EEvT1_iilPiilS8_bb.num_agpr, 0
	.set _ZN9rocsolver6v33100L18getri_kernel_smallILi24E19rocblas_complex_numIfEPKPS3_EEvT1_iilPiilS8_bb.numbered_sgpr, 20
	.set _ZN9rocsolver6v33100L18getri_kernel_smallILi24E19rocblas_complex_numIfEPKPS3_EEvT1_iilPiilS8_bb.num_named_barrier, 0
	.set _ZN9rocsolver6v33100L18getri_kernel_smallILi24E19rocblas_complex_numIfEPKPS3_EEvT1_iilPiilS8_bb.private_seg_size, 208
	.set _ZN9rocsolver6v33100L18getri_kernel_smallILi24E19rocblas_complex_numIfEPKPS3_EEvT1_iilPiilS8_bb.uses_vcc, 1
	.set _ZN9rocsolver6v33100L18getri_kernel_smallILi24E19rocblas_complex_numIfEPKPS3_EEvT1_iilPiilS8_bb.uses_flat_scratch, 0
	.set _ZN9rocsolver6v33100L18getri_kernel_smallILi24E19rocblas_complex_numIfEPKPS3_EEvT1_iilPiilS8_bb.has_dyn_sized_stack, 0
	.set _ZN9rocsolver6v33100L18getri_kernel_smallILi24E19rocblas_complex_numIfEPKPS3_EEvT1_iilPiilS8_bb.has_recursion, 0
	.set _ZN9rocsolver6v33100L18getri_kernel_smallILi24E19rocblas_complex_numIfEPKPS3_EEvT1_iilPiilS8_bb.has_indirect_call, 0
	.section	.AMDGPU.csdata,"",@progbits
; Kernel info:
; codeLenInByte = 30344
; TotalNumSgprs: 22
; NumVgprs: 166
; ScratchSize: 208
; MemoryBound: 0
; FloatMode: 240
; IeeeMode: 1
; LDSByteSize: 388 bytes/workgroup (compile time only)
; SGPRBlocks: 0
; VGPRBlocks: 20
; NumSGPRsForWavesPerEU: 22
; NumVGPRsForWavesPerEU: 166
; Occupancy: 5
; WaveLimiterHint : 1
; COMPUTE_PGM_RSRC2:SCRATCH_EN: 1
; COMPUTE_PGM_RSRC2:USER_SGPR: 6
; COMPUTE_PGM_RSRC2:TRAP_HANDLER: 0
; COMPUTE_PGM_RSRC2:TGID_X_EN: 1
; COMPUTE_PGM_RSRC2:TGID_Y_EN: 0
; COMPUTE_PGM_RSRC2:TGID_Z_EN: 0
; COMPUTE_PGM_RSRC2:TIDIG_COMP_CNT: 0
	.section	.text._ZN9rocsolver6v33100L18getri_kernel_smallILi25E19rocblas_complex_numIfEPKPS3_EEvT1_iilPiilS8_bb,"axG",@progbits,_ZN9rocsolver6v33100L18getri_kernel_smallILi25E19rocblas_complex_numIfEPKPS3_EEvT1_iilPiilS8_bb,comdat
	.globl	_ZN9rocsolver6v33100L18getri_kernel_smallILi25E19rocblas_complex_numIfEPKPS3_EEvT1_iilPiilS8_bb ; -- Begin function _ZN9rocsolver6v33100L18getri_kernel_smallILi25E19rocblas_complex_numIfEPKPS3_EEvT1_iilPiilS8_bb
	.p2align	8
	.type	_ZN9rocsolver6v33100L18getri_kernel_smallILi25E19rocblas_complex_numIfEPKPS3_EEvT1_iilPiilS8_bb,@function
_ZN9rocsolver6v33100L18getri_kernel_smallILi25E19rocblas_complex_numIfEPKPS3_EEvT1_iilPiilS8_bb: ; @_ZN9rocsolver6v33100L18getri_kernel_smallILi25E19rocblas_complex_numIfEPKPS3_EEvT1_iilPiilS8_bb
; %bb.0:
	s_add_u32 s0, s0, s7
	s_addc_u32 s1, s1, 0
	s_mov_b32 s7, exec_lo
	v_cmpx_gt_u32_e32 25, v0
	s_cbranch_execz .LBB88_114
; %bb.1:
	s_clause 0x2
	s_load_dword s17, s[4:5], 0x38
	s_load_dwordx2 s[12:13], s[4:5], 0x0
	s_load_dwordx4 s[8:11], s[4:5], 0x28
	s_waitcnt lgkmcnt(0)
	s_bitcmp1_b32 s17, 8
	s_cselect_b32 s16, -1, 0
	s_ashr_i32 s7, s6, 31
	s_lshl_b64 s[14:15], s[6:7], 3
	s_add_u32 s12, s12, s14
	s_addc_u32 s13, s13, s15
	s_load_dwordx2 s[14:15], s[12:13], 0x0
	s_bfe_u32 s12, s17, 0x10008
	s_cmp_eq_u32 s12, 0
                                        ; implicit-def: $sgpr12_sgpr13
	s_cbranch_scc1 .LBB88_3
; %bb.2:
	s_clause 0x1
	s_load_dword s12, s[4:5], 0x20
	s_load_dwordx2 s[18:19], s[4:5], 0x18
	s_mul_i32 s13, s8, s7
	s_mul_hi_u32 s17, s8, s6
	s_mul_i32 s9, s9, s6
	s_add_i32 s13, s17, s13
	s_mul_i32 s8, s8, s6
	s_add_i32 s9, s13, s9
	s_lshl_b64 s[8:9], s[8:9], 2
	s_waitcnt lgkmcnt(0)
	s_ashr_i32 s13, s12, 31
	s_add_u32 s17, s18, s8
	s_addc_u32 s18, s19, s9
	s_lshl_b64 s[8:9], s[12:13], 2
	s_add_u32 s12, s17, s8
	s_addc_u32 s13, s18, s9
.LBB88_3:
	s_clause 0x1
	s_load_dwordx2 s[8:9], s[4:5], 0x8
	s_load_dword s4, s[4:5], 0x38
	v_lshlrev_b32_e32 v53, 3, v0
	s_waitcnt lgkmcnt(0)
	s_ashr_i32 s19, s8, 31
	s_mov_b32 s18, s8
	v_add3_u32 v9, s9, s9, v0
	s_lshl_b64 s[18:19], s[18:19], 3
	s_add_u32 s5, s14, s18
	s_addc_u32 s8, s15, s19
	v_add_co_u32 v1, s14, s5, v53
	v_add_co_ci_u32_e64 v2, null, s8, 0, s14
	s_mov_b32 s14, s9
	s_ashr_i32 s15, s9, 31
	v_ashrrev_i32_e32 v10, 31, v9
	flat_load_dwordx2 v[5:6], v[1:2]
	s_lshl_b64 s[14:15], s[14:15], 3
	v_add_nc_u32_e32 v12, s9, v9
	v_add_co_u32 v3, vcc_lo, v1, s14
	v_add_co_ci_u32_e64 v4, null, s15, v2, vcc_lo
	v_ashrrev_i32_e32 v13, 31, v12
	s_bitcmp0_b32 s4, 0
	s_waitcnt vmcnt(0) lgkmcnt(0)
	buffer_store_dword v6, off, s[0:3], 0 offset:4
	buffer_store_dword v5, off, s[0:3], 0
	flat_load_dwordx2 v[7:8], v[3:4]
	v_lshlrev_b64 v[5:6], 3, v[9:10]
	s_waitcnt vmcnt(0) lgkmcnt(0)
	buffer_store_dword v8, off, s[0:3], 0 offset:12
	buffer_store_dword v7, off, s[0:3], 0 offset:8
	v_add_co_u32 v5, vcc_lo, s5, v5
	v_add_co_ci_u32_e64 v6, null, s8, v6, vcc_lo
	v_lshlrev_b64 v[7:8], 3, v[12:13]
	flat_load_dwordx2 v[10:11], v[5:6]
	s_waitcnt vmcnt(0) lgkmcnt(0)
	buffer_store_dword v11, off, s[0:3], 0 offset:20
	buffer_store_dword v10, off, s[0:3], 0 offset:16
	v_add_co_u32 v7, vcc_lo, s5, v7
	v_add_co_ci_u32_e64 v8, null, s8, v8, vcc_lo
	v_add_nc_u32_e32 v11, s9, v12
	flat_load_dwordx2 v[13:14], v[7:8]
	s_waitcnt vmcnt(0) lgkmcnt(0)
	buffer_store_dword v14, off, s[0:3], 0 offset:28
	buffer_store_dword v13, off, s[0:3], 0 offset:24
	v_ashrrev_i32_e32 v12, 31, v11
	v_add_nc_u32_e32 v15, s9, v11
	v_lshlrev_b64 v[9:10], 3, v[11:12]
	v_ashrrev_i32_e32 v16, 31, v15
	v_add_nc_u32_e32 v18, s9, v15
	v_add_co_u32 v9, vcc_lo, s5, v9
	v_add_co_ci_u32_e64 v10, null, s8, v10, vcc_lo
	v_lshlrev_b64 v[11:12], 3, v[15:16]
	v_ashrrev_i32_e32 v19, 31, v18
	flat_load_dwordx2 v[13:14], v[9:10]
	s_waitcnt vmcnt(0) lgkmcnt(0)
	buffer_store_dword v14, off, s[0:3], 0 offset:36
	buffer_store_dword v13, off, s[0:3], 0 offset:32
	v_add_co_u32 v11, vcc_lo, s5, v11
	v_add_co_ci_u32_e64 v12, null, s8, v12, vcc_lo
	v_lshlrev_b64 v[13:14], 3, v[18:19]
	flat_load_dwordx2 v[16:17], v[11:12]
	s_waitcnt vmcnt(0) lgkmcnt(0)
	buffer_store_dword v17, off, s[0:3], 0 offset:44
	buffer_store_dword v16, off, s[0:3], 0 offset:40
	v_add_co_u32 v13, vcc_lo, s5, v13
	v_add_co_ci_u32_e64 v14, null, s8, v14, vcc_lo
	v_add_nc_u32_e32 v17, s9, v18
	flat_load_dwordx2 v[19:20], v[13:14]
	s_waitcnt vmcnt(0) lgkmcnt(0)
	buffer_store_dword v20, off, s[0:3], 0 offset:52
	buffer_store_dword v19, off, s[0:3], 0 offset:48
	v_ashrrev_i32_e32 v18, 31, v17
	v_add_nc_u32_e32 v21, s9, v17
	v_lshlrev_b64 v[15:16], 3, v[17:18]
	v_ashrrev_i32_e32 v22, 31, v21
	v_add_nc_u32_e32 v24, s9, v21
	v_add_co_u32 v15, vcc_lo, s5, v15
	v_add_co_ci_u32_e64 v16, null, s8, v16, vcc_lo
	v_lshlrev_b64 v[17:18], 3, v[21:22]
	v_ashrrev_i32_e32 v25, 31, v24
	flat_load_dwordx2 v[19:20], v[15:16]
	;; [unrolled: 27-line block ×6, first 2 shown]
	s_waitcnt vmcnt(0) lgkmcnt(0)
	buffer_store_dword v44, off, s[0:3], 0 offset:156
	buffer_store_dword v43, off, s[0:3], 0 offset:152
	v_add_co_u32 v41, vcc_lo, s5, v41
	v_add_co_ci_u32_e64 v42, null, s8, v42, vcc_lo
	v_lshlrev_b64 v[43:44], 3, v[48:49]
	flat_load_dwordx2 v[46:47], v[41:42]
	s_waitcnt vmcnt(0) lgkmcnt(0)
	buffer_store_dword v47, off, s[0:3], 0 offset:164
	buffer_store_dword v46, off, s[0:3], 0 offset:160
	v_add_co_u32 v43, vcc_lo, s5, v43
	v_add_co_ci_u32_e64 v44, null, s8, v44, vcc_lo
	v_add_nc_u32_e32 v47, s9, v48
	flat_load_dwordx2 v[49:50], v[43:44]
	s_waitcnt vmcnt(0) lgkmcnt(0)
	buffer_store_dword v50, off, s[0:3], 0 offset:172
	buffer_store_dword v49, off, s[0:3], 0 offset:168
	v_ashrrev_i32_e32 v48, 31, v47
	v_add_nc_u32_e32 v51, s9, v47
	v_lshlrev_b64 v[45:46], 3, v[47:48]
	v_ashrrev_i32_e32 v52, 31, v51
	v_add_co_u32 v45, vcc_lo, s5, v45
	v_add_co_ci_u32_e64 v46, null, s8, v46, vcc_lo
	v_lshlrev_b64 v[47:48], 3, v[51:52]
	flat_load_dwordx2 v[49:50], v[45:46]
	s_waitcnt vmcnt(0) lgkmcnt(0)
	buffer_store_dword v50, off, s[0:3], 0 offset:180
	buffer_store_dword v49, off, s[0:3], 0 offset:176
	v_add_co_u32 v47, vcc_lo, s5, v47
	v_add_co_ci_u32_e64 v48, null, s8, v48, vcc_lo
	v_add_nc_u32_e32 v49, s9, v51
	flat_load_dwordx2 v[54:55], v[47:48]
	s_waitcnt vmcnt(0) lgkmcnt(0)
	buffer_store_dword v55, off, s[0:3], 0 offset:188
	buffer_store_dword v54, off, s[0:3], 0 offset:184
	v_ashrrev_i32_e32 v50, 31, v49
	v_lshlrev_b64 v[49:50], 3, v[49:50]
	v_add_co_u32 v49, vcc_lo, s5, v49
	v_add_co_ci_u32_e64 v50, null, s8, v50, vcc_lo
	s_mov_b32 s5, -1
	flat_load_dwordx2 v[51:52], v[49:50]
	s_waitcnt vmcnt(0) lgkmcnt(0)
	buffer_store_dword v52, off, s[0:3], 0 offset:196
	buffer_store_dword v51, off, s[0:3], 0 offset:192
	s_cbranch_scc1 .LBB88_112
; %bb.4:
	v_cmp_eq_u32_e64 s4, 0, v0
	s_and_saveexec_b32 s5, s4
; %bb.5:
	v_mov_b32_e32 v51, 0
	ds_write_b32 v51, v51 offset:200
; %bb.6:
	s_or_b32 exec_lo, exec_lo, s5
	v_lshl_add_u32 v55, v0, 3, 0
	s_waitcnt lgkmcnt(0)
	s_waitcnt_vscnt null, 0x0
	s_barrier
	buffer_gl0_inv
	s_clause 0x1
	buffer_load_dword v51, v55, s[0:3], 0 offen
	buffer_load_dword v52, v55, s[0:3], 0 offen offset:4
	s_waitcnt vmcnt(1)
	v_cmp_eq_f32_e32 vcc_lo, 0, v51
	s_waitcnt vmcnt(0)
	v_cmp_eq_f32_e64 s5, 0, v52
	s_and_b32 s5, vcc_lo, s5
	s_and_saveexec_b32 s8, s5
	s_cbranch_execz .LBB88_10
; %bb.7:
	v_mov_b32_e32 v51, 0
	s_mov_b32 s9, 0
	ds_read_b32 v52, v51 offset:200
	s_waitcnt lgkmcnt(0)
	v_readfirstlane_b32 s5, v52
	v_add_nc_u32_e32 v52, 1, v0
	s_cmp_eq_u32 s5, 0
	v_cmp_gt_i32_e32 vcc_lo, s5, v52
	s_cselect_b32 s14, -1, 0
	s_or_b32 s14, s14, vcc_lo
	s_and_b32 exec_lo, exec_lo, s14
	s_cbranch_execz .LBB88_10
; %bb.8:
	v_mov_b32_e32 v54, s5
.LBB88_9:                               ; =>This Inner Loop Header: Depth=1
	ds_cmpst_rtn_b32 v54, v51, v54, v52 offset:200
	s_waitcnt lgkmcnt(0)
	v_cmp_ne_u32_e32 vcc_lo, 0, v54
	v_cmp_le_i32_e64 s5, v54, v52
	s_and_b32 s5, vcc_lo, s5
	s_and_b32 s5, exec_lo, s5
	s_or_b32 s9, s5, s9
	s_andn2_b32 exec_lo, exec_lo, s9
	s_cbranch_execnz .LBB88_9
.LBB88_10:
	s_or_b32 exec_lo, exec_lo, s8
	v_mov_b32_e32 v51, 0
	s_barrier
	buffer_gl0_inv
	ds_read_b32 v52, v51 offset:200
	s_and_saveexec_b32 s5, s4
	s_cbranch_execz .LBB88_12
; %bb.11:
	s_lshl_b64 s[8:9], s[6:7], 2
	s_add_u32 s8, s10, s8
	s_addc_u32 s9, s11, s9
	s_waitcnt lgkmcnt(0)
	global_store_dword v51, v52, s[8:9]
.LBB88_12:
	s_or_b32 exec_lo, exec_lo, s5
	s_waitcnt lgkmcnt(0)
	v_cmp_ne_u32_e32 vcc_lo, 0, v52
	s_mov_b32 s5, 0
	s_cbranch_vccnz .LBB88_112
; %bb.13:
	s_clause 0x1
	buffer_load_dword v52, v55, s[0:3], 0 offen
	buffer_load_dword v54, v55, s[0:3], 0 offen offset:4
                                        ; implicit-def: $vgpr57
                                        ; implicit-def: $vgpr56
                                        ; implicit-def: $vgpr51
	s_waitcnt vmcnt(0)
	v_cmp_ngt_f32_e64 s5, |v52|, |v54|
	s_and_saveexec_b32 s8, s5
	s_xor_b32 s5, exec_lo, s8
	s_cbranch_execz .LBB88_15
; %bb.14:
	v_div_scale_f32 v51, null, v54, v54, v52
	v_div_scale_f32 v58, vcc_lo, v52, v54, v52
	v_rcp_f32_e32 v56, v51
	v_fma_f32 v57, -v51, v56, 1.0
	v_fmac_f32_e32 v56, v57, v56
	v_mul_f32_e32 v57, v58, v56
	v_fma_f32 v59, -v51, v57, v58
	v_fmac_f32_e32 v57, v59, v56
	v_fma_f32 v51, -v51, v57, v58
	v_div_fmas_f32 v51, v51, v56, v57
	v_div_fixup_f32 v51, v51, v54, v52
	v_fmac_f32_e32 v54, v52, v51
	v_div_scale_f32 v52, null, v54, v54, 1.0
	v_rcp_f32_e32 v56, v52
	v_fma_f32 v57, -v52, v56, 1.0
	v_fmac_f32_e32 v56, v57, v56
	v_div_scale_f32 v57, vcc_lo, 1.0, v54, 1.0
	v_mul_f32_e32 v58, v57, v56
	v_fma_f32 v59, -v52, v58, v57
	v_fmac_f32_e32 v58, v59, v56
	v_fma_f32 v52, -v52, v58, v57
	v_div_fmas_f32 v52, v52, v56, v58
	v_div_fixup_f32 v52, v52, v54, 1.0
                                        ; implicit-def: $vgpr54
	v_mul_f32_e32 v57, v51, v52
	v_xor_b32_e32 v56, 0x80000000, v52
                                        ; implicit-def: $vgpr52
	v_xor_b32_e32 v51, 0x80000000, v57
.LBB88_15:
	s_andn2_saveexec_b32 s5, s5
	s_cbranch_execz .LBB88_17
; %bb.16:
	v_div_scale_f32 v51, null, v52, v52, v54
	v_div_scale_f32 v58, vcc_lo, v54, v52, v54
	v_rcp_f32_e32 v56, v51
	v_fma_f32 v57, -v51, v56, 1.0
	v_fmac_f32_e32 v56, v57, v56
	v_mul_f32_e32 v57, v58, v56
	v_fma_f32 v59, -v51, v57, v58
	v_fmac_f32_e32 v57, v59, v56
	v_fma_f32 v51, -v51, v57, v58
	v_div_fmas_f32 v51, v51, v56, v57
	v_div_fixup_f32 v56, v51, v52, v54
	v_fmac_f32_e32 v52, v54, v56
	v_div_scale_f32 v51, null, v52, v52, 1.0
	v_div_scale_f32 v58, vcc_lo, 1.0, v52, 1.0
	v_rcp_f32_e32 v54, v51
	v_fma_f32 v57, -v51, v54, 1.0
	v_fmac_f32_e32 v54, v57, v54
	v_mul_f32_e32 v57, v58, v54
	v_fma_f32 v59, -v51, v57, v58
	v_fmac_f32_e32 v57, v59, v54
	v_fma_f32 v51, -v51, v57, v58
	v_div_fmas_f32 v51, v51, v54, v57
	v_div_fixup_f32 v57, v51, v52, 1.0
	v_xor_b32_e32 v51, 0x80000000, v57
	v_mul_f32_e64 v56, v56, -v57
.LBB88_17:
	s_or_b32 exec_lo, exec_lo, s5
	buffer_store_dword v57, v55, s[0:3], 0 offen
	buffer_store_dword v56, v55, s[0:3], 0 offen offset:4
	s_clause 0x1
	buffer_load_dword v58, off, s[0:3], 0 offset:12
	buffer_load_dword v57, off, s[0:3], 0 offset:8
	v_xor_b32_e32 v52, 0x80000000, v56
	v_add_nc_u32_e32 v54, 0xd0, v53
	s_waitcnt vmcnt(0)
	ds_write2_b64 v53, v[51:52], v[57:58] offset1:26
	s_waitcnt lgkmcnt(0)
	s_waitcnt_vscnt null, 0x0
	s_barrier
	buffer_gl0_inv
	s_and_saveexec_b32 s5, s4
	s_cbranch_execz .LBB88_19
; %bb.18:
	s_clause 0x1
	buffer_load_dword v58, v55, s[0:3], 0 offen offset:4
	buffer_load_dword v59, v55, s[0:3], 0 offen
	ds_read_b64 v[51:52], v54
	v_mov_b32_e32 v56, 0
	ds_read_b64 v[56:57], v56 offset:8
	s_waitcnt vmcnt(1) lgkmcnt(1)
	v_mul_f32_e32 v60, v51, v58
	v_mul_f32_e32 v58, v52, v58
	s_waitcnt vmcnt(0)
	v_fmac_f32_e32 v60, v52, v59
	v_fma_f32 v51, v51, v59, -v58
	v_add_f32_e32 v52, 0, v60
	v_add_f32_e32 v51, 0, v51
	s_waitcnt lgkmcnt(0)
	v_mul_f32_e32 v58, v52, v57
	v_mul_f32_e32 v57, v51, v57
	v_fma_f32 v51, v51, v56, -v58
	v_fmac_f32_e32 v57, v52, v56
	buffer_store_dword v51, off, s[0:3], 0 offset:8
	buffer_store_dword v57, off, s[0:3], 0 offset:12
.LBB88_19:
	s_or_b32 exec_lo, exec_lo, s5
	s_waitcnt_vscnt null, 0x0
	s_barrier
	buffer_gl0_inv
	s_clause 0x1
	buffer_load_dword v51, off, s[0:3], 0 offset:16
	buffer_load_dword v52, off, s[0:3], 0 offset:20
	s_mov_b32 s5, exec_lo
	s_waitcnt vmcnt(0)
	ds_write_b64 v54, v[51:52]
	s_waitcnt lgkmcnt(0)
	s_barrier
	buffer_gl0_inv
	v_cmpx_gt_u32_e32 2, v0
	s_cbranch_execz .LBB88_23
; %bb.20:
	s_clause 0x1
	buffer_load_dword v56, v55, s[0:3], 0 offen offset:4
	buffer_load_dword v55, v55, s[0:3], 0 offen
	ds_read_b64 v[51:52], v54
	s_waitcnt vmcnt(1) lgkmcnt(0)
	v_mul_f32_e32 v57, v52, v56
	v_mul_f32_e32 v56, v51, v56
	s_waitcnt vmcnt(0)
	v_fma_f32 v51, v51, v55, -v57
	v_fmac_f32_e32 v56, v52, v55
	v_add_f32_e32 v52, 0, v51
	v_add_f32_e32 v51, 0, v56
	s_and_saveexec_b32 s8, s4
	s_cbranch_execz .LBB88_22
; %bb.21:
	s_clause 0x1
	buffer_load_dword v57, off, s[0:3], 0 offset:12
	buffer_load_dword v58, off, s[0:3], 0 offset:8
	v_mov_b32_e32 v55, 0
	ds_read_b64 v[55:56], v55 offset:216
	s_waitcnt vmcnt(1) lgkmcnt(0)
	v_mul_f32_e32 v59, v55, v57
	v_mul_f32_e32 v57, v56, v57
	s_waitcnt vmcnt(0)
	v_fmac_f32_e32 v59, v56, v58
	v_fma_f32 v55, v55, v58, -v57
	v_add_f32_e32 v51, v51, v59
	v_add_f32_e32 v52, v52, v55
.LBB88_22:
	s_or_b32 exec_lo, exec_lo, s8
	v_mov_b32_e32 v55, 0
	ds_read_b64 v[55:56], v55 offset:16
	s_waitcnt lgkmcnt(0)
	v_mul_f32_e32 v57, v51, v56
	v_mul_f32_e32 v56, v52, v56
	v_fma_f32 v52, v52, v55, -v57
	v_fmac_f32_e32 v56, v51, v55
	buffer_store_dword v52, off, s[0:3], 0 offset:16
	buffer_store_dword v56, off, s[0:3], 0 offset:20
.LBB88_23:
	s_or_b32 exec_lo, exec_lo, s5
	s_waitcnt_vscnt null, 0x0
	s_barrier
	buffer_gl0_inv
	s_clause 0x1
	buffer_load_dword v55, off, s[0:3], 0 offset:24
	buffer_load_dword v56, off, s[0:3], 0 offset:28
	v_add_nc_u32_e32 v51, -1, v0
	s_mov_b32 s4, exec_lo
	s_waitcnt vmcnt(0)
	ds_write_b64 v54, v[55:56]
	s_waitcnt lgkmcnt(0)
	s_barrier
	buffer_gl0_inv
	v_cmpx_gt_u32_e32 3, v0
	s_cbranch_execz .LBB88_27
; %bb.24:
	v_add_nc_u32_e32 v55, -1, v0
	v_add_nc_u32_e32 v56, 0xd0, v53
	v_mov_b32_e32 v57, v53
	v_mov_b32_e32 v52, 0
	v_mov_b32_e32 v58, 0
	s_mov_b32 s5, 0
	.p2align	6
.LBB88_25:                              ; =>This Inner Loop Header: Depth=1
	s_clause 0x1
	buffer_load_dword v61, v57, s[0:3], 0 offen offset:4
	buffer_load_dword v62, v57, s[0:3], 0 offen
	ds_read_b64 v[59:60], v56
	v_add_nc_u32_e32 v55, 1, v55
	v_add_nc_u32_e32 v56, 8, v56
	;; [unrolled: 1-line block ×3, first 2 shown]
	v_cmp_lt_u32_e32 vcc_lo, 1, v55
	s_or_b32 s5, vcc_lo, s5
	s_waitcnt vmcnt(1) lgkmcnt(0)
	v_mul_f32_e32 v63, v60, v61
	v_mul_f32_e32 v61, v59, v61
	s_waitcnt vmcnt(0)
	v_fma_f32 v59, v59, v62, -v63
	v_fmac_f32_e32 v61, v60, v62
	v_add_f32_e32 v58, v58, v59
	v_add_f32_e32 v52, v52, v61
	s_andn2_b32 exec_lo, exec_lo, s5
	s_cbranch_execnz .LBB88_25
; %bb.26:
	s_or_b32 exec_lo, exec_lo, s5
	v_mov_b32_e32 v55, 0
	ds_read_b64 v[55:56], v55 offset:24
	s_waitcnt lgkmcnt(0)
	v_mul_f32_e32 v57, v52, v56
	v_mul_f32_e32 v56, v58, v56
	v_fma_f32 v57, v58, v55, -v57
	v_fmac_f32_e32 v56, v52, v55
	buffer_store_dword v57, off, s[0:3], 0 offset:24
	buffer_store_dword v56, off, s[0:3], 0 offset:28
.LBB88_27:
	s_or_b32 exec_lo, exec_lo, s4
	s_waitcnt_vscnt null, 0x0
	s_barrier
	buffer_gl0_inv
	s_clause 0x1
	buffer_load_dword v55, off, s[0:3], 0 offset:32
	buffer_load_dword v56, off, s[0:3], 0 offset:36
	s_mov_b32 s4, exec_lo
	s_waitcnt vmcnt(0)
	ds_write_b64 v54, v[55:56]
	s_waitcnt lgkmcnt(0)
	s_barrier
	buffer_gl0_inv
	v_cmpx_gt_u32_e32 4, v0
	s_cbranch_execz .LBB88_31
; %bb.28:
	v_add_nc_u32_e32 v55, -1, v0
	v_add_nc_u32_e32 v56, 0xd0, v53
	v_mov_b32_e32 v57, v53
	v_mov_b32_e32 v52, 0
	;; [unrolled: 1-line block ×3, first 2 shown]
	s_mov_b32 s5, 0
	.p2align	6
.LBB88_29:                              ; =>This Inner Loop Header: Depth=1
	s_clause 0x1
	buffer_load_dword v61, v57, s[0:3], 0 offen offset:4
	buffer_load_dword v62, v57, s[0:3], 0 offen
	ds_read_b64 v[59:60], v56
	v_add_nc_u32_e32 v55, 1, v55
	v_add_nc_u32_e32 v56, 8, v56
	;; [unrolled: 1-line block ×3, first 2 shown]
	v_cmp_lt_u32_e32 vcc_lo, 2, v55
	s_or_b32 s5, vcc_lo, s5
	s_waitcnt vmcnt(1) lgkmcnt(0)
	v_mul_f32_e32 v63, v60, v61
	v_mul_f32_e32 v61, v59, v61
	s_waitcnt vmcnt(0)
	v_fma_f32 v59, v59, v62, -v63
	v_fmac_f32_e32 v61, v60, v62
	v_add_f32_e32 v58, v58, v59
	v_add_f32_e32 v52, v52, v61
	s_andn2_b32 exec_lo, exec_lo, s5
	s_cbranch_execnz .LBB88_29
; %bb.30:
	s_or_b32 exec_lo, exec_lo, s5
	v_mov_b32_e32 v55, 0
	ds_read_b64 v[55:56], v55 offset:32
	s_waitcnt lgkmcnt(0)
	v_mul_f32_e32 v57, v52, v56
	v_mul_f32_e32 v56, v58, v56
	v_fma_f32 v57, v58, v55, -v57
	v_fmac_f32_e32 v56, v52, v55
	buffer_store_dword v57, off, s[0:3], 0 offset:32
	buffer_store_dword v56, off, s[0:3], 0 offset:36
.LBB88_31:
	s_or_b32 exec_lo, exec_lo, s4
	s_waitcnt_vscnt null, 0x0
	s_barrier
	buffer_gl0_inv
	s_clause 0x1
	buffer_load_dword v55, off, s[0:3], 0 offset:40
	buffer_load_dword v56, off, s[0:3], 0 offset:44
	s_mov_b32 s4, exec_lo
	s_waitcnt vmcnt(0)
	ds_write_b64 v54, v[55:56]
	s_waitcnt lgkmcnt(0)
	s_barrier
	buffer_gl0_inv
	v_cmpx_gt_u32_e32 5, v0
	s_cbranch_execz .LBB88_35
; %bb.32:
	v_add_nc_u32_e32 v55, -1, v0
	v_add_nc_u32_e32 v56, 0xd0, v53
	v_mov_b32_e32 v57, v53
	v_mov_b32_e32 v52, 0
	;; [unrolled: 1-line block ×3, first 2 shown]
	s_mov_b32 s5, 0
	.p2align	6
.LBB88_33:                              ; =>This Inner Loop Header: Depth=1
	s_clause 0x1
	buffer_load_dword v61, v57, s[0:3], 0 offen offset:4
	buffer_load_dword v62, v57, s[0:3], 0 offen
	ds_read_b64 v[59:60], v56
	v_add_nc_u32_e32 v55, 1, v55
	v_add_nc_u32_e32 v56, 8, v56
	;; [unrolled: 1-line block ×3, first 2 shown]
	v_cmp_lt_u32_e32 vcc_lo, 3, v55
	s_or_b32 s5, vcc_lo, s5
	s_waitcnt vmcnt(1) lgkmcnt(0)
	v_mul_f32_e32 v63, v60, v61
	v_mul_f32_e32 v61, v59, v61
	s_waitcnt vmcnt(0)
	v_fma_f32 v59, v59, v62, -v63
	v_fmac_f32_e32 v61, v60, v62
	v_add_f32_e32 v58, v58, v59
	v_add_f32_e32 v52, v52, v61
	s_andn2_b32 exec_lo, exec_lo, s5
	s_cbranch_execnz .LBB88_33
; %bb.34:
	s_or_b32 exec_lo, exec_lo, s5
	v_mov_b32_e32 v55, 0
	ds_read_b64 v[55:56], v55 offset:40
	s_waitcnt lgkmcnt(0)
	v_mul_f32_e32 v57, v52, v56
	v_mul_f32_e32 v56, v58, v56
	v_fma_f32 v57, v58, v55, -v57
	v_fmac_f32_e32 v56, v52, v55
	buffer_store_dword v57, off, s[0:3], 0 offset:40
	buffer_store_dword v56, off, s[0:3], 0 offset:44
.LBB88_35:
	s_or_b32 exec_lo, exec_lo, s4
	s_waitcnt_vscnt null, 0x0
	s_barrier
	buffer_gl0_inv
	s_clause 0x1
	buffer_load_dword v55, off, s[0:3], 0 offset:48
	buffer_load_dword v56, off, s[0:3], 0 offset:52
	s_mov_b32 s4, exec_lo
	s_waitcnt vmcnt(0)
	ds_write_b64 v54, v[55:56]
	s_waitcnt lgkmcnt(0)
	s_barrier
	buffer_gl0_inv
	v_cmpx_gt_u32_e32 6, v0
	s_cbranch_execz .LBB88_39
; %bb.36:
	v_add_nc_u32_e32 v55, -1, v0
	v_add_nc_u32_e32 v56, 0xd0, v53
	v_mov_b32_e32 v57, v53
	v_mov_b32_e32 v52, 0
	;; [unrolled: 1-line block ×3, first 2 shown]
	s_mov_b32 s5, 0
	.p2align	6
.LBB88_37:                              ; =>This Inner Loop Header: Depth=1
	s_clause 0x1
	buffer_load_dword v61, v57, s[0:3], 0 offen offset:4
	buffer_load_dword v62, v57, s[0:3], 0 offen
	ds_read_b64 v[59:60], v56
	v_add_nc_u32_e32 v55, 1, v55
	v_add_nc_u32_e32 v56, 8, v56
	;; [unrolled: 1-line block ×3, first 2 shown]
	v_cmp_lt_u32_e32 vcc_lo, 4, v55
	s_or_b32 s5, vcc_lo, s5
	s_waitcnt vmcnt(1) lgkmcnt(0)
	v_mul_f32_e32 v63, v60, v61
	v_mul_f32_e32 v61, v59, v61
	s_waitcnt vmcnt(0)
	v_fma_f32 v59, v59, v62, -v63
	v_fmac_f32_e32 v61, v60, v62
	v_add_f32_e32 v58, v58, v59
	v_add_f32_e32 v52, v52, v61
	s_andn2_b32 exec_lo, exec_lo, s5
	s_cbranch_execnz .LBB88_37
; %bb.38:
	s_or_b32 exec_lo, exec_lo, s5
	v_mov_b32_e32 v55, 0
	ds_read_b64 v[55:56], v55 offset:48
	s_waitcnt lgkmcnt(0)
	v_mul_f32_e32 v57, v52, v56
	v_mul_f32_e32 v56, v58, v56
	v_fma_f32 v57, v58, v55, -v57
	v_fmac_f32_e32 v56, v52, v55
	buffer_store_dword v57, off, s[0:3], 0 offset:48
	buffer_store_dword v56, off, s[0:3], 0 offset:52
.LBB88_39:
	s_or_b32 exec_lo, exec_lo, s4
	s_waitcnt_vscnt null, 0x0
	s_barrier
	buffer_gl0_inv
	s_clause 0x1
	buffer_load_dword v55, off, s[0:3], 0 offset:56
	buffer_load_dword v56, off, s[0:3], 0 offset:60
	s_mov_b32 s4, exec_lo
	s_waitcnt vmcnt(0)
	ds_write_b64 v54, v[55:56]
	s_waitcnt lgkmcnt(0)
	s_barrier
	buffer_gl0_inv
	v_cmpx_gt_u32_e32 7, v0
	s_cbranch_execz .LBB88_43
; %bb.40:
	v_add_nc_u32_e32 v55, -1, v0
	v_add_nc_u32_e32 v56, 0xd0, v53
	v_mov_b32_e32 v57, v53
	v_mov_b32_e32 v52, 0
	;; [unrolled: 1-line block ×3, first 2 shown]
	s_mov_b32 s5, 0
	.p2align	6
.LBB88_41:                              ; =>This Inner Loop Header: Depth=1
	s_clause 0x1
	buffer_load_dword v61, v57, s[0:3], 0 offen offset:4
	buffer_load_dword v62, v57, s[0:3], 0 offen
	ds_read_b64 v[59:60], v56
	v_add_nc_u32_e32 v55, 1, v55
	v_add_nc_u32_e32 v56, 8, v56
	;; [unrolled: 1-line block ×3, first 2 shown]
	v_cmp_lt_u32_e32 vcc_lo, 5, v55
	s_or_b32 s5, vcc_lo, s5
	s_waitcnt vmcnt(1) lgkmcnt(0)
	v_mul_f32_e32 v63, v60, v61
	v_mul_f32_e32 v61, v59, v61
	s_waitcnt vmcnt(0)
	v_fma_f32 v59, v59, v62, -v63
	v_fmac_f32_e32 v61, v60, v62
	v_add_f32_e32 v58, v58, v59
	v_add_f32_e32 v52, v52, v61
	s_andn2_b32 exec_lo, exec_lo, s5
	s_cbranch_execnz .LBB88_41
; %bb.42:
	s_or_b32 exec_lo, exec_lo, s5
	v_mov_b32_e32 v55, 0
	ds_read_b64 v[55:56], v55 offset:56
	s_waitcnt lgkmcnt(0)
	v_mul_f32_e32 v57, v52, v56
	v_mul_f32_e32 v56, v58, v56
	v_fma_f32 v57, v58, v55, -v57
	v_fmac_f32_e32 v56, v52, v55
	buffer_store_dword v57, off, s[0:3], 0 offset:56
	buffer_store_dword v56, off, s[0:3], 0 offset:60
.LBB88_43:
	s_or_b32 exec_lo, exec_lo, s4
	s_waitcnt_vscnt null, 0x0
	s_barrier
	buffer_gl0_inv
	s_clause 0x1
	buffer_load_dword v55, off, s[0:3], 0 offset:64
	buffer_load_dword v56, off, s[0:3], 0 offset:68
	s_mov_b32 s4, exec_lo
	s_waitcnt vmcnt(0)
	ds_write_b64 v54, v[55:56]
	s_waitcnt lgkmcnt(0)
	s_barrier
	buffer_gl0_inv
	v_cmpx_gt_u32_e32 8, v0
	s_cbranch_execz .LBB88_47
; %bb.44:
	v_add_nc_u32_e32 v55, -1, v0
	v_add_nc_u32_e32 v56, 0xd0, v53
	v_mov_b32_e32 v57, v53
	v_mov_b32_e32 v52, 0
	v_mov_b32_e32 v58, 0
	s_mov_b32 s5, 0
	.p2align	6
.LBB88_45:                              ; =>This Inner Loop Header: Depth=1
	s_clause 0x1
	buffer_load_dword v61, v57, s[0:3], 0 offen offset:4
	buffer_load_dword v62, v57, s[0:3], 0 offen
	ds_read_b64 v[59:60], v56
	v_add_nc_u32_e32 v55, 1, v55
	v_add_nc_u32_e32 v56, 8, v56
	;; [unrolled: 1-line block ×3, first 2 shown]
	v_cmp_lt_u32_e32 vcc_lo, 6, v55
	s_or_b32 s5, vcc_lo, s5
	s_waitcnt vmcnt(1) lgkmcnt(0)
	v_mul_f32_e32 v63, v60, v61
	v_mul_f32_e32 v61, v59, v61
	s_waitcnt vmcnt(0)
	v_fma_f32 v59, v59, v62, -v63
	v_fmac_f32_e32 v61, v60, v62
	v_add_f32_e32 v58, v58, v59
	v_add_f32_e32 v52, v52, v61
	s_andn2_b32 exec_lo, exec_lo, s5
	s_cbranch_execnz .LBB88_45
; %bb.46:
	s_or_b32 exec_lo, exec_lo, s5
	v_mov_b32_e32 v55, 0
	ds_read_b64 v[55:56], v55 offset:64
	s_waitcnt lgkmcnt(0)
	v_mul_f32_e32 v57, v52, v56
	v_mul_f32_e32 v56, v58, v56
	v_fma_f32 v57, v58, v55, -v57
	v_fmac_f32_e32 v56, v52, v55
	buffer_store_dword v57, off, s[0:3], 0 offset:64
	buffer_store_dword v56, off, s[0:3], 0 offset:68
.LBB88_47:
	s_or_b32 exec_lo, exec_lo, s4
	s_waitcnt_vscnt null, 0x0
	s_barrier
	buffer_gl0_inv
	s_clause 0x1
	buffer_load_dword v55, off, s[0:3], 0 offset:72
	buffer_load_dword v56, off, s[0:3], 0 offset:76
	s_mov_b32 s4, exec_lo
	s_waitcnt vmcnt(0)
	ds_write_b64 v54, v[55:56]
	s_waitcnt lgkmcnt(0)
	s_barrier
	buffer_gl0_inv
	v_cmpx_gt_u32_e32 9, v0
	s_cbranch_execz .LBB88_51
; %bb.48:
	v_add_nc_u32_e32 v55, -1, v0
	v_add_nc_u32_e32 v56, 0xd0, v53
	v_mov_b32_e32 v57, v53
	v_mov_b32_e32 v52, 0
	;; [unrolled: 1-line block ×3, first 2 shown]
	s_mov_b32 s5, 0
	.p2align	6
.LBB88_49:                              ; =>This Inner Loop Header: Depth=1
	s_clause 0x1
	buffer_load_dword v61, v57, s[0:3], 0 offen offset:4
	buffer_load_dword v62, v57, s[0:3], 0 offen
	ds_read_b64 v[59:60], v56
	v_add_nc_u32_e32 v55, 1, v55
	v_add_nc_u32_e32 v56, 8, v56
	;; [unrolled: 1-line block ×3, first 2 shown]
	v_cmp_lt_u32_e32 vcc_lo, 7, v55
	s_or_b32 s5, vcc_lo, s5
	s_waitcnt vmcnt(1) lgkmcnt(0)
	v_mul_f32_e32 v63, v60, v61
	v_mul_f32_e32 v61, v59, v61
	s_waitcnt vmcnt(0)
	v_fma_f32 v59, v59, v62, -v63
	v_fmac_f32_e32 v61, v60, v62
	v_add_f32_e32 v58, v58, v59
	v_add_f32_e32 v52, v52, v61
	s_andn2_b32 exec_lo, exec_lo, s5
	s_cbranch_execnz .LBB88_49
; %bb.50:
	s_or_b32 exec_lo, exec_lo, s5
	v_mov_b32_e32 v55, 0
	ds_read_b64 v[55:56], v55 offset:72
	s_waitcnt lgkmcnt(0)
	v_mul_f32_e32 v57, v52, v56
	v_mul_f32_e32 v56, v58, v56
	v_fma_f32 v57, v58, v55, -v57
	v_fmac_f32_e32 v56, v52, v55
	buffer_store_dword v57, off, s[0:3], 0 offset:72
	buffer_store_dword v56, off, s[0:3], 0 offset:76
.LBB88_51:
	s_or_b32 exec_lo, exec_lo, s4
	s_waitcnt_vscnt null, 0x0
	s_barrier
	buffer_gl0_inv
	s_clause 0x1
	buffer_load_dword v55, off, s[0:3], 0 offset:80
	buffer_load_dword v56, off, s[0:3], 0 offset:84
	s_mov_b32 s4, exec_lo
	s_waitcnt vmcnt(0)
	ds_write_b64 v54, v[55:56]
	s_waitcnt lgkmcnt(0)
	s_barrier
	buffer_gl0_inv
	v_cmpx_gt_u32_e32 10, v0
	s_cbranch_execz .LBB88_55
; %bb.52:
	v_add_nc_u32_e32 v55, -1, v0
	v_add_nc_u32_e32 v56, 0xd0, v53
	v_mov_b32_e32 v57, v53
	v_mov_b32_e32 v52, 0
	;; [unrolled: 1-line block ×3, first 2 shown]
	s_mov_b32 s5, 0
	.p2align	6
.LBB88_53:                              ; =>This Inner Loop Header: Depth=1
	s_clause 0x1
	buffer_load_dword v61, v57, s[0:3], 0 offen offset:4
	buffer_load_dword v62, v57, s[0:3], 0 offen
	ds_read_b64 v[59:60], v56
	v_add_nc_u32_e32 v55, 1, v55
	v_add_nc_u32_e32 v56, 8, v56
	;; [unrolled: 1-line block ×3, first 2 shown]
	v_cmp_lt_u32_e32 vcc_lo, 8, v55
	s_or_b32 s5, vcc_lo, s5
	s_waitcnt vmcnt(1) lgkmcnt(0)
	v_mul_f32_e32 v63, v60, v61
	v_mul_f32_e32 v61, v59, v61
	s_waitcnt vmcnt(0)
	v_fma_f32 v59, v59, v62, -v63
	v_fmac_f32_e32 v61, v60, v62
	v_add_f32_e32 v58, v58, v59
	v_add_f32_e32 v52, v52, v61
	s_andn2_b32 exec_lo, exec_lo, s5
	s_cbranch_execnz .LBB88_53
; %bb.54:
	s_or_b32 exec_lo, exec_lo, s5
	v_mov_b32_e32 v55, 0
	ds_read_b64 v[55:56], v55 offset:80
	s_waitcnt lgkmcnt(0)
	v_mul_f32_e32 v57, v52, v56
	v_mul_f32_e32 v56, v58, v56
	v_fma_f32 v57, v58, v55, -v57
	v_fmac_f32_e32 v56, v52, v55
	buffer_store_dword v57, off, s[0:3], 0 offset:80
	buffer_store_dword v56, off, s[0:3], 0 offset:84
.LBB88_55:
	s_or_b32 exec_lo, exec_lo, s4
	s_waitcnt_vscnt null, 0x0
	s_barrier
	buffer_gl0_inv
	s_clause 0x1
	buffer_load_dword v55, off, s[0:3], 0 offset:88
	buffer_load_dword v56, off, s[0:3], 0 offset:92
	s_mov_b32 s4, exec_lo
	s_waitcnt vmcnt(0)
	ds_write_b64 v54, v[55:56]
	s_waitcnt lgkmcnt(0)
	s_barrier
	buffer_gl0_inv
	v_cmpx_gt_u32_e32 11, v0
	s_cbranch_execz .LBB88_59
; %bb.56:
	v_add_nc_u32_e32 v55, -1, v0
	v_add_nc_u32_e32 v56, 0xd0, v53
	v_mov_b32_e32 v57, v53
	v_mov_b32_e32 v52, 0
	v_mov_b32_e32 v58, 0
	s_mov_b32 s5, 0
	.p2align	6
.LBB88_57:                              ; =>This Inner Loop Header: Depth=1
	s_clause 0x1
	buffer_load_dword v61, v57, s[0:3], 0 offen offset:4
	buffer_load_dword v62, v57, s[0:3], 0 offen
	ds_read_b64 v[59:60], v56
	v_add_nc_u32_e32 v55, 1, v55
	v_add_nc_u32_e32 v56, 8, v56
	;; [unrolled: 1-line block ×3, first 2 shown]
	v_cmp_lt_u32_e32 vcc_lo, 9, v55
	s_or_b32 s5, vcc_lo, s5
	s_waitcnt vmcnt(1) lgkmcnt(0)
	v_mul_f32_e32 v63, v60, v61
	v_mul_f32_e32 v61, v59, v61
	s_waitcnt vmcnt(0)
	v_fma_f32 v59, v59, v62, -v63
	v_fmac_f32_e32 v61, v60, v62
	v_add_f32_e32 v58, v58, v59
	v_add_f32_e32 v52, v52, v61
	s_andn2_b32 exec_lo, exec_lo, s5
	s_cbranch_execnz .LBB88_57
; %bb.58:
	s_or_b32 exec_lo, exec_lo, s5
	v_mov_b32_e32 v55, 0
	ds_read_b64 v[55:56], v55 offset:88
	s_waitcnt lgkmcnt(0)
	v_mul_f32_e32 v57, v52, v56
	v_mul_f32_e32 v56, v58, v56
	v_fma_f32 v57, v58, v55, -v57
	v_fmac_f32_e32 v56, v52, v55
	buffer_store_dword v57, off, s[0:3], 0 offset:88
	buffer_store_dword v56, off, s[0:3], 0 offset:92
.LBB88_59:
	s_or_b32 exec_lo, exec_lo, s4
	s_waitcnt_vscnt null, 0x0
	s_barrier
	buffer_gl0_inv
	s_clause 0x1
	buffer_load_dword v55, off, s[0:3], 0 offset:96
	buffer_load_dword v56, off, s[0:3], 0 offset:100
	s_mov_b32 s4, exec_lo
	s_waitcnt vmcnt(0)
	ds_write_b64 v54, v[55:56]
	s_waitcnt lgkmcnt(0)
	s_barrier
	buffer_gl0_inv
	v_cmpx_gt_u32_e32 12, v0
	s_cbranch_execz .LBB88_63
; %bb.60:
	v_add_nc_u32_e32 v55, -1, v0
	v_add_nc_u32_e32 v56, 0xd0, v53
	v_mov_b32_e32 v57, v53
	v_mov_b32_e32 v52, 0
	;; [unrolled: 1-line block ×3, first 2 shown]
	s_mov_b32 s5, 0
	.p2align	6
.LBB88_61:                              ; =>This Inner Loop Header: Depth=1
	s_clause 0x1
	buffer_load_dword v61, v57, s[0:3], 0 offen offset:4
	buffer_load_dword v62, v57, s[0:3], 0 offen
	ds_read_b64 v[59:60], v56
	v_add_nc_u32_e32 v55, 1, v55
	v_add_nc_u32_e32 v56, 8, v56
	;; [unrolled: 1-line block ×3, first 2 shown]
	v_cmp_lt_u32_e32 vcc_lo, 10, v55
	s_or_b32 s5, vcc_lo, s5
	s_waitcnt vmcnt(1) lgkmcnt(0)
	v_mul_f32_e32 v63, v60, v61
	v_mul_f32_e32 v61, v59, v61
	s_waitcnt vmcnt(0)
	v_fma_f32 v59, v59, v62, -v63
	v_fmac_f32_e32 v61, v60, v62
	v_add_f32_e32 v58, v58, v59
	v_add_f32_e32 v52, v52, v61
	s_andn2_b32 exec_lo, exec_lo, s5
	s_cbranch_execnz .LBB88_61
; %bb.62:
	s_or_b32 exec_lo, exec_lo, s5
	v_mov_b32_e32 v55, 0
	ds_read_b64 v[55:56], v55 offset:96
	s_waitcnt lgkmcnt(0)
	v_mul_f32_e32 v57, v52, v56
	v_mul_f32_e32 v56, v58, v56
	v_fma_f32 v57, v58, v55, -v57
	v_fmac_f32_e32 v56, v52, v55
	buffer_store_dword v57, off, s[0:3], 0 offset:96
	buffer_store_dword v56, off, s[0:3], 0 offset:100
.LBB88_63:
	s_or_b32 exec_lo, exec_lo, s4
	s_waitcnt_vscnt null, 0x0
	s_barrier
	buffer_gl0_inv
	s_clause 0x1
	buffer_load_dword v55, off, s[0:3], 0 offset:104
	buffer_load_dword v56, off, s[0:3], 0 offset:108
	s_mov_b32 s4, exec_lo
	s_waitcnt vmcnt(0)
	ds_write_b64 v54, v[55:56]
	s_waitcnt lgkmcnt(0)
	s_barrier
	buffer_gl0_inv
	v_cmpx_gt_u32_e32 13, v0
	s_cbranch_execz .LBB88_67
; %bb.64:
	v_add_nc_u32_e32 v55, -1, v0
	v_add_nc_u32_e32 v56, 0xd0, v53
	v_mov_b32_e32 v57, v53
	v_mov_b32_e32 v52, 0
	;; [unrolled: 1-line block ×3, first 2 shown]
	s_mov_b32 s5, 0
	.p2align	6
.LBB88_65:                              ; =>This Inner Loop Header: Depth=1
	s_clause 0x1
	buffer_load_dword v61, v57, s[0:3], 0 offen offset:4
	buffer_load_dword v62, v57, s[0:3], 0 offen
	ds_read_b64 v[59:60], v56
	v_add_nc_u32_e32 v55, 1, v55
	v_add_nc_u32_e32 v56, 8, v56
	;; [unrolled: 1-line block ×3, first 2 shown]
	v_cmp_lt_u32_e32 vcc_lo, 11, v55
	s_or_b32 s5, vcc_lo, s5
	s_waitcnt vmcnt(1) lgkmcnt(0)
	v_mul_f32_e32 v63, v60, v61
	v_mul_f32_e32 v61, v59, v61
	s_waitcnt vmcnt(0)
	v_fma_f32 v59, v59, v62, -v63
	v_fmac_f32_e32 v61, v60, v62
	v_add_f32_e32 v58, v58, v59
	v_add_f32_e32 v52, v52, v61
	s_andn2_b32 exec_lo, exec_lo, s5
	s_cbranch_execnz .LBB88_65
; %bb.66:
	s_or_b32 exec_lo, exec_lo, s5
	v_mov_b32_e32 v55, 0
	ds_read_b64 v[55:56], v55 offset:104
	s_waitcnt lgkmcnt(0)
	v_mul_f32_e32 v57, v52, v56
	v_mul_f32_e32 v56, v58, v56
	v_fma_f32 v57, v58, v55, -v57
	v_fmac_f32_e32 v56, v52, v55
	buffer_store_dword v57, off, s[0:3], 0 offset:104
	buffer_store_dword v56, off, s[0:3], 0 offset:108
.LBB88_67:
	s_or_b32 exec_lo, exec_lo, s4
	s_waitcnt_vscnt null, 0x0
	s_barrier
	buffer_gl0_inv
	s_clause 0x1
	buffer_load_dword v55, off, s[0:3], 0 offset:112
	buffer_load_dword v56, off, s[0:3], 0 offset:116
	s_mov_b32 s4, exec_lo
	s_waitcnt vmcnt(0)
	ds_write_b64 v54, v[55:56]
	s_waitcnt lgkmcnt(0)
	s_barrier
	buffer_gl0_inv
	v_cmpx_gt_u32_e32 14, v0
	s_cbranch_execz .LBB88_71
; %bb.68:
	v_add_nc_u32_e32 v55, -1, v0
	v_add_nc_u32_e32 v56, 0xd0, v53
	v_mov_b32_e32 v57, v53
	v_mov_b32_e32 v52, 0
	;; [unrolled: 1-line block ×3, first 2 shown]
	s_mov_b32 s5, 0
	.p2align	6
.LBB88_69:                              ; =>This Inner Loop Header: Depth=1
	s_clause 0x1
	buffer_load_dword v61, v57, s[0:3], 0 offen offset:4
	buffer_load_dword v62, v57, s[0:3], 0 offen
	ds_read_b64 v[59:60], v56
	v_add_nc_u32_e32 v55, 1, v55
	v_add_nc_u32_e32 v56, 8, v56
	v_add_nc_u32_e32 v57, 8, v57
	v_cmp_lt_u32_e32 vcc_lo, 12, v55
	s_or_b32 s5, vcc_lo, s5
	s_waitcnt vmcnt(1) lgkmcnt(0)
	v_mul_f32_e32 v63, v60, v61
	v_mul_f32_e32 v61, v59, v61
	s_waitcnt vmcnt(0)
	v_fma_f32 v59, v59, v62, -v63
	v_fmac_f32_e32 v61, v60, v62
	v_add_f32_e32 v58, v58, v59
	v_add_f32_e32 v52, v52, v61
	s_andn2_b32 exec_lo, exec_lo, s5
	s_cbranch_execnz .LBB88_69
; %bb.70:
	s_or_b32 exec_lo, exec_lo, s5
	v_mov_b32_e32 v55, 0
	ds_read_b64 v[55:56], v55 offset:112
	s_waitcnt lgkmcnt(0)
	v_mul_f32_e32 v57, v52, v56
	v_mul_f32_e32 v56, v58, v56
	v_fma_f32 v57, v58, v55, -v57
	v_fmac_f32_e32 v56, v52, v55
	buffer_store_dword v57, off, s[0:3], 0 offset:112
	buffer_store_dword v56, off, s[0:3], 0 offset:116
.LBB88_71:
	s_or_b32 exec_lo, exec_lo, s4
	s_waitcnt_vscnt null, 0x0
	s_barrier
	buffer_gl0_inv
	s_clause 0x1
	buffer_load_dword v55, off, s[0:3], 0 offset:120
	buffer_load_dword v56, off, s[0:3], 0 offset:124
	s_mov_b32 s4, exec_lo
	s_waitcnt vmcnt(0)
	ds_write_b64 v54, v[55:56]
	s_waitcnt lgkmcnt(0)
	s_barrier
	buffer_gl0_inv
	v_cmpx_gt_u32_e32 15, v0
	s_cbranch_execz .LBB88_75
; %bb.72:
	v_add_nc_u32_e32 v55, -1, v0
	v_add_nc_u32_e32 v56, 0xd0, v53
	v_mov_b32_e32 v57, v53
	v_mov_b32_e32 v52, 0
	;; [unrolled: 1-line block ×3, first 2 shown]
	s_mov_b32 s5, 0
	.p2align	6
.LBB88_73:                              ; =>This Inner Loop Header: Depth=1
	s_clause 0x1
	buffer_load_dword v61, v57, s[0:3], 0 offen offset:4
	buffer_load_dword v62, v57, s[0:3], 0 offen
	ds_read_b64 v[59:60], v56
	v_add_nc_u32_e32 v55, 1, v55
	v_add_nc_u32_e32 v56, 8, v56
	;; [unrolled: 1-line block ×3, first 2 shown]
	v_cmp_lt_u32_e32 vcc_lo, 13, v55
	s_or_b32 s5, vcc_lo, s5
	s_waitcnt vmcnt(1) lgkmcnt(0)
	v_mul_f32_e32 v63, v60, v61
	v_mul_f32_e32 v61, v59, v61
	s_waitcnt vmcnt(0)
	v_fma_f32 v59, v59, v62, -v63
	v_fmac_f32_e32 v61, v60, v62
	v_add_f32_e32 v58, v58, v59
	v_add_f32_e32 v52, v52, v61
	s_andn2_b32 exec_lo, exec_lo, s5
	s_cbranch_execnz .LBB88_73
; %bb.74:
	s_or_b32 exec_lo, exec_lo, s5
	v_mov_b32_e32 v55, 0
	ds_read_b64 v[55:56], v55 offset:120
	s_waitcnt lgkmcnt(0)
	v_mul_f32_e32 v57, v52, v56
	v_mul_f32_e32 v56, v58, v56
	v_fma_f32 v57, v58, v55, -v57
	v_fmac_f32_e32 v56, v52, v55
	buffer_store_dword v57, off, s[0:3], 0 offset:120
	buffer_store_dword v56, off, s[0:3], 0 offset:124
.LBB88_75:
	s_or_b32 exec_lo, exec_lo, s4
	s_waitcnt_vscnt null, 0x0
	s_barrier
	buffer_gl0_inv
	s_clause 0x1
	buffer_load_dword v55, off, s[0:3], 0 offset:128
	buffer_load_dword v56, off, s[0:3], 0 offset:132
	s_mov_b32 s4, exec_lo
	s_waitcnt vmcnt(0)
	ds_write_b64 v54, v[55:56]
	s_waitcnt lgkmcnt(0)
	s_barrier
	buffer_gl0_inv
	v_cmpx_gt_u32_e32 16, v0
	s_cbranch_execz .LBB88_79
; %bb.76:
	v_add_nc_u32_e32 v55, -1, v0
	v_add_nc_u32_e32 v56, 0xd0, v53
	v_mov_b32_e32 v57, v53
	v_mov_b32_e32 v52, 0
	;; [unrolled: 1-line block ×3, first 2 shown]
	s_mov_b32 s5, 0
	.p2align	6
.LBB88_77:                              ; =>This Inner Loop Header: Depth=1
	s_clause 0x1
	buffer_load_dword v61, v57, s[0:3], 0 offen offset:4
	buffer_load_dword v62, v57, s[0:3], 0 offen
	ds_read_b64 v[59:60], v56
	v_add_nc_u32_e32 v55, 1, v55
	v_add_nc_u32_e32 v56, 8, v56
	;; [unrolled: 1-line block ×3, first 2 shown]
	v_cmp_lt_u32_e32 vcc_lo, 14, v55
	s_or_b32 s5, vcc_lo, s5
	s_waitcnt vmcnt(1) lgkmcnt(0)
	v_mul_f32_e32 v63, v60, v61
	v_mul_f32_e32 v61, v59, v61
	s_waitcnt vmcnt(0)
	v_fma_f32 v59, v59, v62, -v63
	v_fmac_f32_e32 v61, v60, v62
	v_add_f32_e32 v58, v58, v59
	v_add_f32_e32 v52, v52, v61
	s_andn2_b32 exec_lo, exec_lo, s5
	s_cbranch_execnz .LBB88_77
; %bb.78:
	s_or_b32 exec_lo, exec_lo, s5
	v_mov_b32_e32 v55, 0
	ds_read_b64 v[55:56], v55 offset:128
	s_waitcnt lgkmcnt(0)
	v_mul_f32_e32 v57, v52, v56
	v_mul_f32_e32 v56, v58, v56
	v_fma_f32 v57, v58, v55, -v57
	v_fmac_f32_e32 v56, v52, v55
	buffer_store_dword v57, off, s[0:3], 0 offset:128
	buffer_store_dword v56, off, s[0:3], 0 offset:132
.LBB88_79:
	s_or_b32 exec_lo, exec_lo, s4
	s_waitcnt_vscnt null, 0x0
	s_barrier
	buffer_gl0_inv
	s_clause 0x1
	buffer_load_dword v55, off, s[0:3], 0 offset:136
	buffer_load_dword v56, off, s[0:3], 0 offset:140
	s_mov_b32 s4, exec_lo
	s_waitcnt vmcnt(0)
	ds_write_b64 v54, v[55:56]
	s_waitcnt lgkmcnt(0)
	s_barrier
	buffer_gl0_inv
	v_cmpx_gt_u32_e32 17, v0
	s_cbranch_execz .LBB88_83
; %bb.80:
	v_add_nc_u32_e32 v55, -1, v0
	v_add_nc_u32_e32 v56, 0xd0, v53
	v_mov_b32_e32 v57, v53
	v_mov_b32_e32 v52, 0
	;; [unrolled: 1-line block ×3, first 2 shown]
	s_mov_b32 s5, 0
	.p2align	6
.LBB88_81:                              ; =>This Inner Loop Header: Depth=1
	s_clause 0x1
	buffer_load_dword v61, v57, s[0:3], 0 offen offset:4
	buffer_load_dword v62, v57, s[0:3], 0 offen
	ds_read_b64 v[59:60], v56
	v_add_nc_u32_e32 v55, 1, v55
	v_add_nc_u32_e32 v56, 8, v56
	v_add_nc_u32_e32 v57, 8, v57
	v_cmp_lt_u32_e32 vcc_lo, 15, v55
	s_or_b32 s5, vcc_lo, s5
	s_waitcnt vmcnt(1) lgkmcnt(0)
	v_mul_f32_e32 v63, v60, v61
	v_mul_f32_e32 v61, v59, v61
	s_waitcnt vmcnt(0)
	v_fma_f32 v59, v59, v62, -v63
	v_fmac_f32_e32 v61, v60, v62
	v_add_f32_e32 v58, v58, v59
	v_add_f32_e32 v52, v52, v61
	s_andn2_b32 exec_lo, exec_lo, s5
	s_cbranch_execnz .LBB88_81
; %bb.82:
	s_or_b32 exec_lo, exec_lo, s5
	v_mov_b32_e32 v55, 0
	ds_read_b64 v[55:56], v55 offset:136
	s_waitcnt lgkmcnt(0)
	v_mul_f32_e32 v57, v52, v56
	v_mul_f32_e32 v56, v58, v56
	v_fma_f32 v57, v58, v55, -v57
	v_fmac_f32_e32 v56, v52, v55
	buffer_store_dword v57, off, s[0:3], 0 offset:136
	buffer_store_dword v56, off, s[0:3], 0 offset:140
.LBB88_83:
	s_or_b32 exec_lo, exec_lo, s4
	s_waitcnt_vscnt null, 0x0
	s_barrier
	buffer_gl0_inv
	s_clause 0x1
	buffer_load_dword v55, off, s[0:3], 0 offset:144
	buffer_load_dword v56, off, s[0:3], 0 offset:148
	s_mov_b32 s4, exec_lo
	s_waitcnt vmcnt(0)
	ds_write_b64 v54, v[55:56]
	s_waitcnt lgkmcnt(0)
	s_barrier
	buffer_gl0_inv
	v_cmpx_gt_u32_e32 18, v0
	s_cbranch_execz .LBB88_87
; %bb.84:
	v_add_nc_u32_e32 v55, -1, v0
	v_add_nc_u32_e32 v56, 0xd0, v53
	v_mov_b32_e32 v57, v53
	v_mov_b32_e32 v52, 0
	;; [unrolled: 1-line block ×3, first 2 shown]
	s_mov_b32 s5, 0
	.p2align	6
.LBB88_85:                              ; =>This Inner Loop Header: Depth=1
	s_clause 0x1
	buffer_load_dword v61, v57, s[0:3], 0 offen offset:4
	buffer_load_dword v62, v57, s[0:3], 0 offen
	ds_read_b64 v[59:60], v56
	v_add_nc_u32_e32 v55, 1, v55
	v_add_nc_u32_e32 v56, 8, v56
	;; [unrolled: 1-line block ×3, first 2 shown]
	v_cmp_lt_u32_e32 vcc_lo, 16, v55
	s_or_b32 s5, vcc_lo, s5
	s_waitcnt vmcnt(1) lgkmcnt(0)
	v_mul_f32_e32 v63, v60, v61
	v_mul_f32_e32 v61, v59, v61
	s_waitcnt vmcnt(0)
	v_fma_f32 v59, v59, v62, -v63
	v_fmac_f32_e32 v61, v60, v62
	v_add_f32_e32 v58, v58, v59
	v_add_f32_e32 v52, v52, v61
	s_andn2_b32 exec_lo, exec_lo, s5
	s_cbranch_execnz .LBB88_85
; %bb.86:
	s_or_b32 exec_lo, exec_lo, s5
	v_mov_b32_e32 v55, 0
	ds_read_b64 v[55:56], v55 offset:144
	s_waitcnt lgkmcnt(0)
	v_mul_f32_e32 v57, v52, v56
	v_mul_f32_e32 v56, v58, v56
	v_fma_f32 v57, v58, v55, -v57
	v_fmac_f32_e32 v56, v52, v55
	buffer_store_dword v57, off, s[0:3], 0 offset:144
	buffer_store_dword v56, off, s[0:3], 0 offset:148
.LBB88_87:
	s_or_b32 exec_lo, exec_lo, s4
	s_waitcnt_vscnt null, 0x0
	s_barrier
	buffer_gl0_inv
	s_clause 0x1
	buffer_load_dword v55, off, s[0:3], 0 offset:152
	buffer_load_dword v56, off, s[0:3], 0 offset:156
	s_mov_b32 s4, exec_lo
	s_waitcnt vmcnt(0)
	ds_write_b64 v54, v[55:56]
	s_waitcnt lgkmcnt(0)
	s_barrier
	buffer_gl0_inv
	v_cmpx_gt_u32_e32 19, v0
	s_cbranch_execz .LBB88_91
; %bb.88:
	v_add_nc_u32_e32 v55, -1, v0
	v_add_nc_u32_e32 v56, 0xd0, v53
	v_mov_b32_e32 v57, v53
	v_mov_b32_e32 v52, 0
	;; [unrolled: 1-line block ×3, first 2 shown]
	s_mov_b32 s5, 0
	.p2align	6
.LBB88_89:                              ; =>This Inner Loop Header: Depth=1
	s_clause 0x1
	buffer_load_dword v61, v57, s[0:3], 0 offen offset:4
	buffer_load_dword v62, v57, s[0:3], 0 offen
	ds_read_b64 v[59:60], v56
	v_add_nc_u32_e32 v55, 1, v55
	v_add_nc_u32_e32 v56, 8, v56
	;; [unrolled: 1-line block ×3, first 2 shown]
	v_cmp_lt_u32_e32 vcc_lo, 17, v55
	s_or_b32 s5, vcc_lo, s5
	s_waitcnt vmcnt(1) lgkmcnt(0)
	v_mul_f32_e32 v63, v60, v61
	v_mul_f32_e32 v61, v59, v61
	s_waitcnt vmcnt(0)
	v_fma_f32 v59, v59, v62, -v63
	v_fmac_f32_e32 v61, v60, v62
	v_add_f32_e32 v58, v58, v59
	v_add_f32_e32 v52, v52, v61
	s_andn2_b32 exec_lo, exec_lo, s5
	s_cbranch_execnz .LBB88_89
; %bb.90:
	s_or_b32 exec_lo, exec_lo, s5
	v_mov_b32_e32 v55, 0
	ds_read_b64 v[55:56], v55 offset:152
	s_waitcnt lgkmcnt(0)
	v_mul_f32_e32 v57, v52, v56
	v_mul_f32_e32 v56, v58, v56
	v_fma_f32 v57, v58, v55, -v57
	v_fmac_f32_e32 v56, v52, v55
	buffer_store_dword v57, off, s[0:3], 0 offset:152
	buffer_store_dword v56, off, s[0:3], 0 offset:156
.LBB88_91:
	s_or_b32 exec_lo, exec_lo, s4
	s_waitcnt_vscnt null, 0x0
	s_barrier
	buffer_gl0_inv
	s_clause 0x1
	buffer_load_dword v55, off, s[0:3], 0 offset:160
	buffer_load_dword v56, off, s[0:3], 0 offset:164
	s_mov_b32 s4, exec_lo
	s_waitcnt vmcnt(0)
	ds_write_b64 v54, v[55:56]
	s_waitcnt lgkmcnt(0)
	s_barrier
	buffer_gl0_inv
	v_cmpx_gt_u32_e32 20, v0
	s_cbranch_execz .LBB88_95
; %bb.92:
	v_add_nc_u32_e32 v55, -1, v0
	v_add_nc_u32_e32 v56, 0xd0, v53
	v_mov_b32_e32 v57, v53
	v_mov_b32_e32 v52, 0
	;; [unrolled: 1-line block ×3, first 2 shown]
	s_mov_b32 s5, 0
	.p2align	6
.LBB88_93:                              ; =>This Inner Loop Header: Depth=1
	s_clause 0x1
	buffer_load_dword v61, v57, s[0:3], 0 offen offset:4
	buffer_load_dword v62, v57, s[0:3], 0 offen
	ds_read_b64 v[59:60], v56
	v_add_nc_u32_e32 v55, 1, v55
	v_add_nc_u32_e32 v56, 8, v56
	;; [unrolled: 1-line block ×3, first 2 shown]
	v_cmp_lt_u32_e32 vcc_lo, 18, v55
	s_or_b32 s5, vcc_lo, s5
	s_waitcnt vmcnt(1) lgkmcnt(0)
	v_mul_f32_e32 v63, v60, v61
	v_mul_f32_e32 v61, v59, v61
	s_waitcnt vmcnt(0)
	v_fma_f32 v59, v59, v62, -v63
	v_fmac_f32_e32 v61, v60, v62
	v_add_f32_e32 v58, v58, v59
	v_add_f32_e32 v52, v52, v61
	s_andn2_b32 exec_lo, exec_lo, s5
	s_cbranch_execnz .LBB88_93
; %bb.94:
	s_or_b32 exec_lo, exec_lo, s5
	v_mov_b32_e32 v55, 0
	ds_read_b64 v[55:56], v55 offset:160
	s_waitcnt lgkmcnt(0)
	v_mul_f32_e32 v57, v52, v56
	v_mul_f32_e32 v56, v58, v56
	v_fma_f32 v57, v58, v55, -v57
	v_fmac_f32_e32 v56, v52, v55
	buffer_store_dword v57, off, s[0:3], 0 offset:160
	buffer_store_dword v56, off, s[0:3], 0 offset:164
.LBB88_95:
	s_or_b32 exec_lo, exec_lo, s4
	s_waitcnt_vscnt null, 0x0
	s_barrier
	buffer_gl0_inv
	s_clause 0x1
	buffer_load_dword v55, off, s[0:3], 0 offset:168
	buffer_load_dword v56, off, s[0:3], 0 offset:172
	s_mov_b32 s4, exec_lo
	s_waitcnt vmcnt(0)
	ds_write_b64 v54, v[55:56]
	s_waitcnt lgkmcnt(0)
	s_barrier
	buffer_gl0_inv
	v_cmpx_gt_u32_e32 21, v0
	s_cbranch_execz .LBB88_99
; %bb.96:
	v_add_nc_u32_e32 v55, -1, v0
	v_add_nc_u32_e32 v56, 0xd0, v53
	v_mov_b32_e32 v57, v53
	v_mov_b32_e32 v52, 0
	;; [unrolled: 1-line block ×3, first 2 shown]
	s_mov_b32 s5, 0
	.p2align	6
.LBB88_97:                              ; =>This Inner Loop Header: Depth=1
	s_clause 0x1
	buffer_load_dword v61, v57, s[0:3], 0 offen offset:4
	buffer_load_dword v62, v57, s[0:3], 0 offen
	ds_read_b64 v[59:60], v56
	v_add_nc_u32_e32 v55, 1, v55
	v_add_nc_u32_e32 v56, 8, v56
	;; [unrolled: 1-line block ×3, first 2 shown]
	v_cmp_lt_u32_e32 vcc_lo, 19, v55
	s_or_b32 s5, vcc_lo, s5
	s_waitcnt vmcnt(1) lgkmcnt(0)
	v_mul_f32_e32 v63, v60, v61
	v_mul_f32_e32 v61, v59, v61
	s_waitcnt vmcnt(0)
	v_fma_f32 v59, v59, v62, -v63
	v_fmac_f32_e32 v61, v60, v62
	v_add_f32_e32 v58, v58, v59
	v_add_f32_e32 v52, v52, v61
	s_andn2_b32 exec_lo, exec_lo, s5
	s_cbranch_execnz .LBB88_97
; %bb.98:
	s_or_b32 exec_lo, exec_lo, s5
	v_mov_b32_e32 v55, 0
	ds_read_b64 v[55:56], v55 offset:168
	s_waitcnt lgkmcnt(0)
	v_mul_f32_e32 v57, v52, v56
	v_mul_f32_e32 v56, v58, v56
	v_fma_f32 v57, v58, v55, -v57
	v_fmac_f32_e32 v56, v52, v55
	buffer_store_dword v57, off, s[0:3], 0 offset:168
	buffer_store_dword v56, off, s[0:3], 0 offset:172
.LBB88_99:
	s_or_b32 exec_lo, exec_lo, s4
	s_waitcnt_vscnt null, 0x0
	s_barrier
	buffer_gl0_inv
	s_clause 0x1
	buffer_load_dword v55, off, s[0:3], 0 offset:176
	buffer_load_dword v56, off, s[0:3], 0 offset:180
	s_mov_b32 s4, exec_lo
	s_waitcnt vmcnt(0)
	ds_write_b64 v54, v[55:56]
	s_waitcnt lgkmcnt(0)
	s_barrier
	buffer_gl0_inv
	v_cmpx_gt_u32_e32 22, v0
	s_cbranch_execz .LBB88_103
; %bb.100:
	v_add_nc_u32_e32 v55, -1, v0
	v_add_nc_u32_e32 v56, 0xd0, v53
	v_mov_b32_e32 v57, v53
	v_mov_b32_e32 v52, 0
	;; [unrolled: 1-line block ×3, first 2 shown]
	s_mov_b32 s5, 0
	.p2align	6
.LBB88_101:                             ; =>This Inner Loop Header: Depth=1
	s_clause 0x1
	buffer_load_dword v61, v57, s[0:3], 0 offen offset:4
	buffer_load_dword v62, v57, s[0:3], 0 offen
	ds_read_b64 v[59:60], v56
	v_add_nc_u32_e32 v55, 1, v55
	v_add_nc_u32_e32 v56, 8, v56
	;; [unrolled: 1-line block ×3, first 2 shown]
	v_cmp_lt_u32_e32 vcc_lo, 20, v55
	s_or_b32 s5, vcc_lo, s5
	s_waitcnt vmcnt(1) lgkmcnt(0)
	v_mul_f32_e32 v63, v60, v61
	v_mul_f32_e32 v61, v59, v61
	s_waitcnt vmcnt(0)
	v_fma_f32 v59, v59, v62, -v63
	v_fmac_f32_e32 v61, v60, v62
	v_add_f32_e32 v58, v58, v59
	v_add_f32_e32 v52, v52, v61
	s_andn2_b32 exec_lo, exec_lo, s5
	s_cbranch_execnz .LBB88_101
; %bb.102:
	s_or_b32 exec_lo, exec_lo, s5
	v_mov_b32_e32 v55, 0
	ds_read_b64 v[55:56], v55 offset:176
	s_waitcnt lgkmcnt(0)
	v_mul_f32_e32 v57, v52, v56
	v_mul_f32_e32 v56, v58, v56
	v_fma_f32 v57, v58, v55, -v57
	v_fmac_f32_e32 v56, v52, v55
	buffer_store_dword v57, off, s[0:3], 0 offset:176
	buffer_store_dword v56, off, s[0:3], 0 offset:180
.LBB88_103:
	s_or_b32 exec_lo, exec_lo, s4
	s_waitcnt_vscnt null, 0x0
	s_barrier
	buffer_gl0_inv
	s_clause 0x1
	buffer_load_dword v55, off, s[0:3], 0 offset:184
	buffer_load_dword v56, off, s[0:3], 0 offset:188
	s_mov_b32 s4, exec_lo
	s_waitcnt vmcnt(0)
	ds_write_b64 v54, v[55:56]
	s_waitcnt lgkmcnt(0)
	s_barrier
	buffer_gl0_inv
	v_cmpx_gt_u32_e32 23, v0
	s_cbranch_execz .LBB88_107
; %bb.104:
	v_add_nc_u32_e32 v55, -1, v0
	v_add_nc_u32_e32 v56, 0xd0, v53
	v_mov_b32_e32 v57, v53
	v_mov_b32_e32 v52, 0
	;; [unrolled: 1-line block ×3, first 2 shown]
	s_mov_b32 s5, 0
	.p2align	6
.LBB88_105:                             ; =>This Inner Loop Header: Depth=1
	s_clause 0x1
	buffer_load_dword v61, v57, s[0:3], 0 offen offset:4
	buffer_load_dword v62, v57, s[0:3], 0 offen
	ds_read_b64 v[59:60], v56
	v_add_nc_u32_e32 v55, 1, v55
	v_add_nc_u32_e32 v56, 8, v56
	;; [unrolled: 1-line block ×3, first 2 shown]
	v_cmp_lt_u32_e32 vcc_lo, 21, v55
	s_or_b32 s5, vcc_lo, s5
	s_waitcnt vmcnt(1) lgkmcnt(0)
	v_mul_f32_e32 v63, v60, v61
	v_mul_f32_e32 v61, v59, v61
	s_waitcnt vmcnt(0)
	v_fma_f32 v59, v59, v62, -v63
	v_fmac_f32_e32 v61, v60, v62
	v_add_f32_e32 v58, v58, v59
	v_add_f32_e32 v52, v52, v61
	s_andn2_b32 exec_lo, exec_lo, s5
	s_cbranch_execnz .LBB88_105
; %bb.106:
	s_or_b32 exec_lo, exec_lo, s5
	v_mov_b32_e32 v55, 0
	ds_read_b64 v[55:56], v55 offset:184
	s_waitcnt lgkmcnt(0)
	v_mul_f32_e32 v57, v52, v56
	v_mul_f32_e32 v56, v58, v56
	v_fma_f32 v57, v58, v55, -v57
	v_fmac_f32_e32 v56, v52, v55
	buffer_store_dword v57, off, s[0:3], 0 offset:184
	buffer_store_dword v56, off, s[0:3], 0 offset:188
.LBB88_107:
	s_or_b32 exec_lo, exec_lo, s4
	s_waitcnt_vscnt null, 0x0
	s_barrier
	buffer_gl0_inv
	s_clause 0x1
	buffer_load_dword v55, off, s[0:3], 0 offset:192
	buffer_load_dword v56, off, s[0:3], 0 offset:196
	s_mov_b32 s4, exec_lo
	s_waitcnt vmcnt(0)
	ds_write_b64 v54, v[55:56]
	s_waitcnt lgkmcnt(0)
	s_barrier
	buffer_gl0_inv
	v_cmpx_ne_u32_e32 24, v0
	s_cbranch_execz .LBB88_111
; %bb.108:
	v_mov_b32_e32 v52, 0
	v_mov_b32_e32 v55, 0
	s_mov_b32 s5, 0
	.p2align	6
.LBB88_109:                             ; =>This Inner Loop Header: Depth=1
	s_clause 0x1
	buffer_load_dword v58, v53, s[0:3], 0 offen offset:4
	buffer_load_dword v59, v53, s[0:3], 0 offen
	ds_read_b64 v[56:57], v54
	v_add_nc_u32_e32 v51, 1, v51
	v_add_nc_u32_e32 v54, 8, v54
	;; [unrolled: 1-line block ×3, first 2 shown]
	v_cmp_lt_u32_e32 vcc_lo, 22, v51
	s_or_b32 s5, vcc_lo, s5
	s_waitcnt vmcnt(1) lgkmcnt(0)
	v_mul_f32_e32 v60, v57, v58
	v_mul_f32_e32 v58, v56, v58
	s_waitcnt vmcnt(0)
	v_fma_f32 v56, v56, v59, -v60
	v_fmac_f32_e32 v58, v57, v59
	v_add_f32_e32 v55, v55, v56
	v_add_f32_e32 v52, v52, v58
	s_andn2_b32 exec_lo, exec_lo, s5
	s_cbranch_execnz .LBB88_109
; %bb.110:
	s_or_b32 exec_lo, exec_lo, s5
	v_mov_b32_e32 v51, 0
	ds_read_b64 v[53:54], v51 offset:192
	s_waitcnt lgkmcnt(0)
	v_mul_f32_e32 v51, v52, v54
	v_mul_f32_e32 v54, v55, v54
	v_fma_f32 v51, v55, v53, -v51
	v_fmac_f32_e32 v54, v52, v53
	buffer_store_dword v51, off, s[0:3], 0 offset:192
	buffer_store_dword v54, off, s[0:3], 0 offset:196
.LBB88_111:
	s_or_b32 exec_lo, exec_lo, s4
	s_mov_b32 s5, -1
	s_waitcnt_vscnt null, 0x0
	s_barrier
	buffer_gl0_inv
.LBB88_112:
	s_and_b32 vcc_lo, exec_lo, s5
	s_cbranch_vccz .LBB88_114
; %bb.113:
	s_lshl_b64 s[4:5], s[6:7], 2
	v_mov_b32_e32 v51, 0
	s_add_u32 s4, s10, s4
	s_addc_u32 s5, s11, s5
	global_load_dword v51, v51, s[4:5]
	s_waitcnt vmcnt(0)
	v_cmp_ne_u32_e32 vcc_lo, 0, v51
	s_cbranch_vccz .LBB88_115
.LBB88_114:
	s_endpgm
.LBB88_115:
	v_lshl_add_u32 v51, v0, 3, 0xd0
	s_mov_b32 s4, exec_lo
	v_cmpx_eq_u32_e32 24, v0
	s_cbranch_execz .LBB88_117
; %bb.116:
	s_clause 0x1
	buffer_load_dword v52, off, s[0:3], 0 offset:184
	buffer_load_dword v53, off, s[0:3], 0 offset:188
	v_mov_b32_e32 v54, 0
	buffer_store_dword v54, off, s[0:3], 0 offset:184
	buffer_store_dword v54, off, s[0:3], 0 offset:188
	s_waitcnt vmcnt(0)
	ds_write_b64 v51, v[52:53]
.LBB88_117:
	s_or_b32 exec_lo, exec_lo, s4
	s_waitcnt lgkmcnt(0)
	s_waitcnt_vscnt null, 0x0
	s_barrier
	buffer_gl0_inv
	s_clause 0x3
	buffer_load_dword v55, off, s[0:3], 0 offset:196
	buffer_load_dword v56, off, s[0:3], 0 offset:192
	;; [unrolled: 1-line block ×4, first 2 shown]
	v_mov_b32_e32 v52, 0
	s_mov_b32 s4, exec_lo
	ds_read_b64 v[53:54], v52 offset:400
	s_waitcnt vmcnt(3) lgkmcnt(0)
	v_mul_f32_e32 v59, v54, v55
	v_mul_f32_e32 v55, v53, v55
	s_waitcnt vmcnt(2)
	v_fma_f32 v53, v53, v56, -v59
	v_fmac_f32_e32 v55, v54, v56
	v_add_f32_e32 v53, 0, v53
	v_add_f32_e32 v54, 0, v55
	s_waitcnt vmcnt(1)
	v_sub_f32_e32 v53, v57, v53
	s_waitcnt vmcnt(0)
	v_sub_f32_e32 v54, v58, v54
	buffer_store_dword v53, off, s[0:3], 0 offset:184
	buffer_store_dword v54, off, s[0:3], 0 offset:188
	v_cmpx_lt_u32_e32 22, v0
	s_cbranch_execz .LBB88_119
; %bb.118:
	s_clause 0x1
	buffer_load_dword v53, off, s[0:3], 0 offset:176
	buffer_load_dword v54, off, s[0:3], 0 offset:180
	buffer_store_dword v52, off, s[0:3], 0 offset:176
	buffer_store_dword v52, off, s[0:3], 0 offset:180
	s_waitcnt vmcnt(0)
	ds_write_b64 v51, v[53:54]
.LBB88_119:
	s_or_b32 exec_lo, exec_lo, s4
	s_waitcnt lgkmcnt(0)
	s_waitcnt_vscnt null, 0x0
	s_barrier
	buffer_gl0_inv
	s_clause 0x5
	buffer_load_dword v56, off, s[0:3], 0 offset:188
	buffer_load_dword v57, off, s[0:3], 0 offset:196
	buffer_load_dword v58, off, s[0:3], 0 offset:184
	buffer_load_dword v59, off, s[0:3], 0 offset:192
	buffer_load_dword v60, off, s[0:3], 0 offset:176
	buffer_load_dword v61, off, s[0:3], 0 offset:180
	ds_read2_b64 v[52:55], v52 offset0:49 offset1:50
	s_mov_b32 s4, exec_lo
	s_waitcnt vmcnt(5) lgkmcnt(0)
	v_mul_f32_e32 v62, v53, v56
	v_mul_f32_e32 v56, v52, v56
	s_waitcnt vmcnt(4)
	v_mul_f32_e32 v63, v54, v57
	v_mul_f32_e32 v57, v55, v57
	s_waitcnt vmcnt(3)
	v_fma_f32 v52, v52, v58, -v62
	v_fmac_f32_e32 v56, v53, v58
	s_waitcnt vmcnt(2)
	v_fmac_f32_e32 v63, v55, v59
	v_fma_f32 v53, v54, v59, -v57
	v_add_f32_e32 v52, 0, v52
	v_add_f32_e32 v54, 0, v56
	;; [unrolled: 1-line block ×4, first 2 shown]
	s_waitcnt vmcnt(1)
	v_sub_f32_e32 v52, v60, v52
	s_waitcnt vmcnt(0)
	v_sub_f32_e32 v53, v61, v53
	buffer_store_dword v52, off, s[0:3], 0 offset:176
	buffer_store_dword v53, off, s[0:3], 0 offset:180
	v_cmpx_lt_u32_e32 21, v0
	s_cbranch_execz .LBB88_121
; %bb.120:
	s_clause 0x1
	buffer_load_dword v52, off, s[0:3], 0 offset:168
	buffer_load_dword v53, off, s[0:3], 0 offset:172
	v_mov_b32_e32 v54, 0
	buffer_store_dword v54, off, s[0:3], 0 offset:168
	buffer_store_dword v54, off, s[0:3], 0 offset:172
	s_waitcnt vmcnt(0)
	ds_write_b64 v51, v[52:53]
.LBB88_121:
	s_or_b32 exec_lo, exec_lo, s4
	s_waitcnt lgkmcnt(0)
	s_waitcnt_vscnt null, 0x0
	s_barrier
	buffer_gl0_inv
	s_clause 0x7
	buffer_load_dword v59, off, s[0:3], 0 offset:180
	buffer_load_dword v60, off, s[0:3], 0 offset:188
	;; [unrolled: 1-line block ×8, first 2 shown]
	v_mov_b32_e32 v52, 0
	ds_read_b128 v[53:56], v52 offset:384
	ds_read_b64 v[57:58], v52 offset:400
	s_mov_b32 s4, exec_lo
	s_waitcnt vmcnt(7) lgkmcnt(1)
	v_mul_f32_e32 v67, v54, v59
	v_mul_f32_e32 v59, v53, v59
	s_waitcnt vmcnt(6)
	v_mul_f32_e32 v68, v55, v60
	v_mul_f32_e32 v60, v56, v60
	s_waitcnt vmcnt(5) lgkmcnt(0)
	v_mul_f32_e32 v69, v57, v61
	s_waitcnt vmcnt(4)
	v_fma_f32 v53, v53, v62, -v67
	v_fmac_f32_e32 v59, v54, v62
	v_mul_f32_e32 v54, v58, v61
	s_waitcnt vmcnt(3)
	v_fma_f32 v55, v55, v63, -v60
	v_fmac_f32_e32 v68, v56, v63
	v_add_f32_e32 v53, 0, v53
	v_add_f32_e32 v56, 0, v59
	s_waitcnt vmcnt(2)
	v_fma_f32 v54, v57, v64, -v54
	v_fmac_f32_e32 v69, v58, v64
	v_add_f32_e32 v53, v53, v55
	v_add_f32_e32 v55, v56, v68
	;; [unrolled: 1-line block ×4, first 2 shown]
	s_waitcnt vmcnt(1)
	v_sub_f32_e32 v53, v65, v53
	s_waitcnt vmcnt(0)
	v_sub_f32_e32 v54, v66, v54
	buffer_store_dword v53, off, s[0:3], 0 offset:168
	buffer_store_dword v54, off, s[0:3], 0 offset:172
	v_cmpx_lt_u32_e32 20, v0
	s_cbranch_execz .LBB88_123
; %bb.122:
	s_clause 0x1
	buffer_load_dword v53, off, s[0:3], 0 offset:160
	buffer_load_dword v54, off, s[0:3], 0 offset:164
	buffer_store_dword v52, off, s[0:3], 0 offset:160
	buffer_store_dword v52, off, s[0:3], 0 offset:164
	s_waitcnt vmcnt(0)
	ds_write_b64 v51, v[53:54]
.LBB88_123:
	s_or_b32 exec_lo, exec_lo, s4
	s_waitcnt lgkmcnt(0)
	s_waitcnt_vscnt null, 0x0
	s_barrier
	buffer_gl0_inv
	s_clause 0x9
	buffer_load_dword v61, off, s[0:3], 0 offset:172
	buffer_load_dword v62, off, s[0:3], 0 offset:180
	;; [unrolled: 1-line block ×10, first 2 shown]
	ds_read2_b64 v[53:56], v52 offset0:47 offset1:48
	ds_read2_b64 v[57:60], v52 offset0:49 offset1:50
	s_mov_b32 s4, exec_lo
	s_waitcnt vmcnt(9) lgkmcnt(1)
	v_mul_f32_e32 v52, v53, v61
	v_mul_f32_e32 v61, v54, v61
	s_waitcnt vmcnt(8)
	v_mul_f32_e32 v71, v55, v62
	v_mul_f32_e32 v62, v56, v62
	s_waitcnt vmcnt(7) lgkmcnt(0)
	v_mul_f32_e32 v72, v57, v63
	s_waitcnt vmcnt(5)
	v_fmac_f32_e32 v52, v54, v65
	v_fma_f32 v53, v53, v65, -v61
	v_mul_f32_e32 v54, v58, v63
	s_waitcnt vmcnt(4)
	v_fma_f32 v55, v55, v66, -v62
	v_fmac_f32_e32 v71, v56, v66
	v_add_f32_e32 v52, 0, v52
	v_add_f32_e32 v53, 0, v53
	v_mul_f32_e32 v56, v60, v64
	s_waitcnt vmcnt(3)
	v_fma_f32 v54, v57, v67, -v54
	v_mul_f32_e32 v73, v59, v64
	v_fmac_f32_e32 v72, v58, v67
	v_add_f32_e32 v53, v53, v55
	v_add_f32_e32 v52, v52, v71
	s_waitcnt vmcnt(2)
	v_fma_f32 v55, v59, v68, -v56
	v_fmac_f32_e32 v73, v60, v68
	v_add_f32_e32 v53, v53, v54
	v_add_f32_e32 v52, v52, v72
	;; [unrolled: 1-line block ×4, first 2 shown]
	s_waitcnt vmcnt(1)
	v_sub_f32_e32 v53, v69, v53
	s_waitcnt vmcnt(0)
	v_sub_f32_e32 v52, v70, v52
	buffer_store_dword v53, off, s[0:3], 0 offset:160
	buffer_store_dword v52, off, s[0:3], 0 offset:164
	v_cmpx_lt_u32_e32 19, v0
	s_cbranch_execz .LBB88_125
; %bb.124:
	s_clause 0x1
	buffer_load_dword v52, off, s[0:3], 0 offset:152
	buffer_load_dword v53, off, s[0:3], 0 offset:156
	v_mov_b32_e32 v54, 0
	buffer_store_dword v54, off, s[0:3], 0 offset:152
	buffer_store_dword v54, off, s[0:3], 0 offset:156
	s_waitcnt vmcnt(0)
	ds_write_b64 v51, v[52:53]
.LBB88_125:
	s_or_b32 exec_lo, exec_lo, s4
	s_waitcnt lgkmcnt(0)
	s_waitcnt_vscnt null, 0x0
	s_barrier
	buffer_gl0_inv
	s_clause 0xb
	buffer_load_dword v63, off, s[0:3], 0 offset:164
	buffer_load_dword v64, off, s[0:3], 0 offset:172
	;; [unrolled: 1-line block ×12, first 2 shown]
	v_mov_b32_e32 v52, 0
	ds_read_b128 v[53:56], v52 offset:368
	ds_read_b128 v[57:60], v52 offset:384
	ds_read_b64 v[61:62], v52 offset:400
	s_mov_b32 s4, exec_lo
	s_waitcnt vmcnt(11) lgkmcnt(2)
	v_mul_f32_e32 v75, v53, v63
	v_mul_f32_e32 v63, v54, v63
	s_waitcnt vmcnt(10)
	v_mul_f32_e32 v76, v55, v64
	v_mul_f32_e32 v64, v56, v64
	s_waitcnt vmcnt(9) lgkmcnt(1)
	v_mul_f32_e32 v77, v57, v65
	s_waitcnt vmcnt(6)
	v_fmac_f32_e32 v75, v54, v68
	v_fma_f32 v53, v53, v68, -v63
	v_mul_f32_e32 v54, v58, v65
	s_waitcnt vmcnt(5)
	v_fma_f32 v55, v55, v69, -v64
	v_fmac_f32_e32 v76, v56, v69
	v_add_f32_e32 v56, 0, v75
	v_add_f32_e32 v53, 0, v53
	v_mul_f32_e32 v63, v60, v66
	s_waitcnt vmcnt(4)
	v_fma_f32 v54, v57, v70, -v54
	v_mul_f32_e32 v78, v59, v66
	v_fmac_f32_e32 v77, v58, v70
	v_add_f32_e32 v53, v53, v55
	v_add_f32_e32 v55, v56, v76
	s_waitcnt lgkmcnt(0)
	v_mul_f32_e32 v56, v62, v67
	s_waitcnt vmcnt(3)
	v_fma_f32 v57, v59, v71, -v63
	v_mul_f32_e32 v79, v61, v67
	v_add_f32_e32 v53, v53, v54
	v_fmac_f32_e32 v78, v60, v71
	v_add_f32_e32 v54, v55, v77
	s_waitcnt vmcnt(2)
	v_fma_f32 v55, v61, v72, -v56
	v_fmac_f32_e32 v79, v62, v72
	v_add_f32_e32 v53, v53, v57
	v_add_f32_e32 v54, v54, v78
	;; [unrolled: 1-line block ×4, first 2 shown]
	s_waitcnt vmcnt(1)
	v_sub_f32_e32 v53, v73, v53
	s_waitcnt vmcnt(0)
	v_sub_f32_e32 v54, v74, v54
	buffer_store_dword v53, off, s[0:3], 0 offset:152
	buffer_store_dword v54, off, s[0:3], 0 offset:156
	v_cmpx_lt_u32_e32 18, v0
	s_cbranch_execz .LBB88_127
; %bb.126:
	s_clause 0x1
	buffer_load_dword v53, off, s[0:3], 0 offset:144
	buffer_load_dword v54, off, s[0:3], 0 offset:148
	buffer_store_dword v52, off, s[0:3], 0 offset:144
	buffer_store_dword v52, off, s[0:3], 0 offset:148
	s_waitcnt vmcnt(0)
	ds_write_b64 v51, v[53:54]
.LBB88_127:
	s_or_b32 exec_lo, exec_lo, s4
	s_waitcnt lgkmcnt(0)
	s_waitcnt_vscnt null, 0x0
	s_barrier
	buffer_gl0_inv
	s_clause 0xd
	buffer_load_dword v65, off, s[0:3], 0 offset:156
	buffer_load_dword v66, off, s[0:3], 0 offset:164
	;; [unrolled: 1-line block ×14, first 2 shown]
	ds_read2_b64 v[53:56], v52 offset0:45 offset1:46
	ds_read2_b64 v[57:60], v52 offset0:47 offset1:48
	;; [unrolled: 1-line block ×3, first 2 shown]
	s_mov_b32 s4, exec_lo
	s_waitcnt vmcnt(13) lgkmcnt(2)
	v_mul_f32_e32 v52, v53, v65
	v_mul_f32_e32 v65, v54, v65
	s_waitcnt vmcnt(12)
	v_mul_f32_e32 v79, v55, v66
	v_mul_f32_e32 v66, v56, v66
	s_waitcnt vmcnt(11) lgkmcnt(1)
	v_mul_f32_e32 v80, v57, v67
	s_waitcnt vmcnt(10)
	v_mul_f32_e32 v81, v59, v68
	s_waitcnt vmcnt(7)
	v_fma_f32 v53, v53, v71, -v65
	v_fmac_f32_e32 v52, v54, v71
	v_mul_f32_e32 v54, v58, v67
	s_waitcnt vmcnt(6)
	v_fma_f32 v55, v55, v72, -v66
	v_fmac_f32_e32 v79, v56, v72
	v_add_f32_e32 v53, 0, v53
	v_add_f32_e32 v52, 0, v52
	v_mul_f32_e32 v56, v60, v68
	s_waitcnt vmcnt(5)
	v_fma_f32 v54, v57, v73, -v54
	v_fmac_f32_e32 v80, v58, v73
	v_add_f32_e32 v53, v53, v55
	v_add_f32_e32 v52, v52, v79
	s_waitcnt lgkmcnt(0)
	v_mul_f32_e32 v55, v62, v69
	s_waitcnt vmcnt(4)
	v_fma_f32 v56, v59, v74, -v56
	v_mul_f32_e32 v82, v61, v69
	v_add_f32_e32 v53, v53, v54
	v_fmac_f32_e32 v81, v60, v74
	v_add_f32_e32 v52, v52, v80
	v_mul_f32_e32 v54, v64, v70
	s_waitcnt vmcnt(3)
	v_fma_f32 v55, v61, v75, -v55
	v_add_f32_e32 v53, v53, v56
	v_mul_f32_e32 v83, v63, v70
	v_fmac_f32_e32 v82, v62, v75
	v_add_f32_e32 v52, v52, v81
	s_waitcnt vmcnt(2)
	v_fma_f32 v54, v63, v76, -v54
	v_add_f32_e32 v53, v53, v55
	v_fmac_f32_e32 v83, v64, v76
	v_add_f32_e32 v52, v52, v82
	v_add_f32_e32 v53, v53, v54
	v_add_f32_e32 v52, v52, v83
	s_waitcnt vmcnt(1)
	v_sub_f32_e32 v53, v77, v53
	s_waitcnt vmcnt(0)
	v_sub_f32_e32 v52, v78, v52
	buffer_store_dword v53, off, s[0:3], 0 offset:144
	buffer_store_dword v52, off, s[0:3], 0 offset:148
	v_cmpx_lt_u32_e32 17, v0
	s_cbranch_execz .LBB88_129
; %bb.128:
	s_clause 0x1
	buffer_load_dword v52, off, s[0:3], 0 offset:136
	buffer_load_dword v53, off, s[0:3], 0 offset:140
	v_mov_b32_e32 v54, 0
	buffer_store_dword v54, off, s[0:3], 0 offset:136
	buffer_store_dword v54, off, s[0:3], 0 offset:140
	s_waitcnt vmcnt(0)
	ds_write_b64 v51, v[52:53]
.LBB88_129:
	s_or_b32 exec_lo, exec_lo, s4
	s_waitcnt lgkmcnt(0)
	s_waitcnt_vscnt null, 0x0
	s_barrier
	buffer_gl0_inv
	s_clause 0xf
	buffer_load_dword v67, off, s[0:3], 0 offset:148
	buffer_load_dword v68, off, s[0:3], 0 offset:156
	;; [unrolled: 1-line block ×16, first 2 shown]
	v_mov_b32_e32 v52, 0
	ds_read_b128 v[53:56], v52 offset:352
	ds_read_b128 v[57:60], v52 offset:368
	;; [unrolled: 1-line block ×3, first 2 shown]
	ds_read_b64 v[65:66], v52 offset:400
	s_mov_b32 s4, exec_lo
	s_waitcnt vmcnt(15) lgkmcnt(3)
	v_mul_f32_e32 v83, v53, v67
	v_mul_f32_e32 v67, v54, v67
	s_waitcnt vmcnt(14)
	v_mul_f32_e32 v84, v55, v68
	v_mul_f32_e32 v68, v56, v68
	s_waitcnt vmcnt(13) lgkmcnt(2)
	v_mul_f32_e32 v85, v57, v69
	s_waitcnt vmcnt(12)
	v_mul_f32_e32 v86, v59, v70
	s_waitcnt vmcnt(11) lgkmcnt(1)
	v_mul_f32_e32 v87, v61, v71
	s_waitcnt vmcnt(8)
	v_fma_f32 v53, v53, v74, -v67
	v_fmac_f32_e32 v83, v54, v74
	v_mul_f32_e32 v54, v58, v69
	s_waitcnt vmcnt(7)
	v_fma_f32 v55, v55, v75, -v68
	v_fmac_f32_e32 v84, v56, v75
	v_add_f32_e32 v53, 0, v53
	v_add_f32_e32 v56, 0, v83
	v_mul_f32_e32 v67, v60, v70
	s_waitcnt vmcnt(6)
	v_fma_f32 v54, v57, v76, -v54
	v_fmac_f32_e32 v85, v58, v76
	v_add_f32_e32 v53, v53, v55
	v_add_f32_e32 v55, v56, v84
	;; [unrolled: 6-line block ×3, first 2 shown]
	v_mul_f32_e32 v55, v64, v72
	s_waitcnt vmcnt(4)
	v_fma_f32 v56, v61, v78, -v56
	v_mul_f32_e32 v88, v63, v72
	v_add_f32_e32 v53, v53, v57
	v_fmac_f32_e32 v87, v62, v78
	v_add_f32_e32 v54, v54, v86
	s_waitcnt lgkmcnt(0)
	v_mul_f32_e32 v57, v66, v73
	s_waitcnt vmcnt(3)
	v_fma_f32 v55, v63, v79, -v55
	v_add_f32_e32 v53, v53, v56
	v_mul_f32_e32 v89, v65, v73
	v_fmac_f32_e32 v88, v64, v79
	v_add_f32_e32 v54, v54, v87
	s_waitcnt vmcnt(2)
	v_fma_f32 v56, v65, v80, -v57
	v_add_f32_e32 v53, v53, v55
	v_fmac_f32_e32 v89, v66, v80
	v_add_f32_e32 v54, v54, v88
	v_add_f32_e32 v53, v53, v56
	;; [unrolled: 1-line block ×3, first 2 shown]
	s_waitcnt vmcnt(1)
	v_sub_f32_e32 v53, v81, v53
	s_waitcnt vmcnt(0)
	v_sub_f32_e32 v54, v82, v54
	buffer_store_dword v53, off, s[0:3], 0 offset:136
	buffer_store_dword v54, off, s[0:3], 0 offset:140
	v_cmpx_lt_u32_e32 16, v0
	s_cbranch_execz .LBB88_131
; %bb.130:
	s_clause 0x1
	buffer_load_dword v53, off, s[0:3], 0 offset:128
	buffer_load_dword v54, off, s[0:3], 0 offset:132
	buffer_store_dword v52, off, s[0:3], 0 offset:128
	buffer_store_dword v52, off, s[0:3], 0 offset:132
	s_waitcnt vmcnt(0)
	ds_write_b64 v51, v[53:54]
.LBB88_131:
	s_or_b32 exec_lo, exec_lo, s4
	s_waitcnt lgkmcnt(0)
	s_waitcnt_vscnt null, 0x0
	s_barrier
	buffer_gl0_inv
	s_clause 0x11
	buffer_load_dword v69, off, s[0:3], 0 offset:140
	buffer_load_dword v70, off, s[0:3], 0 offset:148
	;; [unrolled: 1-line block ×18, first 2 shown]
	ds_read2_b64 v[53:56], v52 offset0:43 offset1:44
	ds_read2_b64 v[57:60], v52 offset0:45 offset1:46
	;; [unrolled: 1-line block ×4, first 2 shown]
	s_mov_b32 s4, exec_lo
	s_waitcnt vmcnt(17) lgkmcnt(3)
	v_mul_f32_e32 v52, v53, v69
	v_mul_f32_e32 v69, v54, v69
	s_waitcnt vmcnt(16)
	v_mul_f32_e32 v87, v55, v70
	v_mul_f32_e32 v70, v56, v70
	s_waitcnt vmcnt(15) lgkmcnt(2)
	v_mul_f32_e32 v88, v57, v71
	s_waitcnt vmcnt(14)
	v_mul_f32_e32 v89, v59, v72
	s_waitcnt vmcnt(13) lgkmcnt(1)
	v_mul_f32_e32 v90, v61, v73
	s_waitcnt vmcnt(12)
	v_mul_f32_e32 v91, v63, v74
	s_waitcnt vmcnt(9)
	v_fma_f32 v53, v53, v77, -v69
	v_fmac_f32_e32 v52, v54, v77
	v_mul_f32_e32 v54, v58, v71
	s_waitcnt vmcnt(8)
	v_fma_f32 v55, v55, v78, -v70
	v_fmac_f32_e32 v87, v56, v78
	v_add_f32_e32 v53, 0, v53
	v_add_f32_e32 v52, 0, v52
	v_mul_f32_e32 v56, v60, v72
	s_waitcnt vmcnt(7)
	v_fma_f32 v54, v57, v79, -v54
	v_fmac_f32_e32 v88, v58, v79
	v_add_f32_e32 v53, v53, v55
	v_add_f32_e32 v52, v52, v87
	;; [unrolled: 6-line block ×4, first 2 shown]
	s_waitcnt lgkmcnt(0)
	v_mul_f32_e32 v56, v66, v75
	s_waitcnt vmcnt(4)
	v_fma_f32 v54, v63, v82, -v54
	v_mul_f32_e32 v92, v65, v75
	v_add_f32_e32 v53, v53, v55
	v_fmac_f32_e32 v91, v64, v82
	v_add_f32_e32 v52, v52, v90
	v_mul_f32_e32 v55, v68, v76
	s_waitcnt vmcnt(3)
	v_fma_f32 v56, v65, v83, -v56
	v_add_f32_e32 v53, v53, v54
	v_mul_f32_e32 v93, v67, v76
	v_fmac_f32_e32 v92, v66, v83
	v_add_f32_e32 v52, v52, v91
	s_waitcnt vmcnt(2)
	v_fma_f32 v54, v67, v84, -v55
	v_add_f32_e32 v53, v53, v56
	v_fmac_f32_e32 v93, v68, v84
	v_add_f32_e32 v52, v52, v92
	v_add_f32_e32 v53, v53, v54
	;; [unrolled: 1-line block ×3, first 2 shown]
	s_waitcnt vmcnt(1)
	v_sub_f32_e32 v53, v85, v53
	s_waitcnt vmcnt(0)
	v_sub_f32_e32 v52, v86, v52
	buffer_store_dword v53, off, s[0:3], 0 offset:128
	buffer_store_dword v52, off, s[0:3], 0 offset:132
	v_cmpx_lt_u32_e32 15, v0
	s_cbranch_execz .LBB88_133
; %bb.132:
	s_clause 0x1
	buffer_load_dword v52, off, s[0:3], 0 offset:120
	buffer_load_dword v53, off, s[0:3], 0 offset:124
	v_mov_b32_e32 v54, 0
	buffer_store_dword v54, off, s[0:3], 0 offset:120
	buffer_store_dword v54, off, s[0:3], 0 offset:124
	s_waitcnt vmcnt(0)
	ds_write_b64 v51, v[52:53]
.LBB88_133:
	s_or_b32 exec_lo, exec_lo, s4
	s_waitcnt lgkmcnt(0)
	s_waitcnt_vscnt null, 0x0
	s_barrier
	buffer_gl0_inv
	s_clause 0x13
	buffer_load_dword v71, off, s[0:3], 0 offset:132
	buffer_load_dword v72, off, s[0:3], 0 offset:140
	;; [unrolled: 1-line block ×20, first 2 shown]
	v_mov_b32_e32 v52, 0
	ds_read_b128 v[53:56], v52 offset:336
	ds_read_b128 v[57:60], v52 offset:352
	;; [unrolled: 1-line block ×4, first 2 shown]
	ds_read_b64 v[69:70], v52 offset:400
	s_mov_b32 s4, exec_lo
	s_waitcnt vmcnt(19) lgkmcnt(4)
	v_mul_f32_e32 v91, v53, v71
	v_mul_f32_e32 v71, v54, v71
	s_waitcnt vmcnt(18)
	v_mul_f32_e32 v92, v55, v72
	v_mul_f32_e32 v72, v56, v72
	s_waitcnt vmcnt(17) lgkmcnt(3)
	v_mul_f32_e32 v93, v57, v73
	s_waitcnt vmcnt(16)
	v_mul_f32_e32 v94, v59, v74
	s_waitcnt vmcnt(15) lgkmcnt(2)
	v_mul_f32_e32 v95, v61, v75
	s_waitcnt vmcnt(14)
	;; [unrolled: 4-line block ×3, first 2 shown]
	v_fma_f32 v53, v53, v80, -v71
	v_fmac_f32_e32 v91, v54, v80
	v_mul_f32_e32 v54, v58, v73
	s_waitcnt vmcnt(9)
	v_fma_f32 v55, v55, v81, -v72
	v_fmac_f32_e32 v92, v56, v81
	v_add_f32_e32 v53, 0, v53
	v_add_f32_e32 v56, 0, v91
	v_mul_f32_e32 v71, v60, v74
	s_waitcnt vmcnt(8)
	v_fma_f32 v54, v57, v82, -v54
	v_fmac_f32_e32 v93, v58, v82
	v_add_f32_e32 v53, v53, v55
	v_add_f32_e32 v55, v56, v92
	;; [unrolled: 6-line block ×5, first 2 shown]
	v_mul_f32_e32 v56, v68, v78
	s_waitcnt vmcnt(4)
	v_fma_f32 v57, v65, v86, -v57
	v_mul_f32_e32 v98, v67, v78
	v_add_f32_e32 v53, v53, v55
	v_fmac_f32_e32 v97, v66, v86
	v_add_f32_e32 v54, v54, v96
	s_waitcnt lgkmcnt(0)
	v_mul_f32_e32 v55, v70, v79
	s_waitcnt vmcnt(3)
	v_fma_f32 v56, v67, v87, -v56
	v_add_f32_e32 v53, v53, v57
	v_mul_f32_e32 v99, v69, v79
	v_fmac_f32_e32 v98, v68, v87
	v_add_f32_e32 v54, v54, v97
	s_waitcnt vmcnt(2)
	v_fma_f32 v55, v69, v88, -v55
	v_add_f32_e32 v53, v53, v56
	v_fmac_f32_e32 v99, v70, v88
	v_add_f32_e32 v54, v54, v98
	v_add_f32_e32 v53, v53, v55
	;; [unrolled: 1-line block ×3, first 2 shown]
	s_waitcnt vmcnt(1)
	v_sub_f32_e32 v53, v89, v53
	s_waitcnt vmcnt(0)
	v_sub_f32_e32 v54, v90, v54
	buffer_store_dword v53, off, s[0:3], 0 offset:120
	buffer_store_dword v54, off, s[0:3], 0 offset:124
	v_cmpx_lt_u32_e32 14, v0
	s_cbranch_execz .LBB88_135
; %bb.134:
	s_clause 0x1
	buffer_load_dword v53, off, s[0:3], 0 offset:112
	buffer_load_dword v54, off, s[0:3], 0 offset:116
	buffer_store_dword v52, off, s[0:3], 0 offset:112
	buffer_store_dword v52, off, s[0:3], 0 offset:116
	s_waitcnt vmcnt(0)
	ds_write_b64 v51, v[53:54]
.LBB88_135:
	s_or_b32 exec_lo, exec_lo, s4
	s_waitcnt lgkmcnt(0)
	s_waitcnt_vscnt null, 0x0
	s_barrier
	buffer_gl0_inv
	s_clause 0x15
	buffer_load_dword v73, off, s[0:3], 0 offset:124
	buffer_load_dword v74, off, s[0:3], 0 offset:132
	;; [unrolled: 1-line block ×22, first 2 shown]
	ds_read2_b64 v[53:56], v52 offset0:41 offset1:42
	ds_read2_b64 v[57:60], v52 offset0:43 offset1:44
	;; [unrolled: 1-line block ×5, first 2 shown]
	s_mov_b32 s4, exec_lo
	s_waitcnt vmcnt(21) lgkmcnt(4)
	v_mul_f32_e32 v52, v53, v73
	v_mul_f32_e32 v73, v54, v73
	s_waitcnt vmcnt(20)
	v_mul_f32_e32 v95, v55, v74
	v_mul_f32_e32 v74, v56, v74
	s_waitcnt vmcnt(19) lgkmcnt(3)
	v_mul_f32_e32 v96, v57, v75
	s_waitcnt vmcnt(18)
	v_mul_f32_e32 v97, v59, v76
	s_waitcnt vmcnt(17) lgkmcnt(2)
	v_mul_f32_e32 v98, v61, v77
	s_waitcnt vmcnt(16)
	;; [unrolled: 4-line block ×3, first 2 shown]
	v_mul_f32_e32 v101, v67, v80
	s_waitcnt vmcnt(11)
	v_fma_f32 v53, v53, v83, -v73
	v_fmac_f32_e32 v52, v54, v83
	v_mul_f32_e32 v54, v58, v75
	s_waitcnt vmcnt(10)
	v_fma_f32 v55, v55, v84, -v74
	v_fmac_f32_e32 v95, v56, v84
	v_add_f32_e32 v53, 0, v53
	v_add_f32_e32 v52, 0, v52
	v_mul_f32_e32 v56, v60, v76
	s_waitcnt vmcnt(9)
	v_fma_f32 v54, v57, v85, -v54
	v_fmac_f32_e32 v96, v58, v85
	v_add_f32_e32 v53, v53, v55
	v_add_f32_e32 v52, v52, v95
	;; [unrolled: 6-line block ×6, first 2 shown]
	s_waitcnt lgkmcnt(0)
	v_mul_f32_e32 v54, v70, v81
	s_waitcnt vmcnt(4)
	v_fma_f32 v55, v67, v90, -v55
	v_mul_f32_e32 v102, v69, v81
	v_add_f32_e32 v53, v53, v56
	v_fmac_f32_e32 v101, v68, v90
	v_add_f32_e32 v52, v52, v100
	v_mul_f32_e32 v56, v72, v82
	s_waitcnt vmcnt(3)
	v_fma_f32 v54, v69, v91, -v54
	v_add_f32_e32 v53, v53, v55
	v_mul_f32_e32 v103, v71, v82
	v_fmac_f32_e32 v102, v70, v91
	v_add_f32_e32 v52, v52, v101
	s_waitcnt vmcnt(2)
	v_fma_f32 v55, v71, v92, -v56
	v_add_f32_e32 v53, v53, v54
	v_fmac_f32_e32 v103, v72, v92
	v_add_f32_e32 v52, v52, v102
	v_add_f32_e32 v53, v53, v55
	;; [unrolled: 1-line block ×3, first 2 shown]
	s_waitcnt vmcnt(1)
	v_sub_f32_e32 v53, v93, v53
	s_waitcnt vmcnt(0)
	v_sub_f32_e32 v52, v94, v52
	buffer_store_dword v53, off, s[0:3], 0 offset:112
	buffer_store_dword v52, off, s[0:3], 0 offset:116
	v_cmpx_lt_u32_e32 13, v0
	s_cbranch_execz .LBB88_137
; %bb.136:
	s_clause 0x1
	buffer_load_dword v52, off, s[0:3], 0 offset:104
	buffer_load_dword v53, off, s[0:3], 0 offset:108
	v_mov_b32_e32 v54, 0
	buffer_store_dword v54, off, s[0:3], 0 offset:104
	buffer_store_dword v54, off, s[0:3], 0 offset:108
	s_waitcnt vmcnt(0)
	ds_write_b64 v51, v[52:53]
.LBB88_137:
	s_or_b32 exec_lo, exec_lo, s4
	s_waitcnt lgkmcnt(0)
	s_waitcnt_vscnt null, 0x0
	s_barrier
	buffer_gl0_inv
	s_clause 0x17
	buffer_load_dword v75, off, s[0:3], 0 offset:116
	buffer_load_dword v76, off, s[0:3], 0 offset:124
	;; [unrolled: 1-line block ×24, first 2 shown]
	v_mov_b32_e32 v52, 0
	ds_read_b128 v[53:56], v52 offset:320
	ds_read_b128 v[57:60], v52 offset:336
	;; [unrolled: 1-line block ×5, first 2 shown]
	ds_read_b64 v[73:74], v52 offset:400
	s_mov_b32 s4, exec_lo
	s_waitcnt vmcnt(23) lgkmcnt(5)
	v_mul_f32_e32 v99, v53, v75
	v_mul_f32_e32 v75, v54, v75
	s_waitcnt vmcnt(22)
	v_mul_f32_e32 v100, v55, v76
	v_mul_f32_e32 v76, v56, v76
	s_waitcnt vmcnt(21) lgkmcnt(4)
	v_mul_f32_e32 v101, v57, v77
	s_waitcnt vmcnt(20)
	v_mul_f32_e32 v102, v59, v78
	s_waitcnt vmcnt(19) lgkmcnt(3)
	v_mul_f32_e32 v103, v61, v79
	s_waitcnt vmcnt(18)
	;; [unrolled: 4-line block ×4, first 2 shown]
	v_fma_f32 v53, v53, v86, -v75
	v_fmac_f32_e32 v99, v54, v86
	v_mul_f32_e32 v54, v58, v77
	s_waitcnt vmcnt(11)
	v_fma_f32 v55, v55, v87, -v76
	v_fmac_f32_e32 v100, v56, v87
	v_add_f32_e32 v53, 0, v53
	v_add_f32_e32 v56, 0, v99
	v_mul_f32_e32 v75, v60, v78
	s_waitcnt vmcnt(10)
	v_fma_f32 v54, v57, v88, -v54
	v_fmac_f32_e32 v101, v58, v88
	v_add_f32_e32 v53, v53, v55
	v_add_f32_e32 v55, v56, v100
	;; [unrolled: 6-line block ×7, first 2 shown]
	v_mul_f32_e32 v57, v72, v84
	s_waitcnt vmcnt(4)
	v_fma_f32 v55, v69, v94, -v55
	v_mul_f32_e32 v108, v71, v84
	v_add_f32_e32 v53, v53, v56
	v_fmac_f32_e32 v107, v70, v94
	v_add_f32_e32 v54, v54, v106
	s_waitcnt lgkmcnt(0)
	v_mul_f32_e32 v56, v74, v85
	s_waitcnt vmcnt(3)
	v_fma_f32 v57, v71, v95, -v57
	v_add_f32_e32 v53, v53, v55
	v_mul_f32_e32 v109, v73, v85
	v_fmac_f32_e32 v108, v72, v95
	v_add_f32_e32 v54, v54, v107
	s_waitcnt vmcnt(2)
	v_fma_f32 v55, v73, v96, -v56
	v_add_f32_e32 v53, v53, v57
	v_fmac_f32_e32 v109, v74, v96
	v_add_f32_e32 v54, v54, v108
	v_add_f32_e32 v53, v53, v55
	v_add_f32_e32 v54, v54, v109
	s_waitcnt vmcnt(1)
	v_sub_f32_e32 v53, v97, v53
	s_waitcnt vmcnt(0)
	v_sub_f32_e32 v54, v98, v54
	buffer_store_dword v53, off, s[0:3], 0 offset:104
	buffer_store_dword v54, off, s[0:3], 0 offset:108
	v_cmpx_lt_u32_e32 12, v0
	s_cbranch_execz .LBB88_139
; %bb.138:
	s_clause 0x1
	buffer_load_dword v53, off, s[0:3], 0 offset:96
	buffer_load_dword v54, off, s[0:3], 0 offset:100
	buffer_store_dword v52, off, s[0:3], 0 offset:96
	buffer_store_dword v52, off, s[0:3], 0 offset:100
	s_waitcnt vmcnt(0)
	ds_write_b64 v51, v[53:54]
.LBB88_139:
	s_or_b32 exec_lo, exec_lo, s4
	s_waitcnt lgkmcnt(0)
	s_waitcnt_vscnt null, 0x0
	s_barrier
	buffer_gl0_inv
	s_clause 0x19
	buffer_load_dword v77, off, s[0:3], 0 offset:108
	buffer_load_dword v78, off, s[0:3], 0 offset:116
	;; [unrolled: 1-line block ×26, first 2 shown]
	ds_read2_b64 v[53:56], v52 offset0:39 offset1:40
	ds_read2_b64 v[57:60], v52 offset0:41 offset1:42
	;; [unrolled: 1-line block ×6, first 2 shown]
	s_mov_b32 s4, exec_lo
	s_waitcnt vmcnt(25) lgkmcnt(5)
	v_mul_f32_e32 v52, v53, v77
	v_mul_f32_e32 v77, v54, v77
	s_waitcnt vmcnt(24)
	v_mul_f32_e32 v103, v55, v78
	v_mul_f32_e32 v78, v56, v78
	s_waitcnt vmcnt(23) lgkmcnt(4)
	v_mul_f32_e32 v104, v57, v79
	s_waitcnt vmcnt(22)
	v_mul_f32_e32 v105, v59, v80
	s_waitcnt vmcnt(21) lgkmcnt(3)
	v_mul_f32_e32 v106, v61, v81
	s_waitcnt vmcnt(20)
	;; [unrolled: 4-line block ×4, first 2 shown]
	v_mul_f32_e32 v111, v71, v86
	s_waitcnt vmcnt(13)
	v_fma_f32 v53, v53, v89, -v77
	v_fmac_f32_e32 v52, v54, v89
	v_mul_f32_e32 v54, v58, v79
	s_waitcnt vmcnt(12)
	v_fma_f32 v55, v55, v90, -v78
	v_fmac_f32_e32 v103, v56, v90
	v_add_f32_e32 v53, 0, v53
	v_add_f32_e32 v52, 0, v52
	v_mul_f32_e32 v56, v60, v80
	s_waitcnt vmcnt(11)
	v_fma_f32 v54, v57, v91, -v54
	v_fmac_f32_e32 v104, v58, v91
	v_add_f32_e32 v53, v53, v55
	v_add_f32_e32 v52, v52, v103
	v_mul_f32_e32 v55, v62, v81
	s_waitcnt vmcnt(10)
	v_fma_f32 v56, v59, v92, -v56
	v_fmac_f32_e32 v105, v60, v92
	v_add_f32_e32 v53, v53, v54
	v_add_f32_e32 v52, v52, v104
	v_mul_f32_e32 v54, v64, v82
	s_waitcnt vmcnt(9)
	v_fma_f32 v55, v61, v93, -v55
	v_fmac_f32_e32 v106, v62, v93
	v_add_f32_e32 v53, v53, v56
	v_add_f32_e32 v52, v52, v105
	v_mul_f32_e32 v56, v66, v83
	s_waitcnt vmcnt(8)
	v_fma_f32 v54, v63, v94, -v54
	v_fmac_f32_e32 v107, v64, v94
	v_add_f32_e32 v53, v53, v55
	v_add_f32_e32 v52, v52, v106
	v_mul_f32_e32 v55, v68, v84
	s_waitcnt vmcnt(7)
	v_fma_f32 v56, v65, v95, -v56
	v_fmac_f32_e32 v108, v66, v95
	v_add_f32_e32 v53, v53, v54
	v_add_f32_e32 v52, v52, v107
	v_mul_f32_e32 v54, v70, v85
	s_waitcnt vmcnt(6)
	v_fma_f32 v55, v67, v96, -v55
	v_fmac_f32_e32 v109, v68, v96
	v_add_f32_e32 v53, v53, v56
	v_add_f32_e32 v52, v52, v108
	v_mul_f32_e32 v56, v72, v86
	s_waitcnt vmcnt(5)
	v_fma_f32 v54, v69, v97, -v54
	v_fmac_f32_e32 v110, v70, v97
	v_add_f32_e32 v53, v53, v55
	v_add_f32_e32 v52, v52, v109
	s_waitcnt lgkmcnt(0)
	v_mul_f32_e32 v55, v74, v87
	s_waitcnt vmcnt(4)
	v_fma_f32 v56, v71, v98, -v56
	v_mul_f32_e32 v112, v73, v87
	v_add_f32_e32 v53, v53, v54
	v_fmac_f32_e32 v111, v72, v98
	v_add_f32_e32 v52, v52, v110
	v_mul_f32_e32 v54, v76, v88
	s_waitcnt vmcnt(3)
	v_fma_f32 v55, v73, v99, -v55
	v_add_f32_e32 v53, v53, v56
	v_mul_f32_e32 v113, v75, v88
	v_fmac_f32_e32 v112, v74, v99
	v_add_f32_e32 v52, v52, v111
	s_waitcnt vmcnt(2)
	v_fma_f32 v54, v75, v100, -v54
	v_add_f32_e32 v53, v53, v55
	v_fmac_f32_e32 v113, v76, v100
	v_add_f32_e32 v52, v52, v112
	v_add_f32_e32 v53, v53, v54
	;; [unrolled: 1-line block ×3, first 2 shown]
	s_waitcnt vmcnt(1)
	v_sub_f32_e32 v53, v101, v53
	s_waitcnt vmcnt(0)
	v_sub_f32_e32 v52, v102, v52
	buffer_store_dword v53, off, s[0:3], 0 offset:96
	buffer_store_dword v52, off, s[0:3], 0 offset:100
	v_cmpx_lt_u32_e32 11, v0
	s_cbranch_execz .LBB88_141
; %bb.140:
	s_clause 0x1
	buffer_load_dword v52, off, s[0:3], 0 offset:88
	buffer_load_dword v53, off, s[0:3], 0 offset:92
	v_mov_b32_e32 v54, 0
	buffer_store_dword v54, off, s[0:3], 0 offset:88
	buffer_store_dword v54, off, s[0:3], 0 offset:92
	s_waitcnt vmcnt(0)
	ds_write_b64 v51, v[52:53]
.LBB88_141:
	s_or_b32 exec_lo, exec_lo, s4
	s_waitcnt lgkmcnt(0)
	s_waitcnt_vscnt null, 0x0
	s_barrier
	buffer_gl0_inv
	s_clause 0x1b
	buffer_load_dword v79, off, s[0:3], 0 offset:100
	buffer_load_dword v80, off, s[0:3], 0 offset:108
	buffer_load_dword v81, off, s[0:3], 0 offset:116
	buffer_load_dword v82, off, s[0:3], 0 offset:124
	buffer_load_dword v83, off, s[0:3], 0 offset:132
	buffer_load_dword v84, off, s[0:3], 0 offset:140
	buffer_load_dword v85, off, s[0:3], 0 offset:148
	buffer_load_dword v86, off, s[0:3], 0 offset:156
	buffer_load_dword v87, off, s[0:3], 0 offset:164
	buffer_load_dword v88, off, s[0:3], 0 offset:172
	buffer_load_dword v89, off, s[0:3], 0 offset:180
	buffer_load_dword v90, off, s[0:3], 0 offset:188
	buffer_load_dword v91, off, s[0:3], 0 offset:196
	buffer_load_dword v92, off, s[0:3], 0 offset:96
	buffer_load_dword v93, off, s[0:3], 0 offset:104
	buffer_load_dword v94, off, s[0:3], 0 offset:112
	buffer_load_dword v95, off, s[0:3], 0 offset:120
	buffer_load_dword v96, off, s[0:3], 0 offset:128
	buffer_load_dword v97, off, s[0:3], 0 offset:136
	buffer_load_dword v98, off, s[0:3], 0 offset:144
	buffer_load_dword v99, off, s[0:3], 0 offset:152
	buffer_load_dword v100, off, s[0:3], 0 offset:160
	buffer_load_dword v101, off, s[0:3], 0 offset:168
	buffer_load_dword v102, off, s[0:3], 0 offset:176
	buffer_load_dword v103, off, s[0:3], 0 offset:184
	buffer_load_dword v104, off, s[0:3], 0 offset:192
	buffer_load_dword v105, off, s[0:3], 0 offset:88
	buffer_load_dword v106, off, s[0:3], 0 offset:92
	v_mov_b32_e32 v52, 0
	ds_read_b128 v[53:56], v52 offset:304
	ds_read_b128 v[57:60], v52 offset:320
	;; [unrolled: 1-line block ×6, first 2 shown]
	ds_read_b64 v[77:78], v52 offset:400
	s_mov_b32 s4, exec_lo
	s_waitcnt vmcnt(27) lgkmcnt(6)
	v_mul_f32_e32 v107, v53, v79
	v_mul_f32_e32 v79, v54, v79
	s_waitcnt vmcnt(26)
	v_mul_f32_e32 v108, v55, v80
	v_mul_f32_e32 v80, v56, v80
	s_waitcnt vmcnt(25) lgkmcnt(5)
	v_mul_f32_e32 v109, v57, v81
	s_waitcnt vmcnt(24)
	v_mul_f32_e32 v110, v59, v82
	s_waitcnt vmcnt(23) lgkmcnt(4)
	v_mul_f32_e32 v111, v61, v83
	s_waitcnt vmcnt(22)
	;; [unrolled: 4-line block ×5, first 2 shown]
	v_fma_f32 v53, v53, v92, -v79
	v_fmac_f32_e32 v107, v54, v92
	v_mul_f32_e32 v54, v58, v81
	s_waitcnt vmcnt(13)
	v_fma_f32 v55, v55, v93, -v80
	v_fmac_f32_e32 v108, v56, v93
	v_add_f32_e32 v53, 0, v53
	v_add_f32_e32 v56, 0, v107
	v_mul_f32_e32 v79, v60, v82
	s_waitcnt vmcnt(12)
	v_fma_f32 v54, v57, v94, -v54
	v_fmac_f32_e32 v109, v58, v94
	v_add_f32_e32 v53, v53, v55
	v_add_f32_e32 v55, v56, v108
	;; [unrolled: 6-line block ×9, first 2 shown]
	v_mul_f32_e32 v55, v76, v90
	s_waitcnt vmcnt(4)
	v_fma_f32 v56, v73, v102, -v56
	v_mul_f32_e32 v118, v75, v90
	v_add_f32_e32 v53, v53, v57
	v_fmac_f32_e32 v117, v74, v102
	v_add_f32_e32 v54, v54, v116
	s_waitcnt lgkmcnt(0)
	v_mul_f32_e32 v57, v78, v91
	s_waitcnt vmcnt(3)
	v_fma_f32 v55, v75, v103, -v55
	v_add_f32_e32 v53, v53, v56
	v_mul_f32_e32 v119, v77, v91
	v_fmac_f32_e32 v118, v76, v103
	v_add_f32_e32 v54, v54, v117
	s_waitcnt vmcnt(2)
	v_fma_f32 v56, v77, v104, -v57
	v_add_f32_e32 v53, v53, v55
	v_fmac_f32_e32 v119, v78, v104
	v_add_f32_e32 v54, v54, v118
	v_add_f32_e32 v53, v53, v56
	;; [unrolled: 1-line block ×3, first 2 shown]
	s_waitcnt vmcnt(1)
	v_sub_f32_e32 v53, v105, v53
	s_waitcnt vmcnt(0)
	v_sub_f32_e32 v54, v106, v54
	buffer_store_dword v53, off, s[0:3], 0 offset:88
	buffer_store_dword v54, off, s[0:3], 0 offset:92
	v_cmpx_lt_u32_e32 10, v0
	s_cbranch_execz .LBB88_143
; %bb.142:
	s_clause 0x1
	buffer_load_dword v53, off, s[0:3], 0 offset:80
	buffer_load_dword v54, off, s[0:3], 0 offset:84
	buffer_store_dword v52, off, s[0:3], 0 offset:80
	buffer_store_dword v52, off, s[0:3], 0 offset:84
	s_waitcnt vmcnt(0)
	ds_write_b64 v51, v[53:54]
.LBB88_143:
	s_or_b32 exec_lo, exec_lo, s4
	s_waitcnt lgkmcnt(0)
	s_waitcnt_vscnt null, 0x0
	s_barrier
	buffer_gl0_inv
	s_clause 0x1d
	buffer_load_dword v81, off, s[0:3], 0 offset:92
	buffer_load_dword v82, off, s[0:3], 0 offset:100
	;; [unrolled: 1-line block ×30, first 2 shown]
	ds_read2_b64 v[53:56], v52 offset0:37 offset1:38
	ds_read2_b64 v[57:60], v52 offset0:39 offset1:40
	;; [unrolled: 1-line block ×7, first 2 shown]
	s_mov_b32 s4, exec_lo
	s_waitcnt vmcnt(29) lgkmcnt(6)
	v_mul_f32_e32 v52, v53, v81
	v_mul_f32_e32 v81, v54, v81
	s_waitcnt vmcnt(28)
	v_mul_f32_e32 v111, v55, v82
	v_mul_f32_e32 v82, v56, v82
	s_waitcnt vmcnt(27) lgkmcnt(5)
	v_mul_f32_e32 v112, v57, v83
	s_waitcnt vmcnt(26)
	v_mul_f32_e32 v113, v59, v84
	s_waitcnt vmcnt(25) lgkmcnt(4)
	v_mul_f32_e32 v114, v61, v85
	s_waitcnt vmcnt(24)
	;; [unrolled: 4-line block ×5, first 2 shown]
	v_mul_f32_e32 v121, v75, v92
	s_waitcnt vmcnt(15)
	v_fma_f32 v53, v53, v95, -v81
	v_fmac_f32_e32 v52, v54, v95
	v_mul_f32_e32 v54, v58, v83
	s_waitcnt vmcnt(14)
	v_fma_f32 v55, v55, v96, -v82
	v_fmac_f32_e32 v111, v56, v96
	v_add_f32_e32 v53, 0, v53
	v_add_f32_e32 v52, 0, v52
	v_mul_f32_e32 v56, v60, v84
	s_waitcnt vmcnt(13)
	v_fma_f32 v54, v57, v97, -v54
	v_fmac_f32_e32 v112, v58, v97
	v_add_f32_e32 v53, v53, v55
	v_add_f32_e32 v52, v52, v111
	;; [unrolled: 6-line block ×10, first 2 shown]
	s_waitcnt lgkmcnt(0)
	v_mul_f32_e32 v56, v78, v93
	s_waitcnt vmcnt(4)
	v_fma_f32 v54, v75, v106, -v54
	v_mul_f32_e32 v122, v77, v93
	v_add_f32_e32 v53, v53, v55
	v_fmac_f32_e32 v121, v76, v106
	v_add_f32_e32 v52, v52, v120
	v_mul_f32_e32 v55, v80, v94
	s_waitcnt vmcnt(3)
	v_fma_f32 v56, v77, v107, -v56
	v_add_f32_e32 v53, v53, v54
	v_mul_f32_e32 v123, v79, v94
	v_fmac_f32_e32 v122, v78, v107
	v_add_f32_e32 v52, v52, v121
	s_waitcnt vmcnt(2)
	v_fma_f32 v54, v79, v108, -v55
	v_add_f32_e32 v53, v53, v56
	v_fmac_f32_e32 v123, v80, v108
	v_add_f32_e32 v52, v52, v122
	v_add_f32_e32 v53, v53, v54
	;; [unrolled: 1-line block ×3, first 2 shown]
	s_waitcnt vmcnt(1)
	v_sub_f32_e32 v53, v109, v53
	s_waitcnt vmcnt(0)
	v_sub_f32_e32 v52, v110, v52
	buffer_store_dword v53, off, s[0:3], 0 offset:80
	buffer_store_dword v52, off, s[0:3], 0 offset:84
	v_cmpx_lt_u32_e32 9, v0
	s_cbranch_execz .LBB88_145
; %bb.144:
	s_clause 0x1
	buffer_load_dword v52, off, s[0:3], 0 offset:72
	buffer_load_dword v53, off, s[0:3], 0 offset:76
	v_mov_b32_e32 v54, 0
	buffer_store_dword v54, off, s[0:3], 0 offset:72
	buffer_store_dword v54, off, s[0:3], 0 offset:76
	s_waitcnt vmcnt(0)
	ds_write_b64 v51, v[52:53]
.LBB88_145:
	s_or_b32 exec_lo, exec_lo, s4
	s_waitcnt lgkmcnt(0)
	s_waitcnt_vscnt null, 0x0
	s_barrier
	buffer_gl0_inv
	s_clause 0x1f
	buffer_load_dword v83, off, s[0:3], 0 offset:84
	buffer_load_dword v84, off, s[0:3], 0 offset:92
	;; [unrolled: 1-line block ×32, first 2 shown]
	v_mov_b32_e32 v52, 0
	ds_read_b128 v[53:56], v52 offset:288
	ds_read_b128 v[57:60], v52 offset:304
	;; [unrolled: 1-line block ×7, first 2 shown]
	ds_read_b64 v[81:82], v52 offset:400
	s_mov_b32 s4, exec_lo
	s_waitcnt vmcnt(31) lgkmcnt(7)
	v_mul_f32_e32 v115, v53, v83
	v_mul_f32_e32 v83, v54, v83
	s_waitcnt vmcnt(30)
	v_mul_f32_e32 v116, v55, v84
	v_mul_f32_e32 v84, v56, v84
	s_waitcnt vmcnt(29) lgkmcnt(6)
	v_mul_f32_e32 v117, v57, v85
	s_waitcnt vmcnt(28)
	v_mul_f32_e32 v118, v59, v86
	s_waitcnt vmcnt(27) lgkmcnt(5)
	v_mul_f32_e32 v119, v61, v87
	s_waitcnt vmcnt(26)
	;; [unrolled: 4-line block ×6, first 2 shown]
	v_fma_f32 v53, v53, v98, -v83
	v_fmac_f32_e32 v115, v54, v98
	v_mul_f32_e32 v54, v58, v85
	s_waitcnt vmcnt(15)
	v_fma_f32 v55, v55, v99, -v84
	v_fmac_f32_e32 v116, v56, v99
	v_add_f32_e32 v53, 0, v53
	v_add_f32_e32 v56, 0, v115
	v_mul_f32_e32 v83, v60, v86
	s_waitcnt vmcnt(14)
	v_fma_f32 v54, v57, v100, -v54
	v_fmac_f32_e32 v117, v58, v100
	v_add_f32_e32 v53, v53, v55
	v_add_f32_e32 v55, v56, v116
	;; [unrolled: 6-line block ×11, first 2 shown]
	v_mul_f32_e32 v56, v80, v96
	s_waitcnt vmcnt(4)
	v_fma_f32 v57, v77, v110, -v57
	v_mul_f32_e32 v128, v79, v96
	v_add_f32_e32 v53, v53, v55
	v_fmac_f32_e32 v127, v78, v110
	v_add_f32_e32 v54, v54, v126
	s_waitcnt lgkmcnt(0)
	v_mul_f32_e32 v55, v82, v97
	s_waitcnt vmcnt(3)
	v_fma_f32 v56, v79, v111, -v56
	v_add_f32_e32 v53, v53, v57
	v_mul_f32_e32 v129, v81, v97
	v_fmac_f32_e32 v128, v80, v111
	v_add_f32_e32 v54, v54, v127
	s_waitcnt vmcnt(2)
	v_fma_f32 v55, v81, v112, -v55
	v_add_f32_e32 v53, v53, v56
	v_fmac_f32_e32 v129, v82, v112
	v_add_f32_e32 v54, v54, v128
	v_add_f32_e32 v53, v53, v55
	;; [unrolled: 1-line block ×3, first 2 shown]
	s_waitcnt vmcnt(1)
	v_sub_f32_e32 v53, v113, v53
	s_waitcnt vmcnt(0)
	v_sub_f32_e32 v54, v114, v54
	buffer_store_dword v53, off, s[0:3], 0 offset:72
	buffer_store_dword v54, off, s[0:3], 0 offset:76
	v_cmpx_lt_u32_e32 8, v0
	s_cbranch_execz .LBB88_147
; %bb.146:
	s_clause 0x1
	buffer_load_dword v53, off, s[0:3], 0 offset:64
	buffer_load_dword v54, off, s[0:3], 0 offset:68
	buffer_store_dword v52, off, s[0:3], 0 offset:64
	buffer_store_dword v52, off, s[0:3], 0 offset:68
	s_waitcnt vmcnt(0)
	ds_write_b64 v51, v[53:54]
.LBB88_147:
	s_or_b32 exec_lo, exec_lo, s4
	s_waitcnt lgkmcnt(0)
	s_waitcnt_vscnt null, 0x0
	s_barrier
	buffer_gl0_inv
	s_clause 0x21
	buffer_load_dword v85, off, s[0:3], 0 offset:76
	buffer_load_dword v86, off, s[0:3], 0 offset:84
	;; [unrolled: 1-line block ×34, first 2 shown]
	ds_read2_b64 v[53:56], v52 offset0:35 offset1:36
	ds_read2_b64 v[57:60], v52 offset0:37 offset1:38
	;; [unrolled: 1-line block ×8, first 2 shown]
	s_mov_b32 s4, exec_lo
	s_waitcnt vmcnt(33) lgkmcnt(7)
	v_mul_f32_e32 v52, v53, v85
	v_mul_f32_e32 v85, v54, v85
	s_waitcnt vmcnt(32)
	v_mul_f32_e32 v119, v55, v86
	v_mul_f32_e32 v86, v56, v86
	s_waitcnt vmcnt(31) lgkmcnt(6)
	v_mul_f32_e32 v120, v57, v87
	s_waitcnt vmcnt(30)
	v_mul_f32_e32 v121, v59, v88
	s_waitcnt vmcnt(29) lgkmcnt(5)
	v_mul_f32_e32 v122, v61, v89
	s_waitcnt vmcnt(28)
	;; [unrolled: 4-line block ×6, first 2 shown]
	v_mul_f32_e32 v131, v79, v98
	s_waitcnt vmcnt(17)
	v_fma_f32 v53, v53, v101, -v85
	v_fmac_f32_e32 v52, v54, v101
	v_mul_f32_e32 v54, v58, v87
	s_waitcnt vmcnt(16)
	v_fma_f32 v55, v55, v102, -v86
	v_fmac_f32_e32 v119, v56, v102
	v_add_f32_e32 v53, 0, v53
	v_add_f32_e32 v52, 0, v52
	v_mul_f32_e32 v56, v60, v88
	s_waitcnt vmcnt(15)
	v_fma_f32 v54, v57, v103, -v54
	v_fmac_f32_e32 v120, v58, v103
	v_add_f32_e32 v53, v53, v55
	v_add_f32_e32 v52, v52, v119
	;; [unrolled: 6-line block ×12, first 2 shown]
	s_waitcnt lgkmcnt(0)
	v_mul_f32_e32 v54, v82, v99
	s_waitcnt vmcnt(4)
	v_fma_f32 v55, v79, v114, -v55
	v_mul_f32_e32 v132, v81, v99
	v_add_f32_e32 v53, v53, v56
	v_fmac_f32_e32 v131, v80, v114
	v_add_f32_e32 v52, v52, v130
	v_mul_f32_e32 v56, v84, v100
	s_waitcnt vmcnt(3)
	v_fma_f32 v54, v81, v115, -v54
	v_add_f32_e32 v53, v53, v55
	v_mul_f32_e32 v133, v83, v100
	v_fmac_f32_e32 v132, v82, v115
	v_add_f32_e32 v52, v52, v131
	s_waitcnt vmcnt(2)
	v_fma_f32 v55, v83, v116, -v56
	v_add_f32_e32 v53, v53, v54
	v_fmac_f32_e32 v133, v84, v116
	v_add_f32_e32 v52, v52, v132
	v_add_f32_e32 v53, v53, v55
	v_add_f32_e32 v52, v52, v133
	s_waitcnt vmcnt(1)
	v_sub_f32_e32 v53, v117, v53
	s_waitcnt vmcnt(0)
	v_sub_f32_e32 v52, v118, v52
	buffer_store_dword v53, off, s[0:3], 0 offset:64
	buffer_store_dword v52, off, s[0:3], 0 offset:68
	v_cmpx_lt_u32_e32 7, v0
	s_cbranch_execz .LBB88_149
; %bb.148:
	s_clause 0x1
	buffer_load_dword v52, off, s[0:3], 0 offset:56
	buffer_load_dword v53, off, s[0:3], 0 offset:60
	v_mov_b32_e32 v54, 0
	buffer_store_dword v54, off, s[0:3], 0 offset:56
	buffer_store_dword v54, off, s[0:3], 0 offset:60
	s_waitcnt vmcnt(0)
	ds_write_b64 v51, v[52:53]
.LBB88_149:
	s_or_b32 exec_lo, exec_lo, s4
	s_waitcnt lgkmcnt(0)
	s_waitcnt_vscnt null, 0x0
	s_barrier
	buffer_gl0_inv
	s_clause 0x23
	buffer_load_dword v87, off, s[0:3], 0 offset:68
	buffer_load_dword v88, off, s[0:3], 0 offset:76
	;; [unrolled: 1-line block ×36, first 2 shown]
	v_mov_b32_e32 v52, 0
	ds_read_b128 v[53:56], v52 offset:272
	ds_read_b128 v[57:60], v52 offset:288
	;; [unrolled: 1-line block ×8, first 2 shown]
	ds_read_b64 v[85:86], v52 offset:400
	s_mov_b32 s4, exec_lo
	s_waitcnt vmcnt(35) lgkmcnt(8)
	v_mul_f32_e32 v123, v53, v87
	v_mul_f32_e32 v87, v54, v87
	s_waitcnt vmcnt(34)
	v_mul_f32_e32 v124, v55, v88
	v_mul_f32_e32 v88, v56, v88
	s_waitcnt vmcnt(33) lgkmcnt(7)
	v_mul_f32_e32 v125, v57, v89
	s_waitcnt vmcnt(32)
	v_mul_f32_e32 v126, v59, v90
	s_waitcnt vmcnt(31) lgkmcnt(6)
	v_mul_f32_e32 v127, v61, v91
	s_waitcnt vmcnt(30)
	;; [unrolled: 4-line block ×7, first 2 shown]
	v_fma_f32 v53, v53, v104, -v87
	v_fmac_f32_e32 v123, v54, v104
	v_mul_f32_e32 v54, v58, v89
	s_waitcnt vmcnt(17)
	v_fma_f32 v55, v55, v105, -v88
	v_fmac_f32_e32 v124, v56, v105
	v_add_f32_e32 v53, 0, v53
	v_add_f32_e32 v56, 0, v123
	v_mul_f32_e32 v87, v60, v90
	s_waitcnt vmcnt(16)
	v_fma_f32 v54, v57, v106, -v54
	v_fmac_f32_e32 v125, v58, v106
	v_add_f32_e32 v53, v53, v55
	v_add_f32_e32 v55, v56, v124
	;; [unrolled: 6-line block ×13, first 2 shown]
	v_mul_f32_e32 v57, v84, v102
	s_waitcnt vmcnt(4)
	v_fma_f32 v55, v81, v118, -v55
	v_mul_f32_e32 v138, v83, v102
	v_add_f32_e32 v53, v53, v56
	v_fmac_f32_e32 v137, v82, v118
	v_add_f32_e32 v54, v54, v136
	s_waitcnt lgkmcnt(0)
	v_mul_f32_e32 v56, v86, v103
	s_waitcnt vmcnt(3)
	v_fma_f32 v57, v83, v119, -v57
	v_add_f32_e32 v53, v53, v55
	v_mul_f32_e32 v139, v85, v103
	v_fmac_f32_e32 v138, v84, v119
	v_add_f32_e32 v54, v54, v137
	s_waitcnt vmcnt(2)
	v_fma_f32 v55, v85, v120, -v56
	v_add_f32_e32 v53, v53, v57
	v_fmac_f32_e32 v139, v86, v120
	v_add_f32_e32 v54, v54, v138
	v_add_f32_e32 v53, v53, v55
	;; [unrolled: 1-line block ×3, first 2 shown]
	s_waitcnt vmcnt(1)
	v_sub_f32_e32 v53, v121, v53
	s_waitcnt vmcnt(0)
	v_sub_f32_e32 v54, v122, v54
	buffer_store_dword v53, off, s[0:3], 0 offset:56
	buffer_store_dword v54, off, s[0:3], 0 offset:60
	v_cmpx_lt_u32_e32 6, v0
	s_cbranch_execz .LBB88_151
; %bb.150:
	s_clause 0x1
	buffer_load_dword v53, off, s[0:3], 0 offset:48
	buffer_load_dword v54, off, s[0:3], 0 offset:52
	buffer_store_dword v52, off, s[0:3], 0 offset:48
	buffer_store_dword v52, off, s[0:3], 0 offset:52
	s_waitcnt vmcnt(0)
	ds_write_b64 v51, v[53:54]
.LBB88_151:
	s_or_b32 exec_lo, exec_lo, s4
	s_waitcnt lgkmcnt(0)
	s_waitcnt_vscnt null, 0x0
	s_barrier
	buffer_gl0_inv
	s_clause 0x25
	buffer_load_dword v89, off, s[0:3], 0 offset:60
	buffer_load_dword v90, off, s[0:3], 0 offset:68
	;; [unrolled: 1-line block ×38, first 2 shown]
	ds_read2_b64 v[53:56], v52 offset0:33 offset1:34
	ds_read2_b64 v[57:60], v52 offset0:35 offset1:36
	;; [unrolled: 1-line block ×9, first 2 shown]
	s_mov_b32 s4, exec_lo
	s_waitcnt vmcnt(37) lgkmcnt(8)
	v_mul_f32_e32 v52, v53, v89
	v_mul_f32_e32 v89, v54, v89
	s_waitcnt vmcnt(36)
	v_mul_f32_e32 v127, v55, v90
	v_mul_f32_e32 v90, v56, v90
	s_waitcnt vmcnt(35) lgkmcnt(7)
	v_mul_f32_e32 v128, v57, v91
	s_waitcnt vmcnt(34)
	v_mul_f32_e32 v129, v59, v92
	s_waitcnt vmcnt(33) lgkmcnt(6)
	v_mul_f32_e32 v130, v61, v93
	s_waitcnt vmcnt(32)
	v_mul_f32_e32 v131, v63, v94
	s_waitcnt vmcnt(31) lgkmcnt(5)
	v_mul_f32_e32 v132, v65, v95
	s_waitcnt vmcnt(30)
	v_mul_f32_e32 v133, v67, v96
	s_waitcnt vmcnt(29) lgkmcnt(4)
	v_mul_f32_e32 v134, v69, v97
	s_waitcnt vmcnt(28)
	v_mul_f32_e32 v135, v71, v98
	s_waitcnt vmcnt(27) lgkmcnt(3)
	v_mul_f32_e32 v136, v73, v99
	s_waitcnt vmcnt(26)
	v_mul_f32_e32 v137, v75, v100
	s_waitcnt vmcnt(25) lgkmcnt(2)
	v_mul_f32_e32 v138, v77, v101
	s_waitcnt vmcnt(24)
	v_mul_f32_e32 v139, v79, v102
	s_waitcnt vmcnt(23) lgkmcnt(1)
	v_mul_f32_e32 v140, v81, v103
	s_waitcnt vmcnt(22)
	v_mul_f32_e32 v141, v83, v104
	s_waitcnt vmcnt(19)
	v_fma_f32 v53, v53, v107, -v89
	v_fmac_f32_e32 v52, v54, v107
	v_mul_f32_e32 v54, v58, v91
	s_waitcnt vmcnt(18)
	v_fma_f32 v55, v55, v108, -v90
	v_fmac_f32_e32 v127, v56, v108
	v_add_f32_e32 v53, 0, v53
	v_add_f32_e32 v52, 0, v52
	v_mul_f32_e32 v56, v60, v92
	s_waitcnt vmcnt(17)
	v_fma_f32 v54, v57, v109, -v54
	v_fmac_f32_e32 v128, v58, v109
	v_add_f32_e32 v53, v53, v55
	v_add_f32_e32 v52, v52, v127
	v_mul_f32_e32 v55, v62, v93
	s_waitcnt vmcnt(16)
	v_fma_f32 v56, v59, v110, -v56
	v_fmac_f32_e32 v129, v60, v110
	v_add_f32_e32 v53, v53, v54
	v_add_f32_e32 v52, v52, v128
	v_mul_f32_e32 v54, v64, v94
	s_waitcnt vmcnt(15)
	v_fma_f32 v55, v61, v111, -v55
	v_fmac_f32_e32 v130, v62, v111
	v_add_f32_e32 v53, v53, v56
	v_add_f32_e32 v52, v52, v129
	v_mul_f32_e32 v56, v66, v95
	s_waitcnt vmcnt(14)
	v_fma_f32 v54, v63, v112, -v54
	v_fmac_f32_e32 v131, v64, v112
	v_add_f32_e32 v53, v53, v55
	v_add_f32_e32 v52, v52, v130
	v_mul_f32_e32 v55, v68, v96
	s_waitcnt vmcnt(13)
	v_fma_f32 v56, v65, v113, -v56
	v_fmac_f32_e32 v132, v66, v113
	v_add_f32_e32 v53, v53, v54
	v_add_f32_e32 v52, v52, v131
	v_mul_f32_e32 v54, v70, v97
	s_waitcnt vmcnt(12)
	v_fma_f32 v55, v67, v114, -v55
	v_fmac_f32_e32 v133, v68, v114
	v_add_f32_e32 v53, v53, v56
	v_add_f32_e32 v52, v52, v132
	v_mul_f32_e32 v56, v72, v98
	s_waitcnt vmcnt(11)
	v_fma_f32 v54, v69, v115, -v54
	v_fmac_f32_e32 v134, v70, v115
	v_add_f32_e32 v53, v53, v55
	v_add_f32_e32 v52, v52, v133
	v_mul_f32_e32 v55, v74, v99
	s_waitcnt vmcnt(10)
	v_fma_f32 v56, v71, v116, -v56
	v_fmac_f32_e32 v135, v72, v116
	v_add_f32_e32 v53, v53, v54
	v_add_f32_e32 v52, v52, v134
	v_mul_f32_e32 v54, v76, v100
	s_waitcnt vmcnt(9)
	v_fma_f32 v55, v73, v117, -v55
	v_fmac_f32_e32 v136, v74, v117
	v_add_f32_e32 v53, v53, v56
	v_add_f32_e32 v52, v52, v135
	v_mul_f32_e32 v56, v78, v101
	s_waitcnt vmcnt(8)
	v_fma_f32 v54, v75, v118, -v54
	v_fmac_f32_e32 v137, v76, v118
	v_add_f32_e32 v53, v53, v55
	v_add_f32_e32 v52, v52, v136
	v_mul_f32_e32 v55, v80, v102
	s_waitcnt vmcnt(7)
	v_fma_f32 v56, v77, v119, -v56
	v_fmac_f32_e32 v138, v78, v119
	v_add_f32_e32 v53, v53, v54
	v_add_f32_e32 v52, v52, v137
	v_mul_f32_e32 v54, v82, v103
	s_waitcnt vmcnt(6)
	v_fma_f32 v55, v79, v120, -v55
	v_fmac_f32_e32 v139, v80, v120
	v_add_f32_e32 v53, v53, v56
	v_add_f32_e32 v52, v52, v138
	v_mul_f32_e32 v56, v84, v104
	s_waitcnt vmcnt(5)
	v_fma_f32 v54, v81, v121, -v54
	v_fmac_f32_e32 v140, v82, v121
	v_add_f32_e32 v53, v53, v55
	v_add_f32_e32 v52, v52, v139
	s_waitcnt lgkmcnt(0)
	v_mul_f32_e32 v55, v86, v105
	s_waitcnt vmcnt(4)
	v_fma_f32 v56, v83, v122, -v56
	v_mul_f32_e32 v142, v85, v105
	v_add_f32_e32 v53, v53, v54
	v_fmac_f32_e32 v141, v84, v122
	v_add_f32_e32 v52, v52, v140
	v_mul_f32_e32 v54, v88, v106
	s_waitcnt vmcnt(3)
	v_fma_f32 v55, v85, v123, -v55
	v_add_f32_e32 v53, v53, v56
	v_mul_f32_e32 v143, v87, v106
	v_fmac_f32_e32 v142, v86, v123
	v_add_f32_e32 v52, v52, v141
	s_waitcnt vmcnt(2)
	v_fma_f32 v54, v87, v124, -v54
	v_add_f32_e32 v53, v53, v55
	v_fmac_f32_e32 v143, v88, v124
	v_add_f32_e32 v52, v52, v142
	v_add_f32_e32 v53, v53, v54
	v_add_f32_e32 v52, v52, v143
	s_waitcnt vmcnt(1)
	v_sub_f32_e32 v53, v125, v53
	s_waitcnt vmcnt(0)
	v_sub_f32_e32 v52, v126, v52
	buffer_store_dword v53, off, s[0:3], 0 offset:48
	buffer_store_dword v52, off, s[0:3], 0 offset:52
	v_cmpx_lt_u32_e32 5, v0
	s_cbranch_execz .LBB88_153
; %bb.152:
	s_clause 0x1
	buffer_load_dword v52, off, s[0:3], 0 offset:40
	buffer_load_dword v53, off, s[0:3], 0 offset:44
	v_mov_b32_e32 v54, 0
	buffer_store_dword v54, off, s[0:3], 0 offset:40
	buffer_store_dword v54, off, s[0:3], 0 offset:44
	s_waitcnt vmcnt(0)
	ds_write_b64 v51, v[52:53]
.LBB88_153:
	s_or_b32 exec_lo, exec_lo, s4
	s_waitcnt lgkmcnt(0)
	s_waitcnt_vscnt null, 0x0
	s_barrier
	buffer_gl0_inv
	s_clause 0x27
	buffer_load_dword v91, off, s[0:3], 0 offset:52
	buffer_load_dword v92, off, s[0:3], 0 offset:60
	;; [unrolled: 1-line block ×40, first 2 shown]
	v_mov_b32_e32 v52, 0
	ds_read_b128 v[53:56], v52 offset:256
	ds_read_b128 v[57:60], v52 offset:272
	;; [unrolled: 1-line block ×9, first 2 shown]
	ds_read_b64 v[89:90], v52 offset:400
	s_mov_b32 s4, exec_lo
	s_waitcnt vmcnt(39) lgkmcnt(9)
	v_mul_f32_e32 v131, v53, v91
	v_mul_f32_e32 v91, v54, v91
	s_waitcnt vmcnt(38)
	v_mul_f32_e32 v132, v55, v92
	v_mul_f32_e32 v92, v56, v92
	s_waitcnt vmcnt(37) lgkmcnt(8)
	v_mul_f32_e32 v133, v57, v93
	s_waitcnt vmcnt(36)
	v_mul_f32_e32 v134, v59, v94
	s_waitcnt vmcnt(35) lgkmcnt(7)
	v_mul_f32_e32 v135, v61, v95
	s_waitcnt vmcnt(34)
	;; [unrolled: 4-line block ×8, first 2 shown]
	v_fma_f32 v53, v53, v110, -v91
	v_fmac_f32_e32 v131, v54, v110
	v_mul_f32_e32 v54, v58, v93
	s_waitcnt vmcnt(19)
	v_fma_f32 v55, v55, v111, -v92
	v_fmac_f32_e32 v132, v56, v111
	v_add_f32_e32 v53, 0, v53
	v_add_f32_e32 v56, 0, v131
	v_mul_f32_e32 v91, v60, v94
	s_waitcnt vmcnt(18)
	v_fma_f32 v54, v57, v112, -v54
	v_fmac_f32_e32 v133, v58, v112
	v_add_f32_e32 v53, v53, v55
	v_add_f32_e32 v55, v56, v132
	;; [unrolled: 6-line block ×15, first 2 shown]
	v_mul_f32_e32 v55, v88, v108
	s_waitcnt vmcnt(4)
	v_fma_f32 v56, v85, v126, -v56
	v_mul_f32_e32 v148, v87, v108
	v_add_f32_e32 v53, v53, v57
	v_fmac_f32_e32 v147, v86, v126
	v_add_f32_e32 v54, v54, v146
	s_waitcnt lgkmcnt(0)
	v_mul_f32_e32 v57, v90, v109
	s_waitcnt vmcnt(3)
	v_fma_f32 v55, v87, v127, -v55
	v_add_f32_e32 v53, v53, v56
	v_mul_f32_e32 v149, v89, v109
	v_fmac_f32_e32 v148, v88, v127
	v_add_f32_e32 v54, v54, v147
	s_waitcnt vmcnt(2)
	v_fma_f32 v56, v89, v128, -v57
	v_add_f32_e32 v53, v53, v55
	v_fmac_f32_e32 v149, v90, v128
	v_add_f32_e32 v54, v54, v148
	v_add_f32_e32 v53, v53, v56
	;; [unrolled: 1-line block ×3, first 2 shown]
	s_waitcnt vmcnt(1)
	v_sub_f32_e32 v53, v129, v53
	s_waitcnt vmcnt(0)
	v_sub_f32_e32 v54, v130, v54
	buffer_store_dword v53, off, s[0:3], 0 offset:40
	buffer_store_dword v54, off, s[0:3], 0 offset:44
	v_cmpx_lt_u32_e32 4, v0
	s_cbranch_execz .LBB88_155
; %bb.154:
	s_clause 0x1
	buffer_load_dword v53, off, s[0:3], 0 offset:32
	buffer_load_dword v54, off, s[0:3], 0 offset:36
	buffer_store_dword v52, off, s[0:3], 0 offset:32
	buffer_store_dword v52, off, s[0:3], 0 offset:36
	s_waitcnt vmcnt(0)
	ds_write_b64 v51, v[53:54]
.LBB88_155:
	s_or_b32 exec_lo, exec_lo, s4
	s_waitcnt lgkmcnt(0)
	s_waitcnt_vscnt null, 0x0
	s_barrier
	buffer_gl0_inv
	s_clause 0x29
	buffer_load_dword v93, off, s[0:3], 0 offset:44
	buffer_load_dword v94, off, s[0:3], 0 offset:52
	;; [unrolled: 1-line block ×42, first 2 shown]
	ds_read2_b64 v[53:56], v52 offset0:31 offset1:32
	ds_read2_b64 v[57:60], v52 offset0:33 offset1:34
	;; [unrolled: 1-line block ×10, first 2 shown]
	s_mov_b32 s4, exec_lo
	s_waitcnt vmcnt(41) lgkmcnt(9)
	v_mul_f32_e32 v52, v53, v93
	v_mul_f32_e32 v93, v54, v93
	s_waitcnt vmcnt(40)
	v_mul_f32_e32 v135, v55, v94
	v_mul_f32_e32 v94, v56, v94
	s_waitcnt vmcnt(39) lgkmcnt(8)
	v_mul_f32_e32 v136, v57, v95
	s_waitcnt vmcnt(38)
	v_mul_f32_e32 v137, v59, v96
	s_waitcnt vmcnt(37) lgkmcnt(7)
	v_mul_f32_e32 v138, v61, v97
	s_waitcnt vmcnt(36)
	;; [unrolled: 4-line block ×8, first 2 shown]
	v_mul_f32_e32 v151, v87, v110
	s_waitcnt vmcnt(21)
	v_fma_f32 v53, v53, v113, -v93
	v_fmac_f32_e32 v52, v54, v113
	v_mul_f32_e32 v54, v58, v95
	s_waitcnt vmcnt(20)
	v_fma_f32 v55, v55, v114, -v94
	v_fmac_f32_e32 v135, v56, v114
	v_add_f32_e32 v53, 0, v53
	v_add_f32_e32 v52, 0, v52
	v_mul_f32_e32 v56, v60, v96
	s_waitcnt vmcnt(19)
	v_fma_f32 v54, v57, v115, -v54
	v_fmac_f32_e32 v136, v58, v115
	v_add_f32_e32 v53, v53, v55
	v_add_f32_e32 v52, v52, v135
	;; [unrolled: 6-line block ×16, first 2 shown]
	s_waitcnt lgkmcnt(0)
	v_mul_f32_e32 v56, v90, v111
	s_waitcnt vmcnt(4)
	v_fma_f32 v54, v87, v130, -v54
	v_mul_f32_e32 v152, v89, v111
	v_add_f32_e32 v53, v53, v55
	v_fmac_f32_e32 v151, v88, v130
	v_add_f32_e32 v52, v52, v150
	v_mul_f32_e32 v55, v92, v112
	s_waitcnt vmcnt(3)
	v_fma_f32 v56, v89, v131, -v56
	v_add_f32_e32 v53, v53, v54
	v_mul_f32_e32 v153, v91, v112
	v_fmac_f32_e32 v152, v90, v131
	v_add_f32_e32 v52, v52, v151
	s_waitcnt vmcnt(2)
	v_fma_f32 v54, v91, v132, -v55
	v_add_f32_e32 v53, v53, v56
	v_fmac_f32_e32 v153, v92, v132
	v_add_f32_e32 v52, v52, v152
	v_add_f32_e32 v53, v53, v54
	;; [unrolled: 1-line block ×3, first 2 shown]
	s_waitcnt vmcnt(1)
	v_sub_f32_e32 v53, v133, v53
	s_waitcnt vmcnt(0)
	v_sub_f32_e32 v52, v134, v52
	buffer_store_dword v53, off, s[0:3], 0 offset:32
	buffer_store_dword v52, off, s[0:3], 0 offset:36
	v_cmpx_lt_u32_e32 3, v0
	s_cbranch_execz .LBB88_157
; %bb.156:
	s_clause 0x1
	buffer_load_dword v52, off, s[0:3], 0 offset:24
	buffer_load_dword v53, off, s[0:3], 0 offset:28
	v_mov_b32_e32 v54, 0
	buffer_store_dword v54, off, s[0:3], 0 offset:24
	buffer_store_dword v54, off, s[0:3], 0 offset:28
	s_waitcnt vmcnt(0)
	ds_write_b64 v51, v[52:53]
.LBB88_157:
	s_or_b32 exec_lo, exec_lo, s4
	s_waitcnt lgkmcnt(0)
	s_waitcnt_vscnt null, 0x0
	s_barrier
	buffer_gl0_inv
	s_clause 0x2b
	buffer_load_dword v95, off, s[0:3], 0 offset:36
	buffer_load_dword v96, off, s[0:3], 0 offset:44
	;; [unrolled: 1-line block ×44, first 2 shown]
	v_mov_b32_e32 v52, 0
	ds_read_b128 v[53:56], v52 offset:240
	ds_read_b128 v[57:60], v52 offset:256
	;; [unrolled: 1-line block ×10, first 2 shown]
	ds_read_b64 v[93:94], v52 offset:400
	s_mov_b32 s4, exec_lo
	s_waitcnt vmcnt(43) lgkmcnt(10)
	v_mul_f32_e32 v139, v53, v95
	v_mul_f32_e32 v95, v54, v95
	s_waitcnt vmcnt(42)
	v_mul_f32_e32 v140, v55, v96
	v_mul_f32_e32 v96, v56, v96
	s_waitcnt vmcnt(41) lgkmcnt(9)
	v_mul_f32_e32 v141, v57, v97
	s_waitcnt vmcnt(40)
	v_mul_f32_e32 v142, v59, v98
	s_waitcnt vmcnt(39) lgkmcnt(8)
	v_mul_f32_e32 v143, v61, v99
	s_waitcnt vmcnt(38)
	;; [unrolled: 4-line block ×9, first 2 shown]
	v_fma_f32 v53, v53, v116, -v95
	v_fmac_f32_e32 v139, v54, v116
	v_mul_f32_e32 v54, v58, v97
	s_waitcnt vmcnt(21)
	v_fma_f32 v55, v55, v117, -v96
	v_fmac_f32_e32 v140, v56, v117
	v_add_f32_e32 v53, 0, v53
	v_add_f32_e32 v56, 0, v139
	v_mul_f32_e32 v95, v60, v98
	s_waitcnt vmcnt(20)
	v_fma_f32 v54, v57, v118, -v54
	v_fmac_f32_e32 v141, v58, v118
	v_add_f32_e32 v53, v53, v55
	v_add_f32_e32 v55, v56, v140
	;; [unrolled: 6-line block ×17, first 2 shown]
	v_mul_f32_e32 v56, v92, v114
	s_waitcnt vmcnt(4)
	v_fma_f32 v57, v89, v134, -v57
	v_mul_f32_e32 v158, v91, v114
	v_add_f32_e32 v53, v53, v55
	v_fmac_f32_e32 v157, v90, v134
	v_add_f32_e32 v54, v54, v156
	s_waitcnt lgkmcnt(0)
	v_mul_f32_e32 v55, v94, v115
	s_waitcnt vmcnt(3)
	v_fma_f32 v56, v91, v135, -v56
	v_add_f32_e32 v53, v53, v57
	v_mul_f32_e32 v159, v93, v115
	v_fmac_f32_e32 v158, v92, v135
	v_add_f32_e32 v54, v54, v157
	s_waitcnt vmcnt(2)
	v_fma_f32 v55, v93, v136, -v55
	v_add_f32_e32 v53, v53, v56
	v_fmac_f32_e32 v159, v94, v136
	v_add_f32_e32 v54, v54, v158
	v_add_f32_e32 v53, v53, v55
	;; [unrolled: 1-line block ×3, first 2 shown]
	s_waitcnt vmcnt(1)
	v_sub_f32_e32 v53, v137, v53
	s_waitcnt vmcnt(0)
	v_sub_f32_e32 v54, v138, v54
	buffer_store_dword v53, off, s[0:3], 0 offset:24
	buffer_store_dword v54, off, s[0:3], 0 offset:28
	v_cmpx_lt_u32_e32 2, v0
	s_cbranch_execz .LBB88_159
; %bb.158:
	s_clause 0x1
	buffer_load_dword v53, off, s[0:3], 0 offset:16
	buffer_load_dword v54, off, s[0:3], 0 offset:20
	buffer_store_dword v52, off, s[0:3], 0 offset:16
	buffer_store_dword v52, off, s[0:3], 0 offset:20
	s_waitcnt vmcnt(0)
	ds_write_b64 v51, v[53:54]
.LBB88_159:
	s_or_b32 exec_lo, exec_lo, s4
	s_waitcnt lgkmcnt(0)
	s_waitcnt_vscnt null, 0x0
	s_barrier
	buffer_gl0_inv
	s_clause 0x2d
	buffer_load_dword v97, off, s[0:3], 0 offset:28
	buffer_load_dword v98, off, s[0:3], 0 offset:36
	;; [unrolled: 1-line block ×46, first 2 shown]
	ds_read2_b64 v[53:56], v52 offset0:29 offset1:30
	ds_read2_b64 v[57:60], v52 offset0:31 offset1:32
	ds_read2_b64 v[61:64], v52 offset0:33 offset1:34
	ds_read2_b64 v[65:68], v52 offset0:35 offset1:36
	ds_read2_b64 v[69:72], v52 offset0:37 offset1:38
	ds_read2_b64 v[73:76], v52 offset0:39 offset1:40
	ds_read2_b64 v[77:80], v52 offset0:41 offset1:42
	ds_read2_b64 v[81:84], v52 offset0:43 offset1:44
	ds_read2_b64 v[85:88], v52 offset0:45 offset1:46
	ds_read2_b64 v[89:92], v52 offset0:47 offset1:48
	ds_read2_b64 v[93:96], v52 offset0:49 offset1:50
	s_mov_b32 s4, exec_lo
	s_waitcnt vmcnt(45) lgkmcnt(10)
	v_mul_f32_e32 v52, v53, v97
	v_mul_f32_e32 v97, v54, v97
	s_waitcnt vmcnt(44)
	v_mul_f32_e32 v143, v55, v98
	v_mul_f32_e32 v98, v56, v98
	s_waitcnt vmcnt(43) lgkmcnt(9)
	v_mul_f32_e32 v144, v57, v99
	s_waitcnt vmcnt(42)
	v_mul_f32_e32 v145, v59, v100
	s_waitcnt vmcnt(41) lgkmcnt(8)
	v_mul_f32_e32 v146, v61, v101
	s_waitcnt vmcnt(40)
	;; [unrolled: 4-line block ×9, first 2 shown]
	v_mul_f32_e32 v161, v91, v116
	s_waitcnt vmcnt(23)
	v_fma_f32 v53, v53, v119, -v97
	v_fmac_f32_e32 v52, v54, v119
	v_mul_f32_e32 v54, v58, v99
	s_waitcnt vmcnt(22)
	v_fma_f32 v55, v55, v120, -v98
	v_fmac_f32_e32 v143, v56, v120
	v_add_f32_e32 v53, 0, v53
	v_add_f32_e32 v52, 0, v52
	v_mul_f32_e32 v56, v60, v100
	s_waitcnt vmcnt(21)
	v_fma_f32 v54, v57, v121, -v54
	v_fmac_f32_e32 v144, v58, v121
	v_add_f32_e32 v53, v53, v55
	v_add_f32_e32 v52, v52, v143
	;; [unrolled: 6-line block ×18, first 2 shown]
	s_waitcnt lgkmcnt(0)
	v_mul_f32_e32 v54, v94, v117
	s_waitcnt vmcnt(4)
	v_fma_f32 v55, v91, v138, -v55
	v_mul_f32_e32 v162, v93, v117
	v_add_f32_e32 v53, v53, v56
	v_fmac_f32_e32 v161, v92, v138
	v_add_f32_e32 v52, v52, v160
	v_mul_f32_e32 v56, v96, v118
	s_waitcnt vmcnt(3)
	v_fma_f32 v54, v93, v139, -v54
	v_add_f32_e32 v53, v53, v55
	v_mul_f32_e32 v163, v95, v118
	v_fmac_f32_e32 v162, v94, v139
	v_add_f32_e32 v52, v52, v161
	s_waitcnt vmcnt(2)
	v_fma_f32 v55, v95, v140, -v56
	v_add_f32_e32 v53, v53, v54
	v_fmac_f32_e32 v163, v96, v140
	v_add_f32_e32 v52, v52, v162
	v_add_f32_e32 v53, v53, v55
	;; [unrolled: 1-line block ×3, first 2 shown]
	s_waitcnt vmcnt(1)
	v_sub_f32_e32 v53, v141, v53
	s_waitcnt vmcnt(0)
	v_sub_f32_e32 v52, v142, v52
	buffer_store_dword v53, off, s[0:3], 0 offset:16
	buffer_store_dword v52, off, s[0:3], 0 offset:20
	v_cmpx_lt_u32_e32 1, v0
	s_cbranch_execz .LBB88_161
; %bb.160:
	s_clause 0x1
	buffer_load_dword v52, off, s[0:3], 0 offset:8
	buffer_load_dword v53, off, s[0:3], 0 offset:12
	v_mov_b32_e32 v54, 0
	buffer_store_dword v54, off, s[0:3], 0 offset:8
	buffer_store_dword v54, off, s[0:3], 0 offset:12
	s_waitcnt vmcnt(0)
	ds_write_b64 v51, v[52:53]
.LBB88_161:
	s_or_b32 exec_lo, exec_lo, s4
	s_waitcnt lgkmcnt(0)
	s_waitcnt_vscnt null, 0x0
	s_barrier
	buffer_gl0_inv
	s_clause 0x2f
	buffer_load_dword v99, off, s[0:3], 0 offset:20
	buffer_load_dword v100, off, s[0:3], 0 offset:28
	buffer_load_dword v101, off, s[0:3], 0 offset:36
	buffer_load_dword v102, off, s[0:3], 0 offset:44
	buffer_load_dword v103, off, s[0:3], 0 offset:52
	buffer_load_dword v104, off, s[0:3], 0 offset:60
	buffer_load_dword v105, off, s[0:3], 0 offset:68
	buffer_load_dword v106, off, s[0:3], 0 offset:76
	buffer_load_dword v107, off, s[0:3], 0 offset:84
	buffer_load_dword v108, off, s[0:3], 0 offset:92
	buffer_load_dword v109, off, s[0:3], 0 offset:100
	buffer_load_dword v110, off, s[0:3], 0 offset:108
	buffer_load_dword v111, off, s[0:3], 0 offset:116
	buffer_load_dword v112, off, s[0:3], 0 offset:124
	buffer_load_dword v113, off, s[0:3], 0 offset:132
	buffer_load_dword v114, off, s[0:3], 0 offset:140
	buffer_load_dword v115, off, s[0:3], 0 offset:148
	buffer_load_dword v116, off, s[0:3], 0 offset:156
	buffer_load_dword v117, off, s[0:3], 0 offset:164
	buffer_load_dword v118, off, s[0:3], 0 offset:172
	buffer_load_dword v119, off, s[0:3], 0 offset:180
	buffer_load_dword v120, off, s[0:3], 0 offset:188
	buffer_load_dword v121, off, s[0:3], 0 offset:196
	buffer_load_dword v122, off, s[0:3], 0 offset:16
	buffer_load_dword v123, off, s[0:3], 0 offset:24
	buffer_load_dword v124, off, s[0:3], 0 offset:32
	buffer_load_dword v125, off, s[0:3], 0 offset:40
	buffer_load_dword v126, off, s[0:3], 0 offset:48
	buffer_load_dword v127, off, s[0:3], 0 offset:56
	buffer_load_dword v128, off, s[0:3], 0 offset:64
	buffer_load_dword v129, off, s[0:3], 0 offset:72
	buffer_load_dword v130, off, s[0:3], 0 offset:80
	buffer_load_dword v131, off, s[0:3], 0 offset:88
	buffer_load_dword v132, off, s[0:3], 0 offset:96
	buffer_load_dword v133, off, s[0:3], 0 offset:104
	buffer_load_dword v134, off, s[0:3], 0 offset:112
	buffer_load_dword v135, off, s[0:3], 0 offset:120
	buffer_load_dword v136, off, s[0:3], 0 offset:128
	buffer_load_dword v137, off, s[0:3], 0 offset:136
	buffer_load_dword v138, off, s[0:3], 0 offset:144
	buffer_load_dword v139, off, s[0:3], 0 offset:152
	buffer_load_dword v140, off, s[0:3], 0 offset:160
	buffer_load_dword v141, off, s[0:3], 0 offset:168
	buffer_load_dword v142, off, s[0:3], 0 offset:176
	buffer_load_dword v143, off, s[0:3], 0 offset:184
	buffer_load_dword v144, off, s[0:3], 0 offset:192
	buffer_load_dword v145, off, s[0:3], 0 offset:8
	buffer_load_dword v146, off, s[0:3], 0 offset:12
	v_mov_b32_e32 v52, 0
	ds_read_b128 v[53:56], v52 offset:224
	ds_read_b128 v[57:60], v52 offset:240
	ds_read_b128 v[61:64], v52 offset:256
	ds_read_b128 v[65:68], v52 offset:272
	ds_read_b128 v[69:72], v52 offset:288
	ds_read_b128 v[73:76], v52 offset:304
	ds_read_b128 v[77:80], v52 offset:320
	ds_read_b128 v[81:84], v52 offset:336
	ds_read_b128 v[85:88], v52 offset:352
	ds_read_b128 v[89:92], v52 offset:368
	ds_read_b128 v[93:96], v52 offset:384
	ds_read_b64 v[97:98], v52 offset:400
	s_mov_b32 s4, exec_lo
	s_waitcnt vmcnt(47) lgkmcnt(11)
	v_mul_f32_e32 v147, v53, v99
	v_mul_f32_e32 v99, v54, v99
	s_waitcnt vmcnt(46)
	v_mul_f32_e32 v148, v55, v100
	v_mul_f32_e32 v100, v56, v100
	s_waitcnt vmcnt(45) lgkmcnt(10)
	v_mul_f32_e32 v149, v57, v101
	s_waitcnt vmcnt(44)
	v_mul_f32_e32 v150, v59, v102
	s_waitcnt vmcnt(43) lgkmcnt(9)
	v_mul_f32_e32 v151, v61, v103
	s_waitcnt vmcnt(42)
	;; [unrolled: 4-line block ×10, first 2 shown]
	v_fma_f32 v53, v53, v122, -v99
	v_fmac_f32_e32 v147, v54, v122
	v_mul_f32_e32 v54, v58, v101
	s_waitcnt vmcnt(23)
	v_fma_f32 v55, v55, v123, -v100
	v_fmac_f32_e32 v148, v56, v123
	v_add_f32_e32 v53, 0, v53
	v_add_f32_e32 v56, 0, v147
	v_mul_f32_e32 v99, v60, v102
	s_waitcnt vmcnt(22)
	v_fma_f32 v54, v57, v124, -v54
	v_fmac_f32_e32 v149, v58, v124
	v_add_f32_e32 v53, v53, v55
	v_add_f32_e32 v55, v56, v148
	;; [unrolled: 6-line block ×19, first 2 shown]
	v_mul_f32_e32 v57, v96, v120
	s_waitcnt vmcnt(4)
	v_fma_f32 v55, v93, v142, -v55
	v_mul_f32_e32 v168, v95, v120
	v_add_f32_e32 v53, v53, v56
	v_fmac_f32_e32 v167, v94, v142
	v_add_f32_e32 v54, v54, v166
	s_waitcnt lgkmcnt(0)
	v_mul_f32_e32 v56, v98, v121
	s_waitcnt vmcnt(3)
	v_fma_f32 v57, v95, v143, -v57
	v_add_f32_e32 v53, v53, v55
	v_mul_f32_e32 v169, v97, v121
	v_fmac_f32_e32 v168, v96, v143
	v_add_f32_e32 v54, v54, v167
	s_waitcnt vmcnt(2)
	v_fma_f32 v55, v97, v144, -v56
	v_add_f32_e32 v53, v53, v57
	v_fmac_f32_e32 v169, v98, v144
	v_add_f32_e32 v54, v54, v168
	v_add_f32_e32 v53, v53, v55
	;; [unrolled: 1-line block ×3, first 2 shown]
	s_waitcnt vmcnt(1)
	v_sub_f32_e32 v53, v145, v53
	s_waitcnt vmcnt(0)
	v_sub_f32_e32 v54, v146, v54
	buffer_store_dword v53, off, s[0:3], 0 offset:8
	buffer_store_dword v54, off, s[0:3], 0 offset:12
	v_cmpx_ne_u32_e32 0, v0
	s_cbranch_execz .LBB88_163
; %bb.162:
	s_clause 0x1
	buffer_load_dword v53, off, s[0:3], 0
	buffer_load_dword v54, off, s[0:3], 0 offset:4
	buffer_store_dword v52, off, s[0:3], 0
	buffer_store_dword v52, off, s[0:3], 0 offset:4
	s_waitcnt vmcnt(0)
	ds_write_b64 v51, v[53:54]
.LBB88_163:
	s_or_b32 exec_lo, exec_lo, s4
	s_waitcnt lgkmcnt(0)
	s_waitcnt_vscnt null, 0x0
	s_barrier
	buffer_gl0_inv
	s_clause 0x31
	buffer_load_dword v0, off, s[0:3], 0 offset:12
	buffer_load_dword v51, off, s[0:3], 0 offset:20
	;; [unrolled: 1-line block ×48, first 2 shown]
	buffer_load_dword v147, off, s[0:3], 0
	buffer_load_dword v148, off, s[0:3], 0 offset:4
	ds_read2_b64 v[53:56], v52 offset0:27 offset1:28
	ds_read2_b64 v[57:60], v52 offset0:29 offset1:30
	;; [unrolled: 1-line block ×12, first 2 shown]
	s_and_b32 vcc_lo, exec_lo, s16
	s_waitcnt vmcnt(49) lgkmcnt(11)
	v_mul_f32_e32 v52, v53, v0
	v_mul_f32_e32 v0, v54, v0
	s_waitcnt vmcnt(48)
	v_mul_f32_e32 v149, v55, v51
	v_mul_f32_e32 v51, v56, v51
	s_waitcnt vmcnt(47) lgkmcnt(10)
	v_mul_f32_e32 v150, v57, v101
	s_waitcnt vmcnt(46)
	v_mul_f32_e32 v151, v59, v102
	s_waitcnt vmcnt(45) lgkmcnt(9)
	v_mul_f32_e32 v152, v61, v103
	s_waitcnt vmcnt(44)
	;; [unrolled: 4-line block ×10, first 2 shown]
	v_mul_f32_e32 v169, v95, v120
	s_waitcnt vmcnt(25)
	v_fma_f32 v0, v53, v123, -v0
	v_fmac_f32_e32 v52, v54, v123
	v_mul_f32_e32 v53, v58, v101
	s_waitcnt vmcnt(24)
	v_fma_f32 v51, v55, v124, -v51
	v_fmac_f32_e32 v149, v56, v124
	v_add_f32_e32 v0, 0, v0
	v_add_f32_e32 v52, 0, v52
	v_mul_f32_e32 v54, v60, v102
	s_waitcnt vmcnt(23)
	v_fma_f32 v53, v57, v125, -v53
	v_fmac_f32_e32 v150, v58, v125
	v_add_f32_e32 v0, v0, v51
	v_add_f32_e32 v51, v52, v149
	;; [unrolled: 6-line block ×20, first 2 shown]
	s_waitcnt lgkmcnt(0)
	v_mul_f32_e32 v52, v98, v121
	s_waitcnt vmcnt(4)
	v_fma_f32 v54, v95, v144, -v54
	v_mul_f32_e32 v170, v97, v121
	v_add_f32_e32 v0, v0, v53
	v_fmac_f32_e32 v169, v96, v144
	v_add_f32_e32 v51, v51, v168
	v_mul_f32_e32 v53, v100, v122
	s_waitcnt vmcnt(3)
	v_fma_f32 v52, v97, v145, -v52
	v_add_f32_e32 v0, v0, v54
	v_mul_f32_e32 v171, v99, v122
	v_fmac_f32_e32 v170, v98, v145
	v_add_f32_e32 v51, v51, v169
	s_waitcnt vmcnt(2)
	v_fma_f32 v53, v99, v146, -v53
	v_add_f32_e32 v0, v0, v52
	v_fmac_f32_e32 v171, v100, v146
	v_add_f32_e32 v51, v51, v170
	v_add_f32_e32 v0, v0, v53
	;; [unrolled: 1-line block ×3, first 2 shown]
	s_waitcnt vmcnt(1)
	v_sub_f32_e32 v0, v147, v0
	s_waitcnt vmcnt(0)
	v_sub_f32_e32 v51, v148, v51
	buffer_store_dword v0, off, s[0:3], 0
	buffer_store_dword v51, off, s[0:3], 0 offset:4
	s_cbranch_vccz .LBB88_212
; %bb.164:
	v_mov_b32_e32 v0, 0
	global_load_dword v51, v0, s[12:13] offset:92
	s_waitcnt vmcnt(0)
	v_add_nc_u32_e32 v51, -1, v51
	v_cmp_ne_u32_e32 vcc_lo, 23, v51
	s_cbranch_vccz .LBB88_166
; %bb.165:
	v_lshlrev_b32_e32 v51, 3, v51
	s_clause 0x3
	buffer_load_dword v52, v51, s[0:3], 0 offen
	buffer_load_dword v53, v51, s[0:3], 0 offen offset:4
	buffer_load_dword v54, off, s[0:3], 0 offset:184
	buffer_load_dword v55, off, s[0:3], 0 offset:188
	s_waitcnt vmcnt(3)
	buffer_store_dword v52, off, s[0:3], 0 offset:184
	s_waitcnt vmcnt(2)
	buffer_store_dword v53, off, s[0:3], 0 offset:188
	s_waitcnt vmcnt(1)
	buffer_store_dword v54, v51, s[0:3], 0 offen
	s_waitcnt vmcnt(0)
	buffer_store_dword v55, v51, s[0:3], 0 offen offset:4
.LBB88_166:
	global_load_dword v0, v0, s[12:13] offset:88
	s_waitcnt vmcnt(0)
	v_add_nc_u32_e32 v0, -1, v0
	v_cmp_eq_u32_e32 vcc_lo, 22, v0
	s_cbranch_vccnz .LBB88_168
; %bb.167:
	v_lshlrev_b32_e32 v0, 3, v0
	s_clause 0x3
	buffer_load_dword v51, v0, s[0:3], 0 offen
	buffer_load_dword v52, v0, s[0:3], 0 offen offset:4
	buffer_load_dword v53, off, s[0:3], 0 offset:180
	buffer_load_dword v54, off, s[0:3], 0 offset:176
	s_waitcnt vmcnt(3)
	buffer_store_dword v51, off, s[0:3], 0 offset:176
	s_waitcnt vmcnt(2)
	buffer_store_dword v52, off, s[0:3], 0 offset:180
	s_waitcnt vmcnt(1)
	buffer_store_dword v53, v0, s[0:3], 0 offen offset:4
	s_waitcnt vmcnt(0)
	buffer_store_dword v54, v0, s[0:3], 0 offen
.LBB88_168:
	v_mov_b32_e32 v0, 0
	global_load_dword v51, v0, s[12:13] offset:84
	s_waitcnt vmcnt(0)
	v_add_nc_u32_e32 v51, -1, v51
	v_cmp_eq_u32_e32 vcc_lo, 21, v51
	s_cbranch_vccnz .LBB88_170
; %bb.169:
	v_lshlrev_b32_e32 v51, 3, v51
	s_clause 0x3
	buffer_load_dword v52, v51, s[0:3], 0 offen
	buffer_load_dword v53, v51, s[0:3], 0 offen offset:4
	buffer_load_dword v54, off, s[0:3], 0 offset:168
	buffer_load_dword v55, off, s[0:3], 0 offset:172
	s_waitcnt vmcnt(3)
	buffer_store_dword v52, off, s[0:3], 0 offset:168
	s_waitcnt vmcnt(2)
	buffer_store_dword v53, off, s[0:3], 0 offset:172
	s_waitcnt vmcnt(1)
	buffer_store_dword v54, v51, s[0:3], 0 offen
	s_waitcnt vmcnt(0)
	buffer_store_dword v55, v51, s[0:3], 0 offen offset:4
.LBB88_170:
	global_load_dword v0, v0, s[12:13] offset:80
	s_waitcnt vmcnt(0)
	v_add_nc_u32_e32 v0, -1, v0
	v_cmp_eq_u32_e32 vcc_lo, 20, v0
	s_cbranch_vccnz .LBB88_172
; %bb.171:
	v_lshlrev_b32_e32 v0, 3, v0
	s_clause 0x3
	buffer_load_dword v51, v0, s[0:3], 0 offen
	buffer_load_dword v52, v0, s[0:3], 0 offen offset:4
	buffer_load_dword v53, off, s[0:3], 0 offset:164
	buffer_load_dword v54, off, s[0:3], 0 offset:160
	s_waitcnt vmcnt(3)
	buffer_store_dword v51, off, s[0:3], 0 offset:160
	s_waitcnt vmcnt(2)
	buffer_store_dword v52, off, s[0:3], 0 offset:164
	s_waitcnt vmcnt(1)
	buffer_store_dword v53, v0, s[0:3], 0 offen offset:4
	s_waitcnt vmcnt(0)
	buffer_store_dword v54, v0, s[0:3], 0 offen
.LBB88_172:
	v_mov_b32_e32 v0, 0
	global_load_dword v51, v0, s[12:13] offset:76
	s_waitcnt vmcnt(0)
	v_add_nc_u32_e32 v51, -1, v51
	v_cmp_eq_u32_e32 vcc_lo, 19, v51
	s_cbranch_vccnz .LBB88_174
; %bb.173:
	v_lshlrev_b32_e32 v51, 3, v51
	s_clause 0x3
	buffer_load_dword v52, v51, s[0:3], 0 offen
	buffer_load_dword v53, v51, s[0:3], 0 offen offset:4
	buffer_load_dword v54, off, s[0:3], 0 offset:152
	buffer_load_dword v55, off, s[0:3], 0 offset:156
	s_waitcnt vmcnt(3)
	buffer_store_dword v52, off, s[0:3], 0 offset:152
	s_waitcnt vmcnt(2)
	buffer_store_dword v53, off, s[0:3], 0 offset:156
	s_waitcnt vmcnt(1)
	buffer_store_dword v54, v51, s[0:3], 0 offen
	s_waitcnt vmcnt(0)
	buffer_store_dword v55, v51, s[0:3], 0 offen offset:4
.LBB88_174:
	;; [unrolled: 43-line block ×11, first 2 shown]
	global_load_dword v0, v0, s[12:13]
	s_waitcnt vmcnt(0)
	v_add_nc_u32_e32 v0, -1, v0
	v_cmp_eq_u32_e32 vcc_lo, 0, v0
	s_cbranch_vccnz .LBB88_212
; %bb.211:
	v_lshlrev_b32_e32 v0, 3, v0
	s_clause 0x3
	buffer_load_dword v51, v0, s[0:3], 0 offen
	buffer_load_dword v52, v0, s[0:3], 0 offen offset:4
	buffer_load_dword v53, off, s[0:3], 0 offset:4
	buffer_load_dword v54, off, s[0:3], 0
	s_waitcnt vmcnt(3)
	buffer_store_dword v51, off, s[0:3], 0
	s_waitcnt vmcnt(2)
	buffer_store_dword v52, off, s[0:3], 0 offset:4
	s_waitcnt vmcnt(1)
	buffer_store_dword v53, v0, s[0:3], 0 offen offset:4
	s_waitcnt vmcnt(0)
	buffer_store_dword v54, v0, s[0:3], 0 offen
.LBB88_212:
	s_clause 0x1
	buffer_load_dword v51, off, s[0:3], 0
	buffer_load_dword v52, off, s[0:3], 0 offset:4
	s_waitcnt vmcnt(0)
	flat_store_dwordx2 v[1:2], v[51:52]
	s_clause 0x1
	buffer_load_dword v0, off, s[0:3], 0 offset:8
	buffer_load_dword v1, off, s[0:3], 0 offset:12
	s_waitcnt vmcnt(0)
	flat_store_dwordx2 v[3:4], v[0:1]
	s_clause 0x1
	buffer_load_dword v0, off, s[0:3], 0 offset:16
	;; [unrolled: 5-line block ×24, first 2 shown]
	buffer_load_dword v1, off, s[0:3], 0 offset:196
	s_waitcnt vmcnt(0)
	flat_store_dwordx2 v[49:50], v[0:1]
	s_endpgm
	.section	.rodata,"a",@progbits
	.p2align	6, 0x0
	.amdhsa_kernel _ZN9rocsolver6v33100L18getri_kernel_smallILi25E19rocblas_complex_numIfEPKPS3_EEvT1_iilPiilS8_bb
		.amdhsa_group_segment_fixed_size 408
		.amdhsa_private_segment_fixed_size 208
		.amdhsa_kernarg_size 60
		.amdhsa_user_sgpr_count 6
		.amdhsa_user_sgpr_private_segment_buffer 1
		.amdhsa_user_sgpr_dispatch_ptr 0
		.amdhsa_user_sgpr_queue_ptr 0
		.amdhsa_user_sgpr_kernarg_segment_ptr 1
		.amdhsa_user_sgpr_dispatch_id 0
		.amdhsa_user_sgpr_flat_scratch_init 0
		.amdhsa_user_sgpr_private_segment_size 0
		.amdhsa_wavefront_size32 1
		.amdhsa_uses_dynamic_stack 0
		.amdhsa_system_sgpr_private_segment_wavefront_offset 1
		.amdhsa_system_sgpr_workgroup_id_x 1
		.amdhsa_system_sgpr_workgroup_id_y 0
		.amdhsa_system_sgpr_workgroup_id_z 0
		.amdhsa_system_sgpr_workgroup_info 0
		.amdhsa_system_vgpr_workitem_id 0
		.amdhsa_next_free_vgpr 172
		.amdhsa_next_free_sgpr 20
		.amdhsa_reserve_vcc 1
		.amdhsa_reserve_flat_scratch 0
		.amdhsa_float_round_mode_32 0
		.amdhsa_float_round_mode_16_64 0
		.amdhsa_float_denorm_mode_32 3
		.amdhsa_float_denorm_mode_16_64 3
		.amdhsa_dx10_clamp 1
		.amdhsa_ieee_mode 1
		.amdhsa_fp16_overflow 0
		.amdhsa_workgroup_processor_mode 1
		.amdhsa_memory_ordered 1
		.amdhsa_forward_progress 1
		.amdhsa_shared_vgpr_count 0
		.amdhsa_exception_fp_ieee_invalid_op 0
		.amdhsa_exception_fp_denorm_src 0
		.amdhsa_exception_fp_ieee_div_zero 0
		.amdhsa_exception_fp_ieee_overflow 0
		.amdhsa_exception_fp_ieee_underflow 0
		.amdhsa_exception_fp_ieee_inexact 0
		.amdhsa_exception_int_div_zero 0
	.end_amdhsa_kernel
	.section	.text._ZN9rocsolver6v33100L18getri_kernel_smallILi25E19rocblas_complex_numIfEPKPS3_EEvT1_iilPiilS8_bb,"axG",@progbits,_ZN9rocsolver6v33100L18getri_kernel_smallILi25E19rocblas_complex_numIfEPKPS3_EEvT1_iilPiilS8_bb,comdat
.Lfunc_end88:
	.size	_ZN9rocsolver6v33100L18getri_kernel_smallILi25E19rocblas_complex_numIfEPKPS3_EEvT1_iilPiilS8_bb, .Lfunc_end88-_ZN9rocsolver6v33100L18getri_kernel_smallILi25E19rocblas_complex_numIfEPKPS3_EEvT1_iilPiilS8_bb
                                        ; -- End function
	.set _ZN9rocsolver6v33100L18getri_kernel_smallILi25E19rocblas_complex_numIfEPKPS3_EEvT1_iilPiilS8_bb.num_vgpr, 172
	.set _ZN9rocsolver6v33100L18getri_kernel_smallILi25E19rocblas_complex_numIfEPKPS3_EEvT1_iilPiilS8_bb.num_agpr, 0
	.set _ZN9rocsolver6v33100L18getri_kernel_smallILi25E19rocblas_complex_numIfEPKPS3_EEvT1_iilPiilS8_bb.numbered_sgpr, 20
	.set _ZN9rocsolver6v33100L18getri_kernel_smallILi25E19rocblas_complex_numIfEPKPS3_EEvT1_iilPiilS8_bb.num_named_barrier, 0
	.set _ZN9rocsolver6v33100L18getri_kernel_smallILi25E19rocblas_complex_numIfEPKPS3_EEvT1_iilPiilS8_bb.private_seg_size, 208
	.set _ZN9rocsolver6v33100L18getri_kernel_smallILi25E19rocblas_complex_numIfEPKPS3_EEvT1_iilPiilS8_bb.uses_vcc, 1
	.set _ZN9rocsolver6v33100L18getri_kernel_smallILi25E19rocblas_complex_numIfEPKPS3_EEvT1_iilPiilS8_bb.uses_flat_scratch, 0
	.set _ZN9rocsolver6v33100L18getri_kernel_smallILi25E19rocblas_complex_numIfEPKPS3_EEvT1_iilPiilS8_bb.has_dyn_sized_stack, 0
	.set _ZN9rocsolver6v33100L18getri_kernel_smallILi25E19rocblas_complex_numIfEPKPS3_EEvT1_iilPiilS8_bb.has_recursion, 0
	.set _ZN9rocsolver6v33100L18getri_kernel_smallILi25E19rocblas_complex_numIfEPKPS3_EEvT1_iilPiilS8_bb.has_indirect_call, 0
	.section	.AMDGPU.csdata,"",@progbits
; Kernel info:
; codeLenInByte = 32288
; TotalNumSgprs: 22
; NumVgprs: 172
; ScratchSize: 208
; MemoryBound: 0
; FloatMode: 240
; IeeeMode: 1
; LDSByteSize: 408 bytes/workgroup (compile time only)
; SGPRBlocks: 0
; VGPRBlocks: 21
; NumSGPRsForWavesPerEU: 22
; NumVGPRsForWavesPerEU: 172
; Occupancy: 5
; WaveLimiterHint : 1
; COMPUTE_PGM_RSRC2:SCRATCH_EN: 1
; COMPUTE_PGM_RSRC2:USER_SGPR: 6
; COMPUTE_PGM_RSRC2:TRAP_HANDLER: 0
; COMPUTE_PGM_RSRC2:TGID_X_EN: 1
; COMPUTE_PGM_RSRC2:TGID_Y_EN: 0
; COMPUTE_PGM_RSRC2:TGID_Z_EN: 0
; COMPUTE_PGM_RSRC2:TIDIG_COMP_CNT: 0
	.section	.text._ZN9rocsolver6v33100L18getri_kernel_smallILi26E19rocblas_complex_numIfEPKPS3_EEvT1_iilPiilS8_bb,"axG",@progbits,_ZN9rocsolver6v33100L18getri_kernel_smallILi26E19rocblas_complex_numIfEPKPS3_EEvT1_iilPiilS8_bb,comdat
	.globl	_ZN9rocsolver6v33100L18getri_kernel_smallILi26E19rocblas_complex_numIfEPKPS3_EEvT1_iilPiilS8_bb ; -- Begin function _ZN9rocsolver6v33100L18getri_kernel_smallILi26E19rocblas_complex_numIfEPKPS3_EEvT1_iilPiilS8_bb
	.p2align	8
	.type	_ZN9rocsolver6v33100L18getri_kernel_smallILi26E19rocblas_complex_numIfEPKPS3_EEvT1_iilPiilS8_bb,@function
_ZN9rocsolver6v33100L18getri_kernel_smallILi26E19rocblas_complex_numIfEPKPS3_EEvT1_iilPiilS8_bb: ; @_ZN9rocsolver6v33100L18getri_kernel_smallILi26E19rocblas_complex_numIfEPKPS3_EEvT1_iilPiilS8_bb
; %bb.0:
	s_add_u32 s0, s0, s7
	s_addc_u32 s1, s1, 0
	s_mov_b32 s7, exec_lo
	v_cmpx_gt_u32_e32 26, v0
	s_cbranch_execz .LBB89_118
; %bb.1:
	s_clause 0x2
	s_load_dword s17, s[4:5], 0x38
	s_load_dwordx2 s[12:13], s[4:5], 0x0
	s_load_dwordx4 s[8:11], s[4:5], 0x28
	s_waitcnt lgkmcnt(0)
	s_bitcmp1_b32 s17, 8
	s_cselect_b32 s16, -1, 0
	s_ashr_i32 s7, s6, 31
	s_lshl_b64 s[14:15], s[6:7], 3
	s_add_u32 s12, s12, s14
	s_addc_u32 s13, s13, s15
	s_load_dwordx2 s[14:15], s[12:13], 0x0
	s_bfe_u32 s12, s17, 0x10008
	s_cmp_eq_u32 s12, 0
                                        ; implicit-def: $sgpr12_sgpr13
	s_cbranch_scc1 .LBB89_3
; %bb.2:
	s_clause 0x1
	s_load_dword s12, s[4:5], 0x20
	s_load_dwordx2 s[18:19], s[4:5], 0x18
	s_mul_i32 s13, s8, s7
	s_mul_hi_u32 s17, s8, s6
	s_mul_i32 s9, s9, s6
	s_add_i32 s13, s17, s13
	s_mul_i32 s8, s8, s6
	s_add_i32 s9, s13, s9
	s_lshl_b64 s[8:9], s[8:9], 2
	s_waitcnt lgkmcnt(0)
	s_ashr_i32 s13, s12, 31
	s_add_u32 s17, s18, s8
	s_addc_u32 s18, s19, s9
	s_lshl_b64 s[8:9], s[12:13], 2
	s_add_u32 s12, s17, s8
	s_addc_u32 s13, s18, s9
.LBB89_3:
	s_clause 0x1
	s_load_dwordx2 s[8:9], s[4:5], 0x8
	s_load_dword s4, s[4:5], 0x38
	v_lshlrev_b32_e32 v55, 3, v0
	s_waitcnt lgkmcnt(0)
	s_ashr_i32 s19, s8, 31
	s_mov_b32 s18, s8
	v_add3_u32 v9, s9, s9, v0
	s_lshl_b64 s[18:19], s[18:19], 3
	s_add_u32 s5, s14, s18
	s_addc_u32 s8, s15, s19
	v_add_co_u32 v1, s14, s5, v55
	v_add_co_ci_u32_e64 v2, null, s8, 0, s14
	s_mov_b32 s14, s9
	s_ashr_i32 s15, s9, 31
	v_ashrrev_i32_e32 v10, 31, v9
	flat_load_dwordx2 v[5:6], v[1:2]
	s_lshl_b64 s[14:15], s[14:15], 3
	v_add_nc_u32_e32 v12, s9, v9
	v_add_co_u32 v3, vcc_lo, v1, s14
	v_add_co_ci_u32_e64 v4, null, s15, v2, vcc_lo
	v_ashrrev_i32_e32 v13, 31, v12
	s_bitcmp0_b32 s4, 0
	s_waitcnt vmcnt(0) lgkmcnt(0)
	buffer_store_dword v6, off, s[0:3], 0 offset:4
	buffer_store_dword v5, off, s[0:3], 0
	flat_load_dwordx2 v[7:8], v[3:4]
	v_lshlrev_b64 v[5:6], 3, v[9:10]
	s_waitcnt vmcnt(0) lgkmcnt(0)
	buffer_store_dword v8, off, s[0:3], 0 offset:12
	buffer_store_dword v7, off, s[0:3], 0 offset:8
	v_add_co_u32 v5, vcc_lo, s5, v5
	v_add_co_ci_u32_e64 v6, null, s8, v6, vcc_lo
	v_lshlrev_b64 v[7:8], 3, v[12:13]
	flat_load_dwordx2 v[10:11], v[5:6]
	s_waitcnt vmcnt(0) lgkmcnt(0)
	buffer_store_dword v11, off, s[0:3], 0 offset:20
	buffer_store_dword v10, off, s[0:3], 0 offset:16
	v_add_co_u32 v7, vcc_lo, s5, v7
	v_add_co_ci_u32_e64 v8, null, s8, v8, vcc_lo
	v_add_nc_u32_e32 v11, s9, v12
	flat_load_dwordx2 v[13:14], v[7:8]
	s_waitcnt vmcnt(0) lgkmcnt(0)
	buffer_store_dword v14, off, s[0:3], 0 offset:28
	buffer_store_dword v13, off, s[0:3], 0 offset:24
	v_ashrrev_i32_e32 v12, 31, v11
	v_add_nc_u32_e32 v15, s9, v11
	v_lshlrev_b64 v[9:10], 3, v[11:12]
	v_ashrrev_i32_e32 v16, 31, v15
	v_add_nc_u32_e32 v18, s9, v15
	v_add_co_u32 v9, vcc_lo, s5, v9
	v_add_co_ci_u32_e64 v10, null, s8, v10, vcc_lo
	v_lshlrev_b64 v[11:12], 3, v[15:16]
	v_ashrrev_i32_e32 v19, 31, v18
	flat_load_dwordx2 v[13:14], v[9:10]
	s_waitcnt vmcnt(0) lgkmcnt(0)
	buffer_store_dword v14, off, s[0:3], 0 offset:36
	buffer_store_dword v13, off, s[0:3], 0 offset:32
	v_add_co_u32 v11, vcc_lo, s5, v11
	v_add_co_ci_u32_e64 v12, null, s8, v12, vcc_lo
	v_lshlrev_b64 v[13:14], 3, v[18:19]
	flat_load_dwordx2 v[16:17], v[11:12]
	s_waitcnt vmcnt(0) lgkmcnt(0)
	buffer_store_dword v17, off, s[0:3], 0 offset:44
	buffer_store_dword v16, off, s[0:3], 0 offset:40
	v_add_co_u32 v13, vcc_lo, s5, v13
	v_add_co_ci_u32_e64 v14, null, s8, v14, vcc_lo
	v_add_nc_u32_e32 v17, s9, v18
	flat_load_dwordx2 v[19:20], v[13:14]
	s_waitcnt vmcnt(0) lgkmcnt(0)
	buffer_store_dword v20, off, s[0:3], 0 offset:52
	buffer_store_dword v19, off, s[0:3], 0 offset:48
	v_ashrrev_i32_e32 v18, 31, v17
	v_add_nc_u32_e32 v21, s9, v17
	v_lshlrev_b64 v[15:16], 3, v[17:18]
	v_ashrrev_i32_e32 v22, 31, v21
	v_add_nc_u32_e32 v24, s9, v21
	v_add_co_u32 v15, vcc_lo, s5, v15
	v_add_co_ci_u32_e64 v16, null, s8, v16, vcc_lo
	v_lshlrev_b64 v[17:18], 3, v[21:22]
	v_ashrrev_i32_e32 v25, 31, v24
	flat_load_dwordx2 v[19:20], v[15:16]
	;; [unrolled: 27-line block ×6, first 2 shown]
	s_waitcnt vmcnt(0) lgkmcnt(0)
	buffer_store_dword v44, off, s[0:3], 0 offset:156
	buffer_store_dword v43, off, s[0:3], 0 offset:152
	v_add_co_u32 v41, vcc_lo, s5, v41
	v_add_co_ci_u32_e64 v42, null, s8, v42, vcc_lo
	v_lshlrev_b64 v[43:44], 3, v[48:49]
	flat_load_dwordx2 v[46:47], v[41:42]
	s_waitcnt vmcnt(0) lgkmcnt(0)
	buffer_store_dword v47, off, s[0:3], 0 offset:164
	buffer_store_dword v46, off, s[0:3], 0 offset:160
	v_add_co_u32 v43, vcc_lo, s5, v43
	v_add_co_ci_u32_e64 v44, null, s8, v44, vcc_lo
	v_add_nc_u32_e32 v47, s9, v48
	flat_load_dwordx2 v[49:50], v[43:44]
	s_waitcnt vmcnt(0) lgkmcnt(0)
	buffer_store_dword v50, off, s[0:3], 0 offset:172
	buffer_store_dword v49, off, s[0:3], 0 offset:168
	v_ashrrev_i32_e32 v48, 31, v47
	v_add_nc_u32_e32 v51, s9, v47
	v_lshlrev_b64 v[45:46], 3, v[47:48]
	v_ashrrev_i32_e32 v52, 31, v51
	v_add_nc_u32_e32 v56, s9, v51
	v_add_co_u32 v45, vcc_lo, s5, v45
	v_add_co_ci_u32_e64 v46, null, s8, v46, vcc_lo
	v_lshlrev_b64 v[47:48], 3, v[51:52]
	v_ashrrev_i32_e32 v57, 31, v56
	v_add_nc_u32_e32 v51, s9, v56
	flat_load_dwordx2 v[49:50], v[45:46]
	s_waitcnt vmcnt(0) lgkmcnt(0)
	buffer_store_dword v50, off, s[0:3], 0 offset:180
	buffer_store_dword v49, off, s[0:3], 0 offset:176
	v_add_co_u32 v47, vcc_lo, s5, v47
	v_add_co_ci_u32_e64 v48, null, s8, v48, vcc_lo
	v_lshlrev_b64 v[49:50], 3, v[56:57]
	flat_load_dwordx2 v[52:53], v[47:48]
	s_waitcnt vmcnt(0) lgkmcnt(0)
	buffer_store_dword v53, off, s[0:3], 0 offset:188
	buffer_store_dword v52, off, s[0:3], 0 offset:184
	v_add_co_u32 v49, vcc_lo, s5, v49
	v_add_co_ci_u32_e64 v50, null, s8, v50, vcc_lo
	v_ashrrev_i32_e32 v52, 31, v51
	flat_load_dwordx2 v[53:54], v[49:50]
	s_waitcnt vmcnt(0) lgkmcnt(0)
	buffer_store_dword v54, off, s[0:3], 0 offset:196
	buffer_store_dword v53, off, s[0:3], 0 offset:192
	v_lshlrev_b64 v[51:52], 3, v[51:52]
	v_add_co_u32 v51, vcc_lo, s5, v51
	v_add_co_ci_u32_e64 v52, null, s8, v52, vcc_lo
	s_mov_b32 s5, -1
	flat_load_dwordx2 v[53:54], v[51:52]
	s_waitcnt vmcnt(0) lgkmcnt(0)
	buffer_store_dword v54, off, s[0:3], 0 offset:204
	buffer_store_dword v53, off, s[0:3], 0 offset:200
	s_cbranch_scc1 .LBB89_116
; %bb.4:
	v_cmp_eq_u32_e64 s4, 0, v0
	s_and_saveexec_b32 s5, s4
; %bb.5:
	v_mov_b32_e32 v53, 0
	ds_write_b32 v53, v53 offset:416
; %bb.6:
	s_or_b32 exec_lo, exec_lo, s5
	v_lshl_add_u32 v57, v0, 3, 0
	s_waitcnt lgkmcnt(0)
	s_waitcnt_vscnt null, 0x0
	s_barrier
	buffer_gl0_inv
	s_clause 0x1
	buffer_load_dword v53, v57, s[0:3], 0 offen
	buffer_load_dword v54, v57, s[0:3], 0 offen offset:4
	s_waitcnt vmcnt(1)
	v_cmp_eq_f32_e32 vcc_lo, 0, v53
	s_waitcnt vmcnt(0)
	v_cmp_eq_f32_e64 s5, 0, v54
	s_and_b32 s5, vcc_lo, s5
	s_and_saveexec_b32 s8, s5
	s_cbranch_execz .LBB89_10
; %bb.7:
	v_mov_b32_e32 v53, 0
	s_mov_b32 s9, 0
	ds_read_b32 v54, v53 offset:416
	s_waitcnt lgkmcnt(0)
	v_readfirstlane_b32 s5, v54
	v_add_nc_u32_e32 v54, 1, v0
	s_cmp_eq_u32 s5, 0
	v_cmp_gt_i32_e32 vcc_lo, s5, v54
	s_cselect_b32 s14, -1, 0
	s_or_b32 s14, s14, vcc_lo
	s_and_b32 exec_lo, exec_lo, s14
	s_cbranch_execz .LBB89_10
; %bb.8:
	v_mov_b32_e32 v56, s5
.LBB89_9:                               ; =>This Inner Loop Header: Depth=1
	ds_cmpst_rtn_b32 v56, v53, v56, v54 offset:416
	s_waitcnt lgkmcnt(0)
	v_cmp_ne_u32_e32 vcc_lo, 0, v56
	v_cmp_le_i32_e64 s5, v56, v54
	s_and_b32 s5, vcc_lo, s5
	s_and_b32 s5, exec_lo, s5
	s_or_b32 s9, s5, s9
	s_andn2_b32 exec_lo, exec_lo, s9
	s_cbranch_execnz .LBB89_9
.LBB89_10:
	s_or_b32 exec_lo, exec_lo, s8
	v_mov_b32_e32 v53, 0
	s_barrier
	buffer_gl0_inv
	ds_read_b32 v54, v53 offset:416
	s_and_saveexec_b32 s5, s4
	s_cbranch_execz .LBB89_12
; %bb.11:
	s_lshl_b64 s[8:9], s[6:7], 2
	s_add_u32 s8, s10, s8
	s_addc_u32 s9, s11, s9
	s_waitcnt lgkmcnt(0)
	global_store_dword v53, v54, s[8:9]
.LBB89_12:
	s_or_b32 exec_lo, exec_lo, s5
	s_waitcnt lgkmcnt(0)
	v_cmp_ne_u32_e32 vcc_lo, 0, v54
	s_mov_b32 s5, 0
	s_cbranch_vccnz .LBB89_116
; %bb.13:
	s_clause 0x1
	buffer_load_dword v54, v57, s[0:3], 0 offen
	buffer_load_dword v56, v57, s[0:3], 0 offen offset:4
                                        ; implicit-def: $vgpr59
                                        ; implicit-def: $vgpr58
                                        ; implicit-def: $vgpr53
	s_waitcnt vmcnt(0)
	v_cmp_ngt_f32_e64 s5, |v54|, |v56|
	s_and_saveexec_b32 s8, s5
	s_xor_b32 s5, exec_lo, s8
	s_cbranch_execz .LBB89_15
; %bb.14:
	v_div_scale_f32 v53, null, v56, v56, v54
	v_div_scale_f32 v60, vcc_lo, v54, v56, v54
	v_rcp_f32_e32 v58, v53
	v_fma_f32 v59, -v53, v58, 1.0
	v_fmac_f32_e32 v58, v59, v58
	v_mul_f32_e32 v59, v60, v58
	v_fma_f32 v61, -v53, v59, v60
	v_fmac_f32_e32 v59, v61, v58
	v_fma_f32 v53, -v53, v59, v60
	v_div_fmas_f32 v53, v53, v58, v59
	v_div_fixup_f32 v53, v53, v56, v54
	v_fmac_f32_e32 v56, v54, v53
	v_div_scale_f32 v54, null, v56, v56, 1.0
	v_rcp_f32_e32 v58, v54
	v_fma_f32 v59, -v54, v58, 1.0
	v_fmac_f32_e32 v58, v59, v58
	v_div_scale_f32 v59, vcc_lo, 1.0, v56, 1.0
	v_mul_f32_e32 v60, v59, v58
	v_fma_f32 v61, -v54, v60, v59
	v_fmac_f32_e32 v60, v61, v58
	v_fma_f32 v54, -v54, v60, v59
	v_div_fmas_f32 v54, v54, v58, v60
	v_div_fixup_f32 v54, v54, v56, 1.0
                                        ; implicit-def: $vgpr56
	v_mul_f32_e32 v59, v53, v54
	v_xor_b32_e32 v58, 0x80000000, v54
                                        ; implicit-def: $vgpr54
	v_xor_b32_e32 v53, 0x80000000, v59
.LBB89_15:
	s_andn2_saveexec_b32 s5, s5
	s_cbranch_execz .LBB89_17
; %bb.16:
	v_div_scale_f32 v53, null, v54, v54, v56
	v_div_scale_f32 v60, vcc_lo, v56, v54, v56
	v_rcp_f32_e32 v58, v53
	v_fma_f32 v59, -v53, v58, 1.0
	v_fmac_f32_e32 v58, v59, v58
	v_mul_f32_e32 v59, v60, v58
	v_fma_f32 v61, -v53, v59, v60
	v_fmac_f32_e32 v59, v61, v58
	v_fma_f32 v53, -v53, v59, v60
	v_div_fmas_f32 v53, v53, v58, v59
	v_div_fixup_f32 v58, v53, v54, v56
	v_fmac_f32_e32 v54, v56, v58
	v_div_scale_f32 v53, null, v54, v54, 1.0
	v_div_scale_f32 v60, vcc_lo, 1.0, v54, 1.0
	v_rcp_f32_e32 v56, v53
	v_fma_f32 v59, -v53, v56, 1.0
	v_fmac_f32_e32 v56, v59, v56
	v_mul_f32_e32 v59, v60, v56
	v_fma_f32 v61, -v53, v59, v60
	v_fmac_f32_e32 v59, v61, v56
	v_fma_f32 v53, -v53, v59, v60
	v_div_fmas_f32 v53, v53, v56, v59
	v_div_fixup_f32 v59, v53, v54, 1.0
	v_xor_b32_e32 v53, 0x80000000, v59
	v_mul_f32_e64 v58, v58, -v59
.LBB89_17:
	s_or_b32 exec_lo, exec_lo, s5
	buffer_store_dword v59, v57, s[0:3], 0 offen
	buffer_store_dword v58, v57, s[0:3], 0 offen offset:4
	s_clause 0x1
	buffer_load_dword v60, off, s[0:3], 0 offset:12
	buffer_load_dword v59, off, s[0:3], 0 offset:8
	v_xor_b32_e32 v54, 0x80000000, v58
	v_add_nc_u32_e32 v56, 0xd0, v55
	s_waitcnt vmcnt(0)
	ds_write2_b64 v55, v[53:54], v[59:60] offset1:26
	s_waitcnt lgkmcnt(0)
	s_waitcnt_vscnt null, 0x0
	s_barrier
	buffer_gl0_inv
	s_and_saveexec_b32 s5, s4
	s_cbranch_execz .LBB89_19
; %bb.18:
	s_clause 0x1
	buffer_load_dword v60, v57, s[0:3], 0 offen offset:4
	buffer_load_dword v61, v57, s[0:3], 0 offen
	ds_read_b64 v[53:54], v56
	v_mov_b32_e32 v58, 0
	ds_read_b64 v[58:59], v58 offset:8
	s_waitcnt vmcnt(1) lgkmcnt(1)
	v_mul_f32_e32 v62, v53, v60
	v_mul_f32_e32 v60, v54, v60
	s_waitcnt vmcnt(0)
	v_fmac_f32_e32 v62, v54, v61
	v_fma_f32 v53, v53, v61, -v60
	v_add_f32_e32 v54, 0, v62
	v_add_f32_e32 v53, 0, v53
	s_waitcnt lgkmcnt(0)
	v_mul_f32_e32 v60, v54, v59
	v_mul_f32_e32 v59, v53, v59
	v_fma_f32 v53, v53, v58, -v60
	v_fmac_f32_e32 v59, v54, v58
	buffer_store_dword v53, off, s[0:3], 0 offset:8
	buffer_store_dword v59, off, s[0:3], 0 offset:12
.LBB89_19:
	s_or_b32 exec_lo, exec_lo, s5
	s_waitcnt_vscnt null, 0x0
	s_barrier
	buffer_gl0_inv
	s_clause 0x1
	buffer_load_dword v53, off, s[0:3], 0 offset:16
	buffer_load_dword v54, off, s[0:3], 0 offset:20
	s_mov_b32 s5, exec_lo
	s_waitcnt vmcnt(0)
	ds_write_b64 v56, v[53:54]
	s_waitcnt lgkmcnt(0)
	s_barrier
	buffer_gl0_inv
	v_cmpx_gt_u32_e32 2, v0
	s_cbranch_execz .LBB89_23
; %bb.20:
	s_clause 0x1
	buffer_load_dword v58, v57, s[0:3], 0 offen offset:4
	buffer_load_dword v57, v57, s[0:3], 0 offen
	ds_read_b64 v[53:54], v56
	s_waitcnt vmcnt(1) lgkmcnt(0)
	v_mul_f32_e32 v59, v54, v58
	v_mul_f32_e32 v58, v53, v58
	s_waitcnt vmcnt(0)
	v_fma_f32 v53, v53, v57, -v59
	v_fmac_f32_e32 v58, v54, v57
	v_add_f32_e32 v54, 0, v53
	v_add_f32_e32 v53, 0, v58
	s_and_saveexec_b32 s8, s4
	s_cbranch_execz .LBB89_22
; %bb.21:
	s_clause 0x1
	buffer_load_dword v59, off, s[0:3], 0 offset:12
	buffer_load_dword v60, off, s[0:3], 0 offset:8
	v_mov_b32_e32 v57, 0
	ds_read_b64 v[57:58], v57 offset:216
	s_waitcnt vmcnt(1) lgkmcnt(0)
	v_mul_f32_e32 v61, v57, v59
	v_mul_f32_e32 v59, v58, v59
	s_waitcnt vmcnt(0)
	v_fmac_f32_e32 v61, v58, v60
	v_fma_f32 v57, v57, v60, -v59
	v_add_f32_e32 v53, v53, v61
	v_add_f32_e32 v54, v54, v57
.LBB89_22:
	s_or_b32 exec_lo, exec_lo, s8
	v_mov_b32_e32 v57, 0
	ds_read_b64 v[57:58], v57 offset:16
	s_waitcnt lgkmcnt(0)
	v_mul_f32_e32 v59, v53, v58
	v_mul_f32_e32 v58, v54, v58
	v_fma_f32 v54, v54, v57, -v59
	v_fmac_f32_e32 v58, v53, v57
	buffer_store_dword v54, off, s[0:3], 0 offset:16
	buffer_store_dword v58, off, s[0:3], 0 offset:20
.LBB89_23:
	s_or_b32 exec_lo, exec_lo, s5
	s_waitcnt_vscnt null, 0x0
	s_barrier
	buffer_gl0_inv
	s_clause 0x1
	buffer_load_dword v57, off, s[0:3], 0 offset:24
	buffer_load_dword v58, off, s[0:3], 0 offset:28
	v_add_nc_u32_e32 v53, -1, v0
	s_mov_b32 s4, exec_lo
	s_waitcnt vmcnt(0)
	ds_write_b64 v56, v[57:58]
	s_waitcnt lgkmcnt(0)
	s_barrier
	buffer_gl0_inv
	v_cmpx_gt_u32_e32 3, v0
	s_cbranch_execz .LBB89_27
; %bb.24:
	v_add_nc_u32_e32 v57, -1, v0
	v_add_nc_u32_e32 v58, 0xd0, v55
	v_mov_b32_e32 v59, v55
	v_mov_b32_e32 v54, 0
	;; [unrolled: 1-line block ×3, first 2 shown]
	s_mov_b32 s5, 0
	.p2align	6
.LBB89_25:                              ; =>This Inner Loop Header: Depth=1
	s_clause 0x1
	buffer_load_dword v63, v59, s[0:3], 0 offen offset:4
	buffer_load_dword v64, v59, s[0:3], 0 offen
	ds_read_b64 v[61:62], v58
	v_add_nc_u32_e32 v57, 1, v57
	v_add_nc_u32_e32 v58, 8, v58
	;; [unrolled: 1-line block ×3, first 2 shown]
	v_cmp_lt_u32_e32 vcc_lo, 1, v57
	s_or_b32 s5, vcc_lo, s5
	s_waitcnt vmcnt(1) lgkmcnt(0)
	v_mul_f32_e32 v65, v62, v63
	v_mul_f32_e32 v63, v61, v63
	s_waitcnt vmcnt(0)
	v_fma_f32 v61, v61, v64, -v65
	v_fmac_f32_e32 v63, v62, v64
	v_add_f32_e32 v60, v60, v61
	v_add_f32_e32 v54, v54, v63
	s_andn2_b32 exec_lo, exec_lo, s5
	s_cbranch_execnz .LBB89_25
; %bb.26:
	s_or_b32 exec_lo, exec_lo, s5
	v_mov_b32_e32 v57, 0
	ds_read_b64 v[57:58], v57 offset:24
	s_waitcnt lgkmcnt(0)
	v_mul_f32_e32 v59, v54, v58
	v_mul_f32_e32 v58, v60, v58
	v_fma_f32 v59, v60, v57, -v59
	v_fmac_f32_e32 v58, v54, v57
	buffer_store_dword v59, off, s[0:3], 0 offset:24
	buffer_store_dword v58, off, s[0:3], 0 offset:28
.LBB89_27:
	s_or_b32 exec_lo, exec_lo, s4
	s_waitcnt_vscnt null, 0x0
	s_barrier
	buffer_gl0_inv
	s_clause 0x1
	buffer_load_dword v57, off, s[0:3], 0 offset:32
	buffer_load_dword v58, off, s[0:3], 0 offset:36
	s_mov_b32 s4, exec_lo
	s_waitcnt vmcnt(0)
	ds_write_b64 v56, v[57:58]
	s_waitcnt lgkmcnt(0)
	s_barrier
	buffer_gl0_inv
	v_cmpx_gt_u32_e32 4, v0
	s_cbranch_execz .LBB89_31
; %bb.28:
	v_add_nc_u32_e32 v57, -1, v0
	v_add_nc_u32_e32 v58, 0xd0, v55
	v_mov_b32_e32 v59, v55
	v_mov_b32_e32 v54, 0
	;; [unrolled: 1-line block ×3, first 2 shown]
	s_mov_b32 s5, 0
	.p2align	6
.LBB89_29:                              ; =>This Inner Loop Header: Depth=1
	s_clause 0x1
	buffer_load_dword v63, v59, s[0:3], 0 offen offset:4
	buffer_load_dword v64, v59, s[0:3], 0 offen
	ds_read_b64 v[61:62], v58
	v_add_nc_u32_e32 v57, 1, v57
	v_add_nc_u32_e32 v58, 8, v58
	;; [unrolled: 1-line block ×3, first 2 shown]
	v_cmp_lt_u32_e32 vcc_lo, 2, v57
	s_or_b32 s5, vcc_lo, s5
	s_waitcnt vmcnt(1) lgkmcnt(0)
	v_mul_f32_e32 v65, v62, v63
	v_mul_f32_e32 v63, v61, v63
	s_waitcnt vmcnt(0)
	v_fma_f32 v61, v61, v64, -v65
	v_fmac_f32_e32 v63, v62, v64
	v_add_f32_e32 v60, v60, v61
	v_add_f32_e32 v54, v54, v63
	s_andn2_b32 exec_lo, exec_lo, s5
	s_cbranch_execnz .LBB89_29
; %bb.30:
	s_or_b32 exec_lo, exec_lo, s5
	v_mov_b32_e32 v57, 0
	ds_read_b64 v[57:58], v57 offset:32
	s_waitcnt lgkmcnt(0)
	v_mul_f32_e32 v59, v54, v58
	v_mul_f32_e32 v58, v60, v58
	v_fma_f32 v59, v60, v57, -v59
	v_fmac_f32_e32 v58, v54, v57
	buffer_store_dword v59, off, s[0:3], 0 offset:32
	buffer_store_dword v58, off, s[0:3], 0 offset:36
.LBB89_31:
	s_or_b32 exec_lo, exec_lo, s4
	s_waitcnt_vscnt null, 0x0
	s_barrier
	buffer_gl0_inv
	s_clause 0x1
	buffer_load_dword v57, off, s[0:3], 0 offset:40
	buffer_load_dword v58, off, s[0:3], 0 offset:44
	s_mov_b32 s4, exec_lo
	s_waitcnt vmcnt(0)
	ds_write_b64 v56, v[57:58]
	s_waitcnt lgkmcnt(0)
	s_barrier
	buffer_gl0_inv
	v_cmpx_gt_u32_e32 5, v0
	s_cbranch_execz .LBB89_35
; %bb.32:
	v_add_nc_u32_e32 v57, -1, v0
	v_add_nc_u32_e32 v58, 0xd0, v55
	v_mov_b32_e32 v59, v55
	v_mov_b32_e32 v54, 0
	;; [unrolled: 1-line block ×3, first 2 shown]
	s_mov_b32 s5, 0
	.p2align	6
.LBB89_33:                              ; =>This Inner Loop Header: Depth=1
	s_clause 0x1
	buffer_load_dword v63, v59, s[0:3], 0 offen offset:4
	buffer_load_dword v64, v59, s[0:3], 0 offen
	ds_read_b64 v[61:62], v58
	v_add_nc_u32_e32 v57, 1, v57
	v_add_nc_u32_e32 v58, 8, v58
	v_add_nc_u32_e32 v59, 8, v59
	v_cmp_lt_u32_e32 vcc_lo, 3, v57
	s_or_b32 s5, vcc_lo, s5
	s_waitcnt vmcnt(1) lgkmcnt(0)
	v_mul_f32_e32 v65, v62, v63
	v_mul_f32_e32 v63, v61, v63
	s_waitcnt vmcnt(0)
	v_fma_f32 v61, v61, v64, -v65
	v_fmac_f32_e32 v63, v62, v64
	v_add_f32_e32 v60, v60, v61
	v_add_f32_e32 v54, v54, v63
	s_andn2_b32 exec_lo, exec_lo, s5
	s_cbranch_execnz .LBB89_33
; %bb.34:
	s_or_b32 exec_lo, exec_lo, s5
	v_mov_b32_e32 v57, 0
	ds_read_b64 v[57:58], v57 offset:40
	s_waitcnt lgkmcnt(0)
	v_mul_f32_e32 v59, v54, v58
	v_mul_f32_e32 v58, v60, v58
	v_fma_f32 v59, v60, v57, -v59
	v_fmac_f32_e32 v58, v54, v57
	buffer_store_dword v59, off, s[0:3], 0 offset:40
	buffer_store_dword v58, off, s[0:3], 0 offset:44
.LBB89_35:
	s_or_b32 exec_lo, exec_lo, s4
	s_waitcnt_vscnt null, 0x0
	s_barrier
	buffer_gl0_inv
	s_clause 0x1
	buffer_load_dword v57, off, s[0:3], 0 offset:48
	buffer_load_dword v58, off, s[0:3], 0 offset:52
	s_mov_b32 s4, exec_lo
	s_waitcnt vmcnt(0)
	ds_write_b64 v56, v[57:58]
	s_waitcnt lgkmcnt(0)
	s_barrier
	buffer_gl0_inv
	v_cmpx_gt_u32_e32 6, v0
	s_cbranch_execz .LBB89_39
; %bb.36:
	v_add_nc_u32_e32 v57, -1, v0
	v_add_nc_u32_e32 v58, 0xd0, v55
	v_mov_b32_e32 v59, v55
	v_mov_b32_e32 v54, 0
	;; [unrolled: 1-line block ×3, first 2 shown]
	s_mov_b32 s5, 0
	.p2align	6
.LBB89_37:                              ; =>This Inner Loop Header: Depth=1
	s_clause 0x1
	buffer_load_dword v63, v59, s[0:3], 0 offen offset:4
	buffer_load_dword v64, v59, s[0:3], 0 offen
	ds_read_b64 v[61:62], v58
	v_add_nc_u32_e32 v57, 1, v57
	v_add_nc_u32_e32 v58, 8, v58
	;; [unrolled: 1-line block ×3, first 2 shown]
	v_cmp_lt_u32_e32 vcc_lo, 4, v57
	s_or_b32 s5, vcc_lo, s5
	s_waitcnt vmcnt(1) lgkmcnt(0)
	v_mul_f32_e32 v65, v62, v63
	v_mul_f32_e32 v63, v61, v63
	s_waitcnt vmcnt(0)
	v_fma_f32 v61, v61, v64, -v65
	v_fmac_f32_e32 v63, v62, v64
	v_add_f32_e32 v60, v60, v61
	v_add_f32_e32 v54, v54, v63
	s_andn2_b32 exec_lo, exec_lo, s5
	s_cbranch_execnz .LBB89_37
; %bb.38:
	s_or_b32 exec_lo, exec_lo, s5
	v_mov_b32_e32 v57, 0
	ds_read_b64 v[57:58], v57 offset:48
	s_waitcnt lgkmcnt(0)
	v_mul_f32_e32 v59, v54, v58
	v_mul_f32_e32 v58, v60, v58
	v_fma_f32 v59, v60, v57, -v59
	v_fmac_f32_e32 v58, v54, v57
	buffer_store_dword v59, off, s[0:3], 0 offset:48
	buffer_store_dword v58, off, s[0:3], 0 offset:52
.LBB89_39:
	s_or_b32 exec_lo, exec_lo, s4
	s_waitcnt_vscnt null, 0x0
	s_barrier
	buffer_gl0_inv
	s_clause 0x1
	buffer_load_dword v57, off, s[0:3], 0 offset:56
	buffer_load_dword v58, off, s[0:3], 0 offset:60
	s_mov_b32 s4, exec_lo
	s_waitcnt vmcnt(0)
	ds_write_b64 v56, v[57:58]
	s_waitcnt lgkmcnt(0)
	s_barrier
	buffer_gl0_inv
	v_cmpx_gt_u32_e32 7, v0
	s_cbranch_execz .LBB89_43
; %bb.40:
	v_add_nc_u32_e32 v57, -1, v0
	v_add_nc_u32_e32 v58, 0xd0, v55
	v_mov_b32_e32 v59, v55
	v_mov_b32_e32 v54, 0
	;; [unrolled: 1-line block ×3, first 2 shown]
	s_mov_b32 s5, 0
	.p2align	6
.LBB89_41:                              ; =>This Inner Loop Header: Depth=1
	s_clause 0x1
	buffer_load_dword v63, v59, s[0:3], 0 offen offset:4
	buffer_load_dword v64, v59, s[0:3], 0 offen
	ds_read_b64 v[61:62], v58
	v_add_nc_u32_e32 v57, 1, v57
	v_add_nc_u32_e32 v58, 8, v58
	;; [unrolled: 1-line block ×3, first 2 shown]
	v_cmp_lt_u32_e32 vcc_lo, 5, v57
	s_or_b32 s5, vcc_lo, s5
	s_waitcnt vmcnt(1) lgkmcnt(0)
	v_mul_f32_e32 v65, v62, v63
	v_mul_f32_e32 v63, v61, v63
	s_waitcnt vmcnt(0)
	v_fma_f32 v61, v61, v64, -v65
	v_fmac_f32_e32 v63, v62, v64
	v_add_f32_e32 v60, v60, v61
	v_add_f32_e32 v54, v54, v63
	s_andn2_b32 exec_lo, exec_lo, s5
	s_cbranch_execnz .LBB89_41
; %bb.42:
	s_or_b32 exec_lo, exec_lo, s5
	v_mov_b32_e32 v57, 0
	ds_read_b64 v[57:58], v57 offset:56
	s_waitcnt lgkmcnt(0)
	v_mul_f32_e32 v59, v54, v58
	v_mul_f32_e32 v58, v60, v58
	v_fma_f32 v59, v60, v57, -v59
	v_fmac_f32_e32 v58, v54, v57
	buffer_store_dword v59, off, s[0:3], 0 offset:56
	buffer_store_dword v58, off, s[0:3], 0 offset:60
.LBB89_43:
	s_or_b32 exec_lo, exec_lo, s4
	s_waitcnt_vscnt null, 0x0
	s_barrier
	buffer_gl0_inv
	s_clause 0x1
	buffer_load_dword v57, off, s[0:3], 0 offset:64
	buffer_load_dword v58, off, s[0:3], 0 offset:68
	s_mov_b32 s4, exec_lo
	s_waitcnt vmcnt(0)
	ds_write_b64 v56, v[57:58]
	s_waitcnt lgkmcnt(0)
	s_barrier
	buffer_gl0_inv
	v_cmpx_gt_u32_e32 8, v0
	s_cbranch_execz .LBB89_47
; %bb.44:
	v_add_nc_u32_e32 v57, -1, v0
	v_add_nc_u32_e32 v58, 0xd0, v55
	v_mov_b32_e32 v59, v55
	v_mov_b32_e32 v54, 0
	;; [unrolled: 1-line block ×3, first 2 shown]
	s_mov_b32 s5, 0
	.p2align	6
.LBB89_45:                              ; =>This Inner Loop Header: Depth=1
	s_clause 0x1
	buffer_load_dword v63, v59, s[0:3], 0 offen offset:4
	buffer_load_dword v64, v59, s[0:3], 0 offen
	ds_read_b64 v[61:62], v58
	v_add_nc_u32_e32 v57, 1, v57
	v_add_nc_u32_e32 v58, 8, v58
	;; [unrolled: 1-line block ×3, first 2 shown]
	v_cmp_lt_u32_e32 vcc_lo, 6, v57
	s_or_b32 s5, vcc_lo, s5
	s_waitcnt vmcnt(1) lgkmcnt(0)
	v_mul_f32_e32 v65, v62, v63
	v_mul_f32_e32 v63, v61, v63
	s_waitcnt vmcnt(0)
	v_fma_f32 v61, v61, v64, -v65
	v_fmac_f32_e32 v63, v62, v64
	v_add_f32_e32 v60, v60, v61
	v_add_f32_e32 v54, v54, v63
	s_andn2_b32 exec_lo, exec_lo, s5
	s_cbranch_execnz .LBB89_45
; %bb.46:
	s_or_b32 exec_lo, exec_lo, s5
	v_mov_b32_e32 v57, 0
	ds_read_b64 v[57:58], v57 offset:64
	s_waitcnt lgkmcnt(0)
	v_mul_f32_e32 v59, v54, v58
	v_mul_f32_e32 v58, v60, v58
	v_fma_f32 v59, v60, v57, -v59
	v_fmac_f32_e32 v58, v54, v57
	buffer_store_dword v59, off, s[0:3], 0 offset:64
	buffer_store_dword v58, off, s[0:3], 0 offset:68
.LBB89_47:
	s_or_b32 exec_lo, exec_lo, s4
	s_waitcnt_vscnt null, 0x0
	s_barrier
	buffer_gl0_inv
	s_clause 0x1
	buffer_load_dword v57, off, s[0:3], 0 offset:72
	buffer_load_dword v58, off, s[0:3], 0 offset:76
	s_mov_b32 s4, exec_lo
	s_waitcnt vmcnt(0)
	ds_write_b64 v56, v[57:58]
	s_waitcnt lgkmcnt(0)
	s_barrier
	buffer_gl0_inv
	v_cmpx_gt_u32_e32 9, v0
	s_cbranch_execz .LBB89_51
; %bb.48:
	v_add_nc_u32_e32 v57, -1, v0
	v_add_nc_u32_e32 v58, 0xd0, v55
	v_mov_b32_e32 v59, v55
	v_mov_b32_e32 v54, 0
	;; [unrolled: 1-line block ×3, first 2 shown]
	s_mov_b32 s5, 0
	.p2align	6
.LBB89_49:                              ; =>This Inner Loop Header: Depth=1
	s_clause 0x1
	buffer_load_dword v63, v59, s[0:3], 0 offen offset:4
	buffer_load_dword v64, v59, s[0:3], 0 offen
	ds_read_b64 v[61:62], v58
	v_add_nc_u32_e32 v57, 1, v57
	v_add_nc_u32_e32 v58, 8, v58
	;; [unrolled: 1-line block ×3, first 2 shown]
	v_cmp_lt_u32_e32 vcc_lo, 7, v57
	s_or_b32 s5, vcc_lo, s5
	s_waitcnt vmcnt(1) lgkmcnt(0)
	v_mul_f32_e32 v65, v62, v63
	v_mul_f32_e32 v63, v61, v63
	s_waitcnt vmcnt(0)
	v_fma_f32 v61, v61, v64, -v65
	v_fmac_f32_e32 v63, v62, v64
	v_add_f32_e32 v60, v60, v61
	v_add_f32_e32 v54, v54, v63
	s_andn2_b32 exec_lo, exec_lo, s5
	s_cbranch_execnz .LBB89_49
; %bb.50:
	s_or_b32 exec_lo, exec_lo, s5
	v_mov_b32_e32 v57, 0
	ds_read_b64 v[57:58], v57 offset:72
	s_waitcnt lgkmcnt(0)
	v_mul_f32_e32 v59, v54, v58
	v_mul_f32_e32 v58, v60, v58
	v_fma_f32 v59, v60, v57, -v59
	v_fmac_f32_e32 v58, v54, v57
	buffer_store_dword v59, off, s[0:3], 0 offset:72
	buffer_store_dword v58, off, s[0:3], 0 offset:76
.LBB89_51:
	s_or_b32 exec_lo, exec_lo, s4
	s_waitcnt_vscnt null, 0x0
	s_barrier
	buffer_gl0_inv
	s_clause 0x1
	buffer_load_dword v57, off, s[0:3], 0 offset:80
	buffer_load_dword v58, off, s[0:3], 0 offset:84
	s_mov_b32 s4, exec_lo
	s_waitcnt vmcnt(0)
	ds_write_b64 v56, v[57:58]
	s_waitcnt lgkmcnt(0)
	s_barrier
	buffer_gl0_inv
	v_cmpx_gt_u32_e32 10, v0
	s_cbranch_execz .LBB89_55
; %bb.52:
	v_add_nc_u32_e32 v57, -1, v0
	v_add_nc_u32_e32 v58, 0xd0, v55
	v_mov_b32_e32 v59, v55
	v_mov_b32_e32 v54, 0
	;; [unrolled: 1-line block ×3, first 2 shown]
	s_mov_b32 s5, 0
	.p2align	6
.LBB89_53:                              ; =>This Inner Loop Header: Depth=1
	s_clause 0x1
	buffer_load_dword v63, v59, s[0:3], 0 offen offset:4
	buffer_load_dword v64, v59, s[0:3], 0 offen
	ds_read_b64 v[61:62], v58
	v_add_nc_u32_e32 v57, 1, v57
	v_add_nc_u32_e32 v58, 8, v58
	;; [unrolled: 1-line block ×3, first 2 shown]
	v_cmp_lt_u32_e32 vcc_lo, 8, v57
	s_or_b32 s5, vcc_lo, s5
	s_waitcnt vmcnt(1) lgkmcnt(0)
	v_mul_f32_e32 v65, v62, v63
	v_mul_f32_e32 v63, v61, v63
	s_waitcnt vmcnt(0)
	v_fma_f32 v61, v61, v64, -v65
	v_fmac_f32_e32 v63, v62, v64
	v_add_f32_e32 v60, v60, v61
	v_add_f32_e32 v54, v54, v63
	s_andn2_b32 exec_lo, exec_lo, s5
	s_cbranch_execnz .LBB89_53
; %bb.54:
	s_or_b32 exec_lo, exec_lo, s5
	v_mov_b32_e32 v57, 0
	ds_read_b64 v[57:58], v57 offset:80
	s_waitcnt lgkmcnt(0)
	v_mul_f32_e32 v59, v54, v58
	v_mul_f32_e32 v58, v60, v58
	v_fma_f32 v59, v60, v57, -v59
	v_fmac_f32_e32 v58, v54, v57
	buffer_store_dword v59, off, s[0:3], 0 offset:80
	buffer_store_dword v58, off, s[0:3], 0 offset:84
.LBB89_55:
	s_or_b32 exec_lo, exec_lo, s4
	s_waitcnt_vscnt null, 0x0
	s_barrier
	buffer_gl0_inv
	s_clause 0x1
	buffer_load_dword v57, off, s[0:3], 0 offset:88
	buffer_load_dword v58, off, s[0:3], 0 offset:92
	s_mov_b32 s4, exec_lo
	s_waitcnt vmcnt(0)
	ds_write_b64 v56, v[57:58]
	s_waitcnt lgkmcnt(0)
	s_barrier
	buffer_gl0_inv
	v_cmpx_gt_u32_e32 11, v0
	s_cbranch_execz .LBB89_59
; %bb.56:
	v_add_nc_u32_e32 v57, -1, v0
	v_add_nc_u32_e32 v58, 0xd0, v55
	v_mov_b32_e32 v59, v55
	v_mov_b32_e32 v54, 0
	;; [unrolled: 1-line block ×3, first 2 shown]
	s_mov_b32 s5, 0
	.p2align	6
.LBB89_57:                              ; =>This Inner Loop Header: Depth=1
	s_clause 0x1
	buffer_load_dword v63, v59, s[0:3], 0 offen offset:4
	buffer_load_dword v64, v59, s[0:3], 0 offen
	ds_read_b64 v[61:62], v58
	v_add_nc_u32_e32 v57, 1, v57
	v_add_nc_u32_e32 v58, 8, v58
	;; [unrolled: 1-line block ×3, first 2 shown]
	v_cmp_lt_u32_e32 vcc_lo, 9, v57
	s_or_b32 s5, vcc_lo, s5
	s_waitcnt vmcnt(1) lgkmcnt(0)
	v_mul_f32_e32 v65, v62, v63
	v_mul_f32_e32 v63, v61, v63
	s_waitcnt vmcnt(0)
	v_fma_f32 v61, v61, v64, -v65
	v_fmac_f32_e32 v63, v62, v64
	v_add_f32_e32 v60, v60, v61
	v_add_f32_e32 v54, v54, v63
	s_andn2_b32 exec_lo, exec_lo, s5
	s_cbranch_execnz .LBB89_57
; %bb.58:
	s_or_b32 exec_lo, exec_lo, s5
	v_mov_b32_e32 v57, 0
	ds_read_b64 v[57:58], v57 offset:88
	s_waitcnt lgkmcnt(0)
	v_mul_f32_e32 v59, v54, v58
	v_mul_f32_e32 v58, v60, v58
	v_fma_f32 v59, v60, v57, -v59
	v_fmac_f32_e32 v58, v54, v57
	buffer_store_dword v59, off, s[0:3], 0 offset:88
	buffer_store_dword v58, off, s[0:3], 0 offset:92
.LBB89_59:
	s_or_b32 exec_lo, exec_lo, s4
	s_waitcnt_vscnt null, 0x0
	s_barrier
	buffer_gl0_inv
	s_clause 0x1
	buffer_load_dword v57, off, s[0:3], 0 offset:96
	buffer_load_dword v58, off, s[0:3], 0 offset:100
	s_mov_b32 s4, exec_lo
	s_waitcnt vmcnt(0)
	ds_write_b64 v56, v[57:58]
	s_waitcnt lgkmcnt(0)
	s_barrier
	buffer_gl0_inv
	v_cmpx_gt_u32_e32 12, v0
	s_cbranch_execz .LBB89_63
; %bb.60:
	v_add_nc_u32_e32 v57, -1, v0
	v_add_nc_u32_e32 v58, 0xd0, v55
	v_mov_b32_e32 v59, v55
	v_mov_b32_e32 v54, 0
	;; [unrolled: 1-line block ×3, first 2 shown]
	s_mov_b32 s5, 0
	.p2align	6
.LBB89_61:                              ; =>This Inner Loop Header: Depth=1
	s_clause 0x1
	buffer_load_dword v63, v59, s[0:3], 0 offen offset:4
	buffer_load_dword v64, v59, s[0:3], 0 offen
	ds_read_b64 v[61:62], v58
	v_add_nc_u32_e32 v57, 1, v57
	v_add_nc_u32_e32 v58, 8, v58
	;; [unrolled: 1-line block ×3, first 2 shown]
	v_cmp_lt_u32_e32 vcc_lo, 10, v57
	s_or_b32 s5, vcc_lo, s5
	s_waitcnt vmcnt(1) lgkmcnt(0)
	v_mul_f32_e32 v65, v62, v63
	v_mul_f32_e32 v63, v61, v63
	s_waitcnt vmcnt(0)
	v_fma_f32 v61, v61, v64, -v65
	v_fmac_f32_e32 v63, v62, v64
	v_add_f32_e32 v60, v60, v61
	v_add_f32_e32 v54, v54, v63
	s_andn2_b32 exec_lo, exec_lo, s5
	s_cbranch_execnz .LBB89_61
; %bb.62:
	s_or_b32 exec_lo, exec_lo, s5
	v_mov_b32_e32 v57, 0
	ds_read_b64 v[57:58], v57 offset:96
	s_waitcnt lgkmcnt(0)
	v_mul_f32_e32 v59, v54, v58
	v_mul_f32_e32 v58, v60, v58
	v_fma_f32 v59, v60, v57, -v59
	v_fmac_f32_e32 v58, v54, v57
	buffer_store_dword v59, off, s[0:3], 0 offset:96
	buffer_store_dword v58, off, s[0:3], 0 offset:100
.LBB89_63:
	s_or_b32 exec_lo, exec_lo, s4
	s_waitcnt_vscnt null, 0x0
	s_barrier
	buffer_gl0_inv
	s_clause 0x1
	buffer_load_dword v57, off, s[0:3], 0 offset:104
	buffer_load_dword v58, off, s[0:3], 0 offset:108
	s_mov_b32 s4, exec_lo
	s_waitcnt vmcnt(0)
	ds_write_b64 v56, v[57:58]
	s_waitcnt lgkmcnt(0)
	s_barrier
	buffer_gl0_inv
	v_cmpx_gt_u32_e32 13, v0
	s_cbranch_execz .LBB89_67
; %bb.64:
	v_add_nc_u32_e32 v57, -1, v0
	v_add_nc_u32_e32 v58, 0xd0, v55
	v_mov_b32_e32 v59, v55
	v_mov_b32_e32 v54, 0
	v_mov_b32_e32 v60, 0
	s_mov_b32 s5, 0
	.p2align	6
.LBB89_65:                              ; =>This Inner Loop Header: Depth=1
	s_clause 0x1
	buffer_load_dword v63, v59, s[0:3], 0 offen offset:4
	buffer_load_dword v64, v59, s[0:3], 0 offen
	ds_read_b64 v[61:62], v58
	v_add_nc_u32_e32 v57, 1, v57
	v_add_nc_u32_e32 v58, 8, v58
	;; [unrolled: 1-line block ×3, first 2 shown]
	v_cmp_lt_u32_e32 vcc_lo, 11, v57
	s_or_b32 s5, vcc_lo, s5
	s_waitcnt vmcnt(1) lgkmcnt(0)
	v_mul_f32_e32 v65, v62, v63
	v_mul_f32_e32 v63, v61, v63
	s_waitcnt vmcnt(0)
	v_fma_f32 v61, v61, v64, -v65
	v_fmac_f32_e32 v63, v62, v64
	v_add_f32_e32 v60, v60, v61
	v_add_f32_e32 v54, v54, v63
	s_andn2_b32 exec_lo, exec_lo, s5
	s_cbranch_execnz .LBB89_65
; %bb.66:
	s_or_b32 exec_lo, exec_lo, s5
	v_mov_b32_e32 v57, 0
	ds_read_b64 v[57:58], v57 offset:104
	s_waitcnt lgkmcnt(0)
	v_mul_f32_e32 v59, v54, v58
	v_mul_f32_e32 v58, v60, v58
	v_fma_f32 v59, v60, v57, -v59
	v_fmac_f32_e32 v58, v54, v57
	buffer_store_dword v59, off, s[0:3], 0 offset:104
	buffer_store_dword v58, off, s[0:3], 0 offset:108
.LBB89_67:
	s_or_b32 exec_lo, exec_lo, s4
	s_waitcnt_vscnt null, 0x0
	s_barrier
	buffer_gl0_inv
	s_clause 0x1
	buffer_load_dword v57, off, s[0:3], 0 offset:112
	buffer_load_dword v58, off, s[0:3], 0 offset:116
	s_mov_b32 s4, exec_lo
	s_waitcnt vmcnt(0)
	ds_write_b64 v56, v[57:58]
	s_waitcnt lgkmcnt(0)
	s_barrier
	buffer_gl0_inv
	v_cmpx_gt_u32_e32 14, v0
	s_cbranch_execz .LBB89_71
; %bb.68:
	v_add_nc_u32_e32 v57, -1, v0
	v_add_nc_u32_e32 v58, 0xd0, v55
	v_mov_b32_e32 v59, v55
	v_mov_b32_e32 v54, 0
	;; [unrolled: 1-line block ×3, first 2 shown]
	s_mov_b32 s5, 0
	.p2align	6
.LBB89_69:                              ; =>This Inner Loop Header: Depth=1
	s_clause 0x1
	buffer_load_dword v63, v59, s[0:3], 0 offen offset:4
	buffer_load_dword v64, v59, s[0:3], 0 offen
	ds_read_b64 v[61:62], v58
	v_add_nc_u32_e32 v57, 1, v57
	v_add_nc_u32_e32 v58, 8, v58
	;; [unrolled: 1-line block ×3, first 2 shown]
	v_cmp_lt_u32_e32 vcc_lo, 12, v57
	s_or_b32 s5, vcc_lo, s5
	s_waitcnt vmcnt(1) lgkmcnt(0)
	v_mul_f32_e32 v65, v62, v63
	v_mul_f32_e32 v63, v61, v63
	s_waitcnt vmcnt(0)
	v_fma_f32 v61, v61, v64, -v65
	v_fmac_f32_e32 v63, v62, v64
	v_add_f32_e32 v60, v60, v61
	v_add_f32_e32 v54, v54, v63
	s_andn2_b32 exec_lo, exec_lo, s5
	s_cbranch_execnz .LBB89_69
; %bb.70:
	s_or_b32 exec_lo, exec_lo, s5
	v_mov_b32_e32 v57, 0
	ds_read_b64 v[57:58], v57 offset:112
	s_waitcnt lgkmcnt(0)
	v_mul_f32_e32 v59, v54, v58
	v_mul_f32_e32 v58, v60, v58
	v_fma_f32 v59, v60, v57, -v59
	v_fmac_f32_e32 v58, v54, v57
	buffer_store_dword v59, off, s[0:3], 0 offset:112
	buffer_store_dword v58, off, s[0:3], 0 offset:116
.LBB89_71:
	s_or_b32 exec_lo, exec_lo, s4
	s_waitcnt_vscnt null, 0x0
	s_barrier
	buffer_gl0_inv
	s_clause 0x1
	buffer_load_dword v57, off, s[0:3], 0 offset:120
	buffer_load_dword v58, off, s[0:3], 0 offset:124
	s_mov_b32 s4, exec_lo
	s_waitcnt vmcnt(0)
	ds_write_b64 v56, v[57:58]
	s_waitcnt lgkmcnt(0)
	s_barrier
	buffer_gl0_inv
	v_cmpx_gt_u32_e32 15, v0
	s_cbranch_execz .LBB89_75
; %bb.72:
	v_add_nc_u32_e32 v57, -1, v0
	v_add_nc_u32_e32 v58, 0xd0, v55
	v_mov_b32_e32 v59, v55
	v_mov_b32_e32 v54, 0
	;; [unrolled: 1-line block ×3, first 2 shown]
	s_mov_b32 s5, 0
	.p2align	6
.LBB89_73:                              ; =>This Inner Loop Header: Depth=1
	s_clause 0x1
	buffer_load_dword v63, v59, s[0:3], 0 offen offset:4
	buffer_load_dword v64, v59, s[0:3], 0 offen
	ds_read_b64 v[61:62], v58
	v_add_nc_u32_e32 v57, 1, v57
	v_add_nc_u32_e32 v58, 8, v58
	;; [unrolled: 1-line block ×3, first 2 shown]
	v_cmp_lt_u32_e32 vcc_lo, 13, v57
	s_or_b32 s5, vcc_lo, s5
	s_waitcnt vmcnt(1) lgkmcnt(0)
	v_mul_f32_e32 v65, v62, v63
	v_mul_f32_e32 v63, v61, v63
	s_waitcnt vmcnt(0)
	v_fma_f32 v61, v61, v64, -v65
	v_fmac_f32_e32 v63, v62, v64
	v_add_f32_e32 v60, v60, v61
	v_add_f32_e32 v54, v54, v63
	s_andn2_b32 exec_lo, exec_lo, s5
	s_cbranch_execnz .LBB89_73
; %bb.74:
	s_or_b32 exec_lo, exec_lo, s5
	v_mov_b32_e32 v57, 0
	ds_read_b64 v[57:58], v57 offset:120
	s_waitcnt lgkmcnt(0)
	v_mul_f32_e32 v59, v54, v58
	v_mul_f32_e32 v58, v60, v58
	v_fma_f32 v59, v60, v57, -v59
	v_fmac_f32_e32 v58, v54, v57
	buffer_store_dword v59, off, s[0:3], 0 offset:120
	buffer_store_dword v58, off, s[0:3], 0 offset:124
.LBB89_75:
	s_or_b32 exec_lo, exec_lo, s4
	s_waitcnt_vscnt null, 0x0
	s_barrier
	buffer_gl0_inv
	s_clause 0x1
	buffer_load_dword v57, off, s[0:3], 0 offset:128
	buffer_load_dword v58, off, s[0:3], 0 offset:132
	s_mov_b32 s4, exec_lo
	s_waitcnt vmcnt(0)
	ds_write_b64 v56, v[57:58]
	s_waitcnt lgkmcnt(0)
	s_barrier
	buffer_gl0_inv
	v_cmpx_gt_u32_e32 16, v0
	s_cbranch_execz .LBB89_79
; %bb.76:
	v_add_nc_u32_e32 v57, -1, v0
	v_add_nc_u32_e32 v58, 0xd0, v55
	v_mov_b32_e32 v59, v55
	v_mov_b32_e32 v54, 0
	;; [unrolled: 1-line block ×3, first 2 shown]
	s_mov_b32 s5, 0
	.p2align	6
.LBB89_77:                              ; =>This Inner Loop Header: Depth=1
	s_clause 0x1
	buffer_load_dword v63, v59, s[0:3], 0 offen offset:4
	buffer_load_dword v64, v59, s[0:3], 0 offen
	ds_read_b64 v[61:62], v58
	v_add_nc_u32_e32 v57, 1, v57
	v_add_nc_u32_e32 v58, 8, v58
	;; [unrolled: 1-line block ×3, first 2 shown]
	v_cmp_lt_u32_e32 vcc_lo, 14, v57
	s_or_b32 s5, vcc_lo, s5
	s_waitcnt vmcnt(1) lgkmcnt(0)
	v_mul_f32_e32 v65, v62, v63
	v_mul_f32_e32 v63, v61, v63
	s_waitcnt vmcnt(0)
	v_fma_f32 v61, v61, v64, -v65
	v_fmac_f32_e32 v63, v62, v64
	v_add_f32_e32 v60, v60, v61
	v_add_f32_e32 v54, v54, v63
	s_andn2_b32 exec_lo, exec_lo, s5
	s_cbranch_execnz .LBB89_77
; %bb.78:
	s_or_b32 exec_lo, exec_lo, s5
	v_mov_b32_e32 v57, 0
	ds_read_b64 v[57:58], v57 offset:128
	s_waitcnt lgkmcnt(0)
	v_mul_f32_e32 v59, v54, v58
	v_mul_f32_e32 v58, v60, v58
	v_fma_f32 v59, v60, v57, -v59
	v_fmac_f32_e32 v58, v54, v57
	buffer_store_dword v59, off, s[0:3], 0 offset:128
	buffer_store_dword v58, off, s[0:3], 0 offset:132
.LBB89_79:
	s_or_b32 exec_lo, exec_lo, s4
	s_waitcnt_vscnt null, 0x0
	s_barrier
	buffer_gl0_inv
	s_clause 0x1
	buffer_load_dword v57, off, s[0:3], 0 offset:136
	buffer_load_dword v58, off, s[0:3], 0 offset:140
	s_mov_b32 s4, exec_lo
	s_waitcnt vmcnt(0)
	ds_write_b64 v56, v[57:58]
	s_waitcnt lgkmcnt(0)
	s_barrier
	buffer_gl0_inv
	v_cmpx_gt_u32_e32 17, v0
	s_cbranch_execz .LBB89_83
; %bb.80:
	v_add_nc_u32_e32 v57, -1, v0
	v_add_nc_u32_e32 v58, 0xd0, v55
	v_mov_b32_e32 v59, v55
	v_mov_b32_e32 v54, 0
	;; [unrolled: 1-line block ×3, first 2 shown]
	s_mov_b32 s5, 0
	.p2align	6
.LBB89_81:                              ; =>This Inner Loop Header: Depth=1
	s_clause 0x1
	buffer_load_dword v63, v59, s[0:3], 0 offen offset:4
	buffer_load_dword v64, v59, s[0:3], 0 offen
	ds_read_b64 v[61:62], v58
	v_add_nc_u32_e32 v57, 1, v57
	v_add_nc_u32_e32 v58, 8, v58
	;; [unrolled: 1-line block ×3, first 2 shown]
	v_cmp_lt_u32_e32 vcc_lo, 15, v57
	s_or_b32 s5, vcc_lo, s5
	s_waitcnt vmcnt(1) lgkmcnt(0)
	v_mul_f32_e32 v65, v62, v63
	v_mul_f32_e32 v63, v61, v63
	s_waitcnt vmcnt(0)
	v_fma_f32 v61, v61, v64, -v65
	v_fmac_f32_e32 v63, v62, v64
	v_add_f32_e32 v60, v60, v61
	v_add_f32_e32 v54, v54, v63
	s_andn2_b32 exec_lo, exec_lo, s5
	s_cbranch_execnz .LBB89_81
; %bb.82:
	s_or_b32 exec_lo, exec_lo, s5
	v_mov_b32_e32 v57, 0
	ds_read_b64 v[57:58], v57 offset:136
	s_waitcnt lgkmcnt(0)
	v_mul_f32_e32 v59, v54, v58
	v_mul_f32_e32 v58, v60, v58
	v_fma_f32 v59, v60, v57, -v59
	v_fmac_f32_e32 v58, v54, v57
	buffer_store_dword v59, off, s[0:3], 0 offset:136
	buffer_store_dword v58, off, s[0:3], 0 offset:140
.LBB89_83:
	s_or_b32 exec_lo, exec_lo, s4
	s_waitcnt_vscnt null, 0x0
	s_barrier
	buffer_gl0_inv
	s_clause 0x1
	buffer_load_dword v57, off, s[0:3], 0 offset:144
	buffer_load_dword v58, off, s[0:3], 0 offset:148
	s_mov_b32 s4, exec_lo
	s_waitcnt vmcnt(0)
	ds_write_b64 v56, v[57:58]
	s_waitcnt lgkmcnt(0)
	s_barrier
	buffer_gl0_inv
	v_cmpx_gt_u32_e32 18, v0
	s_cbranch_execz .LBB89_87
; %bb.84:
	v_add_nc_u32_e32 v57, -1, v0
	v_add_nc_u32_e32 v58, 0xd0, v55
	v_mov_b32_e32 v59, v55
	v_mov_b32_e32 v54, 0
	;; [unrolled: 1-line block ×3, first 2 shown]
	s_mov_b32 s5, 0
	.p2align	6
.LBB89_85:                              ; =>This Inner Loop Header: Depth=1
	s_clause 0x1
	buffer_load_dword v63, v59, s[0:3], 0 offen offset:4
	buffer_load_dword v64, v59, s[0:3], 0 offen
	ds_read_b64 v[61:62], v58
	v_add_nc_u32_e32 v57, 1, v57
	v_add_nc_u32_e32 v58, 8, v58
	;; [unrolled: 1-line block ×3, first 2 shown]
	v_cmp_lt_u32_e32 vcc_lo, 16, v57
	s_or_b32 s5, vcc_lo, s5
	s_waitcnt vmcnt(1) lgkmcnt(0)
	v_mul_f32_e32 v65, v62, v63
	v_mul_f32_e32 v63, v61, v63
	s_waitcnt vmcnt(0)
	v_fma_f32 v61, v61, v64, -v65
	v_fmac_f32_e32 v63, v62, v64
	v_add_f32_e32 v60, v60, v61
	v_add_f32_e32 v54, v54, v63
	s_andn2_b32 exec_lo, exec_lo, s5
	s_cbranch_execnz .LBB89_85
; %bb.86:
	s_or_b32 exec_lo, exec_lo, s5
	v_mov_b32_e32 v57, 0
	ds_read_b64 v[57:58], v57 offset:144
	s_waitcnt lgkmcnt(0)
	v_mul_f32_e32 v59, v54, v58
	v_mul_f32_e32 v58, v60, v58
	v_fma_f32 v59, v60, v57, -v59
	v_fmac_f32_e32 v58, v54, v57
	buffer_store_dword v59, off, s[0:3], 0 offset:144
	buffer_store_dword v58, off, s[0:3], 0 offset:148
.LBB89_87:
	s_or_b32 exec_lo, exec_lo, s4
	s_waitcnt_vscnt null, 0x0
	s_barrier
	buffer_gl0_inv
	s_clause 0x1
	buffer_load_dword v57, off, s[0:3], 0 offset:152
	buffer_load_dword v58, off, s[0:3], 0 offset:156
	s_mov_b32 s4, exec_lo
	s_waitcnt vmcnt(0)
	ds_write_b64 v56, v[57:58]
	s_waitcnt lgkmcnt(0)
	s_barrier
	buffer_gl0_inv
	v_cmpx_gt_u32_e32 19, v0
	s_cbranch_execz .LBB89_91
; %bb.88:
	v_add_nc_u32_e32 v57, -1, v0
	v_add_nc_u32_e32 v58, 0xd0, v55
	v_mov_b32_e32 v59, v55
	v_mov_b32_e32 v54, 0
	;; [unrolled: 1-line block ×3, first 2 shown]
	s_mov_b32 s5, 0
	.p2align	6
.LBB89_89:                              ; =>This Inner Loop Header: Depth=1
	s_clause 0x1
	buffer_load_dword v63, v59, s[0:3], 0 offen offset:4
	buffer_load_dword v64, v59, s[0:3], 0 offen
	ds_read_b64 v[61:62], v58
	v_add_nc_u32_e32 v57, 1, v57
	v_add_nc_u32_e32 v58, 8, v58
	;; [unrolled: 1-line block ×3, first 2 shown]
	v_cmp_lt_u32_e32 vcc_lo, 17, v57
	s_or_b32 s5, vcc_lo, s5
	s_waitcnt vmcnt(1) lgkmcnt(0)
	v_mul_f32_e32 v65, v62, v63
	v_mul_f32_e32 v63, v61, v63
	s_waitcnt vmcnt(0)
	v_fma_f32 v61, v61, v64, -v65
	v_fmac_f32_e32 v63, v62, v64
	v_add_f32_e32 v60, v60, v61
	v_add_f32_e32 v54, v54, v63
	s_andn2_b32 exec_lo, exec_lo, s5
	s_cbranch_execnz .LBB89_89
; %bb.90:
	s_or_b32 exec_lo, exec_lo, s5
	v_mov_b32_e32 v57, 0
	ds_read_b64 v[57:58], v57 offset:152
	s_waitcnt lgkmcnt(0)
	v_mul_f32_e32 v59, v54, v58
	v_mul_f32_e32 v58, v60, v58
	v_fma_f32 v59, v60, v57, -v59
	v_fmac_f32_e32 v58, v54, v57
	buffer_store_dword v59, off, s[0:3], 0 offset:152
	buffer_store_dword v58, off, s[0:3], 0 offset:156
.LBB89_91:
	s_or_b32 exec_lo, exec_lo, s4
	s_waitcnt_vscnt null, 0x0
	s_barrier
	buffer_gl0_inv
	s_clause 0x1
	buffer_load_dword v57, off, s[0:3], 0 offset:160
	buffer_load_dword v58, off, s[0:3], 0 offset:164
	s_mov_b32 s4, exec_lo
	s_waitcnt vmcnt(0)
	ds_write_b64 v56, v[57:58]
	s_waitcnt lgkmcnt(0)
	s_barrier
	buffer_gl0_inv
	v_cmpx_gt_u32_e32 20, v0
	s_cbranch_execz .LBB89_95
; %bb.92:
	v_add_nc_u32_e32 v57, -1, v0
	v_add_nc_u32_e32 v58, 0xd0, v55
	v_mov_b32_e32 v59, v55
	v_mov_b32_e32 v54, 0
	;; [unrolled: 1-line block ×3, first 2 shown]
	s_mov_b32 s5, 0
	.p2align	6
.LBB89_93:                              ; =>This Inner Loop Header: Depth=1
	s_clause 0x1
	buffer_load_dword v63, v59, s[0:3], 0 offen offset:4
	buffer_load_dword v64, v59, s[0:3], 0 offen
	ds_read_b64 v[61:62], v58
	v_add_nc_u32_e32 v57, 1, v57
	v_add_nc_u32_e32 v58, 8, v58
	;; [unrolled: 1-line block ×3, first 2 shown]
	v_cmp_lt_u32_e32 vcc_lo, 18, v57
	s_or_b32 s5, vcc_lo, s5
	s_waitcnt vmcnt(1) lgkmcnt(0)
	v_mul_f32_e32 v65, v62, v63
	v_mul_f32_e32 v63, v61, v63
	s_waitcnt vmcnt(0)
	v_fma_f32 v61, v61, v64, -v65
	v_fmac_f32_e32 v63, v62, v64
	v_add_f32_e32 v60, v60, v61
	v_add_f32_e32 v54, v54, v63
	s_andn2_b32 exec_lo, exec_lo, s5
	s_cbranch_execnz .LBB89_93
; %bb.94:
	s_or_b32 exec_lo, exec_lo, s5
	v_mov_b32_e32 v57, 0
	ds_read_b64 v[57:58], v57 offset:160
	s_waitcnt lgkmcnt(0)
	v_mul_f32_e32 v59, v54, v58
	v_mul_f32_e32 v58, v60, v58
	v_fma_f32 v59, v60, v57, -v59
	v_fmac_f32_e32 v58, v54, v57
	buffer_store_dword v59, off, s[0:3], 0 offset:160
	buffer_store_dword v58, off, s[0:3], 0 offset:164
.LBB89_95:
	s_or_b32 exec_lo, exec_lo, s4
	s_waitcnt_vscnt null, 0x0
	s_barrier
	buffer_gl0_inv
	s_clause 0x1
	buffer_load_dword v57, off, s[0:3], 0 offset:168
	buffer_load_dword v58, off, s[0:3], 0 offset:172
	s_mov_b32 s4, exec_lo
	s_waitcnt vmcnt(0)
	ds_write_b64 v56, v[57:58]
	s_waitcnt lgkmcnt(0)
	s_barrier
	buffer_gl0_inv
	v_cmpx_gt_u32_e32 21, v0
	s_cbranch_execz .LBB89_99
; %bb.96:
	v_add_nc_u32_e32 v57, -1, v0
	v_add_nc_u32_e32 v58, 0xd0, v55
	v_mov_b32_e32 v59, v55
	v_mov_b32_e32 v54, 0
	;; [unrolled: 1-line block ×3, first 2 shown]
	s_mov_b32 s5, 0
	.p2align	6
.LBB89_97:                              ; =>This Inner Loop Header: Depth=1
	s_clause 0x1
	buffer_load_dword v63, v59, s[0:3], 0 offen offset:4
	buffer_load_dword v64, v59, s[0:3], 0 offen
	ds_read_b64 v[61:62], v58
	v_add_nc_u32_e32 v57, 1, v57
	v_add_nc_u32_e32 v58, 8, v58
	;; [unrolled: 1-line block ×3, first 2 shown]
	v_cmp_lt_u32_e32 vcc_lo, 19, v57
	s_or_b32 s5, vcc_lo, s5
	s_waitcnt vmcnt(1) lgkmcnt(0)
	v_mul_f32_e32 v65, v62, v63
	v_mul_f32_e32 v63, v61, v63
	s_waitcnt vmcnt(0)
	v_fma_f32 v61, v61, v64, -v65
	v_fmac_f32_e32 v63, v62, v64
	v_add_f32_e32 v60, v60, v61
	v_add_f32_e32 v54, v54, v63
	s_andn2_b32 exec_lo, exec_lo, s5
	s_cbranch_execnz .LBB89_97
; %bb.98:
	s_or_b32 exec_lo, exec_lo, s5
	v_mov_b32_e32 v57, 0
	ds_read_b64 v[57:58], v57 offset:168
	s_waitcnt lgkmcnt(0)
	v_mul_f32_e32 v59, v54, v58
	v_mul_f32_e32 v58, v60, v58
	v_fma_f32 v59, v60, v57, -v59
	v_fmac_f32_e32 v58, v54, v57
	buffer_store_dword v59, off, s[0:3], 0 offset:168
	buffer_store_dword v58, off, s[0:3], 0 offset:172
.LBB89_99:
	s_or_b32 exec_lo, exec_lo, s4
	s_waitcnt_vscnt null, 0x0
	s_barrier
	buffer_gl0_inv
	s_clause 0x1
	buffer_load_dword v57, off, s[0:3], 0 offset:176
	buffer_load_dword v58, off, s[0:3], 0 offset:180
	s_mov_b32 s4, exec_lo
	s_waitcnt vmcnt(0)
	ds_write_b64 v56, v[57:58]
	s_waitcnt lgkmcnt(0)
	s_barrier
	buffer_gl0_inv
	v_cmpx_gt_u32_e32 22, v0
	s_cbranch_execz .LBB89_103
; %bb.100:
	v_add_nc_u32_e32 v57, -1, v0
	v_add_nc_u32_e32 v58, 0xd0, v55
	v_mov_b32_e32 v59, v55
	v_mov_b32_e32 v54, 0
	;; [unrolled: 1-line block ×3, first 2 shown]
	s_mov_b32 s5, 0
	.p2align	6
.LBB89_101:                             ; =>This Inner Loop Header: Depth=1
	s_clause 0x1
	buffer_load_dword v63, v59, s[0:3], 0 offen offset:4
	buffer_load_dword v64, v59, s[0:3], 0 offen
	ds_read_b64 v[61:62], v58
	v_add_nc_u32_e32 v57, 1, v57
	v_add_nc_u32_e32 v58, 8, v58
	v_add_nc_u32_e32 v59, 8, v59
	v_cmp_lt_u32_e32 vcc_lo, 20, v57
	s_or_b32 s5, vcc_lo, s5
	s_waitcnt vmcnt(1) lgkmcnt(0)
	v_mul_f32_e32 v65, v62, v63
	v_mul_f32_e32 v63, v61, v63
	s_waitcnt vmcnt(0)
	v_fma_f32 v61, v61, v64, -v65
	v_fmac_f32_e32 v63, v62, v64
	v_add_f32_e32 v60, v60, v61
	v_add_f32_e32 v54, v54, v63
	s_andn2_b32 exec_lo, exec_lo, s5
	s_cbranch_execnz .LBB89_101
; %bb.102:
	s_or_b32 exec_lo, exec_lo, s5
	v_mov_b32_e32 v57, 0
	ds_read_b64 v[57:58], v57 offset:176
	s_waitcnt lgkmcnt(0)
	v_mul_f32_e32 v59, v54, v58
	v_mul_f32_e32 v58, v60, v58
	v_fma_f32 v59, v60, v57, -v59
	v_fmac_f32_e32 v58, v54, v57
	buffer_store_dword v59, off, s[0:3], 0 offset:176
	buffer_store_dword v58, off, s[0:3], 0 offset:180
.LBB89_103:
	s_or_b32 exec_lo, exec_lo, s4
	s_waitcnt_vscnt null, 0x0
	s_barrier
	buffer_gl0_inv
	s_clause 0x1
	buffer_load_dword v57, off, s[0:3], 0 offset:184
	buffer_load_dword v58, off, s[0:3], 0 offset:188
	s_mov_b32 s4, exec_lo
	s_waitcnt vmcnt(0)
	ds_write_b64 v56, v[57:58]
	s_waitcnt lgkmcnt(0)
	s_barrier
	buffer_gl0_inv
	v_cmpx_gt_u32_e32 23, v0
	s_cbranch_execz .LBB89_107
; %bb.104:
	v_add_nc_u32_e32 v57, -1, v0
	v_add_nc_u32_e32 v58, 0xd0, v55
	v_mov_b32_e32 v59, v55
	v_mov_b32_e32 v54, 0
	;; [unrolled: 1-line block ×3, first 2 shown]
	s_mov_b32 s5, 0
	.p2align	6
.LBB89_105:                             ; =>This Inner Loop Header: Depth=1
	s_clause 0x1
	buffer_load_dword v63, v59, s[0:3], 0 offen offset:4
	buffer_load_dword v64, v59, s[0:3], 0 offen
	ds_read_b64 v[61:62], v58
	v_add_nc_u32_e32 v57, 1, v57
	v_add_nc_u32_e32 v58, 8, v58
	;; [unrolled: 1-line block ×3, first 2 shown]
	v_cmp_lt_u32_e32 vcc_lo, 21, v57
	s_or_b32 s5, vcc_lo, s5
	s_waitcnt vmcnt(1) lgkmcnt(0)
	v_mul_f32_e32 v65, v62, v63
	v_mul_f32_e32 v63, v61, v63
	s_waitcnt vmcnt(0)
	v_fma_f32 v61, v61, v64, -v65
	v_fmac_f32_e32 v63, v62, v64
	v_add_f32_e32 v60, v60, v61
	v_add_f32_e32 v54, v54, v63
	s_andn2_b32 exec_lo, exec_lo, s5
	s_cbranch_execnz .LBB89_105
; %bb.106:
	s_or_b32 exec_lo, exec_lo, s5
	v_mov_b32_e32 v57, 0
	ds_read_b64 v[57:58], v57 offset:184
	s_waitcnt lgkmcnt(0)
	v_mul_f32_e32 v59, v54, v58
	v_mul_f32_e32 v58, v60, v58
	v_fma_f32 v59, v60, v57, -v59
	v_fmac_f32_e32 v58, v54, v57
	buffer_store_dword v59, off, s[0:3], 0 offset:184
	buffer_store_dword v58, off, s[0:3], 0 offset:188
.LBB89_107:
	s_or_b32 exec_lo, exec_lo, s4
	s_waitcnt_vscnt null, 0x0
	s_barrier
	buffer_gl0_inv
	s_clause 0x1
	buffer_load_dword v57, off, s[0:3], 0 offset:192
	buffer_load_dword v58, off, s[0:3], 0 offset:196
	s_mov_b32 s4, exec_lo
	s_waitcnt vmcnt(0)
	ds_write_b64 v56, v[57:58]
	s_waitcnt lgkmcnt(0)
	s_barrier
	buffer_gl0_inv
	v_cmpx_gt_u32_e32 24, v0
	s_cbranch_execz .LBB89_111
; %bb.108:
	v_add_nc_u32_e32 v57, -1, v0
	v_add_nc_u32_e32 v58, 0xd0, v55
	v_mov_b32_e32 v59, v55
	v_mov_b32_e32 v54, 0
	;; [unrolled: 1-line block ×3, first 2 shown]
	s_mov_b32 s5, 0
	.p2align	6
.LBB89_109:                             ; =>This Inner Loop Header: Depth=1
	s_clause 0x1
	buffer_load_dword v63, v59, s[0:3], 0 offen offset:4
	buffer_load_dword v64, v59, s[0:3], 0 offen
	ds_read_b64 v[61:62], v58
	v_add_nc_u32_e32 v57, 1, v57
	v_add_nc_u32_e32 v58, 8, v58
	v_add_nc_u32_e32 v59, 8, v59
	v_cmp_lt_u32_e32 vcc_lo, 22, v57
	s_or_b32 s5, vcc_lo, s5
	s_waitcnt vmcnt(1) lgkmcnt(0)
	v_mul_f32_e32 v65, v62, v63
	v_mul_f32_e32 v63, v61, v63
	s_waitcnt vmcnt(0)
	v_fma_f32 v61, v61, v64, -v65
	v_fmac_f32_e32 v63, v62, v64
	v_add_f32_e32 v60, v60, v61
	v_add_f32_e32 v54, v54, v63
	s_andn2_b32 exec_lo, exec_lo, s5
	s_cbranch_execnz .LBB89_109
; %bb.110:
	s_or_b32 exec_lo, exec_lo, s5
	v_mov_b32_e32 v57, 0
	ds_read_b64 v[57:58], v57 offset:192
	s_waitcnt lgkmcnt(0)
	v_mul_f32_e32 v59, v54, v58
	v_mul_f32_e32 v58, v60, v58
	v_fma_f32 v59, v60, v57, -v59
	v_fmac_f32_e32 v58, v54, v57
	buffer_store_dword v59, off, s[0:3], 0 offset:192
	buffer_store_dword v58, off, s[0:3], 0 offset:196
.LBB89_111:
	s_or_b32 exec_lo, exec_lo, s4
	s_waitcnt_vscnt null, 0x0
	s_barrier
	buffer_gl0_inv
	s_clause 0x1
	buffer_load_dword v57, off, s[0:3], 0 offset:200
	buffer_load_dword v58, off, s[0:3], 0 offset:204
	s_mov_b32 s4, exec_lo
	s_waitcnt vmcnt(0)
	ds_write_b64 v56, v[57:58]
	s_waitcnt lgkmcnt(0)
	s_barrier
	buffer_gl0_inv
	v_cmpx_ne_u32_e32 25, v0
	s_cbranch_execz .LBB89_115
; %bb.112:
	v_mov_b32_e32 v54, 0
	v_mov_b32_e32 v57, 0
	s_mov_b32 s5, 0
	.p2align	6
.LBB89_113:                             ; =>This Inner Loop Header: Depth=1
	s_clause 0x1
	buffer_load_dword v60, v55, s[0:3], 0 offen offset:4
	buffer_load_dword v61, v55, s[0:3], 0 offen
	ds_read_b64 v[58:59], v56
	v_add_nc_u32_e32 v53, 1, v53
	v_add_nc_u32_e32 v56, 8, v56
	;; [unrolled: 1-line block ×3, first 2 shown]
	v_cmp_lt_u32_e32 vcc_lo, 23, v53
	s_or_b32 s5, vcc_lo, s5
	s_waitcnt vmcnt(1) lgkmcnt(0)
	v_mul_f32_e32 v62, v59, v60
	v_mul_f32_e32 v60, v58, v60
	s_waitcnt vmcnt(0)
	v_fma_f32 v58, v58, v61, -v62
	v_fmac_f32_e32 v60, v59, v61
	v_add_f32_e32 v57, v57, v58
	v_add_f32_e32 v54, v54, v60
	s_andn2_b32 exec_lo, exec_lo, s5
	s_cbranch_execnz .LBB89_113
; %bb.114:
	s_or_b32 exec_lo, exec_lo, s5
	v_mov_b32_e32 v53, 0
	ds_read_b64 v[55:56], v53 offset:200
	s_waitcnt lgkmcnt(0)
	v_mul_f32_e32 v53, v54, v56
	v_mul_f32_e32 v56, v57, v56
	v_fma_f32 v53, v57, v55, -v53
	v_fmac_f32_e32 v56, v54, v55
	buffer_store_dword v53, off, s[0:3], 0 offset:200
	buffer_store_dword v56, off, s[0:3], 0 offset:204
.LBB89_115:
	s_or_b32 exec_lo, exec_lo, s4
	s_mov_b32 s5, -1
	s_waitcnt_vscnt null, 0x0
	s_barrier
	buffer_gl0_inv
.LBB89_116:
	s_and_b32 vcc_lo, exec_lo, s5
	s_cbranch_vccz .LBB89_118
; %bb.117:
	s_lshl_b64 s[4:5], s[6:7], 2
	v_mov_b32_e32 v53, 0
	s_add_u32 s4, s10, s4
	s_addc_u32 s5, s11, s5
	global_load_dword v53, v53, s[4:5]
	s_waitcnt vmcnt(0)
	v_cmp_ne_u32_e32 vcc_lo, 0, v53
	s_cbranch_vccz .LBB89_119
.LBB89_118:
	s_endpgm
.LBB89_119:
	v_lshl_add_u32 v53, v0, 3, 0xd0
	s_mov_b32 s4, exec_lo
	v_cmpx_eq_u32_e32 25, v0
	s_cbranch_execz .LBB89_121
; %bb.120:
	s_clause 0x1
	buffer_load_dword v54, off, s[0:3], 0 offset:192
	buffer_load_dword v55, off, s[0:3], 0 offset:196
	v_mov_b32_e32 v56, 0
	buffer_store_dword v56, off, s[0:3], 0 offset:192
	buffer_store_dword v56, off, s[0:3], 0 offset:196
	s_waitcnt vmcnt(0)
	ds_write_b64 v53, v[54:55]
.LBB89_121:
	s_or_b32 exec_lo, exec_lo, s4
	s_waitcnt lgkmcnt(0)
	s_waitcnt_vscnt null, 0x0
	s_barrier
	buffer_gl0_inv
	s_clause 0x3
	buffer_load_dword v57, off, s[0:3], 0 offset:204
	buffer_load_dword v58, off, s[0:3], 0 offset:200
	;; [unrolled: 1-line block ×4, first 2 shown]
	v_mov_b32_e32 v54, 0
	s_mov_b32 s4, exec_lo
	ds_read_b64 v[55:56], v54 offset:408
	s_waitcnt vmcnt(3) lgkmcnt(0)
	v_mul_f32_e32 v61, v56, v57
	v_mul_f32_e32 v57, v55, v57
	s_waitcnt vmcnt(2)
	v_fma_f32 v55, v55, v58, -v61
	v_fmac_f32_e32 v57, v56, v58
	v_add_f32_e32 v55, 0, v55
	v_add_f32_e32 v56, 0, v57
	s_waitcnt vmcnt(1)
	v_sub_f32_e32 v55, v59, v55
	s_waitcnt vmcnt(0)
	v_sub_f32_e32 v56, v60, v56
	buffer_store_dword v55, off, s[0:3], 0 offset:192
	buffer_store_dword v56, off, s[0:3], 0 offset:196
	v_cmpx_lt_u32_e32 23, v0
	s_cbranch_execz .LBB89_123
; %bb.122:
	s_clause 0x1
	buffer_load_dword v55, off, s[0:3], 0 offset:184
	buffer_load_dword v56, off, s[0:3], 0 offset:188
	buffer_store_dword v54, off, s[0:3], 0 offset:184
	buffer_store_dword v54, off, s[0:3], 0 offset:188
	s_waitcnt vmcnt(0)
	ds_write_b64 v53, v[55:56]
.LBB89_123:
	s_or_b32 exec_lo, exec_lo, s4
	s_waitcnt lgkmcnt(0)
	s_waitcnt_vscnt null, 0x0
	s_barrier
	buffer_gl0_inv
	s_clause 0x5
	buffer_load_dword v58, off, s[0:3], 0 offset:196
	buffer_load_dword v59, off, s[0:3], 0 offset:204
	;; [unrolled: 1-line block ×6, first 2 shown]
	ds_read_b128 v[54:57], v54 offset:400
	s_mov_b32 s4, exec_lo
	s_waitcnt vmcnt(5) lgkmcnt(0)
	v_mul_f32_e32 v64, v55, v58
	v_mul_f32_e32 v58, v54, v58
	s_waitcnt vmcnt(4)
	v_mul_f32_e32 v65, v56, v59
	v_mul_f32_e32 v59, v57, v59
	s_waitcnt vmcnt(3)
	v_fma_f32 v54, v54, v60, -v64
	v_fmac_f32_e32 v58, v55, v60
	s_waitcnt vmcnt(2)
	v_fmac_f32_e32 v65, v57, v61
	v_fma_f32 v55, v56, v61, -v59
	v_add_f32_e32 v54, 0, v54
	v_add_f32_e32 v56, 0, v58
	;; [unrolled: 1-line block ×4, first 2 shown]
	s_waitcnt vmcnt(1)
	v_sub_f32_e32 v54, v62, v54
	s_waitcnt vmcnt(0)
	v_sub_f32_e32 v55, v63, v55
	buffer_store_dword v54, off, s[0:3], 0 offset:184
	buffer_store_dword v55, off, s[0:3], 0 offset:188
	v_cmpx_lt_u32_e32 22, v0
	s_cbranch_execz .LBB89_125
; %bb.124:
	s_clause 0x1
	buffer_load_dword v54, off, s[0:3], 0 offset:176
	buffer_load_dword v55, off, s[0:3], 0 offset:180
	v_mov_b32_e32 v56, 0
	buffer_store_dword v56, off, s[0:3], 0 offset:176
	buffer_store_dword v56, off, s[0:3], 0 offset:180
	s_waitcnt vmcnt(0)
	ds_write_b64 v53, v[54:55]
.LBB89_125:
	s_or_b32 exec_lo, exec_lo, s4
	s_waitcnt lgkmcnt(0)
	s_waitcnt_vscnt null, 0x0
	s_barrier
	buffer_gl0_inv
	s_clause 0x7
	buffer_load_dword v61, off, s[0:3], 0 offset:188
	buffer_load_dword v62, off, s[0:3], 0 offset:196
	;; [unrolled: 1-line block ×8, first 2 shown]
	v_mov_b32_e32 v54, 0
	ds_read2_b64 v[55:58], v54 offset0:49 offset1:50
	ds_read_b64 v[59:60], v54 offset:408
	s_mov_b32 s4, exec_lo
	s_waitcnt vmcnt(7) lgkmcnt(1)
	v_mul_f32_e32 v69, v56, v61
	v_mul_f32_e32 v61, v55, v61
	s_waitcnt vmcnt(6)
	v_mul_f32_e32 v70, v57, v62
	v_mul_f32_e32 v62, v58, v62
	s_waitcnt vmcnt(5) lgkmcnt(0)
	v_mul_f32_e32 v71, v59, v63
	s_waitcnt vmcnt(4)
	v_fma_f32 v55, v55, v64, -v69
	v_fmac_f32_e32 v61, v56, v64
	v_mul_f32_e32 v56, v60, v63
	s_waitcnt vmcnt(3)
	v_fma_f32 v57, v57, v65, -v62
	v_fmac_f32_e32 v70, v58, v65
	v_add_f32_e32 v55, 0, v55
	v_add_f32_e32 v58, 0, v61
	s_waitcnt vmcnt(2)
	v_fma_f32 v56, v59, v66, -v56
	v_fmac_f32_e32 v71, v60, v66
	v_add_f32_e32 v55, v55, v57
	v_add_f32_e32 v57, v58, v70
	;; [unrolled: 1-line block ×4, first 2 shown]
	s_waitcnt vmcnt(1)
	v_sub_f32_e32 v55, v67, v55
	s_waitcnt vmcnt(0)
	v_sub_f32_e32 v56, v68, v56
	buffer_store_dword v55, off, s[0:3], 0 offset:176
	buffer_store_dword v56, off, s[0:3], 0 offset:180
	v_cmpx_lt_u32_e32 21, v0
	s_cbranch_execz .LBB89_127
; %bb.126:
	s_clause 0x1
	buffer_load_dword v55, off, s[0:3], 0 offset:168
	buffer_load_dword v56, off, s[0:3], 0 offset:172
	buffer_store_dword v54, off, s[0:3], 0 offset:168
	buffer_store_dword v54, off, s[0:3], 0 offset:172
	s_waitcnt vmcnt(0)
	ds_write_b64 v53, v[55:56]
.LBB89_127:
	s_or_b32 exec_lo, exec_lo, s4
	s_waitcnt lgkmcnt(0)
	s_waitcnt_vscnt null, 0x0
	s_barrier
	buffer_gl0_inv
	s_clause 0x9
	buffer_load_dword v63, off, s[0:3], 0 offset:180
	buffer_load_dword v64, off, s[0:3], 0 offset:188
	;; [unrolled: 1-line block ×10, first 2 shown]
	ds_read_b128 v[55:58], v54 offset:384
	ds_read_b128 v[59:62], v54 offset:400
	s_mov_b32 s4, exec_lo
	s_waitcnt vmcnt(9) lgkmcnt(1)
	v_mul_f32_e32 v54, v55, v63
	v_mul_f32_e32 v63, v56, v63
	s_waitcnt vmcnt(8)
	v_mul_f32_e32 v73, v57, v64
	v_mul_f32_e32 v64, v58, v64
	s_waitcnt vmcnt(7) lgkmcnt(0)
	v_mul_f32_e32 v74, v59, v65
	s_waitcnt vmcnt(5)
	v_fmac_f32_e32 v54, v56, v67
	v_fma_f32 v55, v55, v67, -v63
	v_mul_f32_e32 v56, v60, v65
	s_waitcnt vmcnt(4)
	v_fma_f32 v57, v57, v68, -v64
	v_fmac_f32_e32 v73, v58, v68
	v_add_f32_e32 v54, 0, v54
	v_add_f32_e32 v55, 0, v55
	v_mul_f32_e32 v58, v62, v66
	s_waitcnt vmcnt(3)
	v_fma_f32 v56, v59, v69, -v56
	v_mul_f32_e32 v75, v61, v66
	v_fmac_f32_e32 v74, v60, v69
	v_add_f32_e32 v55, v55, v57
	v_add_f32_e32 v54, v54, v73
	s_waitcnt vmcnt(2)
	v_fma_f32 v57, v61, v70, -v58
	v_fmac_f32_e32 v75, v62, v70
	v_add_f32_e32 v55, v55, v56
	v_add_f32_e32 v54, v54, v74
	;; [unrolled: 1-line block ×4, first 2 shown]
	s_waitcnt vmcnt(1)
	v_sub_f32_e32 v55, v71, v55
	s_waitcnt vmcnt(0)
	v_sub_f32_e32 v54, v72, v54
	buffer_store_dword v55, off, s[0:3], 0 offset:168
	buffer_store_dword v54, off, s[0:3], 0 offset:172
	v_cmpx_lt_u32_e32 20, v0
	s_cbranch_execz .LBB89_129
; %bb.128:
	s_clause 0x1
	buffer_load_dword v54, off, s[0:3], 0 offset:160
	buffer_load_dword v55, off, s[0:3], 0 offset:164
	v_mov_b32_e32 v56, 0
	buffer_store_dword v56, off, s[0:3], 0 offset:160
	buffer_store_dword v56, off, s[0:3], 0 offset:164
	s_waitcnt vmcnt(0)
	ds_write_b64 v53, v[54:55]
.LBB89_129:
	s_or_b32 exec_lo, exec_lo, s4
	s_waitcnt lgkmcnt(0)
	s_waitcnt_vscnt null, 0x0
	s_barrier
	buffer_gl0_inv
	s_clause 0xb
	buffer_load_dword v65, off, s[0:3], 0 offset:172
	buffer_load_dword v66, off, s[0:3], 0 offset:180
	;; [unrolled: 1-line block ×12, first 2 shown]
	v_mov_b32_e32 v54, 0
	ds_read2_b64 v[55:58], v54 offset0:47 offset1:48
	ds_read2_b64 v[59:62], v54 offset0:49 offset1:50
	ds_read_b64 v[63:64], v54 offset:408
	s_mov_b32 s4, exec_lo
	s_waitcnt vmcnt(11) lgkmcnt(2)
	v_mul_f32_e32 v77, v55, v65
	v_mul_f32_e32 v65, v56, v65
	s_waitcnt vmcnt(10)
	v_mul_f32_e32 v78, v57, v66
	v_mul_f32_e32 v66, v58, v66
	s_waitcnt vmcnt(9) lgkmcnt(1)
	v_mul_f32_e32 v79, v59, v67
	s_waitcnt vmcnt(6)
	v_fmac_f32_e32 v77, v56, v70
	v_fma_f32 v55, v55, v70, -v65
	v_mul_f32_e32 v56, v60, v67
	s_waitcnt vmcnt(5)
	v_fma_f32 v57, v57, v71, -v66
	v_fmac_f32_e32 v78, v58, v71
	v_add_f32_e32 v58, 0, v77
	v_add_f32_e32 v55, 0, v55
	v_mul_f32_e32 v65, v62, v68
	s_waitcnt vmcnt(4)
	v_fma_f32 v56, v59, v72, -v56
	v_mul_f32_e32 v80, v61, v68
	v_fmac_f32_e32 v79, v60, v72
	v_add_f32_e32 v55, v55, v57
	v_add_f32_e32 v57, v58, v78
	s_waitcnt lgkmcnt(0)
	v_mul_f32_e32 v58, v64, v69
	s_waitcnt vmcnt(3)
	v_fma_f32 v59, v61, v73, -v65
	v_mul_f32_e32 v81, v63, v69
	v_add_f32_e32 v55, v55, v56
	v_fmac_f32_e32 v80, v62, v73
	v_add_f32_e32 v56, v57, v79
	s_waitcnt vmcnt(2)
	v_fma_f32 v57, v63, v74, -v58
	v_fmac_f32_e32 v81, v64, v74
	v_add_f32_e32 v55, v55, v59
	v_add_f32_e32 v56, v56, v80
	;; [unrolled: 1-line block ×4, first 2 shown]
	s_waitcnt vmcnt(1)
	v_sub_f32_e32 v55, v75, v55
	s_waitcnt vmcnt(0)
	v_sub_f32_e32 v56, v76, v56
	buffer_store_dword v55, off, s[0:3], 0 offset:160
	buffer_store_dword v56, off, s[0:3], 0 offset:164
	v_cmpx_lt_u32_e32 19, v0
	s_cbranch_execz .LBB89_131
; %bb.130:
	s_clause 0x1
	buffer_load_dword v55, off, s[0:3], 0 offset:152
	buffer_load_dword v56, off, s[0:3], 0 offset:156
	buffer_store_dword v54, off, s[0:3], 0 offset:152
	buffer_store_dword v54, off, s[0:3], 0 offset:156
	s_waitcnt vmcnt(0)
	ds_write_b64 v53, v[55:56]
.LBB89_131:
	s_or_b32 exec_lo, exec_lo, s4
	s_waitcnt lgkmcnt(0)
	s_waitcnt_vscnt null, 0x0
	s_barrier
	buffer_gl0_inv
	s_clause 0xd
	buffer_load_dword v67, off, s[0:3], 0 offset:164
	buffer_load_dword v68, off, s[0:3], 0 offset:172
	;; [unrolled: 1-line block ×14, first 2 shown]
	ds_read_b128 v[55:58], v54 offset:368
	ds_read_b128 v[59:62], v54 offset:384
	;; [unrolled: 1-line block ×3, first 2 shown]
	s_mov_b32 s4, exec_lo
	s_waitcnt vmcnt(13) lgkmcnt(2)
	v_mul_f32_e32 v54, v55, v67
	v_mul_f32_e32 v67, v56, v67
	s_waitcnt vmcnt(12)
	v_mul_f32_e32 v81, v57, v68
	v_mul_f32_e32 v68, v58, v68
	s_waitcnt vmcnt(11) lgkmcnt(1)
	v_mul_f32_e32 v82, v59, v69
	s_waitcnt vmcnt(10)
	v_mul_f32_e32 v83, v61, v70
	s_waitcnt vmcnt(7)
	v_fma_f32 v55, v55, v73, -v67
	v_fmac_f32_e32 v54, v56, v73
	v_mul_f32_e32 v56, v60, v69
	s_waitcnt vmcnt(6)
	v_fma_f32 v57, v57, v74, -v68
	v_fmac_f32_e32 v81, v58, v74
	v_add_f32_e32 v55, 0, v55
	v_add_f32_e32 v54, 0, v54
	v_mul_f32_e32 v58, v62, v70
	s_waitcnt vmcnt(5)
	v_fma_f32 v56, v59, v75, -v56
	v_fmac_f32_e32 v82, v60, v75
	v_add_f32_e32 v55, v55, v57
	v_add_f32_e32 v54, v54, v81
	s_waitcnt lgkmcnt(0)
	v_mul_f32_e32 v57, v64, v71
	s_waitcnt vmcnt(4)
	v_fma_f32 v58, v61, v76, -v58
	v_mul_f32_e32 v84, v63, v71
	v_add_f32_e32 v55, v55, v56
	v_fmac_f32_e32 v83, v62, v76
	v_add_f32_e32 v54, v54, v82
	v_mul_f32_e32 v56, v66, v72
	s_waitcnt vmcnt(3)
	v_fma_f32 v57, v63, v77, -v57
	v_add_f32_e32 v55, v55, v58
	v_mul_f32_e32 v85, v65, v72
	v_fmac_f32_e32 v84, v64, v77
	v_add_f32_e32 v54, v54, v83
	s_waitcnt vmcnt(2)
	v_fma_f32 v56, v65, v78, -v56
	v_add_f32_e32 v55, v55, v57
	v_fmac_f32_e32 v85, v66, v78
	v_add_f32_e32 v54, v54, v84
	v_add_f32_e32 v55, v55, v56
	;; [unrolled: 1-line block ×3, first 2 shown]
	s_waitcnt vmcnt(1)
	v_sub_f32_e32 v55, v79, v55
	s_waitcnt vmcnt(0)
	v_sub_f32_e32 v54, v80, v54
	buffer_store_dword v55, off, s[0:3], 0 offset:152
	buffer_store_dword v54, off, s[0:3], 0 offset:156
	v_cmpx_lt_u32_e32 18, v0
	s_cbranch_execz .LBB89_133
; %bb.132:
	s_clause 0x1
	buffer_load_dword v54, off, s[0:3], 0 offset:144
	buffer_load_dword v55, off, s[0:3], 0 offset:148
	v_mov_b32_e32 v56, 0
	buffer_store_dword v56, off, s[0:3], 0 offset:144
	buffer_store_dword v56, off, s[0:3], 0 offset:148
	s_waitcnt vmcnt(0)
	ds_write_b64 v53, v[54:55]
.LBB89_133:
	s_or_b32 exec_lo, exec_lo, s4
	s_waitcnt lgkmcnt(0)
	s_waitcnt_vscnt null, 0x0
	s_barrier
	buffer_gl0_inv
	s_clause 0xf
	buffer_load_dword v69, off, s[0:3], 0 offset:156
	buffer_load_dword v70, off, s[0:3], 0 offset:164
	;; [unrolled: 1-line block ×16, first 2 shown]
	v_mov_b32_e32 v54, 0
	ds_read2_b64 v[55:58], v54 offset0:45 offset1:46
	ds_read2_b64 v[59:62], v54 offset0:47 offset1:48
	ds_read2_b64 v[63:66], v54 offset0:49 offset1:50
	ds_read_b64 v[67:68], v54 offset:408
	s_mov_b32 s4, exec_lo
	s_waitcnt vmcnt(15) lgkmcnt(3)
	v_mul_f32_e32 v85, v55, v69
	v_mul_f32_e32 v69, v56, v69
	s_waitcnt vmcnt(14)
	v_mul_f32_e32 v86, v57, v70
	v_mul_f32_e32 v70, v58, v70
	s_waitcnt vmcnt(13) lgkmcnt(2)
	v_mul_f32_e32 v87, v59, v71
	s_waitcnt vmcnt(12)
	v_mul_f32_e32 v88, v61, v72
	s_waitcnt vmcnt(11) lgkmcnt(1)
	v_mul_f32_e32 v89, v63, v73
	s_waitcnt vmcnt(8)
	v_fma_f32 v55, v55, v76, -v69
	v_fmac_f32_e32 v85, v56, v76
	v_mul_f32_e32 v56, v60, v71
	s_waitcnt vmcnt(7)
	v_fma_f32 v57, v57, v77, -v70
	v_fmac_f32_e32 v86, v58, v77
	v_add_f32_e32 v55, 0, v55
	v_add_f32_e32 v58, 0, v85
	v_mul_f32_e32 v69, v62, v72
	s_waitcnt vmcnt(6)
	v_fma_f32 v56, v59, v78, -v56
	v_fmac_f32_e32 v87, v60, v78
	v_add_f32_e32 v55, v55, v57
	v_add_f32_e32 v57, v58, v86
	;; [unrolled: 6-line block ×3, first 2 shown]
	v_mul_f32_e32 v57, v66, v74
	s_waitcnt vmcnt(4)
	v_fma_f32 v58, v63, v80, -v58
	v_mul_f32_e32 v90, v65, v74
	v_add_f32_e32 v55, v55, v59
	v_fmac_f32_e32 v89, v64, v80
	v_add_f32_e32 v56, v56, v88
	s_waitcnt lgkmcnt(0)
	v_mul_f32_e32 v59, v68, v75
	s_waitcnt vmcnt(3)
	v_fma_f32 v57, v65, v81, -v57
	v_add_f32_e32 v55, v55, v58
	v_mul_f32_e32 v91, v67, v75
	v_fmac_f32_e32 v90, v66, v81
	v_add_f32_e32 v56, v56, v89
	s_waitcnt vmcnt(2)
	v_fma_f32 v58, v67, v82, -v59
	v_add_f32_e32 v55, v55, v57
	v_fmac_f32_e32 v91, v68, v82
	v_add_f32_e32 v56, v56, v90
	v_add_f32_e32 v55, v55, v58
	v_add_f32_e32 v56, v56, v91
	s_waitcnt vmcnt(1)
	v_sub_f32_e32 v55, v83, v55
	s_waitcnt vmcnt(0)
	v_sub_f32_e32 v56, v84, v56
	buffer_store_dword v55, off, s[0:3], 0 offset:144
	buffer_store_dword v56, off, s[0:3], 0 offset:148
	v_cmpx_lt_u32_e32 17, v0
	s_cbranch_execz .LBB89_135
; %bb.134:
	s_clause 0x1
	buffer_load_dword v55, off, s[0:3], 0 offset:136
	buffer_load_dword v56, off, s[0:3], 0 offset:140
	buffer_store_dword v54, off, s[0:3], 0 offset:136
	buffer_store_dword v54, off, s[0:3], 0 offset:140
	s_waitcnt vmcnt(0)
	ds_write_b64 v53, v[55:56]
.LBB89_135:
	s_or_b32 exec_lo, exec_lo, s4
	s_waitcnt lgkmcnt(0)
	s_waitcnt_vscnt null, 0x0
	s_barrier
	buffer_gl0_inv
	s_clause 0x11
	buffer_load_dword v71, off, s[0:3], 0 offset:148
	buffer_load_dword v72, off, s[0:3], 0 offset:156
	;; [unrolled: 1-line block ×18, first 2 shown]
	ds_read_b128 v[55:58], v54 offset:352
	ds_read_b128 v[59:62], v54 offset:368
	;; [unrolled: 1-line block ×4, first 2 shown]
	s_mov_b32 s4, exec_lo
	s_waitcnt vmcnt(17) lgkmcnt(3)
	v_mul_f32_e32 v54, v55, v71
	v_mul_f32_e32 v71, v56, v71
	s_waitcnt vmcnt(16)
	v_mul_f32_e32 v89, v57, v72
	v_mul_f32_e32 v72, v58, v72
	s_waitcnt vmcnt(15) lgkmcnt(2)
	v_mul_f32_e32 v90, v59, v73
	s_waitcnt vmcnt(14)
	v_mul_f32_e32 v91, v61, v74
	s_waitcnt vmcnt(13) lgkmcnt(1)
	v_mul_f32_e32 v92, v63, v75
	s_waitcnt vmcnt(12)
	v_mul_f32_e32 v93, v65, v76
	s_waitcnt vmcnt(9)
	v_fma_f32 v55, v55, v79, -v71
	v_fmac_f32_e32 v54, v56, v79
	v_mul_f32_e32 v56, v60, v73
	s_waitcnt vmcnt(8)
	v_fma_f32 v57, v57, v80, -v72
	v_fmac_f32_e32 v89, v58, v80
	v_add_f32_e32 v55, 0, v55
	v_add_f32_e32 v54, 0, v54
	v_mul_f32_e32 v58, v62, v74
	s_waitcnt vmcnt(7)
	v_fma_f32 v56, v59, v81, -v56
	v_fmac_f32_e32 v90, v60, v81
	v_add_f32_e32 v55, v55, v57
	v_add_f32_e32 v54, v54, v89
	;; [unrolled: 6-line block ×4, first 2 shown]
	s_waitcnt lgkmcnt(0)
	v_mul_f32_e32 v58, v68, v77
	s_waitcnt vmcnt(4)
	v_fma_f32 v56, v65, v84, -v56
	v_mul_f32_e32 v94, v67, v77
	v_add_f32_e32 v55, v55, v57
	v_fmac_f32_e32 v93, v66, v84
	v_add_f32_e32 v54, v54, v92
	v_mul_f32_e32 v57, v70, v78
	s_waitcnt vmcnt(3)
	v_fma_f32 v58, v67, v85, -v58
	v_add_f32_e32 v55, v55, v56
	v_mul_f32_e32 v95, v69, v78
	v_fmac_f32_e32 v94, v68, v85
	v_add_f32_e32 v54, v54, v93
	s_waitcnt vmcnt(2)
	v_fma_f32 v56, v69, v86, -v57
	v_add_f32_e32 v55, v55, v58
	v_fmac_f32_e32 v95, v70, v86
	v_add_f32_e32 v54, v54, v94
	v_add_f32_e32 v55, v55, v56
	;; [unrolled: 1-line block ×3, first 2 shown]
	s_waitcnt vmcnt(1)
	v_sub_f32_e32 v55, v87, v55
	s_waitcnt vmcnt(0)
	v_sub_f32_e32 v54, v88, v54
	buffer_store_dword v55, off, s[0:3], 0 offset:136
	buffer_store_dword v54, off, s[0:3], 0 offset:140
	v_cmpx_lt_u32_e32 16, v0
	s_cbranch_execz .LBB89_137
; %bb.136:
	s_clause 0x1
	buffer_load_dword v54, off, s[0:3], 0 offset:128
	buffer_load_dword v55, off, s[0:3], 0 offset:132
	v_mov_b32_e32 v56, 0
	buffer_store_dword v56, off, s[0:3], 0 offset:128
	buffer_store_dword v56, off, s[0:3], 0 offset:132
	s_waitcnt vmcnt(0)
	ds_write_b64 v53, v[54:55]
.LBB89_137:
	s_or_b32 exec_lo, exec_lo, s4
	s_waitcnt lgkmcnt(0)
	s_waitcnt_vscnt null, 0x0
	s_barrier
	buffer_gl0_inv
	s_clause 0x13
	buffer_load_dword v73, off, s[0:3], 0 offset:140
	buffer_load_dword v74, off, s[0:3], 0 offset:148
	;; [unrolled: 1-line block ×20, first 2 shown]
	v_mov_b32_e32 v54, 0
	ds_read2_b64 v[55:58], v54 offset0:43 offset1:44
	ds_read2_b64 v[59:62], v54 offset0:45 offset1:46
	;; [unrolled: 1-line block ×4, first 2 shown]
	ds_read_b64 v[71:72], v54 offset:408
	s_mov_b32 s4, exec_lo
	s_waitcnt vmcnt(19) lgkmcnt(4)
	v_mul_f32_e32 v93, v55, v73
	v_mul_f32_e32 v73, v56, v73
	s_waitcnt vmcnt(18)
	v_mul_f32_e32 v94, v57, v74
	v_mul_f32_e32 v74, v58, v74
	s_waitcnt vmcnt(17) lgkmcnt(3)
	v_mul_f32_e32 v95, v59, v75
	s_waitcnt vmcnt(16)
	v_mul_f32_e32 v96, v61, v76
	s_waitcnt vmcnt(15) lgkmcnt(2)
	v_mul_f32_e32 v97, v63, v77
	s_waitcnt vmcnt(14)
	;; [unrolled: 4-line block ×3, first 2 shown]
	v_fma_f32 v55, v55, v82, -v73
	v_fmac_f32_e32 v93, v56, v82
	v_mul_f32_e32 v56, v60, v75
	s_waitcnt vmcnt(9)
	v_fma_f32 v57, v57, v83, -v74
	v_fmac_f32_e32 v94, v58, v83
	v_add_f32_e32 v55, 0, v55
	v_add_f32_e32 v58, 0, v93
	v_mul_f32_e32 v73, v62, v76
	s_waitcnt vmcnt(8)
	v_fma_f32 v56, v59, v84, -v56
	v_fmac_f32_e32 v95, v60, v84
	v_add_f32_e32 v55, v55, v57
	v_add_f32_e32 v57, v58, v94
	;; [unrolled: 6-line block ×5, first 2 shown]
	v_mul_f32_e32 v58, v70, v80
	s_waitcnt vmcnt(4)
	v_fma_f32 v59, v67, v88, -v59
	v_mul_f32_e32 v100, v69, v80
	v_add_f32_e32 v55, v55, v57
	v_fmac_f32_e32 v99, v68, v88
	v_add_f32_e32 v56, v56, v98
	s_waitcnt lgkmcnt(0)
	v_mul_f32_e32 v57, v72, v81
	s_waitcnt vmcnt(3)
	v_fma_f32 v58, v69, v89, -v58
	v_add_f32_e32 v55, v55, v59
	v_mul_f32_e32 v101, v71, v81
	v_fmac_f32_e32 v100, v70, v89
	v_add_f32_e32 v56, v56, v99
	s_waitcnt vmcnt(2)
	v_fma_f32 v57, v71, v90, -v57
	v_add_f32_e32 v55, v55, v58
	v_fmac_f32_e32 v101, v72, v90
	v_add_f32_e32 v56, v56, v100
	v_add_f32_e32 v55, v55, v57
	;; [unrolled: 1-line block ×3, first 2 shown]
	s_waitcnt vmcnt(1)
	v_sub_f32_e32 v55, v91, v55
	s_waitcnt vmcnt(0)
	v_sub_f32_e32 v56, v92, v56
	buffer_store_dword v55, off, s[0:3], 0 offset:128
	buffer_store_dword v56, off, s[0:3], 0 offset:132
	v_cmpx_lt_u32_e32 15, v0
	s_cbranch_execz .LBB89_139
; %bb.138:
	s_clause 0x1
	buffer_load_dword v55, off, s[0:3], 0 offset:120
	buffer_load_dword v56, off, s[0:3], 0 offset:124
	buffer_store_dword v54, off, s[0:3], 0 offset:120
	buffer_store_dword v54, off, s[0:3], 0 offset:124
	s_waitcnt vmcnt(0)
	ds_write_b64 v53, v[55:56]
.LBB89_139:
	s_or_b32 exec_lo, exec_lo, s4
	s_waitcnt lgkmcnt(0)
	s_waitcnt_vscnt null, 0x0
	s_barrier
	buffer_gl0_inv
	s_clause 0x15
	buffer_load_dword v75, off, s[0:3], 0 offset:132
	buffer_load_dword v76, off, s[0:3], 0 offset:140
	;; [unrolled: 1-line block ×22, first 2 shown]
	ds_read_b128 v[55:58], v54 offset:336
	ds_read_b128 v[59:62], v54 offset:352
	;; [unrolled: 1-line block ×5, first 2 shown]
	s_mov_b32 s4, exec_lo
	s_waitcnt vmcnt(21) lgkmcnt(4)
	v_mul_f32_e32 v54, v55, v75
	v_mul_f32_e32 v75, v56, v75
	s_waitcnt vmcnt(20)
	v_mul_f32_e32 v97, v57, v76
	v_mul_f32_e32 v76, v58, v76
	s_waitcnt vmcnt(19) lgkmcnt(3)
	v_mul_f32_e32 v98, v59, v77
	s_waitcnt vmcnt(18)
	v_mul_f32_e32 v99, v61, v78
	s_waitcnt vmcnt(17) lgkmcnt(2)
	v_mul_f32_e32 v100, v63, v79
	s_waitcnt vmcnt(16)
	v_mul_f32_e32 v101, v65, v80
	s_waitcnt vmcnt(15) lgkmcnt(1)
	v_mul_f32_e32 v102, v67, v81
	s_waitcnt vmcnt(14)
	v_mul_f32_e32 v103, v69, v82
	s_waitcnt vmcnt(11)
	v_fma_f32 v55, v55, v85, -v75
	v_fmac_f32_e32 v54, v56, v85
	v_mul_f32_e32 v56, v60, v77
	s_waitcnt vmcnt(10)
	v_fma_f32 v57, v57, v86, -v76
	v_fmac_f32_e32 v97, v58, v86
	v_add_f32_e32 v55, 0, v55
	v_add_f32_e32 v54, 0, v54
	v_mul_f32_e32 v58, v62, v78
	s_waitcnt vmcnt(9)
	v_fma_f32 v56, v59, v87, -v56
	v_fmac_f32_e32 v98, v60, v87
	v_add_f32_e32 v55, v55, v57
	v_add_f32_e32 v54, v54, v97
	;; [unrolled: 6-line block ×6, first 2 shown]
	s_waitcnt lgkmcnt(0)
	v_mul_f32_e32 v56, v72, v83
	s_waitcnt vmcnt(4)
	v_fma_f32 v57, v69, v92, -v57
	v_mul_f32_e32 v104, v71, v83
	v_add_f32_e32 v55, v55, v58
	v_fmac_f32_e32 v103, v70, v92
	v_add_f32_e32 v54, v54, v102
	v_mul_f32_e32 v58, v74, v84
	s_waitcnt vmcnt(3)
	v_fma_f32 v56, v71, v93, -v56
	v_add_f32_e32 v55, v55, v57
	v_mul_f32_e32 v105, v73, v84
	v_fmac_f32_e32 v104, v72, v93
	v_add_f32_e32 v54, v54, v103
	s_waitcnt vmcnt(2)
	v_fma_f32 v57, v73, v94, -v58
	v_add_f32_e32 v55, v55, v56
	v_fmac_f32_e32 v105, v74, v94
	v_add_f32_e32 v54, v54, v104
	v_add_f32_e32 v55, v55, v57
	;; [unrolled: 1-line block ×3, first 2 shown]
	s_waitcnt vmcnt(1)
	v_sub_f32_e32 v55, v95, v55
	s_waitcnt vmcnt(0)
	v_sub_f32_e32 v54, v96, v54
	buffer_store_dword v55, off, s[0:3], 0 offset:120
	buffer_store_dword v54, off, s[0:3], 0 offset:124
	v_cmpx_lt_u32_e32 14, v0
	s_cbranch_execz .LBB89_141
; %bb.140:
	s_clause 0x1
	buffer_load_dword v54, off, s[0:3], 0 offset:112
	buffer_load_dword v55, off, s[0:3], 0 offset:116
	v_mov_b32_e32 v56, 0
	buffer_store_dword v56, off, s[0:3], 0 offset:112
	buffer_store_dword v56, off, s[0:3], 0 offset:116
	s_waitcnt vmcnt(0)
	ds_write_b64 v53, v[54:55]
.LBB89_141:
	s_or_b32 exec_lo, exec_lo, s4
	s_waitcnt lgkmcnt(0)
	s_waitcnt_vscnt null, 0x0
	s_barrier
	buffer_gl0_inv
	s_clause 0x17
	buffer_load_dword v77, off, s[0:3], 0 offset:124
	buffer_load_dword v78, off, s[0:3], 0 offset:132
	;; [unrolled: 1-line block ×24, first 2 shown]
	v_mov_b32_e32 v54, 0
	ds_read2_b64 v[55:58], v54 offset0:41 offset1:42
	ds_read2_b64 v[59:62], v54 offset0:43 offset1:44
	;; [unrolled: 1-line block ×5, first 2 shown]
	ds_read_b64 v[75:76], v54 offset:408
	s_mov_b32 s4, exec_lo
	s_waitcnt vmcnt(23) lgkmcnt(5)
	v_mul_f32_e32 v101, v55, v77
	v_mul_f32_e32 v77, v56, v77
	s_waitcnt vmcnt(22)
	v_mul_f32_e32 v102, v57, v78
	v_mul_f32_e32 v78, v58, v78
	s_waitcnt vmcnt(21) lgkmcnt(4)
	v_mul_f32_e32 v103, v59, v79
	s_waitcnt vmcnt(20)
	v_mul_f32_e32 v104, v61, v80
	s_waitcnt vmcnt(19) lgkmcnt(3)
	v_mul_f32_e32 v105, v63, v81
	s_waitcnt vmcnt(18)
	v_mul_f32_e32 v106, v65, v82
	s_waitcnt vmcnt(17) lgkmcnt(2)
	v_mul_f32_e32 v107, v67, v83
	s_waitcnt vmcnt(16)
	v_mul_f32_e32 v108, v69, v84
	s_waitcnt vmcnt(15) lgkmcnt(1)
	v_mul_f32_e32 v109, v71, v85
	s_waitcnt vmcnt(12)
	v_fma_f32 v55, v55, v88, -v77
	v_fmac_f32_e32 v101, v56, v88
	v_mul_f32_e32 v56, v60, v79
	s_waitcnt vmcnt(11)
	v_fma_f32 v57, v57, v89, -v78
	v_fmac_f32_e32 v102, v58, v89
	v_add_f32_e32 v55, 0, v55
	v_add_f32_e32 v58, 0, v101
	v_mul_f32_e32 v77, v62, v80
	s_waitcnt vmcnt(10)
	v_fma_f32 v56, v59, v90, -v56
	v_fmac_f32_e32 v103, v60, v90
	v_add_f32_e32 v55, v55, v57
	v_add_f32_e32 v57, v58, v102
	;; [unrolled: 6-line block ×7, first 2 shown]
	v_mul_f32_e32 v59, v74, v86
	s_waitcnt vmcnt(4)
	v_fma_f32 v57, v71, v96, -v57
	v_mul_f32_e32 v110, v73, v86
	v_add_f32_e32 v55, v55, v58
	v_fmac_f32_e32 v109, v72, v96
	v_add_f32_e32 v56, v56, v108
	s_waitcnt lgkmcnt(0)
	v_mul_f32_e32 v58, v76, v87
	s_waitcnt vmcnt(3)
	v_fma_f32 v59, v73, v97, -v59
	v_add_f32_e32 v55, v55, v57
	v_mul_f32_e32 v111, v75, v87
	v_fmac_f32_e32 v110, v74, v97
	v_add_f32_e32 v56, v56, v109
	s_waitcnt vmcnt(2)
	v_fma_f32 v57, v75, v98, -v58
	v_add_f32_e32 v55, v55, v59
	v_fmac_f32_e32 v111, v76, v98
	v_add_f32_e32 v56, v56, v110
	v_add_f32_e32 v55, v55, v57
	;; [unrolled: 1-line block ×3, first 2 shown]
	s_waitcnt vmcnt(1)
	v_sub_f32_e32 v55, v99, v55
	s_waitcnt vmcnt(0)
	v_sub_f32_e32 v56, v100, v56
	buffer_store_dword v55, off, s[0:3], 0 offset:112
	buffer_store_dword v56, off, s[0:3], 0 offset:116
	v_cmpx_lt_u32_e32 13, v0
	s_cbranch_execz .LBB89_143
; %bb.142:
	s_clause 0x1
	buffer_load_dword v55, off, s[0:3], 0 offset:104
	buffer_load_dword v56, off, s[0:3], 0 offset:108
	buffer_store_dword v54, off, s[0:3], 0 offset:104
	buffer_store_dword v54, off, s[0:3], 0 offset:108
	s_waitcnt vmcnt(0)
	ds_write_b64 v53, v[55:56]
.LBB89_143:
	s_or_b32 exec_lo, exec_lo, s4
	s_waitcnt lgkmcnt(0)
	s_waitcnt_vscnt null, 0x0
	s_barrier
	buffer_gl0_inv
	s_clause 0x19
	buffer_load_dword v79, off, s[0:3], 0 offset:116
	buffer_load_dword v80, off, s[0:3], 0 offset:124
	;; [unrolled: 1-line block ×26, first 2 shown]
	ds_read_b128 v[55:58], v54 offset:320
	ds_read_b128 v[59:62], v54 offset:336
	;; [unrolled: 1-line block ×6, first 2 shown]
	s_mov_b32 s4, exec_lo
	s_waitcnt vmcnt(25) lgkmcnt(5)
	v_mul_f32_e32 v54, v55, v79
	v_mul_f32_e32 v79, v56, v79
	s_waitcnt vmcnt(24)
	v_mul_f32_e32 v105, v57, v80
	v_mul_f32_e32 v80, v58, v80
	s_waitcnt vmcnt(23) lgkmcnt(4)
	v_mul_f32_e32 v106, v59, v81
	s_waitcnt vmcnt(22)
	v_mul_f32_e32 v107, v61, v82
	s_waitcnt vmcnt(21) lgkmcnt(3)
	v_mul_f32_e32 v108, v63, v83
	s_waitcnt vmcnt(20)
	;; [unrolled: 4-line block ×4, first 2 shown]
	v_mul_f32_e32 v113, v73, v88
	s_waitcnt vmcnt(13)
	v_fma_f32 v55, v55, v91, -v79
	v_fmac_f32_e32 v54, v56, v91
	v_mul_f32_e32 v56, v60, v81
	s_waitcnt vmcnt(12)
	v_fma_f32 v57, v57, v92, -v80
	v_fmac_f32_e32 v105, v58, v92
	v_add_f32_e32 v55, 0, v55
	v_add_f32_e32 v54, 0, v54
	v_mul_f32_e32 v58, v62, v82
	s_waitcnt vmcnt(11)
	v_fma_f32 v56, v59, v93, -v56
	v_fmac_f32_e32 v106, v60, v93
	v_add_f32_e32 v55, v55, v57
	v_add_f32_e32 v54, v54, v105
	v_mul_f32_e32 v57, v64, v83
	s_waitcnt vmcnt(10)
	v_fma_f32 v58, v61, v94, -v58
	v_fmac_f32_e32 v107, v62, v94
	v_add_f32_e32 v55, v55, v56
	v_add_f32_e32 v54, v54, v106
	v_mul_f32_e32 v56, v66, v84
	s_waitcnt vmcnt(9)
	v_fma_f32 v57, v63, v95, -v57
	v_fmac_f32_e32 v108, v64, v95
	v_add_f32_e32 v55, v55, v58
	v_add_f32_e32 v54, v54, v107
	v_mul_f32_e32 v58, v68, v85
	s_waitcnt vmcnt(8)
	v_fma_f32 v56, v65, v96, -v56
	v_fmac_f32_e32 v109, v66, v96
	v_add_f32_e32 v55, v55, v57
	v_add_f32_e32 v54, v54, v108
	v_mul_f32_e32 v57, v70, v86
	s_waitcnt vmcnt(7)
	v_fma_f32 v58, v67, v97, -v58
	v_fmac_f32_e32 v110, v68, v97
	v_add_f32_e32 v55, v55, v56
	v_add_f32_e32 v54, v54, v109
	v_mul_f32_e32 v56, v72, v87
	s_waitcnt vmcnt(6)
	v_fma_f32 v57, v69, v98, -v57
	v_fmac_f32_e32 v111, v70, v98
	v_add_f32_e32 v55, v55, v58
	v_add_f32_e32 v54, v54, v110
	v_mul_f32_e32 v58, v74, v88
	s_waitcnt vmcnt(5)
	v_fma_f32 v56, v71, v99, -v56
	v_fmac_f32_e32 v112, v72, v99
	v_add_f32_e32 v55, v55, v57
	v_add_f32_e32 v54, v54, v111
	s_waitcnt lgkmcnt(0)
	v_mul_f32_e32 v57, v76, v89
	s_waitcnt vmcnt(4)
	v_fma_f32 v58, v73, v100, -v58
	v_mul_f32_e32 v114, v75, v89
	v_add_f32_e32 v55, v55, v56
	v_fmac_f32_e32 v113, v74, v100
	v_add_f32_e32 v54, v54, v112
	v_mul_f32_e32 v56, v78, v90
	s_waitcnt vmcnt(3)
	v_fma_f32 v57, v75, v101, -v57
	v_add_f32_e32 v55, v55, v58
	v_mul_f32_e32 v115, v77, v90
	v_fmac_f32_e32 v114, v76, v101
	v_add_f32_e32 v54, v54, v113
	s_waitcnt vmcnt(2)
	v_fma_f32 v56, v77, v102, -v56
	v_add_f32_e32 v55, v55, v57
	v_fmac_f32_e32 v115, v78, v102
	v_add_f32_e32 v54, v54, v114
	v_add_f32_e32 v55, v55, v56
	;; [unrolled: 1-line block ×3, first 2 shown]
	s_waitcnt vmcnt(1)
	v_sub_f32_e32 v55, v103, v55
	s_waitcnt vmcnt(0)
	v_sub_f32_e32 v54, v104, v54
	buffer_store_dword v55, off, s[0:3], 0 offset:104
	buffer_store_dword v54, off, s[0:3], 0 offset:108
	v_cmpx_lt_u32_e32 12, v0
	s_cbranch_execz .LBB89_145
; %bb.144:
	s_clause 0x1
	buffer_load_dword v54, off, s[0:3], 0 offset:96
	buffer_load_dword v55, off, s[0:3], 0 offset:100
	v_mov_b32_e32 v56, 0
	buffer_store_dword v56, off, s[0:3], 0 offset:96
	buffer_store_dword v56, off, s[0:3], 0 offset:100
	s_waitcnt vmcnt(0)
	ds_write_b64 v53, v[54:55]
.LBB89_145:
	s_or_b32 exec_lo, exec_lo, s4
	s_waitcnt lgkmcnt(0)
	s_waitcnt_vscnt null, 0x0
	s_barrier
	buffer_gl0_inv
	s_clause 0x1b
	buffer_load_dword v81, off, s[0:3], 0 offset:108
	buffer_load_dword v82, off, s[0:3], 0 offset:116
	;; [unrolled: 1-line block ×28, first 2 shown]
	v_mov_b32_e32 v54, 0
	ds_read2_b64 v[55:58], v54 offset0:39 offset1:40
	ds_read2_b64 v[59:62], v54 offset0:41 offset1:42
	;; [unrolled: 1-line block ×6, first 2 shown]
	ds_read_b64 v[79:80], v54 offset:408
	s_mov_b32 s4, exec_lo
	s_waitcnt vmcnt(27) lgkmcnt(6)
	v_mul_f32_e32 v109, v55, v81
	v_mul_f32_e32 v81, v56, v81
	s_waitcnt vmcnt(26)
	v_mul_f32_e32 v110, v57, v82
	v_mul_f32_e32 v82, v58, v82
	s_waitcnt vmcnt(25) lgkmcnt(5)
	v_mul_f32_e32 v111, v59, v83
	s_waitcnt vmcnt(24)
	v_mul_f32_e32 v112, v61, v84
	s_waitcnt vmcnt(23) lgkmcnt(4)
	v_mul_f32_e32 v113, v63, v85
	s_waitcnt vmcnt(22)
	;; [unrolled: 4-line block ×5, first 2 shown]
	v_fma_f32 v55, v55, v94, -v81
	v_fmac_f32_e32 v109, v56, v94
	v_mul_f32_e32 v56, v60, v83
	s_waitcnt vmcnt(13)
	v_fma_f32 v57, v57, v95, -v82
	v_fmac_f32_e32 v110, v58, v95
	v_add_f32_e32 v55, 0, v55
	v_add_f32_e32 v58, 0, v109
	v_mul_f32_e32 v81, v62, v84
	s_waitcnt vmcnt(12)
	v_fma_f32 v56, v59, v96, -v56
	v_fmac_f32_e32 v111, v60, v96
	v_add_f32_e32 v55, v55, v57
	v_add_f32_e32 v57, v58, v110
	;; [unrolled: 6-line block ×9, first 2 shown]
	v_mul_f32_e32 v57, v78, v92
	s_waitcnt vmcnt(4)
	v_fma_f32 v58, v75, v104, -v58
	v_mul_f32_e32 v120, v77, v92
	v_add_f32_e32 v55, v55, v59
	v_fmac_f32_e32 v119, v76, v104
	v_add_f32_e32 v56, v56, v118
	s_waitcnt lgkmcnt(0)
	v_mul_f32_e32 v59, v80, v93
	s_waitcnt vmcnt(3)
	v_fma_f32 v57, v77, v105, -v57
	v_add_f32_e32 v55, v55, v58
	v_mul_f32_e32 v121, v79, v93
	v_fmac_f32_e32 v120, v78, v105
	v_add_f32_e32 v56, v56, v119
	s_waitcnt vmcnt(2)
	v_fma_f32 v58, v79, v106, -v59
	v_add_f32_e32 v55, v55, v57
	v_fmac_f32_e32 v121, v80, v106
	v_add_f32_e32 v56, v56, v120
	v_add_f32_e32 v55, v55, v58
	;; [unrolled: 1-line block ×3, first 2 shown]
	s_waitcnt vmcnt(1)
	v_sub_f32_e32 v55, v107, v55
	s_waitcnt vmcnt(0)
	v_sub_f32_e32 v56, v108, v56
	buffer_store_dword v55, off, s[0:3], 0 offset:96
	buffer_store_dword v56, off, s[0:3], 0 offset:100
	v_cmpx_lt_u32_e32 11, v0
	s_cbranch_execz .LBB89_147
; %bb.146:
	s_clause 0x1
	buffer_load_dword v55, off, s[0:3], 0 offset:88
	buffer_load_dword v56, off, s[0:3], 0 offset:92
	buffer_store_dword v54, off, s[0:3], 0 offset:88
	buffer_store_dword v54, off, s[0:3], 0 offset:92
	s_waitcnt vmcnt(0)
	ds_write_b64 v53, v[55:56]
.LBB89_147:
	s_or_b32 exec_lo, exec_lo, s4
	s_waitcnt lgkmcnt(0)
	s_waitcnt_vscnt null, 0x0
	s_barrier
	buffer_gl0_inv
	s_clause 0x1d
	buffer_load_dword v83, off, s[0:3], 0 offset:100
	buffer_load_dword v84, off, s[0:3], 0 offset:108
	;; [unrolled: 1-line block ×30, first 2 shown]
	ds_read_b128 v[55:58], v54 offset:304
	ds_read_b128 v[59:62], v54 offset:320
	ds_read_b128 v[63:66], v54 offset:336
	ds_read_b128 v[67:70], v54 offset:352
	ds_read_b128 v[71:74], v54 offset:368
	ds_read_b128 v[75:78], v54 offset:384
	ds_read_b128 v[79:82], v54 offset:400
	s_mov_b32 s4, exec_lo
	s_waitcnt vmcnt(29) lgkmcnt(6)
	v_mul_f32_e32 v54, v55, v83
	v_mul_f32_e32 v83, v56, v83
	s_waitcnt vmcnt(28)
	v_mul_f32_e32 v113, v57, v84
	v_mul_f32_e32 v84, v58, v84
	s_waitcnt vmcnt(27) lgkmcnt(5)
	v_mul_f32_e32 v114, v59, v85
	s_waitcnt vmcnt(26)
	v_mul_f32_e32 v115, v61, v86
	s_waitcnt vmcnt(25) lgkmcnt(4)
	v_mul_f32_e32 v116, v63, v87
	s_waitcnt vmcnt(24)
	;; [unrolled: 4-line block ×5, first 2 shown]
	v_mul_f32_e32 v123, v77, v94
	s_waitcnt vmcnt(15)
	v_fma_f32 v55, v55, v97, -v83
	v_fmac_f32_e32 v54, v56, v97
	v_mul_f32_e32 v56, v60, v85
	s_waitcnt vmcnt(14)
	v_fma_f32 v57, v57, v98, -v84
	v_fmac_f32_e32 v113, v58, v98
	v_add_f32_e32 v55, 0, v55
	v_add_f32_e32 v54, 0, v54
	v_mul_f32_e32 v58, v62, v86
	s_waitcnt vmcnt(13)
	v_fma_f32 v56, v59, v99, -v56
	v_fmac_f32_e32 v114, v60, v99
	v_add_f32_e32 v55, v55, v57
	v_add_f32_e32 v54, v54, v113
	;; [unrolled: 6-line block ×10, first 2 shown]
	s_waitcnt lgkmcnt(0)
	v_mul_f32_e32 v58, v80, v95
	s_waitcnt vmcnt(4)
	v_fma_f32 v56, v77, v108, -v56
	v_mul_f32_e32 v124, v79, v95
	v_add_f32_e32 v55, v55, v57
	v_fmac_f32_e32 v123, v78, v108
	v_add_f32_e32 v54, v54, v122
	v_mul_f32_e32 v57, v82, v96
	s_waitcnt vmcnt(3)
	v_fma_f32 v58, v79, v109, -v58
	v_add_f32_e32 v55, v55, v56
	v_mul_f32_e32 v125, v81, v96
	v_fmac_f32_e32 v124, v80, v109
	v_add_f32_e32 v54, v54, v123
	s_waitcnt vmcnt(2)
	v_fma_f32 v56, v81, v110, -v57
	v_add_f32_e32 v55, v55, v58
	v_fmac_f32_e32 v125, v82, v110
	v_add_f32_e32 v54, v54, v124
	v_add_f32_e32 v55, v55, v56
	;; [unrolled: 1-line block ×3, first 2 shown]
	s_waitcnt vmcnt(1)
	v_sub_f32_e32 v55, v111, v55
	s_waitcnt vmcnt(0)
	v_sub_f32_e32 v54, v112, v54
	buffer_store_dword v55, off, s[0:3], 0 offset:88
	buffer_store_dword v54, off, s[0:3], 0 offset:92
	v_cmpx_lt_u32_e32 10, v0
	s_cbranch_execz .LBB89_149
; %bb.148:
	s_clause 0x1
	buffer_load_dword v54, off, s[0:3], 0 offset:80
	buffer_load_dword v55, off, s[0:3], 0 offset:84
	v_mov_b32_e32 v56, 0
	buffer_store_dword v56, off, s[0:3], 0 offset:80
	buffer_store_dword v56, off, s[0:3], 0 offset:84
	s_waitcnt vmcnt(0)
	ds_write_b64 v53, v[54:55]
.LBB89_149:
	s_or_b32 exec_lo, exec_lo, s4
	s_waitcnt lgkmcnt(0)
	s_waitcnt_vscnt null, 0x0
	s_barrier
	buffer_gl0_inv
	s_clause 0x1f
	buffer_load_dword v85, off, s[0:3], 0 offset:92
	buffer_load_dword v86, off, s[0:3], 0 offset:100
	buffer_load_dword v87, off, s[0:3], 0 offset:108
	buffer_load_dword v88, off, s[0:3], 0 offset:116
	buffer_load_dword v89, off, s[0:3], 0 offset:124
	buffer_load_dword v90, off, s[0:3], 0 offset:132
	buffer_load_dword v91, off, s[0:3], 0 offset:140
	buffer_load_dword v92, off, s[0:3], 0 offset:148
	buffer_load_dword v93, off, s[0:3], 0 offset:156
	buffer_load_dword v94, off, s[0:3], 0 offset:164
	buffer_load_dword v95, off, s[0:3], 0 offset:172
	buffer_load_dword v96, off, s[0:3], 0 offset:180
	buffer_load_dword v97, off, s[0:3], 0 offset:188
	buffer_load_dword v98, off, s[0:3], 0 offset:196
	buffer_load_dword v99, off, s[0:3], 0 offset:204
	buffer_load_dword v100, off, s[0:3], 0 offset:88
	buffer_load_dword v101, off, s[0:3], 0 offset:96
	buffer_load_dword v102, off, s[0:3], 0 offset:104
	buffer_load_dword v103, off, s[0:3], 0 offset:112
	buffer_load_dword v104, off, s[0:3], 0 offset:120
	buffer_load_dword v105, off, s[0:3], 0 offset:128
	buffer_load_dword v106, off, s[0:3], 0 offset:136
	buffer_load_dword v107, off, s[0:3], 0 offset:144
	buffer_load_dword v108, off, s[0:3], 0 offset:152
	buffer_load_dword v109, off, s[0:3], 0 offset:160
	buffer_load_dword v110, off, s[0:3], 0 offset:168
	buffer_load_dword v111, off, s[0:3], 0 offset:176
	buffer_load_dword v112, off, s[0:3], 0 offset:184
	buffer_load_dword v113, off, s[0:3], 0 offset:192
	buffer_load_dword v114, off, s[0:3], 0 offset:200
	buffer_load_dword v115, off, s[0:3], 0 offset:80
	buffer_load_dword v116, off, s[0:3], 0 offset:84
	v_mov_b32_e32 v54, 0
	ds_read2_b64 v[55:58], v54 offset0:37 offset1:38
	ds_read2_b64 v[59:62], v54 offset0:39 offset1:40
	ds_read2_b64 v[63:66], v54 offset0:41 offset1:42
	ds_read2_b64 v[67:70], v54 offset0:43 offset1:44
	ds_read2_b64 v[71:74], v54 offset0:45 offset1:46
	ds_read2_b64 v[75:78], v54 offset0:47 offset1:48
	ds_read2_b64 v[79:82], v54 offset0:49 offset1:50
	ds_read_b64 v[83:84], v54 offset:408
	s_mov_b32 s4, exec_lo
	s_waitcnt vmcnt(31) lgkmcnt(7)
	v_mul_f32_e32 v117, v55, v85
	v_mul_f32_e32 v85, v56, v85
	s_waitcnt vmcnt(30)
	v_mul_f32_e32 v118, v57, v86
	v_mul_f32_e32 v86, v58, v86
	s_waitcnt vmcnt(29) lgkmcnt(6)
	v_mul_f32_e32 v119, v59, v87
	s_waitcnt vmcnt(28)
	v_mul_f32_e32 v120, v61, v88
	s_waitcnt vmcnt(27) lgkmcnt(5)
	v_mul_f32_e32 v121, v63, v89
	s_waitcnt vmcnt(26)
	;; [unrolled: 4-line block ×6, first 2 shown]
	v_fma_f32 v55, v55, v100, -v85
	v_fmac_f32_e32 v117, v56, v100
	v_mul_f32_e32 v56, v60, v87
	s_waitcnt vmcnt(15)
	v_fma_f32 v57, v57, v101, -v86
	v_fmac_f32_e32 v118, v58, v101
	v_add_f32_e32 v55, 0, v55
	v_add_f32_e32 v58, 0, v117
	v_mul_f32_e32 v85, v62, v88
	s_waitcnt vmcnt(14)
	v_fma_f32 v56, v59, v102, -v56
	v_fmac_f32_e32 v119, v60, v102
	v_add_f32_e32 v55, v55, v57
	v_add_f32_e32 v57, v58, v118
	;; [unrolled: 6-line block ×11, first 2 shown]
	v_mul_f32_e32 v58, v82, v98
	s_waitcnt vmcnt(4)
	v_fma_f32 v59, v79, v112, -v59
	v_mul_f32_e32 v130, v81, v98
	v_add_f32_e32 v55, v55, v57
	v_fmac_f32_e32 v129, v80, v112
	v_add_f32_e32 v56, v56, v128
	s_waitcnt lgkmcnt(0)
	v_mul_f32_e32 v57, v84, v99
	s_waitcnt vmcnt(3)
	v_fma_f32 v58, v81, v113, -v58
	v_add_f32_e32 v55, v55, v59
	v_mul_f32_e32 v131, v83, v99
	v_fmac_f32_e32 v130, v82, v113
	v_add_f32_e32 v56, v56, v129
	s_waitcnt vmcnt(2)
	v_fma_f32 v57, v83, v114, -v57
	v_add_f32_e32 v55, v55, v58
	v_fmac_f32_e32 v131, v84, v114
	v_add_f32_e32 v56, v56, v130
	v_add_f32_e32 v55, v55, v57
	;; [unrolled: 1-line block ×3, first 2 shown]
	s_waitcnt vmcnt(1)
	v_sub_f32_e32 v55, v115, v55
	s_waitcnt vmcnt(0)
	v_sub_f32_e32 v56, v116, v56
	buffer_store_dword v55, off, s[0:3], 0 offset:80
	buffer_store_dword v56, off, s[0:3], 0 offset:84
	v_cmpx_lt_u32_e32 9, v0
	s_cbranch_execz .LBB89_151
; %bb.150:
	s_clause 0x1
	buffer_load_dword v55, off, s[0:3], 0 offset:72
	buffer_load_dword v56, off, s[0:3], 0 offset:76
	buffer_store_dword v54, off, s[0:3], 0 offset:72
	buffer_store_dword v54, off, s[0:3], 0 offset:76
	s_waitcnt vmcnt(0)
	ds_write_b64 v53, v[55:56]
.LBB89_151:
	s_or_b32 exec_lo, exec_lo, s4
	s_waitcnt lgkmcnt(0)
	s_waitcnt_vscnt null, 0x0
	s_barrier
	buffer_gl0_inv
	s_clause 0x21
	buffer_load_dword v87, off, s[0:3], 0 offset:84
	buffer_load_dword v88, off, s[0:3], 0 offset:92
	;; [unrolled: 1-line block ×34, first 2 shown]
	ds_read_b128 v[55:58], v54 offset:288
	ds_read_b128 v[59:62], v54 offset:304
	ds_read_b128 v[63:66], v54 offset:320
	ds_read_b128 v[67:70], v54 offset:336
	ds_read_b128 v[71:74], v54 offset:352
	ds_read_b128 v[75:78], v54 offset:368
	ds_read_b128 v[79:82], v54 offset:384
	ds_read_b128 v[83:86], v54 offset:400
	s_mov_b32 s4, exec_lo
	s_waitcnt vmcnt(33) lgkmcnt(7)
	v_mul_f32_e32 v54, v55, v87
	v_mul_f32_e32 v87, v56, v87
	s_waitcnt vmcnt(32)
	v_mul_f32_e32 v121, v57, v88
	v_mul_f32_e32 v88, v58, v88
	s_waitcnt vmcnt(31) lgkmcnt(6)
	v_mul_f32_e32 v122, v59, v89
	s_waitcnt vmcnt(30)
	v_mul_f32_e32 v123, v61, v90
	s_waitcnt vmcnt(29) lgkmcnt(5)
	v_mul_f32_e32 v124, v63, v91
	s_waitcnt vmcnt(28)
	v_mul_f32_e32 v125, v65, v92
	s_waitcnt vmcnt(27) lgkmcnt(4)
	v_mul_f32_e32 v126, v67, v93
	s_waitcnt vmcnt(26)
	v_mul_f32_e32 v127, v69, v94
	s_waitcnt vmcnt(25) lgkmcnt(3)
	v_mul_f32_e32 v128, v71, v95
	s_waitcnt vmcnt(24)
	v_mul_f32_e32 v129, v73, v96
	s_waitcnt vmcnt(23) lgkmcnt(2)
	v_mul_f32_e32 v130, v75, v97
	s_waitcnt vmcnt(22)
	v_mul_f32_e32 v131, v77, v98
	s_waitcnt vmcnt(21) lgkmcnt(1)
	v_mul_f32_e32 v132, v79, v99
	s_waitcnt vmcnt(20)
	v_mul_f32_e32 v133, v81, v100
	s_waitcnt vmcnt(17)
	v_fma_f32 v55, v55, v103, -v87
	v_fmac_f32_e32 v54, v56, v103
	v_mul_f32_e32 v56, v60, v89
	s_waitcnt vmcnt(16)
	v_fma_f32 v57, v57, v104, -v88
	v_fmac_f32_e32 v121, v58, v104
	v_add_f32_e32 v55, 0, v55
	v_add_f32_e32 v54, 0, v54
	v_mul_f32_e32 v58, v62, v90
	s_waitcnt vmcnt(15)
	v_fma_f32 v56, v59, v105, -v56
	v_fmac_f32_e32 v122, v60, v105
	v_add_f32_e32 v55, v55, v57
	v_add_f32_e32 v54, v54, v121
	;; [unrolled: 6-line block ×12, first 2 shown]
	s_waitcnt lgkmcnt(0)
	v_mul_f32_e32 v56, v84, v101
	s_waitcnt vmcnt(4)
	v_fma_f32 v57, v81, v116, -v57
	v_mul_f32_e32 v134, v83, v101
	v_add_f32_e32 v55, v55, v58
	v_fmac_f32_e32 v133, v82, v116
	v_add_f32_e32 v54, v54, v132
	v_mul_f32_e32 v58, v86, v102
	s_waitcnt vmcnt(3)
	v_fma_f32 v56, v83, v117, -v56
	v_add_f32_e32 v55, v55, v57
	v_mul_f32_e32 v135, v85, v102
	v_fmac_f32_e32 v134, v84, v117
	v_add_f32_e32 v54, v54, v133
	s_waitcnt vmcnt(2)
	v_fma_f32 v57, v85, v118, -v58
	v_add_f32_e32 v55, v55, v56
	v_fmac_f32_e32 v135, v86, v118
	v_add_f32_e32 v54, v54, v134
	v_add_f32_e32 v55, v55, v57
	;; [unrolled: 1-line block ×3, first 2 shown]
	s_waitcnt vmcnt(1)
	v_sub_f32_e32 v55, v119, v55
	s_waitcnt vmcnt(0)
	v_sub_f32_e32 v54, v120, v54
	buffer_store_dword v55, off, s[0:3], 0 offset:72
	buffer_store_dword v54, off, s[0:3], 0 offset:76
	v_cmpx_lt_u32_e32 8, v0
	s_cbranch_execz .LBB89_153
; %bb.152:
	s_clause 0x1
	buffer_load_dword v54, off, s[0:3], 0 offset:64
	buffer_load_dword v55, off, s[0:3], 0 offset:68
	v_mov_b32_e32 v56, 0
	buffer_store_dword v56, off, s[0:3], 0 offset:64
	buffer_store_dword v56, off, s[0:3], 0 offset:68
	s_waitcnt vmcnt(0)
	ds_write_b64 v53, v[54:55]
.LBB89_153:
	s_or_b32 exec_lo, exec_lo, s4
	s_waitcnt lgkmcnt(0)
	s_waitcnt_vscnt null, 0x0
	s_barrier
	buffer_gl0_inv
	s_clause 0x23
	buffer_load_dword v89, off, s[0:3], 0 offset:76
	buffer_load_dword v90, off, s[0:3], 0 offset:84
	;; [unrolled: 1-line block ×36, first 2 shown]
	v_mov_b32_e32 v54, 0
	ds_read2_b64 v[55:58], v54 offset0:35 offset1:36
	ds_read2_b64 v[59:62], v54 offset0:37 offset1:38
	;; [unrolled: 1-line block ×8, first 2 shown]
	ds_read_b64 v[87:88], v54 offset:408
	s_mov_b32 s4, exec_lo
	s_waitcnt vmcnt(35) lgkmcnt(8)
	v_mul_f32_e32 v125, v55, v89
	v_mul_f32_e32 v89, v56, v89
	s_waitcnt vmcnt(34)
	v_mul_f32_e32 v126, v57, v90
	v_mul_f32_e32 v90, v58, v90
	s_waitcnt vmcnt(33) lgkmcnt(7)
	v_mul_f32_e32 v127, v59, v91
	s_waitcnt vmcnt(32)
	v_mul_f32_e32 v128, v61, v92
	s_waitcnt vmcnt(31) lgkmcnt(6)
	v_mul_f32_e32 v129, v63, v93
	s_waitcnt vmcnt(30)
	;; [unrolled: 4-line block ×7, first 2 shown]
	v_fma_f32 v55, v55, v106, -v89
	v_fmac_f32_e32 v125, v56, v106
	v_mul_f32_e32 v56, v60, v91
	s_waitcnt vmcnt(17)
	v_fma_f32 v57, v57, v107, -v90
	v_fmac_f32_e32 v126, v58, v107
	v_add_f32_e32 v55, 0, v55
	v_add_f32_e32 v58, 0, v125
	v_mul_f32_e32 v89, v62, v92
	s_waitcnt vmcnt(16)
	v_fma_f32 v56, v59, v108, -v56
	v_fmac_f32_e32 v127, v60, v108
	v_add_f32_e32 v55, v55, v57
	v_add_f32_e32 v57, v58, v126
	;; [unrolled: 6-line block ×13, first 2 shown]
	v_mul_f32_e32 v59, v86, v104
	s_waitcnt vmcnt(4)
	v_fma_f32 v57, v83, v120, -v57
	v_mul_f32_e32 v140, v85, v104
	v_add_f32_e32 v55, v55, v58
	v_fmac_f32_e32 v139, v84, v120
	v_add_f32_e32 v56, v56, v138
	s_waitcnt lgkmcnt(0)
	v_mul_f32_e32 v58, v88, v105
	s_waitcnt vmcnt(3)
	v_fma_f32 v59, v85, v121, -v59
	v_add_f32_e32 v55, v55, v57
	v_mul_f32_e32 v141, v87, v105
	v_fmac_f32_e32 v140, v86, v121
	v_add_f32_e32 v56, v56, v139
	s_waitcnt vmcnt(2)
	v_fma_f32 v57, v87, v122, -v58
	v_add_f32_e32 v55, v55, v59
	v_fmac_f32_e32 v141, v88, v122
	v_add_f32_e32 v56, v56, v140
	v_add_f32_e32 v55, v55, v57
	;; [unrolled: 1-line block ×3, first 2 shown]
	s_waitcnt vmcnt(1)
	v_sub_f32_e32 v55, v123, v55
	s_waitcnt vmcnt(0)
	v_sub_f32_e32 v56, v124, v56
	buffer_store_dword v55, off, s[0:3], 0 offset:64
	buffer_store_dword v56, off, s[0:3], 0 offset:68
	v_cmpx_lt_u32_e32 7, v0
	s_cbranch_execz .LBB89_155
; %bb.154:
	s_clause 0x1
	buffer_load_dword v55, off, s[0:3], 0 offset:56
	buffer_load_dword v56, off, s[0:3], 0 offset:60
	buffer_store_dword v54, off, s[0:3], 0 offset:56
	buffer_store_dword v54, off, s[0:3], 0 offset:60
	s_waitcnt vmcnt(0)
	ds_write_b64 v53, v[55:56]
.LBB89_155:
	s_or_b32 exec_lo, exec_lo, s4
	s_waitcnt lgkmcnt(0)
	s_waitcnt_vscnt null, 0x0
	s_barrier
	buffer_gl0_inv
	s_clause 0x25
	buffer_load_dword v91, off, s[0:3], 0 offset:68
	buffer_load_dword v92, off, s[0:3], 0 offset:76
	;; [unrolled: 1-line block ×38, first 2 shown]
	ds_read_b128 v[55:58], v54 offset:272
	ds_read_b128 v[59:62], v54 offset:288
	;; [unrolled: 1-line block ×9, first 2 shown]
	s_mov_b32 s4, exec_lo
	s_waitcnt vmcnt(37) lgkmcnt(8)
	v_mul_f32_e32 v54, v55, v91
	v_mul_f32_e32 v91, v56, v91
	s_waitcnt vmcnt(36)
	v_mul_f32_e32 v129, v57, v92
	v_mul_f32_e32 v92, v58, v92
	s_waitcnt vmcnt(35) lgkmcnt(7)
	v_mul_f32_e32 v130, v59, v93
	s_waitcnt vmcnt(34)
	v_mul_f32_e32 v131, v61, v94
	s_waitcnt vmcnt(33) lgkmcnt(6)
	v_mul_f32_e32 v132, v63, v95
	s_waitcnt vmcnt(32)
	;; [unrolled: 4-line block ×7, first 2 shown]
	v_mul_f32_e32 v143, v85, v106
	s_waitcnt vmcnt(19)
	v_fma_f32 v55, v55, v109, -v91
	v_fmac_f32_e32 v54, v56, v109
	v_mul_f32_e32 v56, v60, v93
	s_waitcnt vmcnt(18)
	v_fma_f32 v57, v57, v110, -v92
	v_fmac_f32_e32 v129, v58, v110
	v_add_f32_e32 v55, 0, v55
	v_add_f32_e32 v54, 0, v54
	v_mul_f32_e32 v58, v62, v94
	s_waitcnt vmcnt(17)
	v_fma_f32 v56, v59, v111, -v56
	v_fmac_f32_e32 v130, v60, v111
	v_add_f32_e32 v55, v55, v57
	v_add_f32_e32 v54, v54, v129
	;; [unrolled: 6-line block ×14, first 2 shown]
	s_waitcnt lgkmcnt(0)
	v_mul_f32_e32 v57, v88, v107
	s_waitcnt vmcnt(4)
	v_fma_f32 v58, v85, v124, -v58
	v_mul_f32_e32 v144, v87, v107
	v_add_f32_e32 v55, v55, v56
	v_fmac_f32_e32 v143, v86, v124
	v_add_f32_e32 v54, v54, v142
	v_mul_f32_e32 v56, v90, v108
	s_waitcnt vmcnt(3)
	v_fma_f32 v57, v87, v125, -v57
	v_add_f32_e32 v55, v55, v58
	v_mul_f32_e32 v145, v89, v108
	v_fmac_f32_e32 v144, v88, v125
	v_add_f32_e32 v54, v54, v143
	s_waitcnt vmcnt(2)
	v_fma_f32 v56, v89, v126, -v56
	v_add_f32_e32 v55, v55, v57
	v_fmac_f32_e32 v145, v90, v126
	v_add_f32_e32 v54, v54, v144
	v_add_f32_e32 v55, v55, v56
	v_add_f32_e32 v54, v54, v145
	s_waitcnt vmcnt(1)
	v_sub_f32_e32 v55, v127, v55
	s_waitcnt vmcnt(0)
	v_sub_f32_e32 v54, v128, v54
	buffer_store_dword v55, off, s[0:3], 0 offset:56
	buffer_store_dword v54, off, s[0:3], 0 offset:60
	v_cmpx_lt_u32_e32 6, v0
	s_cbranch_execz .LBB89_157
; %bb.156:
	s_clause 0x1
	buffer_load_dword v54, off, s[0:3], 0 offset:48
	buffer_load_dword v55, off, s[0:3], 0 offset:52
	v_mov_b32_e32 v56, 0
	buffer_store_dword v56, off, s[0:3], 0 offset:48
	buffer_store_dword v56, off, s[0:3], 0 offset:52
	s_waitcnt vmcnt(0)
	ds_write_b64 v53, v[54:55]
.LBB89_157:
	s_or_b32 exec_lo, exec_lo, s4
	s_waitcnt lgkmcnt(0)
	s_waitcnt_vscnt null, 0x0
	s_barrier
	buffer_gl0_inv
	s_clause 0x27
	buffer_load_dword v93, off, s[0:3], 0 offset:60
	buffer_load_dword v94, off, s[0:3], 0 offset:68
	;; [unrolled: 1-line block ×40, first 2 shown]
	v_mov_b32_e32 v54, 0
	ds_read2_b64 v[55:58], v54 offset0:33 offset1:34
	ds_read2_b64 v[59:62], v54 offset0:35 offset1:36
	;; [unrolled: 1-line block ×9, first 2 shown]
	ds_read_b64 v[91:92], v54 offset:408
	s_mov_b32 s4, exec_lo
	s_waitcnt vmcnt(39) lgkmcnt(9)
	v_mul_f32_e32 v133, v55, v93
	v_mul_f32_e32 v93, v56, v93
	s_waitcnt vmcnt(38)
	v_mul_f32_e32 v134, v57, v94
	v_mul_f32_e32 v94, v58, v94
	s_waitcnt vmcnt(37) lgkmcnt(8)
	v_mul_f32_e32 v135, v59, v95
	s_waitcnt vmcnt(36)
	v_mul_f32_e32 v136, v61, v96
	s_waitcnt vmcnt(35) lgkmcnt(7)
	v_mul_f32_e32 v137, v63, v97
	s_waitcnt vmcnt(34)
	;; [unrolled: 4-line block ×8, first 2 shown]
	v_fma_f32 v55, v55, v112, -v93
	v_fmac_f32_e32 v133, v56, v112
	v_mul_f32_e32 v56, v60, v95
	s_waitcnt vmcnt(19)
	v_fma_f32 v57, v57, v113, -v94
	v_fmac_f32_e32 v134, v58, v113
	v_add_f32_e32 v55, 0, v55
	v_add_f32_e32 v58, 0, v133
	v_mul_f32_e32 v93, v62, v96
	s_waitcnt vmcnt(18)
	v_fma_f32 v56, v59, v114, -v56
	v_fmac_f32_e32 v135, v60, v114
	v_add_f32_e32 v55, v55, v57
	v_add_f32_e32 v57, v58, v134
	;; [unrolled: 6-line block ×15, first 2 shown]
	v_mul_f32_e32 v57, v90, v110
	s_waitcnt vmcnt(4)
	v_fma_f32 v58, v87, v128, -v58
	v_mul_f32_e32 v150, v89, v110
	v_add_f32_e32 v55, v55, v59
	v_fmac_f32_e32 v149, v88, v128
	v_add_f32_e32 v56, v56, v148
	s_waitcnt lgkmcnt(0)
	v_mul_f32_e32 v59, v92, v111
	s_waitcnt vmcnt(3)
	v_fma_f32 v57, v89, v129, -v57
	v_add_f32_e32 v55, v55, v58
	v_mul_f32_e32 v151, v91, v111
	v_fmac_f32_e32 v150, v90, v129
	v_add_f32_e32 v56, v56, v149
	s_waitcnt vmcnt(2)
	v_fma_f32 v58, v91, v130, -v59
	v_add_f32_e32 v55, v55, v57
	v_fmac_f32_e32 v151, v92, v130
	v_add_f32_e32 v56, v56, v150
	v_add_f32_e32 v55, v55, v58
	;; [unrolled: 1-line block ×3, first 2 shown]
	s_waitcnt vmcnt(1)
	v_sub_f32_e32 v55, v131, v55
	s_waitcnt vmcnt(0)
	v_sub_f32_e32 v56, v132, v56
	buffer_store_dword v55, off, s[0:3], 0 offset:48
	buffer_store_dword v56, off, s[0:3], 0 offset:52
	v_cmpx_lt_u32_e32 5, v0
	s_cbranch_execz .LBB89_159
; %bb.158:
	s_clause 0x1
	buffer_load_dword v55, off, s[0:3], 0 offset:40
	buffer_load_dword v56, off, s[0:3], 0 offset:44
	buffer_store_dword v54, off, s[0:3], 0 offset:40
	buffer_store_dword v54, off, s[0:3], 0 offset:44
	s_waitcnt vmcnt(0)
	ds_write_b64 v53, v[55:56]
.LBB89_159:
	s_or_b32 exec_lo, exec_lo, s4
	s_waitcnt lgkmcnt(0)
	s_waitcnt_vscnt null, 0x0
	s_barrier
	buffer_gl0_inv
	s_clause 0x29
	buffer_load_dword v95, off, s[0:3], 0 offset:52
	buffer_load_dword v96, off, s[0:3], 0 offset:60
	;; [unrolled: 1-line block ×42, first 2 shown]
	ds_read_b128 v[55:58], v54 offset:256
	ds_read_b128 v[59:62], v54 offset:272
	;; [unrolled: 1-line block ×10, first 2 shown]
	s_mov_b32 s4, exec_lo
	s_waitcnt vmcnt(41) lgkmcnt(9)
	v_mul_f32_e32 v54, v55, v95
	v_mul_f32_e32 v95, v56, v95
	s_waitcnt vmcnt(40)
	v_mul_f32_e32 v137, v57, v96
	v_mul_f32_e32 v96, v58, v96
	s_waitcnt vmcnt(39) lgkmcnt(8)
	v_mul_f32_e32 v138, v59, v97
	s_waitcnt vmcnt(38)
	v_mul_f32_e32 v139, v61, v98
	s_waitcnt vmcnt(37) lgkmcnt(7)
	v_mul_f32_e32 v140, v63, v99
	s_waitcnt vmcnt(36)
	v_mul_f32_e32 v141, v65, v100
	s_waitcnt vmcnt(35) lgkmcnt(6)
	v_mul_f32_e32 v142, v67, v101
	s_waitcnt vmcnt(34)
	v_mul_f32_e32 v143, v69, v102
	s_waitcnt vmcnt(33) lgkmcnt(5)
	v_mul_f32_e32 v144, v71, v103
	s_waitcnt vmcnt(32)
	v_mul_f32_e32 v145, v73, v104
	s_waitcnt vmcnt(31) lgkmcnt(4)
	v_mul_f32_e32 v146, v75, v105
	s_waitcnt vmcnt(30)
	v_mul_f32_e32 v147, v77, v106
	s_waitcnt vmcnt(29) lgkmcnt(3)
	v_mul_f32_e32 v148, v79, v107
	s_waitcnt vmcnt(28)
	v_mul_f32_e32 v149, v81, v108
	s_waitcnt vmcnt(27) lgkmcnt(2)
	v_mul_f32_e32 v150, v83, v109
	s_waitcnt vmcnt(26)
	v_mul_f32_e32 v151, v85, v110
	s_waitcnt vmcnt(25) lgkmcnt(1)
	v_mul_f32_e32 v152, v87, v111
	s_waitcnt vmcnt(24)
	v_mul_f32_e32 v153, v89, v112
	s_waitcnt vmcnt(21)
	v_fma_f32 v55, v55, v115, -v95
	v_fmac_f32_e32 v54, v56, v115
	v_mul_f32_e32 v56, v60, v97
	s_waitcnt vmcnt(20)
	v_fma_f32 v57, v57, v116, -v96
	v_fmac_f32_e32 v137, v58, v116
	v_add_f32_e32 v55, 0, v55
	v_add_f32_e32 v54, 0, v54
	v_mul_f32_e32 v58, v62, v98
	s_waitcnt vmcnt(19)
	v_fma_f32 v56, v59, v117, -v56
	v_fmac_f32_e32 v138, v60, v117
	v_add_f32_e32 v55, v55, v57
	v_add_f32_e32 v54, v54, v137
	;; [unrolled: 6-line block ×16, first 2 shown]
	s_waitcnt lgkmcnt(0)
	v_mul_f32_e32 v58, v92, v113
	s_waitcnt vmcnt(4)
	v_fma_f32 v56, v89, v132, -v56
	v_mul_f32_e32 v154, v91, v113
	v_add_f32_e32 v55, v55, v57
	v_fmac_f32_e32 v153, v90, v132
	v_add_f32_e32 v54, v54, v152
	v_mul_f32_e32 v57, v94, v114
	s_waitcnt vmcnt(3)
	v_fma_f32 v58, v91, v133, -v58
	v_add_f32_e32 v55, v55, v56
	v_mul_f32_e32 v155, v93, v114
	v_fmac_f32_e32 v154, v92, v133
	v_add_f32_e32 v54, v54, v153
	s_waitcnt vmcnt(2)
	v_fma_f32 v56, v93, v134, -v57
	v_add_f32_e32 v55, v55, v58
	v_fmac_f32_e32 v155, v94, v134
	v_add_f32_e32 v54, v54, v154
	v_add_f32_e32 v55, v55, v56
	;; [unrolled: 1-line block ×3, first 2 shown]
	s_waitcnt vmcnt(1)
	v_sub_f32_e32 v55, v135, v55
	s_waitcnt vmcnt(0)
	v_sub_f32_e32 v54, v136, v54
	buffer_store_dword v55, off, s[0:3], 0 offset:40
	buffer_store_dword v54, off, s[0:3], 0 offset:44
	v_cmpx_lt_u32_e32 4, v0
	s_cbranch_execz .LBB89_161
; %bb.160:
	s_clause 0x1
	buffer_load_dword v54, off, s[0:3], 0 offset:32
	buffer_load_dword v55, off, s[0:3], 0 offset:36
	v_mov_b32_e32 v56, 0
	buffer_store_dword v56, off, s[0:3], 0 offset:32
	buffer_store_dword v56, off, s[0:3], 0 offset:36
	s_waitcnt vmcnt(0)
	ds_write_b64 v53, v[54:55]
.LBB89_161:
	s_or_b32 exec_lo, exec_lo, s4
	s_waitcnt lgkmcnt(0)
	s_waitcnt_vscnt null, 0x0
	s_barrier
	buffer_gl0_inv
	s_clause 0x2b
	buffer_load_dword v97, off, s[0:3], 0 offset:44
	buffer_load_dword v98, off, s[0:3], 0 offset:52
	;; [unrolled: 1-line block ×44, first 2 shown]
	v_mov_b32_e32 v54, 0
	ds_read2_b64 v[55:58], v54 offset0:31 offset1:32
	ds_read2_b64 v[59:62], v54 offset0:33 offset1:34
	;; [unrolled: 1-line block ×10, first 2 shown]
	ds_read_b64 v[95:96], v54 offset:408
	s_mov_b32 s4, exec_lo
	s_waitcnt vmcnt(43) lgkmcnt(10)
	v_mul_f32_e32 v141, v55, v97
	v_mul_f32_e32 v97, v56, v97
	s_waitcnt vmcnt(42)
	v_mul_f32_e32 v142, v57, v98
	v_mul_f32_e32 v98, v58, v98
	s_waitcnt vmcnt(41) lgkmcnt(9)
	v_mul_f32_e32 v143, v59, v99
	s_waitcnt vmcnt(40)
	v_mul_f32_e32 v144, v61, v100
	s_waitcnt vmcnt(39) lgkmcnt(8)
	v_mul_f32_e32 v145, v63, v101
	s_waitcnt vmcnt(38)
	;; [unrolled: 4-line block ×9, first 2 shown]
	v_fma_f32 v55, v55, v118, -v97
	v_fmac_f32_e32 v141, v56, v118
	v_mul_f32_e32 v56, v60, v99
	s_waitcnt vmcnt(21)
	v_fma_f32 v57, v57, v119, -v98
	v_fmac_f32_e32 v142, v58, v119
	v_add_f32_e32 v55, 0, v55
	v_add_f32_e32 v58, 0, v141
	v_mul_f32_e32 v97, v62, v100
	s_waitcnt vmcnt(20)
	v_fma_f32 v56, v59, v120, -v56
	v_fmac_f32_e32 v143, v60, v120
	v_add_f32_e32 v55, v55, v57
	v_add_f32_e32 v57, v58, v142
	v_mul_f32_e32 v58, v64, v101
	s_waitcnt vmcnt(19)
	v_fma_f32 v59, v61, v121, -v97
	v_fmac_f32_e32 v144, v62, v121
	v_add_f32_e32 v55, v55, v56
	v_add_f32_e32 v56, v57, v143
	v_mul_f32_e32 v57, v66, v102
	s_waitcnt vmcnt(18)
	v_fma_f32 v58, v63, v122, -v58
	v_fmac_f32_e32 v145, v64, v122
	v_add_f32_e32 v55, v55, v59
	v_add_f32_e32 v56, v56, v144
	v_mul_f32_e32 v59, v68, v103
	s_waitcnt vmcnt(17)
	v_fma_f32 v57, v65, v123, -v57
	v_fmac_f32_e32 v146, v66, v123
	v_add_f32_e32 v55, v55, v58
	v_add_f32_e32 v56, v56, v145
	v_mul_f32_e32 v58, v70, v104
	s_waitcnt vmcnt(16)
	v_fma_f32 v59, v67, v124, -v59
	v_fmac_f32_e32 v147, v68, v124
	v_add_f32_e32 v55, v55, v57
	v_add_f32_e32 v56, v56, v146
	v_mul_f32_e32 v57, v72, v105
	s_waitcnt vmcnt(15)
	v_fma_f32 v58, v69, v125, -v58
	v_fmac_f32_e32 v148, v70, v125
	v_add_f32_e32 v55, v55, v59
	v_add_f32_e32 v56, v56, v147
	v_mul_f32_e32 v59, v74, v106
	s_waitcnt vmcnt(14)
	v_fma_f32 v57, v71, v126, -v57
	v_fmac_f32_e32 v149, v72, v126
	v_add_f32_e32 v55, v55, v58
	v_add_f32_e32 v56, v56, v148
	v_mul_f32_e32 v58, v76, v107
	s_waitcnt vmcnt(13)
	v_fma_f32 v59, v73, v127, -v59
	v_fmac_f32_e32 v150, v74, v127
	v_add_f32_e32 v55, v55, v57
	v_add_f32_e32 v56, v56, v149
	v_mul_f32_e32 v57, v78, v108
	s_waitcnt vmcnt(12)
	v_fma_f32 v58, v75, v128, -v58
	v_fmac_f32_e32 v151, v76, v128
	v_add_f32_e32 v55, v55, v59
	v_add_f32_e32 v56, v56, v150
	v_mul_f32_e32 v59, v80, v109
	s_waitcnt vmcnt(11)
	v_fma_f32 v57, v77, v129, -v57
	v_fmac_f32_e32 v152, v78, v129
	v_add_f32_e32 v55, v55, v58
	v_add_f32_e32 v56, v56, v151
	v_mul_f32_e32 v58, v82, v110
	s_waitcnt vmcnt(10)
	v_fma_f32 v59, v79, v130, -v59
	v_fmac_f32_e32 v153, v80, v130
	v_add_f32_e32 v55, v55, v57
	v_add_f32_e32 v56, v56, v152
	v_mul_f32_e32 v57, v84, v111
	s_waitcnt vmcnt(9)
	v_fma_f32 v58, v81, v131, -v58
	v_fmac_f32_e32 v154, v82, v131
	v_add_f32_e32 v55, v55, v59
	v_add_f32_e32 v56, v56, v153
	v_mul_f32_e32 v59, v86, v112
	s_waitcnt vmcnt(8)
	v_fma_f32 v57, v83, v132, -v57
	v_fmac_f32_e32 v155, v84, v132
	v_add_f32_e32 v55, v55, v58
	v_add_f32_e32 v56, v56, v154
	v_mul_f32_e32 v58, v88, v113
	s_waitcnt vmcnt(7)
	v_fma_f32 v59, v85, v133, -v59
	v_fmac_f32_e32 v156, v86, v133
	v_add_f32_e32 v55, v55, v57
	v_add_f32_e32 v56, v56, v155
	v_mul_f32_e32 v57, v90, v114
	s_waitcnt vmcnt(6)
	v_fma_f32 v58, v87, v134, -v58
	v_fmac_f32_e32 v157, v88, v134
	v_add_f32_e32 v55, v55, v59
	v_add_f32_e32 v56, v56, v156
	v_mul_f32_e32 v59, v92, v115
	s_waitcnt vmcnt(5)
	v_fma_f32 v57, v89, v135, -v57
	v_fmac_f32_e32 v158, v90, v135
	v_add_f32_e32 v55, v55, v58
	v_add_f32_e32 v56, v56, v157
	v_mul_f32_e32 v58, v94, v116
	s_waitcnt vmcnt(4)
	v_fma_f32 v59, v91, v136, -v59
	v_mul_f32_e32 v160, v93, v116
	v_add_f32_e32 v55, v55, v57
	v_fmac_f32_e32 v159, v92, v136
	v_add_f32_e32 v56, v56, v158
	s_waitcnt lgkmcnt(0)
	v_mul_f32_e32 v57, v96, v117
	s_waitcnt vmcnt(3)
	v_fma_f32 v58, v93, v137, -v58
	v_add_f32_e32 v55, v55, v59
	v_mul_f32_e32 v161, v95, v117
	v_fmac_f32_e32 v160, v94, v137
	v_add_f32_e32 v56, v56, v159
	s_waitcnt vmcnt(2)
	v_fma_f32 v57, v95, v138, -v57
	v_add_f32_e32 v55, v55, v58
	v_fmac_f32_e32 v161, v96, v138
	v_add_f32_e32 v56, v56, v160
	v_add_f32_e32 v55, v55, v57
	;; [unrolled: 1-line block ×3, first 2 shown]
	s_waitcnt vmcnt(1)
	v_sub_f32_e32 v55, v139, v55
	s_waitcnt vmcnt(0)
	v_sub_f32_e32 v56, v140, v56
	buffer_store_dword v55, off, s[0:3], 0 offset:32
	buffer_store_dword v56, off, s[0:3], 0 offset:36
	v_cmpx_lt_u32_e32 3, v0
	s_cbranch_execz .LBB89_163
; %bb.162:
	s_clause 0x1
	buffer_load_dword v55, off, s[0:3], 0 offset:24
	buffer_load_dword v56, off, s[0:3], 0 offset:28
	buffer_store_dword v54, off, s[0:3], 0 offset:24
	buffer_store_dword v54, off, s[0:3], 0 offset:28
	s_waitcnt vmcnt(0)
	ds_write_b64 v53, v[55:56]
.LBB89_163:
	s_or_b32 exec_lo, exec_lo, s4
	s_waitcnt lgkmcnt(0)
	s_waitcnt_vscnt null, 0x0
	s_barrier
	buffer_gl0_inv
	s_clause 0x2d
	buffer_load_dword v99, off, s[0:3], 0 offset:36
	buffer_load_dword v100, off, s[0:3], 0 offset:44
	;; [unrolled: 1-line block ×46, first 2 shown]
	ds_read_b128 v[55:58], v54 offset:240
	ds_read_b128 v[59:62], v54 offset:256
	;; [unrolled: 1-line block ×11, first 2 shown]
	s_mov_b32 s4, exec_lo
	s_waitcnt vmcnt(45) lgkmcnt(10)
	v_mul_f32_e32 v54, v55, v99
	v_mul_f32_e32 v99, v56, v99
	s_waitcnt vmcnt(44)
	v_mul_f32_e32 v145, v57, v100
	v_mul_f32_e32 v100, v58, v100
	s_waitcnt vmcnt(43) lgkmcnt(9)
	v_mul_f32_e32 v146, v59, v101
	s_waitcnt vmcnt(42)
	v_mul_f32_e32 v147, v61, v102
	s_waitcnt vmcnt(41) lgkmcnt(8)
	v_mul_f32_e32 v148, v63, v103
	s_waitcnt vmcnt(40)
	;; [unrolled: 4-line block ×9, first 2 shown]
	v_mul_f32_e32 v163, v93, v118
	s_waitcnt vmcnt(23)
	v_fma_f32 v55, v55, v121, -v99
	v_fmac_f32_e32 v54, v56, v121
	v_mul_f32_e32 v56, v60, v101
	s_waitcnt vmcnt(22)
	v_fma_f32 v57, v57, v122, -v100
	v_fmac_f32_e32 v145, v58, v122
	v_add_f32_e32 v55, 0, v55
	v_add_f32_e32 v54, 0, v54
	v_mul_f32_e32 v58, v62, v102
	s_waitcnt vmcnt(21)
	v_fma_f32 v56, v59, v123, -v56
	v_fmac_f32_e32 v146, v60, v123
	v_add_f32_e32 v55, v55, v57
	v_add_f32_e32 v54, v54, v145
	;; [unrolled: 6-line block ×18, first 2 shown]
	s_waitcnt lgkmcnt(0)
	v_mul_f32_e32 v56, v96, v119
	s_waitcnt vmcnt(4)
	v_fma_f32 v57, v93, v140, -v57
	v_mul_f32_e32 v164, v95, v119
	v_add_f32_e32 v55, v55, v58
	v_fmac_f32_e32 v163, v94, v140
	v_add_f32_e32 v54, v54, v162
	v_mul_f32_e32 v58, v98, v120
	s_waitcnt vmcnt(3)
	v_fma_f32 v56, v95, v141, -v56
	v_add_f32_e32 v55, v55, v57
	v_mul_f32_e32 v165, v97, v120
	v_fmac_f32_e32 v164, v96, v141
	v_add_f32_e32 v54, v54, v163
	s_waitcnt vmcnt(2)
	v_fma_f32 v57, v97, v142, -v58
	v_add_f32_e32 v55, v55, v56
	v_fmac_f32_e32 v165, v98, v142
	v_add_f32_e32 v54, v54, v164
	v_add_f32_e32 v55, v55, v57
	;; [unrolled: 1-line block ×3, first 2 shown]
	s_waitcnt vmcnt(1)
	v_sub_f32_e32 v55, v143, v55
	s_waitcnt vmcnt(0)
	v_sub_f32_e32 v54, v144, v54
	buffer_store_dword v55, off, s[0:3], 0 offset:24
	buffer_store_dword v54, off, s[0:3], 0 offset:28
	v_cmpx_lt_u32_e32 2, v0
	s_cbranch_execz .LBB89_165
; %bb.164:
	s_clause 0x1
	buffer_load_dword v54, off, s[0:3], 0 offset:16
	buffer_load_dword v55, off, s[0:3], 0 offset:20
	v_mov_b32_e32 v56, 0
	buffer_store_dword v56, off, s[0:3], 0 offset:16
	buffer_store_dword v56, off, s[0:3], 0 offset:20
	s_waitcnt vmcnt(0)
	ds_write_b64 v53, v[54:55]
.LBB89_165:
	s_or_b32 exec_lo, exec_lo, s4
	s_waitcnt lgkmcnt(0)
	s_waitcnt_vscnt null, 0x0
	s_barrier
	buffer_gl0_inv
	s_clause 0x2f
	buffer_load_dword v101, off, s[0:3], 0 offset:28
	buffer_load_dword v102, off, s[0:3], 0 offset:36
	;; [unrolled: 1-line block ×48, first 2 shown]
	v_mov_b32_e32 v54, 0
	ds_read2_b64 v[55:58], v54 offset0:29 offset1:30
	ds_read2_b64 v[59:62], v54 offset0:31 offset1:32
	;; [unrolled: 1-line block ×11, first 2 shown]
	ds_read_b64 v[99:100], v54 offset:408
	s_mov_b32 s4, exec_lo
	s_waitcnt vmcnt(47) lgkmcnt(11)
	v_mul_f32_e32 v149, v55, v101
	v_mul_f32_e32 v101, v56, v101
	s_waitcnt vmcnt(46)
	v_mul_f32_e32 v150, v57, v102
	v_mul_f32_e32 v102, v58, v102
	s_waitcnt vmcnt(45) lgkmcnt(10)
	v_mul_f32_e32 v151, v59, v103
	s_waitcnt vmcnt(44)
	v_mul_f32_e32 v152, v61, v104
	s_waitcnt vmcnt(43) lgkmcnt(9)
	v_mul_f32_e32 v153, v63, v105
	s_waitcnt vmcnt(42)
	;; [unrolled: 4-line block ×10, first 2 shown]
	v_fma_f32 v55, v55, v124, -v101
	v_fmac_f32_e32 v149, v56, v124
	v_mul_f32_e32 v56, v60, v103
	s_waitcnt vmcnt(23)
	v_fma_f32 v57, v57, v125, -v102
	v_fmac_f32_e32 v150, v58, v125
	v_add_f32_e32 v55, 0, v55
	v_add_f32_e32 v58, 0, v149
	v_mul_f32_e32 v101, v62, v104
	s_waitcnt vmcnt(22)
	v_fma_f32 v56, v59, v126, -v56
	v_fmac_f32_e32 v151, v60, v126
	v_add_f32_e32 v55, v55, v57
	v_add_f32_e32 v57, v58, v150
	;; [unrolled: 6-line block ×19, first 2 shown]
	v_mul_f32_e32 v59, v98, v122
	s_waitcnt vmcnt(4)
	v_fma_f32 v57, v95, v144, -v57
	v_mul_f32_e32 v170, v97, v122
	v_add_f32_e32 v55, v55, v58
	v_fmac_f32_e32 v169, v96, v144
	v_add_f32_e32 v56, v56, v168
	s_waitcnt lgkmcnt(0)
	v_mul_f32_e32 v58, v100, v123
	s_waitcnt vmcnt(3)
	v_fma_f32 v59, v97, v145, -v59
	v_add_f32_e32 v55, v55, v57
	v_mul_f32_e32 v171, v99, v123
	v_fmac_f32_e32 v170, v98, v145
	v_add_f32_e32 v56, v56, v169
	s_waitcnt vmcnt(2)
	v_fma_f32 v57, v99, v146, -v58
	v_add_f32_e32 v55, v55, v59
	v_fmac_f32_e32 v171, v100, v146
	v_add_f32_e32 v56, v56, v170
	v_add_f32_e32 v55, v55, v57
	;; [unrolled: 1-line block ×3, first 2 shown]
	s_waitcnt vmcnt(1)
	v_sub_f32_e32 v55, v147, v55
	s_waitcnt vmcnt(0)
	v_sub_f32_e32 v56, v148, v56
	buffer_store_dword v55, off, s[0:3], 0 offset:16
	buffer_store_dword v56, off, s[0:3], 0 offset:20
	v_cmpx_lt_u32_e32 1, v0
	s_cbranch_execz .LBB89_167
; %bb.166:
	s_clause 0x1
	buffer_load_dword v55, off, s[0:3], 0 offset:8
	buffer_load_dword v56, off, s[0:3], 0 offset:12
	buffer_store_dword v54, off, s[0:3], 0 offset:8
	buffer_store_dword v54, off, s[0:3], 0 offset:12
	s_waitcnt vmcnt(0)
	ds_write_b64 v53, v[55:56]
.LBB89_167:
	s_or_b32 exec_lo, exec_lo, s4
	s_waitcnt lgkmcnt(0)
	s_waitcnt_vscnt null, 0x0
	s_barrier
	buffer_gl0_inv
	s_clause 0x31
	buffer_load_dword v103, off, s[0:3], 0 offset:20
	buffer_load_dword v104, off, s[0:3], 0 offset:28
	;; [unrolled: 1-line block ×50, first 2 shown]
	ds_read_b128 v[55:58], v54 offset:224
	ds_read_b128 v[59:62], v54 offset:240
	;; [unrolled: 1-line block ×12, first 2 shown]
	s_mov_b32 s4, exec_lo
	s_waitcnt vmcnt(49) lgkmcnt(11)
	v_mul_f32_e32 v54, v55, v103
	v_mul_f32_e32 v103, v56, v103
	s_waitcnt vmcnt(48)
	v_mul_f32_e32 v153, v57, v104
	v_mul_f32_e32 v104, v58, v104
	s_waitcnt vmcnt(47) lgkmcnt(10)
	v_mul_f32_e32 v154, v59, v105
	s_waitcnt vmcnt(46)
	v_mul_f32_e32 v155, v61, v106
	s_waitcnt vmcnt(45) lgkmcnt(9)
	v_mul_f32_e32 v156, v63, v107
	s_waitcnt vmcnt(44)
	;; [unrolled: 4-line block ×10, first 2 shown]
	v_mul_f32_e32 v173, v97, v124
	s_waitcnt vmcnt(25)
	v_fma_f32 v55, v55, v127, -v103
	v_fmac_f32_e32 v54, v56, v127
	v_mul_f32_e32 v56, v60, v105
	s_waitcnt vmcnt(24)
	v_fma_f32 v57, v57, v128, -v104
	v_fmac_f32_e32 v153, v58, v128
	v_add_f32_e32 v55, 0, v55
	v_add_f32_e32 v54, 0, v54
	v_mul_f32_e32 v58, v62, v106
	s_waitcnt vmcnt(23)
	v_fma_f32 v56, v59, v129, -v56
	v_fmac_f32_e32 v154, v60, v129
	v_add_f32_e32 v55, v55, v57
	v_add_f32_e32 v54, v54, v153
	;; [unrolled: 6-line block ×20, first 2 shown]
	s_waitcnt lgkmcnt(0)
	v_mul_f32_e32 v57, v100, v125
	s_waitcnt vmcnt(4)
	v_fma_f32 v58, v97, v148, -v58
	v_mul_f32_e32 v174, v99, v125
	v_add_f32_e32 v55, v55, v56
	v_fmac_f32_e32 v173, v98, v148
	v_add_f32_e32 v54, v54, v172
	v_mul_f32_e32 v56, v102, v126
	s_waitcnt vmcnt(3)
	v_fma_f32 v57, v99, v149, -v57
	v_add_f32_e32 v55, v55, v58
	v_mul_f32_e32 v175, v101, v126
	v_fmac_f32_e32 v174, v100, v149
	v_add_f32_e32 v54, v54, v173
	s_waitcnt vmcnt(2)
	v_fma_f32 v56, v101, v150, -v56
	v_add_f32_e32 v55, v55, v57
	v_fmac_f32_e32 v175, v102, v150
	v_add_f32_e32 v54, v54, v174
	v_add_f32_e32 v55, v55, v56
	v_add_f32_e32 v54, v54, v175
	s_waitcnt vmcnt(1)
	v_sub_f32_e32 v55, v151, v55
	s_waitcnt vmcnt(0)
	v_sub_f32_e32 v54, v152, v54
	buffer_store_dword v55, off, s[0:3], 0 offset:8
	buffer_store_dword v54, off, s[0:3], 0 offset:12
	v_cmpx_ne_u32_e32 0, v0
	s_cbranch_execz .LBB89_169
; %bb.168:
	s_clause 0x1
	buffer_load_dword v54, off, s[0:3], 0
	buffer_load_dword v55, off, s[0:3], 0 offset:4
	v_mov_b32_e32 v0, 0
	buffer_store_dword v0, off, s[0:3], 0
	buffer_store_dword v0, off, s[0:3], 0 offset:4
	s_waitcnt vmcnt(0)
	ds_write_b64 v53, v[54:55]
.LBB89_169:
	s_or_b32 exec_lo, exec_lo, s4
	s_waitcnt lgkmcnt(0)
	s_waitcnt_vscnt null, 0x0
	s_barrier
	buffer_gl0_inv
	s_clause 0x33
	buffer_load_dword v103, off, s[0:3], 0 offset:12
	buffer_load_dword v104, off, s[0:3], 0 offset:20
	;; [unrolled: 1-line block ×50, first 2 shown]
	buffer_load_dword v153, off, s[0:3], 0
	buffer_load_dword v154, off, s[0:3], 0 offset:4
	v_mov_b32_e32 v0, 0
	ds_read2_b64 v[53:56], v0 offset0:27 offset1:28
	ds_read2_b64 v[57:60], v0 offset0:29 offset1:30
	;; [unrolled: 1-line block ×12, first 2 shown]
	ds_read_b64 v[101:102], v0 offset:408
	s_and_b32 vcc_lo, exec_lo, s16
	s_waitcnt vmcnt(51) lgkmcnt(12)
	v_mul_f32_e32 v155, v53, v103
	v_mul_f32_e32 v103, v54, v103
	s_waitcnt vmcnt(50)
	v_mul_f32_e32 v156, v55, v104
	v_mul_f32_e32 v104, v56, v104
	s_waitcnt vmcnt(49) lgkmcnt(11)
	v_mul_f32_e32 v157, v57, v105
	s_waitcnt vmcnt(48)
	v_mul_f32_e32 v158, v59, v106
	s_waitcnt vmcnt(47) lgkmcnt(10)
	v_mul_f32_e32 v159, v61, v107
	s_waitcnt vmcnt(46)
	;; [unrolled: 4-line block ×11, first 2 shown]
	v_fma_f32 v53, v53, v128, -v103
	v_fmac_f32_e32 v155, v54, v128
	v_mul_f32_e32 v54, v58, v105
	s_waitcnt vmcnt(25)
	v_fma_f32 v55, v55, v129, -v104
	v_fmac_f32_e32 v156, v56, v129
	v_add_f32_e32 v53, 0, v53
	v_add_f32_e32 v56, 0, v155
	v_mul_f32_e32 v103, v60, v106
	s_waitcnt vmcnt(24)
	v_fma_f32 v54, v57, v130, -v54
	v_fmac_f32_e32 v157, v58, v130
	v_add_f32_e32 v53, v53, v55
	v_add_f32_e32 v55, v56, v156
	v_mul_f32_e32 v56, v62, v107
	s_waitcnt vmcnt(23)
	v_fma_f32 v57, v59, v131, -v103
	v_fmac_f32_e32 v158, v60, v131
	v_add_f32_e32 v53, v53, v54
	v_add_f32_e32 v54, v55, v157
	v_mul_f32_e32 v55, v64, v108
	s_waitcnt vmcnt(22)
	v_fma_f32 v56, v61, v132, -v56
	v_fmac_f32_e32 v159, v62, v132
	v_add_f32_e32 v53, v53, v57
	v_add_f32_e32 v54, v54, v158
	v_mul_f32_e32 v57, v66, v109
	s_waitcnt vmcnt(21)
	v_fma_f32 v55, v63, v133, -v55
	v_fmac_f32_e32 v160, v64, v133
	v_add_f32_e32 v53, v53, v56
	v_add_f32_e32 v54, v54, v159
	v_mul_f32_e32 v56, v68, v110
	s_waitcnt vmcnt(20)
	v_fma_f32 v57, v65, v134, -v57
	v_fmac_f32_e32 v161, v66, v134
	v_add_f32_e32 v53, v53, v55
	v_add_f32_e32 v54, v54, v160
	v_mul_f32_e32 v55, v70, v111
	s_waitcnt vmcnt(19)
	v_fma_f32 v56, v67, v135, -v56
	v_fmac_f32_e32 v162, v68, v135
	v_add_f32_e32 v53, v53, v57
	v_add_f32_e32 v54, v54, v161
	v_mul_f32_e32 v57, v72, v112
	s_waitcnt vmcnt(18)
	v_fma_f32 v55, v69, v136, -v55
	v_fmac_f32_e32 v163, v70, v136
	v_add_f32_e32 v53, v53, v56
	v_add_f32_e32 v54, v54, v162
	v_mul_f32_e32 v56, v74, v113
	s_waitcnt vmcnt(17)
	v_fma_f32 v57, v71, v137, -v57
	v_fmac_f32_e32 v164, v72, v137
	v_add_f32_e32 v53, v53, v55
	v_add_f32_e32 v54, v54, v163
	v_mul_f32_e32 v55, v76, v114
	s_waitcnt vmcnt(16)
	v_fma_f32 v56, v73, v138, -v56
	v_fmac_f32_e32 v165, v74, v138
	v_add_f32_e32 v53, v53, v57
	v_add_f32_e32 v54, v54, v164
	v_mul_f32_e32 v57, v78, v115
	s_waitcnt vmcnt(15)
	v_fma_f32 v55, v75, v139, -v55
	v_fmac_f32_e32 v166, v76, v139
	v_add_f32_e32 v53, v53, v56
	v_add_f32_e32 v54, v54, v165
	v_mul_f32_e32 v56, v80, v116
	s_waitcnt vmcnt(14)
	v_fma_f32 v57, v77, v140, -v57
	v_fmac_f32_e32 v167, v78, v140
	v_add_f32_e32 v53, v53, v55
	v_add_f32_e32 v54, v54, v166
	v_mul_f32_e32 v55, v82, v117
	s_waitcnt vmcnt(13)
	v_fma_f32 v56, v79, v141, -v56
	v_fmac_f32_e32 v168, v80, v141
	v_add_f32_e32 v53, v53, v57
	v_add_f32_e32 v54, v54, v167
	v_mul_f32_e32 v57, v84, v118
	s_waitcnt vmcnt(12)
	v_fma_f32 v55, v81, v142, -v55
	v_fmac_f32_e32 v169, v82, v142
	v_add_f32_e32 v53, v53, v56
	v_add_f32_e32 v54, v54, v168
	v_mul_f32_e32 v56, v86, v119
	s_waitcnt vmcnt(11)
	v_fma_f32 v57, v83, v143, -v57
	v_fmac_f32_e32 v170, v84, v143
	v_add_f32_e32 v53, v53, v55
	v_add_f32_e32 v54, v54, v169
	v_mul_f32_e32 v55, v88, v120
	s_waitcnt vmcnt(10)
	v_fma_f32 v56, v85, v144, -v56
	v_fmac_f32_e32 v171, v86, v144
	v_add_f32_e32 v53, v53, v57
	v_add_f32_e32 v54, v54, v170
	v_mul_f32_e32 v57, v90, v121
	s_waitcnt vmcnt(9)
	v_fma_f32 v55, v87, v145, -v55
	v_fmac_f32_e32 v172, v88, v145
	v_add_f32_e32 v53, v53, v56
	v_add_f32_e32 v54, v54, v171
	v_mul_f32_e32 v56, v92, v122
	s_waitcnt vmcnt(8)
	v_fma_f32 v57, v89, v146, -v57
	v_fmac_f32_e32 v173, v90, v146
	v_add_f32_e32 v53, v53, v55
	v_add_f32_e32 v54, v54, v172
	v_mul_f32_e32 v55, v94, v123
	s_waitcnt vmcnt(7)
	v_fma_f32 v56, v91, v147, -v56
	v_fmac_f32_e32 v174, v92, v147
	v_add_f32_e32 v53, v53, v57
	v_add_f32_e32 v54, v54, v173
	v_mul_f32_e32 v57, v96, v124
	s_waitcnt vmcnt(6)
	v_fma_f32 v55, v93, v148, -v55
	v_fmac_f32_e32 v175, v94, v148
	v_add_f32_e32 v53, v53, v56
	v_add_f32_e32 v54, v54, v174
	v_mul_f32_e32 v56, v98, v125
	s_waitcnt vmcnt(5)
	v_fma_f32 v57, v95, v149, -v57
	v_fmac_f32_e32 v176, v96, v149
	v_add_f32_e32 v53, v53, v55
	v_add_f32_e32 v54, v54, v175
	v_mul_f32_e32 v55, v100, v126
	s_waitcnt vmcnt(4)
	v_fma_f32 v56, v97, v150, -v56
	v_mul_f32_e32 v178, v99, v126
	v_add_f32_e32 v53, v53, v57
	v_fmac_f32_e32 v177, v98, v150
	v_add_f32_e32 v54, v54, v176
	s_waitcnt lgkmcnt(0)
	v_mul_f32_e32 v57, v102, v127
	s_waitcnt vmcnt(3)
	v_fma_f32 v55, v99, v151, -v55
	v_add_f32_e32 v53, v53, v56
	v_mul_f32_e32 v179, v101, v127
	v_fmac_f32_e32 v178, v100, v151
	v_add_f32_e32 v54, v54, v177
	s_waitcnt vmcnt(2)
	v_fma_f32 v56, v101, v152, -v57
	v_add_f32_e32 v53, v53, v55
	v_fmac_f32_e32 v179, v102, v152
	v_add_f32_e32 v54, v54, v178
	v_add_f32_e32 v53, v53, v56
	;; [unrolled: 1-line block ×3, first 2 shown]
	s_waitcnt vmcnt(1)
	v_sub_f32_e32 v53, v153, v53
	s_waitcnt vmcnt(0)
	v_sub_f32_e32 v54, v154, v54
	buffer_store_dword v53, off, s[0:3], 0
	buffer_store_dword v54, off, s[0:3], 0 offset:4
	s_cbranch_vccz .LBB89_220
; %bb.170:
	global_load_dword v0, v0, s[12:13] offset:96
	s_waitcnt vmcnt(0)
	v_add_nc_u32_e32 v0, -1, v0
	v_cmp_ne_u32_e32 vcc_lo, 24, v0
	s_cbranch_vccz .LBB89_172
; %bb.171:
	v_lshlrev_b32_e32 v0, 3, v0
	s_clause 0x3
	buffer_load_dword v53, v0, s[0:3], 0 offen
	buffer_load_dword v54, v0, s[0:3], 0 offen offset:4
	buffer_load_dword v55, off, s[0:3], 0 offset:196
	buffer_load_dword v56, off, s[0:3], 0 offset:192
	s_waitcnt vmcnt(3)
	buffer_store_dword v53, off, s[0:3], 0 offset:192
	s_waitcnt vmcnt(2)
	buffer_store_dword v54, off, s[0:3], 0 offset:196
	s_waitcnt vmcnt(1)
	buffer_store_dword v55, v0, s[0:3], 0 offen offset:4
	s_waitcnt vmcnt(0)
	buffer_store_dword v56, v0, s[0:3], 0 offen
.LBB89_172:
	v_mov_b32_e32 v0, 0
	global_load_dword v53, v0, s[12:13] offset:92
	s_waitcnt vmcnt(0)
	v_add_nc_u32_e32 v53, -1, v53
	v_cmp_eq_u32_e32 vcc_lo, 23, v53
	s_cbranch_vccnz .LBB89_174
; %bb.173:
	v_lshlrev_b32_e32 v53, 3, v53
	s_clause 0x3
	buffer_load_dword v54, v53, s[0:3], 0 offen
	buffer_load_dword v55, v53, s[0:3], 0 offen offset:4
	buffer_load_dword v56, off, s[0:3], 0 offset:184
	buffer_load_dword v57, off, s[0:3], 0 offset:188
	s_waitcnt vmcnt(3)
	buffer_store_dword v54, off, s[0:3], 0 offset:184
	s_waitcnt vmcnt(2)
	buffer_store_dword v55, off, s[0:3], 0 offset:188
	s_waitcnt vmcnt(1)
	buffer_store_dword v56, v53, s[0:3], 0 offen
	s_waitcnt vmcnt(0)
	buffer_store_dword v57, v53, s[0:3], 0 offen offset:4
.LBB89_174:
	global_load_dword v0, v0, s[12:13] offset:88
	s_waitcnt vmcnt(0)
	v_add_nc_u32_e32 v0, -1, v0
	v_cmp_eq_u32_e32 vcc_lo, 22, v0
	s_cbranch_vccnz .LBB89_176
; %bb.175:
	v_lshlrev_b32_e32 v0, 3, v0
	s_clause 0x3
	buffer_load_dword v53, v0, s[0:3], 0 offen
	buffer_load_dword v54, v0, s[0:3], 0 offen offset:4
	buffer_load_dword v55, off, s[0:3], 0 offset:180
	buffer_load_dword v56, off, s[0:3], 0 offset:176
	s_waitcnt vmcnt(3)
	buffer_store_dword v53, off, s[0:3], 0 offset:176
	s_waitcnt vmcnt(2)
	buffer_store_dword v54, off, s[0:3], 0 offset:180
	s_waitcnt vmcnt(1)
	buffer_store_dword v55, v0, s[0:3], 0 offen offset:4
	s_waitcnt vmcnt(0)
	buffer_store_dword v56, v0, s[0:3], 0 offen
.LBB89_176:
	v_mov_b32_e32 v0, 0
	global_load_dword v53, v0, s[12:13] offset:84
	s_waitcnt vmcnt(0)
	v_add_nc_u32_e32 v53, -1, v53
	v_cmp_eq_u32_e32 vcc_lo, 21, v53
	s_cbranch_vccnz .LBB89_178
; %bb.177:
	v_lshlrev_b32_e32 v53, 3, v53
	s_clause 0x3
	buffer_load_dword v54, v53, s[0:3], 0 offen
	buffer_load_dword v55, v53, s[0:3], 0 offen offset:4
	buffer_load_dword v56, off, s[0:3], 0 offset:168
	buffer_load_dword v57, off, s[0:3], 0 offset:172
	s_waitcnt vmcnt(3)
	buffer_store_dword v54, off, s[0:3], 0 offset:168
	s_waitcnt vmcnt(2)
	buffer_store_dword v55, off, s[0:3], 0 offset:172
	s_waitcnt vmcnt(1)
	buffer_store_dword v56, v53, s[0:3], 0 offen
	s_waitcnt vmcnt(0)
	buffer_store_dword v57, v53, s[0:3], 0 offen offset:4
.LBB89_178:
	global_load_dword v0, v0, s[12:13] offset:80
	s_waitcnt vmcnt(0)
	v_add_nc_u32_e32 v0, -1, v0
	v_cmp_eq_u32_e32 vcc_lo, 20, v0
	s_cbranch_vccnz .LBB89_180
; %bb.179:
	v_lshlrev_b32_e32 v0, 3, v0
	s_clause 0x3
	buffer_load_dword v53, v0, s[0:3], 0 offen
	buffer_load_dword v54, v0, s[0:3], 0 offen offset:4
	buffer_load_dword v55, off, s[0:3], 0 offset:164
	buffer_load_dword v56, off, s[0:3], 0 offset:160
	s_waitcnt vmcnt(3)
	buffer_store_dword v53, off, s[0:3], 0 offset:160
	s_waitcnt vmcnt(2)
	buffer_store_dword v54, off, s[0:3], 0 offset:164
	s_waitcnt vmcnt(1)
	buffer_store_dword v55, v0, s[0:3], 0 offen offset:4
	s_waitcnt vmcnt(0)
	buffer_store_dword v56, v0, s[0:3], 0 offen
.LBB89_180:
	;; [unrolled: 43-line block ×11, first 2 shown]
	v_mov_b32_e32 v0, 0
	global_load_dword v53, v0, s[12:13] offset:4
	s_waitcnt vmcnt(0)
	v_add_nc_u32_e32 v53, -1, v53
	v_cmp_eq_u32_e32 vcc_lo, 1, v53
	s_cbranch_vccnz .LBB89_218
; %bb.217:
	v_lshlrev_b32_e32 v53, 3, v53
	s_clause 0x3
	buffer_load_dword v54, v53, s[0:3], 0 offen
	buffer_load_dword v55, v53, s[0:3], 0 offen offset:4
	buffer_load_dword v56, off, s[0:3], 0 offset:8
	buffer_load_dword v57, off, s[0:3], 0 offset:12
	s_waitcnt vmcnt(3)
	buffer_store_dword v54, off, s[0:3], 0 offset:8
	s_waitcnt vmcnt(2)
	buffer_store_dword v55, off, s[0:3], 0 offset:12
	s_waitcnt vmcnt(1)
	buffer_store_dword v56, v53, s[0:3], 0 offen
	s_waitcnt vmcnt(0)
	buffer_store_dword v57, v53, s[0:3], 0 offen offset:4
.LBB89_218:
	global_load_dword v0, v0, s[12:13]
	s_waitcnt vmcnt(0)
	v_add_nc_u32_e32 v0, -1, v0
	v_cmp_eq_u32_e32 vcc_lo, 0, v0
	s_cbranch_vccnz .LBB89_220
; %bb.219:
	v_lshlrev_b32_e32 v0, 3, v0
	s_clause 0x3
	buffer_load_dword v53, v0, s[0:3], 0 offen
	buffer_load_dword v54, v0, s[0:3], 0 offen offset:4
	buffer_load_dword v55, off, s[0:3], 0 offset:4
	buffer_load_dword v56, off, s[0:3], 0
	s_waitcnt vmcnt(3)
	buffer_store_dword v53, off, s[0:3], 0
	s_waitcnt vmcnt(2)
	buffer_store_dword v54, off, s[0:3], 0 offset:4
	s_waitcnt vmcnt(1)
	buffer_store_dword v55, v0, s[0:3], 0 offen offset:4
	s_waitcnt vmcnt(0)
	buffer_store_dword v56, v0, s[0:3], 0 offen
.LBB89_220:
	s_clause 0x1
	buffer_load_dword v53, off, s[0:3], 0
	buffer_load_dword v54, off, s[0:3], 0 offset:4
	s_waitcnt vmcnt(0)
	flat_store_dwordx2 v[1:2], v[53:54]
	s_clause 0x1
	buffer_load_dword v0, off, s[0:3], 0 offset:8
	buffer_load_dword v1, off, s[0:3], 0 offset:12
	s_waitcnt vmcnt(0)
	flat_store_dwordx2 v[3:4], v[0:1]
	s_clause 0x1
	buffer_load_dword v0, off, s[0:3], 0 offset:16
	;; [unrolled: 5-line block ×25, first 2 shown]
	buffer_load_dword v1, off, s[0:3], 0 offset:204
	s_waitcnt vmcnt(0)
	flat_store_dwordx2 v[51:52], v[0:1]
	s_endpgm
	.section	.rodata,"a",@progbits
	.p2align	6, 0x0
	.amdhsa_kernel _ZN9rocsolver6v33100L18getri_kernel_smallILi26E19rocblas_complex_numIfEPKPS3_EEvT1_iilPiilS8_bb
		.amdhsa_group_segment_fixed_size 420
		.amdhsa_private_segment_fixed_size 224
		.amdhsa_kernarg_size 60
		.amdhsa_user_sgpr_count 6
		.amdhsa_user_sgpr_private_segment_buffer 1
		.amdhsa_user_sgpr_dispatch_ptr 0
		.amdhsa_user_sgpr_queue_ptr 0
		.amdhsa_user_sgpr_kernarg_segment_ptr 1
		.amdhsa_user_sgpr_dispatch_id 0
		.amdhsa_user_sgpr_flat_scratch_init 0
		.amdhsa_user_sgpr_private_segment_size 0
		.amdhsa_wavefront_size32 1
		.amdhsa_uses_dynamic_stack 0
		.amdhsa_system_sgpr_private_segment_wavefront_offset 1
		.amdhsa_system_sgpr_workgroup_id_x 1
		.amdhsa_system_sgpr_workgroup_id_y 0
		.amdhsa_system_sgpr_workgroup_id_z 0
		.amdhsa_system_sgpr_workgroup_info 0
		.amdhsa_system_vgpr_workitem_id 0
		.amdhsa_next_free_vgpr 180
		.amdhsa_next_free_sgpr 20
		.amdhsa_reserve_vcc 1
		.amdhsa_reserve_flat_scratch 0
		.amdhsa_float_round_mode_32 0
		.amdhsa_float_round_mode_16_64 0
		.amdhsa_float_denorm_mode_32 3
		.amdhsa_float_denorm_mode_16_64 3
		.amdhsa_dx10_clamp 1
		.amdhsa_ieee_mode 1
		.amdhsa_fp16_overflow 0
		.amdhsa_workgroup_processor_mode 1
		.amdhsa_memory_ordered 1
		.amdhsa_forward_progress 1
		.amdhsa_shared_vgpr_count 0
		.amdhsa_exception_fp_ieee_invalid_op 0
		.amdhsa_exception_fp_denorm_src 0
		.amdhsa_exception_fp_ieee_div_zero 0
		.amdhsa_exception_fp_ieee_overflow 0
		.amdhsa_exception_fp_ieee_underflow 0
		.amdhsa_exception_fp_ieee_inexact 0
		.amdhsa_exception_int_div_zero 0
	.end_amdhsa_kernel
	.section	.text._ZN9rocsolver6v33100L18getri_kernel_smallILi26E19rocblas_complex_numIfEPKPS3_EEvT1_iilPiilS8_bb,"axG",@progbits,_ZN9rocsolver6v33100L18getri_kernel_smallILi26E19rocblas_complex_numIfEPKPS3_EEvT1_iilPiilS8_bb,comdat
.Lfunc_end89:
	.size	_ZN9rocsolver6v33100L18getri_kernel_smallILi26E19rocblas_complex_numIfEPKPS3_EEvT1_iilPiilS8_bb, .Lfunc_end89-_ZN9rocsolver6v33100L18getri_kernel_smallILi26E19rocblas_complex_numIfEPKPS3_EEvT1_iilPiilS8_bb
                                        ; -- End function
	.set _ZN9rocsolver6v33100L18getri_kernel_smallILi26E19rocblas_complex_numIfEPKPS3_EEvT1_iilPiilS8_bb.num_vgpr, 180
	.set _ZN9rocsolver6v33100L18getri_kernel_smallILi26E19rocblas_complex_numIfEPKPS3_EEvT1_iilPiilS8_bb.num_agpr, 0
	.set _ZN9rocsolver6v33100L18getri_kernel_smallILi26E19rocblas_complex_numIfEPKPS3_EEvT1_iilPiilS8_bb.numbered_sgpr, 20
	.set _ZN9rocsolver6v33100L18getri_kernel_smallILi26E19rocblas_complex_numIfEPKPS3_EEvT1_iilPiilS8_bb.num_named_barrier, 0
	.set _ZN9rocsolver6v33100L18getri_kernel_smallILi26E19rocblas_complex_numIfEPKPS3_EEvT1_iilPiilS8_bb.private_seg_size, 224
	.set _ZN9rocsolver6v33100L18getri_kernel_smallILi26E19rocblas_complex_numIfEPKPS3_EEvT1_iilPiilS8_bb.uses_vcc, 1
	.set _ZN9rocsolver6v33100L18getri_kernel_smallILi26E19rocblas_complex_numIfEPKPS3_EEvT1_iilPiilS8_bb.uses_flat_scratch, 0
	.set _ZN9rocsolver6v33100L18getri_kernel_smallILi26E19rocblas_complex_numIfEPKPS3_EEvT1_iilPiilS8_bb.has_dyn_sized_stack, 0
	.set _ZN9rocsolver6v33100L18getri_kernel_smallILi26E19rocblas_complex_numIfEPKPS3_EEvT1_iilPiilS8_bb.has_recursion, 0
	.set _ZN9rocsolver6v33100L18getri_kernel_smallILi26E19rocblas_complex_numIfEPKPS3_EEvT1_iilPiilS8_bb.has_indirect_call, 0
	.section	.AMDGPU.csdata,"",@progbits
; Kernel info:
; codeLenInByte = 34296
; TotalNumSgprs: 22
; NumVgprs: 180
; ScratchSize: 224
; MemoryBound: 0
; FloatMode: 240
; IeeeMode: 1
; LDSByteSize: 420 bytes/workgroup (compile time only)
; SGPRBlocks: 0
; VGPRBlocks: 22
; NumSGPRsForWavesPerEU: 22
; NumVGPRsForWavesPerEU: 180
; Occupancy: 5
; WaveLimiterHint : 1
; COMPUTE_PGM_RSRC2:SCRATCH_EN: 1
; COMPUTE_PGM_RSRC2:USER_SGPR: 6
; COMPUTE_PGM_RSRC2:TRAP_HANDLER: 0
; COMPUTE_PGM_RSRC2:TGID_X_EN: 1
; COMPUTE_PGM_RSRC2:TGID_Y_EN: 0
; COMPUTE_PGM_RSRC2:TGID_Z_EN: 0
; COMPUTE_PGM_RSRC2:TIDIG_COMP_CNT: 0
	.section	.text._ZN9rocsolver6v33100L18getri_kernel_smallILi27E19rocblas_complex_numIfEPKPS3_EEvT1_iilPiilS8_bb,"axG",@progbits,_ZN9rocsolver6v33100L18getri_kernel_smallILi27E19rocblas_complex_numIfEPKPS3_EEvT1_iilPiilS8_bb,comdat
	.globl	_ZN9rocsolver6v33100L18getri_kernel_smallILi27E19rocblas_complex_numIfEPKPS3_EEvT1_iilPiilS8_bb ; -- Begin function _ZN9rocsolver6v33100L18getri_kernel_smallILi27E19rocblas_complex_numIfEPKPS3_EEvT1_iilPiilS8_bb
	.p2align	8
	.type	_ZN9rocsolver6v33100L18getri_kernel_smallILi27E19rocblas_complex_numIfEPKPS3_EEvT1_iilPiilS8_bb,@function
_ZN9rocsolver6v33100L18getri_kernel_smallILi27E19rocblas_complex_numIfEPKPS3_EEvT1_iilPiilS8_bb: ; @_ZN9rocsolver6v33100L18getri_kernel_smallILi27E19rocblas_complex_numIfEPKPS3_EEvT1_iilPiilS8_bb
; %bb.0:
	s_add_u32 s0, s0, s7
	s_addc_u32 s1, s1, 0
	s_mov_b32 s7, exec_lo
	v_cmpx_gt_u32_e32 27, v0
	s_cbranch_execz .LBB90_122
; %bb.1:
	s_clause 0x2
	s_load_dword s17, s[4:5], 0x38
	s_load_dwordx2 s[12:13], s[4:5], 0x0
	s_load_dwordx4 s[8:11], s[4:5], 0x28
	s_waitcnt lgkmcnt(0)
	s_bitcmp1_b32 s17, 8
	s_cselect_b32 s16, -1, 0
	s_ashr_i32 s7, s6, 31
	s_lshl_b64 s[14:15], s[6:7], 3
	s_add_u32 s12, s12, s14
	s_addc_u32 s13, s13, s15
	s_load_dwordx2 s[14:15], s[12:13], 0x0
	s_bfe_u32 s12, s17, 0x10008
	s_cmp_eq_u32 s12, 0
                                        ; implicit-def: $sgpr12_sgpr13
	s_cbranch_scc1 .LBB90_3
; %bb.2:
	s_clause 0x1
	s_load_dword s12, s[4:5], 0x20
	s_load_dwordx2 s[18:19], s[4:5], 0x18
	s_mul_i32 s13, s8, s7
	s_mul_hi_u32 s17, s8, s6
	s_mul_i32 s9, s9, s6
	s_add_i32 s13, s17, s13
	s_mul_i32 s8, s8, s6
	s_add_i32 s9, s13, s9
	s_lshl_b64 s[8:9], s[8:9], 2
	s_waitcnt lgkmcnt(0)
	s_ashr_i32 s13, s12, 31
	s_add_u32 s17, s18, s8
	s_addc_u32 s18, s19, s9
	s_lshl_b64 s[8:9], s[12:13], 2
	s_add_u32 s12, s17, s8
	s_addc_u32 s13, s18, s9
.LBB90_3:
	s_clause 0x1
	s_load_dwordx2 s[8:9], s[4:5], 0x8
	s_load_dword s4, s[4:5], 0x38
	v_lshlrev_b32_e32 v57, 3, v0
	s_waitcnt lgkmcnt(0)
	s_ashr_i32 s19, s8, 31
	s_mov_b32 s18, s8
	v_add3_u32 v9, s9, s9, v0
	s_lshl_b64 s[18:19], s[18:19], 3
	s_add_u32 s5, s14, s18
	s_addc_u32 s8, s15, s19
	v_add_co_u32 v1, s14, s5, v57
	v_add_co_ci_u32_e64 v2, null, s8, 0, s14
	s_mov_b32 s14, s9
	s_ashr_i32 s15, s9, 31
	v_ashrrev_i32_e32 v10, 31, v9
	flat_load_dwordx2 v[5:6], v[1:2]
	s_lshl_b64 s[14:15], s[14:15], 3
	v_add_nc_u32_e32 v12, s9, v9
	v_add_co_u32 v3, vcc_lo, v1, s14
	v_add_co_ci_u32_e64 v4, null, s15, v2, vcc_lo
	v_ashrrev_i32_e32 v13, 31, v12
	s_bitcmp0_b32 s4, 0
	s_waitcnt vmcnt(0) lgkmcnt(0)
	buffer_store_dword v6, off, s[0:3], 0 offset:4
	buffer_store_dword v5, off, s[0:3], 0
	flat_load_dwordx2 v[7:8], v[3:4]
	v_lshlrev_b64 v[5:6], 3, v[9:10]
	s_waitcnt vmcnt(0) lgkmcnt(0)
	buffer_store_dword v8, off, s[0:3], 0 offset:12
	buffer_store_dword v7, off, s[0:3], 0 offset:8
	v_add_co_u32 v5, vcc_lo, s5, v5
	v_add_co_ci_u32_e64 v6, null, s8, v6, vcc_lo
	v_lshlrev_b64 v[7:8], 3, v[12:13]
	flat_load_dwordx2 v[10:11], v[5:6]
	s_waitcnt vmcnt(0) lgkmcnt(0)
	buffer_store_dword v11, off, s[0:3], 0 offset:20
	buffer_store_dword v10, off, s[0:3], 0 offset:16
	v_add_co_u32 v7, vcc_lo, s5, v7
	v_add_co_ci_u32_e64 v8, null, s8, v8, vcc_lo
	v_add_nc_u32_e32 v11, s9, v12
	flat_load_dwordx2 v[13:14], v[7:8]
	s_waitcnt vmcnt(0) lgkmcnt(0)
	buffer_store_dword v14, off, s[0:3], 0 offset:28
	buffer_store_dword v13, off, s[0:3], 0 offset:24
	v_ashrrev_i32_e32 v12, 31, v11
	v_add_nc_u32_e32 v15, s9, v11
	v_lshlrev_b64 v[9:10], 3, v[11:12]
	v_ashrrev_i32_e32 v16, 31, v15
	v_add_nc_u32_e32 v18, s9, v15
	v_add_co_u32 v9, vcc_lo, s5, v9
	v_add_co_ci_u32_e64 v10, null, s8, v10, vcc_lo
	v_lshlrev_b64 v[11:12], 3, v[15:16]
	v_ashrrev_i32_e32 v19, 31, v18
	flat_load_dwordx2 v[13:14], v[9:10]
	s_waitcnt vmcnt(0) lgkmcnt(0)
	buffer_store_dword v14, off, s[0:3], 0 offset:36
	buffer_store_dword v13, off, s[0:3], 0 offset:32
	v_add_co_u32 v11, vcc_lo, s5, v11
	v_add_co_ci_u32_e64 v12, null, s8, v12, vcc_lo
	v_lshlrev_b64 v[13:14], 3, v[18:19]
	flat_load_dwordx2 v[16:17], v[11:12]
	s_waitcnt vmcnt(0) lgkmcnt(0)
	buffer_store_dword v17, off, s[0:3], 0 offset:44
	buffer_store_dword v16, off, s[0:3], 0 offset:40
	v_add_co_u32 v13, vcc_lo, s5, v13
	v_add_co_ci_u32_e64 v14, null, s8, v14, vcc_lo
	v_add_nc_u32_e32 v17, s9, v18
	flat_load_dwordx2 v[19:20], v[13:14]
	s_waitcnt vmcnt(0) lgkmcnt(0)
	buffer_store_dword v20, off, s[0:3], 0 offset:52
	buffer_store_dword v19, off, s[0:3], 0 offset:48
	v_ashrrev_i32_e32 v18, 31, v17
	v_add_nc_u32_e32 v21, s9, v17
	v_lshlrev_b64 v[15:16], 3, v[17:18]
	v_ashrrev_i32_e32 v22, 31, v21
	v_add_nc_u32_e32 v24, s9, v21
	v_add_co_u32 v15, vcc_lo, s5, v15
	v_add_co_ci_u32_e64 v16, null, s8, v16, vcc_lo
	v_lshlrev_b64 v[17:18], 3, v[21:22]
	v_ashrrev_i32_e32 v25, 31, v24
	flat_load_dwordx2 v[19:20], v[15:16]
	;; [unrolled: 27-line block ×7, first 2 shown]
	s_waitcnt vmcnt(0) lgkmcnt(0)
	buffer_store_dword v50, off, s[0:3], 0 offset:180
	buffer_store_dword v49, off, s[0:3], 0 offset:176
	v_add_co_u32 v47, vcc_lo, s5, v47
	v_add_co_ci_u32_e64 v48, null, s8, v48, vcc_lo
	v_lshlrev_b64 v[49:50], 3, v[54:55]
	flat_load_dwordx2 v[52:53], v[47:48]
	s_waitcnt vmcnt(0) lgkmcnt(0)
	buffer_store_dword v53, off, s[0:3], 0 offset:188
	buffer_store_dword v52, off, s[0:3], 0 offset:184
	v_add_co_u32 v49, vcc_lo, s5, v49
	v_add_co_ci_u32_e64 v50, null, s8, v50, vcc_lo
	v_add_nc_u32_e32 v53, s9, v54
	flat_load_dwordx2 v[55:56], v[49:50]
	s_waitcnt vmcnt(0) lgkmcnt(0)
	buffer_store_dword v56, off, s[0:3], 0 offset:196
	buffer_store_dword v55, off, s[0:3], 0 offset:192
	v_ashrrev_i32_e32 v54, 31, v53
	v_lshlrev_b64 v[51:52], 3, v[53:54]
	v_add_nc_u32_e32 v53, s9, v53
	v_add_co_u32 v51, vcc_lo, s5, v51
	v_add_co_ci_u32_e64 v52, null, s8, v52, vcc_lo
	v_ashrrev_i32_e32 v54, 31, v53
	flat_load_dwordx2 v[55:56], v[51:52]
	s_waitcnt vmcnt(0) lgkmcnt(0)
	buffer_store_dword v56, off, s[0:3], 0 offset:204
	buffer_store_dword v55, off, s[0:3], 0 offset:200
	v_lshlrev_b64 v[53:54], 3, v[53:54]
	v_add_co_u32 v53, vcc_lo, s5, v53
	v_add_co_ci_u32_e64 v54, null, s8, v54, vcc_lo
	s_mov_b32 s5, -1
	flat_load_dwordx2 v[55:56], v[53:54]
	s_waitcnt vmcnt(0) lgkmcnt(0)
	buffer_store_dword v56, off, s[0:3], 0 offset:212
	buffer_store_dword v55, off, s[0:3], 0 offset:208
	s_cbranch_scc1 .LBB90_120
; %bb.4:
	v_cmp_eq_u32_e64 s4, 0, v0
	s_and_saveexec_b32 s5, s4
; %bb.5:
	v_mov_b32_e32 v55, 0
	ds_write_b32 v55, v55 offset:216
; %bb.6:
	s_or_b32 exec_lo, exec_lo, s5
	v_lshl_add_u32 v59, v0, 3, 0
	s_waitcnt lgkmcnt(0)
	s_waitcnt_vscnt null, 0x0
	s_barrier
	buffer_gl0_inv
	s_clause 0x1
	buffer_load_dword v55, v59, s[0:3], 0 offen
	buffer_load_dword v56, v59, s[0:3], 0 offen offset:4
	s_waitcnt vmcnt(1)
	v_cmp_eq_f32_e32 vcc_lo, 0, v55
	s_waitcnt vmcnt(0)
	v_cmp_eq_f32_e64 s5, 0, v56
	s_and_b32 s5, vcc_lo, s5
	s_and_saveexec_b32 s8, s5
	s_cbranch_execz .LBB90_10
; %bb.7:
	v_mov_b32_e32 v55, 0
	s_mov_b32 s9, 0
	ds_read_b32 v56, v55 offset:216
	s_waitcnt lgkmcnt(0)
	v_readfirstlane_b32 s5, v56
	v_add_nc_u32_e32 v56, 1, v0
	s_cmp_eq_u32 s5, 0
	v_cmp_gt_i32_e32 vcc_lo, s5, v56
	s_cselect_b32 s14, -1, 0
	s_or_b32 s14, s14, vcc_lo
	s_and_b32 exec_lo, exec_lo, s14
	s_cbranch_execz .LBB90_10
; %bb.8:
	v_mov_b32_e32 v58, s5
.LBB90_9:                               ; =>This Inner Loop Header: Depth=1
	ds_cmpst_rtn_b32 v58, v55, v58, v56 offset:216
	s_waitcnt lgkmcnt(0)
	v_cmp_ne_u32_e32 vcc_lo, 0, v58
	v_cmp_le_i32_e64 s5, v58, v56
	s_and_b32 s5, vcc_lo, s5
	s_and_b32 s5, exec_lo, s5
	s_or_b32 s9, s5, s9
	s_andn2_b32 exec_lo, exec_lo, s9
	s_cbranch_execnz .LBB90_9
.LBB90_10:
	s_or_b32 exec_lo, exec_lo, s8
	v_mov_b32_e32 v55, 0
	s_barrier
	buffer_gl0_inv
	ds_read_b32 v56, v55 offset:216
	s_and_saveexec_b32 s5, s4
	s_cbranch_execz .LBB90_12
; %bb.11:
	s_lshl_b64 s[8:9], s[6:7], 2
	s_add_u32 s8, s10, s8
	s_addc_u32 s9, s11, s9
	s_waitcnt lgkmcnt(0)
	global_store_dword v55, v56, s[8:9]
.LBB90_12:
	s_or_b32 exec_lo, exec_lo, s5
	s_waitcnt lgkmcnt(0)
	v_cmp_ne_u32_e32 vcc_lo, 0, v56
	s_mov_b32 s5, 0
	s_cbranch_vccnz .LBB90_120
; %bb.13:
	s_clause 0x1
	buffer_load_dword v56, v59, s[0:3], 0 offen
	buffer_load_dword v58, v59, s[0:3], 0 offen offset:4
                                        ; implicit-def: $vgpr61
                                        ; implicit-def: $vgpr60
                                        ; implicit-def: $vgpr55
	s_waitcnt vmcnt(0)
	v_cmp_ngt_f32_e64 s5, |v56|, |v58|
	s_and_saveexec_b32 s8, s5
	s_xor_b32 s5, exec_lo, s8
	s_cbranch_execz .LBB90_15
; %bb.14:
	v_div_scale_f32 v55, null, v58, v58, v56
	v_div_scale_f32 v62, vcc_lo, v56, v58, v56
	v_rcp_f32_e32 v60, v55
	v_fma_f32 v61, -v55, v60, 1.0
	v_fmac_f32_e32 v60, v61, v60
	v_mul_f32_e32 v61, v62, v60
	v_fma_f32 v63, -v55, v61, v62
	v_fmac_f32_e32 v61, v63, v60
	v_fma_f32 v55, -v55, v61, v62
	v_div_fmas_f32 v55, v55, v60, v61
	v_div_fixup_f32 v55, v55, v58, v56
	v_fmac_f32_e32 v58, v56, v55
	v_div_scale_f32 v56, null, v58, v58, 1.0
	v_rcp_f32_e32 v60, v56
	v_fma_f32 v61, -v56, v60, 1.0
	v_fmac_f32_e32 v60, v61, v60
	v_div_scale_f32 v61, vcc_lo, 1.0, v58, 1.0
	v_mul_f32_e32 v62, v61, v60
	v_fma_f32 v63, -v56, v62, v61
	v_fmac_f32_e32 v62, v63, v60
	v_fma_f32 v56, -v56, v62, v61
	v_div_fmas_f32 v56, v56, v60, v62
	v_div_fixup_f32 v56, v56, v58, 1.0
                                        ; implicit-def: $vgpr58
	v_mul_f32_e32 v61, v55, v56
	v_xor_b32_e32 v60, 0x80000000, v56
                                        ; implicit-def: $vgpr56
	v_xor_b32_e32 v55, 0x80000000, v61
.LBB90_15:
	s_andn2_saveexec_b32 s5, s5
	s_cbranch_execz .LBB90_17
; %bb.16:
	v_div_scale_f32 v55, null, v56, v56, v58
	v_div_scale_f32 v62, vcc_lo, v58, v56, v58
	v_rcp_f32_e32 v60, v55
	v_fma_f32 v61, -v55, v60, 1.0
	v_fmac_f32_e32 v60, v61, v60
	v_mul_f32_e32 v61, v62, v60
	v_fma_f32 v63, -v55, v61, v62
	v_fmac_f32_e32 v61, v63, v60
	v_fma_f32 v55, -v55, v61, v62
	v_div_fmas_f32 v55, v55, v60, v61
	v_div_fixup_f32 v60, v55, v56, v58
	v_fmac_f32_e32 v56, v58, v60
	v_div_scale_f32 v55, null, v56, v56, 1.0
	v_div_scale_f32 v62, vcc_lo, 1.0, v56, 1.0
	v_rcp_f32_e32 v58, v55
	v_fma_f32 v61, -v55, v58, 1.0
	v_fmac_f32_e32 v58, v61, v58
	v_mul_f32_e32 v61, v62, v58
	v_fma_f32 v63, -v55, v61, v62
	v_fmac_f32_e32 v61, v63, v58
	v_fma_f32 v55, -v55, v61, v62
	v_div_fmas_f32 v55, v55, v58, v61
	v_div_fixup_f32 v61, v55, v56, 1.0
	v_xor_b32_e32 v55, 0x80000000, v61
	v_mul_f32_e64 v60, v60, -v61
.LBB90_17:
	s_or_b32 exec_lo, exec_lo, s5
	buffer_store_dword v61, v59, s[0:3], 0 offen
	buffer_store_dword v60, v59, s[0:3], 0 offen offset:4
	s_clause 0x1
	buffer_load_dword v62, off, s[0:3], 0 offset:12
	buffer_load_dword v61, off, s[0:3], 0 offset:8
	v_xor_b32_e32 v56, 0x80000000, v60
	v_add_nc_u32_e32 v58, 0xe0, v57
	s_waitcnt vmcnt(0)
	ds_write2_b64 v57, v[55:56], v[61:62] offset1:28
	s_waitcnt lgkmcnt(0)
	s_waitcnt_vscnt null, 0x0
	s_barrier
	buffer_gl0_inv
	s_and_saveexec_b32 s5, s4
	s_cbranch_execz .LBB90_19
; %bb.18:
	s_clause 0x1
	buffer_load_dword v62, v59, s[0:3], 0 offen offset:4
	buffer_load_dword v63, v59, s[0:3], 0 offen
	ds_read_b64 v[55:56], v58
	v_mov_b32_e32 v60, 0
	ds_read_b64 v[60:61], v60 offset:8
	s_waitcnt vmcnt(1) lgkmcnt(1)
	v_mul_f32_e32 v64, v55, v62
	v_mul_f32_e32 v62, v56, v62
	s_waitcnt vmcnt(0)
	v_fmac_f32_e32 v64, v56, v63
	v_fma_f32 v55, v55, v63, -v62
	v_add_f32_e32 v56, 0, v64
	v_add_f32_e32 v55, 0, v55
	s_waitcnt lgkmcnt(0)
	v_mul_f32_e32 v62, v56, v61
	v_mul_f32_e32 v61, v55, v61
	v_fma_f32 v55, v55, v60, -v62
	v_fmac_f32_e32 v61, v56, v60
	buffer_store_dword v55, off, s[0:3], 0 offset:8
	buffer_store_dword v61, off, s[0:3], 0 offset:12
.LBB90_19:
	s_or_b32 exec_lo, exec_lo, s5
	s_waitcnt_vscnt null, 0x0
	s_barrier
	buffer_gl0_inv
	s_clause 0x1
	buffer_load_dword v55, off, s[0:3], 0 offset:16
	buffer_load_dword v56, off, s[0:3], 0 offset:20
	s_mov_b32 s5, exec_lo
	s_waitcnt vmcnt(0)
	ds_write_b64 v58, v[55:56]
	s_waitcnt lgkmcnt(0)
	s_barrier
	buffer_gl0_inv
	v_cmpx_gt_u32_e32 2, v0
	s_cbranch_execz .LBB90_23
; %bb.20:
	s_clause 0x1
	buffer_load_dword v60, v59, s[0:3], 0 offen offset:4
	buffer_load_dword v59, v59, s[0:3], 0 offen
	ds_read_b64 v[55:56], v58
	s_waitcnt vmcnt(1) lgkmcnt(0)
	v_mul_f32_e32 v61, v56, v60
	v_mul_f32_e32 v60, v55, v60
	s_waitcnt vmcnt(0)
	v_fma_f32 v55, v55, v59, -v61
	v_fmac_f32_e32 v60, v56, v59
	v_add_f32_e32 v56, 0, v55
	v_add_f32_e32 v55, 0, v60
	s_and_saveexec_b32 s8, s4
	s_cbranch_execz .LBB90_22
; %bb.21:
	s_clause 0x1
	buffer_load_dword v61, off, s[0:3], 0 offset:12
	buffer_load_dword v62, off, s[0:3], 0 offset:8
	v_mov_b32_e32 v59, 0
	ds_read_b64 v[59:60], v59 offset:232
	s_waitcnt vmcnt(1) lgkmcnt(0)
	v_mul_f32_e32 v63, v59, v61
	v_mul_f32_e32 v61, v60, v61
	s_waitcnt vmcnt(0)
	v_fmac_f32_e32 v63, v60, v62
	v_fma_f32 v59, v59, v62, -v61
	v_add_f32_e32 v55, v55, v63
	v_add_f32_e32 v56, v56, v59
.LBB90_22:
	s_or_b32 exec_lo, exec_lo, s8
	v_mov_b32_e32 v59, 0
	ds_read_b64 v[59:60], v59 offset:16
	s_waitcnt lgkmcnt(0)
	v_mul_f32_e32 v61, v55, v60
	v_mul_f32_e32 v60, v56, v60
	v_fma_f32 v56, v56, v59, -v61
	v_fmac_f32_e32 v60, v55, v59
	buffer_store_dword v56, off, s[0:3], 0 offset:16
	buffer_store_dword v60, off, s[0:3], 0 offset:20
.LBB90_23:
	s_or_b32 exec_lo, exec_lo, s5
	s_waitcnt_vscnt null, 0x0
	s_barrier
	buffer_gl0_inv
	s_clause 0x1
	buffer_load_dword v59, off, s[0:3], 0 offset:24
	buffer_load_dword v60, off, s[0:3], 0 offset:28
	v_add_nc_u32_e32 v55, -1, v0
	s_mov_b32 s4, exec_lo
	s_waitcnt vmcnt(0)
	ds_write_b64 v58, v[59:60]
	s_waitcnt lgkmcnt(0)
	s_barrier
	buffer_gl0_inv
	v_cmpx_gt_u32_e32 3, v0
	s_cbranch_execz .LBB90_27
; %bb.24:
	v_add_nc_u32_e32 v59, -1, v0
	v_add_nc_u32_e32 v60, 0xe0, v57
	v_mov_b32_e32 v61, v57
	v_mov_b32_e32 v56, 0
	;; [unrolled: 1-line block ×3, first 2 shown]
	s_mov_b32 s5, 0
	.p2align	6
.LBB90_25:                              ; =>This Inner Loop Header: Depth=1
	s_clause 0x1
	buffer_load_dword v65, v61, s[0:3], 0 offen offset:4
	buffer_load_dword v66, v61, s[0:3], 0 offen
	ds_read_b64 v[63:64], v60
	v_add_nc_u32_e32 v59, 1, v59
	v_add_nc_u32_e32 v60, 8, v60
	;; [unrolled: 1-line block ×3, first 2 shown]
	v_cmp_lt_u32_e32 vcc_lo, 1, v59
	s_or_b32 s5, vcc_lo, s5
	s_waitcnt vmcnt(1) lgkmcnt(0)
	v_mul_f32_e32 v67, v64, v65
	v_mul_f32_e32 v65, v63, v65
	s_waitcnt vmcnt(0)
	v_fma_f32 v63, v63, v66, -v67
	v_fmac_f32_e32 v65, v64, v66
	v_add_f32_e32 v62, v62, v63
	v_add_f32_e32 v56, v56, v65
	s_andn2_b32 exec_lo, exec_lo, s5
	s_cbranch_execnz .LBB90_25
; %bb.26:
	s_or_b32 exec_lo, exec_lo, s5
	v_mov_b32_e32 v59, 0
	ds_read_b64 v[59:60], v59 offset:24
	s_waitcnt lgkmcnt(0)
	v_mul_f32_e32 v61, v56, v60
	v_mul_f32_e32 v60, v62, v60
	v_fma_f32 v61, v62, v59, -v61
	v_fmac_f32_e32 v60, v56, v59
	buffer_store_dword v61, off, s[0:3], 0 offset:24
	buffer_store_dword v60, off, s[0:3], 0 offset:28
.LBB90_27:
	s_or_b32 exec_lo, exec_lo, s4
	s_waitcnt_vscnt null, 0x0
	s_barrier
	buffer_gl0_inv
	s_clause 0x1
	buffer_load_dword v59, off, s[0:3], 0 offset:32
	buffer_load_dword v60, off, s[0:3], 0 offset:36
	s_mov_b32 s4, exec_lo
	s_waitcnt vmcnt(0)
	ds_write_b64 v58, v[59:60]
	s_waitcnt lgkmcnt(0)
	s_barrier
	buffer_gl0_inv
	v_cmpx_gt_u32_e32 4, v0
	s_cbranch_execz .LBB90_31
; %bb.28:
	v_add_nc_u32_e32 v59, -1, v0
	v_add_nc_u32_e32 v60, 0xe0, v57
	v_mov_b32_e32 v61, v57
	v_mov_b32_e32 v56, 0
	;; [unrolled: 1-line block ×3, first 2 shown]
	s_mov_b32 s5, 0
	.p2align	6
.LBB90_29:                              ; =>This Inner Loop Header: Depth=1
	s_clause 0x1
	buffer_load_dword v65, v61, s[0:3], 0 offen offset:4
	buffer_load_dword v66, v61, s[0:3], 0 offen
	ds_read_b64 v[63:64], v60
	v_add_nc_u32_e32 v59, 1, v59
	v_add_nc_u32_e32 v60, 8, v60
	;; [unrolled: 1-line block ×3, first 2 shown]
	v_cmp_lt_u32_e32 vcc_lo, 2, v59
	s_or_b32 s5, vcc_lo, s5
	s_waitcnt vmcnt(1) lgkmcnt(0)
	v_mul_f32_e32 v67, v64, v65
	v_mul_f32_e32 v65, v63, v65
	s_waitcnt vmcnt(0)
	v_fma_f32 v63, v63, v66, -v67
	v_fmac_f32_e32 v65, v64, v66
	v_add_f32_e32 v62, v62, v63
	v_add_f32_e32 v56, v56, v65
	s_andn2_b32 exec_lo, exec_lo, s5
	s_cbranch_execnz .LBB90_29
; %bb.30:
	s_or_b32 exec_lo, exec_lo, s5
	v_mov_b32_e32 v59, 0
	ds_read_b64 v[59:60], v59 offset:32
	s_waitcnt lgkmcnt(0)
	v_mul_f32_e32 v61, v56, v60
	v_mul_f32_e32 v60, v62, v60
	v_fma_f32 v61, v62, v59, -v61
	v_fmac_f32_e32 v60, v56, v59
	buffer_store_dword v61, off, s[0:3], 0 offset:32
	buffer_store_dword v60, off, s[0:3], 0 offset:36
.LBB90_31:
	s_or_b32 exec_lo, exec_lo, s4
	s_waitcnt_vscnt null, 0x0
	s_barrier
	buffer_gl0_inv
	s_clause 0x1
	buffer_load_dword v59, off, s[0:3], 0 offset:40
	buffer_load_dword v60, off, s[0:3], 0 offset:44
	s_mov_b32 s4, exec_lo
	s_waitcnt vmcnt(0)
	ds_write_b64 v58, v[59:60]
	s_waitcnt lgkmcnt(0)
	s_barrier
	buffer_gl0_inv
	v_cmpx_gt_u32_e32 5, v0
	s_cbranch_execz .LBB90_35
; %bb.32:
	v_add_nc_u32_e32 v59, -1, v0
	v_add_nc_u32_e32 v60, 0xe0, v57
	v_mov_b32_e32 v61, v57
	v_mov_b32_e32 v56, 0
	;; [unrolled: 1-line block ×3, first 2 shown]
	s_mov_b32 s5, 0
	.p2align	6
.LBB90_33:                              ; =>This Inner Loop Header: Depth=1
	s_clause 0x1
	buffer_load_dword v65, v61, s[0:3], 0 offen offset:4
	buffer_load_dword v66, v61, s[0:3], 0 offen
	ds_read_b64 v[63:64], v60
	v_add_nc_u32_e32 v59, 1, v59
	v_add_nc_u32_e32 v60, 8, v60
	;; [unrolled: 1-line block ×3, first 2 shown]
	v_cmp_lt_u32_e32 vcc_lo, 3, v59
	s_or_b32 s5, vcc_lo, s5
	s_waitcnt vmcnt(1) lgkmcnt(0)
	v_mul_f32_e32 v67, v64, v65
	v_mul_f32_e32 v65, v63, v65
	s_waitcnt vmcnt(0)
	v_fma_f32 v63, v63, v66, -v67
	v_fmac_f32_e32 v65, v64, v66
	v_add_f32_e32 v62, v62, v63
	v_add_f32_e32 v56, v56, v65
	s_andn2_b32 exec_lo, exec_lo, s5
	s_cbranch_execnz .LBB90_33
; %bb.34:
	s_or_b32 exec_lo, exec_lo, s5
	v_mov_b32_e32 v59, 0
	ds_read_b64 v[59:60], v59 offset:40
	s_waitcnt lgkmcnt(0)
	v_mul_f32_e32 v61, v56, v60
	v_mul_f32_e32 v60, v62, v60
	v_fma_f32 v61, v62, v59, -v61
	v_fmac_f32_e32 v60, v56, v59
	buffer_store_dword v61, off, s[0:3], 0 offset:40
	buffer_store_dword v60, off, s[0:3], 0 offset:44
.LBB90_35:
	s_or_b32 exec_lo, exec_lo, s4
	s_waitcnt_vscnt null, 0x0
	s_barrier
	buffer_gl0_inv
	s_clause 0x1
	buffer_load_dword v59, off, s[0:3], 0 offset:48
	buffer_load_dword v60, off, s[0:3], 0 offset:52
	s_mov_b32 s4, exec_lo
	s_waitcnt vmcnt(0)
	ds_write_b64 v58, v[59:60]
	s_waitcnt lgkmcnt(0)
	s_barrier
	buffer_gl0_inv
	v_cmpx_gt_u32_e32 6, v0
	s_cbranch_execz .LBB90_39
; %bb.36:
	v_add_nc_u32_e32 v59, -1, v0
	v_add_nc_u32_e32 v60, 0xe0, v57
	v_mov_b32_e32 v61, v57
	v_mov_b32_e32 v56, 0
	;; [unrolled: 1-line block ×3, first 2 shown]
	s_mov_b32 s5, 0
	.p2align	6
.LBB90_37:                              ; =>This Inner Loop Header: Depth=1
	s_clause 0x1
	buffer_load_dword v65, v61, s[0:3], 0 offen offset:4
	buffer_load_dword v66, v61, s[0:3], 0 offen
	ds_read_b64 v[63:64], v60
	v_add_nc_u32_e32 v59, 1, v59
	v_add_nc_u32_e32 v60, 8, v60
	;; [unrolled: 1-line block ×3, first 2 shown]
	v_cmp_lt_u32_e32 vcc_lo, 4, v59
	s_or_b32 s5, vcc_lo, s5
	s_waitcnt vmcnt(1) lgkmcnt(0)
	v_mul_f32_e32 v67, v64, v65
	v_mul_f32_e32 v65, v63, v65
	s_waitcnt vmcnt(0)
	v_fma_f32 v63, v63, v66, -v67
	v_fmac_f32_e32 v65, v64, v66
	v_add_f32_e32 v62, v62, v63
	v_add_f32_e32 v56, v56, v65
	s_andn2_b32 exec_lo, exec_lo, s5
	s_cbranch_execnz .LBB90_37
; %bb.38:
	s_or_b32 exec_lo, exec_lo, s5
	v_mov_b32_e32 v59, 0
	ds_read_b64 v[59:60], v59 offset:48
	s_waitcnt lgkmcnt(0)
	v_mul_f32_e32 v61, v56, v60
	v_mul_f32_e32 v60, v62, v60
	v_fma_f32 v61, v62, v59, -v61
	v_fmac_f32_e32 v60, v56, v59
	buffer_store_dword v61, off, s[0:3], 0 offset:48
	buffer_store_dword v60, off, s[0:3], 0 offset:52
.LBB90_39:
	s_or_b32 exec_lo, exec_lo, s4
	s_waitcnt_vscnt null, 0x0
	s_barrier
	buffer_gl0_inv
	s_clause 0x1
	buffer_load_dword v59, off, s[0:3], 0 offset:56
	buffer_load_dword v60, off, s[0:3], 0 offset:60
	s_mov_b32 s4, exec_lo
	s_waitcnt vmcnt(0)
	ds_write_b64 v58, v[59:60]
	s_waitcnt lgkmcnt(0)
	s_barrier
	buffer_gl0_inv
	v_cmpx_gt_u32_e32 7, v0
	s_cbranch_execz .LBB90_43
; %bb.40:
	v_add_nc_u32_e32 v59, -1, v0
	v_add_nc_u32_e32 v60, 0xe0, v57
	v_mov_b32_e32 v61, v57
	v_mov_b32_e32 v56, 0
	;; [unrolled: 1-line block ×3, first 2 shown]
	s_mov_b32 s5, 0
	.p2align	6
.LBB90_41:                              ; =>This Inner Loop Header: Depth=1
	s_clause 0x1
	buffer_load_dword v65, v61, s[0:3], 0 offen offset:4
	buffer_load_dword v66, v61, s[0:3], 0 offen
	ds_read_b64 v[63:64], v60
	v_add_nc_u32_e32 v59, 1, v59
	v_add_nc_u32_e32 v60, 8, v60
	;; [unrolled: 1-line block ×3, first 2 shown]
	v_cmp_lt_u32_e32 vcc_lo, 5, v59
	s_or_b32 s5, vcc_lo, s5
	s_waitcnt vmcnt(1) lgkmcnt(0)
	v_mul_f32_e32 v67, v64, v65
	v_mul_f32_e32 v65, v63, v65
	s_waitcnt vmcnt(0)
	v_fma_f32 v63, v63, v66, -v67
	v_fmac_f32_e32 v65, v64, v66
	v_add_f32_e32 v62, v62, v63
	v_add_f32_e32 v56, v56, v65
	s_andn2_b32 exec_lo, exec_lo, s5
	s_cbranch_execnz .LBB90_41
; %bb.42:
	s_or_b32 exec_lo, exec_lo, s5
	v_mov_b32_e32 v59, 0
	ds_read_b64 v[59:60], v59 offset:56
	s_waitcnt lgkmcnt(0)
	v_mul_f32_e32 v61, v56, v60
	v_mul_f32_e32 v60, v62, v60
	v_fma_f32 v61, v62, v59, -v61
	v_fmac_f32_e32 v60, v56, v59
	buffer_store_dword v61, off, s[0:3], 0 offset:56
	buffer_store_dword v60, off, s[0:3], 0 offset:60
.LBB90_43:
	s_or_b32 exec_lo, exec_lo, s4
	s_waitcnt_vscnt null, 0x0
	s_barrier
	buffer_gl0_inv
	s_clause 0x1
	buffer_load_dword v59, off, s[0:3], 0 offset:64
	buffer_load_dword v60, off, s[0:3], 0 offset:68
	s_mov_b32 s4, exec_lo
	s_waitcnt vmcnt(0)
	ds_write_b64 v58, v[59:60]
	s_waitcnt lgkmcnt(0)
	s_barrier
	buffer_gl0_inv
	v_cmpx_gt_u32_e32 8, v0
	s_cbranch_execz .LBB90_47
; %bb.44:
	v_add_nc_u32_e32 v59, -1, v0
	v_add_nc_u32_e32 v60, 0xe0, v57
	v_mov_b32_e32 v61, v57
	v_mov_b32_e32 v56, 0
	;; [unrolled: 1-line block ×3, first 2 shown]
	s_mov_b32 s5, 0
	.p2align	6
.LBB90_45:                              ; =>This Inner Loop Header: Depth=1
	s_clause 0x1
	buffer_load_dword v65, v61, s[0:3], 0 offen offset:4
	buffer_load_dword v66, v61, s[0:3], 0 offen
	ds_read_b64 v[63:64], v60
	v_add_nc_u32_e32 v59, 1, v59
	v_add_nc_u32_e32 v60, 8, v60
	;; [unrolled: 1-line block ×3, first 2 shown]
	v_cmp_lt_u32_e32 vcc_lo, 6, v59
	s_or_b32 s5, vcc_lo, s5
	s_waitcnt vmcnt(1) lgkmcnt(0)
	v_mul_f32_e32 v67, v64, v65
	v_mul_f32_e32 v65, v63, v65
	s_waitcnt vmcnt(0)
	v_fma_f32 v63, v63, v66, -v67
	v_fmac_f32_e32 v65, v64, v66
	v_add_f32_e32 v62, v62, v63
	v_add_f32_e32 v56, v56, v65
	s_andn2_b32 exec_lo, exec_lo, s5
	s_cbranch_execnz .LBB90_45
; %bb.46:
	s_or_b32 exec_lo, exec_lo, s5
	v_mov_b32_e32 v59, 0
	ds_read_b64 v[59:60], v59 offset:64
	s_waitcnt lgkmcnt(0)
	v_mul_f32_e32 v61, v56, v60
	v_mul_f32_e32 v60, v62, v60
	v_fma_f32 v61, v62, v59, -v61
	v_fmac_f32_e32 v60, v56, v59
	buffer_store_dword v61, off, s[0:3], 0 offset:64
	buffer_store_dword v60, off, s[0:3], 0 offset:68
.LBB90_47:
	s_or_b32 exec_lo, exec_lo, s4
	s_waitcnt_vscnt null, 0x0
	s_barrier
	buffer_gl0_inv
	s_clause 0x1
	buffer_load_dword v59, off, s[0:3], 0 offset:72
	buffer_load_dword v60, off, s[0:3], 0 offset:76
	s_mov_b32 s4, exec_lo
	s_waitcnt vmcnt(0)
	ds_write_b64 v58, v[59:60]
	s_waitcnt lgkmcnt(0)
	s_barrier
	buffer_gl0_inv
	v_cmpx_gt_u32_e32 9, v0
	s_cbranch_execz .LBB90_51
; %bb.48:
	v_add_nc_u32_e32 v59, -1, v0
	v_add_nc_u32_e32 v60, 0xe0, v57
	v_mov_b32_e32 v61, v57
	v_mov_b32_e32 v56, 0
	;; [unrolled: 1-line block ×3, first 2 shown]
	s_mov_b32 s5, 0
	.p2align	6
.LBB90_49:                              ; =>This Inner Loop Header: Depth=1
	s_clause 0x1
	buffer_load_dword v65, v61, s[0:3], 0 offen offset:4
	buffer_load_dword v66, v61, s[0:3], 0 offen
	ds_read_b64 v[63:64], v60
	v_add_nc_u32_e32 v59, 1, v59
	v_add_nc_u32_e32 v60, 8, v60
	;; [unrolled: 1-line block ×3, first 2 shown]
	v_cmp_lt_u32_e32 vcc_lo, 7, v59
	s_or_b32 s5, vcc_lo, s5
	s_waitcnt vmcnt(1) lgkmcnt(0)
	v_mul_f32_e32 v67, v64, v65
	v_mul_f32_e32 v65, v63, v65
	s_waitcnt vmcnt(0)
	v_fma_f32 v63, v63, v66, -v67
	v_fmac_f32_e32 v65, v64, v66
	v_add_f32_e32 v62, v62, v63
	v_add_f32_e32 v56, v56, v65
	s_andn2_b32 exec_lo, exec_lo, s5
	s_cbranch_execnz .LBB90_49
; %bb.50:
	s_or_b32 exec_lo, exec_lo, s5
	v_mov_b32_e32 v59, 0
	ds_read_b64 v[59:60], v59 offset:72
	s_waitcnt lgkmcnt(0)
	v_mul_f32_e32 v61, v56, v60
	v_mul_f32_e32 v60, v62, v60
	v_fma_f32 v61, v62, v59, -v61
	v_fmac_f32_e32 v60, v56, v59
	buffer_store_dword v61, off, s[0:3], 0 offset:72
	buffer_store_dword v60, off, s[0:3], 0 offset:76
.LBB90_51:
	s_or_b32 exec_lo, exec_lo, s4
	s_waitcnt_vscnt null, 0x0
	s_barrier
	buffer_gl0_inv
	s_clause 0x1
	buffer_load_dword v59, off, s[0:3], 0 offset:80
	buffer_load_dword v60, off, s[0:3], 0 offset:84
	s_mov_b32 s4, exec_lo
	s_waitcnt vmcnt(0)
	ds_write_b64 v58, v[59:60]
	s_waitcnt lgkmcnt(0)
	s_barrier
	buffer_gl0_inv
	v_cmpx_gt_u32_e32 10, v0
	s_cbranch_execz .LBB90_55
; %bb.52:
	v_add_nc_u32_e32 v59, -1, v0
	v_add_nc_u32_e32 v60, 0xe0, v57
	v_mov_b32_e32 v61, v57
	v_mov_b32_e32 v56, 0
	;; [unrolled: 1-line block ×3, first 2 shown]
	s_mov_b32 s5, 0
	.p2align	6
.LBB90_53:                              ; =>This Inner Loop Header: Depth=1
	s_clause 0x1
	buffer_load_dword v65, v61, s[0:3], 0 offen offset:4
	buffer_load_dword v66, v61, s[0:3], 0 offen
	ds_read_b64 v[63:64], v60
	v_add_nc_u32_e32 v59, 1, v59
	v_add_nc_u32_e32 v60, 8, v60
	v_add_nc_u32_e32 v61, 8, v61
	v_cmp_lt_u32_e32 vcc_lo, 8, v59
	s_or_b32 s5, vcc_lo, s5
	s_waitcnt vmcnt(1) lgkmcnt(0)
	v_mul_f32_e32 v67, v64, v65
	v_mul_f32_e32 v65, v63, v65
	s_waitcnt vmcnt(0)
	v_fma_f32 v63, v63, v66, -v67
	v_fmac_f32_e32 v65, v64, v66
	v_add_f32_e32 v62, v62, v63
	v_add_f32_e32 v56, v56, v65
	s_andn2_b32 exec_lo, exec_lo, s5
	s_cbranch_execnz .LBB90_53
; %bb.54:
	s_or_b32 exec_lo, exec_lo, s5
	v_mov_b32_e32 v59, 0
	ds_read_b64 v[59:60], v59 offset:80
	s_waitcnt lgkmcnt(0)
	v_mul_f32_e32 v61, v56, v60
	v_mul_f32_e32 v60, v62, v60
	v_fma_f32 v61, v62, v59, -v61
	v_fmac_f32_e32 v60, v56, v59
	buffer_store_dword v61, off, s[0:3], 0 offset:80
	buffer_store_dword v60, off, s[0:3], 0 offset:84
.LBB90_55:
	s_or_b32 exec_lo, exec_lo, s4
	s_waitcnt_vscnt null, 0x0
	s_barrier
	buffer_gl0_inv
	s_clause 0x1
	buffer_load_dword v59, off, s[0:3], 0 offset:88
	buffer_load_dword v60, off, s[0:3], 0 offset:92
	s_mov_b32 s4, exec_lo
	s_waitcnt vmcnt(0)
	ds_write_b64 v58, v[59:60]
	s_waitcnt lgkmcnt(0)
	s_barrier
	buffer_gl0_inv
	v_cmpx_gt_u32_e32 11, v0
	s_cbranch_execz .LBB90_59
; %bb.56:
	v_add_nc_u32_e32 v59, -1, v0
	v_add_nc_u32_e32 v60, 0xe0, v57
	v_mov_b32_e32 v61, v57
	v_mov_b32_e32 v56, 0
	;; [unrolled: 1-line block ×3, first 2 shown]
	s_mov_b32 s5, 0
	.p2align	6
.LBB90_57:                              ; =>This Inner Loop Header: Depth=1
	s_clause 0x1
	buffer_load_dword v65, v61, s[0:3], 0 offen offset:4
	buffer_load_dword v66, v61, s[0:3], 0 offen
	ds_read_b64 v[63:64], v60
	v_add_nc_u32_e32 v59, 1, v59
	v_add_nc_u32_e32 v60, 8, v60
	;; [unrolled: 1-line block ×3, first 2 shown]
	v_cmp_lt_u32_e32 vcc_lo, 9, v59
	s_or_b32 s5, vcc_lo, s5
	s_waitcnt vmcnt(1) lgkmcnt(0)
	v_mul_f32_e32 v67, v64, v65
	v_mul_f32_e32 v65, v63, v65
	s_waitcnt vmcnt(0)
	v_fma_f32 v63, v63, v66, -v67
	v_fmac_f32_e32 v65, v64, v66
	v_add_f32_e32 v62, v62, v63
	v_add_f32_e32 v56, v56, v65
	s_andn2_b32 exec_lo, exec_lo, s5
	s_cbranch_execnz .LBB90_57
; %bb.58:
	s_or_b32 exec_lo, exec_lo, s5
	v_mov_b32_e32 v59, 0
	ds_read_b64 v[59:60], v59 offset:88
	s_waitcnt lgkmcnt(0)
	v_mul_f32_e32 v61, v56, v60
	v_mul_f32_e32 v60, v62, v60
	v_fma_f32 v61, v62, v59, -v61
	v_fmac_f32_e32 v60, v56, v59
	buffer_store_dword v61, off, s[0:3], 0 offset:88
	buffer_store_dword v60, off, s[0:3], 0 offset:92
.LBB90_59:
	s_or_b32 exec_lo, exec_lo, s4
	s_waitcnt_vscnt null, 0x0
	s_barrier
	buffer_gl0_inv
	s_clause 0x1
	buffer_load_dword v59, off, s[0:3], 0 offset:96
	buffer_load_dword v60, off, s[0:3], 0 offset:100
	s_mov_b32 s4, exec_lo
	s_waitcnt vmcnt(0)
	ds_write_b64 v58, v[59:60]
	s_waitcnt lgkmcnt(0)
	s_barrier
	buffer_gl0_inv
	v_cmpx_gt_u32_e32 12, v0
	s_cbranch_execz .LBB90_63
; %bb.60:
	v_add_nc_u32_e32 v59, -1, v0
	v_add_nc_u32_e32 v60, 0xe0, v57
	v_mov_b32_e32 v61, v57
	v_mov_b32_e32 v56, 0
	;; [unrolled: 1-line block ×3, first 2 shown]
	s_mov_b32 s5, 0
	.p2align	6
.LBB90_61:                              ; =>This Inner Loop Header: Depth=1
	s_clause 0x1
	buffer_load_dword v65, v61, s[0:3], 0 offen offset:4
	buffer_load_dword v66, v61, s[0:3], 0 offen
	ds_read_b64 v[63:64], v60
	v_add_nc_u32_e32 v59, 1, v59
	v_add_nc_u32_e32 v60, 8, v60
	;; [unrolled: 1-line block ×3, first 2 shown]
	v_cmp_lt_u32_e32 vcc_lo, 10, v59
	s_or_b32 s5, vcc_lo, s5
	s_waitcnt vmcnt(1) lgkmcnt(0)
	v_mul_f32_e32 v67, v64, v65
	v_mul_f32_e32 v65, v63, v65
	s_waitcnt vmcnt(0)
	v_fma_f32 v63, v63, v66, -v67
	v_fmac_f32_e32 v65, v64, v66
	v_add_f32_e32 v62, v62, v63
	v_add_f32_e32 v56, v56, v65
	s_andn2_b32 exec_lo, exec_lo, s5
	s_cbranch_execnz .LBB90_61
; %bb.62:
	s_or_b32 exec_lo, exec_lo, s5
	v_mov_b32_e32 v59, 0
	ds_read_b64 v[59:60], v59 offset:96
	s_waitcnt lgkmcnt(0)
	v_mul_f32_e32 v61, v56, v60
	v_mul_f32_e32 v60, v62, v60
	v_fma_f32 v61, v62, v59, -v61
	v_fmac_f32_e32 v60, v56, v59
	buffer_store_dword v61, off, s[0:3], 0 offset:96
	buffer_store_dword v60, off, s[0:3], 0 offset:100
.LBB90_63:
	s_or_b32 exec_lo, exec_lo, s4
	s_waitcnt_vscnt null, 0x0
	s_barrier
	buffer_gl0_inv
	s_clause 0x1
	buffer_load_dword v59, off, s[0:3], 0 offset:104
	buffer_load_dword v60, off, s[0:3], 0 offset:108
	s_mov_b32 s4, exec_lo
	s_waitcnt vmcnt(0)
	ds_write_b64 v58, v[59:60]
	s_waitcnt lgkmcnt(0)
	s_barrier
	buffer_gl0_inv
	v_cmpx_gt_u32_e32 13, v0
	s_cbranch_execz .LBB90_67
; %bb.64:
	v_add_nc_u32_e32 v59, -1, v0
	v_add_nc_u32_e32 v60, 0xe0, v57
	v_mov_b32_e32 v61, v57
	v_mov_b32_e32 v56, 0
	;; [unrolled: 1-line block ×3, first 2 shown]
	s_mov_b32 s5, 0
	.p2align	6
.LBB90_65:                              ; =>This Inner Loop Header: Depth=1
	s_clause 0x1
	buffer_load_dword v65, v61, s[0:3], 0 offen offset:4
	buffer_load_dword v66, v61, s[0:3], 0 offen
	ds_read_b64 v[63:64], v60
	v_add_nc_u32_e32 v59, 1, v59
	v_add_nc_u32_e32 v60, 8, v60
	;; [unrolled: 1-line block ×3, first 2 shown]
	v_cmp_lt_u32_e32 vcc_lo, 11, v59
	s_or_b32 s5, vcc_lo, s5
	s_waitcnt vmcnt(1) lgkmcnt(0)
	v_mul_f32_e32 v67, v64, v65
	v_mul_f32_e32 v65, v63, v65
	s_waitcnt vmcnt(0)
	v_fma_f32 v63, v63, v66, -v67
	v_fmac_f32_e32 v65, v64, v66
	v_add_f32_e32 v62, v62, v63
	v_add_f32_e32 v56, v56, v65
	s_andn2_b32 exec_lo, exec_lo, s5
	s_cbranch_execnz .LBB90_65
; %bb.66:
	s_or_b32 exec_lo, exec_lo, s5
	v_mov_b32_e32 v59, 0
	ds_read_b64 v[59:60], v59 offset:104
	s_waitcnt lgkmcnt(0)
	v_mul_f32_e32 v61, v56, v60
	v_mul_f32_e32 v60, v62, v60
	v_fma_f32 v61, v62, v59, -v61
	v_fmac_f32_e32 v60, v56, v59
	buffer_store_dword v61, off, s[0:3], 0 offset:104
	buffer_store_dword v60, off, s[0:3], 0 offset:108
.LBB90_67:
	s_or_b32 exec_lo, exec_lo, s4
	s_waitcnt_vscnt null, 0x0
	s_barrier
	buffer_gl0_inv
	s_clause 0x1
	buffer_load_dword v59, off, s[0:3], 0 offset:112
	buffer_load_dword v60, off, s[0:3], 0 offset:116
	s_mov_b32 s4, exec_lo
	s_waitcnt vmcnt(0)
	ds_write_b64 v58, v[59:60]
	s_waitcnt lgkmcnt(0)
	s_barrier
	buffer_gl0_inv
	v_cmpx_gt_u32_e32 14, v0
	s_cbranch_execz .LBB90_71
; %bb.68:
	v_add_nc_u32_e32 v59, -1, v0
	v_add_nc_u32_e32 v60, 0xe0, v57
	v_mov_b32_e32 v61, v57
	v_mov_b32_e32 v56, 0
	;; [unrolled: 1-line block ×3, first 2 shown]
	s_mov_b32 s5, 0
	.p2align	6
.LBB90_69:                              ; =>This Inner Loop Header: Depth=1
	s_clause 0x1
	buffer_load_dword v65, v61, s[0:3], 0 offen offset:4
	buffer_load_dword v66, v61, s[0:3], 0 offen
	ds_read_b64 v[63:64], v60
	v_add_nc_u32_e32 v59, 1, v59
	v_add_nc_u32_e32 v60, 8, v60
	;; [unrolled: 1-line block ×3, first 2 shown]
	v_cmp_lt_u32_e32 vcc_lo, 12, v59
	s_or_b32 s5, vcc_lo, s5
	s_waitcnt vmcnt(1) lgkmcnt(0)
	v_mul_f32_e32 v67, v64, v65
	v_mul_f32_e32 v65, v63, v65
	s_waitcnt vmcnt(0)
	v_fma_f32 v63, v63, v66, -v67
	v_fmac_f32_e32 v65, v64, v66
	v_add_f32_e32 v62, v62, v63
	v_add_f32_e32 v56, v56, v65
	s_andn2_b32 exec_lo, exec_lo, s5
	s_cbranch_execnz .LBB90_69
; %bb.70:
	s_or_b32 exec_lo, exec_lo, s5
	v_mov_b32_e32 v59, 0
	ds_read_b64 v[59:60], v59 offset:112
	s_waitcnt lgkmcnt(0)
	v_mul_f32_e32 v61, v56, v60
	v_mul_f32_e32 v60, v62, v60
	v_fma_f32 v61, v62, v59, -v61
	v_fmac_f32_e32 v60, v56, v59
	buffer_store_dword v61, off, s[0:3], 0 offset:112
	buffer_store_dword v60, off, s[0:3], 0 offset:116
.LBB90_71:
	s_or_b32 exec_lo, exec_lo, s4
	s_waitcnt_vscnt null, 0x0
	s_barrier
	buffer_gl0_inv
	s_clause 0x1
	buffer_load_dword v59, off, s[0:3], 0 offset:120
	buffer_load_dword v60, off, s[0:3], 0 offset:124
	s_mov_b32 s4, exec_lo
	s_waitcnt vmcnt(0)
	ds_write_b64 v58, v[59:60]
	s_waitcnt lgkmcnt(0)
	s_barrier
	buffer_gl0_inv
	v_cmpx_gt_u32_e32 15, v0
	s_cbranch_execz .LBB90_75
; %bb.72:
	v_add_nc_u32_e32 v59, -1, v0
	v_add_nc_u32_e32 v60, 0xe0, v57
	v_mov_b32_e32 v61, v57
	v_mov_b32_e32 v56, 0
	;; [unrolled: 1-line block ×3, first 2 shown]
	s_mov_b32 s5, 0
	.p2align	6
.LBB90_73:                              ; =>This Inner Loop Header: Depth=1
	s_clause 0x1
	buffer_load_dword v65, v61, s[0:3], 0 offen offset:4
	buffer_load_dword v66, v61, s[0:3], 0 offen
	ds_read_b64 v[63:64], v60
	v_add_nc_u32_e32 v59, 1, v59
	v_add_nc_u32_e32 v60, 8, v60
	;; [unrolled: 1-line block ×3, first 2 shown]
	v_cmp_lt_u32_e32 vcc_lo, 13, v59
	s_or_b32 s5, vcc_lo, s5
	s_waitcnt vmcnt(1) lgkmcnt(0)
	v_mul_f32_e32 v67, v64, v65
	v_mul_f32_e32 v65, v63, v65
	s_waitcnt vmcnt(0)
	v_fma_f32 v63, v63, v66, -v67
	v_fmac_f32_e32 v65, v64, v66
	v_add_f32_e32 v62, v62, v63
	v_add_f32_e32 v56, v56, v65
	s_andn2_b32 exec_lo, exec_lo, s5
	s_cbranch_execnz .LBB90_73
; %bb.74:
	s_or_b32 exec_lo, exec_lo, s5
	v_mov_b32_e32 v59, 0
	ds_read_b64 v[59:60], v59 offset:120
	s_waitcnt lgkmcnt(0)
	v_mul_f32_e32 v61, v56, v60
	v_mul_f32_e32 v60, v62, v60
	v_fma_f32 v61, v62, v59, -v61
	v_fmac_f32_e32 v60, v56, v59
	buffer_store_dword v61, off, s[0:3], 0 offset:120
	buffer_store_dword v60, off, s[0:3], 0 offset:124
.LBB90_75:
	s_or_b32 exec_lo, exec_lo, s4
	s_waitcnt_vscnt null, 0x0
	s_barrier
	buffer_gl0_inv
	s_clause 0x1
	buffer_load_dword v59, off, s[0:3], 0 offset:128
	buffer_load_dword v60, off, s[0:3], 0 offset:132
	s_mov_b32 s4, exec_lo
	s_waitcnt vmcnt(0)
	ds_write_b64 v58, v[59:60]
	s_waitcnt lgkmcnt(0)
	s_barrier
	buffer_gl0_inv
	v_cmpx_gt_u32_e32 16, v0
	s_cbranch_execz .LBB90_79
; %bb.76:
	v_add_nc_u32_e32 v59, -1, v0
	v_add_nc_u32_e32 v60, 0xe0, v57
	v_mov_b32_e32 v61, v57
	v_mov_b32_e32 v56, 0
	;; [unrolled: 1-line block ×3, first 2 shown]
	s_mov_b32 s5, 0
	.p2align	6
.LBB90_77:                              ; =>This Inner Loop Header: Depth=1
	s_clause 0x1
	buffer_load_dword v65, v61, s[0:3], 0 offen offset:4
	buffer_load_dword v66, v61, s[0:3], 0 offen
	ds_read_b64 v[63:64], v60
	v_add_nc_u32_e32 v59, 1, v59
	v_add_nc_u32_e32 v60, 8, v60
	;; [unrolled: 1-line block ×3, first 2 shown]
	v_cmp_lt_u32_e32 vcc_lo, 14, v59
	s_or_b32 s5, vcc_lo, s5
	s_waitcnt vmcnt(1) lgkmcnt(0)
	v_mul_f32_e32 v67, v64, v65
	v_mul_f32_e32 v65, v63, v65
	s_waitcnt vmcnt(0)
	v_fma_f32 v63, v63, v66, -v67
	v_fmac_f32_e32 v65, v64, v66
	v_add_f32_e32 v62, v62, v63
	v_add_f32_e32 v56, v56, v65
	s_andn2_b32 exec_lo, exec_lo, s5
	s_cbranch_execnz .LBB90_77
; %bb.78:
	s_or_b32 exec_lo, exec_lo, s5
	v_mov_b32_e32 v59, 0
	ds_read_b64 v[59:60], v59 offset:128
	s_waitcnt lgkmcnt(0)
	v_mul_f32_e32 v61, v56, v60
	v_mul_f32_e32 v60, v62, v60
	v_fma_f32 v61, v62, v59, -v61
	v_fmac_f32_e32 v60, v56, v59
	buffer_store_dword v61, off, s[0:3], 0 offset:128
	buffer_store_dword v60, off, s[0:3], 0 offset:132
.LBB90_79:
	s_or_b32 exec_lo, exec_lo, s4
	s_waitcnt_vscnt null, 0x0
	s_barrier
	buffer_gl0_inv
	s_clause 0x1
	buffer_load_dword v59, off, s[0:3], 0 offset:136
	buffer_load_dword v60, off, s[0:3], 0 offset:140
	s_mov_b32 s4, exec_lo
	s_waitcnt vmcnt(0)
	ds_write_b64 v58, v[59:60]
	s_waitcnt lgkmcnt(0)
	s_barrier
	buffer_gl0_inv
	v_cmpx_gt_u32_e32 17, v0
	s_cbranch_execz .LBB90_83
; %bb.80:
	v_add_nc_u32_e32 v59, -1, v0
	v_add_nc_u32_e32 v60, 0xe0, v57
	v_mov_b32_e32 v61, v57
	v_mov_b32_e32 v56, 0
	;; [unrolled: 1-line block ×3, first 2 shown]
	s_mov_b32 s5, 0
	.p2align	6
.LBB90_81:                              ; =>This Inner Loop Header: Depth=1
	s_clause 0x1
	buffer_load_dword v65, v61, s[0:3], 0 offen offset:4
	buffer_load_dword v66, v61, s[0:3], 0 offen
	ds_read_b64 v[63:64], v60
	v_add_nc_u32_e32 v59, 1, v59
	v_add_nc_u32_e32 v60, 8, v60
	v_add_nc_u32_e32 v61, 8, v61
	v_cmp_lt_u32_e32 vcc_lo, 15, v59
	s_or_b32 s5, vcc_lo, s5
	s_waitcnt vmcnt(1) lgkmcnt(0)
	v_mul_f32_e32 v67, v64, v65
	v_mul_f32_e32 v65, v63, v65
	s_waitcnt vmcnt(0)
	v_fma_f32 v63, v63, v66, -v67
	v_fmac_f32_e32 v65, v64, v66
	v_add_f32_e32 v62, v62, v63
	v_add_f32_e32 v56, v56, v65
	s_andn2_b32 exec_lo, exec_lo, s5
	s_cbranch_execnz .LBB90_81
; %bb.82:
	s_or_b32 exec_lo, exec_lo, s5
	v_mov_b32_e32 v59, 0
	ds_read_b64 v[59:60], v59 offset:136
	s_waitcnt lgkmcnt(0)
	v_mul_f32_e32 v61, v56, v60
	v_mul_f32_e32 v60, v62, v60
	v_fma_f32 v61, v62, v59, -v61
	v_fmac_f32_e32 v60, v56, v59
	buffer_store_dword v61, off, s[0:3], 0 offset:136
	buffer_store_dword v60, off, s[0:3], 0 offset:140
.LBB90_83:
	s_or_b32 exec_lo, exec_lo, s4
	s_waitcnt_vscnt null, 0x0
	s_barrier
	buffer_gl0_inv
	s_clause 0x1
	buffer_load_dword v59, off, s[0:3], 0 offset:144
	buffer_load_dword v60, off, s[0:3], 0 offset:148
	s_mov_b32 s4, exec_lo
	s_waitcnt vmcnt(0)
	ds_write_b64 v58, v[59:60]
	s_waitcnt lgkmcnt(0)
	s_barrier
	buffer_gl0_inv
	v_cmpx_gt_u32_e32 18, v0
	s_cbranch_execz .LBB90_87
; %bb.84:
	v_add_nc_u32_e32 v59, -1, v0
	v_add_nc_u32_e32 v60, 0xe0, v57
	v_mov_b32_e32 v61, v57
	v_mov_b32_e32 v56, 0
	;; [unrolled: 1-line block ×3, first 2 shown]
	s_mov_b32 s5, 0
	.p2align	6
.LBB90_85:                              ; =>This Inner Loop Header: Depth=1
	s_clause 0x1
	buffer_load_dword v65, v61, s[0:3], 0 offen offset:4
	buffer_load_dword v66, v61, s[0:3], 0 offen
	ds_read_b64 v[63:64], v60
	v_add_nc_u32_e32 v59, 1, v59
	v_add_nc_u32_e32 v60, 8, v60
	;; [unrolled: 1-line block ×3, first 2 shown]
	v_cmp_lt_u32_e32 vcc_lo, 16, v59
	s_or_b32 s5, vcc_lo, s5
	s_waitcnt vmcnt(1) lgkmcnt(0)
	v_mul_f32_e32 v67, v64, v65
	v_mul_f32_e32 v65, v63, v65
	s_waitcnt vmcnt(0)
	v_fma_f32 v63, v63, v66, -v67
	v_fmac_f32_e32 v65, v64, v66
	v_add_f32_e32 v62, v62, v63
	v_add_f32_e32 v56, v56, v65
	s_andn2_b32 exec_lo, exec_lo, s5
	s_cbranch_execnz .LBB90_85
; %bb.86:
	s_or_b32 exec_lo, exec_lo, s5
	v_mov_b32_e32 v59, 0
	ds_read_b64 v[59:60], v59 offset:144
	s_waitcnt lgkmcnt(0)
	v_mul_f32_e32 v61, v56, v60
	v_mul_f32_e32 v60, v62, v60
	v_fma_f32 v61, v62, v59, -v61
	v_fmac_f32_e32 v60, v56, v59
	buffer_store_dword v61, off, s[0:3], 0 offset:144
	buffer_store_dword v60, off, s[0:3], 0 offset:148
.LBB90_87:
	s_or_b32 exec_lo, exec_lo, s4
	s_waitcnt_vscnt null, 0x0
	s_barrier
	buffer_gl0_inv
	s_clause 0x1
	buffer_load_dword v59, off, s[0:3], 0 offset:152
	buffer_load_dword v60, off, s[0:3], 0 offset:156
	s_mov_b32 s4, exec_lo
	s_waitcnt vmcnt(0)
	ds_write_b64 v58, v[59:60]
	s_waitcnt lgkmcnt(0)
	s_barrier
	buffer_gl0_inv
	v_cmpx_gt_u32_e32 19, v0
	s_cbranch_execz .LBB90_91
; %bb.88:
	v_add_nc_u32_e32 v59, -1, v0
	v_add_nc_u32_e32 v60, 0xe0, v57
	v_mov_b32_e32 v61, v57
	v_mov_b32_e32 v56, 0
	;; [unrolled: 1-line block ×3, first 2 shown]
	s_mov_b32 s5, 0
	.p2align	6
.LBB90_89:                              ; =>This Inner Loop Header: Depth=1
	s_clause 0x1
	buffer_load_dword v65, v61, s[0:3], 0 offen offset:4
	buffer_load_dword v66, v61, s[0:3], 0 offen
	ds_read_b64 v[63:64], v60
	v_add_nc_u32_e32 v59, 1, v59
	v_add_nc_u32_e32 v60, 8, v60
	;; [unrolled: 1-line block ×3, first 2 shown]
	v_cmp_lt_u32_e32 vcc_lo, 17, v59
	s_or_b32 s5, vcc_lo, s5
	s_waitcnt vmcnt(1) lgkmcnt(0)
	v_mul_f32_e32 v67, v64, v65
	v_mul_f32_e32 v65, v63, v65
	s_waitcnt vmcnt(0)
	v_fma_f32 v63, v63, v66, -v67
	v_fmac_f32_e32 v65, v64, v66
	v_add_f32_e32 v62, v62, v63
	v_add_f32_e32 v56, v56, v65
	s_andn2_b32 exec_lo, exec_lo, s5
	s_cbranch_execnz .LBB90_89
; %bb.90:
	s_or_b32 exec_lo, exec_lo, s5
	v_mov_b32_e32 v59, 0
	ds_read_b64 v[59:60], v59 offset:152
	s_waitcnt lgkmcnt(0)
	v_mul_f32_e32 v61, v56, v60
	v_mul_f32_e32 v60, v62, v60
	v_fma_f32 v61, v62, v59, -v61
	v_fmac_f32_e32 v60, v56, v59
	buffer_store_dword v61, off, s[0:3], 0 offset:152
	buffer_store_dword v60, off, s[0:3], 0 offset:156
.LBB90_91:
	s_or_b32 exec_lo, exec_lo, s4
	s_waitcnt_vscnt null, 0x0
	s_barrier
	buffer_gl0_inv
	s_clause 0x1
	buffer_load_dword v59, off, s[0:3], 0 offset:160
	buffer_load_dword v60, off, s[0:3], 0 offset:164
	s_mov_b32 s4, exec_lo
	s_waitcnt vmcnt(0)
	ds_write_b64 v58, v[59:60]
	s_waitcnt lgkmcnt(0)
	s_barrier
	buffer_gl0_inv
	v_cmpx_gt_u32_e32 20, v0
	s_cbranch_execz .LBB90_95
; %bb.92:
	v_add_nc_u32_e32 v59, -1, v0
	v_add_nc_u32_e32 v60, 0xe0, v57
	v_mov_b32_e32 v61, v57
	v_mov_b32_e32 v56, 0
	;; [unrolled: 1-line block ×3, first 2 shown]
	s_mov_b32 s5, 0
	.p2align	6
.LBB90_93:                              ; =>This Inner Loop Header: Depth=1
	s_clause 0x1
	buffer_load_dword v65, v61, s[0:3], 0 offen offset:4
	buffer_load_dword v66, v61, s[0:3], 0 offen
	ds_read_b64 v[63:64], v60
	v_add_nc_u32_e32 v59, 1, v59
	v_add_nc_u32_e32 v60, 8, v60
	;; [unrolled: 1-line block ×3, first 2 shown]
	v_cmp_lt_u32_e32 vcc_lo, 18, v59
	s_or_b32 s5, vcc_lo, s5
	s_waitcnt vmcnt(1) lgkmcnt(0)
	v_mul_f32_e32 v67, v64, v65
	v_mul_f32_e32 v65, v63, v65
	s_waitcnt vmcnt(0)
	v_fma_f32 v63, v63, v66, -v67
	v_fmac_f32_e32 v65, v64, v66
	v_add_f32_e32 v62, v62, v63
	v_add_f32_e32 v56, v56, v65
	s_andn2_b32 exec_lo, exec_lo, s5
	s_cbranch_execnz .LBB90_93
; %bb.94:
	s_or_b32 exec_lo, exec_lo, s5
	v_mov_b32_e32 v59, 0
	ds_read_b64 v[59:60], v59 offset:160
	s_waitcnt lgkmcnt(0)
	v_mul_f32_e32 v61, v56, v60
	v_mul_f32_e32 v60, v62, v60
	v_fma_f32 v61, v62, v59, -v61
	v_fmac_f32_e32 v60, v56, v59
	buffer_store_dword v61, off, s[0:3], 0 offset:160
	buffer_store_dword v60, off, s[0:3], 0 offset:164
.LBB90_95:
	s_or_b32 exec_lo, exec_lo, s4
	s_waitcnt_vscnt null, 0x0
	s_barrier
	buffer_gl0_inv
	s_clause 0x1
	buffer_load_dword v59, off, s[0:3], 0 offset:168
	buffer_load_dword v60, off, s[0:3], 0 offset:172
	s_mov_b32 s4, exec_lo
	s_waitcnt vmcnt(0)
	ds_write_b64 v58, v[59:60]
	s_waitcnt lgkmcnt(0)
	s_barrier
	buffer_gl0_inv
	v_cmpx_gt_u32_e32 21, v0
	s_cbranch_execz .LBB90_99
; %bb.96:
	v_add_nc_u32_e32 v59, -1, v0
	v_add_nc_u32_e32 v60, 0xe0, v57
	v_mov_b32_e32 v61, v57
	v_mov_b32_e32 v56, 0
	;; [unrolled: 1-line block ×3, first 2 shown]
	s_mov_b32 s5, 0
	.p2align	6
.LBB90_97:                              ; =>This Inner Loop Header: Depth=1
	s_clause 0x1
	buffer_load_dword v65, v61, s[0:3], 0 offen offset:4
	buffer_load_dword v66, v61, s[0:3], 0 offen
	ds_read_b64 v[63:64], v60
	v_add_nc_u32_e32 v59, 1, v59
	v_add_nc_u32_e32 v60, 8, v60
	;; [unrolled: 1-line block ×3, first 2 shown]
	v_cmp_lt_u32_e32 vcc_lo, 19, v59
	s_or_b32 s5, vcc_lo, s5
	s_waitcnt vmcnt(1) lgkmcnt(0)
	v_mul_f32_e32 v67, v64, v65
	v_mul_f32_e32 v65, v63, v65
	s_waitcnt vmcnt(0)
	v_fma_f32 v63, v63, v66, -v67
	v_fmac_f32_e32 v65, v64, v66
	v_add_f32_e32 v62, v62, v63
	v_add_f32_e32 v56, v56, v65
	s_andn2_b32 exec_lo, exec_lo, s5
	s_cbranch_execnz .LBB90_97
; %bb.98:
	s_or_b32 exec_lo, exec_lo, s5
	v_mov_b32_e32 v59, 0
	ds_read_b64 v[59:60], v59 offset:168
	s_waitcnt lgkmcnt(0)
	v_mul_f32_e32 v61, v56, v60
	v_mul_f32_e32 v60, v62, v60
	v_fma_f32 v61, v62, v59, -v61
	v_fmac_f32_e32 v60, v56, v59
	buffer_store_dword v61, off, s[0:3], 0 offset:168
	buffer_store_dword v60, off, s[0:3], 0 offset:172
.LBB90_99:
	s_or_b32 exec_lo, exec_lo, s4
	s_waitcnt_vscnt null, 0x0
	s_barrier
	buffer_gl0_inv
	s_clause 0x1
	buffer_load_dword v59, off, s[0:3], 0 offset:176
	buffer_load_dword v60, off, s[0:3], 0 offset:180
	s_mov_b32 s4, exec_lo
	s_waitcnt vmcnt(0)
	ds_write_b64 v58, v[59:60]
	s_waitcnt lgkmcnt(0)
	s_barrier
	buffer_gl0_inv
	v_cmpx_gt_u32_e32 22, v0
	s_cbranch_execz .LBB90_103
; %bb.100:
	v_add_nc_u32_e32 v59, -1, v0
	v_add_nc_u32_e32 v60, 0xe0, v57
	v_mov_b32_e32 v61, v57
	v_mov_b32_e32 v56, 0
	;; [unrolled: 1-line block ×3, first 2 shown]
	s_mov_b32 s5, 0
	.p2align	6
.LBB90_101:                             ; =>This Inner Loop Header: Depth=1
	s_clause 0x1
	buffer_load_dword v65, v61, s[0:3], 0 offen offset:4
	buffer_load_dword v66, v61, s[0:3], 0 offen
	ds_read_b64 v[63:64], v60
	v_add_nc_u32_e32 v59, 1, v59
	v_add_nc_u32_e32 v60, 8, v60
	;; [unrolled: 1-line block ×3, first 2 shown]
	v_cmp_lt_u32_e32 vcc_lo, 20, v59
	s_or_b32 s5, vcc_lo, s5
	s_waitcnt vmcnt(1) lgkmcnt(0)
	v_mul_f32_e32 v67, v64, v65
	v_mul_f32_e32 v65, v63, v65
	s_waitcnt vmcnt(0)
	v_fma_f32 v63, v63, v66, -v67
	v_fmac_f32_e32 v65, v64, v66
	v_add_f32_e32 v62, v62, v63
	v_add_f32_e32 v56, v56, v65
	s_andn2_b32 exec_lo, exec_lo, s5
	s_cbranch_execnz .LBB90_101
; %bb.102:
	s_or_b32 exec_lo, exec_lo, s5
	v_mov_b32_e32 v59, 0
	ds_read_b64 v[59:60], v59 offset:176
	s_waitcnt lgkmcnt(0)
	v_mul_f32_e32 v61, v56, v60
	v_mul_f32_e32 v60, v62, v60
	v_fma_f32 v61, v62, v59, -v61
	v_fmac_f32_e32 v60, v56, v59
	buffer_store_dword v61, off, s[0:3], 0 offset:176
	buffer_store_dword v60, off, s[0:3], 0 offset:180
.LBB90_103:
	s_or_b32 exec_lo, exec_lo, s4
	s_waitcnt_vscnt null, 0x0
	s_barrier
	buffer_gl0_inv
	s_clause 0x1
	buffer_load_dword v59, off, s[0:3], 0 offset:184
	buffer_load_dword v60, off, s[0:3], 0 offset:188
	s_mov_b32 s4, exec_lo
	s_waitcnt vmcnt(0)
	ds_write_b64 v58, v[59:60]
	s_waitcnt lgkmcnt(0)
	s_barrier
	buffer_gl0_inv
	v_cmpx_gt_u32_e32 23, v0
	s_cbranch_execz .LBB90_107
; %bb.104:
	v_add_nc_u32_e32 v59, -1, v0
	v_add_nc_u32_e32 v60, 0xe0, v57
	v_mov_b32_e32 v61, v57
	v_mov_b32_e32 v56, 0
	;; [unrolled: 1-line block ×3, first 2 shown]
	s_mov_b32 s5, 0
	.p2align	6
.LBB90_105:                             ; =>This Inner Loop Header: Depth=1
	s_clause 0x1
	buffer_load_dword v65, v61, s[0:3], 0 offen offset:4
	buffer_load_dword v66, v61, s[0:3], 0 offen
	ds_read_b64 v[63:64], v60
	v_add_nc_u32_e32 v59, 1, v59
	v_add_nc_u32_e32 v60, 8, v60
	;; [unrolled: 1-line block ×3, first 2 shown]
	v_cmp_lt_u32_e32 vcc_lo, 21, v59
	s_or_b32 s5, vcc_lo, s5
	s_waitcnt vmcnt(1) lgkmcnt(0)
	v_mul_f32_e32 v67, v64, v65
	v_mul_f32_e32 v65, v63, v65
	s_waitcnt vmcnt(0)
	v_fma_f32 v63, v63, v66, -v67
	v_fmac_f32_e32 v65, v64, v66
	v_add_f32_e32 v62, v62, v63
	v_add_f32_e32 v56, v56, v65
	s_andn2_b32 exec_lo, exec_lo, s5
	s_cbranch_execnz .LBB90_105
; %bb.106:
	s_or_b32 exec_lo, exec_lo, s5
	v_mov_b32_e32 v59, 0
	ds_read_b64 v[59:60], v59 offset:184
	s_waitcnt lgkmcnt(0)
	v_mul_f32_e32 v61, v56, v60
	v_mul_f32_e32 v60, v62, v60
	v_fma_f32 v61, v62, v59, -v61
	v_fmac_f32_e32 v60, v56, v59
	buffer_store_dword v61, off, s[0:3], 0 offset:184
	buffer_store_dword v60, off, s[0:3], 0 offset:188
.LBB90_107:
	s_or_b32 exec_lo, exec_lo, s4
	s_waitcnt_vscnt null, 0x0
	s_barrier
	buffer_gl0_inv
	s_clause 0x1
	buffer_load_dword v59, off, s[0:3], 0 offset:192
	buffer_load_dword v60, off, s[0:3], 0 offset:196
	s_mov_b32 s4, exec_lo
	s_waitcnt vmcnt(0)
	ds_write_b64 v58, v[59:60]
	s_waitcnt lgkmcnt(0)
	s_barrier
	buffer_gl0_inv
	v_cmpx_gt_u32_e32 24, v0
	s_cbranch_execz .LBB90_111
; %bb.108:
	v_add_nc_u32_e32 v59, -1, v0
	v_add_nc_u32_e32 v60, 0xe0, v57
	v_mov_b32_e32 v61, v57
	v_mov_b32_e32 v56, 0
	;; [unrolled: 1-line block ×3, first 2 shown]
	s_mov_b32 s5, 0
	.p2align	6
.LBB90_109:                             ; =>This Inner Loop Header: Depth=1
	s_clause 0x1
	buffer_load_dword v65, v61, s[0:3], 0 offen offset:4
	buffer_load_dword v66, v61, s[0:3], 0 offen
	ds_read_b64 v[63:64], v60
	v_add_nc_u32_e32 v59, 1, v59
	v_add_nc_u32_e32 v60, 8, v60
	;; [unrolled: 1-line block ×3, first 2 shown]
	v_cmp_lt_u32_e32 vcc_lo, 22, v59
	s_or_b32 s5, vcc_lo, s5
	s_waitcnt vmcnt(1) lgkmcnt(0)
	v_mul_f32_e32 v67, v64, v65
	v_mul_f32_e32 v65, v63, v65
	s_waitcnt vmcnt(0)
	v_fma_f32 v63, v63, v66, -v67
	v_fmac_f32_e32 v65, v64, v66
	v_add_f32_e32 v62, v62, v63
	v_add_f32_e32 v56, v56, v65
	s_andn2_b32 exec_lo, exec_lo, s5
	s_cbranch_execnz .LBB90_109
; %bb.110:
	s_or_b32 exec_lo, exec_lo, s5
	v_mov_b32_e32 v59, 0
	ds_read_b64 v[59:60], v59 offset:192
	s_waitcnt lgkmcnt(0)
	v_mul_f32_e32 v61, v56, v60
	v_mul_f32_e32 v60, v62, v60
	v_fma_f32 v61, v62, v59, -v61
	v_fmac_f32_e32 v60, v56, v59
	buffer_store_dword v61, off, s[0:3], 0 offset:192
	buffer_store_dword v60, off, s[0:3], 0 offset:196
.LBB90_111:
	s_or_b32 exec_lo, exec_lo, s4
	s_waitcnt_vscnt null, 0x0
	s_barrier
	buffer_gl0_inv
	s_clause 0x1
	buffer_load_dword v59, off, s[0:3], 0 offset:200
	buffer_load_dword v60, off, s[0:3], 0 offset:204
	s_mov_b32 s4, exec_lo
	s_waitcnt vmcnt(0)
	ds_write_b64 v58, v[59:60]
	s_waitcnt lgkmcnt(0)
	s_barrier
	buffer_gl0_inv
	v_cmpx_gt_u32_e32 25, v0
	s_cbranch_execz .LBB90_115
; %bb.112:
	v_add_nc_u32_e32 v59, -1, v0
	v_add_nc_u32_e32 v60, 0xe0, v57
	v_mov_b32_e32 v61, v57
	v_mov_b32_e32 v56, 0
	;; [unrolled: 1-line block ×3, first 2 shown]
	s_mov_b32 s5, 0
	.p2align	6
.LBB90_113:                             ; =>This Inner Loop Header: Depth=1
	s_clause 0x1
	buffer_load_dword v65, v61, s[0:3], 0 offen offset:4
	buffer_load_dword v66, v61, s[0:3], 0 offen
	ds_read_b64 v[63:64], v60
	v_add_nc_u32_e32 v59, 1, v59
	v_add_nc_u32_e32 v60, 8, v60
	;; [unrolled: 1-line block ×3, first 2 shown]
	v_cmp_lt_u32_e32 vcc_lo, 23, v59
	s_or_b32 s5, vcc_lo, s5
	s_waitcnt vmcnt(1) lgkmcnt(0)
	v_mul_f32_e32 v67, v64, v65
	v_mul_f32_e32 v65, v63, v65
	s_waitcnt vmcnt(0)
	v_fma_f32 v63, v63, v66, -v67
	v_fmac_f32_e32 v65, v64, v66
	v_add_f32_e32 v62, v62, v63
	v_add_f32_e32 v56, v56, v65
	s_andn2_b32 exec_lo, exec_lo, s5
	s_cbranch_execnz .LBB90_113
; %bb.114:
	s_or_b32 exec_lo, exec_lo, s5
	v_mov_b32_e32 v59, 0
	ds_read_b64 v[59:60], v59 offset:200
	s_waitcnt lgkmcnt(0)
	v_mul_f32_e32 v61, v56, v60
	v_mul_f32_e32 v60, v62, v60
	v_fma_f32 v61, v62, v59, -v61
	v_fmac_f32_e32 v60, v56, v59
	buffer_store_dword v61, off, s[0:3], 0 offset:200
	buffer_store_dword v60, off, s[0:3], 0 offset:204
.LBB90_115:
	s_or_b32 exec_lo, exec_lo, s4
	s_waitcnt_vscnt null, 0x0
	s_barrier
	buffer_gl0_inv
	s_clause 0x1
	buffer_load_dword v59, off, s[0:3], 0 offset:208
	buffer_load_dword v60, off, s[0:3], 0 offset:212
	s_mov_b32 s4, exec_lo
	s_waitcnt vmcnt(0)
	ds_write_b64 v58, v[59:60]
	s_waitcnt lgkmcnt(0)
	s_barrier
	buffer_gl0_inv
	v_cmpx_ne_u32_e32 26, v0
	s_cbranch_execz .LBB90_119
; %bb.116:
	v_mov_b32_e32 v56, 0
	v_mov_b32_e32 v59, 0
	s_mov_b32 s5, 0
	.p2align	6
.LBB90_117:                             ; =>This Inner Loop Header: Depth=1
	s_clause 0x1
	buffer_load_dword v62, v57, s[0:3], 0 offen offset:4
	buffer_load_dword v63, v57, s[0:3], 0 offen
	ds_read_b64 v[60:61], v58
	v_add_nc_u32_e32 v55, 1, v55
	v_add_nc_u32_e32 v58, 8, v58
	;; [unrolled: 1-line block ×3, first 2 shown]
	v_cmp_lt_u32_e32 vcc_lo, 24, v55
	s_or_b32 s5, vcc_lo, s5
	s_waitcnt vmcnt(1) lgkmcnt(0)
	v_mul_f32_e32 v64, v61, v62
	v_mul_f32_e32 v62, v60, v62
	s_waitcnt vmcnt(0)
	v_fma_f32 v60, v60, v63, -v64
	v_fmac_f32_e32 v62, v61, v63
	v_add_f32_e32 v59, v59, v60
	v_add_f32_e32 v56, v56, v62
	s_andn2_b32 exec_lo, exec_lo, s5
	s_cbranch_execnz .LBB90_117
; %bb.118:
	s_or_b32 exec_lo, exec_lo, s5
	v_mov_b32_e32 v55, 0
	ds_read_b64 v[57:58], v55 offset:208
	s_waitcnt lgkmcnt(0)
	v_mul_f32_e32 v55, v56, v58
	v_mul_f32_e32 v58, v59, v58
	v_fma_f32 v55, v59, v57, -v55
	v_fmac_f32_e32 v58, v56, v57
	buffer_store_dword v55, off, s[0:3], 0 offset:208
	buffer_store_dword v58, off, s[0:3], 0 offset:212
.LBB90_119:
	s_or_b32 exec_lo, exec_lo, s4
	s_mov_b32 s5, -1
	s_waitcnt_vscnt null, 0x0
	s_barrier
	buffer_gl0_inv
.LBB90_120:
	s_and_b32 vcc_lo, exec_lo, s5
	s_cbranch_vccz .LBB90_122
; %bb.121:
	s_lshl_b64 s[4:5], s[6:7], 2
	v_mov_b32_e32 v55, 0
	s_add_u32 s4, s10, s4
	s_addc_u32 s5, s11, s5
	global_load_dword v55, v55, s[4:5]
	s_waitcnt vmcnt(0)
	v_cmp_ne_u32_e32 vcc_lo, 0, v55
	s_cbranch_vccz .LBB90_123
.LBB90_122:
	s_endpgm
.LBB90_123:
	v_lshl_add_u32 v55, v0, 3, 0xe0
	s_mov_b32 s4, exec_lo
	v_cmpx_eq_u32_e32 26, v0
	s_cbranch_execz .LBB90_125
; %bb.124:
	s_clause 0x1
	buffer_load_dword v56, off, s[0:3], 0 offset:200
	buffer_load_dword v57, off, s[0:3], 0 offset:204
	v_mov_b32_e32 v58, 0
	buffer_store_dword v58, off, s[0:3], 0 offset:200
	buffer_store_dword v58, off, s[0:3], 0 offset:204
	s_waitcnt vmcnt(0)
	ds_write_b64 v55, v[56:57]
.LBB90_125:
	s_or_b32 exec_lo, exec_lo, s4
	s_waitcnt lgkmcnt(0)
	s_waitcnt_vscnt null, 0x0
	s_barrier
	buffer_gl0_inv
	s_clause 0x3
	buffer_load_dword v59, off, s[0:3], 0 offset:212
	buffer_load_dword v60, off, s[0:3], 0 offset:208
	;; [unrolled: 1-line block ×4, first 2 shown]
	v_mov_b32_e32 v56, 0
	s_mov_b32 s4, exec_lo
	ds_read_b64 v[57:58], v56 offset:432
	s_waitcnt vmcnt(3) lgkmcnt(0)
	v_mul_f32_e32 v63, v58, v59
	v_mul_f32_e32 v59, v57, v59
	s_waitcnt vmcnt(2)
	v_fma_f32 v57, v57, v60, -v63
	v_fmac_f32_e32 v59, v58, v60
	v_add_f32_e32 v57, 0, v57
	v_add_f32_e32 v58, 0, v59
	s_waitcnt vmcnt(1)
	v_sub_f32_e32 v57, v61, v57
	s_waitcnt vmcnt(0)
	v_sub_f32_e32 v58, v62, v58
	buffer_store_dword v57, off, s[0:3], 0 offset:200
	buffer_store_dword v58, off, s[0:3], 0 offset:204
	v_cmpx_lt_u32_e32 24, v0
	s_cbranch_execz .LBB90_127
; %bb.126:
	s_clause 0x1
	buffer_load_dword v57, off, s[0:3], 0 offset:192
	buffer_load_dword v58, off, s[0:3], 0 offset:196
	buffer_store_dword v56, off, s[0:3], 0 offset:192
	buffer_store_dword v56, off, s[0:3], 0 offset:196
	s_waitcnt vmcnt(0)
	ds_write_b64 v55, v[57:58]
.LBB90_127:
	s_or_b32 exec_lo, exec_lo, s4
	s_waitcnt lgkmcnt(0)
	s_waitcnt_vscnt null, 0x0
	s_barrier
	buffer_gl0_inv
	s_clause 0x5
	buffer_load_dword v60, off, s[0:3], 0 offset:204
	buffer_load_dword v61, off, s[0:3], 0 offset:212
	buffer_load_dword v62, off, s[0:3], 0 offset:200
	buffer_load_dword v63, off, s[0:3], 0 offset:208
	buffer_load_dword v64, off, s[0:3], 0 offset:192
	buffer_load_dword v65, off, s[0:3], 0 offset:196
	ds_read2_b64 v[56:59], v56 offset0:53 offset1:54
	s_mov_b32 s4, exec_lo
	s_waitcnt vmcnt(5) lgkmcnt(0)
	v_mul_f32_e32 v66, v57, v60
	v_mul_f32_e32 v60, v56, v60
	s_waitcnt vmcnt(4)
	v_mul_f32_e32 v67, v58, v61
	v_mul_f32_e32 v61, v59, v61
	s_waitcnt vmcnt(3)
	v_fma_f32 v56, v56, v62, -v66
	v_fmac_f32_e32 v60, v57, v62
	s_waitcnt vmcnt(2)
	v_fmac_f32_e32 v67, v59, v63
	v_fma_f32 v57, v58, v63, -v61
	v_add_f32_e32 v56, 0, v56
	v_add_f32_e32 v58, 0, v60
	;; [unrolled: 1-line block ×4, first 2 shown]
	s_waitcnt vmcnt(1)
	v_sub_f32_e32 v56, v64, v56
	s_waitcnt vmcnt(0)
	v_sub_f32_e32 v57, v65, v57
	buffer_store_dword v56, off, s[0:3], 0 offset:192
	buffer_store_dword v57, off, s[0:3], 0 offset:196
	v_cmpx_lt_u32_e32 23, v0
	s_cbranch_execz .LBB90_129
; %bb.128:
	s_clause 0x1
	buffer_load_dword v56, off, s[0:3], 0 offset:184
	buffer_load_dword v57, off, s[0:3], 0 offset:188
	v_mov_b32_e32 v58, 0
	buffer_store_dword v58, off, s[0:3], 0 offset:184
	buffer_store_dword v58, off, s[0:3], 0 offset:188
	s_waitcnt vmcnt(0)
	ds_write_b64 v55, v[56:57]
.LBB90_129:
	s_or_b32 exec_lo, exec_lo, s4
	s_waitcnt lgkmcnt(0)
	s_waitcnt_vscnt null, 0x0
	s_barrier
	buffer_gl0_inv
	s_clause 0x7
	buffer_load_dword v63, off, s[0:3], 0 offset:196
	buffer_load_dword v64, off, s[0:3], 0 offset:204
	;; [unrolled: 1-line block ×8, first 2 shown]
	v_mov_b32_e32 v56, 0
	ds_read_b128 v[57:60], v56 offset:416
	ds_read_b64 v[61:62], v56 offset:432
	s_mov_b32 s4, exec_lo
	s_waitcnt vmcnt(7) lgkmcnt(1)
	v_mul_f32_e32 v71, v58, v63
	v_mul_f32_e32 v63, v57, v63
	s_waitcnt vmcnt(6)
	v_mul_f32_e32 v72, v59, v64
	v_mul_f32_e32 v64, v60, v64
	s_waitcnt vmcnt(5) lgkmcnt(0)
	v_mul_f32_e32 v73, v61, v65
	s_waitcnt vmcnt(4)
	v_fma_f32 v57, v57, v66, -v71
	v_fmac_f32_e32 v63, v58, v66
	v_mul_f32_e32 v58, v62, v65
	s_waitcnt vmcnt(3)
	v_fma_f32 v59, v59, v67, -v64
	v_fmac_f32_e32 v72, v60, v67
	v_add_f32_e32 v57, 0, v57
	v_add_f32_e32 v60, 0, v63
	s_waitcnt vmcnt(2)
	v_fma_f32 v58, v61, v68, -v58
	v_fmac_f32_e32 v73, v62, v68
	v_add_f32_e32 v57, v57, v59
	v_add_f32_e32 v59, v60, v72
	;; [unrolled: 1-line block ×4, first 2 shown]
	s_waitcnt vmcnt(1)
	v_sub_f32_e32 v57, v69, v57
	s_waitcnt vmcnt(0)
	v_sub_f32_e32 v58, v70, v58
	buffer_store_dword v57, off, s[0:3], 0 offset:184
	buffer_store_dword v58, off, s[0:3], 0 offset:188
	v_cmpx_lt_u32_e32 22, v0
	s_cbranch_execz .LBB90_131
; %bb.130:
	s_clause 0x1
	buffer_load_dword v57, off, s[0:3], 0 offset:176
	buffer_load_dword v58, off, s[0:3], 0 offset:180
	buffer_store_dword v56, off, s[0:3], 0 offset:176
	buffer_store_dword v56, off, s[0:3], 0 offset:180
	s_waitcnt vmcnt(0)
	ds_write_b64 v55, v[57:58]
.LBB90_131:
	s_or_b32 exec_lo, exec_lo, s4
	s_waitcnt lgkmcnt(0)
	s_waitcnt_vscnt null, 0x0
	s_barrier
	buffer_gl0_inv
	s_clause 0x9
	buffer_load_dword v65, off, s[0:3], 0 offset:188
	buffer_load_dword v66, off, s[0:3], 0 offset:196
	;; [unrolled: 1-line block ×10, first 2 shown]
	ds_read2_b64 v[57:60], v56 offset0:51 offset1:52
	ds_read2_b64 v[61:64], v56 offset0:53 offset1:54
	s_mov_b32 s4, exec_lo
	s_waitcnt vmcnt(9) lgkmcnt(1)
	v_mul_f32_e32 v56, v57, v65
	v_mul_f32_e32 v65, v58, v65
	s_waitcnt vmcnt(8)
	v_mul_f32_e32 v75, v59, v66
	v_mul_f32_e32 v66, v60, v66
	s_waitcnt vmcnt(7) lgkmcnt(0)
	v_mul_f32_e32 v76, v61, v67
	s_waitcnt vmcnt(5)
	v_fmac_f32_e32 v56, v58, v69
	v_fma_f32 v57, v57, v69, -v65
	v_mul_f32_e32 v58, v62, v67
	s_waitcnt vmcnt(4)
	v_fma_f32 v59, v59, v70, -v66
	v_fmac_f32_e32 v75, v60, v70
	v_add_f32_e32 v56, 0, v56
	v_add_f32_e32 v57, 0, v57
	v_mul_f32_e32 v60, v64, v68
	s_waitcnt vmcnt(3)
	v_fma_f32 v58, v61, v71, -v58
	v_mul_f32_e32 v77, v63, v68
	v_fmac_f32_e32 v76, v62, v71
	v_add_f32_e32 v57, v57, v59
	v_add_f32_e32 v56, v56, v75
	s_waitcnt vmcnt(2)
	v_fma_f32 v59, v63, v72, -v60
	v_fmac_f32_e32 v77, v64, v72
	v_add_f32_e32 v57, v57, v58
	v_add_f32_e32 v56, v56, v76
	;; [unrolled: 1-line block ×4, first 2 shown]
	s_waitcnt vmcnt(1)
	v_sub_f32_e32 v57, v73, v57
	s_waitcnt vmcnt(0)
	v_sub_f32_e32 v56, v74, v56
	buffer_store_dword v57, off, s[0:3], 0 offset:176
	buffer_store_dword v56, off, s[0:3], 0 offset:180
	v_cmpx_lt_u32_e32 21, v0
	s_cbranch_execz .LBB90_133
; %bb.132:
	s_clause 0x1
	buffer_load_dword v56, off, s[0:3], 0 offset:168
	buffer_load_dword v57, off, s[0:3], 0 offset:172
	v_mov_b32_e32 v58, 0
	buffer_store_dword v58, off, s[0:3], 0 offset:168
	buffer_store_dword v58, off, s[0:3], 0 offset:172
	s_waitcnt vmcnt(0)
	ds_write_b64 v55, v[56:57]
.LBB90_133:
	s_or_b32 exec_lo, exec_lo, s4
	s_waitcnt lgkmcnt(0)
	s_waitcnt_vscnt null, 0x0
	s_barrier
	buffer_gl0_inv
	s_clause 0xb
	buffer_load_dword v67, off, s[0:3], 0 offset:180
	buffer_load_dword v68, off, s[0:3], 0 offset:188
	;; [unrolled: 1-line block ×12, first 2 shown]
	v_mov_b32_e32 v56, 0
	ds_read_b128 v[57:60], v56 offset:400
	ds_read_b128 v[61:64], v56 offset:416
	ds_read_b64 v[65:66], v56 offset:432
	s_mov_b32 s4, exec_lo
	s_waitcnt vmcnt(11) lgkmcnt(2)
	v_mul_f32_e32 v79, v57, v67
	v_mul_f32_e32 v67, v58, v67
	s_waitcnt vmcnt(10)
	v_mul_f32_e32 v80, v59, v68
	v_mul_f32_e32 v68, v60, v68
	s_waitcnt vmcnt(9) lgkmcnt(1)
	v_mul_f32_e32 v81, v61, v69
	s_waitcnt vmcnt(6)
	v_fmac_f32_e32 v79, v58, v72
	v_fma_f32 v57, v57, v72, -v67
	v_mul_f32_e32 v58, v62, v69
	s_waitcnt vmcnt(5)
	v_fma_f32 v59, v59, v73, -v68
	v_fmac_f32_e32 v80, v60, v73
	v_add_f32_e32 v60, 0, v79
	v_add_f32_e32 v57, 0, v57
	v_mul_f32_e32 v67, v64, v70
	s_waitcnt vmcnt(4)
	v_fma_f32 v58, v61, v74, -v58
	v_mul_f32_e32 v82, v63, v70
	v_fmac_f32_e32 v81, v62, v74
	v_add_f32_e32 v57, v57, v59
	v_add_f32_e32 v59, v60, v80
	s_waitcnt lgkmcnt(0)
	v_mul_f32_e32 v60, v66, v71
	s_waitcnt vmcnt(3)
	v_fma_f32 v61, v63, v75, -v67
	v_mul_f32_e32 v83, v65, v71
	v_add_f32_e32 v57, v57, v58
	v_fmac_f32_e32 v82, v64, v75
	v_add_f32_e32 v58, v59, v81
	s_waitcnt vmcnt(2)
	v_fma_f32 v59, v65, v76, -v60
	v_fmac_f32_e32 v83, v66, v76
	v_add_f32_e32 v57, v57, v61
	v_add_f32_e32 v58, v58, v82
	;; [unrolled: 1-line block ×4, first 2 shown]
	s_waitcnt vmcnt(1)
	v_sub_f32_e32 v57, v77, v57
	s_waitcnt vmcnt(0)
	v_sub_f32_e32 v58, v78, v58
	buffer_store_dword v57, off, s[0:3], 0 offset:168
	buffer_store_dword v58, off, s[0:3], 0 offset:172
	v_cmpx_lt_u32_e32 20, v0
	s_cbranch_execz .LBB90_135
; %bb.134:
	s_clause 0x1
	buffer_load_dword v57, off, s[0:3], 0 offset:160
	buffer_load_dword v58, off, s[0:3], 0 offset:164
	buffer_store_dword v56, off, s[0:3], 0 offset:160
	buffer_store_dword v56, off, s[0:3], 0 offset:164
	s_waitcnt vmcnt(0)
	ds_write_b64 v55, v[57:58]
.LBB90_135:
	s_or_b32 exec_lo, exec_lo, s4
	s_waitcnt lgkmcnt(0)
	s_waitcnt_vscnt null, 0x0
	s_barrier
	buffer_gl0_inv
	s_clause 0xd
	buffer_load_dword v69, off, s[0:3], 0 offset:172
	buffer_load_dword v70, off, s[0:3], 0 offset:180
	;; [unrolled: 1-line block ×14, first 2 shown]
	ds_read2_b64 v[57:60], v56 offset0:49 offset1:50
	ds_read2_b64 v[61:64], v56 offset0:51 offset1:52
	;; [unrolled: 1-line block ×3, first 2 shown]
	s_mov_b32 s4, exec_lo
	s_waitcnt vmcnt(13) lgkmcnt(2)
	v_mul_f32_e32 v56, v57, v69
	v_mul_f32_e32 v69, v58, v69
	s_waitcnt vmcnt(12)
	v_mul_f32_e32 v83, v59, v70
	v_mul_f32_e32 v70, v60, v70
	s_waitcnt vmcnt(11) lgkmcnt(1)
	v_mul_f32_e32 v84, v61, v71
	s_waitcnt vmcnt(10)
	v_mul_f32_e32 v85, v63, v72
	s_waitcnt vmcnt(7)
	v_fma_f32 v57, v57, v75, -v69
	v_fmac_f32_e32 v56, v58, v75
	v_mul_f32_e32 v58, v62, v71
	s_waitcnt vmcnt(6)
	v_fma_f32 v59, v59, v76, -v70
	v_fmac_f32_e32 v83, v60, v76
	v_add_f32_e32 v57, 0, v57
	v_add_f32_e32 v56, 0, v56
	v_mul_f32_e32 v60, v64, v72
	s_waitcnt vmcnt(5)
	v_fma_f32 v58, v61, v77, -v58
	v_fmac_f32_e32 v84, v62, v77
	v_add_f32_e32 v57, v57, v59
	v_add_f32_e32 v56, v56, v83
	s_waitcnt lgkmcnt(0)
	v_mul_f32_e32 v59, v66, v73
	s_waitcnt vmcnt(4)
	v_fma_f32 v60, v63, v78, -v60
	v_mul_f32_e32 v86, v65, v73
	v_add_f32_e32 v57, v57, v58
	v_fmac_f32_e32 v85, v64, v78
	v_add_f32_e32 v56, v56, v84
	v_mul_f32_e32 v58, v68, v74
	s_waitcnt vmcnt(3)
	v_fma_f32 v59, v65, v79, -v59
	v_add_f32_e32 v57, v57, v60
	v_mul_f32_e32 v87, v67, v74
	v_fmac_f32_e32 v86, v66, v79
	v_add_f32_e32 v56, v56, v85
	s_waitcnt vmcnt(2)
	v_fma_f32 v58, v67, v80, -v58
	v_add_f32_e32 v57, v57, v59
	v_fmac_f32_e32 v87, v68, v80
	v_add_f32_e32 v56, v56, v86
	v_add_f32_e32 v57, v57, v58
	;; [unrolled: 1-line block ×3, first 2 shown]
	s_waitcnt vmcnt(1)
	v_sub_f32_e32 v57, v81, v57
	s_waitcnt vmcnt(0)
	v_sub_f32_e32 v56, v82, v56
	buffer_store_dword v57, off, s[0:3], 0 offset:160
	buffer_store_dword v56, off, s[0:3], 0 offset:164
	v_cmpx_lt_u32_e32 19, v0
	s_cbranch_execz .LBB90_137
; %bb.136:
	s_clause 0x1
	buffer_load_dword v56, off, s[0:3], 0 offset:152
	buffer_load_dword v57, off, s[0:3], 0 offset:156
	v_mov_b32_e32 v58, 0
	buffer_store_dword v58, off, s[0:3], 0 offset:152
	buffer_store_dword v58, off, s[0:3], 0 offset:156
	s_waitcnt vmcnt(0)
	ds_write_b64 v55, v[56:57]
.LBB90_137:
	s_or_b32 exec_lo, exec_lo, s4
	s_waitcnt lgkmcnt(0)
	s_waitcnt_vscnt null, 0x0
	s_barrier
	buffer_gl0_inv
	s_clause 0xf
	buffer_load_dword v71, off, s[0:3], 0 offset:164
	buffer_load_dword v72, off, s[0:3], 0 offset:172
	;; [unrolled: 1-line block ×16, first 2 shown]
	v_mov_b32_e32 v56, 0
	ds_read_b128 v[57:60], v56 offset:384
	ds_read_b128 v[61:64], v56 offset:400
	;; [unrolled: 1-line block ×3, first 2 shown]
	ds_read_b64 v[69:70], v56 offset:432
	s_mov_b32 s4, exec_lo
	s_waitcnt vmcnt(15) lgkmcnt(3)
	v_mul_f32_e32 v87, v57, v71
	v_mul_f32_e32 v71, v58, v71
	s_waitcnt vmcnt(14)
	v_mul_f32_e32 v88, v59, v72
	v_mul_f32_e32 v72, v60, v72
	s_waitcnt vmcnt(13) lgkmcnt(2)
	v_mul_f32_e32 v89, v61, v73
	s_waitcnt vmcnt(12)
	v_mul_f32_e32 v90, v63, v74
	s_waitcnt vmcnt(11) lgkmcnt(1)
	v_mul_f32_e32 v91, v65, v75
	s_waitcnt vmcnt(8)
	v_fma_f32 v57, v57, v78, -v71
	v_fmac_f32_e32 v87, v58, v78
	v_mul_f32_e32 v58, v62, v73
	s_waitcnt vmcnt(7)
	v_fma_f32 v59, v59, v79, -v72
	v_fmac_f32_e32 v88, v60, v79
	v_add_f32_e32 v57, 0, v57
	v_add_f32_e32 v60, 0, v87
	v_mul_f32_e32 v71, v64, v74
	s_waitcnt vmcnt(6)
	v_fma_f32 v58, v61, v80, -v58
	v_fmac_f32_e32 v89, v62, v80
	v_add_f32_e32 v57, v57, v59
	v_add_f32_e32 v59, v60, v88
	;; [unrolled: 6-line block ×3, first 2 shown]
	v_mul_f32_e32 v59, v68, v76
	s_waitcnt vmcnt(4)
	v_fma_f32 v60, v65, v82, -v60
	v_mul_f32_e32 v92, v67, v76
	v_add_f32_e32 v57, v57, v61
	v_fmac_f32_e32 v91, v66, v82
	v_add_f32_e32 v58, v58, v90
	s_waitcnt lgkmcnt(0)
	v_mul_f32_e32 v61, v70, v77
	s_waitcnt vmcnt(3)
	v_fma_f32 v59, v67, v83, -v59
	v_add_f32_e32 v57, v57, v60
	v_mul_f32_e32 v93, v69, v77
	v_fmac_f32_e32 v92, v68, v83
	v_add_f32_e32 v58, v58, v91
	s_waitcnt vmcnt(2)
	v_fma_f32 v60, v69, v84, -v61
	v_add_f32_e32 v57, v57, v59
	v_fmac_f32_e32 v93, v70, v84
	v_add_f32_e32 v58, v58, v92
	v_add_f32_e32 v57, v57, v60
	;; [unrolled: 1-line block ×3, first 2 shown]
	s_waitcnt vmcnt(1)
	v_sub_f32_e32 v57, v85, v57
	s_waitcnt vmcnt(0)
	v_sub_f32_e32 v58, v86, v58
	buffer_store_dword v57, off, s[0:3], 0 offset:152
	buffer_store_dword v58, off, s[0:3], 0 offset:156
	v_cmpx_lt_u32_e32 18, v0
	s_cbranch_execz .LBB90_139
; %bb.138:
	s_clause 0x1
	buffer_load_dword v57, off, s[0:3], 0 offset:144
	buffer_load_dword v58, off, s[0:3], 0 offset:148
	buffer_store_dword v56, off, s[0:3], 0 offset:144
	buffer_store_dword v56, off, s[0:3], 0 offset:148
	s_waitcnt vmcnt(0)
	ds_write_b64 v55, v[57:58]
.LBB90_139:
	s_or_b32 exec_lo, exec_lo, s4
	s_waitcnt lgkmcnt(0)
	s_waitcnt_vscnt null, 0x0
	s_barrier
	buffer_gl0_inv
	s_clause 0x11
	buffer_load_dword v73, off, s[0:3], 0 offset:156
	buffer_load_dword v74, off, s[0:3], 0 offset:164
	;; [unrolled: 1-line block ×18, first 2 shown]
	ds_read2_b64 v[57:60], v56 offset0:47 offset1:48
	ds_read2_b64 v[61:64], v56 offset0:49 offset1:50
	;; [unrolled: 1-line block ×4, first 2 shown]
	s_mov_b32 s4, exec_lo
	s_waitcnt vmcnt(17) lgkmcnt(3)
	v_mul_f32_e32 v56, v57, v73
	v_mul_f32_e32 v73, v58, v73
	s_waitcnt vmcnt(16)
	v_mul_f32_e32 v91, v59, v74
	v_mul_f32_e32 v74, v60, v74
	s_waitcnt vmcnt(15) lgkmcnt(2)
	v_mul_f32_e32 v92, v61, v75
	s_waitcnt vmcnt(14)
	v_mul_f32_e32 v93, v63, v76
	s_waitcnt vmcnt(13) lgkmcnt(1)
	v_mul_f32_e32 v94, v65, v77
	s_waitcnt vmcnt(12)
	v_mul_f32_e32 v95, v67, v78
	s_waitcnt vmcnt(9)
	v_fma_f32 v57, v57, v81, -v73
	v_fmac_f32_e32 v56, v58, v81
	v_mul_f32_e32 v58, v62, v75
	s_waitcnt vmcnt(8)
	v_fma_f32 v59, v59, v82, -v74
	v_fmac_f32_e32 v91, v60, v82
	v_add_f32_e32 v57, 0, v57
	v_add_f32_e32 v56, 0, v56
	v_mul_f32_e32 v60, v64, v76
	s_waitcnt vmcnt(7)
	v_fma_f32 v58, v61, v83, -v58
	v_fmac_f32_e32 v92, v62, v83
	v_add_f32_e32 v57, v57, v59
	v_add_f32_e32 v56, v56, v91
	;; [unrolled: 6-line block ×4, first 2 shown]
	s_waitcnt lgkmcnt(0)
	v_mul_f32_e32 v60, v70, v79
	s_waitcnt vmcnt(4)
	v_fma_f32 v58, v67, v86, -v58
	v_mul_f32_e32 v96, v69, v79
	v_add_f32_e32 v57, v57, v59
	v_fmac_f32_e32 v95, v68, v86
	v_add_f32_e32 v56, v56, v94
	v_mul_f32_e32 v59, v72, v80
	s_waitcnt vmcnt(3)
	v_fma_f32 v60, v69, v87, -v60
	v_add_f32_e32 v57, v57, v58
	v_mul_f32_e32 v97, v71, v80
	v_fmac_f32_e32 v96, v70, v87
	v_add_f32_e32 v56, v56, v95
	s_waitcnt vmcnt(2)
	v_fma_f32 v58, v71, v88, -v59
	v_add_f32_e32 v57, v57, v60
	v_fmac_f32_e32 v97, v72, v88
	v_add_f32_e32 v56, v56, v96
	v_add_f32_e32 v57, v57, v58
	;; [unrolled: 1-line block ×3, first 2 shown]
	s_waitcnt vmcnt(1)
	v_sub_f32_e32 v57, v89, v57
	s_waitcnt vmcnt(0)
	v_sub_f32_e32 v56, v90, v56
	buffer_store_dword v57, off, s[0:3], 0 offset:144
	buffer_store_dword v56, off, s[0:3], 0 offset:148
	v_cmpx_lt_u32_e32 17, v0
	s_cbranch_execz .LBB90_141
; %bb.140:
	s_clause 0x1
	buffer_load_dword v56, off, s[0:3], 0 offset:136
	buffer_load_dword v57, off, s[0:3], 0 offset:140
	v_mov_b32_e32 v58, 0
	buffer_store_dword v58, off, s[0:3], 0 offset:136
	buffer_store_dword v58, off, s[0:3], 0 offset:140
	s_waitcnt vmcnt(0)
	ds_write_b64 v55, v[56:57]
.LBB90_141:
	s_or_b32 exec_lo, exec_lo, s4
	s_waitcnt lgkmcnt(0)
	s_waitcnt_vscnt null, 0x0
	s_barrier
	buffer_gl0_inv
	s_clause 0x13
	buffer_load_dword v75, off, s[0:3], 0 offset:148
	buffer_load_dword v76, off, s[0:3], 0 offset:156
	;; [unrolled: 1-line block ×20, first 2 shown]
	v_mov_b32_e32 v56, 0
	ds_read_b128 v[57:60], v56 offset:368
	ds_read_b128 v[61:64], v56 offset:384
	;; [unrolled: 1-line block ×4, first 2 shown]
	ds_read_b64 v[73:74], v56 offset:432
	s_mov_b32 s4, exec_lo
	s_waitcnt vmcnt(19) lgkmcnt(4)
	v_mul_f32_e32 v95, v57, v75
	v_mul_f32_e32 v75, v58, v75
	s_waitcnt vmcnt(18)
	v_mul_f32_e32 v96, v59, v76
	v_mul_f32_e32 v76, v60, v76
	s_waitcnt vmcnt(17) lgkmcnt(3)
	v_mul_f32_e32 v97, v61, v77
	s_waitcnt vmcnt(16)
	v_mul_f32_e32 v98, v63, v78
	s_waitcnt vmcnt(15) lgkmcnt(2)
	v_mul_f32_e32 v99, v65, v79
	s_waitcnt vmcnt(14)
	;; [unrolled: 4-line block ×3, first 2 shown]
	v_fma_f32 v57, v57, v84, -v75
	v_fmac_f32_e32 v95, v58, v84
	v_mul_f32_e32 v58, v62, v77
	s_waitcnt vmcnt(9)
	v_fma_f32 v59, v59, v85, -v76
	v_fmac_f32_e32 v96, v60, v85
	v_add_f32_e32 v57, 0, v57
	v_add_f32_e32 v60, 0, v95
	v_mul_f32_e32 v75, v64, v78
	s_waitcnt vmcnt(8)
	v_fma_f32 v58, v61, v86, -v58
	v_fmac_f32_e32 v97, v62, v86
	v_add_f32_e32 v57, v57, v59
	v_add_f32_e32 v59, v60, v96
	;; [unrolled: 6-line block ×5, first 2 shown]
	v_mul_f32_e32 v60, v72, v82
	s_waitcnt vmcnt(4)
	v_fma_f32 v61, v69, v90, -v61
	v_mul_f32_e32 v102, v71, v82
	v_add_f32_e32 v57, v57, v59
	v_fmac_f32_e32 v101, v70, v90
	v_add_f32_e32 v58, v58, v100
	s_waitcnt lgkmcnt(0)
	v_mul_f32_e32 v59, v74, v83
	s_waitcnt vmcnt(3)
	v_fma_f32 v60, v71, v91, -v60
	v_add_f32_e32 v57, v57, v61
	v_mul_f32_e32 v103, v73, v83
	v_fmac_f32_e32 v102, v72, v91
	v_add_f32_e32 v58, v58, v101
	s_waitcnt vmcnt(2)
	v_fma_f32 v59, v73, v92, -v59
	v_add_f32_e32 v57, v57, v60
	v_fmac_f32_e32 v103, v74, v92
	v_add_f32_e32 v58, v58, v102
	v_add_f32_e32 v57, v57, v59
	;; [unrolled: 1-line block ×3, first 2 shown]
	s_waitcnt vmcnt(1)
	v_sub_f32_e32 v57, v93, v57
	s_waitcnt vmcnt(0)
	v_sub_f32_e32 v58, v94, v58
	buffer_store_dword v57, off, s[0:3], 0 offset:136
	buffer_store_dword v58, off, s[0:3], 0 offset:140
	v_cmpx_lt_u32_e32 16, v0
	s_cbranch_execz .LBB90_143
; %bb.142:
	s_clause 0x1
	buffer_load_dword v57, off, s[0:3], 0 offset:128
	buffer_load_dword v58, off, s[0:3], 0 offset:132
	buffer_store_dword v56, off, s[0:3], 0 offset:128
	buffer_store_dword v56, off, s[0:3], 0 offset:132
	s_waitcnt vmcnt(0)
	ds_write_b64 v55, v[57:58]
.LBB90_143:
	s_or_b32 exec_lo, exec_lo, s4
	s_waitcnt lgkmcnt(0)
	s_waitcnt_vscnt null, 0x0
	s_barrier
	buffer_gl0_inv
	s_clause 0x15
	buffer_load_dword v77, off, s[0:3], 0 offset:140
	buffer_load_dword v78, off, s[0:3], 0 offset:148
	;; [unrolled: 1-line block ×22, first 2 shown]
	ds_read2_b64 v[57:60], v56 offset0:45 offset1:46
	ds_read2_b64 v[61:64], v56 offset0:47 offset1:48
	;; [unrolled: 1-line block ×5, first 2 shown]
	s_mov_b32 s4, exec_lo
	s_waitcnt vmcnt(21) lgkmcnt(4)
	v_mul_f32_e32 v56, v57, v77
	v_mul_f32_e32 v77, v58, v77
	s_waitcnt vmcnt(20)
	v_mul_f32_e32 v99, v59, v78
	v_mul_f32_e32 v78, v60, v78
	s_waitcnt vmcnt(19) lgkmcnt(3)
	v_mul_f32_e32 v100, v61, v79
	s_waitcnt vmcnt(18)
	v_mul_f32_e32 v101, v63, v80
	s_waitcnt vmcnt(17) lgkmcnt(2)
	v_mul_f32_e32 v102, v65, v81
	s_waitcnt vmcnt(16)
	;; [unrolled: 4-line block ×3, first 2 shown]
	v_mul_f32_e32 v105, v71, v84
	s_waitcnt vmcnt(11)
	v_fma_f32 v57, v57, v87, -v77
	v_fmac_f32_e32 v56, v58, v87
	v_mul_f32_e32 v58, v62, v79
	s_waitcnt vmcnt(10)
	v_fma_f32 v59, v59, v88, -v78
	v_fmac_f32_e32 v99, v60, v88
	v_add_f32_e32 v57, 0, v57
	v_add_f32_e32 v56, 0, v56
	v_mul_f32_e32 v60, v64, v80
	s_waitcnt vmcnt(9)
	v_fma_f32 v58, v61, v89, -v58
	v_fmac_f32_e32 v100, v62, v89
	v_add_f32_e32 v57, v57, v59
	v_add_f32_e32 v56, v56, v99
	;; [unrolled: 6-line block ×6, first 2 shown]
	s_waitcnt lgkmcnt(0)
	v_mul_f32_e32 v58, v74, v85
	s_waitcnt vmcnt(4)
	v_fma_f32 v59, v71, v94, -v59
	v_mul_f32_e32 v106, v73, v85
	v_add_f32_e32 v57, v57, v60
	v_fmac_f32_e32 v105, v72, v94
	v_add_f32_e32 v56, v56, v104
	v_mul_f32_e32 v60, v76, v86
	s_waitcnt vmcnt(3)
	v_fma_f32 v58, v73, v95, -v58
	v_add_f32_e32 v57, v57, v59
	v_mul_f32_e32 v107, v75, v86
	v_fmac_f32_e32 v106, v74, v95
	v_add_f32_e32 v56, v56, v105
	s_waitcnt vmcnt(2)
	v_fma_f32 v59, v75, v96, -v60
	v_add_f32_e32 v57, v57, v58
	v_fmac_f32_e32 v107, v76, v96
	v_add_f32_e32 v56, v56, v106
	v_add_f32_e32 v57, v57, v59
	;; [unrolled: 1-line block ×3, first 2 shown]
	s_waitcnt vmcnt(1)
	v_sub_f32_e32 v57, v97, v57
	s_waitcnt vmcnt(0)
	v_sub_f32_e32 v56, v98, v56
	buffer_store_dword v57, off, s[0:3], 0 offset:128
	buffer_store_dword v56, off, s[0:3], 0 offset:132
	v_cmpx_lt_u32_e32 15, v0
	s_cbranch_execz .LBB90_145
; %bb.144:
	s_clause 0x1
	buffer_load_dword v56, off, s[0:3], 0 offset:120
	buffer_load_dword v57, off, s[0:3], 0 offset:124
	v_mov_b32_e32 v58, 0
	buffer_store_dword v58, off, s[0:3], 0 offset:120
	buffer_store_dword v58, off, s[0:3], 0 offset:124
	s_waitcnt vmcnt(0)
	ds_write_b64 v55, v[56:57]
.LBB90_145:
	s_or_b32 exec_lo, exec_lo, s4
	s_waitcnt lgkmcnt(0)
	s_waitcnt_vscnt null, 0x0
	s_barrier
	buffer_gl0_inv
	s_clause 0x17
	buffer_load_dword v79, off, s[0:3], 0 offset:132
	buffer_load_dword v80, off, s[0:3], 0 offset:140
	;; [unrolled: 1-line block ×24, first 2 shown]
	v_mov_b32_e32 v56, 0
	ds_read_b128 v[57:60], v56 offset:352
	ds_read_b128 v[61:64], v56 offset:368
	ds_read_b128 v[65:68], v56 offset:384
	ds_read_b128 v[69:72], v56 offset:400
	ds_read_b128 v[73:76], v56 offset:416
	ds_read_b64 v[77:78], v56 offset:432
	s_mov_b32 s4, exec_lo
	s_waitcnt vmcnt(23) lgkmcnt(5)
	v_mul_f32_e32 v103, v57, v79
	v_mul_f32_e32 v79, v58, v79
	s_waitcnt vmcnt(22)
	v_mul_f32_e32 v104, v59, v80
	v_mul_f32_e32 v80, v60, v80
	s_waitcnt vmcnt(21) lgkmcnt(4)
	v_mul_f32_e32 v105, v61, v81
	s_waitcnt vmcnt(20)
	v_mul_f32_e32 v106, v63, v82
	s_waitcnt vmcnt(19) lgkmcnt(3)
	v_mul_f32_e32 v107, v65, v83
	s_waitcnt vmcnt(18)
	;; [unrolled: 4-line block ×4, first 2 shown]
	v_fma_f32 v57, v57, v90, -v79
	v_fmac_f32_e32 v103, v58, v90
	v_mul_f32_e32 v58, v62, v81
	s_waitcnt vmcnt(11)
	v_fma_f32 v59, v59, v91, -v80
	v_fmac_f32_e32 v104, v60, v91
	v_add_f32_e32 v57, 0, v57
	v_add_f32_e32 v60, 0, v103
	v_mul_f32_e32 v79, v64, v82
	s_waitcnt vmcnt(10)
	v_fma_f32 v58, v61, v92, -v58
	v_fmac_f32_e32 v105, v62, v92
	v_add_f32_e32 v57, v57, v59
	v_add_f32_e32 v59, v60, v104
	;; [unrolled: 6-line block ×7, first 2 shown]
	v_mul_f32_e32 v61, v76, v88
	s_waitcnt vmcnt(4)
	v_fma_f32 v59, v73, v98, -v59
	v_mul_f32_e32 v112, v75, v88
	v_add_f32_e32 v57, v57, v60
	v_fmac_f32_e32 v111, v74, v98
	v_add_f32_e32 v58, v58, v110
	s_waitcnt lgkmcnt(0)
	v_mul_f32_e32 v60, v78, v89
	s_waitcnt vmcnt(3)
	v_fma_f32 v61, v75, v99, -v61
	v_add_f32_e32 v57, v57, v59
	v_mul_f32_e32 v113, v77, v89
	v_fmac_f32_e32 v112, v76, v99
	v_add_f32_e32 v58, v58, v111
	s_waitcnt vmcnt(2)
	v_fma_f32 v59, v77, v100, -v60
	v_add_f32_e32 v57, v57, v61
	v_fmac_f32_e32 v113, v78, v100
	v_add_f32_e32 v58, v58, v112
	v_add_f32_e32 v57, v57, v59
	;; [unrolled: 1-line block ×3, first 2 shown]
	s_waitcnt vmcnt(1)
	v_sub_f32_e32 v57, v101, v57
	s_waitcnt vmcnt(0)
	v_sub_f32_e32 v58, v102, v58
	buffer_store_dword v57, off, s[0:3], 0 offset:120
	buffer_store_dword v58, off, s[0:3], 0 offset:124
	v_cmpx_lt_u32_e32 14, v0
	s_cbranch_execz .LBB90_147
; %bb.146:
	s_clause 0x1
	buffer_load_dword v57, off, s[0:3], 0 offset:112
	buffer_load_dword v58, off, s[0:3], 0 offset:116
	buffer_store_dword v56, off, s[0:3], 0 offset:112
	buffer_store_dword v56, off, s[0:3], 0 offset:116
	s_waitcnt vmcnt(0)
	ds_write_b64 v55, v[57:58]
.LBB90_147:
	s_or_b32 exec_lo, exec_lo, s4
	s_waitcnt lgkmcnt(0)
	s_waitcnt_vscnt null, 0x0
	s_barrier
	buffer_gl0_inv
	s_clause 0x19
	buffer_load_dword v81, off, s[0:3], 0 offset:124
	buffer_load_dword v82, off, s[0:3], 0 offset:132
	;; [unrolled: 1-line block ×26, first 2 shown]
	ds_read2_b64 v[57:60], v56 offset0:43 offset1:44
	ds_read2_b64 v[61:64], v56 offset0:45 offset1:46
	;; [unrolled: 1-line block ×6, first 2 shown]
	s_mov_b32 s4, exec_lo
	s_waitcnt vmcnt(25) lgkmcnt(5)
	v_mul_f32_e32 v56, v57, v81
	v_mul_f32_e32 v81, v58, v81
	s_waitcnt vmcnt(24)
	v_mul_f32_e32 v107, v59, v82
	v_mul_f32_e32 v82, v60, v82
	s_waitcnt vmcnt(23) lgkmcnt(4)
	v_mul_f32_e32 v108, v61, v83
	s_waitcnt vmcnt(22)
	v_mul_f32_e32 v109, v63, v84
	s_waitcnt vmcnt(21) lgkmcnt(3)
	v_mul_f32_e32 v110, v65, v85
	s_waitcnt vmcnt(20)
	;; [unrolled: 4-line block ×4, first 2 shown]
	v_mul_f32_e32 v115, v75, v90
	s_waitcnt vmcnt(13)
	v_fma_f32 v57, v57, v93, -v81
	v_fmac_f32_e32 v56, v58, v93
	v_mul_f32_e32 v58, v62, v83
	s_waitcnt vmcnt(12)
	v_fma_f32 v59, v59, v94, -v82
	v_fmac_f32_e32 v107, v60, v94
	v_add_f32_e32 v57, 0, v57
	v_add_f32_e32 v56, 0, v56
	v_mul_f32_e32 v60, v64, v84
	s_waitcnt vmcnt(11)
	v_fma_f32 v58, v61, v95, -v58
	v_fmac_f32_e32 v108, v62, v95
	v_add_f32_e32 v57, v57, v59
	v_add_f32_e32 v56, v56, v107
	;; [unrolled: 6-line block ×8, first 2 shown]
	s_waitcnt lgkmcnt(0)
	v_mul_f32_e32 v59, v78, v91
	s_waitcnt vmcnt(4)
	v_fma_f32 v60, v75, v102, -v60
	v_mul_f32_e32 v116, v77, v91
	v_add_f32_e32 v57, v57, v58
	v_fmac_f32_e32 v115, v76, v102
	v_add_f32_e32 v56, v56, v114
	v_mul_f32_e32 v58, v80, v92
	s_waitcnt vmcnt(3)
	v_fma_f32 v59, v77, v103, -v59
	v_add_f32_e32 v57, v57, v60
	v_mul_f32_e32 v117, v79, v92
	v_fmac_f32_e32 v116, v78, v103
	v_add_f32_e32 v56, v56, v115
	s_waitcnt vmcnt(2)
	v_fma_f32 v58, v79, v104, -v58
	v_add_f32_e32 v57, v57, v59
	v_fmac_f32_e32 v117, v80, v104
	v_add_f32_e32 v56, v56, v116
	v_add_f32_e32 v57, v57, v58
	;; [unrolled: 1-line block ×3, first 2 shown]
	s_waitcnt vmcnt(1)
	v_sub_f32_e32 v57, v105, v57
	s_waitcnt vmcnt(0)
	v_sub_f32_e32 v56, v106, v56
	buffer_store_dword v57, off, s[0:3], 0 offset:112
	buffer_store_dword v56, off, s[0:3], 0 offset:116
	v_cmpx_lt_u32_e32 13, v0
	s_cbranch_execz .LBB90_149
; %bb.148:
	s_clause 0x1
	buffer_load_dword v56, off, s[0:3], 0 offset:104
	buffer_load_dword v57, off, s[0:3], 0 offset:108
	v_mov_b32_e32 v58, 0
	buffer_store_dword v58, off, s[0:3], 0 offset:104
	buffer_store_dword v58, off, s[0:3], 0 offset:108
	s_waitcnt vmcnt(0)
	ds_write_b64 v55, v[56:57]
.LBB90_149:
	s_or_b32 exec_lo, exec_lo, s4
	s_waitcnt lgkmcnt(0)
	s_waitcnt_vscnt null, 0x0
	s_barrier
	buffer_gl0_inv
	s_clause 0x1b
	buffer_load_dword v83, off, s[0:3], 0 offset:116
	buffer_load_dword v84, off, s[0:3], 0 offset:124
	;; [unrolled: 1-line block ×28, first 2 shown]
	v_mov_b32_e32 v56, 0
	ds_read_b128 v[57:60], v56 offset:336
	ds_read_b128 v[61:64], v56 offset:352
	;; [unrolled: 1-line block ×6, first 2 shown]
	ds_read_b64 v[81:82], v56 offset:432
	s_mov_b32 s4, exec_lo
	s_waitcnt vmcnt(27) lgkmcnt(6)
	v_mul_f32_e32 v111, v57, v83
	v_mul_f32_e32 v83, v58, v83
	s_waitcnt vmcnt(26)
	v_mul_f32_e32 v112, v59, v84
	v_mul_f32_e32 v84, v60, v84
	s_waitcnt vmcnt(25) lgkmcnt(5)
	v_mul_f32_e32 v113, v61, v85
	s_waitcnt vmcnt(24)
	v_mul_f32_e32 v114, v63, v86
	s_waitcnt vmcnt(23) lgkmcnt(4)
	v_mul_f32_e32 v115, v65, v87
	s_waitcnt vmcnt(22)
	;; [unrolled: 4-line block ×5, first 2 shown]
	v_fma_f32 v57, v57, v96, -v83
	v_fmac_f32_e32 v111, v58, v96
	v_mul_f32_e32 v58, v62, v85
	s_waitcnt vmcnt(13)
	v_fma_f32 v59, v59, v97, -v84
	v_fmac_f32_e32 v112, v60, v97
	v_add_f32_e32 v57, 0, v57
	v_add_f32_e32 v60, 0, v111
	v_mul_f32_e32 v83, v64, v86
	s_waitcnt vmcnt(12)
	v_fma_f32 v58, v61, v98, -v58
	v_fmac_f32_e32 v113, v62, v98
	v_add_f32_e32 v57, v57, v59
	v_add_f32_e32 v59, v60, v112
	;; [unrolled: 6-line block ×9, first 2 shown]
	v_mul_f32_e32 v59, v80, v94
	s_waitcnt vmcnt(4)
	v_fma_f32 v60, v77, v106, -v60
	v_mul_f32_e32 v122, v79, v94
	v_add_f32_e32 v57, v57, v61
	v_fmac_f32_e32 v121, v78, v106
	v_add_f32_e32 v58, v58, v120
	s_waitcnt lgkmcnt(0)
	v_mul_f32_e32 v61, v82, v95
	s_waitcnt vmcnt(3)
	v_fma_f32 v59, v79, v107, -v59
	v_add_f32_e32 v57, v57, v60
	v_mul_f32_e32 v123, v81, v95
	v_fmac_f32_e32 v122, v80, v107
	v_add_f32_e32 v58, v58, v121
	s_waitcnt vmcnt(2)
	v_fma_f32 v60, v81, v108, -v61
	v_add_f32_e32 v57, v57, v59
	v_fmac_f32_e32 v123, v82, v108
	v_add_f32_e32 v58, v58, v122
	v_add_f32_e32 v57, v57, v60
	v_add_f32_e32 v58, v58, v123
	s_waitcnt vmcnt(1)
	v_sub_f32_e32 v57, v109, v57
	s_waitcnt vmcnt(0)
	v_sub_f32_e32 v58, v110, v58
	buffer_store_dword v57, off, s[0:3], 0 offset:104
	buffer_store_dword v58, off, s[0:3], 0 offset:108
	v_cmpx_lt_u32_e32 12, v0
	s_cbranch_execz .LBB90_151
; %bb.150:
	s_clause 0x1
	buffer_load_dword v57, off, s[0:3], 0 offset:96
	buffer_load_dword v58, off, s[0:3], 0 offset:100
	buffer_store_dword v56, off, s[0:3], 0 offset:96
	buffer_store_dword v56, off, s[0:3], 0 offset:100
	s_waitcnt vmcnt(0)
	ds_write_b64 v55, v[57:58]
.LBB90_151:
	s_or_b32 exec_lo, exec_lo, s4
	s_waitcnt lgkmcnt(0)
	s_waitcnt_vscnt null, 0x0
	s_barrier
	buffer_gl0_inv
	s_clause 0x1d
	buffer_load_dword v85, off, s[0:3], 0 offset:108
	buffer_load_dword v86, off, s[0:3], 0 offset:116
	buffer_load_dword v87, off, s[0:3], 0 offset:124
	buffer_load_dword v88, off, s[0:3], 0 offset:132
	buffer_load_dword v89, off, s[0:3], 0 offset:140
	buffer_load_dword v90, off, s[0:3], 0 offset:148
	buffer_load_dword v91, off, s[0:3], 0 offset:156
	buffer_load_dword v92, off, s[0:3], 0 offset:164
	buffer_load_dword v93, off, s[0:3], 0 offset:172
	buffer_load_dword v94, off, s[0:3], 0 offset:180
	buffer_load_dword v95, off, s[0:3], 0 offset:188
	buffer_load_dword v96, off, s[0:3], 0 offset:196
	buffer_load_dword v97, off, s[0:3], 0 offset:204
	buffer_load_dword v98, off, s[0:3], 0 offset:212
	buffer_load_dword v99, off, s[0:3], 0 offset:104
	buffer_load_dword v100, off, s[0:3], 0 offset:112
	buffer_load_dword v101, off, s[0:3], 0 offset:120
	buffer_load_dword v102, off, s[0:3], 0 offset:128
	buffer_load_dword v103, off, s[0:3], 0 offset:136
	buffer_load_dword v104, off, s[0:3], 0 offset:144
	buffer_load_dword v105, off, s[0:3], 0 offset:152
	buffer_load_dword v106, off, s[0:3], 0 offset:160
	buffer_load_dword v107, off, s[0:3], 0 offset:168
	buffer_load_dword v108, off, s[0:3], 0 offset:176
	buffer_load_dword v109, off, s[0:3], 0 offset:184
	buffer_load_dword v110, off, s[0:3], 0 offset:192
	buffer_load_dword v111, off, s[0:3], 0 offset:200
	buffer_load_dword v112, off, s[0:3], 0 offset:208
	buffer_load_dword v113, off, s[0:3], 0 offset:96
	buffer_load_dword v114, off, s[0:3], 0 offset:100
	ds_read2_b64 v[57:60], v56 offset0:41 offset1:42
	ds_read2_b64 v[61:64], v56 offset0:43 offset1:44
	ds_read2_b64 v[65:68], v56 offset0:45 offset1:46
	ds_read2_b64 v[69:72], v56 offset0:47 offset1:48
	ds_read2_b64 v[73:76], v56 offset0:49 offset1:50
	ds_read2_b64 v[77:80], v56 offset0:51 offset1:52
	ds_read2_b64 v[81:84], v56 offset0:53 offset1:54
	s_mov_b32 s4, exec_lo
	s_waitcnt vmcnt(29) lgkmcnt(6)
	v_mul_f32_e32 v56, v57, v85
	v_mul_f32_e32 v85, v58, v85
	s_waitcnt vmcnt(28)
	v_mul_f32_e32 v115, v59, v86
	v_mul_f32_e32 v86, v60, v86
	s_waitcnt vmcnt(27) lgkmcnt(5)
	v_mul_f32_e32 v116, v61, v87
	s_waitcnt vmcnt(26)
	v_mul_f32_e32 v117, v63, v88
	s_waitcnt vmcnt(25) lgkmcnt(4)
	v_mul_f32_e32 v118, v65, v89
	s_waitcnt vmcnt(24)
	;; [unrolled: 4-line block ×5, first 2 shown]
	v_mul_f32_e32 v125, v79, v96
	s_waitcnt vmcnt(15)
	v_fma_f32 v57, v57, v99, -v85
	v_fmac_f32_e32 v56, v58, v99
	v_mul_f32_e32 v58, v62, v87
	s_waitcnt vmcnt(14)
	v_fma_f32 v59, v59, v100, -v86
	v_fmac_f32_e32 v115, v60, v100
	v_add_f32_e32 v57, 0, v57
	v_add_f32_e32 v56, 0, v56
	v_mul_f32_e32 v60, v64, v88
	s_waitcnt vmcnt(13)
	v_fma_f32 v58, v61, v101, -v58
	v_fmac_f32_e32 v116, v62, v101
	v_add_f32_e32 v57, v57, v59
	v_add_f32_e32 v56, v56, v115
	;; [unrolled: 6-line block ×10, first 2 shown]
	s_waitcnt lgkmcnt(0)
	v_mul_f32_e32 v60, v82, v97
	s_waitcnt vmcnt(4)
	v_fma_f32 v58, v79, v110, -v58
	v_mul_f32_e32 v126, v81, v97
	v_add_f32_e32 v57, v57, v59
	v_fmac_f32_e32 v125, v80, v110
	v_add_f32_e32 v56, v56, v124
	v_mul_f32_e32 v59, v84, v98
	s_waitcnt vmcnt(3)
	v_fma_f32 v60, v81, v111, -v60
	v_add_f32_e32 v57, v57, v58
	v_mul_f32_e32 v127, v83, v98
	v_fmac_f32_e32 v126, v82, v111
	v_add_f32_e32 v56, v56, v125
	s_waitcnt vmcnt(2)
	v_fma_f32 v58, v83, v112, -v59
	v_add_f32_e32 v57, v57, v60
	v_fmac_f32_e32 v127, v84, v112
	v_add_f32_e32 v56, v56, v126
	v_add_f32_e32 v57, v57, v58
	;; [unrolled: 1-line block ×3, first 2 shown]
	s_waitcnt vmcnt(1)
	v_sub_f32_e32 v57, v113, v57
	s_waitcnt vmcnt(0)
	v_sub_f32_e32 v56, v114, v56
	buffer_store_dword v57, off, s[0:3], 0 offset:96
	buffer_store_dword v56, off, s[0:3], 0 offset:100
	v_cmpx_lt_u32_e32 11, v0
	s_cbranch_execz .LBB90_153
; %bb.152:
	s_clause 0x1
	buffer_load_dword v56, off, s[0:3], 0 offset:88
	buffer_load_dword v57, off, s[0:3], 0 offset:92
	v_mov_b32_e32 v58, 0
	buffer_store_dword v58, off, s[0:3], 0 offset:88
	buffer_store_dword v58, off, s[0:3], 0 offset:92
	s_waitcnt vmcnt(0)
	ds_write_b64 v55, v[56:57]
.LBB90_153:
	s_or_b32 exec_lo, exec_lo, s4
	s_waitcnt lgkmcnt(0)
	s_waitcnt_vscnt null, 0x0
	s_barrier
	buffer_gl0_inv
	s_clause 0x1f
	buffer_load_dword v87, off, s[0:3], 0 offset:100
	buffer_load_dword v88, off, s[0:3], 0 offset:108
	;; [unrolled: 1-line block ×32, first 2 shown]
	v_mov_b32_e32 v56, 0
	ds_read_b128 v[57:60], v56 offset:320
	ds_read_b128 v[61:64], v56 offset:336
	;; [unrolled: 1-line block ×7, first 2 shown]
	ds_read_b64 v[85:86], v56 offset:432
	s_mov_b32 s4, exec_lo
	s_waitcnt vmcnt(31) lgkmcnt(7)
	v_mul_f32_e32 v119, v57, v87
	v_mul_f32_e32 v87, v58, v87
	s_waitcnt vmcnt(30)
	v_mul_f32_e32 v120, v59, v88
	v_mul_f32_e32 v88, v60, v88
	s_waitcnt vmcnt(29) lgkmcnt(6)
	v_mul_f32_e32 v121, v61, v89
	s_waitcnt vmcnt(28)
	v_mul_f32_e32 v122, v63, v90
	s_waitcnt vmcnt(27) lgkmcnt(5)
	v_mul_f32_e32 v123, v65, v91
	s_waitcnt vmcnt(26)
	v_mul_f32_e32 v124, v67, v92
	s_waitcnt vmcnt(25) lgkmcnt(4)
	v_mul_f32_e32 v125, v69, v93
	s_waitcnt vmcnt(24)
	v_mul_f32_e32 v126, v71, v94
	s_waitcnt vmcnt(23) lgkmcnt(3)
	v_mul_f32_e32 v127, v73, v95
	s_waitcnt vmcnt(22)
	v_mul_f32_e32 v128, v75, v96
	s_waitcnt vmcnt(21) lgkmcnt(2)
	v_mul_f32_e32 v129, v77, v97
	s_waitcnt vmcnt(20)
	v_mul_f32_e32 v130, v79, v98
	s_waitcnt vmcnt(19) lgkmcnt(1)
	v_mul_f32_e32 v131, v81, v99
	s_waitcnt vmcnt(16)
	v_fma_f32 v57, v57, v102, -v87
	v_fmac_f32_e32 v119, v58, v102
	v_mul_f32_e32 v58, v62, v89
	s_waitcnt vmcnt(15)
	v_fma_f32 v59, v59, v103, -v88
	v_fmac_f32_e32 v120, v60, v103
	v_add_f32_e32 v57, 0, v57
	v_add_f32_e32 v60, 0, v119
	v_mul_f32_e32 v87, v64, v90
	s_waitcnt vmcnt(14)
	v_fma_f32 v58, v61, v104, -v58
	v_fmac_f32_e32 v121, v62, v104
	v_add_f32_e32 v57, v57, v59
	v_add_f32_e32 v59, v60, v120
	;; [unrolled: 6-line block ×11, first 2 shown]
	v_mul_f32_e32 v60, v84, v100
	s_waitcnt vmcnt(4)
	v_fma_f32 v61, v81, v114, -v61
	v_mul_f32_e32 v132, v83, v100
	v_add_f32_e32 v57, v57, v59
	v_fmac_f32_e32 v131, v82, v114
	v_add_f32_e32 v58, v58, v130
	s_waitcnt lgkmcnt(0)
	v_mul_f32_e32 v59, v86, v101
	s_waitcnt vmcnt(3)
	v_fma_f32 v60, v83, v115, -v60
	v_add_f32_e32 v57, v57, v61
	v_mul_f32_e32 v133, v85, v101
	v_fmac_f32_e32 v132, v84, v115
	v_add_f32_e32 v58, v58, v131
	s_waitcnt vmcnt(2)
	v_fma_f32 v59, v85, v116, -v59
	v_add_f32_e32 v57, v57, v60
	v_fmac_f32_e32 v133, v86, v116
	v_add_f32_e32 v58, v58, v132
	v_add_f32_e32 v57, v57, v59
	;; [unrolled: 1-line block ×3, first 2 shown]
	s_waitcnt vmcnt(1)
	v_sub_f32_e32 v57, v117, v57
	s_waitcnt vmcnt(0)
	v_sub_f32_e32 v58, v118, v58
	buffer_store_dword v57, off, s[0:3], 0 offset:88
	buffer_store_dword v58, off, s[0:3], 0 offset:92
	v_cmpx_lt_u32_e32 10, v0
	s_cbranch_execz .LBB90_155
; %bb.154:
	s_clause 0x1
	buffer_load_dword v57, off, s[0:3], 0 offset:80
	buffer_load_dword v58, off, s[0:3], 0 offset:84
	buffer_store_dword v56, off, s[0:3], 0 offset:80
	buffer_store_dword v56, off, s[0:3], 0 offset:84
	s_waitcnt vmcnt(0)
	ds_write_b64 v55, v[57:58]
.LBB90_155:
	s_or_b32 exec_lo, exec_lo, s4
	s_waitcnt lgkmcnt(0)
	s_waitcnt_vscnt null, 0x0
	s_barrier
	buffer_gl0_inv
	s_clause 0x21
	buffer_load_dword v89, off, s[0:3], 0 offset:92
	buffer_load_dword v90, off, s[0:3], 0 offset:100
	;; [unrolled: 1-line block ×34, first 2 shown]
	ds_read2_b64 v[57:60], v56 offset0:39 offset1:40
	ds_read2_b64 v[61:64], v56 offset0:41 offset1:42
	;; [unrolled: 1-line block ×8, first 2 shown]
	s_mov_b32 s4, exec_lo
	s_waitcnt vmcnt(33) lgkmcnt(7)
	v_mul_f32_e32 v56, v57, v89
	v_mul_f32_e32 v89, v58, v89
	s_waitcnt vmcnt(32)
	v_mul_f32_e32 v123, v59, v90
	v_mul_f32_e32 v90, v60, v90
	s_waitcnt vmcnt(31) lgkmcnt(6)
	v_mul_f32_e32 v124, v61, v91
	s_waitcnt vmcnt(30)
	v_mul_f32_e32 v125, v63, v92
	s_waitcnt vmcnt(29) lgkmcnt(5)
	v_mul_f32_e32 v126, v65, v93
	s_waitcnt vmcnt(28)
	;; [unrolled: 4-line block ×6, first 2 shown]
	v_mul_f32_e32 v135, v83, v102
	s_waitcnt vmcnt(17)
	v_fma_f32 v57, v57, v105, -v89
	v_fmac_f32_e32 v56, v58, v105
	v_mul_f32_e32 v58, v62, v91
	s_waitcnt vmcnt(16)
	v_fma_f32 v59, v59, v106, -v90
	v_fmac_f32_e32 v123, v60, v106
	v_add_f32_e32 v57, 0, v57
	v_add_f32_e32 v56, 0, v56
	v_mul_f32_e32 v60, v64, v92
	s_waitcnt vmcnt(15)
	v_fma_f32 v58, v61, v107, -v58
	v_fmac_f32_e32 v124, v62, v107
	v_add_f32_e32 v57, v57, v59
	v_add_f32_e32 v56, v56, v123
	;; [unrolled: 6-line block ×12, first 2 shown]
	s_waitcnt lgkmcnt(0)
	v_mul_f32_e32 v58, v86, v103
	s_waitcnt vmcnt(4)
	v_fma_f32 v59, v83, v118, -v59
	v_mul_f32_e32 v136, v85, v103
	v_add_f32_e32 v57, v57, v60
	v_fmac_f32_e32 v135, v84, v118
	v_add_f32_e32 v56, v56, v134
	v_mul_f32_e32 v60, v88, v104
	s_waitcnt vmcnt(3)
	v_fma_f32 v58, v85, v119, -v58
	v_add_f32_e32 v57, v57, v59
	v_mul_f32_e32 v137, v87, v104
	v_fmac_f32_e32 v136, v86, v119
	v_add_f32_e32 v56, v56, v135
	s_waitcnt vmcnt(2)
	v_fma_f32 v59, v87, v120, -v60
	v_add_f32_e32 v57, v57, v58
	v_fmac_f32_e32 v137, v88, v120
	v_add_f32_e32 v56, v56, v136
	v_add_f32_e32 v57, v57, v59
	;; [unrolled: 1-line block ×3, first 2 shown]
	s_waitcnt vmcnt(1)
	v_sub_f32_e32 v57, v121, v57
	s_waitcnt vmcnt(0)
	v_sub_f32_e32 v56, v122, v56
	buffer_store_dword v57, off, s[0:3], 0 offset:80
	buffer_store_dword v56, off, s[0:3], 0 offset:84
	v_cmpx_lt_u32_e32 9, v0
	s_cbranch_execz .LBB90_157
; %bb.156:
	s_clause 0x1
	buffer_load_dword v56, off, s[0:3], 0 offset:72
	buffer_load_dword v57, off, s[0:3], 0 offset:76
	v_mov_b32_e32 v58, 0
	buffer_store_dword v58, off, s[0:3], 0 offset:72
	buffer_store_dword v58, off, s[0:3], 0 offset:76
	s_waitcnt vmcnt(0)
	ds_write_b64 v55, v[56:57]
.LBB90_157:
	s_or_b32 exec_lo, exec_lo, s4
	s_waitcnt lgkmcnt(0)
	s_waitcnt_vscnt null, 0x0
	s_barrier
	buffer_gl0_inv
	s_clause 0x23
	buffer_load_dword v91, off, s[0:3], 0 offset:84
	buffer_load_dword v92, off, s[0:3], 0 offset:92
	;; [unrolled: 1-line block ×36, first 2 shown]
	v_mov_b32_e32 v56, 0
	ds_read_b128 v[57:60], v56 offset:304
	ds_read_b128 v[61:64], v56 offset:320
	;; [unrolled: 1-line block ×8, first 2 shown]
	ds_read_b64 v[89:90], v56 offset:432
	s_mov_b32 s4, exec_lo
	s_waitcnt vmcnt(35) lgkmcnt(8)
	v_mul_f32_e32 v127, v57, v91
	v_mul_f32_e32 v91, v58, v91
	s_waitcnt vmcnt(34)
	v_mul_f32_e32 v128, v59, v92
	v_mul_f32_e32 v92, v60, v92
	s_waitcnt vmcnt(33) lgkmcnt(7)
	v_mul_f32_e32 v129, v61, v93
	s_waitcnt vmcnt(32)
	v_mul_f32_e32 v130, v63, v94
	s_waitcnt vmcnt(31) lgkmcnt(6)
	v_mul_f32_e32 v131, v65, v95
	s_waitcnt vmcnt(30)
	v_mul_f32_e32 v132, v67, v96
	s_waitcnt vmcnt(29) lgkmcnt(5)
	v_mul_f32_e32 v133, v69, v97
	s_waitcnt vmcnt(28)
	v_mul_f32_e32 v134, v71, v98
	s_waitcnt vmcnt(27) lgkmcnt(4)
	v_mul_f32_e32 v135, v73, v99
	s_waitcnt vmcnt(26)
	v_mul_f32_e32 v136, v75, v100
	s_waitcnt vmcnt(25) lgkmcnt(3)
	v_mul_f32_e32 v137, v77, v101
	s_waitcnt vmcnt(24)
	v_mul_f32_e32 v138, v79, v102
	s_waitcnt vmcnt(23) lgkmcnt(2)
	v_mul_f32_e32 v139, v81, v103
	s_waitcnt vmcnt(22)
	v_mul_f32_e32 v140, v83, v104
	s_waitcnt vmcnt(21) lgkmcnt(1)
	v_mul_f32_e32 v141, v85, v105
	s_waitcnt vmcnt(18)
	v_fma_f32 v57, v57, v108, -v91
	v_fmac_f32_e32 v127, v58, v108
	v_mul_f32_e32 v58, v62, v93
	s_waitcnt vmcnt(17)
	v_fma_f32 v59, v59, v109, -v92
	v_fmac_f32_e32 v128, v60, v109
	v_add_f32_e32 v57, 0, v57
	v_add_f32_e32 v60, 0, v127
	v_mul_f32_e32 v91, v64, v94
	s_waitcnt vmcnt(16)
	v_fma_f32 v58, v61, v110, -v58
	v_fmac_f32_e32 v129, v62, v110
	v_add_f32_e32 v57, v57, v59
	v_add_f32_e32 v59, v60, v128
	;; [unrolled: 6-line block ×13, first 2 shown]
	v_mul_f32_e32 v61, v88, v106
	s_waitcnt vmcnt(4)
	v_fma_f32 v59, v85, v122, -v59
	v_mul_f32_e32 v142, v87, v106
	v_add_f32_e32 v57, v57, v60
	v_fmac_f32_e32 v141, v86, v122
	v_add_f32_e32 v58, v58, v140
	s_waitcnt lgkmcnt(0)
	v_mul_f32_e32 v60, v90, v107
	s_waitcnt vmcnt(3)
	v_fma_f32 v61, v87, v123, -v61
	v_add_f32_e32 v57, v57, v59
	v_mul_f32_e32 v143, v89, v107
	v_fmac_f32_e32 v142, v88, v123
	v_add_f32_e32 v58, v58, v141
	s_waitcnt vmcnt(2)
	v_fma_f32 v59, v89, v124, -v60
	v_add_f32_e32 v57, v57, v61
	v_fmac_f32_e32 v143, v90, v124
	v_add_f32_e32 v58, v58, v142
	v_add_f32_e32 v57, v57, v59
	v_add_f32_e32 v58, v58, v143
	s_waitcnt vmcnt(1)
	v_sub_f32_e32 v57, v125, v57
	s_waitcnt vmcnt(0)
	v_sub_f32_e32 v58, v126, v58
	buffer_store_dword v57, off, s[0:3], 0 offset:72
	buffer_store_dword v58, off, s[0:3], 0 offset:76
	v_cmpx_lt_u32_e32 8, v0
	s_cbranch_execz .LBB90_159
; %bb.158:
	s_clause 0x1
	buffer_load_dword v57, off, s[0:3], 0 offset:64
	buffer_load_dword v58, off, s[0:3], 0 offset:68
	buffer_store_dword v56, off, s[0:3], 0 offset:64
	buffer_store_dword v56, off, s[0:3], 0 offset:68
	s_waitcnt vmcnt(0)
	ds_write_b64 v55, v[57:58]
.LBB90_159:
	s_or_b32 exec_lo, exec_lo, s4
	s_waitcnt lgkmcnt(0)
	s_waitcnt_vscnt null, 0x0
	s_barrier
	buffer_gl0_inv
	s_clause 0x25
	buffer_load_dword v93, off, s[0:3], 0 offset:76
	buffer_load_dword v94, off, s[0:3], 0 offset:84
	;; [unrolled: 1-line block ×38, first 2 shown]
	ds_read2_b64 v[57:60], v56 offset0:37 offset1:38
	ds_read2_b64 v[61:64], v56 offset0:39 offset1:40
	;; [unrolled: 1-line block ×9, first 2 shown]
	s_mov_b32 s4, exec_lo
	s_waitcnt vmcnt(37) lgkmcnt(8)
	v_mul_f32_e32 v56, v57, v93
	v_mul_f32_e32 v93, v58, v93
	s_waitcnt vmcnt(36)
	v_mul_f32_e32 v131, v59, v94
	v_mul_f32_e32 v94, v60, v94
	s_waitcnt vmcnt(35) lgkmcnt(7)
	v_mul_f32_e32 v132, v61, v95
	s_waitcnt vmcnt(34)
	v_mul_f32_e32 v133, v63, v96
	s_waitcnt vmcnt(33) lgkmcnt(6)
	v_mul_f32_e32 v134, v65, v97
	s_waitcnt vmcnt(32)
	;; [unrolled: 4-line block ×7, first 2 shown]
	v_mul_f32_e32 v145, v87, v108
	s_waitcnt vmcnt(19)
	v_fma_f32 v57, v57, v111, -v93
	v_fmac_f32_e32 v56, v58, v111
	v_mul_f32_e32 v58, v62, v95
	s_waitcnt vmcnt(18)
	v_fma_f32 v59, v59, v112, -v94
	v_fmac_f32_e32 v131, v60, v112
	v_add_f32_e32 v57, 0, v57
	v_add_f32_e32 v56, 0, v56
	v_mul_f32_e32 v60, v64, v96
	s_waitcnt vmcnt(17)
	v_fma_f32 v58, v61, v113, -v58
	v_fmac_f32_e32 v132, v62, v113
	v_add_f32_e32 v57, v57, v59
	v_add_f32_e32 v56, v56, v131
	;; [unrolled: 6-line block ×14, first 2 shown]
	s_waitcnt lgkmcnt(0)
	v_mul_f32_e32 v59, v90, v109
	s_waitcnt vmcnt(4)
	v_fma_f32 v60, v87, v126, -v60
	v_mul_f32_e32 v146, v89, v109
	v_add_f32_e32 v57, v57, v58
	v_fmac_f32_e32 v145, v88, v126
	v_add_f32_e32 v56, v56, v144
	v_mul_f32_e32 v58, v92, v110
	s_waitcnt vmcnt(3)
	v_fma_f32 v59, v89, v127, -v59
	v_add_f32_e32 v57, v57, v60
	v_mul_f32_e32 v147, v91, v110
	v_fmac_f32_e32 v146, v90, v127
	v_add_f32_e32 v56, v56, v145
	s_waitcnt vmcnt(2)
	v_fma_f32 v58, v91, v128, -v58
	v_add_f32_e32 v57, v57, v59
	v_fmac_f32_e32 v147, v92, v128
	v_add_f32_e32 v56, v56, v146
	v_add_f32_e32 v57, v57, v58
	v_add_f32_e32 v56, v56, v147
	s_waitcnt vmcnt(1)
	v_sub_f32_e32 v57, v129, v57
	s_waitcnt vmcnt(0)
	v_sub_f32_e32 v56, v130, v56
	buffer_store_dword v57, off, s[0:3], 0 offset:64
	buffer_store_dword v56, off, s[0:3], 0 offset:68
	v_cmpx_lt_u32_e32 7, v0
	s_cbranch_execz .LBB90_161
; %bb.160:
	s_clause 0x1
	buffer_load_dword v56, off, s[0:3], 0 offset:56
	buffer_load_dword v57, off, s[0:3], 0 offset:60
	v_mov_b32_e32 v58, 0
	buffer_store_dword v58, off, s[0:3], 0 offset:56
	buffer_store_dword v58, off, s[0:3], 0 offset:60
	s_waitcnt vmcnt(0)
	ds_write_b64 v55, v[56:57]
.LBB90_161:
	s_or_b32 exec_lo, exec_lo, s4
	s_waitcnt lgkmcnt(0)
	s_waitcnt_vscnt null, 0x0
	s_barrier
	buffer_gl0_inv
	s_clause 0x27
	buffer_load_dword v95, off, s[0:3], 0 offset:68
	buffer_load_dword v96, off, s[0:3], 0 offset:76
	;; [unrolled: 1-line block ×40, first 2 shown]
	v_mov_b32_e32 v56, 0
	ds_read_b128 v[57:60], v56 offset:288
	ds_read_b128 v[61:64], v56 offset:304
	;; [unrolled: 1-line block ×9, first 2 shown]
	ds_read_b64 v[93:94], v56 offset:432
	s_mov_b32 s4, exec_lo
	s_waitcnt vmcnt(39) lgkmcnt(9)
	v_mul_f32_e32 v135, v57, v95
	v_mul_f32_e32 v95, v58, v95
	s_waitcnt vmcnt(38)
	v_mul_f32_e32 v136, v59, v96
	v_mul_f32_e32 v96, v60, v96
	s_waitcnt vmcnt(37) lgkmcnt(8)
	v_mul_f32_e32 v137, v61, v97
	s_waitcnt vmcnt(36)
	v_mul_f32_e32 v138, v63, v98
	s_waitcnt vmcnt(35) lgkmcnt(7)
	v_mul_f32_e32 v139, v65, v99
	s_waitcnt vmcnt(34)
	;; [unrolled: 4-line block ×8, first 2 shown]
	v_fma_f32 v57, v57, v114, -v95
	v_fmac_f32_e32 v135, v58, v114
	v_mul_f32_e32 v58, v62, v97
	s_waitcnt vmcnt(19)
	v_fma_f32 v59, v59, v115, -v96
	v_fmac_f32_e32 v136, v60, v115
	v_add_f32_e32 v57, 0, v57
	v_add_f32_e32 v60, 0, v135
	v_mul_f32_e32 v95, v64, v98
	s_waitcnt vmcnt(18)
	v_fma_f32 v58, v61, v116, -v58
	v_fmac_f32_e32 v137, v62, v116
	v_add_f32_e32 v57, v57, v59
	v_add_f32_e32 v59, v60, v136
	;; [unrolled: 6-line block ×15, first 2 shown]
	v_mul_f32_e32 v59, v92, v112
	s_waitcnt vmcnt(4)
	v_fma_f32 v60, v89, v130, -v60
	v_mul_f32_e32 v152, v91, v112
	v_add_f32_e32 v57, v57, v61
	v_fmac_f32_e32 v151, v90, v130
	v_add_f32_e32 v58, v58, v150
	s_waitcnt lgkmcnt(0)
	v_mul_f32_e32 v61, v94, v113
	s_waitcnt vmcnt(3)
	v_fma_f32 v59, v91, v131, -v59
	v_add_f32_e32 v57, v57, v60
	v_mul_f32_e32 v153, v93, v113
	v_fmac_f32_e32 v152, v92, v131
	v_add_f32_e32 v58, v58, v151
	s_waitcnt vmcnt(2)
	v_fma_f32 v60, v93, v132, -v61
	v_add_f32_e32 v57, v57, v59
	v_fmac_f32_e32 v153, v94, v132
	v_add_f32_e32 v58, v58, v152
	v_add_f32_e32 v57, v57, v60
	;; [unrolled: 1-line block ×3, first 2 shown]
	s_waitcnt vmcnt(1)
	v_sub_f32_e32 v57, v133, v57
	s_waitcnt vmcnt(0)
	v_sub_f32_e32 v58, v134, v58
	buffer_store_dword v57, off, s[0:3], 0 offset:56
	buffer_store_dword v58, off, s[0:3], 0 offset:60
	v_cmpx_lt_u32_e32 6, v0
	s_cbranch_execz .LBB90_163
; %bb.162:
	s_clause 0x1
	buffer_load_dword v57, off, s[0:3], 0 offset:48
	buffer_load_dword v58, off, s[0:3], 0 offset:52
	buffer_store_dword v56, off, s[0:3], 0 offset:48
	buffer_store_dword v56, off, s[0:3], 0 offset:52
	s_waitcnt vmcnt(0)
	ds_write_b64 v55, v[57:58]
.LBB90_163:
	s_or_b32 exec_lo, exec_lo, s4
	s_waitcnt lgkmcnt(0)
	s_waitcnt_vscnt null, 0x0
	s_barrier
	buffer_gl0_inv
	s_clause 0x29
	buffer_load_dword v97, off, s[0:3], 0 offset:60
	buffer_load_dword v98, off, s[0:3], 0 offset:68
	;; [unrolled: 1-line block ×42, first 2 shown]
	ds_read2_b64 v[57:60], v56 offset0:35 offset1:36
	ds_read2_b64 v[61:64], v56 offset0:37 offset1:38
	;; [unrolled: 1-line block ×10, first 2 shown]
	s_mov_b32 s4, exec_lo
	s_waitcnt vmcnt(41) lgkmcnt(9)
	v_mul_f32_e32 v56, v57, v97
	v_mul_f32_e32 v97, v58, v97
	s_waitcnt vmcnt(40)
	v_mul_f32_e32 v139, v59, v98
	v_mul_f32_e32 v98, v60, v98
	s_waitcnt vmcnt(39) lgkmcnt(8)
	v_mul_f32_e32 v140, v61, v99
	s_waitcnt vmcnt(38)
	v_mul_f32_e32 v141, v63, v100
	s_waitcnt vmcnt(37) lgkmcnt(7)
	v_mul_f32_e32 v142, v65, v101
	s_waitcnt vmcnt(36)
	;; [unrolled: 4-line block ×8, first 2 shown]
	v_mul_f32_e32 v155, v91, v114
	s_waitcnt vmcnt(21)
	v_fma_f32 v57, v57, v117, -v97
	v_fmac_f32_e32 v56, v58, v117
	v_mul_f32_e32 v58, v62, v99
	s_waitcnt vmcnt(20)
	v_fma_f32 v59, v59, v118, -v98
	v_fmac_f32_e32 v139, v60, v118
	v_add_f32_e32 v57, 0, v57
	v_add_f32_e32 v56, 0, v56
	v_mul_f32_e32 v60, v64, v100
	s_waitcnt vmcnt(19)
	v_fma_f32 v58, v61, v119, -v58
	v_fmac_f32_e32 v140, v62, v119
	v_add_f32_e32 v57, v57, v59
	v_add_f32_e32 v56, v56, v139
	;; [unrolled: 6-line block ×16, first 2 shown]
	s_waitcnt lgkmcnt(0)
	v_mul_f32_e32 v60, v94, v115
	s_waitcnt vmcnt(4)
	v_fma_f32 v58, v91, v134, -v58
	v_mul_f32_e32 v156, v93, v115
	v_add_f32_e32 v57, v57, v59
	v_fmac_f32_e32 v155, v92, v134
	v_add_f32_e32 v56, v56, v154
	v_mul_f32_e32 v59, v96, v116
	s_waitcnt vmcnt(3)
	v_fma_f32 v60, v93, v135, -v60
	v_add_f32_e32 v57, v57, v58
	v_mul_f32_e32 v157, v95, v116
	v_fmac_f32_e32 v156, v94, v135
	v_add_f32_e32 v56, v56, v155
	s_waitcnt vmcnt(2)
	v_fma_f32 v58, v95, v136, -v59
	v_add_f32_e32 v57, v57, v60
	v_fmac_f32_e32 v157, v96, v136
	v_add_f32_e32 v56, v56, v156
	v_add_f32_e32 v57, v57, v58
	;; [unrolled: 1-line block ×3, first 2 shown]
	s_waitcnt vmcnt(1)
	v_sub_f32_e32 v57, v137, v57
	s_waitcnt vmcnt(0)
	v_sub_f32_e32 v56, v138, v56
	buffer_store_dword v57, off, s[0:3], 0 offset:48
	buffer_store_dword v56, off, s[0:3], 0 offset:52
	v_cmpx_lt_u32_e32 5, v0
	s_cbranch_execz .LBB90_165
; %bb.164:
	s_clause 0x1
	buffer_load_dword v56, off, s[0:3], 0 offset:40
	buffer_load_dword v57, off, s[0:3], 0 offset:44
	v_mov_b32_e32 v58, 0
	buffer_store_dword v58, off, s[0:3], 0 offset:40
	buffer_store_dword v58, off, s[0:3], 0 offset:44
	s_waitcnt vmcnt(0)
	ds_write_b64 v55, v[56:57]
.LBB90_165:
	s_or_b32 exec_lo, exec_lo, s4
	s_waitcnt lgkmcnt(0)
	s_waitcnt_vscnt null, 0x0
	s_barrier
	buffer_gl0_inv
	s_clause 0x2b
	buffer_load_dword v99, off, s[0:3], 0 offset:52
	buffer_load_dword v100, off, s[0:3], 0 offset:60
	;; [unrolled: 1-line block ×44, first 2 shown]
	v_mov_b32_e32 v56, 0
	ds_read_b128 v[57:60], v56 offset:272
	ds_read_b128 v[61:64], v56 offset:288
	;; [unrolled: 1-line block ×10, first 2 shown]
	ds_read_b64 v[97:98], v56 offset:432
	s_mov_b32 s4, exec_lo
	s_waitcnt vmcnt(43) lgkmcnt(10)
	v_mul_f32_e32 v143, v57, v99
	v_mul_f32_e32 v99, v58, v99
	s_waitcnt vmcnt(42)
	v_mul_f32_e32 v144, v59, v100
	v_mul_f32_e32 v100, v60, v100
	s_waitcnt vmcnt(41) lgkmcnt(9)
	v_mul_f32_e32 v145, v61, v101
	s_waitcnt vmcnt(40)
	v_mul_f32_e32 v146, v63, v102
	s_waitcnt vmcnt(39) lgkmcnt(8)
	v_mul_f32_e32 v147, v65, v103
	s_waitcnt vmcnt(38)
	;; [unrolled: 4-line block ×9, first 2 shown]
	v_fma_f32 v57, v57, v120, -v99
	v_fmac_f32_e32 v143, v58, v120
	v_mul_f32_e32 v58, v62, v101
	s_waitcnt vmcnt(21)
	v_fma_f32 v59, v59, v121, -v100
	v_fmac_f32_e32 v144, v60, v121
	v_add_f32_e32 v57, 0, v57
	v_add_f32_e32 v60, 0, v143
	v_mul_f32_e32 v99, v64, v102
	s_waitcnt vmcnt(20)
	v_fma_f32 v58, v61, v122, -v58
	v_fmac_f32_e32 v145, v62, v122
	v_add_f32_e32 v57, v57, v59
	v_add_f32_e32 v59, v60, v144
	;; [unrolled: 6-line block ×17, first 2 shown]
	v_mul_f32_e32 v60, v96, v118
	s_waitcnt vmcnt(4)
	v_fma_f32 v61, v93, v138, -v61
	v_mul_f32_e32 v162, v95, v118
	v_add_f32_e32 v57, v57, v59
	v_fmac_f32_e32 v161, v94, v138
	v_add_f32_e32 v58, v58, v160
	s_waitcnt lgkmcnt(0)
	v_mul_f32_e32 v59, v98, v119
	s_waitcnt vmcnt(3)
	v_fma_f32 v60, v95, v139, -v60
	v_add_f32_e32 v57, v57, v61
	v_mul_f32_e32 v163, v97, v119
	v_fmac_f32_e32 v162, v96, v139
	v_add_f32_e32 v58, v58, v161
	s_waitcnt vmcnt(2)
	v_fma_f32 v59, v97, v140, -v59
	v_add_f32_e32 v57, v57, v60
	v_fmac_f32_e32 v163, v98, v140
	v_add_f32_e32 v58, v58, v162
	v_add_f32_e32 v57, v57, v59
	;; [unrolled: 1-line block ×3, first 2 shown]
	s_waitcnt vmcnt(1)
	v_sub_f32_e32 v57, v141, v57
	s_waitcnt vmcnt(0)
	v_sub_f32_e32 v58, v142, v58
	buffer_store_dword v57, off, s[0:3], 0 offset:40
	buffer_store_dword v58, off, s[0:3], 0 offset:44
	v_cmpx_lt_u32_e32 4, v0
	s_cbranch_execz .LBB90_167
; %bb.166:
	s_clause 0x1
	buffer_load_dword v57, off, s[0:3], 0 offset:32
	buffer_load_dword v58, off, s[0:3], 0 offset:36
	buffer_store_dword v56, off, s[0:3], 0 offset:32
	buffer_store_dword v56, off, s[0:3], 0 offset:36
	s_waitcnt vmcnt(0)
	ds_write_b64 v55, v[57:58]
.LBB90_167:
	s_or_b32 exec_lo, exec_lo, s4
	s_waitcnt lgkmcnt(0)
	s_waitcnt_vscnt null, 0x0
	s_barrier
	buffer_gl0_inv
	s_clause 0x2d
	buffer_load_dword v101, off, s[0:3], 0 offset:44
	buffer_load_dword v102, off, s[0:3], 0 offset:52
	;; [unrolled: 1-line block ×46, first 2 shown]
	ds_read2_b64 v[57:60], v56 offset0:33 offset1:34
	ds_read2_b64 v[61:64], v56 offset0:35 offset1:36
	;; [unrolled: 1-line block ×11, first 2 shown]
	s_mov_b32 s4, exec_lo
	s_waitcnt vmcnt(45) lgkmcnt(10)
	v_mul_f32_e32 v56, v57, v101
	v_mul_f32_e32 v101, v58, v101
	s_waitcnt vmcnt(44)
	v_mul_f32_e32 v147, v59, v102
	v_mul_f32_e32 v102, v60, v102
	s_waitcnt vmcnt(43) lgkmcnt(9)
	v_mul_f32_e32 v148, v61, v103
	s_waitcnt vmcnt(42)
	v_mul_f32_e32 v149, v63, v104
	s_waitcnt vmcnt(41) lgkmcnt(8)
	v_mul_f32_e32 v150, v65, v105
	s_waitcnt vmcnt(40)
	;; [unrolled: 4-line block ×9, first 2 shown]
	v_mul_f32_e32 v165, v95, v120
	s_waitcnt vmcnt(23)
	v_fma_f32 v57, v57, v123, -v101
	v_fmac_f32_e32 v56, v58, v123
	v_mul_f32_e32 v58, v62, v103
	s_waitcnt vmcnt(22)
	v_fma_f32 v59, v59, v124, -v102
	v_fmac_f32_e32 v147, v60, v124
	v_add_f32_e32 v57, 0, v57
	v_add_f32_e32 v56, 0, v56
	v_mul_f32_e32 v60, v64, v104
	s_waitcnt vmcnt(21)
	v_fma_f32 v58, v61, v125, -v58
	v_fmac_f32_e32 v148, v62, v125
	v_add_f32_e32 v57, v57, v59
	v_add_f32_e32 v56, v56, v147
	;; [unrolled: 6-line block ×18, first 2 shown]
	s_waitcnt lgkmcnt(0)
	v_mul_f32_e32 v58, v98, v121
	s_waitcnt vmcnt(4)
	v_fma_f32 v59, v95, v142, -v59
	v_mul_f32_e32 v166, v97, v121
	v_add_f32_e32 v57, v57, v60
	v_fmac_f32_e32 v165, v96, v142
	v_add_f32_e32 v56, v56, v164
	v_mul_f32_e32 v60, v100, v122
	s_waitcnt vmcnt(3)
	v_fma_f32 v58, v97, v143, -v58
	v_add_f32_e32 v57, v57, v59
	v_mul_f32_e32 v167, v99, v122
	v_fmac_f32_e32 v166, v98, v143
	v_add_f32_e32 v56, v56, v165
	s_waitcnt vmcnt(2)
	v_fma_f32 v59, v99, v144, -v60
	v_add_f32_e32 v57, v57, v58
	v_fmac_f32_e32 v167, v100, v144
	v_add_f32_e32 v56, v56, v166
	v_add_f32_e32 v57, v57, v59
	;; [unrolled: 1-line block ×3, first 2 shown]
	s_waitcnt vmcnt(1)
	v_sub_f32_e32 v57, v145, v57
	s_waitcnt vmcnt(0)
	v_sub_f32_e32 v56, v146, v56
	buffer_store_dword v57, off, s[0:3], 0 offset:32
	buffer_store_dword v56, off, s[0:3], 0 offset:36
	v_cmpx_lt_u32_e32 3, v0
	s_cbranch_execz .LBB90_169
; %bb.168:
	s_clause 0x1
	buffer_load_dword v56, off, s[0:3], 0 offset:24
	buffer_load_dword v57, off, s[0:3], 0 offset:28
	v_mov_b32_e32 v58, 0
	buffer_store_dword v58, off, s[0:3], 0 offset:24
	buffer_store_dword v58, off, s[0:3], 0 offset:28
	s_waitcnt vmcnt(0)
	ds_write_b64 v55, v[56:57]
.LBB90_169:
	s_or_b32 exec_lo, exec_lo, s4
	s_waitcnt lgkmcnt(0)
	s_waitcnt_vscnt null, 0x0
	s_barrier
	buffer_gl0_inv
	s_clause 0x2f
	buffer_load_dword v103, off, s[0:3], 0 offset:36
	buffer_load_dword v104, off, s[0:3], 0 offset:44
	;; [unrolled: 1-line block ×48, first 2 shown]
	v_mov_b32_e32 v56, 0
	ds_read_b128 v[57:60], v56 offset:256
	ds_read_b128 v[61:64], v56 offset:272
	;; [unrolled: 1-line block ×11, first 2 shown]
	ds_read_b64 v[101:102], v56 offset:432
	s_mov_b32 s4, exec_lo
	s_waitcnt vmcnt(47) lgkmcnt(11)
	v_mul_f32_e32 v151, v57, v103
	v_mul_f32_e32 v103, v58, v103
	s_waitcnt vmcnt(46)
	v_mul_f32_e32 v152, v59, v104
	v_mul_f32_e32 v104, v60, v104
	s_waitcnt vmcnt(45) lgkmcnt(10)
	v_mul_f32_e32 v153, v61, v105
	s_waitcnt vmcnt(44)
	v_mul_f32_e32 v154, v63, v106
	s_waitcnt vmcnt(43) lgkmcnt(9)
	v_mul_f32_e32 v155, v65, v107
	s_waitcnt vmcnt(42)
	;; [unrolled: 4-line block ×10, first 2 shown]
	v_fma_f32 v57, v57, v126, -v103
	v_fmac_f32_e32 v151, v58, v126
	v_mul_f32_e32 v58, v62, v105
	s_waitcnt vmcnt(23)
	v_fma_f32 v59, v59, v127, -v104
	v_fmac_f32_e32 v152, v60, v127
	v_add_f32_e32 v57, 0, v57
	v_add_f32_e32 v60, 0, v151
	v_mul_f32_e32 v103, v64, v106
	s_waitcnt vmcnt(22)
	v_fma_f32 v58, v61, v128, -v58
	v_fmac_f32_e32 v153, v62, v128
	v_add_f32_e32 v57, v57, v59
	v_add_f32_e32 v59, v60, v152
	;; [unrolled: 6-line block ×19, first 2 shown]
	v_mul_f32_e32 v61, v100, v124
	s_waitcnt vmcnt(4)
	v_fma_f32 v59, v97, v146, -v59
	v_mul_f32_e32 v172, v99, v124
	v_add_f32_e32 v57, v57, v60
	v_fmac_f32_e32 v171, v98, v146
	v_add_f32_e32 v58, v58, v170
	s_waitcnt lgkmcnt(0)
	v_mul_f32_e32 v60, v102, v125
	s_waitcnt vmcnt(3)
	v_fma_f32 v61, v99, v147, -v61
	v_add_f32_e32 v57, v57, v59
	v_mul_f32_e32 v173, v101, v125
	v_fmac_f32_e32 v172, v100, v147
	v_add_f32_e32 v58, v58, v171
	s_waitcnt vmcnt(2)
	v_fma_f32 v59, v101, v148, -v60
	v_add_f32_e32 v57, v57, v61
	v_fmac_f32_e32 v173, v102, v148
	v_add_f32_e32 v58, v58, v172
	v_add_f32_e32 v57, v57, v59
	;; [unrolled: 1-line block ×3, first 2 shown]
	s_waitcnt vmcnt(1)
	v_sub_f32_e32 v57, v149, v57
	s_waitcnt vmcnt(0)
	v_sub_f32_e32 v58, v150, v58
	buffer_store_dword v57, off, s[0:3], 0 offset:24
	buffer_store_dword v58, off, s[0:3], 0 offset:28
	v_cmpx_lt_u32_e32 2, v0
	s_cbranch_execz .LBB90_171
; %bb.170:
	s_clause 0x1
	buffer_load_dword v57, off, s[0:3], 0 offset:16
	buffer_load_dword v58, off, s[0:3], 0 offset:20
	buffer_store_dword v56, off, s[0:3], 0 offset:16
	buffer_store_dword v56, off, s[0:3], 0 offset:20
	s_waitcnt vmcnt(0)
	ds_write_b64 v55, v[57:58]
.LBB90_171:
	s_or_b32 exec_lo, exec_lo, s4
	s_waitcnt lgkmcnt(0)
	s_waitcnt_vscnt null, 0x0
	s_barrier
	buffer_gl0_inv
	s_clause 0x31
	buffer_load_dword v105, off, s[0:3], 0 offset:28
	buffer_load_dword v106, off, s[0:3], 0 offset:36
	;; [unrolled: 1-line block ×50, first 2 shown]
	ds_read2_b64 v[57:60], v56 offset0:31 offset1:32
	ds_read2_b64 v[61:64], v56 offset0:33 offset1:34
	;; [unrolled: 1-line block ×12, first 2 shown]
	s_mov_b32 s4, exec_lo
	s_waitcnt vmcnt(49) lgkmcnt(11)
	v_mul_f32_e32 v56, v57, v105
	v_mul_f32_e32 v105, v58, v105
	s_waitcnt vmcnt(48)
	v_mul_f32_e32 v155, v59, v106
	v_mul_f32_e32 v106, v60, v106
	s_waitcnt vmcnt(47) lgkmcnt(10)
	v_mul_f32_e32 v156, v61, v107
	s_waitcnt vmcnt(46)
	v_mul_f32_e32 v157, v63, v108
	s_waitcnt vmcnt(45) lgkmcnt(9)
	v_mul_f32_e32 v158, v65, v109
	s_waitcnt vmcnt(44)
	;; [unrolled: 4-line block ×10, first 2 shown]
	v_mul_f32_e32 v175, v99, v126
	s_waitcnt vmcnt(25)
	v_fma_f32 v57, v57, v129, -v105
	v_fmac_f32_e32 v56, v58, v129
	v_mul_f32_e32 v58, v62, v107
	s_waitcnt vmcnt(24)
	v_fma_f32 v59, v59, v130, -v106
	v_fmac_f32_e32 v155, v60, v130
	v_add_f32_e32 v57, 0, v57
	v_add_f32_e32 v56, 0, v56
	v_mul_f32_e32 v60, v64, v108
	s_waitcnt vmcnt(23)
	v_fma_f32 v58, v61, v131, -v58
	v_fmac_f32_e32 v156, v62, v131
	v_add_f32_e32 v57, v57, v59
	v_add_f32_e32 v56, v56, v155
	;; [unrolled: 6-line block ×20, first 2 shown]
	s_waitcnt lgkmcnt(0)
	v_mul_f32_e32 v59, v102, v127
	s_waitcnt vmcnt(4)
	v_fma_f32 v60, v99, v150, -v60
	v_mul_f32_e32 v176, v101, v127
	v_add_f32_e32 v57, v57, v58
	v_fmac_f32_e32 v175, v100, v150
	v_add_f32_e32 v56, v56, v174
	v_mul_f32_e32 v58, v104, v128
	s_waitcnt vmcnt(3)
	v_fma_f32 v59, v101, v151, -v59
	v_add_f32_e32 v57, v57, v60
	v_mul_f32_e32 v177, v103, v128
	v_fmac_f32_e32 v176, v102, v151
	v_add_f32_e32 v56, v56, v175
	s_waitcnt vmcnt(2)
	v_fma_f32 v58, v103, v152, -v58
	v_add_f32_e32 v57, v57, v59
	v_fmac_f32_e32 v177, v104, v152
	v_add_f32_e32 v56, v56, v176
	v_add_f32_e32 v57, v57, v58
	;; [unrolled: 1-line block ×3, first 2 shown]
	s_waitcnt vmcnt(1)
	v_sub_f32_e32 v57, v153, v57
	s_waitcnt vmcnt(0)
	v_sub_f32_e32 v56, v154, v56
	buffer_store_dword v57, off, s[0:3], 0 offset:16
	buffer_store_dword v56, off, s[0:3], 0 offset:20
	v_cmpx_lt_u32_e32 1, v0
	s_cbranch_execz .LBB90_173
; %bb.172:
	s_clause 0x1
	buffer_load_dword v56, off, s[0:3], 0 offset:8
	buffer_load_dword v57, off, s[0:3], 0 offset:12
	v_mov_b32_e32 v58, 0
	buffer_store_dword v58, off, s[0:3], 0 offset:8
	buffer_store_dword v58, off, s[0:3], 0 offset:12
	s_waitcnt vmcnt(0)
	ds_write_b64 v55, v[56:57]
.LBB90_173:
	s_or_b32 exec_lo, exec_lo, s4
	s_waitcnt lgkmcnt(0)
	s_waitcnt_vscnt null, 0x0
	s_barrier
	buffer_gl0_inv
	s_clause 0x33
	buffer_load_dword v107, off, s[0:3], 0 offset:20
	buffer_load_dword v108, off, s[0:3], 0 offset:28
	;; [unrolled: 1-line block ×52, first 2 shown]
	v_mov_b32_e32 v56, 0
	ds_read_b128 v[57:60], v56 offset:240
	ds_read_b128 v[61:64], v56 offset:256
	;; [unrolled: 1-line block ×12, first 2 shown]
	ds_read_b64 v[105:106], v56 offset:432
	s_mov_b32 s4, exec_lo
	s_waitcnt vmcnt(51) lgkmcnt(12)
	v_mul_f32_e32 v159, v57, v107
	v_mul_f32_e32 v107, v58, v107
	s_waitcnt vmcnt(50)
	v_mul_f32_e32 v160, v59, v108
	v_mul_f32_e32 v108, v60, v108
	s_waitcnt vmcnt(49) lgkmcnt(11)
	v_mul_f32_e32 v161, v61, v109
	s_waitcnt vmcnt(48)
	v_mul_f32_e32 v162, v63, v110
	s_waitcnt vmcnt(47) lgkmcnt(10)
	v_mul_f32_e32 v163, v65, v111
	s_waitcnt vmcnt(46)
	;; [unrolled: 4-line block ×11, first 2 shown]
	v_fma_f32 v57, v57, v132, -v107
	v_fmac_f32_e32 v159, v58, v132
	v_mul_f32_e32 v58, v62, v109
	s_waitcnt vmcnt(25)
	v_fma_f32 v59, v59, v133, -v108
	v_fmac_f32_e32 v160, v60, v133
	v_add_f32_e32 v57, 0, v57
	v_add_f32_e32 v60, 0, v159
	v_mul_f32_e32 v107, v64, v110
	s_waitcnt vmcnt(24)
	v_fma_f32 v58, v61, v134, -v58
	v_fmac_f32_e32 v161, v62, v134
	v_add_f32_e32 v57, v57, v59
	v_add_f32_e32 v59, v60, v160
	;; [unrolled: 6-line block ×21, first 2 shown]
	v_mul_f32_e32 v59, v104, v130
	s_waitcnt vmcnt(4)
	v_fma_f32 v60, v101, v154, -v60
	v_mul_f32_e32 v182, v103, v130
	v_add_f32_e32 v57, v57, v61
	v_fmac_f32_e32 v181, v102, v154
	v_add_f32_e32 v58, v58, v180
	s_waitcnt lgkmcnt(0)
	v_mul_f32_e32 v61, v106, v131
	s_waitcnt vmcnt(3)
	v_fma_f32 v59, v103, v155, -v59
	v_add_f32_e32 v57, v57, v60
	v_mul_f32_e32 v183, v105, v131
	v_fmac_f32_e32 v182, v104, v155
	v_add_f32_e32 v58, v58, v181
	s_waitcnt vmcnt(2)
	v_fma_f32 v60, v105, v156, -v61
	v_add_f32_e32 v57, v57, v59
	v_fmac_f32_e32 v183, v106, v156
	v_add_f32_e32 v58, v58, v182
	v_add_f32_e32 v57, v57, v60
	;; [unrolled: 1-line block ×3, first 2 shown]
	s_waitcnt vmcnt(1)
	v_sub_f32_e32 v57, v157, v57
	s_waitcnt vmcnt(0)
	v_sub_f32_e32 v58, v158, v58
	buffer_store_dword v57, off, s[0:3], 0 offset:8
	buffer_store_dword v58, off, s[0:3], 0 offset:12
	v_cmpx_ne_u32_e32 0, v0
	s_cbranch_execz .LBB90_175
; %bb.174:
	s_clause 0x1
	buffer_load_dword v57, off, s[0:3], 0
	buffer_load_dword v58, off, s[0:3], 0 offset:4
	buffer_store_dword v56, off, s[0:3], 0
	buffer_store_dword v56, off, s[0:3], 0 offset:4
	s_waitcnt vmcnt(0)
	ds_write_b64 v55, v[57:58]
.LBB90_175:
	s_or_b32 exec_lo, exec_lo, s4
	s_waitcnt lgkmcnt(0)
	s_waitcnt_vscnt null, 0x0
	s_barrier
	buffer_gl0_inv
	s_clause 0x35
	buffer_load_dword v0, off, s[0:3], 0 offset:12
	buffer_load_dword v55, off, s[0:3], 0 offset:20
	;; [unrolled: 1-line block ×52, first 2 shown]
	buffer_load_dword v159, off, s[0:3], 0
	buffer_load_dword v160, off, s[0:3], 0 offset:4
	ds_read2_b64 v[57:60], v56 offset0:29 offset1:30
	ds_read2_b64 v[61:64], v56 offset0:31 offset1:32
	;; [unrolled: 1-line block ×13, first 2 shown]
	s_and_b32 vcc_lo, exec_lo, s16
	s_waitcnt vmcnt(53) lgkmcnt(12)
	v_mul_f32_e32 v56, v57, v0
	v_mul_f32_e32 v0, v58, v0
	s_waitcnt vmcnt(52)
	v_mul_f32_e32 v161, v59, v55
	v_mul_f32_e32 v55, v60, v55
	s_waitcnt vmcnt(51) lgkmcnt(11)
	v_mul_f32_e32 v162, v61, v109
	s_waitcnt vmcnt(50)
	v_mul_f32_e32 v163, v63, v110
	s_waitcnt vmcnt(49) lgkmcnt(10)
	v_mul_f32_e32 v164, v65, v111
	s_waitcnt vmcnt(48)
	;; [unrolled: 4-line block ×11, first 2 shown]
	v_mul_f32_e32 v183, v103, v130
	s_waitcnt vmcnt(27)
	v_fma_f32 v0, v57, v133, -v0
	v_fmac_f32_e32 v56, v58, v133
	v_mul_f32_e32 v57, v62, v109
	s_waitcnt vmcnt(26)
	v_fma_f32 v55, v59, v134, -v55
	v_fmac_f32_e32 v161, v60, v134
	v_add_f32_e32 v0, 0, v0
	v_add_f32_e32 v56, 0, v56
	v_mul_f32_e32 v58, v64, v110
	s_waitcnt vmcnt(25)
	v_fma_f32 v57, v61, v135, -v57
	v_fmac_f32_e32 v162, v62, v135
	v_add_f32_e32 v0, v0, v55
	v_add_f32_e32 v55, v56, v161
	;; [unrolled: 6-line block ×22, first 2 shown]
	s_waitcnt lgkmcnt(0)
	v_mul_f32_e32 v58, v106, v131
	s_waitcnt vmcnt(4)
	v_fma_f32 v57, v103, v156, -v57
	v_mul_f32_e32 v184, v105, v131
	v_add_f32_e32 v0, v0, v56
	v_fmac_f32_e32 v183, v104, v156
	v_add_f32_e32 v55, v55, v182
	v_mul_f32_e32 v56, v108, v132
	s_waitcnt vmcnt(3)
	v_fma_f32 v58, v105, v157, -v58
	v_add_f32_e32 v0, v0, v57
	v_mul_f32_e32 v185, v107, v132
	v_fmac_f32_e32 v184, v106, v157
	v_add_f32_e32 v55, v55, v183
	s_waitcnt vmcnt(2)
	v_fma_f32 v56, v107, v158, -v56
	v_add_f32_e32 v0, v0, v58
	v_fmac_f32_e32 v185, v108, v158
	v_add_f32_e32 v55, v55, v184
	v_add_f32_e32 v0, v0, v56
	;; [unrolled: 1-line block ×3, first 2 shown]
	s_waitcnt vmcnt(1)
	v_sub_f32_e32 v0, v159, v0
	s_waitcnt vmcnt(0)
	v_sub_f32_e32 v55, v160, v55
	buffer_store_dword v0, off, s[0:3], 0
	buffer_store_dword v55, off, s[0:3], 0 offset:4
	s_cbranch_vccz .LBB90_228
; %bb.176:
	v_mov_b32_e32 v0, 0
	global_load_dword v55, v0, s[12:13] offset:100
	s_waitcnt vmcnt(0)
	v_add_nc_u32_e32 v55, -1, v55
	v_cmp_ne_u32_e32 vcc_lo, 25, v55
	s_cbranch_vccz .LBB90_178
; %bb.177:
	v_lshlrev_b32_e32 v55, 3, v55
	s_clause 0x3
	buffer_load_dword v56, v55, s[0:3], 0 offen
	buffer_load_dword v57, v55, s[0:3], 0 offen offset:4
	buffer_load_dword v58, off, s[0:3], 0 offset:200
	buffer_load_dword v59, off, s[0:3], 0 offset:204
	s_waitcnt vmcnt(3)
	buffer_store_dword v56, off, s[0:3], 0 offset:200
	s_waitcnt vmcnt(2)
	buffer_store_dword v57, off, s[0:3], 0 offset:204
	s_waitcnt vmcnt(1)
	buffer_store_dword v58, v55, s[0:3], 0 offen
	s_waitcnt vmcnt(0)
	buffer_store_dword v59, v55, s[0:3], 0 offen offset:4
.LBB90_178:
	global_load_dword v0, v0, s[12:13] offset:96
	s_waitcnt vmcnt(0)
	v_add_nc_u32_e32 v0, -1, v0
	v_cmp_eq_u32_e32 vcc_lo, 24, v0
	s_cbranch_vccnz .LBB90_180
; %bb.179:
	v_lshlrev_b32_e32 v0, 3, v0
	s_clause 0x3
	buffer_load_dword v55, v0, s[0:3], 0 offen
	buffer_load_dword v56, v0, s[0:3], 0 offen offset:4
	buffer_load_dword v57, off, s[0:3], 0 offset:196
	buffer_load_dword v58, off, s[0:3], 0 offset:192
	s_waitcnt vmcnt(3)
	buffer_store_dword v55, off, s[0:3], 0 offset:192
	s_waitcnt vmcnt(2)
	buffer_store_dword v56, off, s[0:3], 0 offset:196
	s_waitcnt vmcnt(1)
	buffer_store_dword v57, v0, s[0:3], 0 offen offset:4
	s_waitcnt vmcnt(0)
	buffer_store_dword v58, v0, s[0:3], 0 offen
.LBB90_180:
	v_mov_b32_e32 v0, 0
	global_load_dword v55, v0, s[12:13] offset:92
	s_waitcnt vmcnt(0)
	v_add_nc_u32_e32 v55, -1, v55
	v_cmp_eq_u32_e32 vcc_lo, 23, v55
	s_cbranch_vccnz .LBB90_182
; %bb.181:
	v_lshlrev_b32_e32 v55, 3, v55
	s_clause 0x3
	buffer_load_dword v56, v55, s[0:3], 0 offen
	buffer_load_dword v57, v55, s[0:3], 0 offen offset:4
	buffer_load_dword v58, off, s[0:3], 0 offset:184
	buffer_load_dword v59, off, s[0:3], 0 offset:188
	s_waitcnt vmcnt(3)
	buffer_store_dword v56, off, s[0:3], 0 offset:184
	s_waitcnt vmcnt(2)
	buffer_store_dword v57, off, s[0:3], 0 offset:188
	s_waitcnt vmcnt(1)
	buffer_store_dword v58, v55, s[0:3], 0 offen
	s_waitcnt vmcnt(0)
	buffer_store_dword v59, v55, s[0:3], 0 offen offset:4
.LBB90_182:
	global_load_dword v0, v0, s[12:13] offset:88
	s_waitcnt vmcnt(0)
	v_add_nc_u32_e32 v0, -1, v0
	v_cmp_eq_u32_e32 vcc_lo, 22, v0
	s_cbranch_vccnz .LBB90_184
; %bb.183:
	v_lshlrev_b32_e32 v0, 3, v0
	s_clause 0x3
	buffer_load_dword v55, v0, s[0:3], 0 offen
	buffer_load_dword v56, v0, s[0:3], 0 offen offset:4
	buffer_load_dword v57, off, s[0:3], 0 offset:180
	buffer_load_dword v58, off, s[0:3], 0 offset:176
	s_waitcnt vmcnt(3)
	buffer_store_dword v55, off, s[0:3], 0 offset:176
	s_waitcnt vmcnt(2)
	buffer_store_dword v56, off, s[0:3], 0 offset:180
	s_waitcnt vmcnt(1)
	buffer_store_dword v57, v0, s[0:3], 0 offen offset:4
	s_waitcnt vmcnt(0)
	buffer_store_dword v58, v0, s[0:3], 0 offen
.LBB90_184:
	v_mov_b32_e32 v0, 0
	global_load_dword v55, v0, s[12:13] offset:84
	s_waitcnt vmcnt(0)
	v_add_nc_u32_e32 v55, -1, v55
	v_cmp_eq_u32_e32 vcc_lo, 21, v55
	s_cbranch_vccnz .LBB90_186
; %bb.185:
	v_lshlrev_b32_e32 v55, 3, v55
	s_clause 0x3
	buffer_load_dword v56, v55, s[0:3], 0 offen
	buffer_load_dword v57, v55, s[0:3], 0 offen offset:4
	buffer_load_dword v58, off, s[0:3], 0 offset:168
	buffer_load_dword v59, off, s[0:3], 0 offset:172
	s_waitcnt vmcnt(3)
	buffer_store_dword v56, off, s[0:3], 0 offset:168
	s_waitcnt vmcnt(2)
	buffer_store_dword v57, off, s[0:3], 0 offset:172
	s_waitcnt vmcnt(1)
	buffer_store_dword v58, v55, s[0:3], 0 offen
	s_waitcnt vmcnt(0)
	buffer_store_dword v59, v55, s[0:3], 0 offen offset:4
.LBB90_186:
	;; [unrolled: 43-line block ×12, first 2 shown]
	global_load_dword v0, v0, s[12:13]
	s_waitcnt vmcnt(0)
	v_add_nc_u32_e32 v0, -1, v0
	v_cmp_eq_u32_e32 vcc_lo, 0, v0
	s_cbranch_vccnz .LBB90_228
; %bb.227:
	v_lshlrev_b32_e32 v0, 3, v0
	s_clause 0x3
	buffer_load_dword v55, v0, s[0:3], 0 offen
	buffer_load_dword v56, v0, s[0:3], 0 offen offset:4
	buffer_load_dword v57, off, s[0:3], 0 offset:4
	buffer_load_dword v58, off, s[0:3], 0
	s_waitcnt vmcnt(3)
	buffer_store_dword v55, off, s[0:3], 0
	s_waitcnt vmcnt(2)
	buffer_store_dword v56, off, s[0:3], 0 offset:4
	s_waitcnt vmcnt(1)
	buffer_store_dword v57, v0, s[0:3], 0 offen offset:4
	s_waitcnt vmcnt(0)
	buffer_store_dword v58, v0, s[0:3], 0 offen
.LBB90_228:
	s_clause 0x1
	buffer_load_dword v55, off, s[0:3], 0
	buffer_load_dword v56, off, s[0:3], 0 offset:4
	s_waitcnt vmcnt(0)
	flat_store_dwordx2 v[1:2], v[55:56]
	s_clause 0x1
	buffer_load_dword v0, off, s[0:3], 0 offset:8
	buffer_load_dword v1, off, s[0:3], 0 offset:12
	s_waitcnt vmcnt(0)
	flat_store_dwordx2 v[3:4], v[0:1]
	s_clause 0x1
	buffer_load_dword v0, off, s[0:3], 0 offset:16
	;; [unrolled: 5-line block ×26, first 2 shown]
	buffer_load_dword v1, off, s[0:3], 0 offset:212
	s_waitcnt vmcnt(0)
	flat_store_dwordx2 v[53:54], v[0:1]
	s_endpgm
	.section	.rodata,"a",@progbits
	.p2align	6, 0x0
	.amdhsa_kernel _ZN9rocsolver6v33100L18getri_kernel_smallILi27E19rocblas_complex_numIfEPKPS3_EEvT1_iilPiilS8_bb
		.amdhsa_group_segment_fixed_size 440
		.amdhsa_private_segment_fixed_size 224
		.amdhsa_kernarg_size 60
		.amdhsa_user_sgpr_count 6
		.amdhsa_user_sgpr_private_segment_buffer 1
		.amdhsa_user_sgpr_dispatch_ptr 0
		.amdhsa_user_sgpr_queue_ptr 0
		.amdhsa_user_sgpr_kernarg_segment_ptr 1
		.amdhsa_user_sgpr_dispatch_id 0
		.amdhsa_user_sgpr_flat_scratch_init 0
		.amdhsa_user_sgpr_private_segment_size 0
		.amdhsa_wavefront_size32 1
		.amdhsa_uses_dynamic_stack 0
		.amdhsa_system_sgpr_private_segment_wavefront_offset 1
		.amdhsa_system_sgpr_workgroup_id_x 1
		.amdhsa_system_sgpr_workgroup_id_y 0
		.amdhsa_system_sgpr_workgroup_id_z 0
		.amdhsa_system_sgpr_workgroup_info 0
		.amdhsa_system_vgpr_workitem_id 0
		.amdhsa_next_free_vgpr 186
		.amdhsa_next_free_sgpr 20
		.amdhsa_reserve_vcc 1
		.amdhsa_reserve_flat_scratch 0
		.amdhsa_float_round_mode_32 0
		.amdhsa_float_round_mode_16_64 0
		.amdhsa_float_denorm_mode_32 3
		.amdhsa_float_denorm_mode_16_64 3
		.amdhsa_dx10_clamp 1
		.amdhsa_ieee_mode 1
		.amdhsa_fp16_overflow 0
		.amdhsa_workgroup_processor_mode 1
		.amdhsa_memory_ordered 1
		.amdhsa_forward_progress 1
		.amdhsa_shared_vgpr_count 0
		.amdhsa_exception_fp_ieee_invalid_op 0
		.amdhsa_exception_fp_denorm_src 0
		.amdhsa_exception_fp_ieee_div_zero 0
		.amdhsa_exception_fp_ieee_overflow 0
		.amdhsa_exception_fp_ieee_underflow 0
		.amdhsa_exception_fp_ieee_inexact 0
		.amdhsa_exception_int_div_zero 0
	.end_amdhsa_kernel
	.section	.text._ZN9rocsolver6v33100L18getri_kernel_smallILi27E19rocblas_complex_numIfEPKPS3_EEvT1_iilPiilS8_bb,"axG",@progbits,_ZN9rocsolver6v33100L18getri_kernel_smallILi27E19rocblas_complex_numIfEPKPS3_EEvT1_iilPiilS8_bb,comdat
.Lfunc_end90:
	.size	_ZN9rocsolver6v33100L18getri_kernel_smallILi27E19rocblas_complex_numIfEPKPS3_EEvT1_iilPiilS8_bb, .Lfunc_end90-_ZN9rocsolver6v33100L18getri_kernel_smallILi27E19rocblas_complex_numIfEPKPS3_EEvT1_iilPiilS8_bb
                                        ; -- End function
	.set _ZN9rocsolver6v33100L18getri_kernel_smallILi27E19rocblas_complex_numIfEPKPS3_EEvT1_iilPiilS8_bb.num_vgpr, 186
	.set _ZN9rocsolver6v33100L18getri_kernel_smallILi27E19rocblas_complex_numIfEPKPS3_EEvT1_iilPiilS8_bb.num_agpr, 0
	.set _ZN9rocsolver6v33100L18getri_kernel_smallILi27E19rocblas_complex_numIfEPKPS3_EEvT1_iilPiilS8_bb.numbered_sgpr, 20
	.set _ZN9rocsolver6v33100L18getri_kernel_smallILi27E19rocblas_complex_numIfEPKPS3_EEvT1_iilPiilS8_bb.num_named_barrier, 0
	.set _ZN9rocsolver6v33100L18getri_kernel_smallILi27E19rocblas_complex_numIfEPKPS3_EEvT1_iilPiilS8_bb.private_seg_size, 224
	.set _ZN9rocsolver6v33100L18getri_kernel_smallILi27E19rocblas_complex_numIfEPKPS3_EEvT1_iilPiilS8_bb.uses_vcc, 1
	.set _ZN9rocsolver6v33100L18getri_kernel_smallILi27E19rocblas_complex_numIfEPKPS3_EEvT1_iilPiilS8_bb.uses_flat_scratch, 0
	.set _ZN9rocsolver6v33100L18getri_kernel_smallILi27E19rocblas_complex_numIfEPKPS3_EEvT1_iilPiilS8_bb.has_dyn_sized_stack, 0
	.set _ZN9rocsolver6v33100L18getri_kernel_smallILi27E19rocblas_complex_numIfEPKPS3_EEvT1_iilPiilS8_bb.has_recursion, 0
	.set _ZN9rocsolver6v33100L18getri_kernel_smallILi27E19rocblas_complex_numIfEPKPS3_EEvT1_iilPiilS8_bb.has_indirect_call, 0
	.section	.AMDGPU.csdata,"",@progbits
; Kernel info:
; codeLenInByte = 36352
; TotalNumSgprs: 22
; NumVgprs: 186
; ScratchSize: 224
; MemoryBound: 0
; FloatMode: 240
; IeeeMode: 1
; LDSByteSize: 440 bytes/workgroup (compile time only)
; SGPRBlocks: 0
; VGPRBlocks: 23
; NumSGPRsForWavesPerEU: 22
; NumVGPRsForWavesPerEU: 186
; Occupancy: 5
; WaveLimiterHint : 1
; COMPUTE_PGM_RSRC2:SCRATCH_EN: 1
; COMPUTE_PGM_RSRC2:USER_SGPR: 6
; COMPUTE_PGM_RSRC2:TRAP_HANDLER: 0
; COMPUTE_PGM_RSRC2:TGID_X_EN: 1
; COMPUTE_PGM_RSRC2:TGID_Y_EN: 0
; COMPUTE_PGM_RSRC2:TGID_Z_EN: 0
; COMPUTE_PGM_RSRC2:TIDIG_COMP_CNT: 0
	.section	.text._ZN9rocsolver6v33100L18getri_kernel_smallILi28E19rocblas_complex_numIfEPKPS3_EEvT1_iilPiilS8_bb,"axG",@progbits,_ZN9rocsolver6v33100L18getri_kernel_smallILi28E19rocblas_complex_numIfEPKPS3_EEvT1_iilPiilS8_bb,comdat
	.globl	_ZN9rocsolver6v33100L18getri_kernel_smallILi28E19rocblas_complex_numIfEPKPS3_EEvT1_iilPiilS8_bb ; -- Begin function _ZN9rocsolver6v33100L18getri_kernel_smallILi28E19rocblas_complex_numIfEPKPS3_EEvT1_iilPiilS8_bb
	.p2align	8
	.type	_ZN9rocsolver6v33100L18getri_kernel_smallILi28E19rocblas_complex_numIfEPKPS3_EEvT1_iilPiilS8_bb,@function
_ZN9rocsolver6v33100L18getri_kernel_smallILi28E19rocblas_complex_numIfEPKPS3_EEvT1_iilPiilS8_bb: ; @_ZN9rocsolver6v33100L18getri_kernel_smallILi28E19rocblas_complex_numIfEPKPS3_EEvT1_iilPiilS8_bb
; %bb.0:
	s_add_u32 s0, s0, s7
	s_addc_u32 s1, s1, 0
	s_mov_b32 s7, exec_lo
	v_cmpx_gt_u32_e32 28, v0
	s_cbranch_execz .LBB91_126
; %bb.1:
	s_clause 0x2
	s_load_dword s17, s[4:5], 0x38
	s_load_dwordx2 s[12:13], s[4:5], 0x0
	s_load_dwordx4 s[8:11], s[4:5], 0x28
	s_waitcnt lgkmcnt(0)
	s_bitcmp1_b32 s17, 8
	s_cselect_b32 s16, -1, 0
	s_ashr_i32 s7, s6, 31
	s_lshl_b64 s[14:15], s[6:7], 3
	s_add_u32 s12, s12, s14
	s_addc_u32 s13, s13, s15
	s_load_dwordx2 s[14:15], s[12:13], 0x0
	s_bfe_u32 s12, s17, 0x10008
	s_cmp_eq_u32 s12, 0
                                        ; implicit-def: $sgpr12_sgpr13
	s_cbranch_scc1 .LBB91_3
; %bb.2:
	s_clause 0x1
	s_load_dword s12, s[4:5], 0x20
	s_load_dwordx2 s[18:19], s[4:5], 0x18
	s_mul_i32 s13, s8, s7
	s_mul_hi_u32 s17, s8, s6
	s_mul_i32 s9, s9, s6
	s_add_i32 s13, s17, s13
	s_mul_i32 s8, s8, s6
	s_add_i32 s9, s13, s9
	s_lshl_b64 s[8:9], s[8:9], 2
	s_waitcnt lgkmcnt(0)
	s_ashr_i32 s13, s12, 31
	s_add_u32 s17, s18, s8
	s_addc_u32 s18, s19, s9
	s_lshl_b64 s[8:9], s[12:13], 2
	s_add_u32 s12, s17, s8
	s_addc_u32 s13, s18, s9
.LBB91_3:
	s_clause 0x1
	s_load_dwordx2 s[8:9], s[4:5], 0x8
	s_load_dword s17, s[4:5], 0x38
	v_lshlrev_b32_e32 v59, 3, v0
	s_waitcnt lgkmcnt(0)
	s_ashr_i32 s5, s8, 31
	s_mov_b32 s4, s8
	v_add3_u32 v9, s9, s9, v0
	s_lshl_b64 s[4:5], s[4:5], 3
	s_add_u32 s8, s14, s4
	s_addc_u32 s14, s15, s5
	v_add_co_u32 v1, s4, s8, v59
	v_add_co_ci_u32_e64 v2, null, s14, 0, s4
	s_mov_b32 s4, s9
	s_ashr_i32 s5, s9, 31
	v_ashrrev_i32_e32 v10, 31, v9
	flat_load_dwordx2 v[5:6], v[1:2]
	s_lshl_b64 s[4:5], s[4:5], 3
	v_add_nc_u32_e32 v12, s9, v9
	v_add_co_u32 v3, vcc_lo, v1, s4
	v_add_co_ci_u32_e64 v4, null, s5, v2, vcc_lo
	v_ashrrev_i32_e32 v13, 31, v12
	s_mov_b32 s5, -1
	s_bitcmp0_b32 s17, 0
	s_waitcnt vmcnt(0) lgkmcnt(0)
	buffer_store_dword v6, off, s[0:3], 0 offset:4
	buffer_store_dword v5, off, s[0:3], 0
	flat_load_dwordx2 v[7:8], v[3:4]
	v_lshlrev_b64 v[5:6], 3, v[9:10]
	s_waitcnt vmcnt(0) lgkmcnt(0)
	buffer_store_dword v8, off, s[0:3], 0 offset:12
	buffer_store_dword v7, off, s[0:3], 0 offset:8
	v_add_co_u32 v5, vcc_lo, s8, v5
	v_add_co_ci_u32_e64 v6, null, s14, v6, vcc_lo
	v_lshlrev_b64 v[7:8], 3, v[12:13]
	flat_load_dwordx2 v[10:11], v[5:6]
	s_waitcnt vmcnt(0) lgkmcnt(0)
	buffer_store_dword v11, off, s[0:3], 0 offset:20
	buffer_store_dword v10, off, s[0:3], 0 offset:16
	v_add_co_u32 v7, vcc_lo, s8, v7
	v_add_co_ci_u32_e64 v8, null, s14, v8, vcc_lo
	v_add_nc_u32_e32 v11, s9, v12
	flat_load_dwordx2 v[13:14], v[7:8]
	s_waitcnt vmcnt(0) lgkmcnt(0)
	buffer_store_dword v14, off, s[0:3], 0 offset:28
	buffer_store_dword v13, off, s[0:3], 0 offset:24
	v_ashrrev_i32_e32 v12, 31, v11
	v_add_nc_u32_e32 v15, s9, v11
	v_lshlrev_b64 v[9:10], 3, v[11:12]
	v_ashrrev_i32_e32 v16, 31, v15
	v_add_nc_u32_e32 v18, s9, v15
	v_add_co_u32 v9, vcc_lo, s8, v9
	v_add_co_ci_u32_e64 v10, null, s14, v10, vcc_lo
	v_lshlrev_b64 v[11:12], 3, v[15:16]
	v_ashrrev_i32_e32 v19, 31, v18
	flat_load_dwordx2 v[13:14], v[9:10]
	s_waitcnt vmcnt(0) lgkmcnt(0)
	buffer_store_dword v14, off, s[0:3], 0 offset:36
	buffer_store_dword v13, off, s[0:3], 0 offset:32
	v_add_co_u32 v11, vcc_lo, s8, v11
	v_add_co_ci_u32_e64 v12, null, s14, v12, vcc_lo
	v_lshlrev_b64 v[13:14], 3, v[18:19]
	flat_load_dwordx2 v[16:17], v[11:12]
	s_waitcnt vmcnt(0) lgkmcnt(0)
	buffer_store_dword v17, off, s[0:3], 0 offset:44
	buffer_store_dword v16, off, s[0:3], 0 offset:40
	v_add_co_u32 v13, vcc_lo, s8, v13
	v_add_co_ci_u32_e64 v14, null, s14, v14, vcc_lo
	v_add_nc_u32_e32 v17, s9, v18
	flat_load_dwordx2 v[19:20], v[13:14]
	s_waitcnt vmcnt(0) lgkmcnt(0)
	buffer_store_dword v20, off, s[0:3], 0 offset:52
	buffer_store_dword v19, off, s[0:3], 0 offset:48
	v_ashrrev_i32_e32 v18, 31, v17
	v_add_nc_u32_e32 v21, s9, v17
	v_lshlrev_b64 v[15:16], 3, v[17:18]
	v_ashrrev_i32_e32 v22, 31, v21
	v_add_nc_u32_e32 v24, s9, v21
	v_add_co_u32 v15, vcc_lo, s8, v15
	v_add_co_ci_u32_e64 v16, null, s14, v16, vcc_lo
	v_lshlrev_b64 v[17:18], 3, v[21:22]
	v_ashrrev_i32_e32 v25, 31, v24
	flat_load_dwordx2 v[19:20], v[15:16]
	;; [unrolled: 27-line block ×7, first 2 shown]
	s_waitcnt vmcnt(0) lgkmcnt(0)
	buffer_store_dword v50, off, s[0:3], 0 offset:180
	buffer_store_dword v49, off, s[0:3], 0 offset:176
	v_add_co_u32 v47, vcc_lo, s8, v47
	v_add_co_ci_u32_e64 v48, null, s14, v48, vcc_lo
	v_lshlrev_b64 v[49:50], 3, v[54:55]
	flat_load_dwordx2 v[52:53], v[47:48]
	s_waitcnt vmcnt(0) lgkmcnt(0)
	buffer_store_dword v53, off, s[0:3], 0 offset:188
	buffer_store_dword v52, off, s[0:3], 0 offset:184
	v_add_co_u32 v49, vcc_lo, s8, v49
	v_add_co_ci_u32_e64 v50, null, s14, v50, vcc_lo
	v_add_nc_u32_e32 v53, s9, v54
	flat_load_dwordx2 v[55:56], v[49:50]
	s_waitcnt vmcnt(0) lgkmcnt(0)
	buffer_store_dword v56, off, s[0:3], 0 offset:196
	buffer_store_dword v55, off, s[0:3], 0 offset:192
	v_ashrrev_i32_e32 v54, 31, v53
	v_add_nc_u32_e32 v57, s9, v53
	v_lshlrev_b64 v[51:52], 3, v[53:54]
	v_ashrrev_i32_e32 v58, 31, v57
	v_add_co_u32 v51, vcc_lo, s8, v51
	v_add_co_ci_u32_e64 v52, null, s14, v52, vcc_lo
	v_lshlrev_b64 v[53:54], 3, v[57:58]
	flat_load_dwordx2 v[55:56], v[51:52]
	s_waitcnt vmcnt(0) lgkmcnt(0)
	buffer_store_dword v56, off, s[0:3], 0 offset:204
	buffer_store_dword v55, off, s[0:3], 0 offset:200
	v_add_co_u32 v53, vcc_lo, s8, v53
	v_add_co_ci_u32_e64 v54, null, s14, v54, vcc_lo
	v_add_nc_u32_e32 v55, s9, v57
	flat_load_dwordx2 v[60:61], v[53:54]
	s_waitcnt vmcnt(0) lgkmcnt(0)
	buffer_store_dword v61, off, s[0:3], 0 offset:212
	buffer_store_dword v60, off, s[0:3], 0 offset:208
	v_ashrrev_i32_e32 v56, 31, v55
	v_lshlrev_b64 v[55:56], 3, v[55:56]
	v_add_co_u32 v55, vcc_lo, s8, v55
	v_add_co_ci_u32_e64 v56, null, s14, v56, vcc_lo
	flat_load_dwordx2 v[57:58], v[55:56]
	s_waitcnt vmcnt(0) lgkmcnt(0)
	buffer_store_dword v58, off, s[0:3], 0 offset:220
	buffer_store_dword v57, off, s[0:3], 0 offset:216
	s_cbranch_scc1 .LBB91_124
; %bb.4:
	v_cmp_eq_u32_e64 s4, 0, v0
	s_and_saveexec_b32 s5, s4
; %bb.5:
	v_mov_b32_e32 v57, 0
	ds_write_b32 v57, v57 offset:448
; %bb.6:
	s_or_b32 exec_lo, exec_lo, s5
	v_lshl_add_u32 v61, v0, 3, 0
	s_waitcnt lgkmcnt(0)
	s_waitcnt_vscnt null, 0x0
	s_barrier
	buffer_gl0_inv
	s_clause 0x1
	buffer_load_dword v57, v61, s[0:3], 0 offen
	buffer_load_dword v58, v61, s[0:3], 0 offen offset:4
	s_waitcnt vmcnt(1)
	v_cmp_eq_f32_e32 vcc_lo, 0, v57
	s_waitcnt vmcnt(0)
	v_cmp_eq_f32_e64 s5, 0, v58
	s_and_b32 s5, vcc_lo, s5
	s_and_saveexec_b32 s8, s5
	s_cbranch_execz .LBB91_10
; %bb.7:
	v_mov_b32_e32 v57, 0
	s_mov_b32 s9, 0
	ds_read_b32 v58, v57 offset:448
	s_waitcnt lgkmcnt(0)
	v_readfirstlane_b32 s5, v58
	v_add_nc_u32_e32 v58, 1, v0
	s_cmp_eq_u32 s5, 0
	v_cmp_gt_i32_e32 vcc_lo, s5, v58
	s_cselect_b32 s14, -1, 0
	s_or_b32 s14, s14, vcc_lo
	s_and_b32 exec_lo, exec_lo, s14
	s_cbranch_execz .LBB91_10
; %bb.8:
	v_mov_b32_e32 v60, s5
.LBB91_9:                               ; =>This Inner Loop Header: Depth=1
	ds_cmpst_rtn_b32 v60, v57, v60, v58 offset:448
	s_waitcnt lgkmcnt(0)
	v_cmp_ne_u32_e32 vcc_lo, 0, v60
	v_cmp_le_i32_e64 s5, v60, v58
	s_and_b32 s5, vcc_lo, s5
	s_and_b32 s5, exec_lo, s5
	s_or_b32 s9, s5, s9
	s_andn2_b32 exec_lo, exec_lo, s9
	s_cbranch_execnz .LBB91_9
.LBB91_10:
	s_or_b32 exec_lo, exec_lo, s8
	v_mov_b32_e32 v57, 0
	s_barrier
	buffer_gl0_inv
	ds_read_b32 v58, v57 offset:448
	s_and_saveexec_b32 s5, s4
	s_cbranch_execz .LBB91_12
; %bb.11:
	s_lshl_b64 s[8:9], s[6:7], 2
	s_add_u32 s8, s10, s8
	s_addc_u32 s9, s11, s9
	s_waitcnt lgkmcnt(0)
	global_store_dword v57, v58, s[8:9]
.LBB91_12:
	s_or_b32 exec_lo, exec_lo, s5
	s_waitcnt lgkmcnt(0)
	v_cmp_ne_u32_e32 vcc_lo, 0, v58
	s_mov_b32 s5, 0
	s_cbranch_vccnz .LBB91_124
; %bb.13:
	s_clause 0x1
	buffer_load_dword v58, v61, s[0:3], 0 offen
	buffer_load_dword v60, v61, s[0:3], 0 offen offset:4
                                        ; implicit-def: $vgpr63
                                        ; implicit-def: $vgpr62
                                        ; implicit-def: $vgpr57
	s_waitcnt vmcnt(0)
	v_cmp_ngt_f32_e64 s5, |v58|, |v60|
	s_and_saveexec_b32 s8, s5
	s_xor_b32 s5, exec_lo, s8
	s_cbranch_execz .LBB91_15
; %bb.14:
	v_div_scale_f32 v57, null, v60, v60, v58
	v_div_scale_f32 v64, vcc_lo, v58, v60, v58
	v_rcp_f32_e32 v62, v57
	v_fma_f32 v63, -v57, v62, 1.0
	v_fmac_f32_e32 v62, v63, v62
	v_mul_f32_e32 v63, v64, v62
	v_fma_f32 v65, -v57, v63, v64
	v_fmac_f32_e32 v63, v65, v62
	v_fma_f32 v57, -v57, v63, v64
	v_div_fmas_f32 v57, v57, v62, v63
	v_div_fixup_f32 v57, v57, v60, v58
	v_fmac_f32_e32 v60, v58, v57
	v_div_scale_f32 v58, null, v60, v60, 1.0
	v_rcp_f32_e32 v62, v58
	v_fma_f32 v63, -v58, v62, 1.0
	v_fmac_f32_e32 v62, v63, v62
	v_div_scale_f32 v63, vcc_lo, 1.0, v60, 1.0
	v_mul_f32_e32 v64, v63, v62
	v_fma_f32 v65, -v58, v64, v63
	v_fmac_f32_e32 v64, v65, v62
	v_fma_f32 v58, -v58, v64, v63
	v_div_fmas_f32 v58, v58, v62, v64
	v_div_fixup_f32 v58, v58, v60, 1.0
                                        ; implicit-def: $vgpr60
	v_mul_f32_e32 v63, v57, v58
	v_xor_b32_e32 v62, 0x80000000, v58
                                        ; implicit-def: $vgpr58
	v_xor_b32_e32 v57, 0x80000000, v63
.LBB91_15:
	s_andn2_saveexec_b32 s5, s5
	s_cbranch_execz .LBB91_17
; %bb.16:
	v_div_scale_f32 v57, null, v58, v58, v60
	v_div_scale_f32 v64, vcc_lo, v60, v58, v60
	v_rcp_f32_e32 v62, v57
	v_fma_f32 v63, -v57, v62, 1.0
	v_fmac_f32_e32 v62, v63, v62
	v_mul_f32_e32 v63, v64, v62
	v_fma_f32 v65, -v57, v63, v64
	v_fmac_f32_e32 v63, v65, v62
	v_fma_f32 v57, -v57, v63, v64
	v_div_fmas_f32 v57, v57, v62, v63
	v_div_fixup_f32 v62, v57, v58, v60
	v_fmac_f32_e32 v58, v60, v62
	v_div_scale_f32 v57, null, v58, v58, 1.0
	v_div_scale_f32 v64, vcc_lo, 1.0, v58, 1.0
	v_rcp_f32_e32 v60, v57
	v_fma_f32 v63, -v57, v60, 1.0
	v_fmac_f32_e32 v60, v63, v60
	v_mul_f32_e32 v63, v64, v60
	v_fma_f32 v65, -v57, v63, v64
	v_fmac_f32_e32 v63, v65, v60
	v_fma_f32 v57, -v57, v63, v64
	v_div_fmas_f32 v57, v57, v60, v63
	v_div_fixup_f32 v63, v57, v58, 1.0
	v_xor_b32_e32 v57, 0x80000000, v63
	v_mul_f32_e64 v62, v62, -v63
.LBB91_17:
	s_or_b32 exec_lo, exec_lo, s5
	buffer_store_dword v63, v61, s[0:3], 0 offen
	buffer_store_dword v62, v61, s[0:3], 0 offen offset:4
	s_clause 0x1
	buffer_load_dword v64, off, s[0:3], 0 offset:12
	buffer_load_dword v63, off, s[0:3], 0 offset:8
	v_xor_b32_e32 v58, 0x80000000, v62
	v_add_nc_u32_e32 v60, 0xe0, v59
	s_waitcnt vmcnt(0)
	ds_write2_b64 v59, v[57:58], v[63:64] offset1:28
	s_waitcnt lgkmcnt(0)
	s_waitcnt_vscnt null, 0x0
	s_barrier
	buffer_gl0_inv
	s_and_saveexec_b32 s5, s4
	s_cbranch_execz .LBB91_19
; %bb.18:
	s_clause 0x1
	buffer_load_dword v64, v61, s[0:3], 0 offen offset:4
	buffer_load_dword v65, v61, s[0:3], 0 offen
	ds_read_b64 v[57:58], v60
	v_mov_b32_e32 v62, 0
	ds_read_b64 v[62:63], v62 offset:8
	s_waitcnt vmcnt(1) lgkmcnt(1)
	v_mul_f32_e32 v66, v57, v64
	v_mul_f32_e32 v64, v58, v64
	s_waitcnt vmcnt(0)
	v_fmac_f32_e32 v66, v58, v65
	v_fma_f32 v57, v57, v65, -v64
	v_add_f32_e32 v58, 0, v66
	v_add_f32_e32 v57, 0, v57
	s_waitcnt lgkmcnt(0)
	v_mul_f32_e32 v64, v58, v63
	v_mul_f32_e32 v63, v57, v63
	v_fma_f32 v57, v57, v62, -v64
	v_fmac_f32_e32 v63, v58, v62
	buffer_store_dword v57, off, s[0:3], 0 offset:8
	buffer_store_dword v63, off, s[0:3], 0 offset:12
.LBB91_19:
	s_or_b32 exec_lo, exec_lo, s5
	s_waitcnt_vscnt null, 0x0
	s_barrier
	buffer_gl0_inv
	s_clause 0x1
	buffer_load_dword v57, off, s[0:3], 0 offset:16
	buffer_load_dword v58, off, s[0:3], 0 offset:20
	s_mov_b32 s5, exec_lo
	s_waitcnt vmcnt(0)
	ds_write_b64 v60, v[57:58]
	s_waitcnt lgkmcnt(0)
	s_barrier
	buffer_gl0_inv
	v_cmpx_gt_u32_e32 2, v0
	s_cbranch_execz .LBB91_23
; %bb.20:
	s_clause 0x1
	buffer_load_dword v62, v61, s[0:3], 0 offen offset:4
	buffer_load_dword v61, v61, s[0:3], 0 offen
	ds_read_b64 v[57:58], v60
	s_waitcnt vmcnt(1) lgkmcnt(0)
	v_mul_f32_e32 v63, v58, v62
	v_mul_f32_e32 v62, v57, v62
	s_waitcnt vmcnt(0)
	v_fma_f32 v57, v57, v61, -v63
	v_fmac_f32_e32 v62, v58, v61
	v_add_f32_e32 v58, 0, v57
	v_add_f32_e32 v57, 0, v62
	s_and_saveexec_b32 s8, s4
	s_cbranch_execz .LBB91_22
; %bb.21:
	s_clause 0x1
	buffer_load_dword v63, off, s[0:3], 0 offset:12
	buffer_load_dword v64, off, s[0:3], 0 offset:8
	v_mov_b32_e32 v61, 0
	ds_read_b64 v[61:62], v61 offset:232
	s_waitcnt vmcnt(1) lgkmcnt(0)
	v_mul_f32_e32 v65, v61, v63
	v_mul_f32_e32 v63, v62, v63
	s_waitcnt vmcnt(0)
	v_fmac_f32_e32 v65, v62, v64
	v_fma_f32 v61, v61, v64, -v63
	v_add_f32_e32 v57, v57, v65
	v_add_f32_e32 v58, v58, v61
.LBB91_22:
	s_or_b32 exec_lo, exec_lo, s8
	v_mov_b32_e32 v61, 0
	ds_read_b64 v[61:62], v61 offset:16
	s_waitcnt lgkmcnt(0)
	v_mul_f32_e32 v63, v57, v62
	v_mul_f32_e32 v62, v58, v62
	v_fma_f32 v58, v58, v61, -v63
	v_fmac_f32_e32 v62, v57, v61
	buffer_store_dword v58, off, s[0:3], 0 offset:16
	buffer_store_dword v62, off, s[0:3], 0 offset:20
.LBB91_23:
	s_or_b32 exec_lo, exec_lo, s5
	s_waitcnt_vscnt null, 0x0
	s_barrier
	buffer_gl0_inv
	s_clause 0x1
	buffer_load_dword v61, off, s[0:3], 0 offset:24
	buffer_load_dword v62, off, s[0:3], 0 offset:28
	v_add_nc_u32_e32 v57, -1, v0
	s_mov_b32 s4, exec_lo
	s_waitcnt vmcnt(0)
	ds_write_b64 v60, v[61:62]
	s_waitcnt lgkmcnt(0)
	s_barrier
	buffer_gl0_inv
	v_cmpx_gt_u32_e32 3, v0
	s_cbranch_execz .LBB91_27
; %bb.24:
	v_add_nc_u32_e32 v61, -1, v0
	v_add_nc_u32_e32 v62, 0xe0, v59
	v_mov_b32_e32 v63, v59
	v_mov_b32_e32 v58, 0
	v_mov_b32_e32 v64, 0
	s_mov_b32 s5, 0
	.p2align	6
.LBB91_25:                              ; =>This Inner Loop Header: Depth=1
	s_clause 0x1
	buffer_load_dword v67, v63, s[0:3], 0 offen offset:4
	buffer_load_dword v68, v63, s[0:3], 0 offen
	ds_read_b64 v[65:66], v62
	v_add_nc_u32_e32 v61, 1, v61
	v_add_nc_u32_e32 v62, 8, v62
	;; [unrolled: 1-line block ×3, first 2 shown]
	v_cmp_lt_u32_e32 vcc_lo, 1, v61
	s_or_b32 s5, vcc_lo, s5
	s_waitcnt vmcnt(1) lgkmcnt(0)
	v_mul_f32_e32 v69, v66, v67
	v_mul_f32_e32 v67, v65, v67
	s_waitcnt vmcnt(0)
	v_fma_f32 v65, v65, v68, -v69
	v_fmac_f32_e32 v67, v66, v68
	v_add_f32_e32 v64, v64, v65
	v_add_f32_e32 v58, v58, v67
	s_andn2_b32 exec_lo, exec_lo, s5
	s_cbranch_execnz .LBB91_25
; %bb.26:
	s_or_b32 exec_lo, exec_lo, s5
	v_mov_b32_e32 v61, 0
	ds_read_b64 v[61:62], v61 offset:24
	s_waitcnt lgkmcnt(0)
	v_mul_f32_e32 v63, v58, v62
	v_mul_f32_e32 v62, v64, v62
	v_fma_f32 v63, v64, v61, -v63
	v_fmac_f32_e32 v62, v58, v61
	buffer_store_dword v63, off, s[0:3], 0 offset:24
	buffer_store_dword v62, off, s[0:3], 0 offset:28
.LBB91_27:
	s_or_b32 exec_lo, exec_lo, s4
	s_waitcnt_vscnt null, 0x0
	s_barrier
	buffer_gl0_inv
	s_clause 0x1
	buffer_load_dword v61, off, s[0:3], 0 offset:32
	buffer_load_dword v62, off, s[0:3], 0 offset:36
	s_mov_b32 s4, exec_lo
	s_waitcnt vmcnt(0)
	ds_write_b64 v60, v[61:62]
	s_waitcnt lgkmcnt(0)
	s_barrier
	buffer_gl0_inv
	v_cmpx_gt_u32_e32 4, v0
	s_cbranch_execz .LBB91_31
; %bb.28:
	v_add_nc_u32_e32 v61, -1, v0
	v_add_nc_u32_e32 v62, 0xe0, v59
	v_mov_b32_e32 v63, v59
	v_mov_b32_e32 v58, 0
	;; [unrolled: 1-line block ×3, first 2 shown]
	s_mov_b32 s5, 0
	.p2align	6
.LBB91_29:                              ; =>This Inner Loop Header: Depth=1
	s_clause 0x1
	buffer_load_dword v67, v63, s[0:3], 0 offen offset:4
	buffer_load_dword v68, v63, s[0:3], 0 offen
	ds_read_b64 v[65:66], v62
	v_add_nc_u32_e32 v61, 1, v61
	v_add_nc_u32_e32 v62, 8, v62
	;; [unrolled: 1-line block ×3, first 2 shown]
	v_cmp_lt_u32_e32 vcc_lo, 2, v61
	s_or_b32 s5, vcc_lo, s5
	s_waitcnt vmcnt(1) lgkmcnt(0)
	v_mul_f32_e32 v69, v66, v67
	v_mul_f32_e32 v67, v65, v67
	s_waitcnt vmcnt(0)
	v_fma_f32 v65, v65, v68, -v69
	v_fmac_f32_e32 v67, v66, v68
	v_add_f32_e32 v64, v64, v65
	v_add_f32_e32 v58, v58, v67
	s_andn2_b32 exec_lo, exec_lo, s5
	s_cbranch_execnz .LBB91_29
; %bb.30:
	s_or_b32 exec_lo, exec_lo, s5
	v_mov_b32_e32 v61, 0
	ds_read_b64 v[61:62], v61 offset:32
	s_waitcnt lgkmcnt(0)
	v_mul_f32_e32 v63, v58, v62
	v_mul_f32_e32 v62, v64, v62
	v_fma_f32 v63, v64, v61, -v63
	v_fmac_f32_e32 v62, v58, v61
	buffer_store_dword v63, off, s[0:3], 0 offset:32
	buffer_store_dword v62, off, s[0:3], 0 offset:36
.LBB91_31:
	s_or_b32 exec_lo, exec_lo, s4
	s_waitcnt_vscnt null, 0x0
	s_barrier
	buffer_gl0_inv
	s_clause 0x1
	buffer_load_dword v61, off, s[0:3], 0 offset:40
	buffer_load_dword v62, off, s[0:3], 0 offset:44
	s_mov_b32 s4, exec_lo
	s_waitcnt vmcnt(0)
	ds_write_b64 v60, v[61:62]
	s_waitcnt lgkmcnt(0)
	s_barrier
	buffer_gl0_inv
	v_cmpx_gt_u32_e32 5, v0
	s_cbranch_execz .LBB91_35
; %bb.32:
	v_add_nc_u32_e32 v61, -1, v0
	v_add_nc_u32_e32 v62, 0xe0, v59
	v_mov_b32_e32 v63, v59
	v_mov_b32_e32 v58, 0
	;; [unrolled: 1-line block ×3, first 2 shown]
	s_mov_b32 s5, 0
	.p2align	6
.LBB91_33:                              ; =>This Inner Loop Header: Depth=1
	s_clause 0x1
	buffer_load_dword v67, v63, s[0:3], 0 offen offset:4
	buffer_load_dword v68, v63, s[0:3], 0 offen
	ds_read_b64 v[65:66], v62
	v_add_nc_u32_e32 v61, 1, v61
	v_add_nc_u32_e32 v62, 8, v62
	;; [unrolled: 1-line block ×3, first 2 shown]
	v_cmp_lt_u32_e32 vcc_lo, 3, v61
	s_or_b32 s5, vcc_lo, s5
	s_waitcnt vmcnt(1) lgkmcnt(0)
	v_mul_f32_e32 v69, v66, v67
	v_mul_f32_e32 v67, v65, v67
	s_waitcnt vmcnt(0)
	v_fma_f32 v65, v65, v68, -v69
	v_fmac_f32_e32 v67, v66, v68
	v_add_f32_e32 v64, v64, v65
	v_add_f32_e32 v58, v58, v67
	s_andn2_b32 exec_lo, exec_lo, s5
	s_cbranch_execnz .LBB91_33
; %bb.34:
	s_or_b32 exec_lo, exec_lo, s5
	v_mov_b32_e32 v61, 0
	ds_read_b64 v[61:62], v61 offset:40
	s_waitcnt lgkmcnt(0)
	v_mul_f32_e32 v63, v58, v62
	v_mul_f32_e32 v62, v64, v62
	v_fma_f32 v63, v64, v61, -v63
	v_fmac_f32_e32 v62, v58, v61
	buffer_store_dword v63, off, s[0:3], 0 offset:40
	buffer_store_dword v62, off, s[0:3], 0 offset:44
.LBB91_35:
	s_or_b32 exec_lo, exec_lo, s4
	s_waitcnt_vscnt null, 0x0
	s_barrier
	buffer_gl0_inv
	s_clause 0x1
	buffer_load_dword v61, off, s[0:3], 0 offset:48
	buffer_load_dword v62, off, s[0:3], 0 offset:52
	s_mov_b32 s4, exec_lo
	s_waitcnt vmcnt(0)
	ds_write_b64 v60, v[61:62]
	s_waitcnt lgkmcnt(0)
	s_barrier
	buffer_gl0_inv
	v_cmpx_gt_u32_e32 6, v0
	s_cbranch_execz .LBB91_39
; %bb.36:
	v_add_nc_u32_e32 v61, -1, v0
	v_add_nc_u32_e32 v62, 0xe0, v59
	v_mov_b32_e32 v63, v59
	v_mov_b32_e32 v58, 0
	;; [unrolled: 1-line block ×3, first 2 shown]
	s_mov_b32 s5, 0
	.p2align	6
.LBB91_37:                              ; =>This Inner Loop Header: Depth=1
	s_clause 0x1
	buffer_load_dword v67, v63, s[0:3], 0 offen offset:4
	buffer_load_dword v68, v63, s[0:3], 0 offen
	ds_read_b64 v[65:66], v62
	v_add_nc_u32_e32 v61, 1, v61
	v_add_nc_u32_e32 v62, 8, v62
	;; [unrolled: 1-line block ×3, first 2 shown]
	v_cmp_lt_u32_e32 vcc_lo, 4, v61
	s_or_b32 s5, vcc_lo, s5
	s_waitcnt vmcnt(1) lgkmcnt(0)
	v_mul_f32_e32 v69, v66, v67
	v_mul_f32_e32 v67, v65, v67
	s_waitcnt vmcnt(0)
	v_fma_f32 v65, v65, v68, -v69
	v_fmac_f32_e32 v67, v66, v68
	v_add_f32_e32 v64, v64, v65
	v_add_f32_e32 v58, v58, v67
	s_andn2_b32 exec_lo, exec_lo, s5
	s_cbranch_execnz .LBB91_37
; %bb.38:
	s_or_b32 exec_lo, exec_lo, s5
	v_mov_b32_e32 v61, 0
	ds_read_b64 v[61:62], v61 offset:48
	s_waitcnt lgkmcnt(0)
	v_mul_f32_e32 v63, v58, v62
	v_mul_f32_e32 v62, v64, v62
	v_fma_f32 v63, v64, v61, -v63
	v_fmac_f32_e32 v62, v58, v61
	buffer_store_dword v63, off, s[0:3], 0 offset:48
	buffer_store_dword v62, off, s[0:3], 0 offset:52
.LBB91_39:
	s_or_b32 exec_lo, exec_lo, s4
	s_waitcnt_vscnt null, 0x0
	s_barrier
	buffer_gl0_inv
	s_clause 0x1
	buffer_load_dword v61, off, s[0:3], 0 offset:56
	buffer_load_dword v62, off, s[0:3], 0 offset:60
	s_mov_b32 s4, exec_lo
	s_waitcnt vmcnt(0)
	ds_write_b64 v60, v[61:62]
	s_waitcnt lgkmcnt(0)
	s_barrier
	buffer_gl0_inv
	v_cmpx_gt_u32_e32 7, v0
	s_cbranch_execz .LBB91_43
; %bb.40:
	v_add_nc_u32_e32 v61, -1, v0
	v_add_nc_u32_e32 v62, 0xe0, v59
	v_mov_b32_e32 v63, v59
	v_mov_b32_e32 v58, 0
	v_mov_b32_e32 v64, 0
	s_mov_b32 s5, 0
	.p2align	6
.LBB91_41:                              ; =>This Inner Loop Header: Depth=1
	s_clause 0x1
	buffer_load_dword v67, v63, s[0:3], 0 offen offset:4
	buffer_load_dword v68, v63, s[0:3], 0 offen
	ds_read_b64 v[65:66], v62
	v_add_nc_u32_e32 v61, 1, v61
	v_add_nc_u32_e32 v62, 8, v62
	;; [unrolled: 1-line block ×3, first 2 shown]
	v_cmp_lt_u32_e32 vcc_lo, 5, v61
	s_or_b32 s5, vcc_lo, s5
	s_waitcnt vmcnt(1) lgkmcnt(0)
	v_mul_f32_e32 v69, v66, v67
	v_mul_f32_e32 v67, v65, v67
	s_waitcnt vmcnt(0)
	v_fma_f32 v65, v65, v68, -v69
	v_fmac_f32_e32 v67, v66, v68
	v_add_f32_e32 v64, v64, v65
	v_add_f32_e32 v58, v58, v67
	s_andn2_b32 exec_lo, exec_lo, s5
	s_cbranch_execnz .LBB91_41
; %bb.42:
	s_or_b32 exec_lo, exec_lo, s5
	v_mov_b32_e32 v61, 0
	ds_read_b64 v[61:62], v61 offset:56
	s_waitcnt lgkmcnt(0)
	v_mul_f32_e32 v63, v58, v62
	v_mul_f32_e32 v62, v64, v62
	v_fma_f32 v63, v64, v61, -v63
	v_fmac_f32_e32 v62, v58, v61
	buffer_store_dword v63, off, s[0:3], 0 offset:56
	buffer_store_dword v62, off, s[0:3], 0 offset:60
.LBB91_43:
	s_or_b32 exec_lo, exec_lo, s4
	s_waitcnt_vscnt null, 0x0
	s_barrier
	buffer_gl0_inv
	s_clause 0x1
	buffer_load_dword v61, off, s[0:3], 0 offset:64
	buffer_load_dword v62, off, s[0:3], 0 offset:68
	s_mov_b32 s4, exec_lo
	s_waitcnt vmcnt(0)
	ds_write_b64 v60, v[61:62]
	s_waitcnt lgkmcnt(0)
	s_barrier
	buffer_gl0_inv
	v_cmpx_gt_u32_e32 8, v0
	s_cbranch_execz .LBB91_47
; %bb.44:
	v_add_nc_u32_e32 v61, -1, v0
	v_add_nc_u32_e32 v62, 0xe0, v59
	v_mov_b32_e32 v63, v59
	v_mov_b32_e32 v58, 0
	;; [unrolled: 1-line block ×3, first 2 shown]
	s_mov_b32 s5, 0
	.p2align	6
.LBB91_45:                              ; =>This Inner Loop Header: Depth=1
	s_clause 0x1
	buffer_load_dword v67, v63, s[0:3], 0 offen offset:4
	buffer_load_dword v68, v63, s[0:3], 0 offen
	ds_read_b64 v[65:66], v62
	v_add_nc_u32_e32 v61, 1, v61
	v_add_nc_u32_e32 v62, 8, v62
	;; [unrolled: 1-line block ×3, first 2 shown]
	v_cmp_lt_u32_e32 vcc_lo, 6, v61
	s_or_b32 s5, vcc_lo, s5
	s_waitcnt vmcnt(1) lgkmcnt(0)
	v_mul_f32_e32 v69, v66, v67
	v_mul_f32_e32 v67, v65, v67
	s_waitcnt vmcnt(0)
	v_fma_f32 v65, v65, v68, -v69
	v_fmac_f32_e32 v67, v66, v68
	v_add_f32_e32 v64, v64, v65
	v_add_f32_e32 v58, v58, v67
	s_andn2_b32 exec_lo, exec_lo, s5
	s_cbranch_execnz .LBB91_45
; %bb.46:
	s_or_b32 exec_lo, exec_lo, s5
	v_mov_b32_e32 v61, 0
	ds_read_b64 v[61:62], v61 offset:64
	s_waitcnt lgkmcnt(0)
	v_mul_f32_e32 v63, v58, v62
	v_mul_f32_e32 v62, v64, v62
	v_fma_f32 v63, v64, v61, -v63
	v_fmac_f32_e32 v62, v58, v61
	buffer_store_dword v63, off, s[0:3], 0 offset:64
	buffer_store_dword v62, off, s[0:3], 0 offset:68
.LBB91_47:
	s_or_b32 exec_lo, exec_lo, s4
	s_waitcnt_vscnt null, 0x0
	s_barrier
	buffer_gl0_inv
	s_clause 0x1
	buffer_load_dword v61, off, s[0:3], 0 offset:72
	buffer_load_dword v62, off, s[0:3], 0 offset:76
	s_mov_b32 s4, exec_lo
	s_waitcnt vmcnt(0)
	ds_write_b64 v60, v[61:62]
	s_waitcnt lgkmcnt(0)
	s_barrier
	buffer_gl0_inv
	v_cmpx_gt_u32_e32 9, v0
	s_cbranch_execz .LBB91_51
; %bb.48:
	v_add_nc_u32_e32 v61, -1, v0
	v_add_nc_u32_e32 v62, 0xe0, v59
	v_mov_b32_e32 v63, v59
	v_mov_b32_e32 v58, 0
	v_mov_b32_e32 v64, 0
	s_mov_b32 s5, 0
	.p2align	6
.LBB91_49:                              ; =>This Inner Loop Header: Depth=1
	s_clause 0x1
	buffer_load_dword v67, v63, s[0:3], 0 offen offset:4
	buffer_load_dword v68, v63, s[0:3], 0 offen
	ds_read_b64 v[65:66], v62
	v_add_nc_u32_e32 v61, 1, v61
	v_add_nc_u32_e32 v62, 8, v62
	;; [unrolled: 1-line block ×3, first 2 shown]
	v_cmp_lt_u32_e32 vcc_lo, 7, v61
	s_or_b32 s5, vcc_lo, s5
	s_waitcnt vmcnt(1) lgkmcnt(0)
	v_mul_f32_e32 v69, v66, v67
	v_mul_f32_e32 v67, v65, v67
	s_waitcnt vmcnt(0)
	v_fma_f32 v65, v65, v68, -v69
	v_fmac_f32_e32 v67, v66, v68
	v_add_f32_e32 v64, v64, v65
	v_add_f32_e32 v58, v58, v67
	s_andn2_b32 exec_lo, exec_lo, s5
	s_cbranch_execnz .LBB91_49
; %bb.50:
	s_or_b32 exec_lo, exec_lo, s5
	v_mov_b32_e32 v61, 0
	ds_read_b64 v[61:62], v61 offset:72
	s_waitcnt lgkmcnt(0)
	v_mul_f32_e32 v63, v58, v62
	v_mul_f32_e32 v62, v64, v62
	v_fma_f32 v63, v64, v61, -v63
	v_fmac_f32_e32 v62, v58, v61
	buffer_store_dword v63, off, s[0:3], 0 offset:72
	buffer_store_dword v62, off, s[0:3], 0 offset:76
.LBB91_51:
	s_or_b32 exec_lo, exec_lo, s4
	s_waitcnt_vscnt null, 0x0
	s_barrier
	buffer_gl0_inv
	s_clause 0x1
	buffer_load_dword v61, off, s[0:3], 0 offset:80
	buffer_load_dword v62, off, s[0:3], 0 offset:84
	s_mov_b32 s4, exec_lo
	s_waitcnt vmcnt(0)
	ds_write_b64 v60, v[61:62]
	s_waitcnt lgkmcnt(0)
	s_barrier
	buffer_gl0_inv
	v_cmpx_gt_u32_e32 10, v0
	s_cbranch_execz .LBB91_55
; %bb.52:
	v_add_nc_u32_e32 v61, -1, v0
	v_add_nc_u32_e32 v62, 0xe0, v59
	v_mov_b32_e32 v63, v59
	v_mov_b32_e32 v58, 0
	;; [unrolled: 1-line block ×3, first 2 shown]
	s_mov_b32 s5, 0
	.p2align	6
.LBB91_53:                              ; =>This Inner Loop Header: Depth=1
	s_clause 0x1
	buffer_load_dword v67, v63, s[0:3], 0 offen offset:4
	buffer_load_dword v68, v63, s[0:3], 0 offen
	ds_read_b64 v[65:66], v62
	v_add_nc_u32_e32 v61, 1, v61
	v_add_nc_u32_e32 v62, 8, v62
	;; [unrolled: 1-line block ×3, first 2 shown]
	v_cmp_lt_u32_e32 vcc_lo, 8, v61
	s_or_b32 s5, vcc_lo, s5
	s_waitcnt vmcnt(1) lgkmcnt(0)
	v_mul_f32_e32 v69, v66, v67
	v_mul_f32_e32 v67, v65, v67
	s_waitcnt vmcnt(0)
	v_fma_f32 v65, v65, v68, -v69
	v_fmac_f32_e32 v67, v66, v68
	v_add_f32_e32 v64, v64, v65
	v_add_f32_e32 v58, v58, v67
	s_andn2_b32 exec_lo, exec_lo, s5
	s_cbranch_execnz .LBB91_53
; %bb.54:
	s_or_b32 exec_lo, exec_lo, s5
	v_mov_b32_e32 v61, 0
	ds_read_b64 v[61:62], v61 offset:80
	s_waitcnt lgkmcnt(0)
	v_mul_f32_e32 v63, v58, v62
	v_mul_f32_e32 v62, v64, v62
	v_fma_f32 v63, v64, v61, -v63
	v_fmac_f32_e32 v62, v58, v61
	buffer_store_dword v63, off, s[0:3], 0 offset:80
	buffer_store_dword v62, off, s[0:3], 0 offset:84
.LBB91_55:
	s_or_b32 exec_lo, exec_lo, s4
	s_waitcnt_vscnt null, 0x0
	s_barrier
	buffer_gl0_inv
	s_clause 0x1
	buffer_load_dword v61, off, s[0:3], 0 offset:88
	buffer_load_dword v62, off, s[0:3], 0 offset:92
	s_mov_b32 s4, exec_lo
	s_waitcnt vmcnt(0)
	ds_write_b64 v60, v[61:62]
	s_waitcnt lgkmcnt(0)
	s_barrier
	buffer_gl0_inv
	v_cmpx_gt_u32_e32 11, v0
	s_cbranch_execz .LBB91_59
; %bb.56:
	v_add_nc_u32_e32 v61, -1, v0
	v_add_nc_u32_e32 v62, 0xe0, v59
	v_mov_b32_e32 v63, v59
	v_mov_b32_e32 v58, 0
	;; [unrolled: 1-line block ×3, first 2 shown]
	s_mov_b32 s5, 0
	.p2align	6
.LBB91_57:                              ; =>This Inner Loop Header: Depth=1
	s_clause 0x1
	buffer_load_dword v67, v63, s[0:3], 0 offen offset:4
	buffer_load_dword v68, v63, s[0:3], 0 offen
	ds_read_b64 v[65:66], v62
	v_add_nc_u32_e32 v61, 1, v61
	v_add_nc_u32_e32 v62, 8, v62
	v_add_nc_u32_e32 v63, 8, v63
	v_cmp_lt_u32_e32 vcc_lo, 9, v61
	s_or_b32 s5, vcc_lo, s5
	s_waitcnt vmcnt(1) lgkmcnt(0)
	v_mul_f32_e32 v69, v66, v67
	v_mul_f32_e32 v67, v65, v67
	s_waitcnt vmcnt(0)
	v_fma_f32 v65, v65, v68, -v69
	v_fmac_f32_e32 v67, v66, v68
	v_add_f32_e32 v64, v64, v65
	v_add_f32_e32 v58, v58, v67
	s_andn2_b32 exec_lo, exec_lo, s5
	s_cbranch_execnz .LBB91_57
; %bb.58:
	s_or_b32 exec_lo, exec_lo, s5
	v_mov_b32_e32 v61, 0
	ds_read_b64 v[61:62], v61 offset:88
	s_waitcnt lgkmcnt(0)
	v_mul_f32_e32 v63, v58, v62
	v_mul_f32_e32 v62, v64, v62
	v_fma_f32 v63, v64, v61, -v63
	v_fmac_f32_e32 v62, v58, v61
	buffer_store_dword v63, off, s[0:3], 0 offset:88
	buffer_store_dword v62, off, s[0:3], 0 offset:92
.LBB91_59:
	s_or_b32 exec_lo, exec_lo, s4
	s_waitcnt_vscnt null, 0x0
	s_barrier
	buffer_gl0_inv
	s_clause 0x1
	buffer_load_dword v61, off, s[0:3], 0 offset:96
	buffer_load_dword v62, off, s[0:3], 0 offset:100
	s_mov_b32 s4, exec_lo
	s_waitcnt vmcnt(0)
	ds_write_b64 v60, v[61:62]
	s_waitcnt lgkmcnt(0)
	s_barrier
	buffer_gl0_inv
	v_cmpx_gt_u32_e32 12, v0
	s_cbranch_execz .LBB91_63
; %bb.60:
	v_add_nc_u32_e32 v61, -1, v0
	v_add_nc_u32_e32 v62, 0xe0, v59
	v_mov_b32_e32 v63, v59
	v_mov_b32_e32 v58, 0
	;; [unrolled: 1-line block ×3, first 2 shown]
	s_mov_b32 s5, 0
	.p2align	6
.LBB91_61:                              ; =>This Inner Loop Header: Depth=1
	s_clause 0x1
	buffer_load_dword v67, v63, s[0:3], 0 offen offset:4
	buffer_load_dword v68, v63, s[0:3], 0 offen
	ds_read_b64 v[65:66], v62
	v_add_nc_u32_e32 v61, 1, v61
	v_add_nc_u32_e32 v62, 8, v62
	;; [unrolled: 1-line block ×3, first 2 shown]
	v_cmp_lt_u32_e32 vcc_lo, 10, v61
	s_or_b32 s5, vcc_lo, s5
	s_waitcnt vmcnt(1) lgkmcnt(0)
	v_mul_f32_e32 v69, v66, v67
	v_mul_f32_e32 v67, v65, v67
	s_waitcnt vmcnt(0)
	v_fma_f32 v65, v65, v68, -v69
	v_fmac_f32_e32 v67, v66, v68
	v_add_f32_e32 v64, v64, v65
	v_add_f32_e32 v58, v58, v67
	s_andn2_b32 exec_lo, exec_lo, s5
	s_cbranch_execnz .LBB91_61
; %bb.62:
	s_or_b32 exec_lo, exec_lo, s5
	v_mov_b32_e32 v61, 0
	ds_read_b64 v[61:62], v61 offset:96
	s_waitcnt lgkmcnt(0)
	v_mul_f32_e32 v63, v58, v62
	v_mul_f32_e32 v62, v64, v62
	v_fma_f32 v63, v64, v61, -v63
	v_fmac_f32_e32 v62, v58, v61
	buffer_store_dword v63, off, s[0:3], 0 offset:96
	buffer_store_dword v62, off, s[0:3], 0 offset:100
.LBB91_63:
	s_or_b32 exec_lo, exec_lo, s4
	s_waitcnt_vscnt null, 0x0
	s_barrier
	buffer_gl0_inv
	s_clause 0x1
	buffer_load_dword v61, off, s[0:3], 0 offset:104
	buffer_load_dword v62, off, s[0:3], 0 offset:108
	s_mov_b32 s4, exec_lo
	s_waitcnt vmcnt(0)
	ds_write_b64 v60, v[61:62]
	s_waitcnt lgkmcnt(0)
	s_barrier
	buffer_gl0_inv
	v_cmpx_gt_u32_e32 13, v0
	s_cbranch_execz .LBB91_67
; %bb.64:
	v_add_nc_u32_e32 v61, -1, v0
	v_add_nc_u32_e32 v62, 0xe0, v59
	v_mov_b32_e32 v63, v59
	v_mov_b32_e32 v58, 0
	;; [unrolled: 1-line block ×3, first 2 shown]
	s_mov_b32 s5, 0
	.p2align	6
.LBB91_65:                              ; =>This Inner Loop Header: Depth=1
	s_clause 0x1
	buffer_load_dword v67, v63, s[0:3], 0 offen offset:4
	buffer_load_dword v68, v63, s[0:3], 0 offen
	ds_read_b64 v[65:66], v62
	v_add_nc_u32_e32 v61, 1, v61
	v_add_nc_u32_e32 v62, 8, v62
	;; [unrolled: 1-line block ×3, first 2 shown]
	v_cmp_lt_u32_e32 vcc_lo, 11, v61
	s_or_b32 s5, vcc_lo, s5
	s_waitcnt vmcnt(1) lgkmcnt(0)
	v_mul_f32_e32 v69, v66, v67
	v_mul_f32_e32 v67, v65, v67
	s_waitcnt vmcnt(0)
	v_fma_f32 v65, v65, v68, -v69
	v_fmac_f32_e32 v67, v66, v68
	v_add_f32_e32 v64, v64, v65
	v_add_f32_e32 v58, v58, v67
	s_andn2_b32 exec_lo, exec_lo, s5
	s_cbranch_execnz .LBB91_65
; %bb.66:
	s_or_b32 exec_lo, exec_lo, s5
	v_mov_b32_e32 v61, 0
	ds_read_b64 v[61:62], v61 offset:104
	s_waitcnt lgkmcnt(0)
	v_mul_f32_e32 v63, v58, v62
	v_mul_f32_e32 v62, v64, v62
	v_fma_f32 v63, v64, v61, -v63
	v_fmac_f32_e32 v62, v58, v61
	buffer_store_dword v63, off, s[0:3], 0 offset:104
	buffer_store_dword v62, off, s[0:3], 0 offset:108
.LBB91_67:
	s_or_b32 exec_lo, exec_lo, s4
	s_waitcnt_vscnt null, 0x0
	s_barrier
	buffer_gl0_inv
	s_clause 0x1
	buffer_load_dword v61, off, s[0:3], 0 offset:112
	buffer_load_dword v62, off, s[0:3], 0 offset:116
	s_mov_b32 s4, exec_lo
	s_waitcnt vmcnt(0)
	ds_write_b64 v60, v[61:62]
	s_waitcnt lgkmcnt(0)
	s_barrier
	buffer_gl0_inv
	v_cmpx_gt_u32_e32 14, v0
	s_cbranch_execz .LBB91_71
; %bb.68:
	v_add_nc_u32_e32 v61, -1, v0
	v_add_nc_u32_e32 v62, 0xe0, v59
	v_mov_b32_e32 v63, v59
	v_mov_b32_e32 v58, 0
	;; [unrolled: 1-line block ×3, first 2 shown]
	s_mov_b32 s5, 0
	.p2align	6
.LBB91_69:                              ; =>This Inner Loop Header: Depth=1
	s_clause 0x1
	buffer_load_dword v67, v63, s[0:3], 0 offen offset:4
	buffer_load_dword v68, v63, s[0:3], 0 offen
	ds_read_b64 v[65:66], v62
	v_add_nc_u32_e32 v61, 1, v61
	v_add_nc_u32_e32 v62, 8, v62
	;; [unrolled: 1-line block ×3, first 2 shown]
	v_cmp_lt_u32_e32 vcc_lo, 12, v61
	s_or_b32 s5, vcc_lo, s5
	s_waitcnt vmcnt(1) lgkmcnt(0)
	v_mul_f32_e32 v69, v66, v67
	v_mul_f32_e32 v67, v65, v67
	s_waitcnt vmcnt(0)
	v_fma_f32 v65, v65, v68, -v69
	v_fmac_f32_e32 v67, v66, v68
	v_add_f32_e32 v64, v64, v65
	v_add_f32_e32 v58, v58, v67
	s_andn2_b32 exec_lo, exec_lo, s5
	s_cbranch_execnz .LBB91_69
; %bb.70:
	s_or_b32 exec_lo, exec_lo, s5
	v_mov_b32_e32 v61, 0
	ds_read_b64 v[61:62], v61 offset:112
	s_waitcnt lgkmcnt(0)
	v_mul_f32_e32 v63, v58, v62
	v_mul_f32_e32 v62, v64, v62
	v_fma_f32 v63, v64, v61, -v63
	v_fmac_f32_e32 v62, v58, v61
	buffer_store_dword v63, off, s[0:3], 0 offset:112
	buffer_store_dword v62, off, s[0:3], 0 offset:116
.LBB91_71:
	s_or_b32 exec_lo, exec_lo, s4
	s_waitcnt_vscnt null, 0x0
	s_barrier
	buffer_gl0_inv
	s_clause 0x1
	buffer_load_dword v61, off, s[0:3], 0 offset:120
	buffer_load_dword v62, off, s[0:3], 0 offset:124
	s_mov_b32 s4, exec_lo
	s_waitcnt vmcnt(0)
	ds_write_b64 v60, v[61:62]
	s_waitcnt lgkmcnt(0)
	s_barrier
	buffer_gl0_inv
	v_cmpx_gt_u32_e32 15, v0
	s_cbranch_execz .LBB91_75
; %bb.72:
	v_add_nc_u32_e32 v61, -1, v0
	v_add_nc_u32_e32 v62, 0xe0, v59
	v_mov_b32_e32 v63, v59
	v_mov_b32_e32 v58, 0
	;; [unrolled: 1-line block ×3, first 2 shown]
	s_mov_b32 s5, 0
	.p2align	6
.LBB91_73:                              ; =>This Inner Loop Header: Depth=1
	s_clause 0x1
	buffer_load_dword v67, v63, s[0:3], 0 offen offset:4
	buffer_load_dword v68, v63, s[0:3], 0 offen
	ds_read_b64 v[65:66], v62
	v_add_nc_u32_e32 v61, 1, v61
	v_add_nc_u32_e32 v62, 8, v62
	;; [unrolled: 1-line block ×3, first 2 shown]
	v_cmp_lt_u32_e32 vcc_lo, 13, v61
	s_or_b32 s5, vcc_lo, s5
	s_waitcnt vmcnt(1) lgkmcnt(0)
	v_mul_f32_e32 v69, v66, v67
	v_mul_f32_e32 v67, v65, v67
	s_waitcnt vmcnt(0)
	v_fma_f32 v65, v65, v68, -v69
	v_fmac_f32_e32 v67, v66, v68
	v_add_f32_e32 v64, v64, v65
	v_add_f32_e32 v58, v58, v67
	s_andn2_b32 exec_lo, exec_lo, s5
	s_cbranch_execnz .LBB91_73
; %bb.74:
	s_or_b32 exec_lo, exec_lo, s5
	v_mov_b32_e32 v61, 0
	ds_read_b64 v[61:62], v61 offset:120
	s_waitcnt lgkmcnt(0)
	v_mul_f32_e32 v63, v58, v62
	v_mul_f32_e32 v62, v64, v62
	v_fma_f32 v63, v64, v61, -v63
	v_fmac_f32_e32 v62, v58, v61
	buffer_store_dword v63, off, s[0:3], 0 offset:120
	buffer_store_dword v62, off, s[0:3], 0 offset:124
.LBB91_75:
	s_or_b32 exec_lo, exec_lo, s4
	s_waitcnt_vscnt null, 0x0
	s_barrier
	buffer_gl0_inv
	s_clause 0x1
	buffer_load_dword v61, off, s[0:3], 0 offset:128
	buffer_load_dword v62, off, s[0:3], 0 offset:132
	s_mov_b32 s4, exec_lo
	s_waitcnt vmcnt(0)
	ds_write_b64 v60, v[61:62]
	s_waitcnt lgkmcnt(0)
	s_barrier
	buffer_gl0_inv
	v_cmpx_gt_u32_e32 16, v0
	s_cbranch_execz .LBB91_79
; %bb.76:
	v_add_nc_u32_e32 v61, -1, v0
	v_add_nc_u32_e32 v62, 0xe0, v59
	v_mov_b32_e32 v63, v59
	v_mov_b32_e32 v58, 0
	;; [unrolled: 1-line block ×3, first 2 shown]
	s_mov_b32 s5, 0
	.p2align	6
.LBB91_77:                              ; =>This Inner Loop Header: Depth=1
	s_clause 0x1
	buffer_load_dword v67, v63, s[0:3], 0 offen offset:4
	buffer_load_dword v68, v63, s[0:3], 0 offen
	ds_read_b64 v[65:66], v62
	v_add_nc_u32_e32 v61, 1, v61
	v_add_nc_u32_e32 v62, 8, v62
	;; [unrolled: 1-line block ×3, first 2 shown]
	v_cmp_lt_u32_e32 vcc_lo, 14, v61
	s_or_b32 s5, vcc_lo, s5
	s_waitcnt vmcnt(1) lgkmcnt(0)
	v_mul_f32_e32 v69, v66, v67
	v_mul_f32_e32 v67, v65, v67
	s_waitcnt vmcnt(0)
	v_fma_f32 v65, v65, v68, -v69
	v_fmac_f32_e32 v67, v66, v68
	v_add_f32_e32 v64, v64, v65
	v_add_f32_e32 v58, v58, v67
	s_andn2_b32 exec_lo, exec_lo, s5
	s_cbranch_execnz .LBB91_77
; %bb.78:
	s_or_b32 exec_lo, exec_lo, s5
	v_mov_b32_e32 v61, 0
	ds_read_b64 v[61:62], v61 offset:128
	s_waitcnt lgkmcnt(0)
	v_mul_f32_e32 v63, v58, v62
	v_mul_f32_e32 v62, v64, v62
	v_fma_f32 v63, v64, v61, -v63
	v_fmac_f32_e32 v62, v58, v61
	buffer_store_dword v63, off, s[0:3], 0 offset:128
	buffer_store_dword v62, off, s[0:3], 0 offset:132
.LBB91_79:
	s_or_b32 exec_lo, exec_lo, s4
	s_waitcnt_vscnt null, 0x0
	s_barrier
	buffer_gl0_inv
	s_clause 0x1
	buffer_load_dword v61, off, s[0:3], 0 offset:136
	buffer_load_dword v62, off, s[0:3], 0 offset:140
	s_mov_b32 s4, exec_lo
	s_waitcnt vmcnt(0)
	ds_write_b64 v60, v[61:62]
	s_waitcnt lgkmcnt(0)
	s_barrier
	buffer_gl0_inv
	v_cmpx_gt_u32_e32 17, v0
	s_cbranch_execz .LBB91_83
; %bb.80:
	v_add_nc_u32_e32 v61, -1, v0
	v_add_nc_u32_e32 v62, 0xe0, v59
	v_mov_b32_e32 v63, v59
	v_mov_b32_e32 v58, 0
	;; [unrolled: 1-line block ×3, first 2 shown]
	s_mov_b32 s5, 0
	.p2align	6
.LBB91_81:                              ; =>This Inner Loop Header: Depth=1
	s_clause 0x1
	buffer_load_dword v67, v63, s[0:3], 0 offen offset:4
	buffer_load_dword v68, v63, s[0:3], 0 offen
	ds_read_b64 v[65:66], v62
	v_add_nc_u32_e32 v61, 1, v61
	v_add_nc_u32_e32 v62, 8, v62
	;; [unrolled: 1-line block ×3, first 2 shown]
	v_cmp_lt_u32_e32 vcc_lo, 15, v61
	s_or_b32 s5, vcc_lo, s5
	s_waitcnt vmcnt(1) lgkmcnt(0)
	v_mul_f32_e32 v69, v66, v67
	v_mul_f32_e32 v67, v65, v67
	s_waitcnt vmcnt(0)
	v_fma_f32 v65, v65, v68, -v69
	v_fmac_f32_e32 v67, v66, v68
	v_add_f32_e32 v64, v64, v65
	v_add_f32_e32 v58, v58, v67
	s_andn2_b32 exec_lo, exec_lo, s5
	s_cbranch_execnz .LBB91_81
; %bb.82:
	s_or_b32 exec_lo, exec_lo, s5
	v_mov_b32_e32 v61, 0
	ds_read_b64 v[61:62], v61 offset:136
	s_waitcnt lgkmcnt(0)
	v_mul_f32_e32 v63, v58, v62
	v_mul_f32_e32 v62, v64, v62
	v_fma_f32 v63, v64, v61, -v63
	v_fmac_f32_e32 v62, v58, v61
	buffer_store_dword v63, off, s[0:3], 0 offset:136
	buffer_store_dword v62, off, s[0:3], 0 offset:140
.LBB91_83:
	s_or_b32 exec_lo, exec_lo, s4
	s_waitcnt_vscnt null, 0x0
	s_barrier
	buffer_gl0_inv
	s_clause 0x1
	buffer_load_dword v61, off, s[0:3], 0 offset:144
	buffer_load_dword v62, off, s[0:3], 0 offset:148
	s_mov_b32 s4, exec_lo
	s_waitcnt vmcnt(0)
	ds_write_b64 v60, v[61:62]
	s_waitcnt lgkmcnt(0)
	s_barrier
	buffer_gl0_inv
	v_cmpx_gt_u32_e32 18, v0
	s_cbranch_execz .LBB91_87
; %bb.84:
	v_add_nc_u32_e32 v61, -1, v0
	v_add_nc_u32_e32 v62, 0xe0, v59
	v_mov_b32_e32 v63, v59
	v_mov_b32_e32 v58, 0
	;; [unrolled: 1-line block ×3, first 2 shown]
	s_mov_b32 s5, 0
	.p2align	6
.LBB91_85:                              ; =>This Inner Loop Header: Depth=1
	s_clause 0x1
	buffer_load_dword v67, v63, s[0:3], 0 offen offset:4
	buffer_load_dword v68, v63, s[0:3], 0 offen
	ds_read_b64 v[65:66], v62
	v_add_nc_u32_e32 v61, 1, v61
	v_add_nc_u32_e32 v62, 8, v62
	v_add_nc_u32_e32 v63, 8, v63
	v_cmp_lt_u32_e32 vcc_lo, 16, v61
	s_or_b32 s5, vcc_lo, s5
	s_waitcnt vmcnt(1) lgkmcnt(0)
	v_mul_f32_e32 v69, v66, v67
	v_mul_f32_e32 v67, v65, v67
	s_waitcnt vmcnt(0)
	v_fma_f32 v65, v65, v68, -v69
	v_fmac_f32_e32 v67, v66, v68
	v_add_f32_e32 v64, v64, v65
	v_add_f32_e32 v58, v58, v67
	s_andn2_b32 exec_lo, exec_lo, s5
	s_cbranch_execnz .LBB91_85
; %bb.86:
	s_or_b32 exec_lo, exec_lo, s5
	v_mov_b32_e32 v61, 0
	ds_read_b64 v[61:62], v61 offset:144
	s_waitcnt lgkmcnt(0)
	v_mul_f32_e32 v63, v58, v62
	v_mul_f32_e32 v62, v64, v62
	v_fma_f32 v63, v64, v61, -v63
	v_fmac_f32_e32 v62, v58, v61
	buffer_store_dword v63, off, s[0:3], 0 offset:144
	buffer_store_dword v62, off, s[0:3], 0 offset:148
.LBB91_87:
	s_or_b32 exec_lo, exec_lo, s4
	s_waitcnt_vscnt null, 0x0
	s_barrier
	buffer_gl0_inv
	s_clause 0x1
	buffer_load_dword v61, off, s[0:3], 0 offset:152
	buffer_load_dword v62, off, s[0:3], 0 offset:156
	s_mov_b32 s4, exec_lo
	s_waitcnt vmcnt(0)
	ds_write_b64 v60, v[61:62]
	s_waitcnt lgkmcnt(0)
	s_barrier
	buffer_gl0_inv
	v_cmpx_gt_u32_e32 19, v0
	s_cbranch_execz .LBB91_91
; %bb.88:
	v_add_nc_u32_e32 v61, -1, v0
	v_add_nc_u32_e32 v62, 0xe0, v59
	v_mov_b32_e32 v63, v59
	v_mov_b32_e32 v58, 0
	;; [unrolled: 1-line block ×3, first 2 shown]
	s_mov_b32 s5, 0
	.p2align	6
.LBB91_89:                              ; =>This Inner Loop Header: Depth=1
	s_clause 0x1
	buffer_load_dword v67, v63, s[0:3], 0 offen offset:4
	buffer_load_dword v68, v63, s[0:3], 0 offen
	ds_read_b64 v[65:66], v62
	v_add_nc_u32_e32 v61, 1, v61
	v_add_nc_u32_e32 v62, 8, v62
	;; [unrolled: 1-line block ×3, first 2 shown]
	v_cmp_lt_u32_e32 vcc_lo, 17, v61
	s_or_b32 s5, vcc_lo, s5
	s_waitcnt vmcnt(1) lgkmcnt(0)
	v_mul_f32_e32 v69, v66, v67
	v_mul_f32_e32 v67, v65, v67
	s_waitcnt vmcnt(0)
	v_fma_f32 v65, v65, v68, -v69
	v_fmac_f32_e32 v67, v66, v68
	v_add_f32_e32 v64, v64, v65
	v_add_f32_e32 v58, v58, v67
	s_andn2_b32 exec_lo, exec_lo, s5
	s_cbranch_execnz .LBB91_89
; %bb.90:
	s_or_b32 exec_lo, exec_lo, s5
	v_mov_b32_e32 v61, 0
	ds_read_b64 v[61:62], v61 offset:152
	s_waitcnt lgkmcnt(0)
	v_mul_f32_e32 v63, v58, v62
	v_mul_f32_e32 v62, v64, v62
	v_fma_f32 v63, v64, v61, -v63
	v_fmac_f32_e32 v62, v58, v61
	buffer_store_dword v63, off, s[0:3], 0 offset:152
	buffer_store_dword v62, off, s[0:3], 0 offset:156
.LBB91_91:
	s_or_b32 exec_lo, exec_lo, s4
	s_waitcnt_vscnt null, 0x0
	s_barrier
	buffer_gl0_inv
	s_clause 0x1
	buffer_load_dword v61, off, s[0:3], 0 offset:160
	buffer_load_dword v62, off, s[0:3], 0 offset:164
	s_mov_b32 s4, exec_lo
	s_waitcnt vmcnt(0)
	ds_write_b64 v60, v[61:62]
	s_waitcnt lgkmcnt(0)
	s_barrier
	buffer_gl0_inv
	v_cmpx_gt_u32_e32 20, v0
	s_cbranch_execz .LBB91_95
; %bb.92:
	v_add_nc_u32_e32 v61, -1, v0
	v_add_nc_u32_e32 v62, 0xe0, v59
	v_mov_b32_e32 v63, v59
	v_mov_b32_e32 v58, 0
	;; [unrolled: 1-line block ×3, first 2 shown]
	s_mov_b32 s5, 0
	.p2align	6
.LBB91_93:                              ; =>This Inner Loop Header: Depth=1
	s_clause 0x1
	buffer_load_dword v67, v63, s[0:3], 0 offen offset:4
	buffer_load_dword v68, v63, s[0:3], 0 offen
	ds_read_b64 v[65:66], v62
	v_add_nc_u32_e32 v61, 1, v61
	v_add_nc_u32_e32 v62, 8, v62
	;; [unrolled: 1-line block ×3, first 2 shown]
	v_cmp_lt_u32_e32 vcc_lo, 18, v61
	s_or_b32 s5, vcc_lo, s5
	s_waitcnt vmcnt(1) lgkmcnt(0)
	v_mul_f32_e32 v69, v66, v67
	v_mul_f32_e32 v67, v65, v67
	s_waitcnt vmcnt(0)
	v_fma_f32 v65, v65, v68, -v69
	v_fmac_f32_e32 v67, v66, v68
	v_add_f32_e32 v64, v64, v65
	v_add_f32_e32 v58, v58, v67
	s_andn2_b32 exec_lo, exec_lo, s5
	s_cbranch_execnz .LBB91_93
; %bb.94:
	s_or_b32 exec_lo, exec_lo, s5
	v_mov_b32_e32 v61, 0
	ds_read_b64 v[61:62], v61 offset:160
	s_waitcnt lgkmcnt(0)
	v_mul_f32_e32 v63, v58, v62
	v_mul_f32_e32 v62, v64, v62
	v_fma_f32 v63, v64, v61, -v63
	v_fmac_f32_e32 v62, v58, v61
	buffer_store_dword v63, off, s[0:3], 0 offset:160
	buffer_store_dword v62, off, s[0:3], 0 offset:164
.LBB91_95:
	s_or_b32 exec_lo, exec_lo, s4
	s_waitcnt_vscnt null, 0x0
	s_barrier
	buffer_gl0_inv
	s_clause 0x1
	buffer_load_dword v61, off, s[0:3], 0 offset:168
	buffer_load_dword v62, off, s[0:3], 0 offset:172
	s_mov_b32 s4, exec_lo
	s_waitcnt vmcnt(0)
	ds_write_b64 v60, v[61:62]
	s_waitcnt lgkmcnt(0)
	s_barrier
	buffer_gl0_inv
	v_cmpx_gt_u32_e32 21, v0
	s_cbranch_execz .LBB91_99
; %bb.96:
	v_add_nc_u32_e32 v61, -1, v0
	v_add_nc_u32_e32 v62, 0xe0, v59
	v_mov_b32_e32 v63, v59
	v_mov_b32_e32 v58, 0
	;; [unrolled: 1-line block ×3, first 2 shown]
	s_mov_b32 s5, 0
	.p2align	6
.LBB91_97:                              ; =>This Inner Loop Header: Depth=1
	s_clause 0x1
	buffer_load_dword v67, v63, s[0:3], 0 offen offset:4
	buffer_load_dword v68, v63, s[0:3], 0 offen
	ds_read_b64 v[65:66], v62
	v_add_nc_u32_e32 v61, 1, v61
	v_add_nc_u32_e32 v62, 8, v62
	;; [unrolled: 1-line block ×3, first 2 shown]
	v_cmp_lt_u32_e32 vcc_lo, 19, v61
	s_or_b32 s5, vcc_lo, s5
	s_waitcnt vmcnt(1) lgkmcnt(0)
	v_mul_f32_e32 v69, v66, v67
	v_mul_f32_e32 v67, v65, v67
	s_waitcnt vmcnt(0)
	v_fma_f32 v65, v65, v68, -v69
	v_fmac_f32_e32 v67, v66, v68
	v_add_f32_e32 v64, v64, v65
	v_add_f32_e32 v58, v58, v67
	s_andn2_b32 exec_lo, exec_lo, s5
	s_cbranch_execnz .LBB91_97
; %bb.98:
	s_or_b32 exec_lo, exec_lo, s5
	v_mov_b32_e32 v61, 0
	ds_read_b64 v[61:62], v61 offset:168
	s_waitcnt lgkmcnt(0)
	v_mul_f32_e32 v63, v58, v62
	v_mul_f32_e32 v62, v64, v62
	v_fma_f32 v63, v64, v61, -v63
	v_fmac_f32_e32 v62, v58, v61
	buffer_store_dword v63, off, s[0:3], 0 offset:168
	buffer_store_dword v62, off, s[0:3], 0 offset:172
.LBB91_99:
	s_or_b32 exec_lo, exec_lo, s4
	s_waitcnt_vscnt null, 0x0
	s_barrier
	buffer_gl0_inv
	s_clause 0x1
	buffer_load_dword v61, off, s[0:3], 0 offset:176
	buffer_load_dword v62, off, s[0:3], 0 offset:180
	s_mov_b32 s4, exec_lo
	s_waitcnt vmcnt(0)
	ds_write_b64 v60, v[61:62]
	s_waitcnt lgkmcnt(0)
	s_barrier
	buffer_gl0_inv
	v_cmpx_gt_u32_e32 22, v0
	s_cbranch_execz .LBB91_103
; %bb.100:
	v_add_nc_u32_e32 v61, -1, v0
	v_add_nc_u32_e32 v62, 0xe0, v59
	v_mov_b32_e32 v63, v59
	v_mov_b32_e32 v58, 0
	;; [unrolled: 1-line block ×3, first 2 shown]
	s_mov_b32 s5, 0
	.p2align	6
.LBB91_101:                             ; =>This Inner Loop Header: Depth=1
	s_clause 0x1
	buffer_load_dword v67, v63, s[0:3], 0 offen offset:4
	buffer_load_dword v68, v63, s[0:3], 0 offen
	ds_read_b64 v[65:66], v62
	v_add_nc_u32_e32 v61, 1, v61
	v_add_nc_u32_e32 v62, 8, v62
	;; [unrolled: 1-line block ×3, first 2 shown]
	v_cmp_lt_u32_e32 vcc_lo, 20, v61
	s_or_b32 s5, vcc_lo, s5
	s_waitcnt vmcnt(1) lgkmcnt(0)
	v_mul_f32_e32 v69, v66, v67
	v_mul_f32_e32 v67, v65, v67
	s_waitcnt vmcnt(0)
	v_fma_f32 v65, v65, v68, -v69
	v_fmac_f32_e32 v67, v66, v68
	v_add_f32_e32 v64, v64, v65
	v_add_f32_e32 v58, v58, v67
	s_andn2_b32 exec_lo, exec_lo, s5
	s_cbranch_execnz .LBB91_101
; %bb.102:
	s_or_b32 exec_lo, exec_lo, s5
	v_mov_b32_e32 v61, 0
	ds_read_b64 v[61:62], v61 offset:176
	s_waitcnt lgkmcnt(0)
	v_mul_f32_e32 v63, v58, v62
	v_mul_f32_e32 v62, v64, v62
	v_fma_f32 v63, v64, v61, -v63
	v_fmac_f32_e32 v62, v58, v61
	buffer_store_dword v63, off, s[0:3], 0 offset:176
	buffer_store_dword v62, off, s[0:3], 0 offset:180
.LBB91_103:
	s_or_b32 exec_lo, exec_lo, s4
	s_waitcnt_vscnt null, 0x0
	s_barrier
	buffer_gl0_inv
	s_clause 0x1
	buffer_load_dword v61, off, s[0:3], 0 offset:184
	buffer_load_dword v62, off, s[0:3], 0 offset:188
	s_mov_b32 s4, exec_lo
	s_waitcnt vmcnt(0)
	ds_write_b64 v60, v[61:62]
	s_waitcnt lgkmcnt(0)
	s_barrier
	buffer_gl0_inv
	v_cmpx_gt_u32_e32 23, v0
	s_cbranch_execz .LBB91_107
; %bb.104:
	v_add_nc_u32_e32 v61, -1, v0
	v_add_nc_u32_e32 v62, 0xe0, v59
	v_mov_b32_e32 v63, v59
	v_mov_b32_e32 v58, 0
	;; [unrolled: 1-line block ×3, first 2 shown]
	s_mov_b32 s5, 0
	.p2align	6
.LBB91_105:                             ; =>This Inner Loop Header: Depth=1
	s_clause 0x1
	buffer_load_dword v67, v63, s[0:3], 0 offen offset:4
	buffer_load_dword v68, v63, s[0:3], 0 offen
	ds_read_b64 v[65:66], v62
	v_add_nc_u32_e32 v61, 1, v61
	v_add_nc_u32_e32 v62, 8, v62
	;; [unrolled: 1-line block ×3, first 2 shown]
	v_cmp_lt_u32_e32 vcc_lo, 21, v61
	s_or_b32 s5, vcc_lo, s5
	s_waitcnt vmcnt(1) lgkmcnt(0)
	v_mul_f32_e32 v69, v66, v67
	v_mul_f32_e32 v67, v65, v67
	s_waitcnt vmcnt(0)
	v_fma_f32 v65, v65, v68, -v69
	v_fmac_f32_e32 v67, v66, v68
	v_add_f32_e32 v64, v64, v65
	v_add_f32_e32 v58, v58, v67
	s_andn2_b32 exec_lo, exec_lo, s5
	s_cbranch_execnz .LBB91_105
; %bb.106:
	s_or_b32 exec_lo, exec_lo, s5
	v_mov_b32_e32 v61, 0
	ds_read_b64 v[61:62], v61 offset:184
	s_waitcnt lgkmcnt(0)
	v_mul_f32_e32 v63, v58, v62
	v_mul_f32_e32 v62, v64, v62
	v_fma_f32 v63, v64, v61, -v63
	v_fmac_f32_e32 v62, v58, v61
	buffer_store_dword v63, off, s[0:3], 0 offset:184
	buffer_store_dword v62, off, s[0:3], 0 offset:188
.LBB91_107:
	s_or_b32 exec_lo, exec_lo, s4
	s_waitcnt_vscnt null, 0x0
	s_barrier
	buffer_gl0_inv
	s_clause 0x1
	buffer_load_dword v61, off, s[0:3], 0 offset:192
	buffer_load_dword v62, off, s[0:3], 0 offset:196
	s_mov_b32 s4, exec_lo
	s_waitcnt vmcnt(0)
	ds_write_b64 v60, v[61:62]
	s_waitcnt lgkmcnt(0)
	s_barrier
	buffer_gl0_inv
	v_cmpx_gt_u32_e32 24, v0
	s_cbranch_execz .LBB91_111
; %bb.108:
	v_add_nc_u32_e32 v61, -1, v0
	v_add_nc_u32_e32 v62, 0xe0, v59
	v_mov_b32_e32 v63, v59
	v_mov_b32_e32 v58, 0
	;; [unrolled: 1-line block ×3, first 2 shown]
	s_mov_b32 s5, 0
	.p2align	6
.LBB91_109:                             ; =>This Inner Loop Header: Depth=1
	s_clause 0x1
	buffer_load_dword v67, v63, s[0:3], 0 offen offset:4
	buffer_load_dword v68, v63, s[0:3], 0 offen
	ds_read_b64 v[65:66], v62
	v_add_nc_u32_e32 v61, 1, v61
	v_add_nc_u32_e32 v62, 8, v62
	;; [unrolled: 1-line block ×3, first 2 shown]
	v_cmp_lt_u32_e32 vcc_lo, 22, v61
	s_or_b32 s5, vcc_lo, s5
	s_waitcnt vmcnt(1) lgkmcnt(0)
	v_mul_f32_e32 v69, v66, v67
	v_mul_f32_e32 v67, v65, v67
	s_waitcnt vmcnt(0)
	v_fma_f32 v65, v65, v68, -v69
	v_fmac_f32_e32 v67, v66, v68
	v_add_f32_e32 v64, v64, v65
	v_add_f32_e32 v58, v58, v67
	s_andn2_b32 exec_lo, exec_lo, s5
	s_cbranch_execnz .LBB91_109
; %bb.110:
	s_or_b32 exec_lo, exec_lo, s5
	v_mov_b32_e32 v61, 0
	ds_read_b64 v[61:62], v61 offset:192
	s_waitcnt lgkmcnt(0)
	v_mul_f32_e32 v63, v58, v62
	v_mul_f32_e32 v62, v64, v62
	v_fma_f32 v63, v64, v61, -v63
	v_fmac_f32_e32 v62, v58, v61
	buffer_store_dword v63, off, s[0:3], 0 offset:192
	buffer_store_dword v62, off, s[0:3], 0 offset:196
.LBB91_111:
	s_or_b32 exec_lo, exec_lo, s4
	s_waitcnt_vscnt null, 0x0
	s_barrier
	buffer_gl0_inv
	s_clause 0x1
	buffer_load_dword v61, off, s[0:3], 0 offset:200
	buffer_load_dword v62, off, s[0:3], 0 offset:204
	s_mov_b32 s4, exec_lo
	s_waitcnt vmcnt(0)
	ds_write_b64 v60, v[61:62]
	s_waitcnt lgkmcnt(0)
	s_barrier
	buffer_gl0_inv
	v_cmpx_gt_u32_e32 25, v0
	s_cbranch_execz .LBB91_115
; %bb.112:
	v_add_nc_u32_e32 v61, -1, v0
	v_add_nc_u32_e32 v62, 0xe0, v59
	v_mov_b32_e32 v63, v59
	v_mov_b32_e32 v58, 0
	;; [unrolled: 1-line block ×3, first 2 shown]
	s_mov_b32 s5, 0
	.p2align	6
.LBB91_113:                             ; =>This Inner Loop Header: Depth=1
	s_clause 0x1
	buffer_load_dword v67, v63, s[0:3], 0 offen offset:4
	buffer_load_dword v68, v63, s[0:3], 0 offen
	ds_read_b64 v[65:66], v62
	v_add_nc_u32_e32 v61, 1, v61
	v_add_nc_u32_e32 v62, 8, v62
	;; [unrolled: 1-line block ×3, first 2 shown]
	v_cmp_lt_u32_e32 vcc_lo, 23, v61
	s_or_b32 s5, vcc_lo, s5
	s_waitcnt vmcnt(1) lgkmcnt(0)
	v_mul_f32_e32 v69, v66, v67
	v_mul_f32_e32 v67, v65, v67
	s_waitcnt vmcnt(0)
	v_fma_f32 v65, v65, v68, -v69
	v_fmac_f32_e32 v67, v66, v68
	v_add_f32_e32 v64, v64, v65
	v_add_f32_e32 v58, v58, v67
	s_andn2_b32 exec_lo, exec_lo, s5
	s_cbranch_execnz .LBB91_113
; %bb.114:
	s_or_b32 exec_lo, exec_lo, s5
	v_mov_b32_e32 v61, 0
	ds_read_b64 v[61:62], v61 offset:200
	s_waitcnt lgkmcnt(0)
	v_mul_f32_e32 v63, v58, v62
	v_mul_f32_e32 v62, v64, v62
	v_fma_f32 v63, v64, v61, -v63
	v_fmac_f32_e32 v62, v58, v61
	buffer_store_dword v63, off, s[0:3], 0 offset:200
	buffer_store_dword v62, off, s[0:3], 0 offset:204
.LBB91_115:
	s_or_b32 exec_lo, exec_lo, s4
	s_waitcnt_vscnt null, 0x0
	s_barrier
	buffer_gl0_inv
	s_clause 0x1
	buffer_load_dword v61, off, s[0:3], 0 offset:208
	buffer_load_dword v62, off, s[0:3], 0 offset:212
	s_mov_b32 s4, exec_lo
	s_waitcnt vmcnt(0)
	ds_write_b64 v60, v[61:62]
	s_waitcnt lgkmcnt(0)
	s_barrier
	buffer_gl0_inv
	v_cmpx_gt_u32_e32 26, v0
	s_cbranch_execz .LBB91_119
; %bb.116:
	v_add_nc_u32_e32 v61, -1, v0
	v_add_nc_u32_e32 v62, 0xe0, v59
	v_mov_b32_e32 v63, v59
	v_mov_b32_e32 v58, 0
	;; [unrolled: 1-line block ×3, first 2 shown]
	s_mov_b32 s5, 0
	.p2align	6
.LBB91_117:                             ; =>This Inner Loop Header: Depth=1
	s_clause 0x1
	buffer_load_dword v67, v63, s[0:3], 0 offen offset:4
	buffer_load_dword v68, v63, s[0:3], 0 offen
	ds_read_b64 v[65:66], v62
	v_add_nc_u32_e32 v61, 1, v61
	v_add_nc_u32_e32 v62, 8, v62
	v_add_nc_u32_e32 v63, 8, v63
	v_cmp_lt_u32_e32 vcc_lo, 24, v61
	s_or_b32 s5, vcc_lo, s5
	s_waitcnt vmcnt(1) lgkmcnt(0)
	v_mul_f32_e32 v69, v66, v67
	v_mul_f32_e32 v67, v65, v67
	s_waitcnt vmcnt(0)
	v_fma_f32 v65, v65, v68, -v69
	v_fmac_f32_e32 v67, v66, v68
	v_add_f32_e32 v64, v64, v65
	v_add_f32_e32 v58, v58, v67
	s_andn2_b32 exec_lo, exec_lo, s5
	s_cbranch_execnz .LBB91_117
; %bb.118:
	s_or_b32 exec_lo, exec_lo, s5
	v_mov_b32_e32 v61, 0
	ds_read_b64 v[61:62], v61 offset:208
	s_waitcnt lgkmcnt(0)
	v_mul_f32_e32 v63, v58, v62
	v_mul_f32_e32 v62, v64, v62
	v_fma_f32 v63, v64, v61, -v63
	v_fmac_f32_e32 v62, v58, v61
	buffer_store_dword v63, off, s[0:3], 0 offset:208
	buffer_store_dword v62, off, s[0:3], 0 offset:212
.LBB91_119:
	s_or_b32 exec_lo, exec_lo, s4
	s_waitcnt_vscnt null, 0x0
	s_barrier
	buffer_gl0_inv
	s_clause 0x1
	buffer_load_dword v61, off, s[0:3], 0 offset:216
	buffer_load_dword v62, off, s[0:3], 0 offset:220
	s_mov_b32 s4, exec_lo
	s_waitcnt vmcnt(0)
	ds_write_b64 v60, v[61:62]
	s_waitcnt lgkmcnt(0)
	s_barrier
	buffer_gl0_inv
	v_cmpx_ne_u32_e32 27, v0
	s_cbranch_execz .LBB91_123
; %bb.120:
	v_mov_b32_e32 v58, 0
	v_mov_b32_e32 v61, 0
	s_mov_b32 s5, 0
	.p2align	6
.LBB91_121:                             ; =>This Inner Loop Header: Depth=1
	s_clause 0x1
	buffer_load_dword v64, v59, s[0:3], 0 offen offset:4
	buffer_load_dword v65, v59, s[0:3], 0 offen
	ds_read_b64 v[62:63], v60
	v_add_nc_u32_e32 v57, 1, v57
	v_add_nc_u32_e32 v60, 8, v60
	;; [unrolled: 1-line block ×3, first 2 shown]
	v_cmp_lt_u32_e32 vcc_lo, 25, v57
	s_or_b32 s5, vcc_lo, s5
	s_waitcnt vmcnt(1) lgkmcnt(0)
	v_mul_f32_e32 v66, v63, v64
	v_mul_f32_e32 v64, v62, v64
	s_waitcnt vmcnt(0)
	v_fma_f32 v62, v62, v65, -v66
	v_fmac_f32_e32 v64, v63, v65
	v_add_f32_e32 v61, v61, v62
	v_add_f32_e32 v58, v58, v64
	s_andn2_b32 exec_lo, exec_lo, s5
	s_cbranch_execnz .LBB91_121
; %bb.122:
	s_or_b32 exec_lo, exec_lo, s5
	v_mov_b32_e32 v57, 0
	ds_read_b64 v[59:60], v57 offset:216
	s_waitcnt lgkmcnt(0)
	v_mul_f32_e32 v57, v58, v60
	v_mul_f32_e32 v60, v61, v60
	v_fma_f32 v57, v61, v59, -v57
	v_fmac_f32_e32 v60, v58, v59
	buffer_store_dword v57, off, s[0:3], 0 offset:216
	buffer_store_dword v60, off, s[0:3], 0 offset:220
.LBB91_123:
	s_or_b32 exec_lo, exec_lo, s4
	s_mov_b32 s5, -1
	s_waitcnt_vscnt null, 0x0
	s_barrier
	buffer_gl0_inv
.LBB91_124:
	s_and_b32 vcc_lo, exec_lo, s5
	s_cbranch_vccz .LBB91_126
; %bb.125:
	s_lshl_b64 s[4:5], s[6:7], 2
	v_mov_b32_e32 v57, 0
	s_add_u32 s4, s10, s4
	s_addc_u32 s5, s11, s5
	global_load_dword v57, v57, s[4:5]
	s_waitcnt vmcnt(0)
	v_cmp_ne_u32_e32 vcc_lo, 0, v57
	s_cbranch_vccz .LBB91_127
.LBB91_126:
	s_endpgm
.LBB91_127:
	v_lshl_add_u32 v57, v0, 3, 0xe0
	s_mov_b32 s4, exec_lo
	v_cmpx_eq_u32_e32 27, v0
	s_cbranch_execz .LBB91_129
; %bb.128:
	s_clause 0x1
	buffer_load_dword v58, off, s[0:3], 0 offset:208
	buffer_load_dword v59, off, s[0:3], 0 offset:212
	v_mov_b32_e32 v60, 0
	buffer_store_dword v60, off, s[0:3], 0 offset:208
	buffer_store_dword v60, off, s[0:3], 0 offset:212
	s_waitcnt vmcnt(0)
	ds_write_b64 v57, v[58:59]
.LBB91_129:
	s_or_b32 exec_lo, exec_lo, s4
	s_waitcnt lgkmcnt(0)
	s_waitcnt_vscnt null, 0x0
	s_barrier
	buffer_gl0_inv
	s_clause 0x3
	buffer_load_dword v61, off, s[0:3], 0 offset:220
	buffer_load_dword v62, off, s[0:3], 0 offset:216
	;; [unrolled: 1-line block ×4, first 2 shown]
	v_mov_b32_e32 v58, 0
	s_mov_b32 s4, exec_lo
	ds_read_b64 v[59:60], v58 offset:440
	s_waitcnt vmcnt(3) lgkmcnt(0)
	v_mul_f32_e32 v65, v60, v61
	v_mul_f32_e32 v61, v59, v61
	s_waitcnt vmcnt(2)
	v_fma_f32 v59, v59, v62, -v65
	v_fmac_f32_e32 v61, v60, v62
	v_add_f32_e32 v59, 0, v59
	v_add_f32_e32 v60, 0, v61
	s_waitcnt vmcnt(1)
	v_sub_f32_e32 v59, v63, v59
	s_waitcnt vmcnt(0)
	v_sub_f32_e32 v60, v64, v60
	buffer_store_dword v59, off, s[0:3], 0 offset:208
	buffer_store_dword v60, off, s[0:3], 0 offset:212
	v_cmpx_lt_u32_e32 25, v0
	s_cbranch_execz .LBB91_131
; %bb.130:
	s_clause 0x1
	buffer_load_dword v59, off, s[0:3], 0 offset:200
	buffer_load_dword v60, off, s[0:3], 0 offset:204
	buffer_store_dword v58, off, s[0:3], 0 offset:200
	buffer_store_dword v58, off, s[0:3], 0 offset:204
	s_waitcnt vmcnt(0)
	ds_write_b64 v57, v[59:60]
.LBB91_131:
	s_or_b32 exec_lo, exec_lo, s4
	s_waitcnt lgkmcnt(0)
	s_waitcnt_vscnt null, 0x0
	s_barrier
	buffer_gl0_inv
	s_clause 0x5
	buffer_load_dword v62, off, s[0:3], 0 offset:212
	buffer_load_dword v63, off, s[0:3], 0 offset:220
	buffer_load_dword v64, off, s[0:3], 0 offset:208
	buffer_load_dword v65, off, s[0:3], 0 offset:216
	buffer_load_dword v66, off, s[0:3], 0 offset:200
	buffer_load_dword v67, off, s[0:3], 0 offset:204
	ds_read_b128 v[58:61], v58 offset:432
	s_mov_b32 s4, exec_lo
	s_waitcnt vmcnt(5) lgkmcnt(0)
	v_mul_f32_e32 v68, v59, v62
	v_mul_f32_e32 v62, v58, v62
	s_waitcnt vmcnt(4)
	v_mul_f32_e32 v69, v60, v63
	v_mul_f32_e32 v63, v61, v63
	s_waitcnt vmcnt(3)
	v_fma_f32 v58, v58, v64, -v68
	v_fmac_f32_e32 v62, v59, v64
	s_waitcnt vmcnt(2)
	v_fmac_f32_e32 v69, v61, v65
	v_fma_f32 v59, v60, v65, -v63
	v_add_f32_e32 v58, 0, v58
	v_add_f32_e32 v60, 0, v62
	;; [unrolled: 1-line block ×4, first 2 shown]
	s_waitcnt vmcnt(1)
	v_sub_f32_e32 v58, v66, v58
	s_waitcnt vmcnt(0)
	v_sub_f32_e32 v59, v67, v59
	buffer_store_dword v58, off, s[0:3], 0 offset:200
	buffer_store_dword v59, off, s[0:3], 0 offset:204
	v_cmpx_lt_u32_e32 24, v0
	s_cbranch_execz .LBB91_133
; %bb.132:
	s_clause 0x1
	buffer_load_dword v58, off, s[0:3], 0 offset:192
	buffer_load_dword v59, off, s[0:3], 0 offset:196
	v_mov_b32_e32 v60, 0
	buffer_store_dword v60, off, s[0:3], 0 offset:192
	buffer_store_dword v60, off, s[0:3], 0 offset:196
	s_waitcnt vmcnt(0)
	ds_write_b64 v57, v[58:59]
.LBB91_133:
	s_or_b32 exec_lo, exec_lo, s4
	s_waitcnt lgkmcnt(0)
	s_waitcnt_vscnt null, 0x0
	s_barrier
	buffer_gl0_inv
	s_clause 0x7
	buffer_load_dword v65, off, s[0:3], 0 offset:204
	buffer_load_dword v66, off, s[0:3], 0 offset:212
	;; [unrolled: 1-line block ×8, first 2 shown]
	v_mov_b32_e32 v58, 0
	ds_read2_b64 v[59:62], v58 offset0:53 offset1:54
	ds_read_b64 v[63:64], v58 offset:440
	s_mov_b32 s4, exec_lo
	s_waitcnt vmcnt(7) lgkmcnt(1)
	v_mul_f32_e32 v73, v60, v65
	v_mul_f32_e32 v65, v59, v65
	s_waitcnt vmcnt(6)
	v_mul_f32_e32 v74, v61, v66
	v_mul_f32_e32 v66, v62, v66
	s_waitcnt vmcnt(5) lgkmcnt(0)
	v_mul_f32_e32 v75, v63, v67
	s_waitcnt vmcnt(4)
	v_fma_f32 v59, v59, v68, -v73
	v_fmac_f32_e32 v65, v60, v68
	v_mul_f32_e32 v60, v64, v67
	s_waitcnt vmcnt(3)
	v_fma_f32 v61, v61, v69, -v66
	v_fmac_f32_e32 v74, v62, v69
	v_add_f32_e32 v59, 0, v59
	v_add_f32_e32 v62, 0, v65
	s_waitcnt vmcnt(2)
	v_fma_f32 v60, v63, v70, -v60
	v_fmac_f32_e32 v75, v64, v70
	v_add_f32_e32 v59, v59, v61
	v_add_f32_e32 v61, v62, v74
	;; [unrolled: 1-line block ×4, first 2 shown]
	s_waitcnt vmcnt(1)
	v_sub_f32_e32 v59, v71, v59
	s_waitcnt vmcnt(0)
	v_sub_f32_e32 v60, v72, v60
	buffer_store_dword v59, off, s[0:3], 0 offset:192
	buffer_store_dword v60, off, s[0:3], 0 offset:196
	v_cmpx_lt_u32_e32 23, v0
	s_cbranch_execz .LBB91_135
; %bb.134:
	s_clause 0x1
	buffer_load_dword v59, off, s[0:3], 0 offset:184
	buffer_load_dword v60, off, s[0:3], 0 offset:188
	buffer_store_dword v58, off, s[0:3], 0 offset:184
	buffer_store_dword v58, off, s[0:3], 0 offset:188
	s_waitcnt vmcnt(0)
	ds_write_b64 v57, v[59:60]
.LBB91_135:
	s_or_b32 exec_lo, exec_lo, s4
	s_waitcnt lgkmcnt(0)
	s_waitcnt_vscnt null, 0x0
	s_barrier
	buffer_gl0_inv
	s_clause 0x9
	buffer_load_dword v67, off, s[0:3], 0 offset:196
	buffer_load_dword v68, off, s[0:3], 0 offset:204
	;; [unrolled: 1-line block ×10, first 2 shown]
	ds_read_b128 v[59:62], v58 offset:416
	ds_read_b128 v[63:66], v58 offset:432
	s_mov_b32 s4, exec_lo
	s_waitcnt vmcnt(9) lgkmcnt(1)
	v_mul_f32_e32 v58, v59, v67
	v_mul_f32_e32 v67, v60, v67
	s_waitcnt vmcnt(8)
	v_mul_f32_e32 v77, v61, v68
	v_mul_f32_e32 v68, v62, v68
	s_waitcnt vmcnt(7) lgkmcnt(0)
	v_mul_f32_e32 v78, v63, v69
	s_waitcnt vmcnt(5)
	v_fmac_f32_e32 v58, v60, v71
	v_fma_f32 v59, v59, v71, -v67
	v_mul_f32_e32 v60, v64, v69
	s_waitcnt vmcnt(4)
	v_fma_f32 v61, v61, v72, -v68
	v_fmac_f32_e32 v77, v62, v72
	v_add_f32_e32 v58, 0, v58
	v_add_f32_e32 v59, 0, v59
	v_mul_f32_e32 v62, v66, v70
	s_waitcnt vmcnt(3)
	v_fma_f32 v60, v63, v73, -v60
	v_mul_f32_e32 v79, v65, v70
	v_fmac_f32_e32 v78, v64, v73
	v_add_f32_e32 v59, v59, v61
	v_add_f32_e32 v58, v58, v77
	s_waitcnt vmcnt(2)
	v_fma_f32 v61, v65, v74, -v62
	v_fmac_f32_e32 v79, v66, v74
	v_add_f32_e32 v59, v59, v60
	v_add_f32_e32 v58, v58, v78
	v_add_f32_e32 v59, v59, v61
	v_add_f32_e32 v58, v58, v79
	s_waitcnt vmcnt(1)
	v_sub_f32_e32 v59, v75, v59
	s_waitcnt vmcnt(0)
	v_sub_f32_e32 v58, v76, v58
	buffer_store_dword v59, off, s[0:3], 0 offset:184
	buffer_store_dword v58, off, s[0:3], 0 offset:188
	v_cmpx_lt_u32_e32 22, v0
	s_cbranch_execz .LBB91_137
; %bb.136:
	s_clause 0x1
	buffer_load_dword v58, off, s[0:3], 0 offset:176
	buffer_load_dword v59, off, s[0:3], 0 offset:180
	v_mov_b32_e32 v60, 0
	buffer_store_dword v60, off, s[0:3], 0 offset:176
	buffer_store_dword v60, off, s[0:3], 0 offset:180
	s_waitcnt vmcnt(0)
	ds_write_b64 v57, v[58:59]
.LBB91_137:
	s_or_b32 exec_lo, exec_lo, s4
	s_waitcnt lgkmcnt(0)
	s_waitcnt_vscnt null, 0x0
	s_barrier
	buffer_gl0_inv
	s_clause 0xb
	buffer_load_dword v69, off, s[0:3], 0 offset:188
	buffer_load_dword v70, off, s[0:3], 0 offset:196
	;; [unrolled: 1-line block ×12, first 2 shown]
	v_mov_b32_e32 v58, 0
	ds_read2_b64 v[59:62], v58 offset0:51 offset1:52
	ds_read2_b64 v[63:66], v58 offset0:53 offset1:54
	ds_read_b64 v[67:68], v58 offset:440
	s_mov_b32 s4, exec_lo
	s_waitcnt vmcnt(11) lgkmcnt(2)
	v_mul_f32_e32 v81, v59, v69
	v_mul_f32_e32 v69, v60, v69
	s_waitcnt vmcnt(10)
	v_mul_f32_e32 v82, v61, v70
	v_mul_f32_e32 v70, v62, v70
	s_waitcnt vmcnt(9) lgkmcnt(1)
	v_mul_f32_e32 v83, v63, v71
	s_waitcnt vmcnt(6)
	v_fmac_f32_e32 v81, v60, v74
	v_fma_f32 v59, v59, v74, -v69
	v_mul_f32_e32 v60, v64, v71
	s_waitcnt vmcnt(5)
	v_fma_f32 v61, v61, v75, -v70
	v_fmac_f32_e32 v82, v62, v75
	v_add_f32_e32 v62, 0, v81
	v_add_f32_e32 v59, 0, v59
	v_mul_f32_e32 v69, v66, v72
	s_waitcnt vmcnt(4)
	v_fma_f32 v60, v63, v76, -v60
	v_mul_f32_e32 v84, v65, v72
	v_fmac_f32_e32 v83, v64, v76
	v_add_f32_e32 v59, v59, v61
	v_add_f32_e32 v61, v62, v82
	s_waitcnt lgkmcnt(0)
	v_mul_f32_e32 v62, v68, v73
	s_waitcnt vmcnt(3)
	v_fma_f32 v63, v65, v77, -v69
	v_mul_f32_e32 v85, v67, v73
	v_add_f32_e32 v59, v59, v60
	v_fmac_f32_e32 v84, v66, v77
	v_add_f32_e32 v60, v61, v83
	s_waitcnt vmcnt(2)
	v_fma_f32 v61, v67, v78, -v62
	v_fmac_f32_e32 v85, v68, v78
	v_add_f32_e32 v59, v59, v63
	v_add_f32_e32 v60, v60, v84
	;; [unrolled: 1-line block ×4, first 2 shown]
	s_waitcnt vmcnt(1)
	v_sub_f32_e32 v59, v79, v59
	s_waitcnt vmcnt(0)
	v_sub_f32_e32 v60, v80, v60
	buffer_store_dword v59, off, s[0:3], 0 offset:176
	buffer_store_dword v60, off, s[0:3], 0 offset:180
	v_cmpx_lt_u32_e32 21, v0
	s_cbranch_execz .LBB91_139
; %bb.138:
	s_clause 0x1
	buffer_load_dword v59, off, s[0:3], 0 offset:168
	buffer_load_dword v60, off, s[0:3], 0 offset:172
	buffer_store_dword v58, off, s[0:3], 0 offset:168
	buffer_store_dword v58, off, s[0:3], 0 offset:172
	s_waitcnt vmcnt(0)
	ds_write_b64 v57, v[59:60]
.LBB91_139:
	s_or_b32 exec_lo, exec_lo, s4
	s_waitcnt lgkmcnt(0)
	s_waitcnt_vscnt null, 0x0
	s_barrier
	buffer_gl0_inv
	s_clause 0xd
	buffer_load_dword v71, off, s[0:3], 0 offset:180
	buffer_load_dword v72, off, s[0:3], 0 offset:188
	;; [unrolled: 1-line block ×14, first 2 shown]
	ds_read_b128 v[59:62], v58 offset:400
	ds_read_b128 v[63:66], v58 offset:416
	;; [unrolled: 1-line block ×3, first 2 shown]
	s_mov_b32 s4, exec_lo
	s_waitcnt vmcnt(13) lgkmcnt(2)
	v_mul_f32_e32 v58, v59, v71
	v_mul_f32_e32 v71, v60, v71
	s_waitcnt vmcnt(12)
	v_mul_f32_e32 v85, v61, v72
	v_mul_f32_e32 v72, v62, v72
	s_waitcnt vmcnt(11) lgkmcnt(1)
	v_mul_f32_e32 v86, v63, v73
	s_waitcnt vmcnt(10)
	v_mul_f32_e32 v87, v65, v74
	s_waitcnt vmcnt(7)
	v_fma_f32 v59, v59, v77, -v71
	v_fmac_f32_e32 v58, v60, v77
	v_mul_f32_e32 v60, v64, v73
	s_waitcnt vmcnt(6)
	v_fma_f32 v61, v61, v78, -v72
	v_fmac_f32_e32 v85, v62, v78
	v_add_f32_e32 v59, 0, v59
	v_add_f32_e32 v58, 0, v58
	v_mul_f32_e32 v62, v66, v74
	s_waitcnt vmcnt(5)
	v_fma_f32 v60, v63, v79, -v60
	v_fmac_f32_e32 v86, v64, v79
	v_add_f32_e32 v59, v59, v61
	v_add_f32_e32 v58, v58, v85
	s_waitcnt lgkmcnt(0)
	v_mul_f32_e32 v61, v68, v75
	s_waitcnt vmcnt(4)
	v_fma_f32 v62, v65, v80, -v62
	v_mul_f32_e32 v88, v67, v75
	v_add_f32_e32 v59, v59, v60
	v_fmac_f32_e32 v87, v66, v80
	v_add_f32_e32 v58, v58, v86
	v_mul_f32_e32 v60, v70, v76
	s_waitcnt vmcnt(3)
	v_fma_f32 v61, v67, v81, -v61
	v_add_f32_e32 v59, v59, v62
	v_mul_f32_e32 v89, v69, v76
	v_fmac_f32_e32 v88, v68, v81
	v_add_f32_e32 v58, v58, v87
	s_waitcnt vmcnt(2)
	v_fma_f32 v60, v69, v82, -v60
	v_add_f32_e32 v59, v59, v61
	v_fmac_f32_e32 v89, v70, v82
	v_add_f32_e32 v58, v58, v88
	v_add_f32_e32 v59, v59, v60
	;; [unrolled: 1-line block ×3, first 2 shown]
	s_waitcnt vmcnt(1)
	v_sub_f32_e32 v59, v83, v59
	s_waitcnt vmcnt(0)
	v_sub_f32_e32 v58, v84, v58
	buffer_store_dword v59, off, s[0:3], 0 offset:168
	buffer_store_dword v58, off, s[0:3], 0 offset:172
	v_cmpx_lt_u32_e32 20, v0
	s_cbranch_execz .LBB91_141
; %bb.140:
	s_clause 0x1
	buffer_load_dword v58, off, s[0:3], 0 offset:160
	buffer_load_dword v59, off, s[0:3], 0 offset:164
	v_mov_b32_e32 v60, 0
	buffer_store_dword v60, off, s[0:3], 0 offset:160
	buffer_store_dword v60, off, s[0:3], 0 offset:164
	s_waitcnt vmcnt(0)
	ds_write_b64 v57, v[58:59]
.LBB91_141:
	s_or_b32 exec_lo, exec_lo, s4
	s_waitcnt lgkmcnt(0)
	s_waitcnt_vscnt null, 0x0
	s_barrier
	buffer_gl0_inv
	s_clause 0xf
	buffer_load_dword v73, off, s[0:3], 0 offset:172
	buffer_load_dword v74, off, s[0:3], 0 offset:180
	;; [unrolled: 1-line block ×16, first 2 shown]
	v_mov_b32_e32 v58, 0
	ds_read2_b64 v[59:62], v58 offset0:49 offset1:50
	ds_read2_b64 v[63:66], v58 offset0:51 offset1:52
	;; [unrolled: 1-line block ×3, first 2 shown]
	ds_read_b64 v[71:72], v58 offset:440
	s_mov_b32 s4, exec_lo
	s_waitcnt vmcnt(15) lgkmcnt(3)
	v_mul_f32_e32 v89, v59, v73
	v_mul_f32_e32 v73, v60, v73
	s_waitcnt vmcnt(14)
	v_mul_f32_e32 v90, v61, v74
	v_mul_f32_e32 v74, v62, v74
	s_waitcnt vmcnt(13) lgkmcnt(2)
	v_mul_f32_e32 v91, v63, v75
	s_waitcnt vmcnt(12)
	v_mul_f32_e32 v92, v65, v76
	s_waitcnt vmcnt(11) lgkmcnt(1)
	v_mul_f32_e32 v93, v67, v77
	s_waitcnt vmcnt(8)
	v_fma_f32 v59, v59, v80, -v73
	v_fmac_f32_e32 v89, v60, v80
	v_mul_f32_e32 v60, v64, v75
	s_waitcnt vmcnt(7)
	v_fma_f32 v61, v61, v81, -v74
	v_fmac_f32_e32 v90, v62, v81
	v_add_f32_e32 v59, 0, v59
	v_add_f32_e32 v62, 0, v89
	v_mul_f32_e32 v73, v66, v76
	s_waitcnt vmcnt(6)
	v_fma_f32 v60, v63, v82, -v60
	v_fmac_f32_e32 v91, v64, v82
	v_add_f32_e32 v59, v59, v61
	v_add_f32_e32 v61, v62, v90
	;; [unrolled: 6-line block ×3, first 2 shown]
	v_mul_f32_e32 v61, v70, v78
	s_waitcnt vmcnt(4)
	v_fma_f32 v62, v67, v84, -v62
	v_mul_f32_e32 v94, v69, v78
	v_add_f32_e32 v59, v59, v63
	v_fmac_f32_e32 v93, v68, v84
	v_add_f32_e32 v60, v60, v92
	s_waitcnt lgkmcnt(0)
	v_mul_f32_e32 v63, v72, v79
	s_waitcnt vmcnt(3)
	v_fma_f32 v61, v69, v85, -v61
	v_add_f32_e32 v59, v59, v62
	v_mul_f32_e32 v95, v71, v79
	v_fmac_f32_e32 v94, v70, v85
	v_add_f32_e32 v60, v60, v93
	s_waitcnt vmcnt(2)
	v_fma_f32 v62, v71, v86, -v63
	v_add_f32_e32 v59, v59, v61
	v_fmac_f32_e32 v95, v72, v86
	v_add_f32_e32 v60, v60, v94
	v_add_f32_e32 v59, v59, v62
	;; [unrolled: 1-line block ×3, first 2 shown]
	s_waitcnt vmcnt(1)
	v_sub_f32_e32 v59, v87, v59
	s_waitcnt vmcnt(0)
	v_sub_f32_e32 v60, v88, v60
	buffer_store_dword v59, off, s[0:3], 0 offset:160
	buffer_store_dword v60, off, s[0:3], 0 offset:164
	v_cmpx_lt_u32_e32 19, v0
	s_cbranch_execz .LBB91_143
; %bb.142:
	s_clause 0x1
	buffer_load_dword v59, off, s[0:3], 0 offset:152
	buffer_load_dword v60, off, s[0:3], 0 offset:156
	buffer_store_dword v58, off, s[0:3], 0 offset:152
	buffer_store_dword v58, off, s[0:3], 0 offset:156
	s_waitcnt vmcnt(0)
	ds_write_b64 v57, v[59:60]
.LBB91_143:
	s_or_b32 exec_lo, exec_lo, s4
	s_waitcnt lgkmcnt(0)
	s_waitcnt_vscnt null, 0x0
	s_barrier
	buffer_gl0_inv
	s_clause 0x11
	buffer_load_dword v75, off, s[0:3], 0 offset:164
	buffer_load_dword v76, off, s[0:3], 0 offset:172
	;; [unrolled: 1-line block ×18, first 2 shown]
	ds_read_b128 v[59:62], v58 offset:384
	ds_read_b128 v[63:66], v58 offset:400
	;; [unrolled: 1-line block ×4, first 2 shown]
	s_mov_b32 s4, exec_lo
	s_waitcnt vmcnt(17) lgkmcnt(3)
	v_mul_f32_e32 v58, v59, v75
	v_mul_f32_e32 v75, v60, v75
	s_waitcnt vmcnt(16)
	v_mul_f32_e32 v93, v61, v76
	v_mul_f32_e32 v76, v62, v76
	s_waitcnt vmcnt(15) lgkmcnt(2)
	v_mul_f32_e32 v94, v63, v77
	s_waitcnt vmcnt(14)
	v_mul_f32_e32 v95, v65, v78
	s_waitcnt vmcnt(13) lgkmcnt(1)
	v_mul_f32_e32 v96, v67, v79
	s_waitcnt vmcnt(12)
	v_mul_f32_e32 v97, v69, v80
	s_waitcnt vmcnt(9)
	v_fma_f32 v59, v59, v83, -v75
	v_fmac_f32_e32 v58, v60, v83
	v_mul_f32_e32 v60, v64, v77
	s_waitcnt vmcnt(8)
	v_fma_f32 v61, v61, v84, -v76
	v_fmac_f32_e32 v93, v62, v84
	v_add_f32_e32 v59, 0, v59
	v_add_f32_e32 v58, 0, v58
	v_mul_f32_e32 v62, v66, v78
	s_waitcnt vmcnt(7)
	v_fma_f32 v60, v63, v85, -v60
	v_fmac_f32_e32 v94, v64, v85
	v_add_f32_e32 v59, v59, v61
	v_add_f32_e32 v58, v58, v93
	;; [unrolled: 6-line block ×4, first 2 shown]
	s_waitcnt lgkmcnt(0)
	v_mul_f32_e32 v62, v72, v81
	s_waitcnt vmcnt(4)
	v_fma_f32 v60, v69, v88, -v60
	v_mul_f32_e32 v98, v71, v81
	v_add_f32_e32 v59, v59, v61
	v_fmac_f32_e32 v97, v70, v88
	v_add_f32_e32 v58, v58, v96
	v_mul_f32_e32 v61, v74, v82
	s_waitcnt vmcnt(3)
	v_fma_f32 v62, v71, v89, -v62
	v_add_f32_e32 v59, v59, v60
	v_mul_f32_e32 v99, v73, v82
	v_fmac_f32_e32 v98, v72, v89
	v_add_f32_e32 v58, v58, v97
	s_waitcnt vmcnt(2)
	v_fma_f32 v60, v73, v90, -v61
	v_add_f32_e32 v59, v59, v62
	v_fmac_f32_e32 v99, v74, v90
	v_add_f32_e32 v58, v58, v98
	v_add_f32_e32 v59, v59, v60
	v_add_f32_e32 v58, v58, v99
	s_waitcnt vmcnt(1)
	v_sub_f32_e32 v59, v91, v59
	s_waitcnt vmcnt(0)
	v_sub_f32_e32 v58, v92, v58
	buffer_store_dword v59, off, s[0:3], 0 offset:152
	buffer_store_dword v58, off, s[0:3], 0 offset:156
	v_cmpx_lt_u32_e32 18, v0
	s_cbranch_execz .LBB91_145
; %bb.144:
	s_clause 0x1
	buffer_load_dword v58, off, s[0:3], 0 offset:144
	buffer_load_dword v59, off, s[0:3], 0 offset:148
	v_mov_b32_e32 v60, 0
	buffer_store_dword v60, off, s[0:3], 0 offset:144
	buffer_store_dword v60, off, s[0:3], 0 offset:148
	s_waitcnt vmcnt(0)
	ds_write_b64 v57, v[58:59]
.LBB91_145:
	s_or_b32 exec_lo, exec_lo, s4
	s_waitcnt lgkmcnt(0)
	s_waitcnt_vscnt null, 0x0
	s_barrier
	buffer_gl0_inv
	s_clause 0x13
	buffer_load_dword v77, off, s[0:3], 0 offset:156
	buffer_load_dword v78, off, s[0:3], 0 offset:164
	;; [unrolled: 1-line block ×20, first 2 shown]
	v_mov_b32_e32 v58, 0
	ds_read2_b64 v[59:62], v58 offset0:47 offset1:48
	ds_read2_b64 v[63:66], v58 offset0:49 offset1:50
	;; [unrolled: 1-line block ×4, first 2 shown]
	ds_read_b64 v[75:76], v58 offset:440
	s_mov_b32 s4, exec_lo
	s_waitcnt vmcnt(19) lgkmcnt(4)
	v_mul_f32_e32 v97, v59, v77
	v_mul_f32_e32 v77, v60, v77
	s_waitcnt vmcnt(18)
	v_mul_f32_e32 v98, v61, v78
	v_mul_f32_e32 v78, v62, v78
	s_waitcnt vmcnt(17) lgkmcnt(3)
	v_mul_f32_e32 v99, v63, v79
	s_waitcnt vmcnt(16)
	v_mul_f32_e32 v100, v65, v80
	s_waitcnt vmcnt(15) lgkmcnt(2)
	v_mul_f32_e32 v101, v67, v81
	s_waitcnt vmcnt(14)
	;; [unrolled: 4-line block ×3, first 2 shown]
	v_fma_f32 v59, v59, v86, -v77
	v_fmac_f32_e32 v97, v60, v86
	v_mul_f32_e32 v60, v64, v79
	s_waitcnt vmcnt(9)
	v_fma_f32 v61, v61, v87, -v78
	v_fmac_f32_e32 v98, v62, v87
	v_add_f32_e32 v59, 0, v59
	v_add_f32_e32 v62, 0, v97
	v_mul_f32_e32 v77, v66, v80
	s_waitcnt vmcnt(8)
	v_fma_f32 v60, v63, v88, -v60
	v_fmac_f32_e32 v99, v64, v88
	v_add_f32_e32 v59, v59, v61
	v_add_f32_e32 v61, v62, v98
	;; [unrolled: 6-line block ×5, first 2 shown]
	v_mul_f32_e32 v62, v74, v84
	s_waitcnt vmcnt(4)
	v_fma_f32 v63, v71, v92, -v63
	v_mul_f32_e32 v104, v73, v84
	v_add_f32_e32 v59, v59, v61
	v_fmac_f32_e32 v103, v72, v92
	v_add_f32_e32 v60, v60, v102
	s_waitcnt lgkmcnt(0)
	v_mul_f32_e32 v61, v76, v85
	s_waitcnt vmcnt(3)
	v_fma_f32 v62, v73, v93, -v62
	v_add_f32_e32 v59, v59, v63
	v_mul_f32_e32 v105, v75, v85
	v_fmac_f32_e32 v104, v74, v93
	v_add_f32_e32 v60, v60, v103
	s_waitcnt vmcnt(2)
	v_fma_f32 v61, v75, v94, -v61
	v_add_f32_e32 v59, v59, v62
	v_fmac_f32_e32 v105, v76, v94
	v_add_f32_e32 v60, v60, v104
	v_add_f32_e32 v59, v59, v61
	;; [unrolled: 1-line block ×3, first 2 shown]
	s_waitcnt vmcnt(1)
	v_sub_f32_e32 v59, v95, v59
	s_waitcnt vmcnt(0)
	v_sub_f32_e32 v60, v96, v60
	buffer_store_dword v59, off, s[0:3], 0 offset:144
	buffer_store_dword v60, off, s[0:3], 0 offset:148
	v_cmpx_lt_u32_e32 17, v0
	s_cbranch_execz .LBB91_147
; %bb.146:
	s_clause 0x1
	buffer_load_dword v59, off, s[0:3], 0 offset:136
	buffer_load_dword v60, off, s[0:3], 0 offset:140
	buffer_store_dword v58, off, s[0:3], 0 offset:136
	buffer_store_dword v58, off, s[0:3], 0 offset:140
	s_waitcnt vmcnt(0)
	ds_write_b64 v57, v[59:60]
.LBB91_147:
	s_or_b32 exec_lo, exec_lo, s4
	s_waitcnt lgkmcnt(0)
	s_waitcnt_vscnt null, 0x0
	s_barrier
	buffer_gl0_inv
	s_clause 0x15
	buffer_load_dword v79, off, s[0:3], 0 offset:148
	buffer_load_dword v80, off, s[0:3], 0 offset:156
	;; [unrolled: 1-line block ×22, first 2 shown]
	ds_read_b128 v[59:62], v58 offset:368
	ds_read_b128 v[63:66], v58 offset:384
	;; [unrolled: 1-line block ×5, first 2 shown]
	s_mov_b32 s4, exec_lo
	s_waitcnt vmcnt(21) lgkmcnt(4)
	v_mul_f32_e32 v58, v59, v79
	v_mul_f32_e32 v79, v60, v79
	s_waitcnt vmcnt(20)
	v_mul_f32_e32 v101, v61, v80
	v_mul_f32_e32 v80, v62, v80
	s_waitcnt vmcnt(19) lgkmcnt(3)
	v_mul_f32_e32 v102, v63, v81
	s_waitcnt vmcnt(18)
	v_mul_f32_e32 v103, v65, v82
	s_waitcnt vmcnt(17) lgkmcnt(2)
	v_mul_f32_e32 v104, v67, v83
	s_waitcnt vmcnt(16)
	;; [unrolled: 4-line block ×3, first 2 shown]
	v_mul_f32_e32 v107, v73, v86
	s_waitcnt vmcnt(11)
	v_fma_f32 v59, v59, v89, -v79
	v_fmac_f32_e32 v58, v60, v89
	v_mul_f32_e32 v60, v64, v81
	s_waitcnt vmcnt(10)
	v_fma_f32 v61, v61, v90, -v80
	v_fmac_f32_e32 v101, v62, v90
	v_add_f32_e32 v59, 0, v59
	v_add_f32_e32 v58, 0, v58
	v_mul_f32_e32 v62, v66, v82
	s_waitcnt vmcnt(9)
	v_fma_f32 v60, v63, v91, -v60
	v_fmac_f32_e32 v102, v64, v91
	v_add_f32_e32 v59, v59, v61
	v_add_f32_e32 v58, v58, v101
	;; [unrolled: 6-line block ×6, first 2 shown]
	s_waitcnt lgkmcnt(0)
	v_mul_f32_e32 v60, v76, v87
	s_waitcnt vmcnt(4)
	v_fma_f32 v61, v73, v96, -v61
	v_mul_f32_e32 v108, v75, v87
	v_add_f32_e32 v59, v59, v62
	v_fmac_f32_e32 v107, v74, v96
	v_add_f32_e32 v58, v58, v106
	v_mul_f32_e32 v62, v78, v88
	s_waitcnt vmcnt(3)
	v_fma_f32 v60, v75, v97, -v60
	v_add_f32_e32 v59, v59, v61
	v_mul_f32_e32 v109, v77, v88
	v_fmac_f32_e32 v108, v76, v97
	v_add_f32_e32 v58, v58, v107
	s_waitcnt vmcnt(2)
	v_fma_f32 v61, v77, v98, -v62
	v_add_f32_e32 v59, v59, v60
	v_fmac_f32_e32 v109, v78, v98
	v_add_f32_e32 v58, v58, v108
	v_add_f32_e32 v59, v59, v61
	;; [unrolled: 1-line block ×3, first 2 shown]
	s_waitcnt vmcnt(1)
	v_sub_f32_e32 v59, v99, v59
	s_waitcnt vmcnt(0)
	v_sub_f32_e32 v58, v100, v58
	buffer_store_dword v59, off, s[0:3], 0 offset:136
	buffer_store_dword v58, off, s[0:3], 0 offset:140
	v_cmpx_lt_u32_e32 16, v0
	s_cbranch_execz .LBB91_149
; %bb.148:
	s_clause 0x1
	buffer_load_dword v58, off, s[0:3], 0 offset:128
	buffer_load_dword v59, off, s[0:3], 0 offset:132
	v_mov_b32_e32 v60, 0
	buffer_store_dword v60, off, s[0:3], 0 offset:128
	buffer_store_dword v60, off, s[0:3], 0 offset:132
	s_waitcnt vmcnt(0)
	ds_write_b64 v57, v[58:59]
.LBB91_149:
	s_or_b32 exec_lo, exec_lo, s4
	s_waitcnt lgkmcnt(0)
	s_waitcnt_vscnt null, 0x0
	s_barrier
	buffer_gl0_inv
	s_clause 0x17
	buffer_load_dword v81, off, s[0:3], 0 offset:140
	buffer_load_dword v82, off, s[0:3], 0 offset:148
	;; [unrolled: 1-line block ×24, first 2 shown]
	v_mov_b32_e32 v58, 0
	ds_read2_b64 v[59:62], v58 offset0:45 offset1:46
	ds_read2_b64 v[63:66], v58 offset0:47 offset1:48
	;; [unrolled: 1-line block ×5, first 2 shown]
	ds_read_b64 v[79:80], v58 offset:440
	s_mov_b32 s4, exec_lo
	s_waitcnt vmcnt(23) lgkmcnt(5)
	v_mul_f32_e32 v105, v59, v81
	v_mul_f32_e32 v81, v60, v81
	s_waitcnt vmcnt(22)
	v_mul_f32_e32 v106, v61, v82
	v_mul_f32_e32 v82, v62, v82
	s_waitcnt vmcnt(21) lgkmcnt(4)
	v_mul_f32_e32 v107, v63, v83
	s_waitcnt vmcnt(20)
	v_mul_f32_e32 v108, v65, v84
	s_waitcnt vmcnt(19) lgkmcnt(3)
	v_mul_f32_e32 v109, v67, v85
	s_waitcnt vmcnt(18)
	v_mul_f32_e32 v110, v69, v86
	s_waitcnt vmcnt(17) lgkmcnt(2)
	v_mul_f32_e32 v111, v71, v87
	s_waitcnt vmcnt(16)
	v_mul_f32_e32 v112, v73, v88
	s_waitcnt vmcnt(15) lgkmcnt(1)
	v_mul_f32_e32 v113, v75, v89
	s_waitcnt vmcnt(12)
	v_fma_f32 v59, v59, v92, -v81
	v_fmac_f32_e32 v105, v60, v92
	v_mul_f32_e32 v60, v64, v83
	s_waitcnt vmcnt(11)
	v_fma_f32 v61, v61, v93, -v82
	v_fmac_f32_e32 v106, v62, v93
	v_add_f32_e32 v59, 0, v59
	v_add_f32_e32 v62, 0, v105
	v_mul_f32_e32 v81, v66, v84
	s_waitcnt vmcnt(10)
	v_fma_f32 v60, v63, v94, -v60
	v_fmac_f32_e32 v107, v64, v94
	v_add_f32_e32 v59, v59, v61
	v_add_f32_e32 v61, v62, v106
	;; [unrolled: 6-line block ×7, first 2 shown]
	v_mul_f32_e32 v63, v78, v90
	s_waitcnt vmcnt(4)
	v_fma_f32 v61, v75, v100, -v61
	v_mul_f32_e32 v114, v77, v90
	v_add_f32_e32 v59, v59, v62
	v_fmac_f32_e32 v113, v76, v100
	v_add_f32_e32 v60, v60, v112
	s_waitcnt lgkmcnt(0)
	v_mul_f32_e32 v62, v80, v91
	s_waitcnt vmcnt(3)
	v_fma_f32 v63, v77, v101, -v63
	v_add_f32_e32 v59, v59, v61
	v_mul_f32_e32 v115, v79, v91
	v_fmac_f32_e32 v114, v78, v101
	v_add_f32_e32 v60, v60, v113
	s_waitcnt vmcnt(2)
	v_fma_f32 v61, v79, v102, -v62
	v_add_f32_e32 v59, v59, v63
	v_fmac_f32_e32 v115, v80, v102
	v_add_f32_e32 v60, v60, v114
	v_add_f32_e32 v59, v59, v61
	;; [unrolled: 1-line block ×3, first 2 shown]
	s_waitcnt vmcnt(1)
	v_sub_f32_e32 v59, v103, v59
	s_waitcnt vmcnt(0)
	v_sub_f32_e32 v60, v104, v60
	buffer_store_dword v59, off, s[0:3], 0 offset:128
	buffer_store_dword v60, off, s[0:3], 0 offset:132
	v_cmpx_lt_u32_e32 15, v0
	s_cbranch_execz .LBB91_151
; %bb.150:
	s_clause 0x1
	buffer_load_dword v59, off, s[0:3], 0 offset:120
	buffer_load_dword v60, off, s[0:3], 0 offset:124
	buffer_store_dword v58, off, s[0:3], 0 offset:120
	buffer_store_dword v58, off, s[0:3], 0 offset:124
	s_waitcnt vmcnt(0)
	ds_write_b64 v57, v[59:60]
.LBB91_151:
	s_or_b32 exec_lo, exec_lo, s4
	s_waitcnt lgkmcnt(0)
	s_waitcnt_vscnt null, 0x0
	s_barrier
	buffer_gl0_inv
	s_clause 0x19
	buffer_load_dword v83, off, s[0:3], 0 offset:132
	buffer_load_dword v84, off, s[0:3], 0 offset:140
	;; [unrolled: 1-line block ×26, first 2 shown]
	ds_read_b128 v[59:62], v58 offset:352
	ds_read_b128 v[63:66], v58 offset:368
	;; [unrolled: 1-line block ×6, first 2 shown]
	s_mov_b32 s4, exec_lo
	s_waitcnt vmcnt(25) lgkmcnt(5)
	v_mul_f32_e32 v58, v59, v83
	v_mul_f32_e32 v83, v60, v83
	s_waitcnt vmcnt(24)
	v_mul_f32_e32 v109, v61, v84
	v_mul_f32_e32 v84, v62, v84
	s_waitcnt vmcnt(23) lgkmcnt(4)
	v_mul_f32_e32 v110, v63, v85
	s_waitcnt vmcnt(22)
	v_mul_f32_e32 v111, v65, v86
	s_waitcnt vmcnt(21) lgkmcnt(3)
	v_mul_f32_e32 v112, v67, v87
	s_waitcnt vmcnt(20)
	;; [unrolled: 4-line block ×4, first 2 shown]
	v_mul_f32_e32 v117, v77, v92
	s_waitcnt vmcnt(13)
	v_fma_f32 v59, v59, v95, -v83
	v_fmac_f32_e32 v58, v60, v95
	v_mul_f32_e32 v60, v64, v85
	s_waitcnt vmcnt(12)
	v_fma_f32 v61, v61, v96, -v84
	v_fmac_f32_e32 v109, v62, v96
	v_add_f32_e32 v59, 0, v59
	v_add_f32_e32 v58, 0, v58
	v_mul_f32_e32 v62, v66, v86
	s_waitcnt vmcnt(11)
	v_fma_f32 v60, v63, v97, -v60
	v_fmac_f32_e32 v110, v64, v97
	v_add_f32_e32 v59, v59, v61
	v_add_f32_e32 v58, v58, v109
	;; [unrolled: 6-line block ×8, first 2 shown]
	s_waitcnt lgkmcnt(0)
	v_mul_f32_e32 v61, v80, v93
	s_waitcnt vmcnt(4)
	v_fma_f32 v62, v77, v104, -v62
	v_mul_f32_e32 v118, v79, v93
	v_add_f32_e32 v59, v59, v60
	v_fmac_f32_e32 v117, v78, v104
	v_add_f32_e32 v58, v58, v116
	v_mul_f32_e32 v60, v82, v94
	s_waitcnt vmcnt(3)
	v_fma_f32 v61, v79, v105, -v61
	v_add_f32_e32 v59, v59, v62
	v_mul_f32_e32 v119, v81, v94
	v_fmac_f32_e32 v118, v80, v105
	v_add_f32_e32 v58, v58, v117
	s_waitcnt vmcnt(2)
	v_fma_f32 v60, v81, v106, -v60
	v_add_f32_e32 v59, v59, v61
	v_fmac_f32_e32 v119, v82, v106
	v_add_f32_e32 v58, v58, v118
	v_add_f32_e32 v59, v59, v60
	;; [unrolled: 1-line block ×3, first 2 shown]
	s_waitcnt vmcnt(1)
	v_sub_f32_e32 v59, v107, v59
	s_waitcnt vmcnt(0)
	v_sub_f32_e32 v58, v108, v58
	buffer_store_dword v59, off, s[0:3], 0 offset:120
	buffer_store_dword v58, off, s[0:3], 0 offset:124
	v_cmpx_lt_u32_e32 14, v0
	s_cbranch_execz .LBB91_153
; %bb.152:
	s_clause 0x1
	buffer_load_dword v58, off, s[0:3], 0 offset:112
	buffer_load_dword v59, off, s[0:3], 0 offset:116
	v_mov_b32_e32 v60, 0
	buffer_store_dword v60, off, s[0:3], 0 offset:112
	buffer_store_dword v60, off, s[0:3], 0 offset:116
	s_waitcnt vmcnt(0)
	ds_write_b64 v57, v[58:59]
.LBB91_153:
	s_or_b32 exec_lo, exec_lo, s4
	s_waitcnt lgkmcnt(0)
	s_waitcnt_vscnt null, 0x0
	s_barrier
	buffer_gl0_inv
	s_clause 0x1b
	buffer_load_dword v85, off, s[0:3], 0 offset:124
	buffer_load_dword v86, off, s[0:3], 0 offset:132
	buffer_load_dword v87, off, s[0:3], 0 offset:140
	buffer_load_dword v88, off, s[0:3], 0 offset:148
	buffer_load_dword v89, off, s[0:3], 0 offset:156
	buffer_load_dword v90, off, s[0:3], 0 offset:164
	buffer_load_dword v91, off, s[0:3], 0 offset:172
	buffer_load_dword v92, off, s[0:3], 0 offset:180
	buffer_load_dword v93, off, s[0:3], 0 offset:188
	buffer_load_dword v94, off, s[0:3], 0 offset:196
	buffer_load_dword v95, off, s[0:3], 0 offset:204
	buffer_load_dword v96, off, s[0:3], 0 offset:212
	buffer_load_dword v97, off, s[0:3], 0 offset:220
	buffer_load_dword v98, off, s[0:3], 0 offset:120
	buffer_load_dword v99, off, s[0:3], 0 offset:128
	buffer_load_dword v100, off, s[0:3], 0 offset:136
	buffer_load_dword v101, off, s[0:3], 0 offset:144
	buffer_load_dword v102, off, s[0:3], 0 offset:152
	buffer_load_dword v103, off, s[0:3], 0 offset:160
	buffer_load_dword v104, off, s[0:3], 0 offset:168
	buffer_load_dword v105, off, s[0:3], 0 offset:176
	buffer_load_dword v106, off, s[0:3], 0 offset:184
	buffer_load_dword v107, off, s[0:3], 0 offset:192
	buffer_load_dword v108, off, s[0:3], 0 offset:200
	buffer_load_dword v109, off, s[0:3], 0 offset:208
	buffer_load_dword v110, off, s[0:3], 0 offset:216
	buffer_load_dword v111, off, s[0:3], 0 offset:112
	buffer_load_dword v112, off, s[0:3], 0 offset:116
	v_mov_b32_e32 v58, 0
	ds_read2_b64 v[59:62], v58 offset0:43 offset1:44
	ds_read2_b64 v[63:66], v58 offset0:45 offset1:46
	;; [unrolled: 1-line block ×6, first 2 shown]
	ds_read_b64 v[83:84], v58 offset:440
	s_mov_b32 s4, exec_lo
	s_waitcnt vmcnt(27) lgkmcnt(6)
	v_mul_f32_e32 v113, v59, v85
	v_mul_f32_e32 v85, v60, v85
	s_waitcnt vmcnt(26)
	v_mul_f32_e32 v114, v61, v86
	v_mul_f32_e32 v86, v62, v86
	s_waitcnt vmcnt(25) lgkmcnt(5)
	v_mul_f32_e32 v115, v63, v87
	s_waitcnt vmcnt(24)
	v_mul_f32_e32 v116, v65, v88
	s_waitcnt vmcnt(23) lgkmcnt(4)
	v_mul_f32_e32 v117, v67, v89
	s_waitcnt vmcnt(22)
	;; [unrolled: 4-line block ×5, first 2 shown]
	v_fma_f32 v59, v59, v98, -v85
	v_fmac_f32_e32 v113, v60, v98
	v_mul_f32_e32 v60, v64, v87
	s_waitcnt vmcnt(13)
	v_fma_f32 v61, v61, v99, -v86
	v_fmac_f32_e32 v114, v62, v99
	v_add_f32_e32 v59, 0, v59
	v_add_f32_e32 v62, 0, v113
	v_mul_f32_e32 v85, v66, v88
	s_waitcnt vmcnt(12)
	v_fma_f32 v60, v63, v100, -v60
	v_fmac_f32_e32 v115, v64, v100
	v_add_f32_e32 v59, v59, v61
	v_add_f32_e32 v61, v62, v114
	;; [unrolled: 6-line block ×9, first 2 shown]
	v_mul_f32_e32 v61, v82, v96
	s_waitcnt vmcnt(4)
	v_fma_f32 v62, v79, v108, -v62
	v_mul_f32_e32 v124, v81, v96
	v_add_f32_e32 v59, v59, v63
	v_fmac_f32_e32 v123, v80, v108
	v_add_f32_e32 v60, v60, v122
	s_waitcnt lgkmcnt(0)
	v_mul_f32_e32 v63, v84, v97
	s_waitcnt vmcnt(3)
	v_fma_f32 v61, v81, v109, -v61
	v_add_f32_e32 v59, v59, v62
	v_mul_f32_e32 v125, v83, v97
	v_fmac_f32_e32 v124, v82, v109
	v_add_f32_e32 v60, v60, v123
	s_waitcnt vmcnt(2)
	v_fma_f32 v62, v83, v110, -v63
	v_add_f32_e32 v59, v59, v61
	v_fmac_f32_e32 v125, v84, v110
	v_add_f32_e32 v60, v60, v124
	v_add_f32_e32 v59, v59, v62
	;; [unrolled: 1-line block ×3, first 2 shown]
	s_waitcnt vmcnt(1)
	v_sub_f32_e32 v59, v111, v59
	s_waitcnt vmcnt(0)
	v_sub_f32_e32 v60, v112, v60
	buffer_store_dword v59, off, s[0:3], 0 offset:112
	buffer_store_dword v60, off, s[0:3], 0 offset:116
	v_cmpx_lt_u32_e32 13, v0
	s_cbranch_execz .LBB91_155
; %bb.154:
	s_clause 0x1
	buffer_load_dword v59, off, s[0:3], 0 offset:104
	buffer_load_dword v60, off, s[0:3], 0 offset:108
	buffer_store_dword v58, off, s[0:3], 0 offset:104
	buffer_store_dword v58, off, s[0:3], 0 offset:108
	s_waitcnt vmcnt(0)
	ds_write_b64 v57, v[59:60]
.LBB91_155:
	s_or_b32 exec_lo, exec_lo, s4
	s_waitcnt lgkmcnt(0)
	s_waitcnt_vscnt null, 0x0
	s_barrier
	buffer_gl0_inv
	s_clause 0x1d
	buffer_load_dword v87, off, s[0:3], 0 offset:116
	buffer_load_dword v88, off, s[0:3], 0 offset:124
	buffer_load_dword v89, off, s[0:3], 0 offset:132
	buffer_load_dword v90, off, s[0:3], 0 offset:140
	buffer_load_dword v91, off, s[0:3], 0 offset:148
	buffer_load_dword v92, off, s[0:3], 0 offset:156
	buffer_load_dword v93, off, s[0:3], 0 offset:164
	buffer_load_dword v94, off, s[0:3], 0 offset:172
	buffer_load_dword v95, off, s[0:3], 0 offset:180
	buffer_load_dword v96, off, s[0:3], 0 offset:188
	buffer_load_dword v97, off, s[0:3], 0 offset:196
	buffer_load_dword v98, off, s[0:3], 0 offset:204
	buffer_load_dword v99, off, s[0:3], 0 offset:212
	buffer_load_dword v100, off, s[0:3], 0 offset:220
	buffer_load_dword v101, off, s[0:3], 0 offset:112
	buffer_load_dword v102, off, s[0:3], 0 offset:120
	buffer_load_dword v103, off, s[0:3], 0 offset:128
	buffer_load_dword v104, off, s[0:3], 0 offset:136
	buffer_load_dword v105, off, s[0:3], 0 offset:144
	buffer_load_dword v106, off, s[0:3], 0 offset:152
	buffer_load_dword v107, off, s[0:3], 0 offset:160
	buffer_load_dword v108, off, s[0:3], 0 offset:168
	buffer_load_dword v109, off, s[0:3], 0 offset:176
	buffer_load_dword v110, off, s[0:3], 0 offset:184
	buffer_load_dword v111, off, s[0:3], 0 offset:192
	buffer_load_dword v112, off, s[0:3], 0 offset:200
	buffer_load_dword v113, off, s[0:3], 0 offset:208
	buffer_load_dword v114, off, s[0:3], 0 offset:216
	buffer_load_dword v115, off, s[0:3], 0 offset:104
	buffer_load_dword v116, off, s[0:3], 0 offset:108
	ds_read_b128 v[59:62], v58 offset:336
	ds_read_b128 v[63:66], v58 offset:352
	;; [unrolled: 1-line block ×7, first 2 shown]
	s_mov_b32 s4, exec_lo
	s_waitcnt vmcnt(29) lgkmcnt(6)
	v_mul_f32_e32 v58, v59, v87
	v_mul_f32_e32 v87, v60, v87
	s_waitcnt vmcnt(28)
	v_mul_f32_e32 v117, v61, v88
	v_mul_f32_e32 v88, v62, v88
	s_waitcnt vmcnt(27) lgkmcnt(5)
	v_mul_f32_e32 v118, v63, v89
	s_waitcnt vmcnt(26)
	v_mul_f32_e32 v119, v65, v90
	s_waitcnt vmcnt(25) lgkmcnt(4)
	v_mul_f32_e32 v120, v67, v91
	s_waitcnt vmcnt(24)
	v_mul_f32_e32 v121, v69, v92
	s_waitcnt vmcnt(23) lgkmcnt(3)
	v_mul_f32_e32 v122, v71, v93
	s_waitcnt vmcnt(22)
	v_mul_f32_e32 v123, v73, v94
	s_waitcnt vmcnt(21) lgkmcnt(2)
	v_mul_f32_e32 v124, v75, v95
	s_waitcnt vmcnt(20)
	v_mul_f32_e32 v125, v77, v96
	s_waitcnt vmcnt(19) lgkmcnt(1)
	v_mul_f32_e32 v126, v79, v97
	s_waitcnt vmcnt(18)
	v_mul_f32_e32 v127, v81, v98
	s_waitcnt vmcnt(15)
	v_fma_f32 v59, v59, v101, -v87
	v_fmac_f32_e32 v58, v60, v101
	v_mul_f32_e32 v60, v64, v89
	s_waitcnt vmcnt(14)
	v_fma_f32 v61, v61, v102, -v88
	v_fmac_f32_e32 v117, v62, v102
	v_add_f32_e32 v59, 0, v59
	v_add_f32_e32 v58, 0, v58
	v_mul_f32_e32 v62, v66, v90
	s_waitcnt vmcnt(13)
	v_fma_f32 v60, v63, v103, -v60
	v_fmac_f32_e32 v118, v64, v103
	v_add_f32_e32 v59, v59, v61
	v_add_f32_e32 v58, v58, v117
	;; [unrolled: 6-line block ×10, first 2 shown]
	s_waitcnt lgkmcnt(0)
	v_mul_f32_e32 v62, v84, v99
	s_waitcnt vmcnt(4)
	v_fma_f32 v60, v81, v112, -v60
	v_mul_f32_e32 v128, v83, v99
	v_add_f32_e32 v59, v59, v61
	v_fmac_f32_e32 v127, v82, v112
	v_add_f32_e32 v58, v58, v126
	v_mul_f32_e32 v61, v86, v100
	s_waitcnt vmcnt(3)
	v_fma_f32 v62, v83, v113, -v62
	v_add_f32_e32 v59, v59, v60
	v_mul_f32_e32 v129, v85, v100
	v_fmac_f32_e32 v128, v84, v113
	v_add_f32_e32 v58, v58, v127
	s_waitcnt vmcnt(2)
	v_fma_f32 v60, v85, v114, -v61
	v_add_f32_e32 v59, v59, v62
	v_fmac_f32_e32 v129, v86, v114
	v_add_f32_e32 v58, v58, v128
	v_add_f32_e32 v59, v59, v60
	;; [unrolled: 1-line block ×3, first 2 shown]
	s_waitcnt vmcnt(1)
	v_sub_f32_e32 v59, v115, v59
	s_waitcnt vmcnt(0)
	v_sub_f32_e32 v58, v116, v58
	buffer_store_dword v59, off, s[0:3], 0 offset:104
	buffer_store_dword v58, off, s[0:3], 0 offset:108
	v_cmpx_lt_u32_e32 12, v0
	s_cbranch_execz .LBB91_157
; %bb.156:
	s_clause 0x1
	buffer_load_dword v58, off, s[0:3], 0 offset:96
	buffer_load_dword v59, off, s[0:3], 0 offset:100
	v_mov_b32_e32 v60, 0
	buffer_store_dword v60, off, s[0:3], 0 offset:96
	buffer_store_dword v60, off, s[0:3], 0 offset:100
	s_waitcnt vmcnt(0)
	ds_write_b64 v57, v[58:59]
.LBB91_157:
	s_or_b32 exec_lo, exec_lo, s4
	s_waitcnt lgkmcnt(0)
	s_waitcnt_vscnt null, 0x0
	s_barrier
	buffer_gl0_inv
	s_clause 0x1f
	buffer_load_dword v89, off, s[0:3], 0 offset:108
	buffer_load_dword v90, off, s[0:3], 0 offset:116
	buffer_load_dword v91, off, s[0:3], 0 offset:124
	buffer_load_dword v92, off, s[0:3], 0 offset:132
	buffer_load_dword v93, off, s[0:3], 0 offset:140
	buffer_load_dword v94, off, s[0:3], 0 offset:148
	buffer_load_dword v95, off, s[0:3], 0 offset:156
	buffer_load_dword v96, off, s[0:3], 0 offset:164
	buffer_load_dword v97, off, s[0:3], 0 offset:172
	buffer_load_dword v98, off, s[0:3], 0 offset:180
	buffer_load_dword v99, off, s[0:3], 0 offset:188
	buffer_load_dword v100, off, s[0:3], 0 offset:196
	buffer_load_dword v101, off, s[0:3], 0 offset:204
	buffer_load_dword v102, off, s[0:3], 0 offset:212
	buffer_load_dword v103, off, s[0:3], 0 offset:220
	buffer_load_dword v104, off, s[0:3], 0 offset:104
	buffer_load_dword v105, off, s[0:3], 0 offset:112
	buffer_load_dword v106, off, s[0:3], 0 offset:120
	buffer_load_dword v107, off, s[0:3], 0 offset:128
	buffer_load_dword v108, off, s[0:3], 0 offset:136
	buffer_load_dword v109, off, s[0:3], 0 offset:144
	buffer_load_dword v110, off, s[0:3], 0 offset:152
	buffer_load_dword v111, off, s[0:3], 0 offset:160
	buffer_load_dword v112, off, s[0:3], 0 offset:168
	buffer_load_dword v113, off, s[0:3], 0 offset:176
	buffer_load_dword v114, off, s[0:3], 0 offset:184
	buffer_load_dword v115, off, s[0:3], 0 offset:192
	buffer_load_dword v116, off, s[0:3], 0 offset:200
	buffer_load_dword v117, off, s[0:3], 0 offset:208
	buffer_load_dword v118, off, s[0:3], 0 offset:216
	buffer_load_dword v119, off, s[0:3], 0 offset:96
	buffer_load_dword v120, off, s[0:3], 0 offset:100
	v_mov_b32_e32 v58, 0
	ds_read2_b64 v[59:62], v58 offset0:41 offset1:42
	ds_read2_b64 v[63:66], v58 offset0:43 offset1:44
	;; [unrolled: 1-line block ×7, first 2 shown]
	ds_read_b64 v[87:88], v58 offset:440
	s_mov_b32 s4, exec_lo
	s_waitcnt vmcnt(31) lgkmcnt(7)
	v_mul_f32_e32 v121, v59, v89
	v_mul_f32_e32 v89, v60, v89
	s_waitcnt vmcnt(30)
	v_mul_f32_e32 v122, v61, v90
	v_mul_f32_e32 v90, v62, v90
	s_waitcnt vmcnt(29) lgkmcnt(6)
	v_mul_f32_e32 v123, v63, v91
	s_waitcnt vmcnt(28)
	v_mul_f32_e32 v124, v65, v92
	s_waitcnt vmcnt(27) lgkmcnt(5)
	v_mul_f32_e32 v125, v67, v93
	s_waitcnt vmcnt(26)
	;; [unrolled: 4-line block ×6, first 2 shown]
	v_fma_f32 v59, v59, v104, -v89
	v_fmac_f32_e32 v121, v60, v104
	v_mul_f32_e32 v60, v64, v91
	s_waitcnt vmcnt(15)
	v_fma_f32 v61, v61, v105, -v90
	v_fmac_f32_e32 v122, v62, v105
	v_add_f32_e32 v59, 0, v59
	v_add_f32_e32 v62, 0, v121
	v_mul_f32_e32 v89, v66, v92
	s_waitcnt vmcnt(14)
	v_fma_f32 v60, v63, v106, -v60
	v_fmac_f32_e32 v123, v64, v106
	v_add_f32_e32 v59, v59, v61
	v_add_f32_e32 v61, v62, v122
	;; [unrolled: 6-line block ×11, first 2 shown]
	v_mul_f32_e32 v62, v86, v102
	s_waitcnt vmcnt(4)
	v_fma_f32 v63, v83, v116, -v63
	v_mul_f32_e32 v134, v85, v102
	v_add_f32_e32 v59, v59, v61
	v_fmac_f32_e32 v133, v84, v116
	v_add_f32_e32 v60, v60, v132
	s_waitcnt lgkmcnt(0)
	v_mul_f32_e32 v61, v88, v103
	s_waitcnt vmcnt(3)
	v_fma_f32 v62, v85, v117, -v62
	v_add_f32_e32 v59, v59, v63
	v_mul_f32_e32 v135, v87, v103
	v_fmac_f32_e32 v134, v86, v117
	v_add_f32_e32 v60, v60, v133
	s_waitcnt vmcnt(2)
	v_fma_f32 v61, v87, v118, -v61
	v_add_f32_e32 v59, v59, v62
	v_fmac_f32_e32 v135, v88, v118
	v_add_f32_e32 v60, v60, v134
	v_add_f32_e32 v59, v59, v61
	;; [unrolled: 1-line block ×3, first 2 shown]
	s_waitcnt vmcnt(1)
	v_sub_f32_e32 v59, v119, v59
	s_waitcnt vmcnt(0)
	v_sub_f32_e32 v60, v120, v60
	buffer_store_dword v59, off, s[0:3], 0 offset:96
	buffer_store_dword v60, off, s[0:3], 0 offset:100
	v_cmpx_lt_u32_e32 11, v0
	s_cbranch_execz .LBB91_159
; %bb.158:
	s_clause 0x1
	buffer_load_dword v59, off, s[0:3], 0 offset:88
	buffer_load_dword v60, off, s[0:3], 0 offset:92
	buffer_store_dword v58, off, s[0:3], 0 offset:88
	buffer_store_dword v58, off, s[0:3], 0 offset:92
	s_waitcnt vmcnt(0)
	ds_write_b64 v57, v[59:60]
.LBB91_159:
	s_or_b32 exec_lo, exec_lo, s4
	s_waitcnt lgkmcnt(0)
	s_waitcnt_vscnt null, 0x0
	s_barrier
	buffer_gl0_inv
	s_clause 0x21
	buffer_load_dword v91, off, s[0:3], 0 offset:100
	buffer_load_dword v92, off, s[0:3], 0 offset:108
	;; [unrolled: 1-line block ×34, first 2 shown]
	ds_read_b128 v[59:62], v58 offset:320
	ds_read_b128 v[63:66], v58 offset:336
	;; [unrolled: 1-line block ×8, first 2 shown]
	s_mov_b32 s4, exec_lo
	s_waitcnt vmcnt(33) lgkmcnt(7)
	v_mul_f32_e32 v58, v59, v91
	v_mul_f32_e32 v91, v60, v91
	s_waitcnt vmcnt(32)
	v_mul_f32_e32 v125, v61, v92
	v_mul_f32_e32 v92, v62, v92
	s_waitcnt vmcnt(31) lgkmcnt(6)
	v_mul_f32_e32 v126, v63, v93
	s_waitcnt vmcnt(30)
	v_mul_f32_e32 v127, v65, v94
	s_waitcnt vmcnt(29) lgkmcnt(5)
	v_mul_f32_e32 v128, v67, v95
	s_waitcnt vmcnt(28)
	v_mul_f32_e32 v129, v69, v96
	s_waitcnt vmcnt(27) lgkmcnt(4)
	v_mul_f32_e32 v130, v71, v97
	s_waitcnt vmcnt(26)
	v_mul_f32_e32 v131, v73, v98
	s_waitcnt vmcnt(25) lgkmcnt(3)
	v_mul_f32_e32 v132, v75, v99
	s_waitcnt vmcnt(24)
	v_mul_f32_e32 v133, v77, v100
	s_waitcnt vmcnt(23) lgkmcnt(2)
	v_mul_f32_e32 v134, v79, v101
	s_waitcnt vmcnt(22)
	v_mul_f32_e32 v135, v81, v102
	s_waitcnt vmcnt(21) lgkmcnt(1)
	v_mul_f32_e32 v136, v83, v103
	s_waitcnt vmcnt(20)
	v_mul_f32_e32 v137, v85, v104
	s_waitcnt vmcnt(17)
	v_fma_f32 v59, v59, v107, -v91
	v_fmac_f32_e32 v58, v60, v107
	v_mul_f32_e32 v60, v64, v93
	s_waitcnt vmcnt(16)
	v_fma_f32 v61, v61, v108, -v92
	v_fmac_f32_e32 v125, v62, v108
	v_add_f32_e32 v59, 0, v59
	v_add_f32_e32 v58, 0, v58
	v_mul_f32_e32 v62, v66, v94
	s_waitcnt vmcnt(15)
	v_fma_f32 v60, v63, v109, -v60
	v_fmac_f32_e32 v126, v64, v109
	v_add_f32_e32 v59, v59, v61
	v_add_f32_e32 v58, v58, v125
	;; [unrolled: 6-line block ×12, first 2 shown]
	s_waitcnt lgkmcnt(0)
	v_mul_f32_e32 v60, v88, v105
	s_waitcnt vmcnt(4)
	v_fma_f32 v61, v85, v120, -v61
	v_mul_f32_e32 v138, v87, v105
	v_add_f32_e32 v59, v59, v62
	v_fmac_f32_e32 v137, v86, v120
	v_add_f32_e32 v58, v58, v136
	v_mul_f32_e32 v62, v90, v106
	s_waitcnt vmcnt(3)
	v_fma_f32 v60, v87, v121, -v60
	v_add_f32_e32 v59, v59, v61
	v_mul_f32_e32 v139, v89, v106
	v_fmac_f32_e32 v138, v88, v121
	v_add_f32_e32 v58, v58, v137
	s_waitcnt vmcnt(2)
	v_fma_f32 v61, v89, v122, -v62
	v_add_f32_e32 v59, v59, v60
	v_fmac_f32_e32 v139, v90, v122
	v_add_f32_e32 v58, v58, v138
	v_add_f32_e32 v59, v59, v61
	;; [unrolled: 1-line block ×3, first 2 shown]
	s_waitcnt vmcnt(1)
	v_sub_f32_e32 v59, v123, v59
	s_waitcnt vmcnt(0)
	v_sub_f32_e32 v58, v124, v58
	buffer_store_dword v59, off, s[0:3], 0 offset:88
	buffer_store_dword v58, off, s[0:3], 0 offset:92
	v_cmpx_lt_u32_e32 10, v0
	s_cbranch_execz .LBB91_161
; %bb.160:
	s_clause 0x1
	buffer_load_dword v58, off, s[0:3], 0 offset:80
	buffer_load_dword v59, off, s[0:3], 0 offset:84
	v_mov_b32_e32 v60, 0
	buffer_store_dword v60, off, s[0:3], 0 offset:80
	buffer_store_dword v60, off, s[0:3], 0 offset:84
	s_waitcnt vmcnt(0)
	ds_write_b64 v57, v[58:59]
.LBB91_161:
	s_or_b32 exec_lo, exec_lo, s4
	s_waitcnt lgkmcnt(0)
	s_waitcnt_vscnt null, 0x0
	s_barrier
	buffer_gl0_inv
	s_clause 0x23
	buffer_load_dword v93, off, s[0:3], 0 offset:92
	buffer_load_dword v94, off, s[0:3], 0 offset:100
	;; [unrolled: 1-line block ×36, first 2 shown]
	v_mov_b32_e32 v58, 0
	ds_read2_b64 v[59:62], v58 offset0:39 offset1:40
	ds_read2_b64 v[63:66], v58 offset0:41 offset1:42
	;; [unrolled: 1-line block ×8, first 2 shown]
	ds_read_b64 v[91:92], v58 offset:440
	s_mov_b32 s4, exec_lo
	s_waitcnt vmcnt(35) lgkmcnt(8)
	v_mul_f32_e32 v129, v59, v93
	v_mul_f32_e32 v93, v60, v93
	s_waitcnt vmcnt(34)
	v_mul_f32_e32 v130, v61, v94
	v_mul_f32_e32 v94, v62, v94
	s_waitcnt vmcnt(33) lgkmcnt(7)
	v_mul_f32_e32 v131, v63, v95
	s_waitcnt vmcnt(32)
	v_mul_f32_e32 v132, v65, v96
	s_waitcnt vmcnt(31) lgkmcnt(6)
	v_mul_f32_e32 v133, v67, v97
	s_waitcnt vmcnt(30)
	;; [unrolled: 4-line block ×7, first 2 shown]
	v_fma_f32 v59, v59, v110, -v93
	v_fmac_f32_e32 v129, v60, v110
	v_mul_f32_e32 v60, v64, v95
	s_waitcnt vmcnt(17)
	v_fma_f32 v61, v61, v111, -v94
	v_fmac_f32_e32 v130, v62, v111
	v_add_f32_e32 v59, 0, v59
	v_add_f32_e32 v62, 0, v129
	v_mul_f32_e32 v93, v66, v96
	s_waitcnt vmcnt(16)
	v_fma_f32 v60, v63, v112, -v60
	v_fmac_f32_e32 v131, v64, v112
	v_add_f32_e32 v59, v59, v61
	v_add_f32_e32 v61, v62, v130
	;; [unrolled: 6-line block ×13, first 2 shown]
	v_mul_f32_e32 v63, v90, v108
	s_waitcnt vmcnt(4)
	v_fma_f32 v61, v87, v124, -v61
	v_mul_f32_e32 v144, v89, v108
	v_add_f32_e32 v59, v59, v62
	v_fmac_f32_e32 v143, v88, v124
	v_add_f32_e32 v60, v60, v142
	s_waitcnt lgkmcnt(0)
	v_mul_f32_e32 v62, v92, v109
	s_waitcnt vmcnt(3)
	v_fma_f32 v63, v89, v125, -v63
	v_add_f32_e32 v59, v59, v61
	v_mul_f32_e32 v145, v91, v109
	v_fmac_f32_e32 v144, v90, v125
	v_add_f32_e32 v60, v60, v143
	s_waitcnt vmcnt(2)
	v_fma_f32 v61, v91, v126, -v62
	v_add_f32_e32 v59, v59, v63
	v_fmac_f32_e32 v145, v92, v126
	v_add_f32_e32 v60, v60, v144
	v_add_f32_e32 v59, v59, v61
	;; [unrolled: 1-line block ×3, first 2 shown]
	s_waitcnt vmcnt(1)
	v_sub_f32_e32 v59, v127, v59
	s_waitcnt vmcnt(0)
	v_sub_f32_e32 v60, v128, v60
	buffer_store_dword v59, off, s[0:3], 0 offset:80
	buffer_store_dword v60, off, s[0:3], 0 offset:84
	v_cmpx_lt_u32_e32 9, v0
	s_cbranch_execz .LBB91_163
; %bb.162:
	s_clause 0x1
	buffer_load_dword v59, off, s[0:3], 0 offset:72
	buffer_load_dword v60, off, s[0:3], 0 offset:76
	buffer_store_dword v58, off, s[0:3], 0 offset:72
	buffer_store_dword v58, off, s[0:3], 0 offset:76
	s_waitcnt vmcnt(0)
	ds_write_b64 v57, v[59:60]
.LBB91_163:
	s_or_b32 exec_lo, exec_lo, s4
	s_waitcnt lgkmcnt(0)
	s_waitcnt_vscnt null, 0x0
	s_barrier
	buffer_gl0_inv
	s_clause 0x25
	buffer_load_dword v95, off, s[0:3], 0 offset:84
	buffer_load_dword v96, off, s[0:3], 0 offset:92
	;; [unrolled: 1-line block ×38, first 2 shown]
	ds_read_b128 v[59:62], v58 offset:304
	ds_read_b128 v[63:66], v58 offset:320
	;; [unrolled: 1-line block ×9, first 2 shown]
	s_mov_b32 s4, exec_lo
	s_waitcnt vmcnt(37) lgkmcnt(8)
	v_mul_f32_e32 v58, v59, v95
	v_mul_f32_e32 v95, v60, v95
	s_waitcnt vmcnt(36)
	v_mul_f32_e32 v133, v61, v96
	v_mul_f32_e32 v96, v62, v96
	s_waitcnt vmcnt(35) lgkmcnt(7)
	v_mul_f32_e32 v134, v63, v97
	s_waitcnt vmcnt(34)
	v_mul_f32_e32 v135, v65, v98
	s_waitcnt vmcnt(33) lgkmcnt(6)
	v_mul_f32_e32 v136, v67, v99
	s_waitcnt vmcnt(32)
	;; [unrolled: 4-line block ×7, first 2 shown]
	v_mul_f32_e32 v147, v89, v110
	s_waitcnt vmcnt(19)
	v_fma_f32 v59, v59, v113, -v95
	v_fmac_f32_e32 v58, v60, v113
	v_mul_f32_e32 v60, v64, v97
	s_waitcnt vmcnt(18)
	v_fma_f32 v61, v61, v114, -v96
	v_fmac_f32_e32 v133, v62, v114
	v_add_f32_e32 v59, 0, v59
	v_add_f32_e32 v58, 0, v58
	v_mul_f32_e32 v62, v66, v98
	s_waitcnt vmcnt(17)
	v_fma_f32 v60, v63, v115, -v60
	v_fmac_f32_e32 v134, v64, v115
	v_add_f32_e32 v59, v59, v61
	v_add_f32_e32 v58, v58, v133
	;; [unrolled: 6-line block ×14, first 2 shown]
	s_waitcnt lgkmcnt(0)
	v_mul_f32_e32 v61, v92, v111
	s_waitcnt vmcnt(4)
	v_fma_f32 v62, v89, v128, -v62
	v_mul_f32_e32 v148, v91, v111
	v_add_f32_e32 v59, v59, v60
	v_fmac_f32_e32 v147, v90, v128
	v_add_f32_e32 v58, v58, v146
	v_mul_f32_e32 v60, v94, v112
	s_waitcnt vmcnt(3)
	v_fma_f32 v61, v91, v129, -v61
	v_add_f32_e32 v59, v59, v62
	v_mul_f32_e32 v149, v93, v112
	v_fmac_f32_e32 v148, v92, v129
	v_add_f32_e32 v58, v58, v147
	s_waitcnt vmcnt(2)
	v_fma_f32 v60, v93, v130, -v60
	v_add_f32_e32 v59, v59, v61
	v_fmac_f32_e32 v149, v94, v130
	v_add_f32_e32 v58, v58, v148
	v_add_f32_e32 v59, v59, v60
	v_add_f32_e32 v58, v58, v149
	s_waitcnt vmcnt(1)
	v_sub_f32_e32 v59, v131, v59
	s_waitcnt vmcnt(0)
	v_sub_f32_e32 v58, v132, v58
	buffer_store_dword v59, off, s[0:3], 0 offset:72
	buffer_store_dword v58, off, s[0:3], 0 offset:76
	v_cmpx_lt_u32_e32 8, v0
	s_cbranch_execz .LBB91_165
; %bb.164:
	s_clause 0x1
	buffer_load_dword v58, off, s[0:3], 0 offset:64
	buffer_load_dword v59, off, s[0:3], 0 offset:68
	v_mov_b32_e32 v60, 0
	buffer_store_dword v60, off, s[0:3], 0 offset:64
	buffer_store_dword v60, off, s[0:3], 0 offset:68
	s_waitcnt vmcnt(0)
	ds_write_b64 v57, v[58:59]
.LBB91_165:
	s_or_b32 exec_lo, exec_lo, s4
	s_waitcnt lgkmcnt(0)
	s_waitcnt_vscnt null, 0x0
	s_barrier
	buffer_gl0_inv
	s_clause 0x27
	buffer_load_dword v97, off, s[0:3], 0 offset:76
	buffer_load_dword v98, off, s[0:3], 0 offset:84
	;; [unrolled: 1-line block ×40, first 2 shown]
	v_mov_b32_e32 v58, 0
	ds_read2_b64 v[59:62], v58 offset0:37 offset1:38
	ds_read2_b64 v[63:66], v58 offset0:39 offset1:40
	;; [unrolled: 1-line block ×9, first 2 shown]
	ds_read_b64 v[95:96], v58 offset:440
	s_mov_b32 s4, exec_lo
	s_waitcnt vmcnt(39) lgkmcnt(9)
	v_mul_f32_e32 v137, v59, v97
	v_mul_f32_e32 v97, v60, v97
	s_waitcnt vmcnt(38)
	v_mul_f32_e32 v138, v61, v98
	v_mul_f32_e32 v98, v62, v98
	s_waitcnt vmcnt(37) lgkmcnt(8)
	v_mul_f32_e32 v139, v63, v99
	s_waitcnt vmcnt(36)
	v_mul_f32_e32 v140, v65, v100
	s_waitcnt vmcnt(35) lgkmcnt(7)
	v_mul_f32_e32 v141, v67, v101
	s_waitcnt vmcnt(34)
	;; [unrolled: 4-line block ×8, first 2 shown]
	v_fma_f32 v59, v59, v116, -v97
	v_fmac_f32_e32 v137, v60, v116
	v_mul_f32_e32 v60, v64, v99
	s_waitcnt vmcnt(19)
	v_fma_f32 v61, v61, v117, -v98
	v_fmac_f32_e32 v138, v62, v117
	v_add_f32_e32 v59, 0, v59
	v_add_f32_e32 v62, 0, v137
	v_mul_f32_e32 v97, v66, v100
	s_waitcnt vmcnt(18)
	v_fma_f32 v60, v63, v118, -v60
	v_fmac_f32_e32 v139, v64, v118
	v_add_f32_e32 v59, v59, v61
	v_add_f32_e32 v61, v62, v138
	;; [unrolled: 6-line block ×15, first 2 shown]
	v_mul_f32_e32 v61, v94, v114
	s_waitcnt vmcnt(4)
	v_fma_f32 v62, v91, v132, -v62
	v_mul_f32_e32 v154, v93, v114
	v_add_f32_e32 v59, v59, v63
	v_fmac_f32_e32 v153, v92, v132
	v_add_f32_e32 v60, v60, v152
	s_waitcnt lgkmcnt(0)
	v_mul_f32_e32 v63, v96, v115
	s_waitcnt vmcnt(3)
	v_fma_f32 v61, v93, v133, -v61
	v_add_f32_e32 v59, v59, v62
	v_mul_f32_e32 v155, v95, v115
	v_fmac_f32_e32 v154, v94, v133
	v_add_f32_e32 v60, v60, v153
	s_waitcnt vmcnt(2)
	v_fma_f32 v62, v95, v134, -v63
	v_add_f32_e32 v59, v59, v61
	v_fmac_f32_e32 v155, v96, v134
	v_add_f32_e32 v60, v60, v154
	v_add_f32_e32 v59, v59, v62
	;; [unrolled: 1-line block ×3, first 2 shown]
	s_waitcnt vmcnt(1)
	v_sub_f32_e32 v59, v135, v59
	s_waitcnt vmcnt(0)
	v_sub_f32_e32 v60, v136, v60
	buffer_store_dword v59, off, s[0:3], 0 offset:64
	buffer_store_dword v60, off, s[0:3], 0 offset:68
	v_cmpx_lt_u32_e32 7, v0
	s_cbranch_execz .LBB91_167
; %bb.166:
	s_clause 0x1
	buffer_load_dword v59, off, s[0:3], 0 offset:56
	buffer_load_dword v60, off, s[0:3], 0 offset:60
	buffer_store_dword v58, off, s[0:3], 0 offset:56
	buffer_store_dword v58, off, s[0:3], 0 offset:60
	s_waitcnt vmcnt(0)
	ds_write_b64 v57, v[59:60]
.LBB91_167:
	s_or_b32 exec_lo, exec_lo, s4
	s_waitcnt lgkmcnt(0)
	s_waitcnt_vscnt null, 0x0
	s_barrier
	buffer_gl0_inv
	s_clause 0x29
	buffer_load_dword v99, off, s[0:3], 0 offset:68
	buffer_load_dword v100, off, s[0:3], 0 offset:76
	;; [unrolled: 1-line block ×42, first 2 shown]
	ds_read_b128 v[59:62], v58 offset:288
	ds_read_b128 v[63:66], v58 offset:304
	;; [unrolled: 1-line block ×10, first 2 shown]
	s_mov_b32 s4, exec_lo
	s_waitcnt vmcnt(41) lgkmcnt(9)
	v_mul_f32_e32 v58, v59, v99
	v_mul_f32_e32 v99, v60, v99
	s_waitcnt vmcnt(40)
	v_mul_f32_e32 v141, v61, v100
	v_mul_f32_e32 v100, v62, v100
	s_waitcnt vmcnt(39) lgkmcnt(8)
	v_mul_f32_e32 v142, v63, v101
	s_waitcnt vmcnt(38)
	v_mul_f32_e32 v143, v65, v102
	s_waitcnt vmcnt(37) lgkmcnt(7)
	v_mul_f32_e32 v144, v67, v103
	s_waitcnt vmcnt(36)
	;; [unrolled: 4-line block ×8, first 2 shown]
	v_mul_f32_e32 v157, v93, v116
	s_waitcnt vmcnt(21)
	v_fma_f32 v59, v59, v119, -v99
	v_fmac_f32_e32 v58, v60, v119
	v_mul_f32_e32 v60, v64, v101
	s_waitcnt vmcnt(20)
	v_fma_f32 v61, v61, v120, -v100
	v_fmac_f32_e32 v141, v62, v120
	v_add_f32_e32 v59, 0, v59
	v_add_f32_e32 v58, 0, v58
	v_mul_f32_e32 v62, v66, v102
	s_waitcnt vmcnt(19)
	v_fma_f32 v60, v63, v121, -v60
	v_fmac_f32_e32 v142, v64, v121
	v_add_f32_e32 v59, v59, v61
	v_add_f32_e32 v58, v58, v141
	;; [unrolled: 6-line block ×16, first 2 shown]
	s_waitcnt lgkmcnt(0)
	v_mul_f32_e32 v62, v96, v117
	s_waitcnt vmcnt(4)
	v_fma_f32 v60, v93, v136, -v60
	v_mul_f32_e32 v158, v95, v117
	v_add_f32_e32 v59, v59, v61
	v_fmac_f32_e32 v157, v94, v136
	v_add_f32_e32 v58, v58, v156
	v_mul_f32_e32 v61, v98, v118
	s_waitcnt vmcnt(3)
	v_fma_f32 v62, v95, v137, -v62
	v_add_f32_e32 v59, v59, v60
	v_mul_f32_e32 v159, v97, v118
	v_fmac_f32_e32 v158, v96, v137
	v_add_f32_e32 v58, v58, v157
	s_waitcnt vmcnt(2)
	v_fma_f32 v60, v97, v138, -v61
	v_add_f32_e32 v59, v59, v62
	v_fmac_f32_e32 v159, v98, v138
	v_add_f32_e32 v58, v58, v158
	v_add_f32_e32 v59, v59, v60
	;; [unrolled: 1-line block ×3, first 2 shown]
	s_waitcnt vmcnt(1)
	v_sub_f32_e32 v59, v139, v59
	s_waitcnt vmcnt(0)
	v_sub_f32_e32 v58, v140, v58
	buffer_store_dword v59, off, s[0:3], 0 offset:56
	buffer_store_dword v58, off, s[0:3], 0 offset:60
	v_cmpx_lt_u32_e32 6, v0
	s_cbranch_execz .LBB91_169
; %bb.168:
	s_clause 0x1
	buffer_load_dword v58, off, s[0:3], 0 offset:48
	buffer_load_dword v59, off, s[0:3], 0 offset:52
	v_mov_b32_e32 v60, 0
	buffer_store_dword v60, off, s[0:3], 0 offset:48
	buffer_store_dword v60, off, s[0:3], 0 offset:52
	s_waitcnt vmcnt(0)
	ds_write_b64 v57, v[58:59]
.LBB91_169:
	s_or_b32 exec_lo, exec_lo, s4
	s_waitcnt lgkmcnt(0)
	s_waitcnt_vscnt null, 0x0
	s_barrier
	buffer_gl0_inv
	s_clause 0x2b
	buffer_load_dword v101, off, s[0:3], 0 offset:60
	buffer_load_dword v102, off, s[0:3], 0 offset:68
	;; [unrolled: 1-line block ×44, first 2 shown]
	v_mov_b32_e32 v58, 0
	ds_read2_b64 v[59:62], v58 offset0:35 offset1:36
	ds_read2_b64 v[63:66], v58 offset0:37 offset1:38
	;; [unrolled: 1-line block ×10, first 2 shown]
	ds_read_b64 v[99:100], v58 offset:440
	s_mov_b32 s4, exec_lo
	s_waitcnt vmcnt(43) lgkmcnt(10)
	v_mul_f32_e32 v145, v59, v101
	v_mul_f32_e32 v101, v60, v101
	s_waitcnt vmcnt(42)
	v_mul_f32_e32 v146, v61, v102
	v_mul_f32_e32 v102, v62, v102
	s_waitcnt vmcnt(41) lgkmcnt(9)
	v_mul_f32_e32 v147, v63, v103
	s_waitcnt vmcnt(40)
	v_mul_f32_e32 v148, v65, v104
	s_waitcnt vmcnt(39) lgkmcnt(8)
	v_mul_f32_e32 v149, v67, v105
	s_waitcnt vmcnt(38)
	;; [unrolled: 4-line block ×9, first 2 shown]
	v_fma_f32 v59, v59, v122, -v101
	v_fmac_f32_e32 v145, v60, v122
	v_mul_f32_e32 v60, v64, v103
	s_waitcnt vmcnt(21)
	v_fma_f32 v61, v61, v123, -v102
	v_fmac_f32_e32 v146, v62, v123
	v_add_f32_e32 v59, 0, v59
	v_add_f32_e32 v62, 0, v145
	v_mul_f32_e32 v101, v66, v104
	s_waitcnt vmcnt(20)
	v_fma_f32 v60, v63, v124, -v60
	v_fmac_f32_e32 v147, v64, v124
	v_add_f32_e32 v59, v59, v61
	v_add_f32_e32 v61, v62, v146
	;; [unrolled: 6-line block ×17, first 2 shown]
	v_mul_f32_e32 v62, v98, v120
	s_waitcnt vmcnt(4)
	v_fma_f32 v63, v95, v140, -v63
	v_mul_f32_e32 v164, v97, v120
	v_add_f32_e32 v59, v59, v61
	v_fmac_f32_e32 v163, v96, v140
	v_add_f32_e32 v60, v60, v162
	s_waitcnt lgkmcnt(0)
	v_mul_f32_e32 v61, v100, v121
	s_waitcnt vmcnt(3)
	v_fma_f32 v62, v97, v141, -v62
	v_add_f32_e32 v59, v59, v63
	v_mul_f32_e32 v165, v99, v121
	v_fmac_f32_e32 v164, v98, v141
	v_add_f32_e32 v60, v60, v163
	s_waitcnt vmcnt(2)
	v_fma_f32 v61, v99, v142, -v61
	v_add_f32_e32 v59, v59, v62
	v_fmac_f32_e32 v165, v100, v142
	v_add_f32_e32 v60, v60, v164
	v_add_f32_e32 v59, v59, v61
	;; [unrolled: 1-line block ×3, first 2 shown]
	s_waitcnt vmcnt(1)
	v_sub_f32_e32 v59, v143, v59
	s_waitcnt vmcnt(0)
	v_sub_f32_e32 v60, v144, v60
	buffer_store_dword v59, off, s[0:3], 0 offset:48
	buffer_store_dword v60, off, s[0:3], 0 offset:52
	v_cmpx_lt_u32_e32 5, v0
	s_cbranch_execz .LBB91_171
; %bb.170:
	s_clause 0x1
	buffer_load_dword v59, off, s[0:3], 0 offset:40
	buffer_load_dword v60, off, s[0:3], 0 offset:44
	buffer_store_dword v58, off, s[0:3], 0 offset:40
	buffer_store_dword v58, off, s[0:3], 0 offset:44
	s_waitcnt vmcnt(0)
	ds_write_b64 v57, v[59:60]
.LBB91_171:
	s_or_b32 exec_lo, exec_lo, s4
	s_waitcnt lgkmcnt(0)
	s_waitcnt_vscnt null, 0x0
	s_barrier
	buffer_gl0_inv
	s_clause 0x2d
	buffer_load_dword v103, off, s[0:3], 0 offset:52
	buffer_load_dword v104, off, s[0:3], 0 offset:60
	;; [unrolled: 1-line block ×46, first 2 shown]
	ds_read_b128 v[59:62], v58 offset:272
	ds_read_b128 v[63:66], v58 offset:288
	;; [unrolled: 1-line block ×11, first 2 shown]
	s_mov_b32 s4, exec_lo
	s_waitcnt vmcnt(45) lgkmcnt(10)
	v_mul_f32_e32 v58, v59, v103
	v_mul_f32_e32 v103, v60, v103
	s_waitcnt vmcnt(44)
	v_mul_f32_e32 v149, v61, v104
	v_mul_f32_e32 v104, v62, v104
	s_waitcnt vmcnt(43) lgkmcnt(9)
	v_mul_f32_e32 v150, v63, v105
	s_waitcnt vmcnt(42)
	v_mul_f32_e32 v151, v65, v106
	s_waitcnt vmcnt(41) lgkmcnt(8)
	v_mul_f32_e32 v152, v67, v107
	s_waitcnt vmcnt(40)
	;; [unrolled: 4-line block ×9, first 2 shown]
	v_mul_f32_e32 v167, v97, v122
	s_waitcnt vmcnt(23)
	v_fma_f32 v59, v59, v125, -v103
	v_fmac_f32_e32 v58, v60, v125
	v_mul_f32_e32 v60, v64, v105
	s_waitcnt vmcnt(22)
	v_fma_f32 v61, v61, v126, -v104
	v_fmac_f32_e32 v149, v62, v126
	v_add_f32_e32 v59, 0, v59
	v_add_f32_e32 v58, 0, v58
	v_mul_f32_e32 v62, v66, v106
	s_waitcnt vmcnt(21)
	v_fma_f32 v60, v63, v127, -v60
	v_fmac_f32_e32 v150, v64, v127
	v_add_f32_e32 v59, v59, v61
	v_add_f32_e32 v58, v58, v149
	;; [unrolled: 6-line block ×18, first 2 shown]
	s_waitcnt lgkmcnt(0)
	v_mul_f32_e32 v60, v100, v123
	s_waitcnt vmcnt(4)
	v_fma_f32 v61, v97, v144, -v61
	v_mul_f32_e32 v168, v99, v123
	v_add_f32_e32 v59, v59, v62
	v_fmac_f32_e32 v167, v98, v144
	v_add_f32_e32 v58, v58, v166
	v_mul_f32_e32 v62, v102, v124
	s_waitcnt vmcnt(3)
	v_fma_f32 v60, v99, v145, -v60
	v_add_f32_e32 v59, v59, v61
	v_mul_f32_e32 v169, v101, v124
	v_fmac_f32_e32 v168, v100, v145
	v_add_f32_e32 v58, v58, v167
	s_waitcnt vmcnt(2)
	v_fma_f32 v61, v101, v146, -v62
	v_add_f32_e32 v59, v59, v60
	v_fmac_f32_e32 v169, v102, v146
	v_add_f32_e32 v58, v58, v168
	v_add_f32_e32 v59, v59, v61
	v_add_f32_e32 v58, v58, v169
	s_waitcnt vmcnt(1)
	v_sub_f32_e32 v59, v147, v59
	s_waitcnt vmcnt(0)
	v_sub_f32_e32 v58, v148, v58
	buffer_store_dword v59, off, s[0:3], 0 offset:40
	buffer_store_dword v58, off, s[0:3], 0 offset:44
	v_cmpx_lt_u32_e32 4, v0
	s_cbranch_execz .LBB91_173
; %bb.172:
	s_clause 0x1
	buffer_load_dword v58, off, s[0:3], 0 offset:32
	buffer_load_dword v59, off, s[0:3], 0 offset:36
	v_mov_b32_e32 v60, 0
	buffer_store_dword v60, off, s[0:3], 0 offset:32
	buffer_store_dword v60, off, s[0:3], 0 offset:36
	s_waitcnt vmcnt(0)
	ds_write_b64 v57, v[58:59]
.LBB91_173:
	s_or_b32 exec_lo, exec_lo, s4
	s_waitcnt lgkmcnt(0)
	s_waitcnt_vscnt null, 0x0
	s_barrier
	buffer_gl0_inv
	s_clause 0x2f
	buffer_load_dword v105, off, s[0:3], 0 offset:44
	buffer_load_dword v106, off, s[0:3], 0 offset:52
	;; [unrolled: 1-line block ×48, first 2 shown]
	v_mov_b32_e32 v58, 0
	ds_read2_b64 v[59:62], v58 offset0:33 offset1:34
	ds_read2_b64 v[63:66], v58 offset0:35 offset1:36
	;; [unrolled: 1-line block ×11, first 2 shown]
	ds_read_b64 v[103:104], v58 offset:440
	s_mov_b32 s4, exec_lo
	s_waitcnt vmcnt(47) lgkmcnt(11)
	v_mul_f32_e32 v153, v59, v105
	v_mul_f32_e32 v105, v60, v105
	s_waitcnt vmcnt(46)
	v_mul_f32_e32 v154, v61, v106
	v_mul_f32_e32 v106, v62, v106
	s_waitcnt vmcnt(45) lgkmcnt(10)
	v_mul_f32_e32 v155, v63, v107
	s_waitcnt vmcnt(44)
	v_mul_f32_e32 v156, v65, v108
	s_waitcnt vmcnt(43) lgkmcnt(9)
	v_mul_f32_e32 v157, v67, v109
	s_waitcnt vmcnt(42)
	;; [unrolled: 4-line block ×10, first 2 shown]
	v_fma_f32 v59, v59, v128, -v105
	v_fmac_f32_e32 v153, v60, v128
	v_mul_f32_e32 v60, v64, v107
	s_waitcnt vmcnt(23)
	v_fma_f32 v61, v61, v129, -v106
	v_fmac_f32_e32 v154, v62, v129
	v_add_f32_e32 v59, 0, v59
	v_add_f32_e32 v62, 0, v153
	v_mul_f32_e32 v105, v66, v108
	s_waitcnt vmcnt(22)
	v_fma_f32 v60, v63, v130, -v60
	v_fmac_f32_e32 v155, v64, v130
	v_add_f32_e32 v59, v59, v61
	v_add_f32_e32 v61, v62, v154
	;; [unrolled: 6-line block ×19, first 2 shown]
	v_mul_f32_e32 v63, v102, v126
	s_waitcnt vmcnt(4)
	v_fma_f32 v61, v99, v148, -v61
	v_mul_f32_e32 v174, v101, v126
	v_add_f32_e32 v59, v59, v62
	v_fmac_f32_e32 v173, v100, v148
	v_add_f32_e32 v60, v60, v172
	s_waitcnt lgkmcnt(0)
	v_mul_f32_e32 v62, v104, v127
	s_waitcnt vmcnt(3)
	v_fma_f32 v63, v101, v149, -v63
	v_add_f32_e32 v59, v59, v61
	v_mul_f32_e32 v175, v103, v127
	v_fmac_f32_e32 v174, v102, v149
	v_add_f32_e32 v60, v60, v173
	s_waitcnt vmcnt(2)
	v_fma_f32 v61, v103, v150, -v62
	v_add_f32_e32 v59, v59, v63
	v_fmac_f32_e32 v175, v104, v150
	v_add_f32_e32 v60, v60, v174
	v_add_f32_e32 v59, v59, v61
	;; [unrolled: 1-line block ×3, first 2 shown]
	s_waitcnt vmcnt(1)
	v_sub_f32_e32 v59, v151, v59
	s_waitcnt vmcnt(0)
	v_sub_f32_e32 v60, v152, v60
	buffer_store_dword v59, off, s[0:3], 0 offset:32
	buffer_store_dword v60, off, s[0:3], 0 offset:36
	v_cmpx_lt_u32_e32 3, v0
	s_cbranch_execz .LBB91_175
; %bb.174:
	s_clause 0x1
	buffer_load_dword v59, off, s[0:3], 0 offset:24
	buffer_load_dword v60, off, s[0:3], 0 offset:28
	buffer_store_dword v58, off, s[0:3], 0 offset:24
	buffer_store_dword v58, off, s[0:3], 0 offset:28
	s_waitcnt vmcnt(0)
	ds_write_b64 v57, v[59:60]
.LBB91_175:
	s_or_b32 exec_lo, exec_lo, s4
	s_waitcnt lgkmcnt(0)
	s_waitcnt_vscnt null, 0x0
	s_barrier
	buffer_gl0_inv
	s_clause 0x31
	buffer_load_dword v107, off, s[0:3], 0 offset:36
	buffer_load_dword v108, off, s[0:3], 0 offset:44
	;; [unrolled: 1-line block ×50, first 2 shown]
	ds_read_b128 v[59:62], v58 offset:256
	ds_read_b128 v[63:66], v58 offset:272
	;; [unrolled: 1-line block ×12, first 2 shown]
	s_mov_b32 s4, exec_lo
	s_waitcnt vmcnt(49) lgkmcnt(11)
	v_mul_f32_e32 v58, v59, v107
	v_mul_f32_e32 v107, v60, v107
	s_waitcnt vmcnt(48)
	v_mul_f32_e32 v157, v61, v108
	v_mul_f32_e32 v108, v62, v108
	s_waitcnt vmcnt(47) lgkmcnt(10)
	v_mul_f32_e32 v158, v63, v109
	s_waitcnt vmcnt(46)
	v_mul_f32_e32 v159, v65, v110
	s_waitcnt vmcnt(45) lgkmcnt(9)
	v_mul_f32_e32 v160, v67, v111
	s_waitcnt vmcnt(44)
	;; [unrolled: 4-line block ×10, first 2 shown]
	v_mul_f32_e32 v177, v101, v128
	s_waitcnt vmcnt(25)
	v_fma_f32 v59, v59, v131, -v107
	v_fmac_f32_e32 v58, v60, v131
	v_mul_f32_e32 v60, v64, v109
	s_waitcnt vmcnt(24)
	v_fma_f32 v61, v61, v132, -v108
	v_fmac_f32_e32 v157, v62, v132
	v_add_f32_e32 v59, 0, v59
	v_add_f32_e32 v58, 0, v58
	v_mul_f32_e32 v62, v66, v110
	s_waitcnt vmcnt(23)
	v_fma_f32 v60, v63, v133, -v60
	v_fmac_f32_e32 v158, v64, v133
	v_add_f32_e32 v59, v59, v61
	v_add_f32_e32 v58, v58, v157
	;; [unrolled: 6-line block ×20, first 2 shown]
	s_waitcnt lgkmcnt(0)
	v_mul_f32_e32 v61, v104, v129
	s_waitcnt vmcnt(4)
	v_fma_f32 v62, v101, v152, -v62
	v_mul_f32_e32 v178, v103, v129
	v_add_f32_e32 v59, v59, v60
	v_fmac_f32_e32 v177, v102, v152
	v_add_f32_e32 v58, v58, v176
	v_mul_f32_e32 v60, v106, v130
	s_waitcnt vmcnt(3)
	v_fma_f32 v61, v103, v153, -v61
	v_add_f32_e32 v59, v59, v62
	v_mul_f32_e32 v179, v105, v130
	v_fmac_f32_e32 v178, v104, v153
	v_add_f32_e32 v58, v58, v177
	s_waitcnt vmcnt(2)
	v_fma_f32 v60, v105, v154, -v60
	v_add_f32_e32 v59, v59, v61
	v_fmac_f32_e32 v179, v106, v154
	v_add_f32_e32 v58, v58, v178
	v_add_f32_e32 v59, v59, v60
	;; [unrolled: 1-line block ×3, first 2 shown]
	s_waitcnt vmcnt(1)
	v_sub_f32_e32 v59, v155, v59
	s_waitcnt vmcnt(0)
	v_sub_f32_e32 v58, v156, v58
	buffer_store_dword v59, off, s[0:3], 0 offset:24
	buffer_store_dword v58, off, s[0:3], 0 offset:28
	v_cmpx_lt_u32_e32 2, v0
	s_cbranch_execz .LBB91_177
; %bb.176:
	s_clause 0x1
	buffer_load_dword v58, off, s[0:3], 0 offset:16
	buffer_load_dword v59, off, s[0:3], 0 offset:20
	v_mov_b32_e32 v60, 0
	buffer_store_dword v60, off, s[0:3], 0 offset:16
	buffer_store_dword v60, off, s[0:3], 0 offset:20
	s_waitcnt vmcnt(0)
	ds_write_b64 v57, v[58:59]
.LBB91_177:
	s_or_b32 exec_lo, exec_lo, s4
	s_waitcnt lgkmcnt(0)
	s_waitcnt_vscnt null, 0x0
	s_barrier
	buffer_gl0_inv
	s_clause 0x33
	buffer_load_dword v109, off, s[0:3], 0 offset:28
	buffer_load_dword v110, off, s[0:3], 0 offset:36
	;; [unrolled: 1-line block ×52, first 2 shown]
	v_mov_b32_e32 v58, 0
	ds_read2_b64 v[59:62], v58 offset0:31 offset1:32
	ds_read2_b64 v[63:66], v58 offset0:33 offset1:34
	;; [unrolled: 1-line block ×12, first 2 shown]
	ds_read_b64 v[107:108], v58 offset:440
	s_mov_b32 s4, exec_lo
	s_waitcnt vmcnt(51) lgkmcnt(12)
	v_mul_f32_e32 v161, v59, v109
	v_mul_f32_e32 v109, v60, v109
	s_waitcnt vmcnt(50)
	v_mul_f32_e32 v162, v61, v110
	v_mul_f32_e32 v110, v62, v110
	s_waitcnt vmcnt(49) lgkmcnt(11)
	v_mul_f32_e32 v163, v63, v111
	s_waitcnt vmcnt(48)
	v_mul_f32_e32 v164, v65, v112
	s_waitcnt vmcnt(47) lgkmcnt(10)
	v_mul_f32_e32 v165, v67, v113
	s_waitcnt vmcnt(46)
	v_mul_f32_e32 v166, v69, v114
	s_waitcnt vmcnt(45) lgkmcnt(9)
	v_mul_f32_e32 v167, v71, v115
	s_waitcnt vmcnt(44)
	v_mul_f32_e32 v168, v73, v116
	s_waitcnt vmcnt(43) lgkmcnt(8)
	v_mul_f32_e32 v169, v75, v117
	s_waitcnt vmcnt(42)
	v_mul_f32_e32 v170, v77, v118
	s_waitcnt vmcnt(41) lgkmcnt(7)
	v_mul_f32_e32 v171, v79, v119
	s_waitcnt vmcnt(40)
	v_mul_f32_e32 v172, v81, v120
	s_waitcnt vmcnt(39) lgkmcnt(6)
	v_mul_f32_e32 v173, v83, v121
	s_waitcnt vmcnt(38)
	v_mul_f32_e32 v174, v85, v122
	s_waitcnt vmcnt(37) lgkmcnt(5)
	v_mul_f32_e32 v175, v87, v123
	s_waitcnt vmcnt(36)
	v_mul_f32_e32 v176, v89, v124
	s_waitcnt vmcnt(35) lgkmcnt(4)
	v_mul_f32_e32 v177, v91, v125
	s_waitcnt vmcnt(34)
	v_mul_f32_e32 v178, v93, v126
	s_waitcnt vmcnt(33) lgkmcnt(3)
	v_mul_f32_e32 v179, v95, v127
	s_waitcnt vmcnt(32)
	v_mul_f32_e32 v180, v97, v128
	s_waitcnt vmcnt(31) lgkmcnt(2)
	v_mul_f32_e32 v181, v99, v129
	s_waitcnt vmcnt(30)
	v_mul_f32_e32 v182, v101, v130
	s_waitcnt vmcnt(29) lgkmcnt(1)
	v_mul_f32_e32 v183, v103, v131
	s_waitcnt vmcnt(26)
	v_fma_f32 v59, v59, v134, -v109
	v_fmac_f32_e32 v161, v60, v134
	v_mul_f32_e32 v60, v64, v111
	s_waitcnt vmcnt(25)
	v_fma_f32 v61, v61, v135, -v110
	v_fmac_f32_e32 v162, v62, v135
	v_add_f32_e32 v59, 0, v59
	v_add_f32_e32 v62, 0, v161
	v_mul_f32_e32 v109, v66, v112
	s_waitcnt vmcnt(24)
	v_fma_f32 v60, v63, v136, -v60
	v_fmac_f32_e32 v163, v64, v136
	v_add_f32_e32 v59, v59, v61
	v_add_f32_e32 v61, v62, v162
	;; [unrolled: 6-line block ×21, first 2 shown]
	v_mul_f32_e32 v61, v106, v132
	s_waitcnt vmcnt(4)
	v_fma_f32 v62, v103, v156, -v62
	v_mul_f32_e32 v184, v105, v132
	v_add_f32_e32 v59, v59, v63
	v_fmac_f32_e32 v183, v104, v156
	v_add_f32_e32 v60, v60, v182
	s_waitcnt lgkmcnt(0)
	v_mul_f32_e32 v63, v108, v133
	s_waitcnt vmcnt(3)
	v_fma_f32 v61, v105, v157, -v61
	v_add_f32_e32 v59, v59, v62
	v_mul_f32_e32 v185, v107, v133
	v_fmac_f32_e32 v184, v106, v157
	v_add_f32_e32 v60, v60, v183
	s_waitcnt vmcnt(2)
	v_fma_f32 v62, v107, v158, -v63
	v_add_f32_e32 v59, v59, v61
	v_fmac_f32_e32 v185, v108, v158
	v_add_f32_e32 v60, v60, v184
	v_add_f32_e32 v59, v59, v62
	;; [unrolled: 1-line block ×3, first 2 shown]
	s_waitcnt vmcnt(1)
	v_sub_f32_e32 v59, v159, v59
	s_waitcnt vmcnt(0)
	v_sub_f32_e32 v60, v160, v60
	buffer_store_dword v59, off, s[0:3], 0 offset:16
	buffer_store_dword v60, off, s[0:3], 0 offset:20
	v_cmpx_lt_u32_e32 1, v0
	s_cbranch_execz .LBB91_179
; %bb.178:
	s_clause 0x1
	buffer_load_dword v59, off, s[0:3], 0 offset:8
	buffer_load_dword v60, off, s[0:3], 0 offset:12
	buffer_store_dword v58, off, s[0:3], 0 offset:8
	buffer_store_dword v58, off, s[0:3], 0 offset:12
	s_waitcnt vmcnt(0)
	ds_write_b64 v57, v[59:60]
.LBB91_179:
	s_or_b32 exec_lo, exec_lo, s4
	s_waitcnt lgkmcnt(0)
	s_waitcnt_vscnt null, 0x0
	s_barrier
	buffer_gl0_inv
	s_clause 0x35
	buffer_load_dword v111, off, s[0:3], 0 offset:20
	buffer_load_dword v112, off, s[0:3], 0 offset:28
	;; [unrolled: 1-line block ×54, first 2 shown]
	ds_read_b128 v[59:62], v58 offset:240
	ds_read_b128 v[63:66], v58 offset:256
	;; [unrolled: 1-line block ×13, first 2 shown]
	s_mov_b32 s4, exec_lo
	s_waitcnt vmcnt(53) lgkmcnt(12)
	v_mul_f32_e32 v58, v59, v111
	v_mul_f32_e32 v111, v60, v111
	s_waitcnt vmcnt(52)
	v_mul_f32_e32 v165, v61, v112
	v_mul_f32_e32 v112, v62, v112
	s_waitcnt vmcnt(51) lgkmcnt(11)
	v_mul_f32_e32 v166, v63, v113
	s_waitcnt vmcnt(50)
	v_mul_f32_e32 v167, v65, v114
	s_waitcnt vmcnt(49) lgkmcnt(10)
	v_mul_f32_e32 v168, v67, v115
	s_waitcnt vmcnt(48)
	;; [unrolled: 4-line block ×11, first 2 shown]
	v_mul_f32_e32 v187, v105, v134
	s_waitcnt vmcnt(27)
	v_fma_f32 v59, v59, v137, -v111
	v_fmac_f32_e32 v58, v60, v137
	v_mul_f32_e32 v60, v64, v113
	s_waitcnt vmcnt(26)
	v_fma_f32 v61, v61, v138, -v112
	v_fmac_f32_e32 v165, v62, v138
	v_add_f32_e32 v59, 0, v59
	v_add_f32_e32 v58, 0, v58
	v_mul_f32_e32 v62, v66, v114
	s_waitcnt vmcnt(25)
	v_fma_f32 v60, v63, v139, -v60
	v_fmac_f32_e32 v166, v64, v139
	v_add_f32_e32 v59, v59, v61
	v_add_f32_e32 v58, v58, v165
	;; [unrolled: 6-line block ×22, first 2 shown]
	s_waitcnt lgkmcnt(0)
	v_mul_f32_e32 v62, v108, v135
	s_waitcnt vmcnt(4)
	v_fma_f32 v60, v105, v160, -v60
	v_mul_f32_e32 v188, v107, v135
	v_add_f32_e32 v59, v59, v61
	v_fmac_f32_e32 v187, v106, v160
	v_add_f32_e32 v58, v58, v186
	v_mul_f32_e32 v61, v110, v136
	s_waitcnt vmcnt(3)
	v_fma_f32 v62, v107, v161, -v62
	v_add_f32_e32 v59, v59, v60
	v_mul_f32_e32 v189, v109, v136
	v_fmac_f32_e32 v188, v108, v161
	v_add_f32_e32 v58, v58, v187
	s_waitcnt vmcnt(2)
	v_fma_f32 v60, v109, v162, -v61
	v_add_f32_e32 v59, v59, v62
	v_fmac_f32_e32 v189, v110, v162
	v_add_f32_e32 v58, v58, v188
	v_add_f32_e32 v59, v59, v60
	;; [unrolled: 1-line block ×3, first 2 shown]
	s_waitcnt vmcnt(1)
	v_sub_f32_e32 v59, v163, v59
	s_waitcnt vmcnt(0)
	v_sub_f32_e32 v58, v164, v58
	buffer_store_dword v59, off, s[0:3], 0 offset:8
	buffer_store_dword v58, off, s[0:3], 0 offset:12
	v_cmpx_ne_u32_e32 0, v0
	s_cbranch_execz .LBB91_181
; %bb.180:
	s_clause 0x1
	buffer_load_dword v58, off, s[0:3], 0
	buffer_load_dword v59, off, s[0:3], 0 offset:4
	v_mov_b32_e32 v0, 0
	buffer_store_dword v0, off, s[0:3], 0
	buffer_store_dword v0, off, s[0:3], 0 offset:4
	s_waitcnt vmcnt(0)
	ds_write_b64 v57, v[58:59]
.LBB91_181:
	s_or_b32 exec_lo, exec_lo, s4
	s_waitcnt lgkmcnt(0)
	s_waitcnt_vscnt null, 0x0
	s_barrier
	buffer_gl0_inv
	s_clause 0x37
	buffer_load_dword v111, off, s[0:3], 0 offset:12
	buffer_load_dword v112, off, s[0:3], 0 offset:20
	;; [unrolled: 1-line block ×54, first 2 shown]
	buffer_load_dword v165, off, s[0:3], 0
	buffer_load_dword v166, off, s[0:3], 0 offset:4
	v_mov_b32_e32 v0, 0
	ds_read2_b64 v[57:60], v0 offset0:29 offset1:30
	ds_read2_b64 v[61:64], v0 offset0:31 offset1:32
	ds_read2_b64 v[65:68], v0 offset0:33 offset1:34
	ds_read2_b64 v[69:72], v0 offset0:35 offset1:36
	ds_read2_b64 v[73:76], v0 offset0:37 offset1:38
	ds_read2_b64 v[77:80], v0 offset0:39 offset1:40
	ds_read2_b64 v[81:84], v0 offset0:41 offset1:42
	ds_read2_b64 v[85:88], v0 offset0:43 offset1:44
	ds_read2_b64 v[89:92], v0 offset0:45 offset1:46
	ds_read2_b64 v[93:96], v0 offset0:47 offset1:48
	ds_read2_b64 v[97:100], v0 offset0:49 offset1:50
	ds_read2_b64 v[101:104], v0 offset0:51 offset1:52
	ds_read2_b64 v[105:108], v0 offset0:53 offset1:54
	ds_read_b64 v[109:110], v0 offset:440
	s_and_b32 vcc_lo, exec_lo, s16
	s_waitcnt vmcnt(55) lgkmcnt(13)
	v_mul_f32_e32 v167, v57, v111
	v_mul_f32_e32 v111, v58, v111
	s_waitcnt vmcnt(54)
	v_mul_f32_e32 v168, v59, v112
	v_mul_f32_e32 v112, v60, v112
	s_waitcnt vmcnt(53) lgkmcnt(12)
	v_mul_f32_e32 v169, v61, v113
	s_waitcnt vmcnt(52)
	v_mul_f32_e32 v170, v63, v114
	s_waitcnt vmcnt(51) lgkmcnt(11)
	v_mul_f32_e32 v171, v65, v115
	s_waitcnt vmcnt(50)
	;; [unrolled: 4-line block ×12, first 2 shown]
	v_fma_f32 v57, v57, v138, -v111
	v_fmac_f32_e32 v167, v58, v138
	v_mul_f32_e32 v58, v62, v113
	s_waitcnt vmcnt(27)
	v_fma_f32 v59, v59, v139, -v112
	v_fmac_f32_e32 v168, v60, v139
	v_add_f32_e32 v57, 0, v57
	v_add_f32_e32 v60, 0, v167
	v_mul_f32_e32 v111, v64, v114
	s_waitcnt vmcnt(26)
	v_fma_f32 v58, v61, v140, -v58
	v_fmac_f32_e32 v169, v62, v140
	v_add_f32_e32 v57, v57, v59
	v_add_f32_e32 v59, v60, v168
	;; [unrolled: 6-line block ×23, first 2 shown]
	v_mul_f32_e32 v60, v108, v136
	s_waitcnt vmcnt(4)
	v_fma_f32 v61, v105, v162, -v61
	v_mul_f32_e32 v192, v107, v136
	v_add_f32_e32 v57, v57, v59
	v_fmac_f32_e32 v191, v106, v162
	v_add_f32_e32 v58, v58, v190
	s_waitcnt lgkmcnt(0)
	v_mul_f32_e32 v59, v110, v137
	s_waitcnt vmcnt(3)
	v_fma_f32 v60, v107, v163, -v60
	v_add_f32_e32 v57, v57, v61
	v_mul_f32_e32 v193, v109, v137
	v_fmac_f32_e32 v192, v108, v163
	v_add_f32_e32 v58, v58, v191
	s_waitcnt vmcnt(2)
	v_fma_f32 v59, v109, v164, -v59
	v_add_f32_e32 v57, v57, v60
	v_fmac_f32_e32 v193, v110, v164
	v_add_f32_e32 v58, v58, v192
	v_add_f32_e32 v57, v57, v59
	;; [unrolled: 1-line block ×3, first 2 shown]
	s_waitcnt vmcnt(1)
	v_sub_f32_e32 v57, v165, v57
	s_waitcnt vmcnt(0)
	v_sub_f32_e32 v58, v166, v58
	buffer_store_dword v57, off, s[0:3], 0
	buffer_store_dword v58, off, s[0:3], 0 offset:4
	s_cbranch_vccz .LBB91_236
; %bb.182:
	global_load_dword v0, v0, s[12:13] offset:104
	s_waitcnt vmcnt(0)
	v_add_nc_u32_e32 v0, -1, v0
	v_cmp_ne_u32_e32 vcc_lo, 26, v0
	s_cbranch_vccz .LBB91_184
; %bb.183:
	v_lshlrev_b32_e32 v0, 3, v0
	s_clause 0x3
	buffer_load_dword v57, v0, s[0:3], 0 offen
	buffer_load_dword v58, v0, s[0:3], 0 offen offset:4
	buffer_load_dword v59, off, s[0:3], 0 offset:212
	buffer_load_dword v60, off, s[0:3], 0 offset:208
	s_waitcnt vmcnt(3)
	buffer_store_dword v57, off, s[0:3], 0 offset:208
	s_waitcnt vmcnt(2)
	buffer_store_dword v58, off, s[0:3], 0 offset:212
	s_waitcnt vmcnt(1)
	buffer_store_dword v59, v0, s[0:3], 0 offen offset:4
	s_waitcnt vmcnt(0)
	buffer_store_dword v60, v0, s[0:3], 0 offen
.LBB91_184:
	v_mov_b32_e32 v0, 0
	global_load_dword v57, v0, s[12:13] offset:100
	s_waitcnt vmcnt(0)
	v_add_nc_u32_e32 v57, -1, v57
	v_cmp_eq_u32_e32 vcc_lo, 25, v57
	s_cbranch_vccnz .LBB91_186
; %bb.185:
	v_lshlrev_b32_e32 v57, 3, v57
	s_clause 0x3
	buffer_load_dword v58, v57, s[0:3], 0 offen
	buffer_load_dword v59, v57, s[0:3], 0 offen offset:4
	buffer_load_dword v60, off, s[0:3], 0 offset:200
	buffer_load_dword v61, off, s[0:3], 0 offset:204
	s_waitcnt vmcnt(3)
	buffer_store_dword v58, off, s[0:3], 0 offset:200
	s_waitcnt vmcnt(2)
	buffer_store_dword v59, off, s[0:3], 0 offset:204
	s_waitcnt vmcnt(1)
	buffer_store_dword v60, v57, s[0:3], 0 offen
	s_waitcnt vmcnt(0)
	buffer_store_dword v61, v57, s[0:3], 0 offen offset:4
.LBB91_186:
	global_load_dword v0, v0, s[12:13] offset:96
	s_waitcnt vmcnt(0)
	v_add_nc_u32_e32 v0, -1, v0
	v_cmp_eq_u32_e32 vcc_lo, 24, v0
	s_cbranch_vccnz .LBB91_188
; %bb.187:
	v_lshlrev_b32_e32 v0, 3, v0
	s_clause 0x3
	buffer_load_dword v57, v0, s[0:3], 0 offen
	buffer_load_dword v58, v0, s[0:3], 0 offen offset:4
	buffer_load_dword v59, off, s[0:3], 0 offset:196
	buffer_load_dword v60, off, s[0:3], 0 offset:192
	s_waitcnt vmcnt(3)
	buffer_store_dword v57, off, s[0:3], 0 offset:192
	s_waitcnt vmcnt(2)
	buffer_store_dword v58, off, s[0:3], 0 offset:196
	s_waitcnt vmcnt(1)
	buffer_store_dword v59, v0, s[0:3], 0 offen offset:4
	s_waitcnt vmcnt(0)
	buffer_store_dword v60, v0, s[0:3], 0 offen
.LBB91_188:
	v_mov_b32_e32 v0, 0
	global_load_dword v57, v0, s[12:13] offset:92
	s_waitcnt vmcnt(0)
	v_add_nc_u32_e32 v57, -1, v57
	v_cmp_eq_u32_e32 vcc_lo, 23, v57
	s_cbranch_vccnz .LBB91_190
; %bb.189:
	v_lshlrev_b32_e32 v57, 3, v57
	s_clause 0x3
	buffer_load_dword v58, v57, s[0:3], 0 offen
	buffer_load_dword v59, v57, s[0:3], 0 offen offset:4
	buffer_load_dword v60, off, s[0:3], 0 offset:184
	buffer_load_dword v61, off, s[0:3], 0 offset:188
	s_waitcnt vmcnt(3)
	buffer_store_dword v58, off, s[0:3], 0 offset:184
	s_waitcnt vmcnt(2)
	buffer_store_dword v59, off, s[0:3], 0 offset:188
	s_waitcnt vmcnt(1)
	buffer_store_dword v60, v57, s[0:3], 0 offen
	s_waitcnt vmcnt(0)
	buffer_store_dword v61, v57, s[0:3], 0 offen offset:4
.LBB91_190:
	global_load_dword v0, v0, s[12:13] offset:88
	s_waitcnt vmcnt(0)
	v_add_nc_u32_e32 v0, -1, v0
	v_cmp_eq_u32_e32 vcc_lo, 22, v0
	s_cbranch_vccnz .LBB91_192
; %bb.191:
	v_lshlrev_b32_e32 v0, 3, v0
	s_clause 0x3
	buffer_load_dword v57, v0, s[0:3], 0 offen
	buffer_load_dword v58, v0, s[0:3], 0 offen offset:4
	buffer_load_dword v59, off, s[0:3], 0 offset:180
	buffer_load_dword v60, off, s[0:3], 0 offset:176
	s_waitcnt vmcnt(3)
	buffer_store_dword v57, off, s[0:3], 0 offset:176
	s_waitcnt vmcnt(2)
	buffer_store_dword v58, off, s[0:3], 0 offset:180
	s_waitcnt vmcnt(1)
	buffer_store_dword v59, v0, s[0:3], 0 offen offset:4
	s_waitcnt vmcnt(0)
	buffer_store_dword v60, v0, s[0:3], 0 offen
.LBB91_192:
	;; [unrolled: 43-line block ×12, first 2 shown]
	v_mov_b32_e32 v0, 0
	global_load_dword v57, v0, s[12:13] offset:4
	s_waitcnt vmcnt(0)
	v_add_nc_u32_e32 v57, -1, v57
	v_cmp_eq_u32_e32 vcc_lo, 1, v57
	s_cbranch_vccnz .LBB91_234
; %bb.233:
	v_lshlrev_b32_e32 v57, 3, v57
	s_clause 0x3
	buffer_load_dword v58, v57, s[0:3], 0 offen
	buffer_load_dword v59, v57, s[0:3], 0 offen offset:4
	buffer_load_dword v60, off, s[0:3], 0 offset:8
	buffer_load_dword v61, off, s[0:3], 0 offset:12
	s_waitcnt vmcnt(3)
	buffer_store_dword v58, off, s[0:3], 0 offset:8
	s_waitcnt vmcnt(2)
	buffer_store_dword v59, off, s[0:3], 0 offset:12
	s_waitcnt vmcnt(1)
	buffer_store_dword v60, v57, s[0:3], 0 offen
	s_waitcnt vmcnt(0)
	buffer_store_dword v61, v57, s[0:3], 0 offen offset:4
.LBB91_234:
	global_load_dword v0, v0, s[12:13]
	s_waitcnt vmcnt(0)
	v_add_nc_u32_e32 v0, -1, v0
	v_cmp_eq_u32_e32 vcc_lo, 0, v0
	s_cbranch_vccnz .LBB91_236
; %bb.235:
	v_lshlrev_b32_e32 v0, 3, v0
	s_clause 0x3
	buffer_load_dword v57, v0, s[0:3], 0 offen
	buffer_load_dword v58, v0, s[0:3], 0 offen offset:4
	buffer_load_dword v59, off, s[0:3], 0 offset:4
	buffer_load_dword v60, off, s[0:3], 0
	s_waitcnt vmcnt(3)
	buffer_store_dword v57, off, s[0:3], 0
	s_waitcnt vmcnt(2)
	buffer_store_dword v58, off, s[0:3], 0 offset:4
	s_waitcnt vmcnt(1)
	buffer_store_dword v59, v0, s[0:3], 0 offen offset:4
	s_waitcnt vmcnt(0)
	buffer_store_dword v60, v0, s[0:3], 0 offen
.LBB91_236:
	s_clause 0x1
	buffer_load_dword v57, off, s[0:3], 0
	buffer_load_dword v58, off, s[0:3], 0 offset:4
	s_waitcnt vmcnt(0)
	flat_store_dwordx2 v[1:2], v[57:58]
	s_clause 0x1
	buffer_load_dword v0, off, s[0:3], 0 offset:8
	buffer_load_dword v1, off, s[0:3], 0 offset:12
	s_waitcnt vmcnt(0)
	flat_store_dwordx2 v[3:4], v[0:1]
	s_clause 0x1
	buffer_load_dword v0, off, s[0:3], 0 offset:16
	;; [unrolled: 5-line block ×27, first 2 shown]
	buffer_load_dword v1, off, s[0:3], 0 offset:220
	s_waitcnt vmcnt(0)
	flat_store_dwordx2 v[55:56], v[0:1]
	s_endpgm
	.section	.rodata,"a",@progbits
	.p2align	6, 0x0
	.amdhsa_kernel _ZN9rocsolver6v33100L18getri_kernel_smallILi28E19rocblas_complex_numIfEPKPS3_EEvT1_iilPiilS8_bb
		.amdhsa_group_segment_fixed_size 452
		.amdhsa_private_segment_fixed_size 240
		.amdhsa_kernarg_size 60
		.amdhsa_user_sgpr_count 6
		.amdhsa_user_sgpr_private_segment_buffer 1
		.amdhsa_user_sgpr_dispatch_ptr 0
		.amdhsa_user_sgpr_queue_ptr 0
		.amdhsa_user_sgpr_kernarg_segment_ptr 1
		.amdhsa_user_sgpr_dispatch_id 0
		.amdhsa_user_sgpr_flat_scratch_init 0
		.amdhsa_user_sgpr_private_segment_size 0
		.amdhsa_wavefront_size32 1
		.amdhsa_uses_dynamic_stack 0
		.amdhsa_system_sgpr_private_segment_wavefront_offset 1
		.amdhsa_system_sgpr_workgroup_id_x 1
		.amdhsa_system_sgpr_workgroup_id_y 0
		.amdhsa_system_sgpr_workgroup_id_z 0
		.amdhsa_system_sgpr_workgroup_info 0
		.amdhsa_system_vgpr_workitem_id 0
		.amdhsa_next_free_vgpr 194
		.amdhsa_next_free_sgpr 20
		.amdhsa_reserve_vcc 1
		.amdhsa_reserve_flat_scratch 0
		.amdhsa_float_round_mode_32 0
		.amdhsa_float_round_mode_16_64 0
		.amdhsa_float_denorm_mode_32 3
		.amdhsa_float_denorm_mode_16_64 3
		.amdhsa_dx10_clamp 1
		.amdhsa_ieee_mode 1
		.amdhsa_fp16_overflow 0
		.amdhsa_workgroup_processor_mode 1
		.amdhsa_memory_ordered 1
		.amdhsa_forward_progress 1
		.amdhsa_shared_vgpr_count 0
		.amdhsa_exception_fp_ieee_invalid_op 0
		.amdhsa_exception_fp_denorm_src 0
		.amdhsa_exception_fp_ieee_div_zero 0
		.amdhsa_exception_fp_ieee_overflow 0
		.amdhsa_exception_fp_ieee_underflow 0
		.amdhsa_exception_fp_ieee_inexact 0
		.amdhsa_exception_int_div_zero 0
	.end_amdhsa_kernel
	.section	.text._ZN9rocsolver6v33100L18getri_kernel_smallILi28E19rocblas_complex_numIfEPKPS3_EEvT1_iilPiilS8_bb,"axG",@progbits,_ZN9rocsolver6v33100L18getri_kernel_smallILi28E19rocblas_complex_numIfEPKPS3_EEvT1_iilPiilS8_bb,comdat
.Lfunc_end91:
	.size	_ZN9rocsolver6v33100L18getri_kernel_smallILi28E19rocblas_complex_numIfEPKPS3_EEvT1_iilPiilS8_bb, .Lfunc_end91-_ZN9rocsolver6v33100L18getri_kernel_smallILi28E19rocblas_complex_numIfEPKPS3_EEvT1_iilPiilS8_bb
                                        ; -- End function
	.set _ZN9rocsolver6v33100L18getri_kernel_smallILi28E19rocblas_complex_numIfEPKPS3_EEvT1_iilPiilS8_bb.num_vgpr, 194
	.set _ZN9rocsolver6v33100L18getri_kernel_smallILi28E19rocblas_complex_numIfEPKPS3_EEvT1_iilPiilS8_bb.num_agpr, 0
	.set _ZN9rocsolver6v33100L18getri_kernel_smallILi28E19rocblas_complex_numIfEPKPS3_EEvT1_iilPiilS8_bb.numbered_sgpr, 20
	.set _ZN9rocsolver6v33100L18getri_kernel_smallILi28E19rocblas_complex_numIfEPKPS3_EEvT1_iilPiilS8_bb.num_named_barrier, 0
	.set _ZN9rocsolver6v33100L18getri_kernel_smallILi28E19rocblas_complex_numIfEPKPS3_EEvT1_iilPiilS8_bb.private_seg_size, 240
	.set _ZN9rocsolver6v33100L18getri_kernel_smallILi28E19rocblas_complex_numIfEPKPS3_EEvT1_iilPiilS8_bb.uses_vcc, 1
	.set _ZN9rocsolver6v33100L18getri_kernel_smallILi28E19rocblas_complex_numIfEPKPS3_EEvT1_iilPiilS8_bb.uses_flat_scratch, 0
	.set _ZN9rocsolver6v33100L18getri_kernel_smallILi28E19rocblas_complex_numIfEPKPS3_EEvT1_iilPiilS8_bb.has_dyn_sized_stack, 0
	.set _ZN9rocsolver6v33100L18getri_kernel_smallILi28E19rocblas_complex_numIfEPKPS3_EEvT1_iilPiilS8_bb.has_recursion, 0
	.set _ZN9rocsolver6v33100L18getri_kernel_smallILi28E19rocblas_complex_numIfEPKPS3_EEvT1_iilPiilS8_bb.has_indirect_call, 0
	.section	.AMDGPU.csdata,"",@progbits
; Kernel info:
; codeLenInByte = 38472
; TotalNumSgprs: 22
; NumVgprs: 194
; ScratchSize: 240
; MemoryBound: 0
; FloatMode: 240
; IeeeMode: 1
; LDSByteSize: 452 bytes/workgroup (compile time only)
; SGPRBlocks: 0
; VGPRBlocks: 24
; NumSGPRsForWavesPerEU: 22
; NumVGPRsForWavesPerEU: 194
; Occupancy: 4
; WaveLimiterHint : 1
; COMPUTE_PGM_RSRC2:SCRATCH_EN: 1
; COMPUTE_PGM_RSRC2:USER_SGPR: 6
; COMPUTE_PGM_RSRC2:TRAP_HANDLER: 0
; COMPUTE_PGM_RSRC2:TGID_X_EN: 1
; COMPUTE_PGM_RSRC2:TGID_Y_EN: 0
; COMPUTE_PGM_RSRC2:TGID_Z_EN: 0
; COMPUTE_PGM_RSRC2:TIDIG_COMP_CNT: 0
	.section	.text._ZN9rocsolver6v33100L18getri_kernel_smallILi29E19rocblas_complex_numIfEPKPS3_EEvT1_iilPiilS8_bb,"axG",@progbits,_ZN9rocsolver6v33100L18getri_kernel_smallILi29E19rocblas_complex_numIfEPKPS3_EEvT1_iilPiilS8_bb,comdat
	.globl	_ZN9rocsolver6v33100L18getri_kernel_smallILi29E19rocblas_complex_numIfEPKPS3_EEvT1_iilPiilS8_bb ; -- Begin function _ZN9rocsolver6v33100L18getri_kernel_smallILi29E19rocblas_complex_numIfEPKPS3_EEvT1_iilPiilS8_bb
	.p2align	8
	.type	_ZN9rocsolver6v33100L18getri_kernel_smallILi29E19rocblas_complex_numIfEPKPS3_EEvT1_iilPiilS8_bb,@function
_ZN9rocsolver6v33100L18getri_kernel_smallILi29E19rocblas_complex_numIfEPKPS3_EEvT1_iilPiilS8_bb: ; @_ZN9rocsolver6v33100L18getri_kernel_smallILi29E19rocblas_complex_numIfEPKPS3_EEvT1_iilPiilS8_bb
; %bb.0:
	s_add_u32 s0, s0, s7
	s_addc_u32 s1, s1, 0
	s_mov_b32 s7, exec_lo
	v_cmpx_gt_u32_e32 29, v0
	s_cbranch_execz .LBB92_130
; %bb.1:
	s_clause 0x2
	s_load_dword s17, s[4:5], 0x38
	s_load_dwordx2 s[12:13], s[4:5], 0x0
	s_load_dwordx4 s[8:11], s[4:5], 0x28
	s_waitcnt lgkmcnt(0)
	s_bitcmp1_b32 s17, 8
	s_cselect_b32 s16, -1, 0
	s_ashr_i32 s7, s6, 31
	s_lshl_b64 s[14:15], s[6:7], 3
	s_add_u32 s12, s12, s14
	s_addc_u32 s13, s13, s15
	s_load_dwordx2 s[14:15], s[12:13], 0x0
	s_bfe_u32 s12, s17, 0x10008
	s_cmp_eq_u32 s12, 0
                                        ; implicit-def: $sgpr12_sgpr13
	s_cbranch_scc1 .LBB92_3
; %bb.2:
	s_clause 0x1
	s_load_dword s12, s[4:5], 0x20
	s_load_dwordx2 s[18:19], s[4:5], 0x18
	s_mul_i32 s13, s8, s7
	s_mul_hi_u32 s17, s8, s6
	s_mul_i32 s9, s9, s6
	s_add_i32 s13, s17, s13
	s_mul_i32 s8, s8, s6
	s_add_i32 s9, s13, s9
	s_lshl_b64 s[8:9], s[8:9], 2
	s_waitcnt lgkmcnt(0)
	s_ashr_i32 s13, s12, 31
	s_add_u32 s17, s18, s8
	s_addc_u32 s18, s19, s9
	s_lshl_b64 s[8:9], s[12:13], 2
	s_add_u32 s12, s17, s8
	s_addc_u32 s13, s18, s9
.LBB92_3:
	s_clause 0x1
	s_load_dwordx2 s[8:9], s[4:5], 0x8
	s_load_dword s4, s[4:5], 0x38
	v_lshlrev_b32_e32 v61, 3, v0
	s_waitcnt lgkmcnt(0)
	s_ashr_i32 s19, s8, 31
	s_mov_b32 s18, s8
	v_add3_u32 v9, s9, s9, v0
	s_lshl_b64 s[18:19], s[18:19], 3
	s_add_u32 s5, s14, s18
	s_addc_u32 s8, s15, s19
	v_add_co_u32 v1, s14, s5, v61
	v_add_co_ci_u32_e64 v2, null, s8, 0, s14
	s_mov_b32 s14, s9
	s_ashr_i32 s15, s9, 31
	v_ashrrev_i32_e32 v10, 31, v9
	flat_load_dwordx2 v[5:6], v[1:2]
	s_lshl_b64 s[14:15], s[14:15], 3
	v_add_nc_u32_e32 v12, s9, v9
	v_add_co_u32 v3, vcc_lo, v1, s14
	v_add_co_ci_u32_e64 v4, null, s15, v2, vcc_lo
	v_ashrrev_i32_e32 v13, 31, v12
	s_bitcmp0_b32 s4, 0
	s_waitcnt vmcnt(0) lgkmcnt(0)
	buffer_store_dword v6, off, s[0:3], 0 offset:4
	buffer_store_dword v5, off, s[0:3], 0
	flat_load_dwordx2 v[7:8], v[3:4]
	v_lshlrev_b64 v[5:6], 3, v[9:10]
	s_waitcnt vmcnt(0) lgkmcnt(0)
	buffer_store_dword v8, off, s[0:3], 0 offset:12
	buffer_store_dword v7, off, s[0:3], 0 offset:8
	v_add_co_u32 v5, vcc_lo, s5, v5
	v_add_co_ci_u32_e64 v6, null, s8, v6, vcc_lo
	v_lshlrev_b64 v[7:8], 3, v[12:13]
	flat_load_dwordx2 v[10:11], v[5:6]
	s_waitcnt vmcnt(0) lgkmcnt(0)
	buffer_store_dword v11, off, s[0:3], 0 offset:20
	buffer_store_dword v10, off, s[0:3], 0 offset:16
	v_add_co_u32 v7, vcc_lo, s5, v7
	v_add_co_ci_u32_e64 v8, null, s8, v8, vcc_lo
	v_add_nc_u32_e32 v11, s9, v12
	flat_load_dwordx2 v[13:14], v[7:8]
	s_waitcnt vmcnt(0) lgkmcnt(0)
	buffer_store_dword v14, off, s[0:3], 0 offset:28
	buffer_store_dword v13, off, s[0:3], 0 offset:24
	v_ashrrev_i32_e32 v12, 31, v11
	v_add_nc_u32_e32 v15, s9, v11
	v_lshlrev_b64 v[9:10], 3, v[11:12]
	v_ashrrev_i32_e32 v16, 31, v15
	v_add_nc_u32_e32 v18, s9, v15
	v_add_co_u32 v9, vcc_lo, s5, v9
	v_add_co_ci_u32_e64 v10, null, s8, v10, vcc_lo
	v_lshlrev_b64 v[11:12], 3, v[15:16]
	v_ashrrev_i32_e32 v19, 31, v18
	flat_load_dwordx2 v[13:14], v[9:10]
	s_waitcnt vmcnt(0) lgkmcnt(0)
	buffer_store_dword v14, off, s[0:3], 0 offset:36
	buffer_store_dword v13, off, s[0:3], 0 offset:32
	v_add_co_u32 v11, vcc_lo, s5, v11
	v_add_co_ci_u32_e64 v12, null, s8, v12, vcc_lo
	v_lshlrev_b64 v[13:14], 3, v[18:19]
	flat_load_dwordx2 v[16:17], v[11:12]
	s_waitcnt vmcnt(0) lgkmcnt(0)
	buffer_store_dword v17, off, s[0:3], 0 offset:44
	buffer_store_dword v16, off, s[0:3], 0 offset:40
	v_add_co_u32 v13, vcc_lo, s5, v13
	v_add_co_ci_u32_e64 v14, null, s8, v14, vcc_lo
	v_add_nc_u32_e32 v17, s9, v18
	flat_load_dwordx2 v[19:20], v[13:14]
	s_waitcnt vmcnt(0) lgkmcnt(0)
	buffer_store_dword v20, off, s[0:3], 0 offset:52
	buffer_store_dword v19, off, s[0:3], 0 offset:48
	v_ashrrev_i32_e32 v18, 31, v17
	v_add_nc_u32_e32 v21, s9, v17
	v_lshlrev_b64 v[15:16], 3, v[17:18]
	v_ashrrev_i32_e32 v22, 31, v21
	v_add_nc_u32_e32 v24, s9, v21
	v_add_co_u32 v15, vcc_lo, s5, v15
	v_add_co_ci_u32_e64 v16, null, s8, v16, vcc_lo
	v_lshlrev_b64 v[17:18], 3, v[21:22]
	v_ashrrev_i32_e32 v25, 31, v24
	flat_load_dwordx2 v[19:20], v[15:16]
	;; [unrolled: 27-line block ×7, first 2 shown]
	s_waitcnt vmcnt(0) lgkmcnt(0)
	buffer_store_dword v50, off, s[0:3], 0 offset:180
	buffer_store_dword v49, off, s[0:3], 0 offset:176
	v_add_co_u32 v47, vcc_lo, s5, v47
	v_add_co_ci_u32_e64 v48, null, s8, v48, vcc_lo
	v_lshlrev_b64 v[49:50], 3, v[54:55]
	flat_load_dwordx2 v[52:53], v[47:48]
	s_waitcnt vmcnt(0) lgkmcnt(0)
	buffer_store_dword v53, off, s[0:3], 0 offset:188
	buffer_store_dword v52, off, s[0:3], 0 offset:184
	v_add_co_u32 v49, vcc_lo, s5, v49
	v_add_co_ci_u32_e64 v50, null, s8, v50, vcc_lo
	v_add_nc_u32_e32 v53, s9, v54
	flat_load_dwordx2 v[55:56], v[49:50]
	s_waitcnt vmcnt(0) lgkmcnt(0)
	buffer_store_dword v56, off, s[0:3], 0 offset:196
	buffer_store_dword v55, off, s[0:3], 0 offset:192
	v_ashrrev_i32_e32 v54, 31, v53
	v_add_nc_u32_e32 v57, s9, v53
	v_lshlrev_b64 v[51:52], 3, v[53:54]
	v_ashrrev_i32_e32 v58, 31, v57
	v_add_nc_u32_e32 v62, s9, v57
	v_add_co_u32 v51, vcc_lo, s5, v51
	v_add_co_ci_u32_e64 v52, null, s8, v52, vcc_lo
	v_lshlrev_b64 v[53:54], 3, v[57:58]
	v_ashrrev_i32_e32 v63, 31, v62
	v_add_nc_u32_e32 v57, s9, v62
	flat_load_dwordx2 v[55:56], v[51:52]
	s_waitcnt vmcnt(0) lgkmcnt(0)
	buffer_store_dword v56, off, s[0:3], 0 offset:204
	buffer_store_dword v55, off, s[0:3], 0 offset:200
	v_add_co_u32 v53, vcc_lo, s5, v53
	v_add_co_ci_u32_e64 v54, null, s8, v54, vcc_lo
	v_lshlrev_b64 v[55:56], 3, v[62:63]
	flat_load_dwordx2 v[58:59], v[53:54]
	s_waitcnt vmcnt(0) lgkmcnt(0)
	buffer_store_dword v59, off, s[0:3], 0 offset:212
	buffer_store_dword v58, off, s[0:3], 0 offset:208
	v_add_co_u32 v55, vcc_lo, s5, v55
	v_add_co_ci_u32_e64 v56, null, s8, v56, vcc_lo
	v_ashrrev_i32_e32 v58, 31, v57
	flat_load_dwordx2 v[59:60], v[55:56]
	s_waitcnt vmcnt(0) lgkmcnt(0)
	buffer_store_dword v60, off, s[0:3], 0 offset:220
	buffer_store_dword v59, off, s[0:3], 0 offset:216
	v_lshlrev_b64 v[57:58], 3, v[57:58]
	v_add_co_u32 v57, vcc_lo, s5, v57
	v_add_co_ci_u32_e64 v58, null, s8, v58, vcc_lo
	s_mov_b32 s5, -1
	flat_load_dwordx2 v[59:60], v[57:58]
	s_waitcnt vmcnt(0) lgkmcnt(0)
	buffer_store_dword v60, off, s[0:3], 0 offset:228
	buffer_store_dword v59, off, s[0:3], 0 offset:224
	s_cbranch_scc1 .LBB92_128
; %bb.4:
	v_cmp_eq_u32_e64 s4, 0, v0
	s_and_saveexec_b32 s5, s4
; %bb.5:
	v_mov_b32_e32 v59, 0
	ds_write_b32 v59, v59 offset:232
; %bb.6:
	s_or_b32 exec_lo, exec_lo, s5
	v_lshl_add_u32 v63, v0, 3, 0
	s_waitcnt lgkmcnt(0)
	s_waitcnt_vscnt null, 0x0
	s_barrier
	buffer_gl0_inv
	s_clause 0x1
	buffer_load_dword v59, v63, s[0:3], 0 offen
	buffer_load_dword v60, v63, s[0:3], 0 offen offset:4
	s_waitcnt vmcnt(1)
	v_cmp_eq_f32_e32 vcc_lo, 0, v59
	s_waitcnt vmcnt(0)
	v_cmp_eq_f32_e64 s5, 0, v60
	s_and_b32 s5, vcc_lo, s5
	s_and_saveexec_b32 s8, s5
	s_cbranch_execz .LBB92_10
; %bb.7:
	v_mov_b32_e32 v59, 0
	s_mov_b32 s9, 0
	ds_read_b32 v60, v59 offset:232
	s_waitcnt lgkmcnt(0)
	v_readfirstlane_b32 s5, v60
	v_add_nc_u32_e32 v60, 1, v0
	s_cmp_eq_u32 s5, 0
	v_cmp_gt_i32_e32 vcc_lo, s5, v60
	s_cselect_b32 s14, -1, 0
	s_or_b32 s14, s14, vcc_lo
	s_and_b32 exec_lo, exec_lo, s14
	s_cbranch_execz .LBB92_10
; %bb.8:
	v_mov_b32_e32 v62, s5
.LBB92_9:                               ; =>This Inner Loop Header: Depth=1
	ds_cmpst_rtn_b32 v62, v59, v62, v60 offset:232
	s_waitcnt lgkmcnt(0)
	v_cmp_ne_u32_e32 vcc_lo, 0, v62
	v_cmp_le_i32_e64 s5, v62, v60
	s_and_b32 s5, vcc_lo, s5
	s_and_b32 s5, exec_lo, s5
	s_or_b32 s9, s5, s9
	s_andn2_b32 exec_lo, exec_lo, s9
	s_cbranch_execnz .LBB92_9
.LBB92_10:
	s_or_b32 exec_lo, exec_lo, s8
	v_mov_b32_e32 v59, 0
	s_barrier
	buffer_gl0_inv
	ds_read_b32 v60, v59 offset:232
	s_and_saveexec_b32 s5, s4
	s_cbranch_execz .LBB92_12
; %bb.11:
	s_lshl_b64 s[8:9], s[6:7], 2
	s_add_u32 s8, s10, s8
	s_addc_u32 s9, s11, s9
	s_waitcnt lgkmcnt(0)
	global_store_dword v59, v60, s[8:9]
.LBB92_12:
	s_or_b32 exec_lo, exec_lo, s5
	s_waitcnt lgkmcnt(0)
	v_cmp_ne_u32_e32 vcc_lo, 0, v60
	s_mov_b32 s5, 0
	s_cbranch_vccnz .LBB92_128
; %bb.13:
	s_clause 0x1
	buffer_load_dword v60, v63, s[0:3], 0 offen
	buffer_load_dword v62, v63, s[0:3], 0 offen offset:4
                                        ; implicit-def: $vgpr65
                                        ; implicit-def: $vgpr64
                                        ; implicit-def: $vgpr59
	s_waitcnt vmcnt(0)
	v_cmp_ngt_f32_e64 s5, |v60|, |v62|
	s_and_saveexec_b32 s8, s5
	s_xor_b32 s5, exec_lo, s8
	s_cbranch_execz .LBB92_15
; %bb.14:
	v_div_scale_f32 v59, null, v62, v62, v60
	v_div_scale_f32 v66, vcc_lo, v60, v62, v60
	v_rcp_f32_e32 v64, v59
	v_fma_f32 v65, -v59, v64, 1.0
	v_fmac_f32_e32 v64, v65, v64
	v_mul_f32_e32 v65, v66, v64
	v_fma_f32 v67, -v59, v65, v66
	v_fmac_f32_e32 v65, v67, v64
	v_fma_f32 v59, -v59, v65, v66
	v_div_fmas_f32 v59, v59, v64, v65
	v_div_fixup_f32 v59, v59, v62, v60
	v_fmac_f32_e32 v62, v60, v59
	v_div_scale_f32 v60, null, v62, v62, 1.0
	v_rcp_f32_e32 v64, v60
	v_fma_f32 v65, -v60, v64, 1.0
	v_fmac_f32_e32 v64, v65, v64
	v_div_scale_f32 v65, vcc_lo, 1.0, v62, 1.0
	v_mul_f32_e32 v66, v65, v64
	v_fma_f32 v67, -v60, v66, v65
	v_fmac_f32_e32 v66, v67, v64
	v_fma_f32 v60, -v60, v66, v65
	v_div_fmas_f32 v60, v60, v64, v66
	v_div_fixup_f32 v60, v60, v62, 1.0
                                        ; implicit-def: $vgpr62
	v_mul_f32_e32 v65, v59, v60
	v_xor_b32_e32 v64, 0x80000000, v60
                                        ; implicit-def: $vgpr60
	v_xor_b32_e32 v59, 0x80000000, v65
.LBB92_15:
	s_andn2_saveexec_b32 s5, s5
	s_cbranch_execz .LBB92_17
; %bb.16:
	v_div_scale_f32 v59, null, v60, v60, v62
	v_div_scale_f32 v66, vcc_lo, v62, v60, v62
	v_rcp_f32_e32 v64, v59
	v_fma_f32 v65, -v59, v64, 1.0
	v_fmac_f32_e32 v64, v65, v64
	v_mul_f32_e32 v65, v66, v64
	v_fma_f32 v67, -v59, v65, v66
	v_fmac_f32_e32 v65, v67, v64
	v_fma_f32 v59, -v59, v65, v66
	v_div_fmas_f32 v59, v59, v64, v65
	v_div_fixup_f32 v64, v59, v60, v62
	v_fmac_f32_e32 v60, v62, v64
	v_div_scale_f32 v59, null, v60, v60, 1.0
	v_div_scale_f32 v66, vcc_lo, 1.0, v60, 1.0
	v_rcp_f32_e32 v62, v59
	v_fma_f32 v65, -v59, v62, 1.0
	v_fmac_f32_e32 v62, v65, v62
	v_mul_f32_e32 v65, v66, v62
	v_fma_f32 v67, -v59, v65, v66
	v_fmac_f32_e32 v65, v67, v62
	v_fma_f32 v59, -v59, v65, v66
	v_div_fmas_f32 v59, v59, v62, v65
	v_div_fixup_f32 v65, v59, v60, 1.0
	v_xor_b32_e32 v59, 0x80000000, v65
	v_mul_f32_e64 v64, v64, -v65
.LBB92_17:
	s_or_b32 exec_lo, exec_lo, s5
	buffer_store_dword v65, v63, s[0:3], 0 offen
	buffer_store_dword v64, v63, s[0:3], 0 offen offset:4
	s_clause 0x1
	buffer_load_dword v66, off, s[0:3], 0 offset:12
	buffer_load_dword v65, off, s[0:3], 0 offset:8
	v_xor_b32_e32 v60, 0x80000000, v64
	v_add_nc_u32_e32 v62, 0xf0, v61
	s_waitcnt vmcnt(0)
	ds_write2_b64 v61, v[59:60], v[65:66] offset1:30
	s_waitcnt lgkmcnt(0)
	s_waitcnt_vscnt null, 0x0
	s_barrier
	buffer_gl0_inv
	s_and_saveexec_b32 s5, s4
	s_cbranch_execz .LBB92_19
; %bb.18:
	s_clause 0x1
	buffer_load_dword v66, v63, s[0:3], 0 offen offset:4
	buffer_load_dword v67, v63, s[0:3], 0 offen
	ds_read_b64 v[59:60], v62
	v_mov_b32_e32 v64, 0
	ds_read_b64 v[64:65], v64 offset:8
	s_waitcnt vmcnt(1) lgkmcnt(1)
	v_mul_f32_e32 v68, v59, v66
	v_mul_f32_e32 v66, v60, v66
	s_waitcnt vmcnt(0)
	v_fmac_f32_e32 v68, v60, v67
	v_fma_f32 v59, v59, v67, -v66
	v_add_f32_e32 v60, 0, v68
	v_add_f32_e32 v59, 0, v59
	s_waitcnt lgkmcnt(0)
	v_mul_f32_e32 v66, v60, v65
	v_mul_f32_e32 v65, v59, v65
	v_fma_f32 v59, v59, v64, -v66
	v_fmac_f32_e32 v65, v60, v64
	buffer_store_dword v59, off, s[0:3], 0 offset:8
	buffer_store_dword v65, off, s[0:3], 0 offset:12
.LBB92_19:
	s_or_b32 exec_lo, exec_lo, s5
	s_waitcnt_vscnt null, 0x0
	s_barrier
	buffer_gl0_inv
	s_clause 0x1
	buffer_load_dword v59, off, s[0:3], 0 offset:16
	buffer_load_dword v60, off, s[0:3], 0 offset:20
	s_mov_b32 s5, exec_lo
	s_waitcnt vmcnt(0)
	ds_write_b64 v62, v[59:60]
	s_waitcnt lgkmcnt(0)
	s_barrier
	buffer_gl0_inv
	v_cmpx_gt_u32_e32 2, v0
	s_cbranch_execz .LBB92_23
; %bb.20:
	s_clause 0x1
	buffer_load_dword v64, v63, s[0:3], 0 offen offset:4
	buffer_load_dword v63, v63, s[0:3], 0 offen
	ds_read_b64 v[59:60], v62
	s_waitcnt vmcnt(1) lgkmcnt(0)
	v_mul_f32_e32 v65, v60, v64
	v_mul_f32_e32 v64, v59, v64
	s_waitcnt vmcnt(0)
	v_fma_f32 v59, v59, v63, -v65
	v_fmac_f32_e32 v64, v60, v63
	v_add_f32_e32 v60, 0, v59
	v_add_f32_e32 v59, 0, v64
	s_and_saveexec_b32 s8, s4
	s_cbranch_execz .LBB92_22
; %bb.21:
	s_clause 0x1
	buffer_load_dword v65, off, s[0:3], 0 offset:12
	buffer_load_dword v66, off, s[0:3], 0 offset:8
	v_mov_b32_e32 v63, 0
	ds_read_b64 v[63:64], v63 offset:248
	s_waitcnt vmcnt(1) lgkmcnt(0)
	v_mul_f32_e32 v67, v63, v65
	v_mul_f32_e32 v65, v64, v65
	s_waitcnt vmcnt(0)
	v_fmac_f32_e32 v67, v64, v66
	v_fma_f32 v63, v63, v66, -v65
	v_add_f32_e32 v59, v59, v67
	v_add_f32_e32 v60, v60, v63
.LBB92_22:
	s_or_b32 exec_lo, exec_lo, s8
	v_mov_b32_e32 v63, 0
	ds_read_b64 v[63:64], v63 offset:16
	s_waitcnt lgkmcnt(0)
	v_mul_f32_e32 v65, v59, v64
	v_mul_f32_e32 v64, v60, v64
	v_fma_f32 v60, v60, v63, -v65
	v_fmac_f32_e32 v64, v59, v63
	buffer_store_dword v60, off, s[0:3], 0 offset:16
	buffer_store_dword v64, off, s[0:3], 0 offset:20
.LBB92_23:
	s_or_b32 exec_lo, exec_lo, s5
	s_waitcnt_vscnt null, 0x0
	s_barrier
	buffer_gl0_inv
	s_clause 0x1
	buffer_load_dword v63, off, s[0:3], 0 offset:24
	buffer_load_dword v64, off, s[0:3], 0 offset:28
	v_add_nc_u32_e32 v59, -1, v0
	s_mov_b32 s4, exec_lo
	s_waitcnt vmcnt(0)
	ds_write_b64 v62, v[63:64]
	s_waitcnt lgkmcnt(0)
	s_barrier
	buffer_gl0_inv
	v_cmpx_gt_u32_e32 3, v0
	s_cbranch_execz .LBB92_27
; %bb.24:
	v_add_nc_u32_e32 v63, -1, v0
	v_add_nc_u32_e32 v64, 0xf0, v61
	v_mov_b32_e32 v65, v61
	v_mov_b32_e32 v60, 0
	;; [unrolled: 1-line block ×3, first 2 shown]
	s_mov_b32 s5, 0
	.p2align	6
.LBB92_25:                              ; =>This Inner Loop Header: Depth=1
	s_clause 0x1
	buffer_load_dword v69, v65, s[0:3], 0 offen offset:4
	buffer_load_dword v70, v65, s[0:3], 0 offen
	ds_read_b64 v[67:68], v64
	v_add_nc_u32_e32 v63, 1, v63
	v_add_nc_u32_e32 v64, 8, v64
	;; [unrolled: 1-line block ×3, first 2 shown]
	v_cmp_lt_u32_e32 vcc_lo, 1, v63
	s_or_b32 s5, vcc_lo, s5
	s_waitcnt vmcnt(1) lgkmcnt(0)
	v_mul_f32_e32 v71, v68, v69
	v_mul_f32_e32 v69, v67, v69
	s_waitcnt vmcnt(0)
	v_fma_f32 v67, v67, v70, -v71
	v_fmac_f32_e32 v69, v68, v70
	v_add_f32_e32 v66, v66, v67
	v_add_f32_e32 v60, v60, v69
	s_andn2_b32 exec_lo, exec_lo, s5
	s_cbranch_execnz .LBB92_25
; %bb.26:
	s_or_b32 exec_lo, exec_lo, s5
	v_mov_b32_e32 v63, 0
	ds_read_b64 v[63:64], v63 offset:24
	s_waitcnt lgkmcnt(0)
	v_mul_f32_e32 v65, v60, v64
	v_mul_f32_e32 v64, v66, v64
	v_fma_f32 v65, v66, v63, -v65
	v_fmac_f32_e32 v64, v60, v63
	buffer_store_dword v65, off, s[0:3], 0 offset:24
	buffer_store_dword v64, off, s[0:3], 0 offset:28
.LBB92_27:
	s_or_b32 exec_lo, exec_lo, s4
	s_waitcnt_vscnt null, 0x0
	s_barrier
	buffer_gl0_inv
	s_clause 0x1
	buffer_load_dword v63, off, s[0:3], 0 offset:32
	buffer_load_dword v64, off, s[0:3], 0 offset:36
	s_mov_b32 s4, exec_lo
	s_waitcnt vmcnt(0)
	ds_write_b64 v62, v[63:64]
	s_waitcnt lgkmcnt(0)
	s_barrier
	buffer_gl0_inv
	v_cmpx_gt_u32_e32 4, v0
	s_cbranch_execz .LBB92_31
; %bb.28:
	v_add_nc_u32_e32 v63, -1, v0
	v_add_nc_u32_e32 v64, 0xf0, v61
	v_mov_b32_e32 v65, v61
	v_mov_b32_e32 v60, 0
	;; [unrolled: 1-line block ×3, first 2 shown]
	s_mov_b32 s5, 0
	.p2align	6
.LBB92_29:                              ; =>This Inner Loop Header: Depth=1
	s_clause 0x1
	buffer_load_dword v69, v65, s[0:3], 0 offen offset:4
	buffer_load_dword v70, v65, s[0:3], 0 offen
	ds_read_b64 v[67:68], v64
	v_add_nc_u32_e32 v63, 1, v63
	v_add_nc_u32_e32 v64, 8, v64
	;; [unrolled: 1-line block ×3, first 2 shown]
	v_cmp_lt_u32_e32 vcc_lo, 2, v63
	s_or_b32 s5, vcc_lo, s5
	s_waitcnt vmcnt(1) lgkmcnt(0)
	v_mul_f32_e32 v71, v68, v69
	v_mul_f32_e32 v69, v67, v69
	s_waitcnt vmcnt(0)
	v_fma_f32 v67, v67, v70, -v71
	v_fmac_f32_e32 v69, v68, v70
	v_add_f32_e32 v66, v66, v67
	v_add_f32_e32 v60, v60, v69
	s_andn2_b32 exec_lo, exec_lo, s5
	s_cbranch_execnz .LBB92_29
; %bb.30:
	s_or_b32 exec_lo, exec_lo, s5
	v_mov_b32_e32 v63, 0
	ds_read_b64 v[63:64], v63 offset:32
	s_waitcnt lgkmcnt(0)
	v_mul_f32_e32 v65, v60, v64
	v_mul_f32_e32 v64, v66, v64
	v_fma_f32 v65, v66, v63, -v65
	v_fmac_f32_e32 v64, v60, v63
	buffer_store_dword v65, off, s[0:3], 0 offset:32
	buffer_store_dword v64, off, s[0:3], 0 offset:36
.LBB92_31:
	s_or_b32 exec_lo, exec_lo, s4
	s_waitcnt_vscnt null, 0x0
	s_barrier
	buffer_gl0_inv
	s_clause 0x1
	buffer_load_dword v63, off, s[0:3], 0 offset:40
	buffer_load_dword v64, off, s[0:3], 0 offset:44
	s_mov_b32 s4, exec_lo
	s_waitcnt vmcnt(0)
	ds_write_b64 v62, v[63:64]
	s_waitcnt lgkmcnt(0)
	s_barrier
	buffer_gl0_inv
	v_cmpx_gt_u32_e32 5, v0
	s_cbranch_execz .LBB92_35
; %bb.32:
	v_add_nc_u32_e32 v63, -1, v0
	v_add_nc_u32_e32 v64, 0xf0, v61
	v_mov_b32_e32 v65, v61
	v_mov_b32_e32 v60, 0
	;; [unrolled: 1-line block ×3, first 2 shown]
	s_mov_b32 s5, 0
	.p2align	6
.LBB92_33:                              ; =>This Inner Loop Header: Depth=1
	s_clause 0x1
	buffer_load_dword v69, v65, s[0:3], 0 offen offset:4
	buffer_load_dword v70, v65, s[0:3], 0 offen
	ds_read_b64 v[67:68], v64
	v_add_nc_u32_e32 v63, 1, v63
	v_add_nc_u32_e32 v64, 8, v64
	;; [unrolled: 1-line block ×3, first 2 shown]
	v_cmp_lt_u32_e32 vcc_lo, 3, v63
	s_or_b32 s5, vcc_lo, s5
	s_waitcnt vmcnt(1) lgkmcnt(0)
	v_mul_f32_e32 v71, v68, v69
	v_mul_f32_e32 v69, v67, v69
	s_waitcnt vmcnt(0)
	v_fma_f32 v67, v67, v70, -v71
	v_fmac_f32_e32 v69, v68, v70
	v_add_f32_e32 v66, v66, v67
	v_add_f32_e32 v60, v60, v69
	s_andn2_b32 exec_lo, exec_lo, s5
	s_cbranch_execnz .LBB92_33
; %bb.34:
	s_or_b32 exec_lo, exec_lo, s5
	v_mov_b32_e32 v63, 0
	ds_read_b64 v[63:64], v63 offset:40
	s_waitcnt lgkmcnt(0)
	v_mul_f32_e32 v65, v60, v64
	v_mul_f32_e32 v64, v66, v64
	v_fma_f32 v65, v66, v63, -v65
	v_fmac_f32_e32 v64, v60, v63
	buffer_store_dword v65, off, s[0:3], 0 offset:40
	buffer_store_dword v64, off, s[0:3], 0 offset:44
.LBB92_35:
	s_or_b32 exec_lo, exec_lo, s4
	s_waitcnt_vscnt null, 0x0
	s_barrier
	buffer_gl0_inv
	s_clause 0x1
	buffer_load_dword v63, off, s[0:3], 0 offset:48
	buffer_load_dword v64, off, s[0:3], 0 offset:52
	s_mov_b32 s4, exec_lo
	s_waitcnt vmcnt(0)
	ds_write_b64 v62, v[63:64]
	s_waitcnt lgkmcnt(0)
	s_barrier
	buffer_gl0_inv
	v_cmpx_gt_u32_e32 6, v0
	s_cbranch_execz .LBB92_39
; %bb.36:
	v_add_nc_u32_e32 v63, -1, v0
	v_add_nc_u32_e32 v64, 0xf0, v61
	v_mov_b32_e32 v65, v61
	v_mov_b32_e32 v60, 0
	;; [unrolled: 1-line block ×3, first 2 shown]
	s_mov_b32 s5, 0
	.p2align	6
.LBB92_37:                              ; =>This Inner Loop Header: Depth=1
	s_clause 0x1
	buffer_load_dword v69, v65, s[0:3], 0 offen offset:4
	buffer_load_dword v70, v65, s[0:3], 0 offen
	ds_read_b64 v[67:68], v64
	v_add_nc_u32_e32 v63, 1, v63
	v_add_nc_u32_e32 v64, 8, v64
	;; [unrolled: 1-line block ×3, first 2 shown]
	v_cmp_lt_u32_e32 vcc_lo, 4, v63
	s_or_b32 s5, vcc_lo, s5
	s_waitcnt vmcnt(1) lgkmcnt(0)
	v_mul_f32_e32 v71, v68, v69
	v_mul_f32_e32 v69, v67, v69
	s_waitcnt vmcnt(0)
	v_fma_f32 v67, v67, v70, -v71
	v_fmac_f32_e32 v69, v68, v70
	v_add_f32_e32 v66, v66, v67
	v_add_f32_e32 v60, v60, v69
	s_andn2_b32 exec_lo, exec_lo, s5
	s_cbranch_execnz .LBB92_37
; %bb.38:
	s_or_b32 exec_lo, exec_lo, s5
	v_mov_b32_e32 v63, 0
	ds_read_b64 v[63:64], v63 offset:48
	s_waitcnt lgkmcnt(0)
	v_mul_f32_e32 v65, v60, v64
	v_mul_f32_e32 v64, v66, v64
	v_fma_f32 v65, v66, v63, -v65
	v_fmac_f32_e32 v64, v60, v63
	buffer_store_dword v65, off, s[0:3], 0 offset:48
	buffer_store_dword v64, off, s[0:3], 0 offset:52
.LBB92_39:
	s_or_b32 exec_lo, exec_lo, s4
	s_waitcnt_vscnt null, 0x0
	s_barrier
	buffer_gl0_inv
	s_clause 0x1
	buffer_load_dword v63, off, s[0:3], 0 offset:56
	buffer_load_dword v64, off, s[0:3], 0 offset:60
	s_mov_b32 s4, exec_lo
	s_waitcnt vmcnt(0)
	ds_write_b64 v62, v[63:64]
	s_waitcnt lgkmcnt(0)
	s_barrier
	buffer_gl0_inv
	v_cmpx_gt_u32_e32 7, v0
	s_cbranch_execz .LBB92_43
; %bb.40:
	v_add_nc_u32_e32 v63, -1, v0
	v_add_nc_u32_e32 v64, 0xf0, v61
	v_mov_b32_e32 v65, v61
	v_mov_b32_e32 v60, 0
	;; [unrolled: 1-line block ×3, first 2 shown]
	s_mov_b32 s5, 0
	.p2align	6
.LBB92_41:                              ; =>This Inner Loop Header: Depth=1
	s_clause 0x1
	buffer_load_dword v69, v65, s[0:3], 0 offen offset:4
	buffer_load_dword v70, v65, s[0:3], 0 offen
	ds_read_b64 v[67:68], v64
	v_add_nc_u32_e32 v63, 1, v63
	v_add_nc_u32_e32 v64, 8, v64
	v_add_nc_u32_e32 v65, 8, v65
	v_cmp_lt_u32_e32 vcc_lo, 5, v63
	s_or_b32 s5, vcc_lo, s5
	s_waitcnt vmcnt(1) lgkmcnt(0)
	v_mul_f32_e32 v71, v68, v69
	v_mul_f32_e32 v69, v67, v69
	s_waitcnt vmcnt(0)
	v_fma_f32 v67, v67, v70, -v71
	v_fmac_f32_e32 v69, v68, v70
	v_add_f32_e32 v66, v66, v67
	v_add_f32_e32 v60, v60, v69
	s_andn2_b32 exec_lo, exec_lo, s5
	s_cbranch_execnz .LBB92_41
; %bb.42:
	s_or_b32 exec_lo, exec_lo, s5
	v_mov_b32_e32 v63, 0
	ds_read_b64 v[63:64], v63 offset:56
	s_waitcnt lgkmcnt(0)
	v_mul_f32_e32 v65, v60, v64
	v_mul_f32_e32 v64, v66, v64
	v_fma_f32 v65, v66, v63, -v65
	v_fmac_f32_e32 v64, v60, v63
	buffer_store_dword v65, off, s[0:3], 0 offset:56
	buffer_store_dword v64, off, s[0:3], 0 offset:60
.LBB92_43:
	s_or_b32 exec_lo, exec_lo, s4
	s_waitcnt_vscnt null, 0x0
	s_barrier
	buffer_gl0_inv
	s_clause 0x1
	buffer_load_dword v63, off, s[0:3], 0 offset:64
	buffer_load_dword v64, off, s[0:3], 0 offset:68
	s_mov_b32 s4, exec_lo
	s_waitcnt vmcnt(0)
	ds_write_b64 v62, v[63:64]
	s_waitcnt lgkmcnt(0)
	s_barrier
	buffer_gl0_inv
	v_cmpx_gt_u32_e32 8, v0
	s_cbranch_execz .LBB92_47
; %bb.44:
	v_add_nc_u32_e32 v63, -1, v0
	v_add_nc_u32_e32 v64, 0xf0, v61
	v_mov_b32_e32 v65, v61
	v_mov_b32_e32 v60, 0
	;; [unrolled: 1-line block ×3, first 2 shown]
	s_mov_b32 s5, 0
	.p2align	6
.LBB92_45:                              ; =>This Inner Loop Header: Depth=1
	s_clause 0x1
	buffer_load_dword v69, v65, s[0:3], 0 offen offset:4
	buffer_load_dword v70, v65, s[0:3], 0 offen
	ds_read_b64 v[67:68], v64
	v_add_nc_u32_e32 v63, 1, v63
	v_add_nc_u32_e32 v64, 8, v64
	;; [unrolled: 1-line block ×3, first 2 shown]
	v_cmp_lt_u32_e32 vcc_lo, 6, v63
	s_or_b32 s5, vcc_lo, s5
	s_waitcnt vmcnt(1) lgkmcnt(0)
	v_mul_f32_e32 v71, v68, v69
	v_mul_f32_e32 v69, v67, v69
	s_waitcnt vmcnt(0)
	v_fma_f32 v67, v67, v70, -v71
	v_fmac_f32_e32 v69, v68, v70
	v_add_f32_e32 v66, v66, v67
	v_add_f32_e32 v60, v60, v69
	s_andn2_b32 exec_lo, exec_lo, s5
	s_cbranch_execnz .LBB92_45
; %bb.46:
	s_or_b32 exec_lo, exec_lo, s5
	v_mov_b32_e32 v63, 0
	ds_read_b64 v[63:64], v63 offset:64
	s_waitcnt lgkmcnt(0)
	v_mul_f32_e32 v65, v60, v64
	v_mul_f32_e32 v64, v66, v64
	v_fma_f32 v65, v66, v63, -v65
	v_fmac_f32_e32 v64, v60, v63
	buffer_store_dword v65, off, s[0:3], 0 offset:64
	buffer_store_dword v64, off, s[0:3], 0 offset:68
.LBB92_47:
	s_or_b32 exec_lo, exec_lo, s4
	s_waitcnt_vscnt null, 0x0
	s_barrier
	buffer_gl0_inv
	s_clause 0x1
	buffer_load_dword v63, off, s[0:3], 0 offset:72
	buffer_load_dword v64, off, s[0:3], 0 offset:76
	s_mov_b32 s4, exec_lo
	s_waitcnt vmcnt(0)
	ds_write_b64 v62, v[63:64]
	s_waitcnt lgkmcnt(0)
	s_barrier
	buffer_gl0_inv
	v_cmpx_gt_u32_e32 9, v0
	s_cbranch_execz .LBB92_51
; %bb.48:
	v_add_nc_u32_e32 v63, -1, v0
	v_add_nc_u32_e32 v64, 0xf0, v61
	v_mov_b32_e32 v65, v61
	v_mov_b32_e32 v60, 0
	;; [unrolled: 1-line block ×3, first 2 shown]
	s_mov_b32 s5, 0
	.p2align	6
.LBB92_49:                              ; =>This Inner Loop Header: Depth=1
	s_clause 0x1
	buffer_load_dword v69, v65, s[0:3], 0 offen offset:4
	buffer_load_dword v70, v65, s[0:3], 0 offen
	ds_read_b64 v[67:68], v64
	v_add_nc_u32_e32 v63, 1, v63
	v_add_nc_u32_e32 v64, 8, v64
	;; [unrolled: 1-line block ×3, first 2 shown]
	v_cmp_lt_u32_e32 vcc_lo, 7, v63
	s_or_b32 s5, vcc_lo, s5
	s_waitcnt vmcnt(1) lgkmcnt(0)
	v_mul_f32_e32 v71, v68, v69
	v_mul_f32_e32 v69, v67, v69
	s_waitcnt vmcnt(0)
	v_fma_f32 v67, v67, v70, -v71
	v_fmac_f32_e32 v69, v68, v70
	v_add_f32_e32 v66, v66, v67
	v_add_f32_e32 v60, v60, v69
	s_andn2_b32 exec_lo, exec_lo, s5
	s_cbranch_execnz .LBB92_49
; %bb.50:
	s_or_b32 exec_lo, exec_lo, s5
	v_mov_b32_e32 v63, 0
	ds_read_b64 v[63:64], v63 offset:72
	s_waitcnt lgkmcnt(0)
	v_mul_f32_e32 v65, v60, v64
	v_mul_f32_e32 v64, v66, v64
	v_fma_f32 v65, v66, v63, -v65
	v_fmac_f32_e32 v64, v60, v63
	buffer_store_dword v65, off, s[0:3], 0 offset:72
	buffer_store_dword v64, off, s[0:3], 0 offset:76
.LBB92_51:
	s_or_b32 exec_lo, exec_lo, s4
	s_waitcnt_vscnt null, 0x0
	s_barrier
	buffer_gl0_inv
	s_clause 0x1
	buffer_load_dword v63, off, s[0:3], 0 offset:80
	buffer_load_dword v64, off, s[0:3], 0 offset:84
	s_mov_b32 s4, exec_lo
	s_waitcnt vmcnt(0)
	ds_write_b64 v62, v[63:64]
	s_waitcnt lgkmcnt(0)
	s_barrier
	buffer_gl0_inv
	v_cmpx_gt_u32_e32 10, v0
	s_cbranch_execz .LBB92_55
; %bb.52:
	v_add_nc_u32_e32 v63, -1, v0
	v_add_nc_u32_e32 v64, 0xf0, v61
	v_mov_b32_e32 v65, v61
	v_mov_b32_e32 v60, 0
	;; [unrolled: 1-line block ×3, first 2 shown]
	s_mov_b32 s5, 0
	.p2align	6
.LBB92_53:                              ; =>This Inner Loop Header: Depth=1
	s_clause 0x1
	buffer_load_dword v69, v65, s[0:3], 0 offen offset:4
	buffer_load_dword v70, v65, s[0:3], 0 offen
	ds_read_b64 v[67:68], v64
	v_add_nc_u32_e32 v63, 1, v63
	v_add_nc_u32_e32 v64, 8, v64
	;; [unrolled: 1-line block ×3, first 2 shown]
	v_cmp_lt_u32_e32 vcc_lo, 8, v63
	s_or_b32 s5, vcc_lo, s5
	s_waitcnt vmcnt(1) lgkmcnt(0)
	v_mul_f32_e32 v71, v68, v69
	v_mul_f32_e32 v69, v67, v69
	s_waitcnt vmcnt(0)
	v_fma_f32 v67, v67, v70, -v71
	v_fmac_f32_e32 v69, v68, v70
	v_add_f32_e32 v66, v66, v67
	v_add_f32_e32 v60, v60, v69
	s_andn2_b32 exec_lo, exec_lo, s5
	s_cbranch_execnz .LBB92_53
; %bb.54:
	s_or_b32 exec_lo, exec_lo, s5
	v_mov_b32_e32 v63, 0
	ds_read_b64 v[63:64], v63 offset:80
	s_waitcnt lgkmcnt(0)
	v_mul_f32_e32 v65, v60, v64
	v_mul_f32_e32 v64, v66, v64
	v_fma_f32 v65, v66, v63, -v65
	v_fmac_f32_e32 v64, v60, v63
	buffer_store_dword v65, off, s[0:3], 0 offset:80
	buffer_store_dword v64, off, s[0:3], 0 offset:84
.LBB92_55:
	s_or_b32 exec_lo, exec_lo, s4
	s_waitcnt_vscnt null, 0x0
	s_barrier
	buffer_gl0_inv
	s_clause 0x1
	buffer_load_dword v63, off, s[0:3], 0 offset:88
	buffer_load_dword v64, off, s[0:3], 0 offset:92
	s_mov_b32 s4, exec_lo
	s_waitcnt vmcnt(0)
	ds_write_b64 v62, v[63:64]
	s_waitcnt lgkmcnt(0)
	s_barrier
	buffer_gl0_inv
	v_cmpx_gt_u32_e32 11, v0
	s_cbranch_execz .LBB92_59
; %bb.56:
	v_add_nc_u32_e32 v63, -1, v0
	v_add_nc_u32_e32 v64, 0xf0, v61
	v_mov_b32_e32 v65, v61
	v_mov_b32_e32 v60, 0
	;; [unrolled: 1-line block ×3, first 2 shown]
	s_mov_b32 s5, 0
	.p2align	6
.LBB92_57:                              ; =>This Inner Loop Header: Depth=1
	s_clause 0x1
	buffer_load_dword v69, v65, s[0:3], 0 offen offset:4
	buffer_load_dword v70, v65, s[0:3], 0 offen
	ds_read_b64 v[67:68], v64
	v_add_nc_u32_e32 v63, 1, v63
	v_add_nc_u32_e32 v64, 8, v64
	;; [unrolled: 1-line block ×3, first 2 shown]
	v_cmp_lt_u32_e32 vcc_lo, 9, v63
	s_or_b32 s5, vcc_lo, s5
	s_waitcnt vmcnt(1) lgkmcnt(0)
	v_mul_f32_e32 v71, v68, v69
	v_mul_f32_e32 v69, v67, v69
	s_waitcnt vmcnt(0)
	v_fma_f32 v67, v67, v70, -v71
	v_fmac_f32_e32 v69, v68, v70
	v_add_f32_e32 v66, v66, v67
	v_add_f32_e32 v60, v60, v69
	s_andn2_b32 exec_lo, exec_lo, s5
	s_cbranch_execnz .LBB92_57
; %bb.58:
	s_or_b32 exec_lo, exec_lo, s5
	v_mov_b32_e32 v63, 0
	ds_read_b64 v[63:64], v63 offset:88
	s_waitcnt lgkmcnt(0)
	v_mul_f32_e32 v65, v60, v64
	v_mul_f32_e32 v64, v66, v64
	v_fma_f32 v65, v66, v63, -v65
	v_fmac_f32_e32 v64, v60, v63
	buffer_store_dword v65, off, s[0:3], 0 offset:88
	buffer_store_dword v64, off, s[0:3], 0 offset:92
.LBB92_59:
	s_or_b32 exec_lo, exec_lo, s4
	s_waitcnt_vscnt null, 0x0
	s_barrier
	buffer_gl0_inv
	s_clause 0x1
	buffer_load_dword v63, off, s[0:3], 0 offset:96
	buffer_load_dword v64, off, s[0:3], 0 offset:100
	s_mov_b32 s4, exec_lo
	s_waitcnt vmcnt(0)
	ds_write_b64 v62, v[63:64]
	s_waitcnt lgkmcnt(0)
	s_barrier
	buffer_gl0_inv
	v_cmpx_gt_u32_e32 12, v0
	s_cbranch_execz .LBB92_63
; %bb.60:
	v_add_nc_u32_e32 v63, -1, v0
	v_add_nc_u32_e32 v64, 0xf0, v61
	v_mov_b32_e32 v65, v61
	v_mov_b32_e32 v60, 0
	;; [unrolled: 1-line block ×3, first 2 shown]
	s_mov_b32 s5, 0
	.p2align	6
.LBB92_61:                              ; =>This Inner Loop Header: Depth=1
	s_clause 0x1
	buffer_load_dword v69, v65, s[0:3], 0 offen offset:4
	buffer_load_dword v70, v65, s[0:3], 0 offen
	ds_read_b64 v[67:68], v64
	v_add_nc_u32_e32 v63, 1, v63
	v_add_nc_u32_e32 v64, 8, v64
	;; [unrolled: 1-line block ×3, first 2 shown]
	v_cmp_lt_u32_e32 vcc_lo, 10, v63
	s_or_b32 s5, vcc_lo, s5
	s_waitcnt vmcnt(1) lgkmcnt(0)
	v_mul_f32_e32 v71, v68, v69
	v_mul_f32_e32 v69, v67, v69
	s_waitcnt vmcnt(0)
	v_fma_f32 v67, v67, v70, -v71
	v_fmac_f32_e32 v69, v68, v70
	v_add_f32_e32 v66, v66, v67
	v_add_f32_e32 v60, v60, v69
	s_andn2_b32 exec_lo, exec_lo, s5
	s_cbranch_execnz .LBB92_61
; %bb.62:
	s_or_b32 exec_lo, exec_lo, s5
	v_mov_b32_e32 v63, 0
	ds_read_b64 v[63:64], v63 offset:96
	s_waitcnt lgkmcnt(0)
	v_mul_f32_e32 v65, v60, v64
	v_mul_f32_e32 v64, v66, v64
	v_fma_f32 v65, v66, v63, -v65
	v_fmac_f32_e32 v64, v60, v63
	buffer_store_dword v65, off, s[0:3], 0 offset:96
	buffer_store_dword v64, off, s[0:3], 0 offset:100
.LBB92_63:
	s_or_b32 exec_lo, exec_lo, s4
	s_waitcnt_vscnt null, 0x0
	s_barrier
	buffer_gl0_inv
	s_clause 0x1
	buffer_load_dword v63, off, s[0:3], 0 offset:104
	buffer_load_dword v64, off, s[0:3], 0 offset:108
	s_mov_b32 s4, exec_lo
	s_waitcnt vmcnt(0)
	ds_write_b64 v62, v[63:64]
	s_waitcnt lgkmcnt(0)
	s_barrier
	buffer_gl0_inv
	v_cmpx_gt_u32_e32 13, v0
	s_cbranch_execz .LBB92_67
; %bb.64:
	v_add_nc_u32_e32 v63, -1, v0
	v_add_nc_u32_e32 v64, 0xf0, v61
	v_mov_b32_e32 v65, v61
	v_mov_b32_e32 v60, 0
	;; [unrolled: 1-line block ×3, first 2 shown]
	s_mov_b32 s5, 0
	.p2align	6
.LBB92_65:                              ; =>This Inner Loop Header: Depth=1
	s_clause 0x1
	buffer_load_dword v69, v65, s[0:3], 0 offen offset:4
	buffer_load_dword v70, v65, s[0:3], 0 offen
	ds_read_b64 v[67:68], v64
	v_add_nc_u32_e32 v63, 1, v63
	v_add_nc_u32_e32 v64, 8, v64
	;; [unrolled: 1-line block ×3, first 2 shown]
	v_cmp_lt_u32_e32 vcc_lo, 11, v63
	s_or_b32 s5, vcc_lo, s5
	s_waitcnt vmcnt(1) lgkmcnt(0)
	v_mul_f32_e32 v71, v68, v69
	v_mul_f32_e32 v69, v67, v69
	s_waitcnt vmcnt(0)
	v_fma_f32 v67, v67, v70, -v71
	v_fmac_f32_e32 v69, v68, v70
	v_add_f32_e32 v66, v66, v67
	v_add_f32_e32 v60, v60, v69
	s_andn2_b32 exec_lo, exec_lo, s5
	s_cbranch_execnz .LBB92_65
; %bb.66:
	s_or_b32 exec_lo, exec_lo, s5
	v_mov_b32_e32 v63, 0
	ds_read_b64 v[63:64], v63 offset:104
	s_waitcnt lgkmcnt(0)
	v_mul_f32_e32 v65, v60, v64
	v_mul_f32_e32 v64, v66, v64
	v_fma_f32 v65, v66, v63, -v65
	v_fmac_f32_e32 v64, v60, v63
	buffer_store_dword v65, off, s[0:3], 0 offset:104
	buffer_store_dword v64, off, s[0:3], 0 offset:108
.LBB92_67:
	s_or_b32 exec_lo, exec_lo, s4
	s_waitcnt_vscnt null, 0x0
	s_barrier
	buffer_gl0_inv
	s_clause 0x1
	buffer_load_dword v63, off, s[0:3], 0 offset:112
	buffer_load_dword v64, off, s[0:3], 0 offset:116
	s_mov_b32 s4, exec_lo
	s_waitcnt vmcnt(0)
	ds_write_b64 v62, v[63:64]
	s_waitcnt lgkmcnt(0)
	s_barrier
	buffer_gl0_inv
	v_cmpx_gt_u32_e32 14, v0
	s_cbranch_execz .LBB92_71
; %bb.68:
	v_add_nc_u32_e32 v63, -1, v0
	v_add_nc_u32_e32 v64, 0xf0, v61
	v_mov_b32_e32 v65, v61
	v_mov_b32_e32 v60, 0
	;; [unrolled: 1-line block ×3, first 2 shown]
	s_mov_b32 s5, 0
	.p2align	6
.LBB92_69:                              ; =>This Inner Loop Header: Depth=1
	s_clause 0x1
	buffer_load_dword v69, v65, s[0:3], 0 offen offset:4
	buffer_load_dword v70, v65, s[0:3], 0 offen
	ds_read_b64 v[67:68], v64
	v_add_nc_u32_e32 v63, 1, v63
	v_add_nc_u32_e32 v64, 8, v64
	;; [unrolled: 1-line block ×3, first 2 shown]
	v_cmp_lt_u32_e32 vcc_lo, 12, v63
	s_or_b32 s5, vcc_lo, s5
	s_waitcnt vmcnt(1) lgkmcnt(0)
	v_mul_f32_e32 v71, v68, v69
	v_mul_f32_e32 v69, v67, v69
	s_waitcnt vmcnt(0)
	v_fma_f32 v67, v67, v70, -v71
	v_fmac_f32_e32 v69, v68, v70
	v_add_f32_e32 v66, v66, v67
	v_add_f32_e32 v60, v60, v69
	s_andn2_b32 exec_lo, exec_lo, s5
	s_cbranch_execnz .LBB92_69
; %bb.70:
	s_or_b32 exec_lo, exec_lo, s5
	v_mov_b32_e32 v63, 0
	ds_read_b64 v[63:64], v63 offset:112
	s_waitcnt lgkmcnt(0)
	v_mul_f32_e32 v65, v60, v64
	v_mul_f32_e32 v64, v66, v64
	v_fma_f32 v65, v66, v63, -v65
	v_fmac_f32_e32 v64, v60, v63
	buffer_store_dword v65, off, s[0:3], 0 offset:112
	buffer_store_dword v64, off, s[0:3], 0 offset:116
.LBB92_71:
	s_or_b32 exec_lo, exec_lo, s4
	s_waitcnt_vscnt null, 0x0
	s_barrier
	buffer_gl0_inv
	s_clause 0x1
	buffer_load_dword v63, off, s[0:3], 0 offset:120
	buffer_load_dword v64, off, s[0:3], 0 offset:124
	s_mov_b32 s4, exec_lo
	s_waitcnt vmcnt(0)
	ds_write_b64 v62, v[63:64]
	s_waitcnt lgkmcnt(0)
	s_barrier
	buffer_gl0_inv
	v_cmpx_gt_u32_e32 15, v0
	s_cbranch_execz .LBB92_75
; %bb.72:
	v_add_nc_u32_e32 v63, -1, v0
	v_add_nc_u32_e32 v64, 0xf0, v61
	v_mov_b32_e32 v65, v61
	v_mov_b32_e32 v60, 0
	;; [unrolled: 1-line block ×3, first 2 shown]
	s_mov_b32 s5, 0
	.p2align	6
.LBB92_73:                              ; =>This Inner Loop Header: Depth=1
	s_clause 0x1
	buffer_load_dword v69, v65, s[0:3], 0 offen offset:4
	buffer_load_dword v70, v65, s[0:3], 0 offen
	ds_read_b64 v[67:68], v64
	v_add_nc_u32_e32 v63, 1, v63
	v_add_nc_u32_e32 v64, 8, v64
	;; [unrolled: 1-line block ×3, first 2 shown]
	v_cmp_lt_u32_e32 vcc_lo, 13, v63
	s_or_b32 s5, vcc_lo, s5
	s_waitcnt vmcnt(1) lgkmcnt(0)
	v_mul_f32_e32 v71, v68, v69
	v_mul_f32_e32 v69, v67, v69
	s_waitcnt vmcnt(0)
	v_fma_f32 v67, v67, v70, -v71
	v_fmac_f32_e32 v69, v68, v70
	v_add_f32_e32 v66, v66, v67
	v_add_f32_e32 v60, v60, v69
	s_andn2_b32 exec_lo, exec_lo, s5
	s_cbranch_execnz .LBB92_73
; %bb.74:
	s_or_b32 exec_lo, exec_lo, s5
	v_mov_b32_e32 v63, 0
	ds_read_b64 v[63:64], v63 offset:120
	s_waitcnt lgkmcnt(0)
	v_mul_f32_e32 v65, v60, v64
	v_mul_f32_e32 v64, v66, v64
	v_fma_f32 v65, v66, v63, -v65
	v_fmac_f32_e32 v64, v60, v63
	buffer_store_dword v65, off, s[0:3], 0 offset:120
	buffer_store_dword v64, off, s[0:3], 0 offset:124
.LBB92_75:
	s_or_b32 exec_lo, exec_lo, s4
	s_waitcnt_vscnt null, 0x0
	s_barrier
	buffer_gl0_inv
	s_clause 0x1
	buffer_load_dword v63, off, s[0:3], 0 offset:128
	buffer_load_dword v64, off, s[0:3], 0 offset:132
	s_mov_b32 s4, exec_lo
	s_waitcnt vmcnt(0)
	ds_write_b64 v62, v[63:64]
	s_waitcnt lgkmcnt(0)
	s_barrier
	buffer_gl0_inv
	v_cmpx_gt_u32_e32 16, v0
	s_cbranch_execz .LBB92_79
; %bb.76:
	v_add_nc_u32_e32 v63, -1, v0
	v_add_nc_u32_e32 v64, 0xf0, v61
	v_mov_b32_e32 v65, v61
	v_mov_b32_e32 v60, 0
	;; [unrolled: 1-line block ×3, first 2 shown]
	s_mov_b32 s5, 0
	.p2align	6
.LBB92_77:                              ; =>This Inner Loop Header: Depth=1
	s_clause 0x1
	buffer_load_dword v69, v65, s[0:3], 0 offen offset:4
	buffer_load_dword v70, v65, s[0:3], 0 offen
	ds_read_b64 v[67:68], v64
	v_add_nc_u32_e32 v63, 1, v63
	v_add_nc_u32_e32 v64, 8, v64
	;; [unrolled: 1-line block ×3, first 2 shown]
	v_cmp_lt_u32_e32 vcc_lo, 14, v63
	s_or_b32 s5, vcc_lo, s5
	s_waitcnt vmcnt(1) lgkmcnt(0)
	v_mul_f32_e32 v71, v68, v69
	v_mul_f32_e32 v69, v67, v69
	s_waitcnt vmcnt(0)
	v_fma_f32 v67, v67, v70, -v71
	v_fmac_f32_e32 v69, v68, v70
	v_add_f32_e32 v66, v66, v67
	v_add_f32_e32 v60, v60, v69
	s_andn2_b32 exec_lo, exec_lo, s5
	s_cbranch_execnz .LBB92_77
; %bb.78:
	s_or_b32 exec_lo, exec_lo, s5
	v_mov_b32_e32 v63, 0
	ds_read_b64 v[63:64], v63 offset:128
	s_waitcnt lgkmcnt(0)
	v_mul_f32_e32 v65, v60, v64
	v_mul_f32_e32 v64, v66, v64
	v_fma_f32 v65, v66, v63, -v65
	v_fmac_f32_e32 v64, v60, v63
	buffer_store_dword v65, off, s[0:3], 0 offset:128
	buffer_store_dword v64, off, s[0:3], 0 offset:132
.LBB92_79:
	s_or_b32 exec_lo, exec_lo, s4
	s_waitcnt_vscnt null, 0x0
	s_barrier
	buffer_gl0_inv
	s_clause 0x1
	buffer_load_dword v63, off, s[0:3], 0 offset:136
	buffer_load_dword v64, off, s[0:3], 0 offset:140
	s_mov_b32 s4, exec_lo
	s_waitcnt vmcnt(0)
	ds_write_b64 v62, v[63:64]
	s_waitcnt lgkmcnt(0)
	s_barrier
	buffer_gl0_inv
	v_cmpx_gt_u32_e32 17, v0
	s_cbranch_execz .LBB92_83
; %bb.80:
	v_add_nc_u32_e32 v63, -1, v0
	v_add_nc_u32_e32 v64, 0xf0, v61
	v_mov_b32_e32 v65, v61
	v_mov_b32_e32 v60, 0
	;; [unrolled: 1-line block ×3, first 2 shown]
	s_mov_b32 s5, 0
	.p2align	6
.LBB92_81:                              ; =>This Inner Loop Header: Depth=1
	s_clause 0x1
	buffer_load_dword v69, v65, s[0:3], 0 offen offset:4
	buffer_load_dword v70, v65, s[0:3], 0 offen
	ds_read_b64 v[67:68], v64
	v_add_nc_u32_e32 v63, 1, v63
	v_add_nc_u32_e32 v64, 8, v64
	;; [unrolled: 1-line block ×3, first 2 shown]
	v_cmp_lt_u32_e32 vcc_lo, 15, v63
	s_or_b32 s5, vcc_lo, s5
	s_waitcnt vmcnt(1) lgkmcnt(0)
	v_mul_f32_e32 v71, v68, v69
	v_mul_f32_e32 v69, v67, v69
	s_waitcnt vmcnt(0)
	v_fma_f32 v67, v67, v70, -v71
	v_fmac_f32_e32 v69, v68, v70
	v_add_f32_e32 v66, v66, v67
	v_add_f32_e32 v60, v60, v69
	s_andn2_b32 exec_lo, exec_lo, s5
	s_cbranch_execnz .LBB92_81
; %bb.82:
	s_or_b32 exec_lo, exec_lo, s5
	v_mov_b32_e32 v63, 0
	ds_read_b64 v[63:64], v63 offset:136
	s_waitcnt lgkmcnt(0)
	v_mul_f32_e32 v65, v60, v64
	v_mul_f32_e32 v64, v66, v64
	v_fma_f32 v65, v66, v63, -v65
	v_fmac_f32_e32 v64, v60, v63
	buffer_store_dword v65, off, s[0:3], 0 offset:136
	buffer_store_dword v64, off, s[0:3], 0 offset:140
.LBB92_83:
	s_or_b32 exec_lo, exec_lo, s4
	s_waitcnt_vscnt null, 0x0
	s_barrier
	buffer_gl0_inv
	s_clause 0x1
	buffer_load_dword v63, off, s[0:3], 0 offset:144
	buffer_load_dword v64, off, s[0:3], 0 offset:148
	s_mov_b32 s4, exec_lo
	s_waitcnt vmcnt(0)
	ds_write_b64 v62, v[63:64]
	s_waitcnt lgkmcnt(0)
	s_barrier
	buffer_gl0_inv
	v_cmpx_gt_u32_e32 18, v0
	s_cbranch_execz .LBB92_87
; %bb.84:
	v_add_nc_u32_e32 v63, -1, v0
	v_add_nc_u32_e32 v64, 0xf0, v61
	v_mov_b32_e32 v65, v61
	v_mov_b32_e32 v60, 0
	;; [unrolled: 1-line block ×3, first 2 shown]
	s_mov_b32 s5, 0
	.p2align	6
.LBB92_85:                              ; =>This Inner Loop Header: Depth=1
	s_clause 0x1
	buffer_load_dword v69, v65, s[0:3], 0 offen offset:4
	buffer_load_dword v70, v65, s[0:3], 0 offen
	ds_read_b64 v[67:68], v64
	v_add_nc_u32_e32 v63, 1, v63
	v_add_nc_u32_e32 v64, 8, v64
	;; [unrolled: 1-line block ×3, first 2 shown]
	v_cmp_lt_u32_e32 vcc_lo, 16, v63
	s_or_b32 s5, vcc_lo, s5
	s_waitcnt vmcnt(1) lgkmcnt(0)
	v_mul_f32_e32 v71, v68, v69
	v_mul_f32_e32 v69, v67, v69
	s_waitcnt vmcnt(0)
	v_fma_f32 v67, v67, v70, -v71
	v_fmac_f32_e32 v69, v68, v70
	v_add_f32_e32 v66, v66, v67
	v_add_f32_e32 v60, v60, v69
	s_andn2_b32 exec_lo, exec_lo, s5
	s_cbranch_execnz .LBB92_85
; %bb.86:
	s_or_b32 exec_lo, exec_lo, s5
	v_mov_b32_e32 v63, 0
	ds_read_b64 v[63:64], v63 offset:144
	s_waitcnt lgkmcnt(0)
	v_mul_f32_e32 v65, v60, v64
	v_mul_f32_e32 v64, v66, v64
	v_fma_f32 v65, v66, v63, -v65
	v_fmac_f32_e32 v64, v60, v63
	buffer_store_dword v65, off, s[0:3], 0 offset:144
	buffer_store_dword v64, off, s[0:3], 0 offset:148
.LBB92_87:
	s_or_b32 exec_lo, exec_lo, s4
	s_waitcnt_vscnt null, 0x0
	s_barrier
	buffer_gl0_inv
	s_clause 0x1
	buffer_load_dword v63, off, s[0:3], 0 offset:152
	buffer_load_dword v64, off, s[0:3], 0 offset:156
	s_mov_b32 s4, exec_lo
	s_waitcnt vmcnt(0)
	ds_write_b64 v62, v[63:64]
	s_waitcnt lgkmcnt(0)
	s_barrier
	buffer_gl0_inv
	v_cmpx_gt_u32_e32 19, v0
	s_cbranch_execz .LBB92_91
; %bb.88:
	v_add_nc_u32_e32 v63, -1, v0
	v_add_nc_u32_e32 v64, 0xf0, v61
	v_mov_b32_e32 v65, v61
	v_mov_b32_e32 v60, 0
	;; [unrolled: 1-line block ×3, first 2 shown]
	s_mov_b32 s5, 0
	.p2align	6
.LBB92_89:                              ; =>This Inner Loop Header: Depth=1
	s_clause 0x1
	buffer_load_dword v69, v65, s[0:3], 0 offen offset:4
	buffer_load_dword v70, v65, s[0:3], 0 offen
	ds_read_b64 v[67:68], v64
	v_add_nc_u32_e32 v63, 1, v63
	v_add_nc_u32_e32 v64, 8, v64
	;; [unrolled: 1-line block ×3, first 2 shown]
	v_cmp_lt_u32_e32 vcc_lo, 17, v63
	s_or_b32 s5, vcc_lo, s5
	s_waitcnt vmcnt(1) lgkmcnt(0)
	v_mul_f32_e32 v71, v68, v69
	v_mul_f32_e32 v69, v67, v69
	s_waitcnt vmcnt(0)
	v_fma_f32 v67, v67, v70, -v71
	v_fmac_f32_e32 v69, v68, v70
	v_add_f32_e32 v66, v66, v67
	v_add_f32_e32 v60, v60, v69
	s_andn2_b32 exec_lo, exec_lo, s5
	s_cbranch_execnz .LBB92_89
; %bb.90:
	s_or_b32 exec_lo, exec_lo, s5
	v_mov_b32_e32 v63, 0
	ds_read_b64 v[63:64], v63 offset:152
	s_waitcnt lgkmcnt(0)
	v_mul_f32_e32 v65, v60, v64
	v_mul_f32_e32 v64, v66, v64
	v_fma_f32 v65, v66, v63, -v65
	v_fmac_f32_e32 v64, v60, v63
	buffer_store_dword v65, off, s[0:3], 0 offset:152
	buffer_store_dword v64, off, s[0:3], 0 offset:156
.LBB92_91:
	s_or_b32 exec_lo, exec_lo, s4
	s_waitcnt_vscnt null, 0x0
	s_barrier
	buffer_gl0_inv
	s_clause 0x1
	buffer_load_dword v63, off, s[0:3], 0 offset:160
	buffer_load_dword v64, off, s[0:3], 0 offset:164
	s_mov_b32 s4, exec_lo
	s_waitcnt vmcnt(0)
	ds_write_b64 v62, v[63:64]
	s_waitcnt lgkmcnt(0)
	s_barrier
	buffer_gl0_inv
	v_cmpx_gt_u32_e32 20, v0
	s_cbranch_execz .LBB92_95
; %bb.92:
	v_add_nc_u32_e32 v63, -1, v0
	v_add_nc_u32_e32 v64, 0xf0, v61
	v_mov_b32_e32 v65, v61
	v_mov_b32_e32 v60, 0
	;; [unrolled: 1-line block ×3, first 2 shown]
	s_mov_b32 s5, 0
	.p2align	6
.LBB92_93:                              ; =>This Inner Loop Header: Depth=1
	s_clause 0x1
	buffer_load_dword v69, v65, s[0:3], 0 offen offset:4
	buffer_load_dword v70, v65, s[0:3], 0 offen
	ds_read_b64 v[67:68], v64
	v_add_nc_u32_e32 v63, 1, v63
	v_add_nc_u32_e32 v64, 8, v64
	;; [unrolled: 1-line block ×3, first 2 shown]
	v_cmp_lt_u32_e32 vcc_lo, 18, v63
	s_or_b32 s5, vcc_lo, s5
	s_waitcnt vmcnt(1) lgkmcnt(0)
	v_mul_f32_e32 v71, v68, v69
	v_mul_f32_e32 v69, v67, v69
	s_waitcnt vmcnt(0)
	v_fma_f32 v67, v67, v70, -v71
	v_fmac_f32_e32 v69, v68, v70
	v_add_f32_e32 v66, v66, v67
	v_add_f32_e32 v60, v60, v69
	s_andn2_b32 exec_lo, exec_lo, s5
	s_cbranch_execnz .LBB92_93
; %bb.94:
	s_or_b32 exec_lo, exec_lo, s5
	v_mov_b32_e32 v63, 0
	ds_read_b64 v[63:64], v63 offset:160
	s_waitcnt lgkmcnt(0)
	v_mul_f32_e32 v65, v60, v64
	v_mul_f32_e32 v64, v66, v64
	v_fma_f32 v65, v66, v63, -v65
	v_fmac_f32_e32 v64, v60, v63
	buffer_store_dword v65, off, s[0:3], 0 offset:160
	buffer_store_dword v64, off, s[0:3], 0 offset:164
.LBB92_95:
	s_or_b32 exec_lo, exec_lo, s4
	s_waitcnt_vscnt null, 0x0
	s_barrier
	buffer_gl0_inv
	s_clause 0x1
	buffer_load_dword v63, off, s[0:3], 0 offset:168
	buffer_load_dword v64, off, s[0:3], 0 offset:172
	s_mov_b32 s4, exec_lo
	s_waitcnt vmcnt(0)
	ds_write_b64 v62, v[63:64]
	s_waitcnt lgkmcnt(0)
	s_barrier
	buffer_gl0_inv
	v_cmpx_gt_u32_e32 21, v0
	s_cbranch_execz .LBB92_99
; %bb.96:
	v_add_nc_u32_e32 v63, -1, v0
	v_add_nc_u32_e32 v64, 0xf0, v61
	v_mov_b32_e32 v65, v61
	v_mov_b32_e32 v60, 0
	;; [unrolled: 1-line block ×3, first 2 shown]
	s_mov_b32 s5, 0
	.p2align	6
.LBB92_97:                              ; =>This Inner Loop Header: Depth=1
	s_clause 0x1
	buffer_load_dword v69, v65, s[0:3], 0 offen offset:4
	buffer_load_dword v70, v65, s[0:3], 0 offen
	ds_read_b64 v[67:68], v64
	v_add_nc_u32_e32 v63, 1, v63
	v_add_nc_u32_e32 v64, 8, v64
	;; [unrolled: 1-line block ×3, first 2 shown]
	v_cmp_lt_u32_e32 vcc_lo, 19, v63
	s_or_b32 s5, vcc_lo, s5
	s_waitcnt vmcnt(1) lgkmcnt(0)
	v_mul_f32_e32 v71, v68, v69
	v_mul_f32_e32 v69, v67, v69
	s_waitcnt vmcnt(0)
	v_fma_f32 v67, v67, v70, -v71
	v_fmac_f32_e32 v69, v68, v70
	v_add_f32_e32 v66, v66, v67
	v_add_f32_e32 v60, v60, v69
	s_andn2_b32 exec_lo, exec_lo, s5
	s_cbranch_execnz .LBB92_97
; %bb.98:
	s_or_b32 exec_lo, exec_lo, s5
	v_mov_b32_e32 v63, 0
	ds_read_b64 v[63:64], v63 offset:168
	s_waitcnt lgkmcnt(0)
	v_mul_f32_e32 v65, v60, v64
	v_mul_f32_e32 v64, v66, v64
	v_fma_f32 v65, v66, v63, -v65
	v_fmac_f32_e32 v64, v60, v63
	buffer_store_dword v65, off, s[0:3], 0 offset:168
	buffer_store_dword v64, off, s[0:3], 0 offset:172
.LBB92_99:
	s_or_b32 exec_lo, exec_lo, s4
	s_waitcnt_vscnt null, 0x0
	s_barrier
	buffer_gl0_inv
	s_clause 0x1
	buffer_load_dword v63, off, s[0:3], 0 offset:176
	buffer_load_dword v64, off, s[0:3], 0 offset:180
	s_mov_b32 s4, exec_lo
	s_waitcnt vmcnt(0)
	ds_write_b64 v62, v[63:64]
	s_waitcnt lgkmcnt(0)
	s_barrier
	buffer_gl0_inv
	v_cmpx_gt_u32_e32 22, v0
	s_cbranch_execz .LBB92_103
; %bb.100:
	v_add_nc_u32_e32 v63, -1, v0
	v_add_nc_u32_e32 v64, 0xf0, v61
	v_mov_b32_e32 v65, v61
	v_mov_b32_e32 v60, 0
	;; [unrolled: 1-line block ×3, first 2 shown]
	s_mov_b32 s5, 0
	.p2align	6
.LBB92_101:                             ; =>This Inner Loop Header: Depth=1
	s_clause 0x1
	buffer_load_dword v69, v65, s[0:3], 0 offen offset:4
	buffer_load_dword v70, v65, s[0:3], 0 offen
	ds_read_b64 v[67:68], v64
	v_add_nc_u32_e32 v63, 1, v63
	v_add_nc_u32_e32 v64, 8, v64
	;; [unrolled: 1-line block ×3, first 2 shown]
	v_cmp_lt_u32_e32 vcc_lo, 20, v63
	s_or_b32 s5, vcc_lo, s5
	s_waitcnt vmcnt(1) lgkmcnt(0)
	v_mul_f32_e32 v71, v68, v69
	v_mul_f32_e32 v69, v67, v69
	s_waitcnt vmcnt(0)
	v_fma_f32 v67, v67, v70, -v71
	v_fmac_f32_e32 v69, v68, v70
	v_add_f32_e32 v66, v66, v67
	v_add_f32_e32 v60, v60, v69
	s_andn2_b32 exec_lo, exec_lo, s5
	s_cbranch_execnz .LBB92_101
; %bb.102:
	s_or_b32 exec_lo, exec_lo, s5
	v_mov_b32_e32 v63, 0
	ds_read_b64 v[63:64], v63 offset:176
	s_waitcnt lgkmcnt(0)
	v_mul_f32_e32 v65, v60, v64
	v_mul_f32_e32 v64, v66, v64
	v_fma_f32 v65, v66, v63, -v65
	v_fmac_f32_e32 v64, v60, v63
	buffer_store_dword v65, off, s[0:3], 0 offset:176
	buffer_store_dword v64, off, s[0:3], 0 offset:180
.LBB92_103:
	s_or_b32 exec_lo, exec_lo, s4
	s_waitcnt_vscnt null, 0x0
	s_barrier
	buffer_gl0_inv
	s_clause 0x1
	buffer_load_dword v63, off, s[0:3], 0 offset:184
	buffer_load_dword v64, off, s[0:3], 0 offset:188
	s_mov_b32 s4, exec_lo
	s_waitcnt vmcnt(0)
	ds_write_b64 v62, v[63:64]
	s_waitcnt lgkmcnt(0)
	s_barrier
	buffer_gl0_inv
	v_cmpx_gt_u32_e32 23, v0
	s_cbranch_execz .LBB92_107
; %bb.104:
	v_add_nc_u32_e32 v63, -1, v0
	v_add_nc_u32_e32 v64, 0xf0, v61
	v_mov_b32_e32 v65, v61
	v_mov_b32_e32 v60, 0
	;; [unrolled: 1-line block ×3, first 2 shown]
	s_mov_b32 s5, 0
	.p2align	6
.LBB92_105:                             ; =>This Inner Loop Header: Depth=1
	s_clause 0x1
	buffer_load_dword v69, v65, s[0:3], 0 offen offset:4
	buffer_load_dword v70, v65, s[0:3], 0 offen
	ds_read_b64 v[67:68], v64
	v_add_nc_u32_e32 v63, 1, v63
	v_add_nc_u32_e32 v64, 8, v64
	;; [unrolled: 1-line block ×3, first 2 shown]
	v_cmp_lt_u32_e32 vcc_lo, 21, v63
	s_or_b32 s5, vcc_lo, s5
	s_waitcnt vmcnt(1) lgkmcnt(0)
	v_mul_f32_e32 v71, v68, v69
	v_mul_f32_e32 v69, v67, v69
	s_waitcnt vmcnt(0)
	v_fma_f32 v67, v67, v70, -v71
	v_fmac_f32_e32 v69, v68, v70
	v_add_f32_e32 v66, v66, v67
	v_add_f32_e32 v60, v60, v69
	s_andn2_b32 exec_lo, exec_lo, s5
	s_cbranch_execnz .LBB92_105
; %bb.106:
	s_or_b32 exec_lo, exec_lo, s5
	v_mov_b32_e32 v63, 0
	ds_read_b64 v[63:64], v63 offset:184
	s_waitcnt lgkmcnt(0)
	v_mul_f32_e32 v65, v60, v64
	v_mul_f32_e32 v64, v66, v64
	v_fma_f32 v65, v66, v63, -v65
	v_fmac_f32_e32 v64, v60, v63
	buffer_store_dword v65, off, s[0:3], 0 offset:184
	buffer_store_dword v64, off, s[0:3], 0 offset:188
.LBB92_107:
	s_or_b32 exec_lo, exec_lo, s4
	s_waitcnt_vscnt null, 0x0
	s_barrier
	buffer_gl0_inv
	s_clause 0x1
	buffer_load_dword v63, off, s[0:3], 0 offset:192
	buffer_load_dword v64, off, s[0:3], 0 offset:196
	s_mov_b32 s4, exec_lo
	s_waitcnt vmcnt(0)
	ds_write_b64 v62, v[63:64]
	s_waitcnt lgkmcnt(0)
	s_barrier
	buffer_gl0_inv
	v_cmpx_gt_u32_e32 24, v0
	s_cbranch_execz .LBB92_111
; %bb.108:
	v_add_nc_u32_e32 v63, -1, v0
	v_add_nc_u32_e32 v64, 0xf0, v61
	v_mov_b32_e32 v65, v61
	v_mov_b32_e32 v60, 0
	;; [unrolled: 1-line block ×3, first 2 shown]
	s_mov_b32 s5, 0
	.p2align	6
.LBB92_109:                             ; =>This Inner Loop Header: Depth=1
	s_clause 0x1
	buffer_load_dword v69, v65, s[0:3], 0 offen offset:4
	buffer_load_dword v70, v65, s[0:3], 0 offen
	ds_read_b64 v[67:68], v64
	v_add_nc_u32_e32 v63, 1, v63
	v_add_nc_u32_e32 v64, 8, v64
	;; [unrolled: 1-line block ×3, first 2 shown]
	v_cmp_lt_u32_e32 vcc_lo, 22, v63
	s_or_b32 s5, vcc_lo, s5
	s_waitcnt vmcnt(1) lgkmcnt(0)
	v_mul_f32_e32 v71, v68, v69
	v_mul_f32_e32 v69, v67, v69
	s_waitcnt vmcnt(0)
	v_fma_f32 v67, v67, v70, -v71
	v_fmac_f32_e32 v69, v68, v70
	v_add_f32_e32 v66, v66, v67
	v_add_f32_e32 v60, v60, v69
	s_andn2_b32 exec_lo, exec_lo, s5
	s_cbranch_execnz .LBB92_109
; %bb.110:
	s_or_b32 exec_lo, exec_lo, s5
	v_mov_b32_e32 v63, 0
	ds_read_b64 v[63:64], v63 offset:192
	s_waitcnt lgkmcnt(0)
	v_mul_f32_e32 v65, v60, v64
	v_mul_f32_e32 v64, v66, v64
	v_fma_f32 v65, v66, v63, -v65
	v_fmac_f32_e32 v64, v60, v63
	buffer_store_dword v65, off, s[0:3], 0 offset:192
	buffer_store_dword v64, off, s[0:3], 0 offset:196
.LBB92_111:
	s_or_b32 exec_lo, exec_lo, s4
	s_waitcnt_vscnt null, 0x0
	s_barrier
	buffer_gl0_inv
	s_clause 0x1
	buffer_load_dword v63, off, s[0:3], 0 offset:200
	buffer_load_dword v64, off, s[0:3], 0 offset:204
	s_mov_b32 s4, exec_lo
	s_waitcnt vmcnt(0)
	ds_write_b64 v62, v[63:64]
	s_waitcnt lgkmcnt(0)
	s_barrier
	buffer_gl0_inv
	v_cmpx_gt_u32_e32 25, v0
	s_cbranch_execz .LBB92_115
; %bb.112:
	v_add_nc_u32_e32 v63, -1, v0
	v_add_nc_u32_e32 v64, 0xf0, v61
	v_mov_b32_e32 v65, v61
	v_mov_b32_e32 v60, 0
	v_mov_b32_e32 v66, 0
	s_mov_b32 s5, 0
	.p2align	6
.LBB92_113:                             ; =>This Inner Loop Header: Depth=1
	s_clause 0x1
	buffer_load_dword v69, v65, s[0:3], 0 offen offset:4
	buffer_load_dword v70, v65, s[0:3], 0 offen
	ds_read_b64 v[67:68], v64
	v_add_nc_u32_e32 v63, 1, v63
	v_add_nc_u32_e32 v64, 8, v64
	;; [unrolled: 1-line block ×3, first 2 shown]
	v_cmp_lt_u32_e32 vcc_lo, 23, v63
	s_or_b32 s5, vcc_lo, s5
	s_waitcnt vmcnt(1) lgkmcnt(0)
	v_mul_f32_e32 v71, v68, v69
	v_mul_f32_e32 v69, v67, v69
	s_waitcnt vmcnt(0)
	v_fma_f32 v67, v67, v70, -v71
	v_fmac_f32_e32 v69, v68, v70
	v_add_f32_e32 v66, v66, v67
	v_add_f32_e32 v60, v60, v69
	s_andn2_b32 exec_lo, exec_lo, s5
	s_cbranch_execnz .LBB92_113
; %bb.114:
	s_or_b32 exec_lo, exec_lo, s5
	v_mov_b32_e32 v63, 0
	ds_read_b64 v[63:64], v63 offset:200
	s_waitcnt lgkmcnt(0)
	v_mul_f32_e32 v65, v60, v64
	v_mul_f32_e32 v64, v66, v64
	v_fma_f32 v65, v66, v63, -v65
	v_fmac_f32_e32 v64, v60, v63
	buffer_store_dword v65, off, s[0:3], 0 offset:200
	buffer_store_dword v64, off, s[0:3], 0 offset:204
.LBB92_115:
	s_or_b32 exec_lo, exec_lo, s4
	s_waitcnt_vscnt null, 0x0
	s_barrier
	buffer_gl0_inv
	s_clause 0x1
	buffer_load_dword v63, off, s[0:3], 0 offset:208
	buffer_load_dword v64, off, s[0:3], 0 offset:212
	s_mov_b32 s4, exec_lo
	s_waitcnt vmcnt(0)
	ds_write_b64 v62, v[63:64]
	s_waitcnt lgkmcnt(0)
	s_barrier
	buffer_gl0_inv
	v_cmpx_gt_u32_e32 26, v0
	s_cbranch_execz .LBB92_119
; %bb.116:
	v_add_nc_u32_e32 v63, -1, v0
	v_add_nc_u32_e32 v64, 0xf0, v61
	v_mov_b32_e32 v65, v61
	v_mov_b32_e32 v60, 0
	;; [unrolled: 1-line block ×3, first 2 shown]
	s_mov_b32 s5, 0
	.p2align	6
.LBB92_117:                             ; =>This Inner Loop Header: Depth=1
	s_clause 0x1
	buffer_load_dword v69, v65, s[0:3], 0 offen offset:4
	buffer_load_dword v70, v65, s[0:3], 0 offen
	ds_read_b64 v[67:68], v64
	v_add_nc_u32_e32 v63, 1, v63
	v_add_nc_u32_e32 v64, 8, v64
	;; [unrolled: 1-line block ×3, first 2 shown]
	v_cmp_lt_u32_e32 vcc_lo, 24, v63
	s_or_b32 s5, vcc_lo, s5
	s_waitcnt vmcnt(1) lgkmcnt(0)
	v_mul_f32_e32 v71, v68, v69
	v_mul_f32_e32 v69, v67, v69
	s_waitcnt vmcnt(0)
	v_fma_f32 v67, v67, v70, -v71
	v_fmac_f32_e32 v69, v68, v70
	v_add_f32_e32 v66, v66, v67
	v_add_f32_e32 v60, v60, v69
	s_andn2_b32 exec_lo, exec_lo, s5
	s_cbranch_execnz .LBB92_117
; %bb.118:
	s_or_b32 exec_lo, exec_lo, s5
	v_mov_b32_e32 v63, 0
	ds_read_b64 v[63:64], v63 offset:208
	s_waitcnt lgkmcnt(0)
	v_mul_f32_e32 v65, v60, v64
	v_mul_f32_e32 v64, v66, v64
	v_fma_f32 v65, v66, v63, -v65
	v_fmac_f32_e32 v64, v60, v63
	buffer_store_dword v65, off, s[0:3], 0 offset:208
	buffer_store_dword v64, off, s[0:3], 0 offset:212
.LBB92_119:
	s_or_b32 exec_lo, exec_lo, s4
	s_waitcnt_vscnt null, 0x0
	s_barrier
	buffer_gl0_inv
	s_clause 0x1
	buffer_load_dword v63, off, s[0:3], 0 offset:216
	buffer_load_dword v64, off, s[0:3], 0 offset:220
	s_mov_b32 s4, exec_lo
	s_waitcnt vmcnt(0)
	ds_write_b64 v62, v[63:64]
	s_waitcnt lgkmcnt(0)
	s_barrier
	buffer_gl0_inv
	v_cmpx_gt_u32_e32 27, v0
	s_cbranch_execz .LBB92_123
; %bb.120:
	v_add_nc_u32_e32 v63, -1, v0
	v_add_nc_u32_e32 v64, 0xf0, v61
	v_mov_b32_e32 v65, v61
	v_mov_b32_e32 v60, 0
	;; [unrolled: 1-line block ×3, first 2 shown]
	s_mov_b32 s5, 0
	.p2align	6
.LBB92_121:                             ; =>This Inner Loop Header: Depth=1
	s_clause 0x1
	buffer_load_dword v69, v65, s[0:3], 0 offen offset:4
	buffer_load_dword v70, v65, s[0:3], 0 offen
	ds_read_b64 v[67:68], v64
	v_add_nc_u32_e32 v63, 1, v63
	v_add_nc_u32_e32 v64, 8, v64
	;; [unrolled: 1-line block ×3, first 2 shown]
	v_cmp_lt_u32_e32 vcc_lo, 25, v63
	s_or_b32 s5, vcc_lo, s5
	s_waitcnt vmcnt(1) lgkmcnt(0)
	v_mul_f32_e32 v71, v68, v69
	v_mul_f32_e32 v69, v67, v69
	s_waitcnt vmcnt(0)
	v_fma_f32 v67, v67, v70, -v71
	v_fmac_f32_e32 v69, v68, v70
	v_add_f32_e32 v66, v66, v67
	v_add_f32_e32 v60, v60, v69
	s_andn2_b32 exec_lo, exec_lo, s5
	s_cbranch_execnz .LBB92_121
; %bb.122:
	s_or_b32 exec_lo, exec_lo, s5
	v_mov_b32_e32 v63, 0
	ds_read_b64 v[63:64], v63 offset:216
	s_waitcnt lgkmcnt(0)
	v_mul_f32_e32 v65, v60, v64
	v_mul_f32_e32 v64, v66, v64
	v_fma_f32 v65, v66, v63, -v65
	v_fmac_f32_e32 v64, v60, v63
	buffer_store_dword v65, off, s[0:3], 0 offset:216
	buffer_store_dword v64, off, s[0:3], 0 offset:220
.LBB92_123:
	s_or_b32 exec_lo, exec_lo, s4
	s_waitcnt_vscnt null, 0x0
	s_barrier
	buffer_gl0_inv
	s_clause 0x1
	buffer_load_dword v63, off, s[0:3], 0 offset:224
	buffer_load_dword v64, off, s[0:3], 0 offset:228
	s_mov_b32 s4, exec_lo
	s_waitcnt vmcnt(0)
	ds_write_b64 v62, v[63:64]
	s_waitcnt lgkmcnt(0)
	s_barrier
	buffer_gl0_inv
	v_cmpx_ne_u32_e32 28, v0
	s_cbranch_execz .LBB92_127
; %bb.124:
	v_mov_b32_e32 v60, 0
	v_mov_b32_e32 v63, 0
	s_mov_b32 s5, 0
	.p2align	6
.LBB92_125:                             ; =>This Inner Loop Header: Depth=1
	s_clause 0x1
	buffer_load_dword v66, v61, s[0:3], 0 offen offset:4
	buffer_load_dword v67, v61, s[0:3], 0 offen
	ds_read_b64 v[64:65], v62
	v_add_nc_u32_e32 v59, 1, v59
	v_add_nc_u32_e32 v62, 8, v62
	;; [unrolled: 1-line block ×3, first 2 shown]
	v_cmp_lt_u32_e32 vcc_lo, 26, v59
	s_or_b32 s5, vcc_lo, s5
	s_waitcnt vmcnt(1) lgkmcnt(0)
	v_mul_f32_e32 v68, v65, v66
	v_mul_f32_e32 v66, v64, v66
	s_waitcnt vmcnt(0)
	v_fma_f32 v64, v64, v67, -v68
	v_fmac_f32_e32 v66, v65, v67
	v_add_f32_e32 v63, v63, v64
	v_add_f32_e32 v60, v60, v66
	s_andn2_b32 exec_lo, exec_lo, s5
	s_cbranch_execnz .LBB92_125
; %bb.126:
	s_or_b32 exec_lo, exec_lo, s5
	v_mov_b32_e32 v59, 0
	ds_read_b64 v[61:62], v59 offset:224
	s_waitcnt lgkmcnt(0)
	v_mul_f32_e32 v59, v60, v62
	v_mul_f32_e32 v62, v63, v62
	v_fma_f32 v59, v63, v61, -v59
	v_fmac_f32_e32 v62, v60, v61
	buffer_store_dword v59, off, s[0:3], 0 offset:224
	buffer_store_dword v62, off, s[0:3], 0 offset:228
.LBB92_127:
	s_or_b32 exec_lo, exec_lo, s4
	s_mov_b32 s5, -1
	s_waitcnt_vscnt null, 0x0
	s_barrier
	buffer_gl0_inv
.LBB92_128:
	s_and_b32 vcc_lo, exec_lo, s5
	s_cbranch_vccz .LBB92_130
; %bb.129:
	s_lshl_b64 s[4:5], s[6:7], 2
	v_mov_b32_e32 v59, 0
	s_add_u32 s4, s10, s4
	s_addc_u32 s5, s11, s5
	global_load_dword v59, v59, s[4:5]
	s_waitcnt vmcnt(0)
	v_cmp_ne_u32_e32 vcc_lo, 0, v59
	s_cbranch_vccz .LBB92_131
.LBB92_130:
	s_endpgm
.LBB92_131:
	v_lshl_add_u32 v59, v0, 3, 0xf0
	s_mov_b32 s4, exec_lo
	v_cmpx_eq_u32_e32 28, v0
	s_cbranch_execz .LBB92_133
; %bb.132:
	s_clause 0x1
	buffer_load_dword v60, off, s[0:3], 0 offset:216
	buffer_load_dword v61, off, s[0:3], 0 offset:220
	v_mov_b32_e32 v62, 0
	buffer_store_dword v62, off, s[0:3], 0 offset:216
	buffer_store_dword v62, off, s[0:3], 0 offset:220
	s_waitcnt vmcnt(0)
	ds_write_b64 v59, v[60:61]
.LBB92_133:
	s_or_b32 exec_lo, exec_lo, s4
	s_waitcnt lgkmcnt(0)
	s_waitcnt_vscnt null, 0x0
	s_barrier
	buffer_gl0_inv
	s_clause 0x3
	buffer_load_dword v63, off, s[0:3], 0 offset:228
	buffer_load_dword v64, off, s[0:3], 0 offset:224
	;; [unrolled: 1-line block ×4, first 2 shown]
	v_mov_b32_e32 v60, 0
	s_mov_b32 s4, exec_lo
	ds_read_b64 v[61:62], v60 offset:464
	s_waitcnt vmcnt(3) lgkmcnt(0)
	v_mul_f32_e32 v67, v62, v63
	v_mul_f32_e32 v63, v61, v63
	s_waitcnt vmcnt(2)
	v_fma_f32 v61, v61, v64, -v67
	v_fmac_f32_e32 v63, v62, v64
	v_add_f32_e32 v61, 0, v61
	v_add_f32_e32 v62, 0, v63
	s_waitcnt vmcnt(1)
	v_sub_f32_e32 v61, v65, v61
	s_waitcnt vmcnt(0)
	v_sub_f32_e32 v62, v66, v62
	buffer_store_dword v61, off, s[0:3], 0 offset:216
	buffer_store_dword v62, off, s[0:3], 0 offset:220
	v_cmpx_lt_u32_e32 26, v0
	s_cbranch_execz .LBB92_135
; %bb.134:
	s_clause 0x1
	buffer_load_dword v61, off, s[0:3], 0 offset:208
	buffer_load_dword v62, off, s[0:3], 0 offset:212
	buffer_store_dword v60, off, s[0:3], 0 offset:208
	buffer_store_dword v60, off, s[0:3], 0 offset:212
	s_waitcnt vmcnt(0)
	ds_write_b64 v59, v[61:62]
.LBB92_135:
	s_or_b32 exec_lo, exec_lo, s4
	s_waitcnt lgkmcnt(0)
	s_waitcnt_vscnt null, 0x0
	s_barrier
	buffer_gl0_inv
	s_clause 0x5
	buffer_load_dword v64, off, s[0:3], 0 offset:220
	buffer_load_dword v65, off, s[0:3], 0 offset:228
	;; [unrolled: 1-line block ×6, first 2 shown]
	ds_read2_b64 v[60:63], v60 offset0:57 offset1:58
	s_mov_b32 s4, exec_lo
	s_waitcnt vmcnt(5) lgkmcnt(0)
	v_mul_f32_e32 v70, v61, v64
	v_mul_f32_e32 v64, v60, v64
	s_waitcnt vmcnt(4)
	v_mul_f32_e32 v71, v62, v65
	v_mul_f32_e32 v65, v63, v65
	s_waitcnt vmcnt(3)
	v_fma_f32 v60, v60, v66, -v70
	v_fmac_f32_e32 v64, v61, v66
	s_waitcnt vmcnt(2)
	v_fmac_f32_e32 v71, v63, v67
	v_fma_f32 v61, v62, v67, -v65
	v_add_f32_e32 v60, 0, v60
	v_add_f32_e32 v62, 0, v64
	;; [unrolled: 1-line block ×4, first 2 shown]
	s_waitcnt vmcnt(1)
	v_sub_f32_e32 v60, v68, v60
	s_waitcnt vmcnt(0)
	v_sub_f32_e32 v61, v69, v61
	buffer_store_dword v60, off, s[0:3], 0 offset:208
	buffer_store_dword v61, off, s[0:3], 0 offset:212
	v_cmpx_lt_u32_e32 25, v0
	s_cbranch_execz .LBB92_137
; %bb.136:
	s_clause 0x1
	buffer_load_dword v60, off, s[0:3], 0 offset:200
	buffer_load_dword v61, off, s[0:3], 0 offset:204
	v_mov_b32_e32 v62, 0
	buffer_store_dword v62, off, s[0:3], 0 offset:200
	buffer_store_dword v62, off, s[0:3], 0 offset:204
	s_waitcnt vmcnt(0)
	ds_write_b64 v59, v[60:61]
.LBB92_137:
	s_or_b32 exec_lo, exec_lo, s4
	s_waitcnt lgkmcnt(0)
	s_waitcnt_vscnt null, 0x0
	s_barrier
	buffer_gl0_inv
	s_clause 0x7
	buffer_load_dword v67, off, s[0:3], 0 offset:212
	buffer_load_dword v68, off, s[0:3], 0 offset:220
	;; [unrolled: 1-line block ×8, first 2 shown]
	v_mov_b32_e32 v60, 0
	ds_read_b128 v[61:64], v60 offset:448
	ds_read_b64 v[65:66], v60 offset:464
	s_mov_b32 s4, exec_lo
	s_waitcnt vmcnt(7) lgkmcnt(1)
	v_mul_f32_e32 v75, v62, v67
	v_mul_f32_e32 v67, v61, v67
	s_waitcnt vmcnt(6)
	v_mul_f32_e32 v76, v63, v68
	v_mul_f32_e32 v68, v64, v68
	s_waitcnt vmcnt(5) lgkmcnt(0)
	v_mul_f32_e32 v77, v65, v69
	s_waitcnt vmcnt(4)
	v_fma_f32 v61, v61, v70, -v75
	v_fmac_f32_e32 v67, v62, v70
	v_mul_f32_e32 v62, v66, v69
	s_waitcnt vmcnt(3)
	v_fma_f32 v63, v63, v71, -v68
	v_fmac_f32_e32 v76, v64, v71
	v_add_f32_e32 v61, 0, v61
	v_add_f32_e32 v64, 0, v67
	s_waitcnt vmcnt(2)
	v_fma_f32 v62, v65, v72, -v62
	v_fmac_f32_e32 v77, v66, v72
	v_add_f32_e32 v61, v61, v63
	v_add_f32_e32 v63, v64, v76
	;; [unrolled: 1-line block ×4, first 2 shown]
	s_waitcnt vmcnt(1)
	v_sub_f32_e32 v61, v73, v61
	s_waitcnt vmcnt(0)
	v_sub_f32_e32 v62, v74, v62
	buffer_store_dword v61, off, s[0:3], 0 offset:200
	buffer_store_dword v62, off, s[0:3], 0 offset:204
	v_cmpx_lt_u32_e32 24, v0
	s_cbranch_execz .LBB92_139
; %bb.138:
	s_clause 0x1
	buffer_load_dword v61, off, s[0:3], 0 offset:192
	buffer_load_dword v62, off, s[0:3], 0 offset:196
	buffer_store_dword v60, off, s[0:3], 0 offset:192
	buffer_store_dword v60, off, s[0:3], 0 offset:196
	s_waitcnt vmcnt(0)
	ds_write_b64 v59, v[61:62]
.LBB92_139:
	s_or_b32 exec_lo, exec_lo, s4
	s_waitcnt lgkmcnt(0)
	s_waitcnt_vscnt null, 0x0
	s_barrier
	buffer_gl0_inv
	s_clause 0x9
	buffer_load_dword v69, off, s[0:3], 0 offset:204
	buffer_load_dword v70, off, s[0:3], 0 offset:212
	;; [unrolled: 1-line block ×10, first 2 shown]
	ds_read2_b64 v[61:64], v60 offset0:55 offset1:56
	ds_read2_b64 v[65:68], v60 offset0:57 offset1:58
	s_mov_b32 s4, exec_lo
	s_waitcnt vmcnt(9) lgkmcnt(1)
	v_mul_f32_e32 v60, v61, v69
	v_mul_f32_e32 v69, v62, v69
	s_waitcnt vmcnt(8)
	v_mul_f32_e32 v79, v63, v70
	v_mul_f32_e32 v70, v64, v70
	s_waitcnt vmcnt(7) lgkmcnt(0)
	v_mul_f32_e32 v80, v65, v71
	s_waitcnt vmcnt(5)
	v_fmac_f32_e32 v60, v62, v73
	v_fma_f32 v61, v61, v73, -v69
	v_mul_f32_e32 v62, v66, v71
	s_waitcnt vmcnt(4)
	v_fma_f32 v63, v63, v74, -v70
	v_fmac_f32_e32 v79, v64, v74
	v_add_f32_e32 v60, 0, v60
	v_add_f32_e32 v61, 0, v61
	v_mul_f32_e32 v64, v68, v72
	s_waitcnt vmcnt(3)
	v_fma_f32 v62, v65, v75, -v62
	v_mul_f32_e32 v81, v67, v72
	v_fmac_f32_e32 v80, v66, v75
	v_add_f32_e32 v61, v61, v63
	v_add_f32_e32 v60, v60, v79
	s_waitcnt vmcnt(2)
	v_fma_f32 v63, v67, v76, -v64
	v_fmac_f32_e32 v81, v68, v76
	v_add_f32_e32 v61, v61, v62
	v_add_f32_e32 v60, v60, v80
	;; [unrolled: 1-line block ×4, first 2 shown]
	s_waitcnt vmcnt(1)
	v_sub_f32_e32 v61, v77, v61
	s_waitcnt vmcnt(0)
	v_sub_f32_e32 v60, v78, v60
	buffer_store_dword v61, off, s[0:3], 0 offset:192
	buffer_store_dword v60, off, s[0:3], 0 offset:196
	v_cmpx_lt_u32_e32 23, v0
	s_cbranch_execz .LBB92_141
; %bb.140:
	s_clause 0x1
	buffer_load_dword v60, off, s[0:3], 0 offset:184
	buffer_load_dword v61, off, s[0:3], 0 offset:188
	v_mov_b32_e32 v62, 0
	buffer_store_dword v62, off, s[0:3], 0 offset:184
	buffer_store_dword v62, off, s[0:3], 0 offset:188
	s_waitcnt vmcnt(0)
	ds_write_b64 v59, v[60:61]
.LBB92_141:
	s_or_b32 exec_lo, exec_lo, s4
	s_waitcnt lgkmcnt(0)
	s_waitcnt_vscnt null, 0x0
	s_barrier
	buffer_gl0_inv
	s_clause 0xb
	buffer_load_dword v71, off, s[0:3], 0 offset:196
	buffer_load_dword v72, off, s[0:3], 0 offset:204
	;; [unrolled: 1-line block ×12, first 2 shown]
	v_mov_b32_e32 v60, 0
	ds_read_b128 v[61:64], v60 offset:432
	ds_read_b128 v[65:68], v60 offset:448
	ds_read_b64 v[69:70], v60 offset:464
	s_mov_b32 s4, exec_lo
	s_waitcnt vmcnt(11) lgkmcnt(2)
	v_mul_f32_e32 v83, v61, v71
	v_mul_f32_e32 v71, v62, v71
	s_waitcnt vmcnt(10)
	v_mul_f32_e32 v84, v63, v72
	v_mul_f32_e32 v72, v64, v72
	s_waitcnt vmcnt(9) lgkmcnt(1)
	v_mul_f32_e32 v85, v65, v73
	s_waitcnt vmcnt(6)
	v_fmac_f32_e32 v83, v62, v76
	v_fma_f32 v61, v61, v76, -v71
	v_mul_f32_e32 v62, v66, v73
	s_waitcnt vmcnt(5)
	v_fma_f32 v63, v63, v77, -v72
	v_fmac_f32_e32 v84, v64, v77
	v_add_f32_e32 v64, 0, v83
	v_add_f32_e32 v61, 0, v61
	v_mul_f32_e32 v71, v68, v74
	s_waitcnt vmcnt(4)
	v_fma_f32 v62, v65, v78, -v62
	v_mul_f32_e32 v86, v67, v74
	v_fmac_f32_e32 v85, v66, v78
	v_add_f32_e32 v61, v61, v63
	v_add_f32_e32 v63, v64, v84
	s_waitcnt lgkmcnt(0)
	v_mul_f32_e32 v64, v70, v75
	s_waitcnt vmcnt(3)
	v_fma_f32 v65, v67, v79, -v71
	v_mul_f32_e32 v87, v69, v75
	v_add_f32_e32 v61, v61, v62
	v_fmac_f32_e32 v86, v68, v79
	v_add_f32_e32 v62, v63, v85
	s_waitcnt vmcnt(2)
	v_fma_f32 v63, v69, v80, -v64
	v_fmac_f32_e32 v87, v70, v80
	v_add_f32_e32 v61, v61, v65
	v_add_f32_e32 v62, v62, v86
	;; [unrolled: 1-line block ×4, first 2 shown]
	s_waitcnt vmcnt(1)
	v_sub_f32_e32 v61, v81, v61
	s_waitcnt vmcnt(0)
	v_sub_f32_e32 v62, v82, v62
	buffer_store_dword v61, off, s[0:3], 0 offset:184
	buffer_store_dword v62, off, s[0:3], 0 offset:188
	v_cmpx_lt_u32_e32 22, v0
	s_cbranch_execz .LBB92_143
; %bb.142:
	s_clause 0x1
	buffer_load_dword v61, off, s[0:3], 0 offset:176
	buffer_load_dword v62, off, s[0:3], 0 offset:180
	buffer_store_dword v60, off, s[0:3], 0 offset:176
	buffer_store_dword v60, off, s[0:3], 0 offset:180
	s_waitcnt vmcnt(0)
	ds_write_b64 v59, v[61:62]
.LBB92_143:
	s_or_b32 exec_lo, exec_lo, s4
	s_waitcnt lgkmcnt(0)
	s_waitcnt_vscnt null, 0x0
	s_barrier
	buffer_gl0_inv
	s_clause 0xd
	buffer_load_dword v73, off, s[0:3], 0 offset:188
	buffer_load_dword v74, off, s[0:3], 0 offset:196
	;; [unrolled: 1-line block ×14, first 2 shown]
	ds_read2_b64 v[61:64], v60 offset0:53 offset1:54
	ds_read2_b64 v[65:68], v60 offset0:55 offset1:56
	ds_read2_b64 v[69:72], v60 offset0:57 offset1:58
	s_mov_b32 s4, exec_lo
	s_waitcnt vmcnt(13) lgkmcnt(2)
	v_mul_f32_e32 v60, v61, v73
	v_mul_f32_e32 v73, v62, v73
	s_waitcnt vmcnt(12)
	v_mul_f32_e32 v87, v63, v74
	v_mul_f32_e32 v74, v64, v74
	s_waitcnt vmcnt(11) lgkmcnt(1)
	v_mul_f32_e32 v88, v65, v75
	s_waitcnt vmcnt(10)
	v_mul_f32_e32 v89, v67, v76
	s_waitcnt vmcnt(7)
	v_fma_f32 v61, v61, v79, -v73
	v_fmac_f32_e32 v60, v62, v79
	v_mul_f32_e32 v62, v66, v75
	s_waitcnt vmcnt(6)
	v_fma_f32 v63, v63, v80, -v74
	v_fmac_f32_e32 v87, v64, v80
	v_add_f32_e32 v61, 0, v61
	v_add_f32_e32 v60, 0, v60
	v_mul_f32_e32 v64, v68, v76
	s_waitcnt vmcnt(5)
	v_fma_f32 v62, v65, v81, -v62
	v_fmac_f32_e32 v88, v66, v81
	v_add_f32_e32 v61, v61, v63
	v_add_f32_e32 v60, v60, v87
	s_waitcnt lgkmcnt(0)
	v_mul_f32_e32 v63, v70, v77
	s_waitcnt vmcnt(4)
	v_fma_f32 v64, v67, v82, -v64
	v_mul_f32_e32 v90, v69, v77
	v_add_f32_e32 v61, v61, v62
	v_fmac_f32_e32 v89, v68, v82
	v_add_f32_e32 v60, v60, v88
	v_mul_f32_e32 v62, v72, v78
	s_waitcnt vmcnt(3)
	v_fma_f32 v63, v69, v83, -v63
	v_add_f32_e32 v61, v61, v64
	v_mul_f32_e32 v91, v71, v78
	v_fmac_f32_e32 v90, v70, v83
	v_add_f32_e32 v60, v60, v89
	s_waitcnt vmcnt(2)
	v_fma_f32 v62, v71, v84, -v62
	v_add_f32_e32 v61, v61, v63
	v_fmac_f32_e32 v91, v72, v84
	v_add_f32_e32 v60, v60, v90
	v_add_f32_e32 v61, v61, v62
	;; [unrolled: 1-line block ×3, first 2 shown]
	s_waitcnt vmcnt(1)
	v_sub_f32_e32 v61, v85, v61
	s_waitcnt vmcnt(0)
	v_sub_f32_e32 v60, v86, v60
	buffer_store_dword v61, off, s[0:3], 0 offset:176
	buffer_store_dword v60, off, s[0:3], 0 offset:180
	v_cmpx_lt_u32_e32 21, v0
	s_cbranch_execz .LBB92_145
; %bb.144:
	s_clause 0x1
	buffer_load_dword v60, off, s[0:3], 0 offset:168
	buffer_load_dword v61, off, s[0:3], 0 offset:172
	v_mov_b32_e32 v62, 0
	buffer_store_dword v62, off, s[0:3], 0 offset:168
	buffer_store_dword v62, off, s[0:3], 0 offset:172
	s_waitcnt vmcnt(0)
	ds_write_b64 v59, v[60:61]
.LBB92_145:
	s_or_b32 exec_lo, exec_lo, s4
	s_waitcnt lgkmcnt(0)
	s_waitcnt_vscnt null, 0x0
	s_barrier
	buffer_gl0_inv
	s_clause 0xf
	buffer_load_dword v75, off, s[0:3], 0 offset:180
	buffer_load_dword v76, off, s[0:3], 0 offset:188
	;; [unrolled: 1-line block ×16, first 2 shown]
	v_mov_b32_e32 v60, 0
	ds_read_b128 v[61:64], v60 offset:416
	ds_read_b128 v[65:68], v60 offset:432
	;; [unrolled: 1-line block ×3, first 2 shown]
	ds_read_b64 v[73:74], v60 offset:464
	s_mov_b32 s4, exec_lo
	s_waitcnt vmcnt(15) lgkmcnt(3)
	v_mul_f32_e32 v91, v61, v75
	v_mul_f32_e32 v75, v62, v75
	s_waitcnt vmcnt(14)
	v_mul_f32_e32 v92, v63, v76
	v_mul_f32_e32 v76, v64, v76
	s_waitcnt vmcnt(13) lgkmcnt(2)
	v_mul_f32_e32 v93, v65, v77
	s_waitcnt vmcnt(12)
	v_mul_f32_e32 v94, v67, v78
	s_waitcnt vmcnt(11) lgkmcnt(1)
	v_mul_f32_e32 v95, v69, v79
	s_waitcnt vmcnt(8)
	v_fma_f32 v61, v61, v82, -v75
	v_fmac_f32_e32 v91, v62, v82
	v_mul_f32_e32 v62, v66, v77
	s_waitcnt vmcnt(7)
	v_fma_f32 v63, v63, v83, -v76
	v_fmac_f32_e32 v92, v64, v83
	v_add_f32_e32 v61, 0, v61
	v_add_f32_e32 v64, 0, v91
	v_mul_f32_e32 v75, v68, v78
	s_waitcnt vmcnt(6)
	v_fma_f32 v62, v65, v84, -v62
	v_fmac_f32_e32 v93, v66, v84
	v_add_f32_e32 v61, v61, v63
	v_add_f32_e32 v63, v64, v92
	;; [unrolled: 6-line block ×3, first 2 shown]
	v_mul_f32_e32 v63, v72, v80
	s_waitcnt vmcnt(4)
	v_fma_f32 v64, v69, v86, -v64
	v_mul_f32_e32 v96, v71, v80
	v_add_f32_e32 v61, v61, v65
	v_fmac_f32_e32 v95, v70, v86
	v_add_f32_e32 v62, v62, v94
	s_waitcnt lgkmcnt(0)
	v_mul_f32_e32 v65, v74, v81
	s_waitcnt vmcnt(3)
	v_fma_f32 v63, v71, v87, -v63
	v_add_f32_e32 v61, v61, v64
	v_mul_f32_e32 v97, v73, v81
	v_fmac_f32_e32 v96, v72, v87
	v_add_f32_e32 v62, v62, v95
	s_waitcnt vmcnt(2)
	v_fma_f32 v64, v73, v88, -v65
	v_add_f32_e32 v61, v61, v63
	v_fmac_f32_e32 v97, v74, v88
	v_add_f32_e32 v62, v62, v96
	v_add_f32_e32 v61, v61, v64
	;; [unrolled: 1-line block ×3, first 2 shown]
	s_waitcnt vmcnt(1)
	v_sub_f32_e32 v61, v89, v61
	s_waitcnt vmcnt(0)
	v_sub_f32_e32 v62, v90, v62
	buffer_store_dword v61, off, s[0:3], 0 offset:168
	buffer_store_dword v62, off, s[0:3], 0 offset:172
	v_cmpx_lt_u32_e32 20, v0
	s_cbranch_execz .LBB92_147
; %bb.146:
	s_clause 0x1
	buffer_load_dword v61, off, s[0:3], 0 offset:160
	buffer_load_dword v62, off, s[0:3], 0 offset:164
	buffer_store_dword v60, off, s[0:3], 0 offset:160
	buffer_store_dword v60, off, s[0:3], 0 offset:164
	s_waitcnt vmcnt(0)
	ds_write_b64 v59, v[61:62]
.LBB92_147:
	s_or_b32 exec_lo, exec_lo, s4
	s_waitcnt lgkmcnt(0)
	s_waitcnt_vscnt null, 0x0
	s_barrier
	buffer_gl0_inv
	s_clause 0x11
	buffer_load_dword v77, off, s[0:3], 0 offset:172
	buffer_load_dword v78, off, s[0:3], 0 offset:180
	buffer_load_dword v79, off, s[0:3], 0 offset:188
	buffer_load_dword v80, off, s[0:3], 0 offset:196
	buffer_load_dword v81, off, s[0:3], 0 offset:204
	buffer_load_dword v82, off, s[0:3], 0 offset:212
	buffer_load_dword v83, off, s[0:3], 0 offset:220
	buffer_load_dword v84, off, s[0:3], 0 offset:228
	buffer_load_dword v85, off, s[0:3], 0 offset:168
	buffer_load_dword v86, off, s[0:3], 0 offset:176
	buffer_load_dword v87, off, s[0:3], 0 offset:184
	buffer_load_dword v88, off, s[0:3], 0 offset:192
	buffer_load_dword v89, off, s[0:3], 0 offset:200
	buffer_load_dword v90, off, s[0:3], 0 offset:208
	buffer_load_dword v91, off, s[0:3], 0 offset:216
	buffer_load_dword v92, off, s[0:3], 0 offset:224
	buffer_load_dword v93, off, s[0:3], 0 offset:160
	buffer_load_dword v94, off, s[0:3], 0 offset:164
	ds_read2_b64 v[61:64], v60 offset0:51 offset1:52
	ds_read2_b64 v[65:68], v60 offset0:53 offset1:54
	;; [unrolled: 1-line block ×4, first 2 shown]
	s_mov_b32 s4, exec_lo
	s_waitcnt vmcnt(17) lgkmcnt(3)
	v_mul_f32_e32 v60, v61, v77
	v_mul_f32_e32 v77, v62, v77
	s_waitcnt vmcnt(16)
	v_mul_f32_e32 v95, v63, v78
	v_mul_f32_e32 v78, v64, v78
	s_waitcnt vmcnt(15) lgkmcnt(2)
	v_mul_f32_e32 v96, v65, v79
	s_waitcnt vmcnt(14)
	v_mul_f32_e32 v97, v67, v80
	s_waitcnt vmcnt(13) lgkmcnt(1)
	v_mul_f32_e32 v98, v69, v81
	s_waitcnt vmcnt(12)
	v_mul_f32_e32 v99, v71, v82
	s_waitcnt vmcnt(9)
	v_fma_f32 v61, v61, v85, -v77
	v_fmac_f32_e32 v60, v62, v85
	v_mul_f32_e32 v62, v66, v79
	s_waitcnt vmcnt(8)
	v_fma_f32 v63, v63, v86, -v78
	v_fmac_f32_e32 v95, v64, v86
	v_add_f32_e32 v61, 0, v61
	v_add_f32_e32 v60, 0, v60
	v_mul_f32_e32 v64, v68, v80
	s_waitcnt vmcnt(7)
	v_fma_f32 v62, v65, v87, -v62
	v_fmac_f32_e32 v96, v66, v87
	v_add_f32_e32 v61, v61, v63
	v_add_f32_e32 v60, v60, v95
	;; [unrolled: 6-line block ×4, first 2 shown]
	s_waitcnt lgkmcnt(0)
	v_mul_f32_e32 v64, v74, v83
	s_waitcnt vmcnt(4)
	v_fma_f32 v62, v71, v90, -v62
	v_mul_f32_e32 v100, v73, v83
	v_add_f32_e32 v61, v61, v63
	v_fmac_f32_e32 v99, v72, v90
	v_add_f32_e32 v60, v60, v98
	v_mul_f32_e32 v63, v76, v84
	s_waitcnt vmcnt(3)
	v_fma_f32 v64, v73, v91, -v64
	v_add_f32_e32 v61, v61, v62
	v_mul_f32_e32 v101, v75, v84
	v_fmac_f32_e32 v100, v74, v91
	v_add_f32_e32 v60, v60, v99
	s_waitcnt vmcnt(2)
	v_fma_f32 v62, v75, v92, -v63
	v_add_f32_e32 v61, v61, v64
	v_fmac_f32_e32 v101, v76, v92
	v_add_f32_e32 v60, v60, v100
	v_add_f32_e32 v61, v61, v62
	;; [unrolled: 1-line block ×3, first 2 shown]
	s_waitcnt vmcnt(1)
	v_sub_f32_e32 v61, v93, v61
	s_waitcnt vmcnt(0)
	v_sub_f32_e32 v60, v94, v60
	buffer_store_dword v61, off, s[0:3], 0 offset:160
	buffer_store_dword v60, off, s[0:3], 0 offset:164
	v_cmpx_lt_u32_e32 19, v0
	s_cbranch_execz .LBB92_149
; %bb.148:
	s_clause 0x1
	buffer_load_dword v60, off, s[0:3], 0 offset:152
	buffer_load_dword v61, off, s[0:3], 0 offset:156
	v_mov_b32_e32 v62, 0
	buffer_store_dword v62, off, s[0:3], 0 offset:152
	buffer_store_dword v62, off, s[0:3], 0 offset:156
	s_waitcnt vmcnt(0)
	ds_write_b64 v59, v[60:61]
.LBB92_149:
	s_or_b32 exec_lo, exec_lo, s4
	s_waitcnt lgkmcnt(0)
	s_waitcnt_vscnt null, 0x0
	s_barrier
	buffer_gl0_inv
	s_clause 0x13
	buffer_load_dword v79, off, s[0:3], 0 offset:164
	buffer_load_dword v80, off, s[0:3], 0 offset:172
	;; [unrolled: 1-line block ×20, first 2 shown]
	v_mov_b32_e32 v60, 0
	ds_read_b128 v[61:64], v60 offset:400
	ds_read_b128 v[65:68], v60 offset:416
	ds_read_b128 v[69:72], v60 offset:432
	ds_read_b128 v[73:76], v60 offset:448
	ds_read_b64 v[77:78], v60 offset:464
	s_mov_b32 s4, exec_lo
	s_waitcnt vmcnt(19) lgkmcnt(4)
	v_mul_f32_e32 v99, v61, v79
	v_mul_f32_e32 v79, v62, v79
	s_waitcnt vmcnt(18)
	v_mul_f32_e32 v100, v63, v80
	v_mul_f32_e32 v80, v64, v80
	s_waitcnt vmcnt(17) lgkmcnt(3)
	v_mul_f32_e32 v101, v65, v81
	s_waitcnt vmcnt(16)
	v_mul_f32_e32 v102, v67, v82
	s_waitcnt vmcnt(15) lgkmcnt(2)
	v_mul_f32_e32 v103, v69, v83
	s_waitcnt vmcnt(14)
	;; [unrolled: 4-line block ×3, first 2 shown]
	v_fma_f32 v61, v61, v88, -v79
	v_fmac_f32_e32 v99, v62, v88
	v_mul_f32_e32 v62, v66, v81
	s_waitcnt vmcnt(9)
	v_fma_f32 v63, v63, v89, -v80
	v_fmac_f32_e32 v100, v64, v89
	v_add_f32_e32 v61, 0, v61
	v_add_f32_e32 v64, 0, v99
	v_mul_f32_e32 v79, v68, v82
	s_waitcnt vmcnt(8)
	v_fma_f32 v62, v65, v90, -v62
	v_fmac_f32_e32 v101, v66, v90
	v_add_f32_e32 v61, v61, v63
	v_add_f32_e32 v63, v64, v100
	;; [unrolled: 6-line block ×5, first 2 shown]
	v_mul_f32_e32 v64, v76, v86
	s_waitcnt vmcnt(4)
	v_fma_f32 v65, v73, v94, -v65
	v_mul_f32_e32 v106, v75, v86
	v_add_f32_e32 v61, v61, v63
	v_fmac_f32_e32 v105, v74, v94
	v_add_f32_e32 v62, v62, v104
	s_waitcnt lgkmcnt(0)
	v_mul_f32_e32 v63, v78, v87
	s_waitcnt vmcnt(3)
	v_fma_f32 v64, v75, v95, -v64
	v_add_f32_e32 v61, v61, v65
	v_mul_f32_e32 v107, v77, v87
	v_fmac_f32_e32 v106, v76, v95
	v_add_f32_e32 v62, v62, v105
	s_waitcnt vmcnt(2)
	v_fma_f32 v63, v77, v96, -v63
	v_add_f32_e32 v61, v61, v64
	v_fmac_f32_e32 v107, v78, v96
	v_add_f32_e32 v62, v62, v106
	v_add_f32_e32 v61, v61, v63
	;; [unrolled: 1-line block ×3, first 2 shown]
	s_waitcnt vmcnt(1)
	v_sub_f32_e32 v61, v97, v61
	s_waitcnt vmcnt(0)
	v_sub_f32_e32 v62, v98, v62
	buffer_store_dword v61, off, s[0:3], 0 offset:152
	buffer_store_dword v62, off, s[0:3], 0 offset:156
	v_cmpx_lt_u32_e32 18, v0
	s_cbranch_execz .LBB92_151
; %bb.150:
	s_clause 0x1
	buffer_load_dword v61, off, s[0:3], 0 offset:144
	buffer_load_dword v62, off, s[0:3], 0 offset:148
	buffer_store_dword v60, off, s[0:3], 0 offset:144
	buffer_store_dword v60, off, s[0:3], 0 offset:148
	s_waitcnt vmcnt(0)
	ds_write_b64 v59, v[61:62]
.LBB92_151:
	s_or_b32 exec_lo, exec_lo, s4
	s_waitcnt lgkmcnt(0)
	s_waitcnt_vscnt null, 0x0
	s_barrier
	buffer_gl0_inv
	s_clause 0x15
	buffer_load_dword v81, off, s[0:3], 0 offset:156
	buffer_load_dword v82, off, s[0:3], 0 offset:164
	buffer_load_dword v83, off, s[0:3], 0 offset:172
	buffer_load_dword v84, off, s[0:3], 0 offset:180
	buffer_load_dword v85, off, s[0:3], 0 offset:188
	buffer_load_dword v86, off, s[0:3], 0 offset:196
	buffer_load_dword v87, off, s[0:3], 0 offset:204
	buffer_load_dword v88, off, s[0:3], 0 offset:212
	buffer_load_dword v89, off, s[0:3], 0 offset:220
	buffer_load_dword v90, off, s[0:3], 0 offset:228
	buffer_load_dword v91, off, s[0:3], 0 offset:152
	buffer_load_dword v92, off, s[0:3], 0 offset:160
	buffer_load_dword v93, off, s[0:3], 0 offset:168
	buffer_load_dword v94, off, s[0:3], 0 offset:176
	buffer_load_dword v95, off, s[0:3], 0 offset:184
	buffer_load_dword v96, off, s[0:3], 0 offset:192
	buffer_load_dword v97, off, s[0:3], 0 offset:200
	buffer_load_dword v98, off, s[0:3], 0 offset:208
	buffer_load_dword v99, off, s[0:3], 0 offset:216
	buffer_load_dword v100, off, s[0:3], 0 offset:224
	buffer_load_dword v101, off, s[0:3], 0 offset:144
	buffer_load_dword v102, off, s[0:3], 0 offset:148
	ds_read2_b64 v[61:64], v60 offset0:49 offset1:50
	ds_read2_b64 v[65:68], v60 offset0:51 offset1:52
	;; [unrolled: 1-line block ×5, first 2 shown]
	s_mov_b32 s4, exec_lo
	s_waitcnt vmcnt(21) lgkmcnt(4)
	v_mul_f32_e32 v60, v61, v81
	v_mul_f32_e32 v81, v62, v81
	s_waitcnt vmcnt(20)
	v_mul_f32_e32 v103, v63, v82
	v_mul_f32_e32 v82, v64, v82
	s_waitcnt vmcnt(19) lgkmcnt(3)
	v_mul_f32_e32 v104, v65, v83
	s_waitcnt vmcnt(18)
	v_mul_f32_e32 v105, v67, v84
	s_waitcnt vmcnt(17) lgkmcnt(2)
	v_mul_f32_e32 v106, v69, v85
	s_waitcnt vmcnt(16)
	;; [unrolled: 4-line block ×3, first 2 shown]
	v_mul_f32_e32 v109, v75, v88
	s_waitcnt vmcnt(11)
	v_fma_f32 v61, v61, v91, -v81
	v_fmac_f32_e32 v60, v62, v91
	v_mul_f32_e32 v62, v66, v83
	s_waitcnt vmcnt(10)
	v_fma_f32 v63, v63, v92, -v82
	v_fmac_f32_e32 v103, v64, v92
	v_add_f32_e32 v61, 0, v61
	v_add_f32_e32 v60, 0, v60
	v_mul_f32_e32 v64, v68, v84
	s_waitcnt vmcnt(9)
	v_fma_f32 v62, v65, v93, -v62
	v_fmac_f32_e32 v104, v66, v93
	v_add_f32_e32 v61, v61, v63
	v_add_f32_e32 v60, v60, v103
	;; [unrolled: 6-line block ×6, first 2 shown]
	s_waitcnt lgkmcnt(0)
	v_mul_f32_e32 v62, v78, v89
	s_waitcnt vmcnt(4)
	v_fma_f32 v63, v75, v98, -v63
	v_mul_f32_e32 v110, v77, v89
	v_add_f32_e32 v61, v61, v64
	v_fmac_f32_e32 v109, v76, v98
	v_add_f32_e32 v60, v60, v108
	v_mul_f32_e32 v64, v80, v90
	s_waitcnt vmcnt(3)
	v_fma_f32 v62, v77, v99, -v62
	v_add_f32_e32 v61, v61, v63
	v_mul_f32_e32 v111, v79, v90
	v_fmac_f32_e32 v110, v78, v99
	v_add_f32_e32 v60, v60, v109
	s_waitcnt vmcnt(2)
	v_fma_f32 v63, v79, v100, -v64
	v_add_f32_e32 v61, v61, v62
	v_fmac_f32_e32 v111, v80, v100
	v_add_f32_e32 v60, v60, v110
	v_add_f32_e32 v61, v61, v63
	v_add_f32_e32 v60, v60, v111
	s_waitcnt vmcnt(1)
	v_sub_f32_e32 v61, v101, v61
	s_waitcnt vmcnt(0)
	v_sub_f32_e32 v60, v102, v60
	buffer_store_dword v61, off, s[0:3], 0 offset:144
	buffer_store_dword v60, off, s[0:3], 0 offset:148
	v_cmpx_lt_u32_e32 17, v0
	s_cbranch_execz .LBB92_153
; %bb.152:
	s_clause 0x1
	buffer_load_dword v60, off, s[0:3], 0 offset:136
	buffer_load_dword v61, off, s[0:3], 0 offset:140
	v_mov_b32_e32 v62, 0
	buffer_store_dword v62, off, s[0:3], 0 offset:136
	buffer_store_dword v62, off, s[0:3], 0 offset:140
	s_waitcnt vmcnt(0)
	ds_write_b64 v59, v[60:61]
.LBB92_153:
	s_or_b32 exec_lo, exec_lo, s4
	s_waitcnt lgkmcnt(0)
	s_waitcnt_vscnt null, 0x0
	s_barrier
	buffer_gl0_inv
	s_clause 0x17
	buffer_load_dword v83, off, s[0:3], 0 offset:148
	buffer_load_dword v84, off, s[0:3], 0 offset:156
	;; [unrolled: 1-line block ×24, first 2 shown]
	v_mov_b32_e32 v60, 0
	ds_read_b128 v[61:64], v60 offset:384
	ds_read_b128 v[65:68], v60 offset:400
	;; [unrolled: 1-line block ×5, first 2 shown]
	ds_read_b64 v[81:82], v60 offset:464
	s_mov_b32 s4, exec_lo
	s_waitcnt vmcnt(23) lgkmcnt(5)
	v_mul_f32_e32 v107, v61, v83
	v_mul_f32_e32 v83, v62, v83
	s_waitcnt vmcnt(22)
	v_mul_f32_e32 v108, v63, v84
	v_mul_f32_e32 v84, v64, v84
	s_waitcnt vmcnt(21) lgkmcnt(4)
	v_mul_f32_e32 v109, v65, v85
	s_waitcnt vmcnt(20)
	v_mul_f32_e32 v110, v67, v86
	s_waitcnt vmcnt(19) lgkmcnt(3)
	v_mul_f32_e32 v111, v69, v87
	s_waitcnt vmcnt(18)
	;; [unrolled: 4-line block ×4, first 2 shown]
	v_fma_f32 v61, v61, v94, -v83
	v_fmac_f32_e32 v107, v62, v94
	v_mul_f32_e32 v62, v66, v85
	s_waitcnt vmcnt(11)
	v_fma_f32 v63, v63, v95, -v84
	v_fmac_f32_e32 v108, v64, v95
	v_add_f32_e32 v61, 0, v61
	v_add_f32_e32 v64, 0, v107
	v_mul_f32_e32 v83, v68, v86
	s_waitcnt vmcnt(10)
	v_fma_f32 v62, v65, v96, -v62
	v_fmac_f32_e32 v109, v66, v96
	v_add_f32_e32 v61, v61, v63
	v_add_f32_e32 v63, v64, v108
	;; [unrolled: 6-line block ×7, first 2 shown]
	v_mul_f32_e32 v65, v80, v92
	s_waitcnt vmcnt(4)
	v_fma_f32 v63, v77, v102, -v63
	v_mul_f32_e32 v116, v79, v92
	v_add_f32_e32 v61, v61, v64
	v_fmac_f32_e32 v115, v78, v102
	v_add_f32_e32 v62, v62, v114
	s_waitcnt lgkmcnt(0)
	v_mul_f32_e32 v64, v82, v93
	s_waitcnt vmcnt(3)
	v_fma_f32 v65, v79, v103, -v65
	v_add_f32_e32 v61, v61, v63
	v_mul_f32_e32 v117, v81, v93
	v_fmac_f32_e32 v116, v80, v103
	v_add_f32_e32 v62, v62, v115
	s_waitcnt vmcnt(2)
	v_fma_f32 v63, v81, v104, -v64
	v_add_f32_e32 v61, v61, v65
	v_fmac_f32_e32 v117, v82, v104
	v_add_f32_e32 v62, v62, v116
	v_add_f32_e32 v61, v61, v63
	;; [unrolled: 1-line block ×3, first 2 shown]
	s_waitcnt vmcnt(1)
	v_sub_f32_e32 v61, v105, v61
	s_waitcnt vmcnt(0)
	v_sub_f32_e32 v62, v106, v62
	buffer_store_dword v61, off, s[0:3], 0 offset:136
	buffer_store_dword v62, off, s[0:3], 0 offset:140
	v_cmpx_lt_u32_e32 16, v0
	s_cbranch_execz .LBB92_155
; %bb.154:
	s_clause 0x1
	buffer_load_dword v61, off, s[0:3], 0 offset:128
	buffer_load_dword v62, off, s[0:3], 0 offset:132
	buffer_store_dword v60, off, s[0:3], 0 offset:128
	buffer_store_dword v60, off, s[0:3], 0 offset:132
	s_waitcnt vmcnt(0)
	ds_write_b64 v59, v[61:62]
.LBB92_155:
	s_or_b32 exec_lo, exec_lo, s4
	s_waitcnt lgkmcnt(0)
	s_waitcnt_vscnt null, 0x0
	s_barrier
	buffer_gl0_inv
	s_clause 0x19
	buffer_load_dword v85, off, s[0:3], 0 offset:140
	buffer_load_dword v86, off, s[0:3], 0 offset:148
	;; [unrolled: 1-line block ×26, first 2 shown]
	ds_read2_b64 v[61:64], v60 offset0:47 offset1:48
	ds_read2_b64 v[65:68], v60 offset0:49 offset1:50
	;; [unrolled: 1-line block ×6, first 2 shown]
	s_mov_b32 s4, exec_lo
	s_waitcnt vmcnt(25) lgkmcnt(5)
	v_mul_f32_e32 v60, v61, v85
	v_mul_f32_e32 v85, v62, v85
	s_waitcnt vmcnt(24)
	v_mul_f32_e32 v111, v63, v86
	v_mul_f32_e32 v86, v64, v86
	s_waitcnt vmcnt(23) lgkmcnt(4)
	v_mul_f32_e32 v112, v65, v87
	s_waitcnt vmcnt(22)
	v_mul_f32_e32 v113, v67, v88
	s_waitcnt vmcnt(21) lgkmcnt(3)
	v_mul_f32_e32 v114, v69, v89
	s_waitcnt vmcnt(20)
	;; [unrolled: 4-line block ×4, first 2 shown]
	v_mul_f32_e32 v119, v79, v94
	s_waitcnt vmcnt(13)
	v_fma_f32 v61, v61, v97, -v85
	v_fmac_f32_e32 v60, v62, v97
	v_mul_f32_e32 v62, v66, v87
	s_waitcnt vmcnt(12)
	v_fma_f32 v63, v63, v98, -v86
	v_fmac_f32_e32 v111, v64, v98
	v_add_f32_e32 v61, 0, v61
	v_add_f32_e32 v60, 0, v60
	v_mul_f32_e32 v64, v68, v88
	s_waitcnt vmcnt(11)
	v_fma_f32 v62, v65, v99, -v62
	v_fmac_f32_e32 v112, v66, v99
	v_add_f32_e32 v61, v61, v63
	v_add_f32_e32 v60, v60, v111
	;; [unrolled: 6-line block ×8, first 2 shown]
	s_waitcnt lgkmcnt(0)
	v_mul_f32_e32 v63, v82, v95
	s_waitcnt vmcnt(4)
	v_fma_f32 v64, v79, v106, -v64
	v_mul_f32_e32 v120, v81, v95
	v_add_f32_e32 v61, v61, v62
	v_fmac_f32_e32 v119, v80, v106
	v_add_f32_e32 v60, v60, v118
	v_mul_f32_e32 v62, v84, v96
	s_waitcnt vmcnt(3)
	v_fma_f32 v63, v81, v107, -v63
	v_add_f32_e32 v61, v61, v64
	v_mul_f32_e32 v121, v83, v96
	v_fmac_f32_e32 v120, v82, v107
	v_add_f32_e32 v60, v60, v119
	s_waitcnt vmcnt(2)
	v_fma_f32 v62, v83, v108, -v62
	v_add_f32_e32 v61, v61, v63
	v_fmac_f32_e32 v121, v84, v108
	v_add_f32_e32 v60, v60, v120
	v_add_f32_e32 v61, v61, v62
	;; [unrolled: 1-line block ×3, first 2 shown]
	s_waitcnt vmcnt(1)
	v_sub_f32_e32 v61, v109, v61
	s_waitcnt vmcnt(0)
	v_sub_f32_e32 v60, v110, v60
	buffer_store_dword v61, off, s[0:3], 0 offset:128
	buffer_store_dword v60, off, s[0:3], 0 offset:132
	v_cmpx_lt_u32_e32 15, v0
	s_cbranch_execz .LBB92_157
; %bb.156:
	s_clause 0x1
	buffer_load_dword v60, off, s[0:3], 0 offset:120
	buffer_load_dword v61, off, s[0:3], 0 offset:124
	v_mov_b32_e32 v62, 0
	buffer_store_dword v62, off, s[0:3], 0 offset:120
	buffer_store_dword v62, off, s[0:3], 0 offset:124
	s_waitcnt vmcnt(0)
	ds_write_b64 v59, v[60:61]
.LBB92_157:
	s_or_b32 exec_lo, exec_lo, s4
	s_waitcnt lgkmcnt(0)
	s_waitcnt_vscnt null, 0x0
	s_barrier
	buffer_gl0_inv
	s_clause 0x1b
	buffer_load_dword v87, off, s[0:3], 0 offset:132
	buffer_load_dword v88, off, s[0:3], 0 offset:140
	buffer_load_dword v89, off, s[0:3], 0 offset:148
	buffer_load_dword v90, off, s[0:3], 0 offset:156
	buffer_load_dword v91, off, s[0:3], 0 offset:164
	buffer_load_dword v92, off, s[0:3], 0 offset:172
	buffer_load_dword v93, off, s[0:3], 0 offset:180
	buffer_load_dword v94, off, s[0:3], 0 offset:188
	buffer_load_dword v95, off, s[0:3], 0 offset:196
	buffer_load_dword v96, off, s[0:3], 0 offset:204
	buffer_load_dword v97, off, s[0:3], 0 offset:212
	buffer_load_dword v98, off, s[0:3], 0 offset:220
	buffer_load_dword v99, off, s[0:3], 0 offset:228
	buffer_load_dword v100, off, s[0:3], 0 offset:128
	buffer_load_dword v101, off, s[0:3], 0 offset:136
	buffer_load_dword v102, off, s[0:3], 0 offset:144
	buffer_load_dword v103, off, s[0:3], 0 offset:152
	buffer_load_dword v104, off, s[0:3], 0 offset:160
	buffer_load_dword v105, off, s[0:3], 0 offset:168
	buffer_load_dword v106, off, s[0:3], 0 offset:176
	buffer_load_dword v107, off, s[0:3], 0 offset:184
	buffer_load_dword v108, off, s[0:3], 0 offset:192
	buffer_load_dword v109, off, s[0:3], 0 offset:200
	buffer_load_dword v110, off, s[0:3], 0 offset:208
	buffer_load_dword v111, off, s[0:3], 0 offset:216
	buffer_load_dword v112, off, s[0:3], 0 offset:224
	buffer_load_dword v113, off, s[0:3], 0 offset:120
	buffer_load_dword v114, off, s[0:3], 0 offset:124
	v_mov_b32_e32 v60, 0
	ds_read_b128 v[61:64], v60 offset:368
	ds_read_b128 v[65:68], v60 offset:384
	;; [unrolled: 1-line block ×6, first 2 shown]
	ds_read_b64 v[85:86], v60 offset:464
	s_mov_b32 s4, exec_lo
	s_waitcnt vmcnt(27) lgkmcnt(6)
	v_mul_f32_e32 v115, v61, v87
	v_mul_f32_e32 v87, v62, v87
	s_waitcnt vmcnt(26)
	v_mul_f32_e32 v116, v63, v88
	v_mul_f32_e32 v88, v64, v88
	s_waitcnt vmcnt(25) lgkmcnt(5)
	v_mul_f32_e32 v117, v65, v89
	s_waitcnt vmcnt(24)
	v_mul_f32_e32 v118, v67, v90
	s_waitcnt vmcnt(23) lgkmcnt(4)
	v_mul_f32_e32 v119, v69, v91
	s_waitcnt vmcnt(22)
	;; [unrolled: 4-line block ×5, first 2 shown]
	v_fma_f32 v61, v61, v100, -v87
	v_fmac_f32_e32 v115, v62, v100
	v_mul_f32_e32 v62, v66, v89
	s_waitcnt vmcnt(13)
	v_fma_f32 v63, v63, v101, -v88
	v_fmac_f32_e32 v116, v64, v101
	v_add_f32_e32 v61, 0, v61
	v_add_f32_e32 v64, 0, v115
	v_mul_f32_e32 v87, v68, v90
	s_waitcnt vmcnt(12)
	v_fma_f32 v62, v65, v102, -v62
	v_fmac_f32_e32 v117, v66, v102
	v_add_f32_e32 v61, v61, v63
	v_add_f32_e32 v63, v64, v116
	;; [unrolled: 6-line block ×9, first 2 shown]
	v_mul_f32_e32 v63, v84, v98
	s_waitcnt vmcnt(4)
	v_fma_f32 v64, v81, v110, -v64
	v_mul_f32_e32 v126, v83, v98
	v_add_f32_e32 v61, v61, v65
	v_fmac_f32_e32 v125, v82, v110
	v_add_f32_e32 v62, v62, v124
	s_waitcnt lgkmcnt(0)
	v_mul_f32_e32 v65, v86, v99
	s_waitcnt vmcnt(3)
	v_fma_f32 v63, v83, v111, -v63
	v_add_f32_e32 v61, v61, v64
	v_mul_f32_e32 v127, v85, v99
	v_fmac_f32_e32 v126, v84, v111
	v_add_f32_e32 v62, v62, v125
	s_waitcnt vmcnt(2)
	v_fma_f32 v64, v85, v112, -v65
	v_add_f32_e32 v61, v61, v63
	v_fmac_f32_e32 v127, v86, v112
	v_add_f32_e32 v62, v62, v126
	v_add_f32_e32 v61, v61, v64
	;; [unrolled: 1-line block ×3, first 2 shown]
	s_waitcnt vmcnt(1)
	v_sub_f32_e32 v61, v113, v61
	s_waitcnt vmcnt(0)
	v_sub_f32_e32 v62, v114, v62
	buffer_store_dword v61, off, s[0:3], 0 offset:120
	buffer_store_dword v62, off, s[0:3], 0 offset:124
	v_cmpx_lt_u32_e32 14, v0
	s_cbranch_execz .LBB92_159
; %bb.158:
	s_clause 0x1
	buffer_load_dword v61, off, s[0:3], 0 offset:112
	buffer_load_dword v62, off, s[0:3], 0 offset:116
	buffer_store_dword v60, off, s[0:3], 0 offset:112
	buffer_store_dword v60, off, s[0:3], 0 offset:116
	s_waitcnt vmcnt(0)
	ds_write_b64 v59, v[61:62]
.LBB92_159:
	s_or_b32 exec_lo, exec_lo, s4
	s_waitcnt lgkmcnt(0)
	s_waitcnt_vscnt null, 0x0
	s_barrier
	buffer_gl0_inv
	s_clause 0x1d
	buffer_load_dword v89, off, s[0:3], 0 offset:124
	buffer_load_dword v90, off, s[0:3], 0 offset:132
	;; [unrolled: 1-line block ×30, first 2 shown]
	ds_read2_b64 v[61:64], v60 offset0:45 offset1:46
	ds_read2_b64 v[65:68], v60 offset0:47 offset1:48
	;; [unrolled: 1-line block ×7, first 2 shown]
	s_mov_b32 s4, exec_lo
	s_waitcnt vmcnt(29) lgkmcnt(6)
	v_mul_f32_e32 v60, v61, v89
	v_mul_f32_e32 v89, v62, v89
	s_waitcnt vmcnt(28)
	v_mul_f32_e32 v119, v63, v90
	v_mul_f32_e32 v90, v64, v90
	s_waitcnt vmcnt(27) lgkmcnt(5)
	v_mul_f32_e32 v120, v65, v91
	s_waitcnt vmcnt(26)
	v_mul_f32_e32 v121, v67, v92
	s_waitcnt vmcnt(25) lgkmcnt(4)
	v_mul_f32_e32 v122, v69, v93
	s_waitcnt vmcnt(24)
	;; [unrolled: 4-line block ×5, first 2 shown]
	v_mul_f32_e32 v129, v83, v100
	s_waitcnt vmcnt(15)
	v_fma_f32 v61, v61, v103, -v89
	v_fmac_f32_e32 v60, v62, v103
	v_mul_f32_e32 v62, v66, v91
	s_waitcnt vmcnt(14)
	v_fma_f32 v63, v63, v104, -v90
	v_fmac_f32_e32 v119, v64, v104
	v_add_f32_e32 v61, 0, v61
	v_add_f32_e32 v60, 0, v60
	v_mul_f32_e32 v64, v68, v92
	s_waitcnt vmcnt(13)
	v_fma_f32 v62, v65, v105, -v62
	v_fmac_f32_e32 v120, v66, v105
	v_add_f32_e32 v61, v61, v63
	v_add_f32_e32 v60, v60, v119
	;; [unrolled: 6-line block ×10, first 2 shown]
	s_waitcnt lgkmcnt(0)
	v_mul_f32_e32 v64, v86, v101
	s_waitcnt vmcnt(4)
	v_fma_f32 v62, v83, v114, -v62
	v_mul_f32_e32 v130, v85, v101
	v_add_f32_e32 v61, v61, v63
	v_fmac_f32_e32 v129, v84, v114
	v_add_f32_e32 v60, v60, v128
	v_mul_f32_e32 v63, v88, v102
	s_waitcnt vmcnt(3)
	v_fma_f32 v64, v85, v115, -v64
	v_add_f32_e32 v61, v61, v62
	v_mul_f32_e32 v131, v87, v102
	v_fmac_f32_e32 v130, v86, v115
	v_add_f32_e32 v60, v60, v129
	s_waitcnt vmcnt(2)
	v_fma_f32 v62, v87, v116, -v63
	v_add_f32_e32 v61, v61, v64
	v_fmac_f32_e32 v131, v88, v116
	v_add_f32_e32 v60, v60, v130
	v_add_f32_e32 v61, v61, v62
	;; [unrolled: 1-line block ×3, first 2 shown]
	s_waitcnt vmcnt(1)
	v_sub_f32_e32 v61, v117, v61
	s_waitcnt vmcnt(0)
	v_sub_f32_e32 v60, v118, v60
	buffer_store_dword v61, off, s[0:3], 0 offset:112
	buffer_store_dword v60, off, s[0:3], 0 offset:116
	v_cmpx_lt_u32_e32 13, v0
	s_cbranch_execz .LBB92_161
; %bb.160:
	s_clause 0x1
	buffer_load_dword v60, off, s[0:3], 0 offset:104
	buffer_load_dword v61, off, s[0:3], 0 offset:108
	v_mov_b32_e32 v62, 0
	buffer_store_dword v62, off, s[0:3], 0 offset:104
	buffer_store_dword v62, off, s[0:3], 0 offset:108
	s_waitcnt vmcnt(0)
	ds_write_b64 v59, v[60:61]
.LBB92_161:
	s_or_b32 exec_lo, exec_lo, s4
	s_waitcnt lgkmcnt(0)
	s_waitcnt_vscnt null, 0x0
	s_barrier
	buffer_gl0_inv
	s_clause 0x1f
	buffer_load_dword v91, off, s[0:3], 0 offset:116
	buffer_load_dword v92, off, s[0:3], 0 offset:124
	;; [unrolled: 1-line block ×32, first 2 shown]
	v_mov_b32_e32 v60, 0
	ds_read_b128 v[61:64], v60 offset:352
	ds_read_b128 v[65:68], v60 offset:368
	;; [unrolled: 1-line block ×7, first 2 shown]
	ds_read_b64 v[89:90], v60 offset:464
	s_mov_b32 s4, exec_lo
	s_waitcnt vmcnt(31) lgkmcnt(7)
	v_mul_f32_e32 v123, v61, v91
	v_mul_f32_e32 v91, v62, v91
	s_waitcnt vmcnt(30)
	v_mul_f32_e32 v124, v63, v92
	v_mul_f32_e32 v92, v64, v92
	s_waitcnt vmcnt(29) lgkmcnt(6)
	v_mul_f32_e32 v125, v65, v93
	s_waitcnt vmcnt(28)
	v_mul_f32_e32 v126, v67, v94
	s_waitcnt vmcnt(27) lgkmcnt(5)
	v_mul_f32_e32 v127, v69, v95
	s_waitcnt vmcnt(26)
	;; [unrolled: 4-line block ×6, first 2 shown]
	v_fma_f32 v61, v61, v106, -v91
	v_fmac_f32_e32 v123, v62, v106
	v_mul_f32_e32 v62, v66, v93
	s_waitcnt vmcnt(15)
	v_fma_f32 v63, v63, v107, -v92
	v_fmac_f32_e32 v124, v64, v107
	v_add_f32_e32 v61, 0, v61
	v_add_f32_e32 v64, 0, v123
	v_mul_f32_e32 v91, v68, v94
	s_waitcnt vmcnt(14)
	v_fma_f32 v62, v65, v108, -v62
	v_fmac_f32_e32 v125, v66, v108
	v_add_f32_e32 v61, v61, v63
	v_add_f32_e32 v63, v64, v124
	;; [unrolled: 6-line block ×11, first 2 shown]
	v_mul_f32_e32 v64, v88, v104
	s_waitcnt vmcnt(4)
	v_fma_f32 v65, v85, v118, -v65
	v_mul_f32_e32 v136, v87, v104
	v_add_f32_e32 v61, v61, v63
	v_fmac_f32_e32 v135, v86, v118
	v_add_f32_e32 v62, v62, v134
	s_waitcnt lgkmcnt(0)
	v_mul_f32_e32 v63, v90, v105
	s_waitcnt vmcnt(3)
	v_fma_f32 v64, v87, v119, -v64
	v_add_f32_e32 v61, v61, v65
	v_mul_f32_e32 v137, v89, v105
	v_fmac_f32_e32 v136, v88, v119
	v_add_f32_e32 v62, v62, v135
	s_waitcnt vmcnt(2)
	v_fma_f32 v63, v89, v120, -v63
	v_add_f32_e32 v61, v61, v64
	v_fmac_f32_e32 v137, v90, v120
	v_add_f32_e32 v62, v62, v136
	v_add_f32_e32 v61, v61, v63
	;; [unrolled: 1-line block ×3, first 2 shown]
	s_waitcnt vmcnt(1)
	v_sub_f32_e32 v61, v121, v61
	s_waitcnt vmcnt(0)
	v_sub_f32_e32 v62, v122, v62
	buffer_store_dword v61, off, s[0:3], 0 offset:104
	buffer_store_dword v62, off, s[0:3], 0 offset:108
	v_cmpx_lt_u32_e32 12, v0
	s_cbranch_execz .LBB92_163
; %bb.162:
	s_clause 0x1
	buffer_load_dword v61, off, s[0:3], 0 offset:96
	buffer_load_dword v62, off, s[0:3], 0 offset:100
	buffer_store_dword v60, off, s[0:3], 0 offset:96
	buffer_store_dword v60, off, s[0:3], 0 offset:100
	s_waitcnt vmcnt(0)
	ds_write_b64 v59, v[61:62]
.LBB92_163:
	s_or_b32 exec_lo, exec_lo, s4
	s_waitcnt lgkmcnt(0)
	s_waitcnt_vscnt null, 0x0
	s_barrier
	buffer_gl0_inv
	s_clause 0x21
	buffer_load_dword v93, off, s[0:3], 0 offset:108
	buffer_load_dword v94, off, s[0:3], 0 offset:116
	;; [unrolled: 1-line block ×34, first 2 shown]
	ds_read2_b64 v[61:64], v60 offset0:43 offset1:44
	ds_read2_b64 v[65:68], v60 offset0:45 offset1:46
	;; [unrolled: 1-line block ×8, first 2 shown]
	s_mov_b32 s4, exec_lo
	s_waitcnt vmcnt(33) lgkmcnt(7)
	v_mul_f32_e32 v60, v61, v93
	v_mul_f32_e32 v93, v62, v93
	s_waitcnt vmcnt(32)
	v_mul_f32_e32 v127, v63, v94
	v_mul_f32_e32 v94, v64, v94
	s_waitcnt vmcnt(31) lgkmcnt(6)
	v_mul_f32_e32 v128, v65, v95
	s_waitcnt vmcnt(30)
	v_mul_f32_e32 v129, v67, v96
	s_waitcnt vmcnt(29) lgkmcnt(5)
	v_mul_f32_e32 v130, v69, v97
	s_waitcnt vmcnt(28)
	;; [unrolled: 4-line block ×6, first 2 shown]
	v_mul_f32_e32 v139, v87, v106
	s_waitcnt vmcnt(17)
	v_fma_f32 v61, v61, v109, -v93
	v_fmac_f32_e32 v60, v62, v109
	v_mul_f32_e32 v62, v66, v95
	s_waitcnt vmcnt(16)
	v_fma_f32 v63, v63, v110, -v94
	v_fmac_f32_e32 v127, v64, v110
	v_add_f32_e32 v61, 0, v61
	v_add_f32_e32 v60, 0, v60
	v_mul_f32_e32 v64, v68, v96
	s_waitcnt vmcnt(15)
	v_fma_f32 v62, v65, v111, -v62
	v_fmac_f32_e32 v128, v66, v111
	v_add_f32_e32 v61, v61, v63
	v_add_f32_e32 v60, v60, v127
	v_mul_f32_e32 v63, v70, v97
	s_waitcnt vmcnt(14)
	v_fma_f32 v64, v67, v112, -v64
	v_fmac_f32_e32 v129, v68, v112
	v_add_f32_e32 v61, v61, v62
	v_add_f32_e32 v60, v60, v128
	v_mul_f32_e32 v62, v72, v98
	s_waitcnt vmcnt(13)
	v_fma_f32 v63, v69, v113, -v63
	v_fmac_f32_e32 v130, v70, v113
	v_add_f32_e32 v61, v61, v64
	v_add_f32_e32 v60, v60, v129
	v_mul_f32_e32 v64, v74, v99
	s_waitcnt vmcnt(12)
	v_fma_f32 v62, v71, v114, -v62
	v_fmac_f32_e32 v131, v72, v114
	v_add_f32_e32 v61, v61, v63
	v_add_f32_e32 v60, v60, v130
	v_mul_f32_e32 v63, v76, v100
	s_waitcnt vmcnt(11)
	v_fma_f32 v64, v73, v115, -v64
	v_fmac_f32_e32 v132, v74, v115
	v_add_f32_e32 v61, v61, v62
	v_add_f32_e32 v60, v60, v131
	v_mul_f32_e32 v62, v78, v101
	s_waitcnt vmcnt(10)
	v_fma_f32 v63, v75, v116, -v63
	v_fmac_f32_e32 v133, v76, v116
	v_add_f32_e32 v61, v61, v64
	v_add_f32_e32 v60, v60, v132
	v_mul_f32_e32 v64, v80, v102
	s_waitcnt vmcnt(9)
	v_fma_f32 v62, v77, v117, -v62
	v_fmac_f32_e32 v134, v78, v117
	v_add_f32_e32 v61, v61, v63
	v_add_f32_e32 v60, v60, v133
	v_mul_f32_e32 v63, v82, v103
	s_waitcnt vmcnt(8)
	v_fma_f32 v64, v79, v118, -v64
	v_fmac_f32_e32 v135, v80, v118
	v_add_f32_e32 v61, v61, v62
	v_add_f32_e32 v60, v60, v134
	v_mul_f32_e32 v62, v84, v104
	s_waitcnt vmcnt(7)
	v_fma_f32 v63, v81, v119, -v63
	v_fmac_f32_e32 v136, v82, v119
	v_add_f32_e32 v61, v61, v64
	v_add_f32_e32 v60, v60, v135
	v_mul_f32_e32 v64, v86, v105
	s_waitcnt vmcnt(6)
	v_fma_f32 v62, v83, v120, -v62
	v_fmac_f32_e32 v137, v84, v120
	v_add_f32_e32 v61, v61, v63
	v_add_f32_e32 v60, v60, v136
	v_mul_f32_e32 v63, v88, v106
	s_waitcnt vmcnt(5)
	v_fma_f32 v64, v85, v121, -v64
	v_fmac_f32_e32 v138, v86, v121
	v_add_f32_e32 v61, v61, v62
	v_add_f32_e32 v60, v60, v137
	s_waitcnt lgkmcnt(0)
	v_mul_f32_e32 v62, v90, v107
	s_waitcnt vmcnt(4)
	v_fma_f32 v63, v87, v122, -v63
	v_mul_f32_e32 v140, v89, v107
	v_add_f32_e32 v61, v61, v64
	v_fmac_f32_e32 v139, v88, v122
	v_add_f32_e32 v60, v60, v138
	v_mul_f32_e32 v64, v92, v108
	s_waitcnt vmcnt(3)
	v_fma_f32 v62, v89, v123, -v62
	v_add_f32_e32 v61, v61, v63
	v_mul_f32_e32 v141, v91, v108
	v_fmac_f32_e32 v140, v90, v123
	v_add_f32_e32 v60, v60, v139
	s_waitcnt vmcnt(2)
	v_fma_f32 v63, v91, v124, -v64
	v_add_f32_e32 v61, v61, v62
	v_fmac_f32_e32 v141, v92, v124
	v_add_f32_e32 v60, v60, v140
	v_add_f32_e32 v61, v61, v63
	;; [unrolled: 1-line block ×3, first 2 shown]
	s_waitcnt vmcnt(1)
	v_sub_f32_e32 v61, v125, v61
	s_waitcnt vmcnt(0)
	v_sub_f32_e32 v60, v126, v60
	buffer_store_dword v61, off, s[0:3], 0 offset:96
	buffer_store_dword v60, off, s[0:3], 0 offset:100
	v_cmpx_lt_u32_e32 11, v0
	s_cbranch_execz .LBB92_165
; %bb.164:
	s_clause 0x1
	buffer_load_dword v60, off, s[0:3], 0 offset:88
	buffer_load_dword v61, off, s[0:3], 0 offset:92
	v_mov_b32_e32 v62, 0
	buffer_store_dword v62, off, s[0:3], 0 offset:88
	buffer_store_dword v62, off, s[0:3], 0 offset:92
	s_waitcnt vmcnt(0)
	ds_write_b64 v59, v[60:61]
.LBB92_165:
	s_or_b32 exec_lo, exec_lo, s4
	s_waitcnt lgkmcnt(0)
	s_waitcnt_vscnt null, 0x0
	s_barrier
	buffer_gl0_inv
	s_clause 0x23
	buffer_load_dword v95, off, s[0:3], 0 offset:100
	buffer_load_dword v96, off, s[0:3], 0 offset:108
	;; [unrolled: 1-line block ×36, first 2 shown]
	v_mov_b32_e32 v60, 0
	ds_read_b128 v[61:64], v60 offset:336
	ds_read_b128 v[65:68], v60 offset:352
	;; [unrolled: 1-line block ×8, first 2 shown]
	ds_read_b64 v[93:94], v60 offset:464
	s_mov_b32 s4, exec_lo
	s_waitcnt vmcnt(35) lgkmcnt(8)
	v_mul_f32_e32 v131, v61, v95
	v_mul_f32_e32 v95, v62, v95
	s_waitcnt vmcnt(34)
	v_mul_f32_e32 v132, v63, v96
	v_mul_f32_e32 v96, v64, v96
	s_waitcnt vmcnt(33) lgkmcnt(7)
	v_mul_f32_e32 v133, v65, v97
	s_waitcnt vmcnt(32)
	v_mul_f32_e32 v134, v67, v98
	s_waitcnt vmcnt(31) lgkmcnt(6)
	v_mul_f32_e32 v135, v69, v99
	s_waitcnt vmcnt(30)
	;; [unrolled: 4-line block ×7, first 2 shown]
	v_fma_f32 v61, v61, v112, -v95
	v_fmac_f32_e32 v131, v62, v112
	v_mul_f32_e32 v62, v66, v97
	s_waitcnt vmcnt(17)
	v_fma_f32 v63, v63, v113, -v96
	v_fmac_f32_e32 v132, v64, v113
	v_add_f32_e32 v61, 0, v61
	v_add_f32_e32 v64, 0, v131
	v_mul_f32_e32 v95, v68, v98
	s_waitcnt vmcnt(16)
	v_fma_f32 v62, v65, v114, -v62
	v_fmac_f32_e32 v133, v66, v114
	v_add_f32_e32 v61, v61, v63
	v_add_f32_e32 v63, v64, v132
	;; [unrolled: 6-line block ×13, first 2 shown]
	v_mul_f32_e32 v65, v92, v110
	s_waitcnt vmcnt(4)
	v_fma_f32 v63, v89, v126, -v63
	v_mul_f32_e32 v146, v91, v110
	v_add_f32_e32 v61, v61, v64
	v_fmac_f32_e32 v145, v90, v126
	v_add_f32_e32 v62, v62, v144
	s_waitcnt lgkmcnt(0)
	v_mul_f32_e32 v64, v94, v111
	s_waitcnt vmcnt(3)
	v_fma_f32 v65, v91, v127, -v65
	v_add_f32_e32 v61, v61, v63
	v_mul_f32_e32 v147, v93, v111
	v_fmac_f32_e32 v146, v92, v127
	v_add_f32_e32 v62, v62, v145
	s_waitcnt vmcnt(2)
	v_fma_f32 v63, v93, v128, -v64
	v_add_f32_e32 v61, v61, v65
	v_fmac_f32_e32 v147, v94, v128
	v_add_f32_e32 v62, v62, v146
	v_add_f32_e32 v61, v61, v63
	;; [unrolled: 1-line block ×3, first 2 shown]
	s_waitcnt vmcnt(1)
	v_sub_f32_e32 v61, v129, v61
	s_waitcnt vmcnt(0)
	v_sub_f32_e32 v62, v130, v62
	buffer_store_dword v61, off, s[0:3], 0 offset:88
	buffer_store_dword v62, off, s[0:3], 0 offset:92
	v_cmpx_lt_u32_e32 10, v0
	s_cbranch_execz .LBB92_167
; %bb.166:
	s_clause 0x1
	buffer_load_dword v61, off, s[0:3], 0 offset:80
	buffer_load_dword v62, off, s[0:3], 0 offset:84
	buffer_store_dword v60, off, s[0:3], 0 offset:80
	buffer_store_dword v60, off, s[0:3], 0 offset:84
	s_waitcnt vmcnt(0)
	ds_write_b64 v59, v[61:62]
.LBB92_167:
	s_or_b32 exec_lo, exec_lo, s4
	s_waitcnt lgkmcnt(0)
	s_waitcnt_vscnt null, 0x0
	s_barrier
	buffer_gl0_inv
	s_clause 0x25
	buffer_load_dword v97, off, s[0:3], 0 offset:92
	buffer_load_dword v98, off, s[0:3], 0 offset:100
	;; [unrolled: 1-line block ×38, first 2 shown]
	ds_read2_b64 v[61:64], v60 offset0:41 offset1:42
	ds_read2_b64 v[65:68], v60 offset0:43 offset1:44
	;; [unrolled: 1-line block ×9, first 2 shown]
	s_mov_b32 s4, exec_lo
	s_waitcnt vmcnt(37) lgkmcnt(8)
	v_mul_f32_e32 v60, v61, v97
	v_mul_f32_e32 v97, v62, v97
	s_waitcnt vmcnt(36)
	v_mul_f32_e32 v135, v63, v98
	v_mul_f32_e32 v98, v64, v98
	s_waitcnt vmcnt(35) lgkmcnt(7)
	v_mul_f32_e32 v136, v65, v99
	s_waitcnt vmcnt(34)
	v_mul_f32_e32 v137, v67, v100
	s_waitcnt vmcnt(33) lgkmcnt(6)
	v_mul_f32_e32 v138, v69, v101
	s_waitcnt vmcnt(32)
	;; [unrolled: 4-line block ×7, first 2 shown]
	v_mul_f32_e32 v149, v91, v112
	s_waitcnt vmcnt(19)
	v_fma_f32 v61, v61, v115, -v97
	v_fmac_f32_e32 v60, v62, v115
	v_mul_f32_e32 v62, v66, v99
	s_waitcnt vmcnt(18)
	v_fma_f32 v63, v63, v116, -v98
	v_fmac_f32_e32 v135, v64, v116
	v_add_f32_e32 v61, 0, v61
	v_add_f32_e32 v60, 0, v60
	v_mul_f32_e32 v64, v68, v100
	s_waitcnt vmcnt(17)
	v_fma_f32 v62, v65, v117, -v62
	v_fmac_f32_e32 v136, v66, v117
	v_add_f32_e32 v61, v61, v63
	v_add_f32_e32 v60, v60, v135
	v_mul_f32_e32 v63, v70, v101
	s_waitcnt vmcnt(16)
	v_fma_f32 v64, v67, v118, -v64
	v_fmac_f32_e32 v137, v68, v118
	v_add_f32_e32 v61, v61, v62
	v_add_f32_e32 v60, v60, v136
	v_mul_f32_e32 v62, v72, v102
	s_waitcnt vmcnt(15)
	v_fma_f32 v63, v69, v119, -v63
	v_fmac_f32_e32 v138, v70, v119
	v_add_f32_e32 v61, v61, v64
	v_add_f32_e32 v60, v60, v137
	v_mul_f32_e32 v64, v74, v103
	s_waitcnt vmcnt(14)
	v_fma_f32 v62, v71, v120, -v62
	v_fmac_f32_e32 v139, v72, v120
	v_add_f32_e32 v61, v61, v63
	v_add_f32_e32 v60, v60, v138
	v_mul_f32_e32 v63, v76, v104
	s_waitcnt vmcnt(13)
	v_fma_f32 v64, v73, v121, -v64
	v_fmac_f32_e32 v140, v74, v121
	v_add_f32_e32 v61, v61, v62
	v_add_f32_e32 v60, v60, v139
	v_mul_f32_e32 v62, v78, v105
	s_waitcnt vmcnt(12)
	v_fma_f32 v63, v75, v122, -v63
	v_fmac_f32_e32 v141, v76, v122
	v_add_f32_e32 v61, v61, v64
	v_add_f32_e32 v60, v60, v140
	v_mul_f32_e32 v64, v80, v106
	s_waitcnt vmcnt(11)
	v_fma_f32 v62, v77, v123, -v62
	v_fmac_f32_e32 v142, v78, v123
	v_add_f32_e32 v61, v61, v63
	v_add_f32_e32 v60, v60, v141
	v_mul_f32_e32 v63, v82, v107
	s_waitcnt vmcnt(10)
	v_fma_f32 v64, v79, v124, -v64
	v_fmac_f32_e32 v143, v80, v124
	v_add_f32_e32 v61, v61, v62
	v_add_f32_e32 v60, v60, v142
	v_mul_f32_e32 v62, v84, v108
	s_waitcnt vmcnt(9)
	v_fma_f32 v63, v81, v125, -v63
	v_fmac_f32_e32 v144, v82, v125
	v_add_f32_e32 v61, v61, v64
	v_add_f32_e32 v60, v60, v143
	v_mul_f32_e32 v64, v86, v109
	s_waitcnt vmcnt(8)
	v_fma_f32 v62, v83, v126, -v62
	v_fmac_f32_e32 v145, v84, v126
	v_add_f32_e32 v61, v61, v63
	v_add_f32_e32 v60, v60, v144
	v_mul_f32_e32 v63, v88, v110
	s_waitcnt vmcnt(7)
	v_fma_f32 v64, v85, v127, -v64
	v_fmac_f32_e32 v146, v86, v127
	v_add_f32_e32 v61, v61, v62
	v_add_f32_e32 v60, v60, v145
	v_mul_f32_e32 v62, v90, v111
	s_waitcnt vmcnt(6)
	v_fma_f32 v63, v87, v128, -v63
	v_fmac_f32_e32 v147, v88, v128
	v_add_f32_e32 v61, v61, v64
	v_add_f32_e32 v60, v60, v146
	v_mul_f32_e32 v64, v92, v112
	s_waitcnt vmcnt(5)
	v_fma_f32 v62, v89, v129, -v62
	v_fmac_f32_e32 v148, v90, v129
	v_add_f32_e32 v61, v61, v63
	v_add_f32_e32 v60, v60, v147
	s_waitcnt lgkmcnt(0)
	v_mul_f32_e32 v63, v94, v113
	s_waitcnt vmcnt(4)
	v_fma_f32 v64, v91, v130, -v64
	v_mul_f32_e32 v150, v93, v113
	v_add_f32_e32 v61, v61, v62
	v_fmac_f32_e32 v149, v92, v130
	v_add_f32_e32 v60, v60, v148
	v_mul_f32_e32 v62, v96, v114
	s_waitcnt vmcnt(3)
	v_fma_f32 v63, v93, v131, -v63
	v_add_f32_e32 v61, v61, v64
	v_mul_f32_e32 v151, v95, v114
	v_fmac_f32_e32 v150, v94, v131
	v_add_f32_e32 v60, v60, v149
	s_waitcnt vmcnt(2)
	v_fma_f32 v62, v95, v132, -v62
	v_add_f32_e32 v61, v61, v63
	v_fmac_f32_e32 v151, v96, v132
	v_add_f32_e32 v60, v60, v150
	v_add_f32_e32 v61, v61, v62
	;; [unrolled: 1-line block ×3, first 2 shown]
	s_waitcnt vmcnt(1)
	v_sub_f32_e32 v61, v133, v61
	s_waitcnt vmcnt(0)
	v_sub_f32_e32 v60, v134, v60
	buffer_store_dword v61, off, s[0:3], 0 offset:80
	buffer_store_dword v60, off, s[0:3], 0 offset:84
	v_cmpx_lt_u32_e32 9, v0
	s_cbranch_execz .LBB92_169
; %bb.168:
	s_clause 0x1
	buffer_load_dword v60, off, s[0:3], 0 offset:72
	buffer_load_dword v61, off, s[0:3], 0 offset:76
	v_mov_b32_e32 v62, 0
	buffer_store_dword v62, off, s[0:3], 0 offset:72
	buffer_store_dword v62, off, s[0:3], 0 offset:76
	s_waitcnt vmcnt(0)
	ds_write_b64 v59, v[60:61]
.LBB92_169:
	s_or_b32 exec_lo, exec_lo, s4
	s_waitcnt lgkmcnt(0)
	s_waitcnt_vscnt null, 0x0
	s_barrier
	buffer_gl0_inv
	s_clause 0x27
	buffer_load_dword v99, off, s[0:3], 0 offset:84
	buffer_load_dword v100, off, s[0:3], 0 offset:92
	;; [unrolled: 1-line block ×40, first 2 shown]
	v_mov_b32_e32 v60, 0
	ds_read_b128 v[61:64], v60 offset:320
	ds_read_b128 v[65:68], v60 offset:336
	;; [unrolled: 1-line block ×9, first 2 shown]
	ds_read_b64 v[97:98], v60 offset:464
	s_mov_b32 s4, exec_lo
	s_waitcnt vmcnt(39) lgkmcnt(9)
	v_mul_f32_e32 v139, v61, v99
	v_mul_f32_e32 v99, v62, v99
	s_waitcnt vmcnt(38)
	v_mul_f32_e32 v140, v63, v100
	v_mul_f32_e32 v100, v64, v100
	s_waitcnt vmcnt(37) lgkmcnt(8)
	v_mul_f32_e32 v141, v65, v101
	s_waitcnt vmcnt(36)
	v_mul_f32_e32 v142, v67, v102
	s_waitcnt vmcnt(35) lgkmcnt(7)
	v_mul_f32_e32 v143, v69, v103
	s_waitcnt vmcnt(34)
	;; [unrolled: 4-line block ×8, first 2 shown]
	v_fma_f32 v61, v61, v118, -v99
	v_fmac_f32_e32 v139, v62, v118
	v_mul_f32_e32 v62, v66, v101
	s_waitcnt vmcnt(19)
	v_fma_f32 v63, v63, v119, -v100
	v_fmac_f32_e32 v140, v64, v119
	v_add_f32_e32 v61, 0, v61
	v_add_f32_e32 v64, 0, v139
	v_mul_f32_e32 v99, v68, v102
	s_waitcnt vmcnt(18)
	v_fma_f32 v62, v65, v120, -v62
	v_fmac_f32_e32 v141, v66, v120
	v_add_f32_e32 v61, v61, v63
	v_add_f32_e32 v63, v64, v140
	;; [unrolled: 6-line block ×15, first 2 shown]
	v_mul_f32_e32 v63, v96, v116
	s_waitcnt vmcnt(4)
	v_fma_f32 v64, v93, v134, -v64
	v_mul_f32_e32 v156, v95, v116
	v_add_f32_e32 v61, v61, v65
	v_fmac_f32_e32 v155, v94, v134
	v_add_f32_e32 v62, v62, v154
	s_waitcnt lgkmcnt(0)
	v_mul_f32_e32 v65, v98, v117
	s_waitcnt vmcnt(3)
	v_fma_f32 v63, v95, v135, -v63
	v_add_f32_e32 v61, v61, v64
	v_mul_f32_e32 v157, v97, v117
	v_fmac_f32_e32 v156, v96, v135
	v_add_f32_e32 v62, v62, v155
	s_waitcnt vmcnt(2)
	v_fma_f32 v64, v97, v136, -v65
	v_add_f32_e32 v61, v61, v63
	v_fmac_f32_e32 v157, v98, v136
	v_add_f32_e32 v62, v62, v156
	v_add_f32_e32 v61, v61, v64
	;; [unrolled: 1-line block ×3, first 2 shown]
	s_waitcnt vmcnt(1)
	v_sub_f32_e32 v61, v137, v61
	s_waitcnt vmcnt(0)
	v_sub_f32_e32 v62, v138, v62
	buffer_store_dword v61, off, s[0:3], 0 offset:72
	buffer_store_dword v62, off, s[0:3], 0 offset:76
	v_cmpx_lt_u32_e32 8, v0
	s_cbranch_execz .LBB92_171
; %bb.170:
	s_clause 0x1
	buffer_load_dword v61, off, s[0:3], 0 offset:64
	buffer_load_dword v62, off, s[0:3], 0 offset:68
	buffer_store_dword v60, off, s[0:3], 0 offset:64
	buffer_store_dword v60, off, s[0:3], 0 offset:68
	s_waitcnt vmcnt(0)
	ds_write_b64 v59, v[61:62]
.LBB92_171:
	s_or_b32 exec_lo, exec_lo, s4
	s_waitcnt lgkmcnt(0)
	s_waitcnt_vscnt null, 0x0
	s_barrier
	buffer_gl0_inv
	s_clause 0x29
	buffer_load_dword v101, off, s[0:3], 0 offset:76
	buffer_load_dword v102, off, s[0:3], 0 offset:84
	;; [unrolled: 1-line block ×42, first 2 shown]
	ds_read2_b64 v[61:64], v60 offset0:39 offset1:40
	ds_read2_b64 v[65:68], v60 offset0:41 offset1:42
	;; [unrolled: 1-line block ×10, first 2 shown]
	s_mov_b32 s4, exec_lo
	s_waitcnt vmcnt(41) lgkmcnt(9)
	v_mul_f32_e32 v60, v61, v101
	v_mul_f32_e32 v101, v62, v101
	s_waitcnt vmcnt(40)
	v_mul_f32_e32 v143, v63, v102
	v_mul_f32_e32 v102, v64, v102
	s_waitcnt vmcnt(39) lgkmcnt(8)
	v_mul_f32_e32 v144, v65, v103
	s_waitcnt vmcnt(38)
	v_mul_f32_e32 v145, v67, v104
	s_waitcnt vmcnt(37) lgkmcnt(7)
	v_mul_f32_e32 v146, v69, v105
	s_waitcnt vmcnt(36)
	;; [unrolled: 4-line block ×8, first 2 shown]
	v_mul_f32_e32 v159, v95, v118
	s_waitcnt vmcnt(21)
	v_fma_f32 v61, v61, v121, -v101
	v_fmac_f32_e32 v60, v62, v121
	v_mul_f32_e32 v62, v66, v103
	s_waitcnt vmcnt(20)
	v_fma_f32 v63, v63, v122, -v102
	v_fmac_f32_e32 v143, v64, v122
	v_add_f32_e32 v61, 0, v61
	v_add_f32_e32 v60, 0, v60
	v_mul_f32_e32 v64, v68, v104
	s_waitcnt vmcnt(19)
	v_fma_f32 v62, v65, v123, -v62
	v_fmac_f32_e32 v144, v66, v123
	v_add_f32_e32 v61, v61, v63
	v_add_f32_e32 v60, v60, v143
	v_mul_f32_e32 v63, v70, v105
	s_waitcnt vmcnt(18)
	v_fma_f32 v64, v67, v124, -v64
	v_fmac_f32_e32 v145, v68, v124
	v_add_f32_e32 v61, v61, v62
	v_add_f32_e32 v60, v60, v144
	v_mul_f32_e32 v62, v72, v106
	s_waitcnt vmcnt(17)
	v_fma_f32 v63, v69, v125, -v63
	v_fmac_f32_e32 v146, v70, v125
	v_add_f32_e32 v61, v61, v64
	v_add_f32_e32 v60, v60, v145
	v_mul_f32_e32 v64, v74, v107
	s_waitcnt vmcnt(16)
	v_fma_f32 v62, v71, v126, -v62
	v_fmac_f32_e32 v147, v72, v126
	v_add_f32_e32 v61, v61, v63
	v_add_f32_e32 v60, v60, v146
	v_mul_f32_e32 v63, v76, v108
	s_waitcnt vmcnt(15)
	v_fma_f32 v64, v73, v127, -v64
	v_fmac_f32_e32 v148, v74, v127
	v_add_f32_e32 v61, v61, v62
	v_add_f32_e32 v60, v60, v147
	v_mul_f32_e32 v62, v78, v109
	s_waitcnt vmcnt(14)
	v_fma_f32 v63, v75, v128, -v63
	v_fmac_f32_e32 v149, v76, v128
	v_add_f32_e32 v61, v61, v64
	v_add_f32_e32 v60, v60, v148
	v_mul_f32_e32 v64, v80, v110
	s_waitcnt vmcnt(13)
	v_fma_f32 v62, v77, v129, -v62
	v_fmac_f32_e32 v150, v78, v129
	v_add_f32_e32 v61, v61, v63
	v_add_f32_e32 v60, v60, v149
	v_mul_f32_e32 v63, v82, v111
	s_waitcnt vmcnt(12)
	v_fma_f32 v64, v79, v130, -v64
	v_fmac_f32_e32 v151, v80, v130
	v_add_f32_e32 v61, v61, v62
	v_add_f32_e32 v60, v60, v150
	v_mul_f32_e32 v62, v84, v112
	s_waitcnt vmcnt(11)
	v_fma_f32 v63, v81, v131, -v63
	v_fmac_f32_e32 v152, v82, v131
	v_add_f32_e32 v61, v61, v64
	v_add_f32_e32 v60, v60, v151
	v_mul_f32_e32 v64, v86, v113
	s_waitcnt vmcnt(10)
	v_fma_f32 v62, v83, v132, -v62
	v_fmac_f32_e32 v153, v84, v132
	v_add_f32_e32 v61, v61, v63
	v_add_f32_e32 v60, v60, v152
	v_mul_f32_e32 v63, v88, v114
	s_waitcnt vmcnt(9)
	v_fma_f32 v64, v85, v133, -v64
	v_fmac_f32_e32 v154, v86, v133
	v_add_f32_e32 v61, v61, v62
	v_add_f32_e32 v60, v60, v153
	v_mul_f32_e32 v62, v90, v115
	s_waitcnt vmcnt(8)
	v_fma_f32 v63, v87, v134, -v63
	v_fmac_f32_e32 v155, v88, v134
	v_add_f32_e32 v61, v61, v64
	v_add_f32_e32 v60, v60, v154
	v_mul_f32_e32 v64, v92, v116
	s_waitcnt vmcnt(7)
	v_fma_f32 v62, v89, v135, -v62
	v_fmac_f32_e32 v156, v90, v135
	v_add_f32_e32 v61, v61, v63
	v_add_f32_e32 v60, v60, v155
	v_mul_f32_e32 v63, v94, v117
	s_waitcnt vmcnt(6)
	v_fma_f32 v64, v91, v136, -v64
	v_fmac_f32_e32 v157, v92, v136
	v_add_f32_e32 v61, v61, v62
	v_add_f32_e32 v60, v60, v156
	v_mul_f32_e32 v62, v96, v118
	s_waitcnt vmcnt(5)
	v_fma_f32 v63, v93, v137, -v63
	v_fmac_f32_e32 v158, v94, v137
	v_add_f32_e32 v61, v61, v64
	v_add_f32_e32 v60, v60, v157
	s_waitcnt lgkmcnt(0)
	v_mul_f32_e32 v64, v98, v119
	s_waitcnt vmcnt(4)
	v_fma_f32 v62, v95, v138, -v62
	v_mul_f32_e32 v160, v97, v119
	v_add_f32_e32 v61, v61, v63
	v_fmac_f32_e32 v159, v96, v138
	v_add_f32_e32 v60, v60, v158
	v_mul_f32_e32 v63, v100, v120
	s_waitcnt vmcnt(3)
	v_fma_f32 v64, v97, v139, -v64
	v_add_f32_e32 v61, v61, v62
	v_mul_f32_e32 v161, v99, v120
	v_fmac_f32_e32 v160, v98, v139
	v_add_f32_e32 v60, v60, v159
	s_waitcnt vmcnt(2)
	v_fma_f32 v62, v99, v140, -v63
	v_add_f32_e32 v61, v61, v64
	v_fmac_f32_e32 v161, v100, v140
	v_add_f32_e32 v60, v60, v160
	v_add_f32_e32 v61, v61, v62
	;; [unrolled: 1-line block ×3, first 2 shown]
	s_waitcnt vmcnt(1)
	v_sub_f32_e32 v61, v141, v61
	s_waitcnt vmcnt(0)
	v_sub_f32_e32 v60, v142, v60
	buffer_store_dword v61, off, s[0:3], 0 offset:64
	buffer_store_dword v60, off, s[0:3], 0 offset:68
	v_cmpx_lt_u32_e32 7, v0
	s_cbranch_execz .LBB92_173
; %bb.172:
	s_clause 0x1
	buffer_load_dword v60, off, s[0:3], 0 offset:56
	buffer_load_dword v61, off, s[0:3], 0 offset:60
	v_mov_b32_e32 v62, 0
	buffer_store_dword v62, off, s[0:3], 0 offset:56
	buffer_store_dword v62, off, s[0:3], 0 offset:60
	s_waitcnt vmcnt(0)
	ds_write_b64 v59, v[60:61]
.LBB92_173:
	s_or_b32 exec_lo, exec_lo, s4
	s_waitcnt lgkmcnt(0)
	s_waitcnt_vscnt null, 0x0
	s_barrier
	buffer_gl0_inv
	s_clause 0x2b
	buffer_load_dword v103, off, s[0:3], 0 offset:68
	buffer_load_dword v104, off, s[0:3], 0 offset:76
	buffer_load_dword v105, off, s[0:3], 0 offset:84
	buffer_load_dword v106, off, s[0:3], 0 offset:92
	buffer_load_dword v107, off, s[0:3], 0 offset:100
	buffer_load_dword v108, off, s[0:3], 0 offset:108
	buffer_load_dword v109, off, s[0:3], 0 offset:116
	buffer_load_dword v110, off, s[0:3], 0 offset:124
	buffer_load_dword v111, off, s[0:3], 0 offset:132
	buffer_load_dword v112, off, s[0:3], 0 offset:140
	buffer_load_dword v113, off, s[0:3], 0 offset:148
	buffer_load_dword v114, off, s[0:3], 0 offset:156
	buffer_load_dword v115, off, s[0:3], 0 offset:164
	buffer_load_dword v116, off, s[0:3], 0 offset:172
	buffer_load_dword v117, off, s[0:3], 0 offset:180
	buffer_load_dword v118, off, s[0:3], 0 offset:188
	buffer_load_dword v119, off, s[0:3], 0 offset:196
	buffer_load_dword v120, off, s[0:3], 0 offset:204
	buffer_load_dword v121, off, s[0:3], 0 offset:212
	buffer_load_dword v122, off, s[0:3], 0 offset:220
	buffer_load_dword v123, off, s[0:3], 0 offset:228
	buffer_load_dword v124, off, s[0:3], 0 offset:64
	buffer_load_dword v125, off, s[0:3], 0 offset:72
	buffer_load_dword v126, off, s[0:3], 0 offset:80
	buffer_load_dword v127, off, s[0:3], 0 offset:88
	buffer_load_dword v128, off, s[0:3], 0 offset:96
	buffer_load_dword v129, off, s[0:3], 0 offset:104
	buffer_load_dword v130, off, s[0:3], 0 offset:112
	buffer_load_dword v131, off, s[0:3], 0 offset:120
	buffer_load_dword v132, off, s[0:3], 0 offset:128
	buffer_load_dword v133, off, s[0:3], 0 offset:136
	buffer_load_dword v134, off, s[0:3], 0 offset:144
	buffer_load_dword v135, off, s[0:3], 0 offset:152
	buffer_load_dword v136, off, s[0:3], 0 offset:160
	buffer_load_dword v137, off, s[0:3], 0 offset:168
	buffer_load_dword v138, off, s[0:3], 0 offset:176
	buffer_load_dword v139, off, s[0:3], 0 offset:184
	buffer_load_dword v140, off, s[0:3], 0 offset:192
	buffer_load_dword v141, off, s[0:3], 0 offset:200
	buffer_load_dword v142, off, s[0:3], 0 offset:208
	buffer_load_dword v143, off, s[0:3], 0 offset:216
	buffer_load_dword v144, off, s[0:3], 0 offset:224
	buffer_load_dword v145, off, s[0:3], 0 offset:56
	buffer_load_dword v146, off, s[0:3], 0 offset:60
	v_mov_b32_e32 v60, 0
	ds_read_b128 v[61:64], v60 offset:304
	ds_read_b128 v[65:68], v60 offset:320
	;; [unrolled: 1-line block ×10, first 2 shown]
	ds_read_b64 v[101:102], v60 offset:464
	s_mov_b32 s4, exec_lo
	s_waitcnt vmcnt(43) lgkmcnt(10)
	v_mul_f32_e32 v147, v61, v103
	v_mul_f32_e32 v103, v62, v103
	s_waitcnt vmcnt(42)
	v_mul_f32_e32 v148, v63, v104
	v_mul_f32_e32 v104, v64, v104
	s_waitcnt vmcnt(41) lgkmcnt(9)
	v_mul_f32_e32 v149, v65, v105
	s_waitcnt vmcnt(40)
	v_mul_f32_e32 v150, v67, v106
	s_waitcnt vmcnt(39) lgkmcnt(8)
	v_mul_f32_e32 v151, v69, v107
	s_waitcnt vmcnt(38)
	;; [unrolled: 4-line block ×9, first 2 shown]
	v_fma_f32 v61, v61, v124, -v103
	v_fmac_f32_e32 v147, v62, v124
	v_mul_f32_e32 v62, v66, v105
	s_waitcnt vmcnt(21)
	v_fma_f32 v63, v63, v125, -v104
	v_fmac_f32_e32 v148, v64, v125
	v_add_f32_e32 v61, 0, v61
	v_add_f32_e32 v64, 0, v147
	v_mul_f32_e32 v103, v68, v106
	s_waitcnt vmcnt(20)
	v_fma_f32 v62, v65, v126, -v62
	v_fmac_f32_e32 v149, v66, v126
	v_add_f32_e32 v61, v61, v63
	v_add_f32_e32 v63, v64, v148
	;; [unrolled: 6-line block ×17, first 2 shown]
	v_mul_f32_e32 v64, v100, v122
	s_waitcnt vmcnt(4)
	v_fma_f32 v65, v97, v142, -v65
	v_mul_f32_e32 v166, v99, v122
	v_add_f32_e32 v61, v61, v63
	v_fmac_f32_e32 v165, v98, v142
	v_add_f32_e32 v62, v62, v164
	s_waitcnt lgkmcnt(0)
	v_mul_f32_e32 v63, v102, v123
	s_waitcnt vmcnt(3)
	v_fma_f32 v64, v99, v143, -v64
	v_add_f32_e32 v61, v61, v65
	v_mul_f32_e32 v167, v101, v123
	v_fmac_f32_e32 v166, v100, v143
	v_add_f32_e32 v62, v62, v165
	s_waitcnt vmcnt(2)
	v_fma_f32 v63, v101, v144, -v63
	v_add_f32_e32 v61, v61, v64
	v_fmac_f32_e32 v167, v102, v144
	v_add_f32_e32 v62, v62, v166
	v_add_f32_e32 v61, v61, v63
	;; [unrolled: 1-line block ×3, first 2 shown]
	s_waitcnt vmcnt(1)
	v_sub_f32_e32 v61, v145, v61
	s_waitcnt vmcnt(0)
	v_sub_f32_e32 v62, v146, v62
	buffer_store_dword v61, off, s[0:3], 0 offset:56
	buffer_store_dword v62, off, s[0:3], 0 offset:60
	v_cmpx_lt_u32_e32 6, v0
	s_cbranch_execz .LBB92_175
; %bb.174:
	s_clause 0x1
	buffer_load_dword v61, off, s[0:3], 0 offset:48
	buffer_load_dword v62, off, s[0:3], 0 offset:52
	buffer_store_dword v60, off, s[0:3], 0 offset:48
	buffer_store_dword v60, off, s[0:3], 0 offset:52
	s_waitcnt vmcnt(0)
	ds_write_b64 v59, v[61:62]
.LBB92_175:
	s_or_b32 exec_lo, exec_lo, s4
	s_waitcnt lgkmcnt(0)
	s_waitcnt_vscnt null, 0x0
	s_barrier
	buffer_gl0_inv
	s_clause 0x2d
	buffer_load_dword v105, off, s[0:3], 0 offset:60
	buffer_load_dword v106, off, s[0:3], 0 offset:68
	;; [unrolled: 1-line block ×46, first 2 shown]
	ds_read2_b64 v[61:64], v60 offset0:37 offset1:38
	ds_read2_b64 v[65:68], v60 offset0:39 offset1:40
	;; [unrolled: 1-line block ×11, first 2 shown]
	s_mov_b32 s4, exec_lo
	s_waitcnt vmcnt(45) lgkmcnt(10)
	v_mul_f32_e32 v60, v61, v105
	v_mul_f32_e32 v105, v62, v105
	s_waitcnt vmcnt(44)
	v_mul_f32_e32 v151, v63, v106
	v_mul_f32_e32 v106, v64, v106
	s_waitcnt vmcnt(43) lgkmcnt(9)
	v_mul_f32_e32 v152, v65, v107
	s_waitcnt vmcnt(42)
	v_mul_f32_e32 v153, v67, v108
	s_waitcnt vmcnt(41) lgkmcnt(8)
	v_mul_f32_e32 v154, v69, v109
	s_waitcnt vmcnt(40)
	;; [unrolled: 4-line block ×9, first 2 shown]
	v_mul_f32_e32 v169, v99, v124
	s_waitcnt vmcnt(23)
	v_fma_f32 v61, v61, v127, -v105
	v_fmac_f32_e32 v60, v62, v127
	v_mul_f32_e32 v62, v66, v107
	s_waitcnt vmcnt(22)
	v_fma_f32 v63, v63, v128, -v106
	v_fmac_f32_e32 v151, v64, v128
	v_add_f32_e32 v61, 0, v61
	v_add_f32_e32 v60, 0, v60
	v_mul_f32_e32 v64, v68, v108
	s_waitcnt vmcnt(21)
	v_fma_f32 v62, v65, v129, -v62
	v_fmac_f32_e32 v152, v66, v129
	v_add_f32_e32 v61, v61, v63
	v_add_f32_e32 v60, v60, v151
	;; [unrolled: 6-line block ×18, first 2 shown]
	s_waitcnt lgkmcnt(0)
	v_mul_f32_e32 v62, v102, v125
	s_waitcnt vmcnt(4)
	v_fma_f32 v63, v99, v146, -v63
	v_mul_f32_e32 v170, v101, v125
	v_add_f32_e32 v61, v61, v64
	v_fmac_f32_e32 v169, v100, v146
	v_add_f32_e32 v60, v60, v168
	v_mul_f32_e32 v64, v104, v126
	s_waitcnt vmcnt(3)
	v_fma_f32 v62, v101, v147, -v62
	v_add_f32_e32 v61, v61, v63
	v_mul_f32_e32 v171, v103, v126
	v_fmac_f32_e32 v170, v102, v147
	v_add_f32_e32 v60, v60, v169
	s_waitcnt vmcnt(2)
	v_fma_f32 v63, v103, v148, -v64
	v_add_f32_e32 v61, v61, v62
	v_fmac_f32_e32 v171, v104, v148
	v_add_f32_e32 v60, v60, v170
	v_add_f32_e32 v61, v61, v63
	v_add_f32_e32 v60, v60, v171
	s_waitcnt vmcnt(1)
	v_sub_f32_e32 v61, v149, v61
	s_waitcnt vmcnt(0)
	v_sub_f32_e32 v60, v150, v60
	buffer_store_dword v61, off, s[0:3], 0 offset:48
	buffer_store_dword v60, off, s[0:3], 0 offset:52
	v_cmpx_lt_u32_e32 5, v0
	s_cbranch_execz .LBB92_177
; %bb.176:
	s_clause 0x1
	buffer_load_dword v60, off, s[0:3], 0 offset:40
	buffer_load_dword v61, off, s[0:3], 0 offset:44
	v_mov_b32_e32 v62, 0
	buffer_store_dword v62, off, s[0:3], 0 offset:40
	buffer_store_dword v62, off, s[0:3], 0 offset:44
	s_waitcnt vmcnt(0)
	ds_write_b64 v59, v[60:61]
.LBB92_177:
	s_or_b32 exec_lo, exec_lo, s4
	s_waitcnt lgkmcnt(0)
	s_waitcnt_vscnt null, 0x0
	s_barrier
	buffer_gl0_inv
	s_clause 0x2f
	buffer_load_dword v107, off, s[0:3], 0 offset:52
	buffer_load_dword v108, off, s[0:3], 0 offset:60
	;; [unrolled: 1-line block ×48, first 2 shown]
	v_mov_b32_e32 v60, 0
	ds_read_b128 v[61:64], v60 offset:288
	ds_read_b128 v[65:68], v60 offset:304
	ds_read_b128 v[69:72], v60 offset:320
	ds_read_b128 v[73:76], v60 offset:336
	ds_read_b128 v[77:80], v60 offset:352
	ds_read_b128 v[81:84], v60 offset:368
	ds_read_b128 v[85:88], v60 offset:384
	ds_read_b128 v[89:92], v60 offset:400
	ds_read_b128 v[93:96], v60 offset:416
	ds_read_b128 v[97:100], v60 offset:432
	ds_read_b128 v[101:104], v60 offset:448
	ds_read_b64 v[105:106], v60 offset:464
	s_mov_b32 s4, exec_lo
	s_waitcnt vmcnt(47) lgkmcnt(11)
	v_mul_f32_e32 v155, v61, v107
	v_mul_f32_e32 v107, v62, v107
	s_waitcnt vmcnt(46)
	v_mul_f32_e32 v156, v63, v108
	v_mul_f32_e32 v108, v64, v108
	s_waitcnt vmcnt(45) lgkmcnt(10)
	v_mul_f32_e32 v157, v65, v109
	s_waitcnt vmcnt(44)
	v_mul_f32_e32 v158, v67, v110
	s_waitcnt vmcnt(43) lgkmcnt(9)
	v_mul_f32_e32 v159, v69, v111
	s_waitcnt vmcnt(42)
	;; [unrolled: 4-line block ×10, first 2 shown]
	v_fma_f32 v61, v61, v130, -v107
	v_fmac_f32_e32 v155, v62, v130
	v_mul_f32_e32 v62, v66, v109
	s_waitcnt vmcnt(23)
	v_fma_f32 v63, v63, v131, -v108
	v_fmac_f32_e32 v156, v64, v131
	v_add_f32_e32 v61, 0, v61
	v_add_f32_e32 v64, 0, v155
	v_mul_f32_e32 v107, v68, v110
	s_waitcnt vmcnt(22)
	v_fma_f32 v62, v65, v132, -v62
	v_fmac_f32_e32 v157, v66, v132
	v_add_f32_e32 v61, v61, v63
	v_add_f32_e32 v63, v64, v156
	;; [unrolled: 6-line block ×19, first 2 shown]
	v_mul_f32_e32 v65, v104, v128
	s_waitcnt vmcnt(4)
	v_fma_f32 v63, v101, v150, -v63
	v_mul_f32_e32 v176, v103, v128
	v_add_f32_e32 v61, v61, v64
	v_fmac_f32_e32 v175, v102, v150
	v_add_f32_e32 v62, v62, v174
	s_waitcnt lgkmcnt(0)
	v_mul_f32_e32 v64, v106, v129
	s_waitcnt vmcnt(3)
	v_fma_f32 v65, v103, v151, -v65
	v_add_f32_e32 v61, v61, v63
	v_mul_f32_e32 v177, v105, v129
	v_fmac_f32_e32 v176, v104, v151
	v_add_f32_e32 v62, v62, v175
	s_waitcnt vmcnt(2)
	v_fma_f32 v63, v105, v152, -v64
	v_add_f32_e32 v61, v61, v65
	v_fmac_f32_e32 v177, v106, v152
	v_add_f32_e32 v62, v62, v176
	v_add_f32_e32 v61, v61, v63
	;; [unrolled: 1-line block ×3, first 2 shown]
	s_waitcnt vmcnt(1)
	v_sub_f32_e32 v61, v153, v61
	s_waitcnt vmcnt(0)
	v_sub_f32_e32 v62, v154, v62
	buffer_store_dword v61, off, s[0:3], 0 offset:40
	buffer_store_dword v62, off, s[0:3], 0 offset:44
	v_cmpx_lt_u32_e32 4, v0
	s_cbranch_execz .LBB92_179
; %bb.178:
	s_clause 0x1
	buffer_load_dword v61, off, s[0:3], 0 offset:32
	buffer_load_dword v62, off, s[0:3], 0 offset:36
	buffer_store_dword v60, off, s[0:3], 0 offset:32
	buffer_store_dword v60, off, s[0:3], 0 offset:36
	s_waitcnt vmcnt(0)
	ds_write_b64 v59, v[61:62]
.LBB92_179:
	s_or_b32 exec_lo, exec_lo, s4
	s_waitcnt lgkmcnt(0)
	s_waitcnt_vscnt null, 0x0
	s_barrier
	buffer_gl0_inv
	s_clause 0x31
	buffer_load_dword v109, off, s[0:3], 0 offset:44
	buffer_load_dword v110, off, s[0:3], 0 offset:52
	;; [unrolled: 1-line block ×50, first 2 shown]
	ds_read2_b64 v[61:64], v60 offset0:35 offset1:36
	ds_read2_b64 v[65:68], v60 offset0:37 offset1:38
	;; [unrolled: 1-line block ×12, first 2 shown]
	s_mov_b32 s4, exec_lo
	s_waitcnt vmcnt(49) lgkmcnt(11)
	v_mul_f32_e32 v60, v61, v109
	v_mul_f32_e32 v109, v62, v109
	s_waitcnt vmcnt(48)
	v_mul_f32_e32 v159, v63, v110
	v_mul_f32_e32 v110, v64, v110
	s_waitcnt vmcnt(47) lgkmcnt(10)
	v_mul_f32_e32 v160, v65, v111
	s_waitcnt vmcnt(46)
	v_mul_f32_e32 v161, v67, v112
	s_waitcnt vmcnt(45) lgkmcnt(9)
	v_mul_f32_e32 v162, v69, v113
	s_waitcnt vmcnt(44)
	;; [unrolled: 4-line block ×10, first 2 shown]
	v_mul_f32_e32 v179, v103, v130
	s_waitcnt vmcnt(25)
	v_fma_f32 v61, v61, v133, -v109
	v_fmac_f32_e32 v60, v62, v133
	v_mul_f32_e32 v62, v66, v111
	s_waitcnt vmcnt(24)
	v_fma_f32 v63, v63, v134, -v110
	v_fmac_f32_e32 v159, v64, v134
	v_add_f32_e32 v61, 0, v61
	v_add_f32_e32 v60, 0, v60
	v_mul_f32_e32 v64, v68, v112
	s_waitcnt vmcnt(23)
	v_fma_f32 v62, v65, v135, -v62
	v_fmac_f32_e32 v160, v66, v135
	v_add_f32_e32 v61, v61, v63
	v_add_f32_e32 v60, v60, v159
	;; [unrolled: 6-line block ×20, first 2 shown]
	s_waitcnt lgkmcnt(0)
	v_mul_f32_e32 v63, v106, v131
	s_waitcnt vmcnt(4)
	v_fma_f32 v64, v103, v154, -v64
	v_mul_f32_e32 v180, v105, v131
	v_add_f32_e32 v61, v61, v62
	v_fmac_f32_e32 v179, v104, v154
	v_add_f32_e32 v60, v60, v178
	v_mul_f32_e32 v62, v108, v132
	s_waitcnt vmcnt(3)
	v_fma_f32 v63, v105, v155, -v63
	v_add_f32_e32 v61, v61, v64
	v_mul_f32_e32 v181, v107, v132
	v_fmac_f32_e32 v180, v106, v155
	v_add_f32_e32 v60, v60, v179
	s_waitcnt vmcnt(2)
	v_fma_f32 v62, v107, v156, -v62
	v_add_f32_e32 v61, v61, v63
	v_fmac_f32_e32 v181, v108, v156
	v_add_f32_e32 v60, v60, v180
	v_add_f32_e32 v61, v61, v62
	;; [unrolled: 1-line block ×3, first 2 shown]
	s_waitcnt vmcnt(1)
	v_sub_f32_e32 v61, v157, v61
	s_waitcnt vmcnt(0)
	v_sub_f32_e32 v60, v158, v60
	buffer_store_dword v61, off, s[0:3], 0 offset:32
	buffer_store_dword v60, off, s[0:3], 0 offset:36
	v_cmpx_lt_u32_e32 3, v0
	s_cbranch_execz .LBB92_181
; %bb.180:
	s_clause 0x1
	buffer_load_dword v60, off, s[0:3], 0 offset:24
	buffer_load_dword v61, off, s[0:3], 0 offset:28
	v_mov_b32_e32 v62, 0
	buffer_store_dword v62, off, s[0:3], 0 offset:24
	buffer_store_dword v62, off, s[0:3], 0 offset:28
	s_waitcnt vmcnt(0)
	ds_write_b64 v59, v[60:61]
.LBB92_181:
	s_or_b32 exec_lo, exec_lo, s4
	s_waitcnt lgkmcnt(0)
	s_waitcnt_vscnt null, 0x0
	s_barrier
	buffer_gl0_inv
	s_clause 0x33
	buffer_load_dword v111, off, s[0:3], 0 offset:36
	buffer_load_dword v112, off, s[0:3], 0 offset:44
	;; [unrolled: 1-line block ×52, first 2 shown]
	v_mov_b32_e32 v60, 0
	ds_read_b128 v[61:64], v60 offset:272
	ds_read_b128 v[65:68], v60 offset:288
	;; [unrolled: 1-line block ×12, first 2 shown]
	ds_read_b64 v[109:110], v60 offset:464
	s_mov_b32 s4, exec_lo
	s_waitcnt vmcnt(51) lgkmcnt(12)
	v_mul_f32_e32 v163, v61, v111
	v_mul_f32_e32 v111, v62, v111
	s_waitcnt vmcnt(50)
	v_mul_f32_e32 v164, v63, v112
	v_mul_f32_e32 v112, v64, v112
	s_waitcnt vmcnt(49) lgkmcnt(11)
	v_mul_f32_e32 v165, v65, v113
	s_waitcnt vmcnt(48)
	v_mul_f32_e32 v166, v67, v114
	s_waitcnt vmcnt(47) lgkmcnt(10)
	v_mul_f32_e32 v167, v69, v115
	s_waitcnt vmcnt(46)
	;; [unrolled: 4-line block ×11, first 2 shown]
	v_fma_f32 v61, v61, v136, -v111
	v_fmac_f32_e32 v163, v62, v136
	v_mul_f32_e32 v62, v66, v113
	s_waitcnt vmcnt(25)
	v_fma_f32 v63, v63, v137, -v112
	v_fmac_f32_e32 v164, v64, v137
	v_add_f32_e32 v61, 0, v61
	v_add_f32_e32 v64, 0, v163
	v_mul_f32_e32 v111, v68, v114
	s_waitcnt vmcnt(24)
	v_fma_f32 v62, v65, v138, -v62
	v_fmac_f32_e32 v165, v66, v138
	v_add_f32_e32 v61, v61, v63
	v_add_f32_e32 v63, v64, v164
	;; [unrolled: 6-line block ×21, first 2 shown]
	v_mul_f32_e32 v63, v108, v134
	s_waitcnt vmcnt(4)
	v_fma_f32 v64, v105, v158, -v64
	v_mul_f32_e32 v186, v107, v134
	v_add_f32_e32 v61, v61, v65
	v_fmac_f32_e32 v185, v106, v158
	v_add_f32_e32 v62, v62, v184
	s_waitcnt lgkmcnt(0)
	v_mul_f32_e32 v65, v110, v135
	s_waitcnt vmcnt(3)
	v_fma_f32 v63, v107, v159, -v63
	v_add_f32_e32 v61, v61, v64
	v_mul_f32_e32 v187, v109, v135
	v_fmac_f32_e32 v186, v108, v159
	v_add_f32_e32 v62, v62, v185
	s_waitcnt vmcnt(2)
	v_fma_f32 v64, v109, v160, -v65
	v_add_f32_e32 v61, v61, v63
	v_fmac_f32_e32 v187, v110, v160
	v_add_f32_e32 v62, v62, v186
	v_add_f32_e32 v61, v61, v64
	;; [unrolled: 1-line block ×3, first 2 shown]
	s_waitcnt vmcnt(1)
	v_sub_f32_e32 v61, v161, v61
	s_waitcnt vmcnt(0)
	v_sub_f32_e32 v62, v162, v62
	buffer_store_dword v61, off, s[0:3], 0 offset:24
	buffer_store_dword v62, off, s[0:3], 0 offset:28
	v_cmpx_lt_u32_e32 2, v0
	s_cbranch_execz .LBB92_183
; %bb.182:
	s_clause 0x1
	buffer_load_dword v61, off, s[0:3], 0 offset:16
	buffer_load_dword v62, off, s[0:3], 0 offset:20
	buffer_store_dword v60, off, s[0:3], 0 offset:16
	buffer_store_dword v60, off, s[0:3], 0 offset:20
	s_waitcnt vmcnt(0)
	ds_write_b64 v59, v[61:62]
.LBB92_183:
	s_or_b32 exec_lo, exec_lo, s4
	s_waitcnt lgkmcnt(0)
	s_waitcnt_vscnt null, 0x0
	s_barrier
	buffer_gl0_inv
	s_clause 0x35
	buffer_load_dword v113, off, s[0:3], 0 offset:28
	buffer_load_dword v114, off, s[0:3], 0 offset:36
	;; [unrolled: 1-line block ×54, first 2 shown]
	ds_read2_b64 v[61:64], v60 offset0:33 offset1:34
	ds_read2_b64 v[65:68], v60 offset0:35 offset1:36
	;; [unrolled: 1-line block ×13, first 2 shown]
	s_mov_b32 s4, exec_lo
	s_waitcnt vmcnt(53) lgkmcnt(12)
	v_mul_f32_e32 v60, v61, v113
	v_mul_f32_e32 v113, v62, v113
	s_waitcnt vmcnt(52)
	v_mul_f32_e32 v167, v63, v114
	v_mul_f32_e32 v114, v64, v114
	s_waitcnt vmcnt(51) lgkmcnt(11)
	v_mul_f32_e32 v168, v65, v115
	s_waitcnt vmcnt(50)
	v_mul_f32_e32 v169, v67, v116
	s_waitcnt vmcnt(49) lgkmcnt(10)
	v_mul_f32_e32 v170, v69, v117
	s_waitcnt vmcnt(48)
	;; [unrolled: 4-line block ×11, first 2 shown]
	v_mul_f32_e32 v189, v107, v136
	s_waitcnt vmcnt(27)
	v_fma_f32 v61, v61, v139, -v113
	v_fmac_f32_e32 v60, v62, v139
	v_mul_f32_e32 v62, v66, v115
	s_waitcnt vmcnt(26)
	v_fma_f32 v63, v63, v140, -v114
	v_fmac_f32_e32 v167, v64, v140
	v_add_f32_e32 v61, 0, v61
	v_add_f32_e32 v60, 0, v60
	v_mul_f32_e32 v64, v68, v116
	s_waitcnt vmcnt(25)
	v_fma_f32 v62, v65, v141, -v62
	v_fmac_f32_e32 v168, v66, v141
	v_add_f32_e32 v61, v61, v63
	v_add_f32_e32 v60, v60, v167
	;; [unrolled: 6-line block ×22, first 2 shown]
	s_waitcnt lgkmcnt(0)
	v_mul_f32_e32 v64, v110, v137
	s_waitcnt vmcnt(4)
	v_fma_f32 v62, v107, v162, -v62
	v_mul_f32_e32 v190, v109, v137
	v_add_f32_e32 v61, v61, v63
	v_fmac_f32_e32 v189, v108, v162
	v_add_f32_e32 v60, v60, v188
	v_mul_f32_e32 v63, v112, v138
	s_waitcnt vmcnt(3)
	v_fma_f32 v64, v109, v163, -v64
	v_add_f32_e32 v61, v61, v62
	v_mul_f32_e32 v191, v111, v138
	v_fmac_f32_e32 v190, v110, v163
	v_add_f32_e32 v60, v60, v189
	s_waitcnt vmcnt(2)
	v_fma_f32 v62, v111, v164, -v63
	v_add_f32_e32 v61, v61, v64
	v_fmac_f32_e32 v191, v112, v164
	v_add_f32_e32 v60, v60, v190
	v_add_f32_e32 v61, v61, v62
	;; [unrolled: 1-line block ×3, first 2 shown]
	s_waitcnt vmcnt(1)
	v_sub_f32_e32 v61, v165, v61
	s_waitcnt vmcnt(0)
	v_sub_f32_e32 v60, v166, v60
	buffer_store_dword v61, off, s[0:3], 0 offset:16
	buffer_store_dword v60, off, s[0:3], 0 offset:20
	v_cmpx_lt_u32_e32 1, v0
	s_cbranch_execz .LBB92_185
; %bb.184:
	s_clause 0x1
	buffer_load_dword v60, off, s[0:3], 0 offset:8
	buffer_load_dword v61, off, s[0:3], 0 offset:12
	v_mov_b32_e32 v62, 0
	buffer_store_dword v62, off, s[0:3], 0 offset:8
	buffer_store_dword v62, off, s[0:3], 0 offset:12
	s_waitcnt vmcnt(0)
	ds_write_b64 v59, v[60:61]
.LBB92_185:
	s_or_b32 exec_lo, exec_lo, s4
	s_waitcnt lgkmcnt(0)
	s_waitcnt_vscnt null, 0x0
	s_barrier
	buffer_gl0_inv
	s_clause 0x37
	buffer_load_dword v115, off, s[0:3], 0 offset:20
	buffer_load_dword v116, off, s[0:3], 0 offset:28
	buffer_load_dword v117, off, s[0:3], 0 offset:36
	buffer_load_dword v118, off, s[0:3], 0 offset:44
	buffer_load_dword v119, off, s[0:3], 0 offset:52
	buffer_load_dword v120, off, s[0:3], 0 offset:60
	buffer_load_dword v121, off, s[0:3], 0 offset:68
	buffer_load_dword v122, off, s[0:3], 0 offset:76
	buffer_load_dword v123, off, s[0:3], 0 offset:84
	buffer_load_dword v124, off, s[0:3], 0 offset:92
	buffer_load_dword v125, off, s[0:3], 0 offset:100
	buffer_load_dword v126, off, s[0:3], 0 offset:108
	buffer_load_dword v127, off, s[0:3], 0 offset:116
	buffer_load_dword v128, off, s[0:3], 0 offset:124
	buffer_load_dword v129, off, s[0:3], 0 offset:132
	buffer_load_dword v130, off, s[0:3], 0 offset:140
	buffer_load_dword v131, off, s[0:3], 0 offset:148
	buffer_load_dword v132, off, s[0:3], 0 offset:156
	buffer_load_dword v133, off, s[0:3], 0 offset:164
	buffer_load_dword v134, off, s[0:3], 0 offset:172
	buffer_load_dword v135, off, s[0:3], 0 offset:180
	buffer_load_dword v136, off, s[0:3], 0 offset:188
	buffer_load_dword v137, off, s[0:3], 0 offset:196
	buffer_load_dword v138, off, s[0:3], 0 offset:204
	buffer_load_dword v139, off, s[0:3], 0 offset:212
	buffer_load_dword v140, off, s[0:3], 0 offset:220
	buffer_load_dword v141, off, s[0:3], 0 offset:228
	buffer_load_dword v142, off, s[0:3], 0 offset:16
	buffer_load_dword v143, off, s[0:3], 0 offset:24
	buffer_load_dword v144, off, s[0:3], 0 offset:32
	buffer_load_dword v145, off, s[0:3], 0 offset:40
	buffer_load_dword v146, off, s[0:3], 0 offset:48
	buffer_load_dword v147, off, s[0:3], 0 offset:56
	buffer_load_dword v148, off, s[0:3], 0 offset:64
	buffer_load_dword v149, off, s[0:3], 0 offset:72
	buffer_load_dword v150, off, s[0:3], 0 offset:80
	buffer_load_dword v151, off, s[0:3], 0 offset:88
	buffer_load_dword v152, off, s[0:3], 0 offset:96
	buffer_load_dword v153, off, s[0:3], 0 offset:104
	buffer_load_dword v154, off, s[0:3], 0 offset:112
	buffer_load_dword v155, off, s[0:3], 0 offset:120
	buffer_load_dword v156, off, s[0:3], 0 offset:128
	buffer_load_dword v157, off, s[0:3], 0 offset:136
	buffer_load_dword v158, off, s[0:3], 0 offset:144
	buffer_load_dword v159, off, s[0:3], 0 offset:152
	buffer_load_dword v160, off, s[0:3], 0 offset:160
	buffer_load_dword v161, off, s[0:3], 0 offset:168
	buffer_load_dword v162, off, s[0:3], 0 offset:176
	buffer_load_dword v163, off, s[0:3], 0 offset:184
	buffer_load_dword v164, off, s[0:3], 0 offset:192
	buffer_load_dword v165, off, s[0:3], 0 offset:200
	buffer_load_dword v166, off, s[0:3], 0 offset:208
	buffer_load_dword v167, off, s[0:3], 0 offset:216
	buffer_load_dword v168, off, s[0:3], 0 offset:224
	buffer_load_dword v169, off, s[0:3], 0 offset:8
	buffer_load_dword v170, off, s[0:3], 0 offset:12
	v_mov_b32_e32 v60, 0
	ds_read_b128 v[61:64], v60 offset:256
	ds_read_b128 v[65:68], v60 offset:272
	;; [unrolled: 1-line block ×13, first 2 shown]
	ds_read_b64 v[113:114], v60 offset:464
	s_mov_b32 s4, exec_lo
	s_waitcnt vmcnt(55) lgkmcnt(13)
	v_mul_f32_e32 v171, v61, v115
	v_mul_f32_e32 v115, v62, v115
	s_waitcnt vmcnt(54)
	v_mul_f32_e32 v172, v63, v116
	v_mul_f32_e32 v116, v64, v116
	s_waitcnt vmcnt(53) lgkmcnt(12)
	v_mul_f32_e32 v173, v65, v117
	s_waitcnt vmcnt(52)
	v_mul_f32_e32 v174, v67, v118
	s_waitcnt vmcnt(51) lgkmcnt(11)
	v_mul_f32_e32 v175, v69, v119
	s_waitcnt vmcnt(50)
	;; [unrolled: 4-line block ×12, first 2 shown]
	v_fma_f32 v61, v61, v142, -v115
	v_fmac_f32_e32 v171, v62, v142
	v_mul_f32_e32 v62, v66, v117
	s_waitcnt vmcnt(27)
	v_fma_f32 v63, v63, v143, -v116
	v_fmac_f32_e32 v172, v64, v143
	v_add_f32_e32 v61, 0, v61
	v_add_f32_e32 v64, 0, v171
	v_mul_f32_e32 v115, v68, v118
	s_waitcnt vmcnt(26)
	v_fma_f32 v62, v65, v144, -v62
	v_fmac_f32_e32 v173, v66, v144
	v_add_f32_e32 v61, v61, v63
	v_add_f32_e32 v63, v64, v172
	v_mul_f32_e32 v64, v70, v119
	s_waitcnt vmcnt(25)
	v_fma_f32 v65, v67, v145, -v115
	v_fmac_f32_e32 v174, v68, v145
	v_add_f32_e32 v61, v61, v62
	v_add_f32_e32 v62, v63, v173
	v_mul_f32_e32 v63, v72, v120
	s_waitcnt vmcnt(24)
	v_fma_f32 v64, v69, v146, -v64
	v_fmac_f32_e32 v175, v70, v146
	v_add_f32_e32 v61, v61, v65
	v_add_f32_e32 v62, v62, v174
	v_mul_f32_e32 v65, v74, v121
	s_waitcnt vmcnt(23)
	v_fma_f32 v63, v71, v147, -v63
	v_fmac_f32_e32 v176, v72, v147
	v_add_f32_e32 v61, v61, v64
	v_add_f32_e32 v62, v62, v175
	v_mul_f32_e32 v64, v76, v122
	s_waitcnt vmcnt(22)
	v_fma_f32 v65, v73, v148, -v65
	v_fmac_f32_e32 v177, v74, v148
	v_add_f32_e32 v61, v61, v63
	v_add_f32_e32 v62, v62, v176
	v_mul_f32_e32 v63, v78, v123
	s_waitcnt vmcnt(21)
	v_fma_f32 v64, v75, v149, -v64
	v_fmac_f32_e32 v178, v76, v149
	v_add_f32_e32 v61, v61, v65
	v_add_f32_e32 v62, v62, v177
	v_mul_f32_e32 v65, v80, v124
	s_waitcnt vmcnt(20)
	v_fma_f32 v63, v77, v150, -v63
	v_fmac_f32_e32 v179, v78, v150
	v_add_f32_e32 v61, v61, v64
	v_add_f32_e32 v62, v62, v178
	v_mul_f32_e32 v64, v82, v125
	s_waitcnt vmcnt(19)
	v_fma_f32 v65, v79, v151, -v65
	v_fmac_f32_e32 v180, v80, v151
	v_add_f32_e32 v61, v61, v63
	v_add_f32_e32 v62, v62, v179
	v_mul_f32_e32 v63, v84, v126
	s_waitcnt vmcnt(18)
	v_fma_f32 v64, v81, v152, -v64
	v_fmac_f32_e32 v181, v82, v152
	v_add_f32_e32 v61, v61, v65
	v_add_f32_e32 v62, v62, v180
	v_mul_f32_e32 v65, v86, v127
	s_waitcnt vmcnt(17)
	v_fma_f32 v63, v83, v153, -v63
	v_fmac_f32_e32 v182, v84, v153
	v_add_f32_e32 v61, v61, v64
	v_add_f32_e32 v62, v62, v181
	v_mul_f32_e32 v64, v88, v128
	s_waitcnt vmcnt(16)
	v_fma_f32 v65, v85, v154, -v65
	v_fmac_f32_e32 v183, v86, v154
	v_add_f32_e32 v61, v61, v63
	v_add_f32_e32 v62, v62, v182
	v_mul_f32_e32 v63, v90, v129
	s_waitcnt vmcnt(15)
	v_fma_f32 v64, v87, v155, -v64
	v_fmac_f32_e32 v184, v88, v155
	v_add_f32_e32 v61, v61, v65
	v_add_f32_e32 v62, v62, v183
	v_mul_f32_e32 v65, v92, v130
	s_waitcnt vmcnt(14)
	v_fma_f32 v63, v89, v156, -v63
	v_fmac_f32_e32 v185, v90, v156
	v_add_f32_e32 v61, v61, v64
	v_add_f32_e32 v62, v62, v184
	v_mul_f32_e32 v64, v94, v131
	s_waitcnt vmcnt(13)
	v_fma_f32 v65, v91, v157, -v65
	v_fmac_f32_e32 v186, v92, v157
	v_add_f32_e32 v61, v61, v63
	v_add_f32_e32 v62, v62, v185
	v_mul_f32_e32 v63, v96, v132
	s_waitcnt vmcnt(12)
	v_fma_f32 v64, v93, v158, -v64
	v_fmac_f32_e32 v187, v94, v158
	v_add_f32_e32 v61, v61, v65
	v_add_f32_e32 v62, v62, v186
	v_mul_f32_e32 v65, v98, v133
	s_waitcnt vmcnt(11)
	v_fma_f32 v63, v95, v159, -v63
	v_fmac_f32_e32 v188, v96, v159
	v_add_f32_e32 v61, v61, v64
	v_add_f32_e32 v62, v62, v187
	v_mul_f32_e32 v64, v100, v134
	s_waitcnt vmcnt(10)
	v_fma_f32 v65, v97, v160, -v65
	v_fmac_f32_e32 v189, v98, v160
	v_add_f32_e32 v61, v61, v63
	v_add_f32_e32 v62, v62, v188
	v_mul_f32_e32 v63, v102, v135
	s_waitcnt vmcnt(9)
	v_fma_f32 v64, v99, v161, -v64
	v_fmac_f32_e32 v190, v100, v161
	v_add_f32_e32 v61, v61, v65
	v_add_f32_e32 v62, v62, v189
	v_mul_f32_e32 v65, v104, v136
	s_waitcnt vmcnt(8)
	v_fma_f32 v63, v101, v162, -v63
	v_fmac_f32_e32 v191, v102, v162
	v_add_f32_e32 v61, v61, v64
	v_add_f32_e32 v62, v62, v190
	v_mul_f32_e32 v64, v106, v137
	s_waitcnt vmcnt(7)
	v_fma_f32 v65, v103, v163, -v65
	v_fmac_f32_e32 v192, v104, v163
	v_add_f32_e32 v61, v61, v63
	v_add_f32_e32 v62, v62, v191
	v_mul_f32_e32 v63, v108, v138
	s_waitcnt vmcnt(6)
	v_fma_f32 v64, v105, v164, -v64
	v_fmac_f32_e32 v193, v106, v164
	v_add_f32_e32 v61, v61, v65
	v_add_f32_e32 v62, v62, v192
	v_mul_f32_e32 v65, v110, v139
	s_waitcnt vmcnt(5)
	v_fma_f32 v63, v107, v165, -v63
	v_fmac_f32_e32 v194, v108, v165
	v_add_f32_e32 v61, v61, v64
	v_add_f32_e32 v62, v62, v193
	v_mul_f32_e32 v64, v112, v140
	s_waitcnt vmcnt(4)
	v_fma_f32 v65, v109, v166, -v65
	v_mul_f32_e32 v196, v111, v140
	v_add_f32_e32 v61, v61, v63
	v_fmac_f32_e32 v195, v110, v166
	v_add_f32_e32 v62, v62, v194
	s_waitcnt lgkmcnt(0)
	v_mul_f32_e32 v63, v114, v141
	s_waitcnt vmcnt(3)
	v_fma_f32 v64, v111, v167, -v64
	v_add_f32_e32 v61, v61, v65
	v_mul_f32_e32 v197, v113, v141
	v_fmac_f32_e32 v196, v112, v167
	v_add_f32_e32 v62, v62, v195
	s_waitcnt vmcnt(2)
	v_fma_f32 v63, v113, v168, -v63
	v_add_f32_e32 v61, v61, v64
	v_fmac_f32_e32 v197, v114, v168
	v_add_f32_e32 v62, v62, v196
	v_add_f32_e32 v61, v61, v63
	;; [unrolled: 1-line block ×3, first 2 shown]
	s_waitcnt vmcnt(1)
	v_sub_f32_e32 v61, v169, v61
	s_waitcnt vmcnt(0)
	v_sub_f32_e32 v62, v170, v62
	buffer_store_dword v61, off, s[0:3], 0 offset:8
	buffer_store_dword v62, off, s[0:3], 0 offset:12
	v_cmpx_ne_u32_e32 0, v0
	s_cbranch_execz .LBB92_187
; %bb.186:
	s_clause 0x1
	buffer_load_dword v61, off, s[0:3], 0
	buffer_load_dword v62, off, s[0:3], 0 offset:4
	buffer_store_dword v60, off, s[0:3], 0
	buffer_store_dword v60, off, s[0:3], 0 offset:4
	s_waitcnt vmcnt(0)
	ds_write_b64 v59, v[61:62]
.LBB92_187:
	s_or_b32 exec_lo, exec_lo, s4
	s_waitcnt lgkmcnt(0)
	s_waitcnt_vscnt null, 0x0
	s_barrier
	buffer_gl0_inv
	s_clause 0x39
	buffer_load_dword v0, off, s[0:3], 0 offset:12
	buffer_load_dword v59, off, s[0:3], 0 offset:20
	;; [unrolled: 1-line block ×56, first 2 shown]
	buffer_load_dword v171, off, s[0:3], 0
	buffer_load_dword v172, off, s[0:3], 0 offset:4
	ds_read2_b64 v[61:64], v60 offset0:31 offset1:32
	ds_read2_b64 v[65:68], v60 offset0:33 offset1:34
	;; [unrolled: 1-line block ×14, first 2 shown]
	s_and_b32 vcc_lo, exec_lo, s16
	s_waitcnt vmcnt(57) lgkmcnt(13)
	v_mul_f32_e32 v60, v61, v0
	v_mul_f32_e32 v0, v62, v0
	s_waitcnt vmcnt(56)
	v_mul_f32_e32 v173, v63, v59
	v_mul_f32_e32 v59, v64, v59
	s_waitcnt vmcnt(55) lgkmcnt(12)
	v_mul_f32_e32 v174, v65, v117
	s_waitcnt vmcnt(54)
	v_mul_f32_e32 v175, v67, v118
	s_waitcnt vmcnt(53) lgkmcnt(11)
	v_mul_f32_e32 v176, v69, v119
	s_waitcnt vmcnt(52)
	;; [unrolled: 4-line block ×12, first 2 shown]
	v_mul_f32_e32 v197, v111, v140
	s_waitcnt vmcnt(29)
	v_fma_f32 v0, v61, v143, -v0
	v_fmac_f32_e32 v60, v62, v143
	v_mul_f32_e32 v61, v66, v117
	s_waitcnt vmcnt(28)
	v_fma_f32 v59, v63, v144, -v59
	v_fmac_f32_e32 v173, v64, v144
	v_add_f32_e32 v0, 0, v0
	v_add_f32_e32 v60, 0, v60
	v_mul_f32_e32 v62, v68, v118
	s_waitcnt vmcnt(27)
	v_fma_f32 v61, v65, v145, -v61
	v_fmac_f32_e32 v174, v66, v145
	v_add_f32_e32 v0, v0, v59
	v_add_f32_e32 v59, v60, v173
	;; [unrolled: 6-line block ×24, first 2 shown]
	s_waitcnt lgkmcnt(0)
	v_mul_f32_e32 v61, v114, v141
	s_waitcnt vmcnt(4)
	v_fma_f32 v60, v111, v168, -v60
	v_mul_f32_e32 v198, v113, v141
	v_add_f32_e32 v0, v0, v62
	v_fmac_f32_e32 v197, v112, v168
	v_add_f32_e32 v59, v59, v196
	v_mul_f32_e32 v62, v116, v142
	s_waitcnt vmcnt(3)
	v_fma_f32 v61, v113, v169, -v61
	v_add_f32_e32 v0, v0, v60
	v_mul_f32_e32 v199, v115, v142
	v_fmac_f32_e32 v198, v114, v169
	v_add_f32_e32 v59, v59, v197
	s_waitcnt vmcnt(2)
	v_fma_f32 v60, v115, v170, -v62
	v_add_f32_e32 v0, v0, v61
	v_fmac_f32_e32 v199, v116, v170
	v_add_f32_e32 v59, v59, v198
	v_add_f32_e32 v0, v0, v60
	;; [unrolled: 1-line block ×3, first 2 shown]
	s_waitcnt vmcnt(1)
	v_sub_f32_e32 v0, v171, v0
	s_waitcnt vmcnt(0)
	v_sub_f32_e32 v59, v172, v59
	buffer_store_dword v0, off, s[0:3], 0
	buffer_store_dword v59, off, s[0:3], 0 offset:4
	s_cbranch_vccz .LBB92_244
; %bb.188:
	v_mov_b32_e32 v0, 0
	global_load_dword v59, v0, s[12:13] offset:108
	s_waitcnt vmcnt(0)
	v_add_nc_u32_e32 v59, -1, v59
	v_cmp_ne_u32_e32 vcc_lo, 27, v59
	s_cbranch_vccz .LBB92_190
; %bb.189:
	v_lshlrev_b32_e32 v59, 3, v59
	s_clause 0x3
	buffer_load_dword v60, v59, s[0:3], 0 offen
	buffer_load_dword v61, v59, s[0:3], 0 offen offset:4
	buffer_load_dword v62, off, s[0:3], 0 offset:216
	buffer_load_dword v63, off, s[0:3], 0 offset:220
	s_waitcnt vmcnt(3)
	buffer_store_dword v60, off, s[0:3], 0 offset:216
	s_waitcnt vmcnt(2)
	buffer_store_dword v61, off, s[0:3], 0 offset:220
	s_waitcnt vmcnt(1)
	buffer_store_dword v62, v59, s[0:3], 0 offen
	s_waitcnt vmcnt(0)
	buffer_store_dword v63, v59, s[0:3], 0 offen offset:4
.LBB92_190:
	global_load_dword v0, v0, s[12:13] offset:104
	s_waitcnt vmcnt(0)
	v_add_nc_u32_e32 v0, -1, v0
	v_cmp_eq_u32_e32 vcc_lo, 26, v0
	s_cbranch_vccnz .LBB92_192
; %bb.191:
	v_lshlrev_b32_e32 v0, 3, v0
	s_clause 0x3
	buffer_load_dword v59, v0, s[0:3], 0 offen
	buffer_load_dword v60, v0, s[0:3], 0 offen offset:4
	buffer_load_dword v61, off, s[0:3], 0 offset:212
	buffer_load_dword v62, off, s[0:3], 0 offset:208
	s_waitcnt vmcnt(3)
	buffer_store_dword v59, off, s[0:3], 0 offset:208
	s_waitcnt vmcnt(2)
	buffer_store_dword v60, off, s[0:3], 0 offset:212
	s_waitcnt vmcnt(1)
	buffer_store_dword v61, v0, s[0:3], 0 offen offset:4
	s_waitcnt vmcnt(0)
	buffer_store_dword v62, v0, s[0:3], 0 offen
.LBB92_192:
	v_mov_b32_e32 v0, 0
	global_load_dword v59, v0, s[12:13] offset:100
	s_waitcnt vmcnt(0)
	v_add_nc_u32_e32 v59, -1, v59
	v_cmp_eq_u32_e32 vcc_lo, 25, v59
	s_cbranch_vccnz .LBB92_194
; %bb.193:
	v_lshlrev_b32_e32 v59, 3, v59
	s_clause 0x3
	buffer_load_dword v60, v59, s[0:3], 0 offen
	buffer_load_dword v61, v59, s[0:3], 0 offen offset:4
	buffer_load_dword v62, off, s[0:3], 0 offset:200
	buffer_load_dword v63, off, s[0:3], 0 offset:204
	s_waitcnt vmcnt(3)
	buffer_store_dword v60, off, s[0:3], 0 offset:200
	s_waitcnt vmcnt(2)
	buffer_store_dword v61, off, s[0:3], 0 offset:204
	s_waitcnt vmcnt(1)
	buffer_store_dword v62, v59, s[0:3], 0 offen
	s_waitcnt vmcnt(0)
	buffer_store_dword v63, v59, s[0:3], 0 offen offset:4
.LBB92_194:
	global_load_dword v0, v0, s[12:13] offset:96
	s_waitcnt vmcnt(0)
	v_add_nc_u32_e32 v0, -1, v0
	v_cmp_eq_u32_e32 vcc_lo, 24, v0
	s_cbranch_vccnz .LBB92_196
; %bb.195:
	v_lshlrev_b32_e32 v0, 3, v0
	s_clause 0x3
	buffer_load_dword v59, v0, s[0:3], 0 offen
	buffer_load_dword v60, v0, s[0:3], 0 offen offset:4
	buffer_load_dword v61, off, s[0:3], 0 offset:196
	buffer_load_dword v62, off, s[0:3], 0 offset:192
	s_waitcnt vmcnt(3)
	buffer_store_dword v59, off, s[0:3], 0 offset:192
	s_waitcnt vmcnt(2)
	buffer_store_dword v60, off, s[0:3], 0 offset:196
	s_waitcnt vmcnt(1)
	buffer_store_dword v61, v0, s[0:3], 0 offen offset:4
	s_waitcnt vmcnt(0)
	buffer_store_dword v62, v0, s[0:3], 0 offen
.LBB92_196:
	v_mov_b32_e32 v0, 0
	global_load_dword v59, v0, s[12:13] offset:92
	s_waitcnt vmcnt(0)
	v_add_nc_u32_e32 v59, -1, v59
	v_cmp_eq_u32_e32 vcc_lo, 23, v59
	s_cbranch_vccnz .LBB92_198
; %bb.197:
	v_lshlrev_b32_e32 v59, 3, v59
	s_clause 0x3
	buffer_load_dword v60, v59, s[0:3], 0 offen
	buffer_load_dword v61, v59, s[0:3], 0 offen offset:4
	buffer_load_dword v62, off, s[0:3], 0 offset:184
	buffer_load_dword v63, off, s[0:3], 0 offset:188
	s_waitcnt vmcnt(3)
	buffer_store_dword v60, off, s[0:3], 0 offset:184
	s_waitcnt vmcnt(2)
	buffer_store_dword v61, off, s[0:3], 0 offset:188
	s_waitcnt vmcnt(1)
	buffer_store_dword v62, v59, s[0:3], 0 offen
	s_waitcnt vmcnt(0)
	buffer_store_dword v63, v59, s[0:3], 0 offen offset:4
.LBB92_198:
	;; [unrolled: 43-line block ×13, first 2 shown]
	global_load_dword v0, v0, s[12:13]
	s_waitcnt vmcnt(0)
	v_add_nc_u32_e32 v0, -1, v0
	v_cmp_eq_u32_e32 vcc_lo, 0, v0
	s_cbranch_vccnz .LBB92_244
; %bb.243:
	v_lshlrev_b32_e32 v0, 3, v0
	s_clause 0x3
	buffer_load_dword v59, v0, s[0:3], 0 offen
	buffer_load_dword v60, v0, s[0:3], 0 offen offset:4
	buffer_load_dword v61, off, s[0:3], 0 offset:4
	buffer_load_dword v62, off, s[0:3], 0
	s_waitcnt vmcnt(3)
	buffer_store_dword v59, off, s[0:3], 0
	s_waitcnt vmcnt(2)
	buffer_store_dword v60, off, s[0:3], 0 offset:4
	s_waitcnt vmcnt(1)
	buffer_store_dword v61, v0, s[0:3], 0 offen offset:4
	s_waitcnt vmcnt(0)
	buffer_store_dword v62, v0, s[0:3], 0 offen
.LBB92_244:
	s_clause 0x1
	buffer_load_dword v59, off, s[0:3], 0
	buffer_load_dword v60, off, s[0:3], 0 offset:4
	s_waitcnt vmcnt(0)
	flat_store_dwordx2 v[1:2], v[59:60]
	s_clause 0x1
	buffer_load_dword v0, off, s[0:3], 0 offset:8
	buffer_load_dword v1, off, s[0:3], 0 offset:12
	s_waitcnt vmcnt(0)
	flat_store_dwordx2 v[3:4], v[0:1]
	s_clause 0x1
	buffer_load_dword v0, off, s[0:3], 0 offset:16
	buffer_load_dword v1, off, s[0:3], 0 offset:20
	s_waitcnt vmcnt(0)
	flat_store_dwordx2 v[5:6], v[0:1]
	s_clause 0x1
	buffer_load_dword v0, off, s[0:3], 0 offset:24
	buffer_load_dword v1, off, s[0:3], 0 offset:28
	s_waitcnt vmcnt(0)
	flat_store_dwordx2 v[7:8], v[0:1]
	s_clause 0x1
	buffer_load_dword v0, off, s[0:3], 0 offset:32
	buffer_load_dword v1, off, s[0:3], 0 offset:36
	s_waitcnt vmcnt(0)
	flat_store_dwordx2 v[9:10], v[0:1]
	s_clause 0x1
	buffer_load_dword v0, off, s[0:3], 0 offset:40
	buffer_load_dword v1, off, s[0:3], 0 offset:44
	s_waitcnt vmcnt(0)
	flat_store_dwordx2 v[11:12], v[0:1]
	s_clause 0x1
	buffer_load_dword v0, off, s[0:3], 0 offset:48
	buffer_load_dword v1, off, s[0:3], 0 offset:52
	s_waitcnt vmcnt(0)
	flat_store_dwordx2 v[13:14], v[0:1]
	s_clause 0x1
	buffer_load_dword v0, off, s[0:3], 0 offset:56
	buffer_load_dword v1, off, s[0:3], 0 offset:60
	s_waitcnt vmcnt(0)
	flat_store_dwordx2 v[15:16], v[0:1]
	s_clause 0x1
	buffer_load_dword v0, off, s[0:3], 0 offset:64
	buffer_load_dword v1, off, s[0:3], 0 offset:68
	s_waitcnt vmcnt(0)
	flat_store_dwordx2 v[17:18], v[0:1]
	s_clause 0x1
	buffer_load_dword v0, off, s[0:3], 0 offset:72
	buffer_load_dword v1, off, s[0:3], 0 offset:76
	s_waitcnt vmcnt(0)
	flat_store_dwordx2 v[19:20], v[0:1]
	s_clause 0x1
	buffer_load_dword v0, off, s[0:3], 0 offset:80
	buffer_load_dword v1, off, s[0:3], 0 offset:84
	s_waitcnt vmcnt(0)
	flat_store_dwordx2 v[21:22], v[0:1]
	s_clause 0x1
	buffer_load_dword v0, off, s[0:3], 0 offset:88
	buffer_load_dword v1, off, s[0:3], 0 offset:92
	s_waitcnt vmcnt(0)
	flat_store_dwordx2 v[23:24], v[0:1]
	s_clause 0x1
	buffer_load_dword v0, off, s[0:3], 0 offset:96
	buffer_load_dword v1, off, s[0:3], 0 offset:100
	s_waitcnt vmcnt(0)
	flat_store_dwordx2 v[25:26], v[0:1]
	s_clause 0x1
	buffer_load_dword v0, off, s[0:3], 0 offset:104
	buffer_load_dword v1, off, s[0:3], 0 offset:108
	s_waitcnt vmcnt(0)
	flat_store_dwordx2 v[27:28], v[0:1]
	s_clause 0x1
	buffer_load_dword v0, off, s[0:3], 0 offset:112
	buffer_load_dword v1, off, s[0:3], 0 offset:116
	s_waitcnt vmcnt(0)
	flat_store_dwordx2 v[29:30], v[0:1]
	s_clause 0x1
	buffer_load_dword v0, off, s[0:3], 0 offset:120
	buffer_load_dword v1, off, s[0:3], 0 offset:124
	s_waitcnt vmcnt(0)
	flat_store_dwordx2 v[31:32], v[0:1]
	s_clause 0x1
	buffer_load_dword v0, off, s[0:3], 0 offset:128
	buffer_load_dword v1, off, s[0:3], 0 offset:132
	s_waitcnt vmcnt(0)
	flat_store_dwordx2 v[33:34], v[0:1]
	s_clause 0x1
	buffer_load_dword v0, off, s[0:3], 0 offset:136
	buffer_load_dword v1, off, s[0:3], 0 offset:140
	s_waitcnt vmcnt(0)
	flat_store_dwordx2 v[35:36], v[0:1]
	s_clause 0x1
	buffer_load_dword v0, off, s[0:3], 0 offset:144
	buffer_load_dword v1, off, s[0:3], 0 offset:148
	s_waitcnt vmcnt(0)
	flat_store_dwordx2 v[37:38], v[0:1]
	s_clause 0x1
	buffer_load_dword v0, off, s[0:3], 0 offset:152
	buffer_load_dword v1, off, s[0:3], 0 offset:156
	s_waitcnt vmcnt(0)
	flat_store_dwordx2 v[39:40], v[0:1]
	s_clause 0x1
	buffer_load_dword v0, off, s[0:3], 0 offset:160
	buffer_load_dword v1, off, s[0:3], 0 offset:164
	s_waitcnt vmcnt(0)
	flat_store_dwordx2 v[41:42], v[0:1]
	s_clause 0x1
	buffer_load_dword v0, off, s[0:3], 0 offset:168
	buffer_load_dword v1, off, s[0:3], 0 offset:172
	s_waitcnt vmcnt(0)
	flat_store_dwordx2 v[43:44], v[0:1]
	s_clause 0x1
	buffer_load_dword v0, off, s[0:3], 0 offset:176
	buffer_load_dword v1, off, s[0:3], 0 offset:180
	s_waitcnt vmcnt(0)
	flat_store_dwordx2 v[45:46], v[0:1]
	s_clause 0x1
	buffer_load_dword v0, off, s[0:3], 0 offset:184
	buffer_load_dword v1, off, s[0:3], 0 offset:188
	s_waitcnt vmcnt(0)
	flat_store_dwordx2 v[47:48], v[0:1]
	s_clause 0x1
	buffer_load_dword v0, off, s[0:3], 0 offset:192
	buffer_load_dword v1, off, s[0:3], 0 offset:196
	s_waitcnt vmcnt(0)
	flat_store_dwordx2 v[49:50], v[0:1]
	s_clause 0x1
	buffer_load_dword v0, off, s[0:3], 0 offset:200
	buffer_load_dword v1, off, s[0:3], 0 offset:204
	s_waitcnt vmcnt(0)
	flat_store_dwordx2 v[51:52], v[0:1]
	s_clause 0x1
	buffer_load_dword v0, off, s[0:3], 0 offset:208
	buffer_load_dword v1, off, s[0:3], 0 offset:212
	s_waitcnt vmcnt(0)
	flat_store_dwordx2 v[53:54], v[0:1]
	s_clause 0x1
	buffer_load_dword v0, off, s[0:3], 0 offset:216
	buffer_load_dword v1, off, s[0:3], 0 offset:220
	s_waitcnt vmcnt(0)
	flat_store_dwordx2 v[55:56], v[0:1]
	s_clause 0x1
	buffer_load_dword v0, off, s[0:3], 0 offset:224
	buffer_load_dword v1, off, s[0:3], 0 offset:228
	s_waitcnt vmcnt(0)
	flat_store_dwordx2 v[57:58], v[0:1]
	s_endpgm
	.section	.rodata,"a",@progbits
	.p2align	6, 0x0
	.amdhsa_kernel _ZN9rocsolver6v33100L18getri_kernel_smallILi29E19rocblas_complex_numIfEPKPS3_EEvT1_iilPiilS8_bb
		.amdhsa_group_segment_fixed_size 472
		.amdhsa_private_segment_fixed_size 240
		.amdhsa_kernarg_size 60
		.amdhsa_user_sgpr_count 6
		.amdhsa_user_sgpr_private_segment_buffer 1
		.amdhsa_user_sgpr_dispatch_ptr 0
		.amdhsa_user_sgpr_queue_ptr 0
		.amdhsa_user_sgpr_kernarg_segment_ptr 1
		.amdhsa_user_sgpr_dispatch_id 0
		.amdhsa_user_sgpr_flat_scratch_init 0
		.amdhsa_user_sgpr_private_segment_size 0
		.amdhsa_wavefront_size32 1
		.amdhsa_uses_dynamic_stack 0
		.amdhsa_system_sgpr_private_segment_wavefront_offset 1
		.amdhsa_system_sgpr_workgroup_id_x 1
		.amdhsa_system_sgpr_workgroup_id_y 0
		.amdhsa_system_sgpr_workgroup_id_z 0
		.amdhsa_system_sgpr_workgroup_info 0
		.amdhsa_system_vgpr_workitem_id 0
		.amdhsa_next_free_vgpr 200
		.amdhsa_next_free_sgpr 20
		.amdhsa_reserve_vcc 1
		.amdhsa_reserve_flat_scratch 0
		.amdhsa_float_round_mode_32 0
		.amdhsa_float_round_mode_16_64 0
		.amdhsa_float_denorm_mode_32 3
		.amdhsa_float_denorm_mode_16_64 3
		.amdhsa_dx10_clamp 1
		.amdhsa_ieee_mode 1
		.amdhsa_fp16_overflow 0
		.amdhsa_workgroup_processor_mode 1
		.amdhsa_memory_ordered 1
		.amdhsa_forward_progress 1
		.amdhsa_shared_vgpr_count 0
		.amdhsa_exception_fp_ieee_invalid_op 0
		.amdhsa_exception_fp_denorm_src 0
		.amdhsa_exception_fp_ieee_div_zero 0
		.amdhsa_exception_fp_ieee_overflow 0
		.amdhsa_exception_fp_ieee_underflow 0
		.amdhsa_exception_fp_ieee_inexact 0
		.amdhsa_exception_int_div_zero 0
	.end_amdhsa_kernel
	.section	.text._ZN9rocsolver6v33100L18getri_kernel_smallILi29E19rocblas_complex_numIfEPKPS3_EEvT1_iilPiilS8_bb,"axG",@progbits,_ZN9rocsolver6v33100L18getri_kernel_smallILi29E19rocblas_complex_numIfEPKPS3_EEvT1_iilPiilS8_bb,comdat
.Lfunc_end92:
	.size	_ZN9rocsolver6v33100L18getri_kernel_smallILi29E19rocblas_complex_numIfEPKPS3_EEvT1_iilPiilS8_bb, .Lfunc_end92-_ZN9rocsolver6v33100L18getri_kernel_smallILi29E19rocblas_complex_numIfEPKPS3_EEvT1_iilPiilS8_bb
                                        ; -- End function
	.set _ZN9rocsolver6v33100L18getri_kernel_smallILi29E19rocblas_complex_numIfEPKPS3_EEvT1_iilPiilS8_bb.num_vgpr, 200
	.set _ZN9rocsolver6v33100L18getri_kernel_smallILi29E19rocblas_complex_numIfEPKPS3_EEvT1_iilPiilS8_bb.num_agpr, 0
	.set _ZN9rocsolver6v33100L18getri_kernel_smallILi29E19rocblas_complex_numIfEPKPS3_EEvT1_iilPiilS8_bb.numbered_sgpr, 20
	.set _ZN9rocsolver6v33100L18getri_kernel_smallILi29E19rocblas_complex_numIfEPKPS3_EEvT1_iilPiilS8_bb.num_named_barrier, 0
	.set _ZN9rocsolver6v33100L18getri_kernel_smallILi29E19rocblas_complex_numIfEPKPS3_EEvT1_iilPiilS8_bb.private_seg_size, 240
	.set _ZN9rocsolver6v33100L18getri_kernel_smallILi29E19rocblas_complex_numIfEPKPS3_EEvT1_iilPiilS8_bb.uses_vcc, 1
	.set _ZN9rocsolver6v33100L18getri_kernel_smallILi29E19rocblas_complex_numIfEPKPS3_EEvT1_iilPiilS8_bb.uses_flat_scratch, 0
	.set _ZN9rocsolver6v33100L18getri_kernel_smallILi29E19rocblas_complex_numIfEPKPS3_EEvT1_iilPiilS8_bb.has_dyn_sized_stack, 0
	.set _ZN9rocsolver6v33100L18getri_kernel_smallILi29E19rocblas_complex_numIfEPKPS3_EEvT1_iilPiilS8_bb.has_recursion, 0
	.set _ZN9rocsolver6v33100L18getri_kernel_smallILi29E19rocblas_complex_numIfEPKPS3_EEvT1_iilPiilS8_bb.has_indirect_call, 0
	.section	.AMDGPU.csdata,"",@progbits
; Kernel info:
; codeLenInByte = 40640
; TotalNumSgprs: 22
; NumVgprs: 200
; ScratchSize: 240
; MemoryBound: 0
; FloatMode: 240
; IeeeMode: 1
; LDSByteSize: 472 bytes/workgroup (compile time only)
; SGPRBlocks: 0
; VGPRBlocks: 24
; NumSGPRsForWavesPerEU: 22
; NumVGPRsForWavesPerEU: 200
; Occupancy: 4
; WaveLimiterHint : 1
; COMPUTE_PGM_RSRC2:SCRATCH_EN: 1
; COMPUTE_PGM_RSRC2:USER_SGPR: 6
; COMPUTE_PGM_RSRC2:TRAP_HANDLER: 0
; COMPUTE_PGM_RSRC2:TGID_X_EN: 1
; COMPUTE_PGM_RSRC2:TGID_Y_EN: 0
; COMPUTE_PGM_RSRC2:TGID_Z_EN: 0
; COMPUTE_PGM_RSRC2:TIDIG_COMP_CNT: 0
	.section	.text._ZN9rocsolver6v33100L18getri_kernel_smallILi30E19rocblas_complex_numIfEPKPS3_EEvT1_iilPiilS8_bb,"axG",@progbits,_ZN9rocsolver6v33100L18getri_kernel_smallILi30E19rocblas_complex_numIfEPKPS3_EEvT1_iilPiilS8_bb,comdat
	.globl	_ZN9rocsolver6v33100L18getri_kernel_smallILi30E19rocblas_complex_numIfEPKPS3_EEvT1_iilPiilS8_bb ; -- Begin function _ZN9rocsolver6v33100L18getri_kernel_smallILi30E19rocblas_complex_numIfEPKPS3_EEvT1_iilPiilS8_bb
	.p2align	8
	.type	_ZN9rocsolver6v33100L18getri_kernel_smallILi30E19rocblas_complex_numIfEPKPS3_EEvT1_iilPiilS8_bb,@function
_ZN9rocsolver6v33100L18getri_kernel_smallILi30E19rocblas_complex_numIfEPKPS3_EEvT1_iilPiilS8_bb: ; @_ZN9rocsolver6v33100L18getri_kernel_smallILi30E19rocblas_complex_numIfEPKPS3_EEvT1_iilPiilS8_bb
; %bb.0:
	s_add_u32 s0, s0, s7
	s_addc_u32 s1, s1, 0
	s_mov_b32 s7, exec_lo
	v_cmpx_gt_u32_e32 30, v0
	s_cbranch_execz .LBB93_134
; %bb.1:
	s_clause 0x2
	s_load_dword s17, s[4:5], 0x38
	s_load_dwordx2 s[12:13], s[4:5], 0x0
	s_load_dwordx4 s[8:11], s[4:5], 0x28
	s_waitcnt lgkmcnt(0)
	s_bitcmp1_b32 s17, 8
	s_cselect_b32 s16, -1, 0
	s_ashr_i32 s7, s6, 31
	s_lshl_b64 s[14:15], s[6:7], 3
	s_add_u32 s12, s12, s14
	s_addc_u32 s13, s13, s15
	s_load_dwordx2 s[14:15], s[12:13], 0x0
	s_bfe_u32 s12, s17, 0x10008
	s_cmp_eq_u32 s12, 0
                                        ; implicit-def: $sgpr12_sgpr13
	s_cbranch_scc1 .LBB93_3
; %bb.2:
	s_clause 0x1
	s_load_dword s12, s[4:5], 0x20
	s_load_dwordx2 s[18:19], s[4:5], 0x18
	s_mul_i32 s13, s8, s7
	s_mul_hi_u32 s17, s8, s6
	s_mul_i32 s9, s9, s6
	s_add_i32 s13, s17, s13
	s_mul_i32 s8, s8, s6
	s_add_i32 s9, s13, s9
	s_lshl_b64 s[8:9], s[8:9], 2
	s_waitcnt lgkmcnt(0)
	s_ashr_i32 s13, s12, 31
	s_add_u32 s17, s18, s8
	s_addc_u32 s18, s19, s9
	s_lshl_b64 s[8:9], s[12:13], 2
	s_add_u32 s12, s17, s8
	s_addc_u32 s13, s18, s9
.LBB93_3:
	s_clause 0x1
	s_load_dwordx2 s[8:9], s[4:5], 0x8
	s_load_dword s4, s[4:5], 0x38
	v_lshlrev_b32_e32 v63, 3, v0
	s_waitcnt lgkmcnt(0)
	s_ashr_i32 s19, s8, 31
	s_mov_b32 s18, s8
	v_add3_u32 v9, s9, s9, v0
	s_lshl_b64 s[18:19], s[18:19], 3
	s_add_u32 s5, s14, s18
	s_addc_u32 s8, s15, s19
	v_add_co_u32 v1, s14, s5, v63
	v_add_co_ci_u32_e64 v2, null, s8, 0, s14
	s_mov_b32 s14, s9
	s_ashr_i32 s15, s9, 31
	v_ashrrev_i32_e32 v10, 31, v9
	flat_load_dwordx2 v[5:6], v[1:2]
	s_lshl_b64 s[14:15], s[14:15], 3
	v_add_nc_u32_e32 v12, s9, v9
	v_add_co_u32 v3, vcc_lo, v1, s14
	v_add_co_ci_u32_e64 v4, null, s15, v2, vcc_lo
	v_ashrrev_i32_e32 v13, 31, v12
	s_bitcmp0_b32 s4, 0
	s_waitcnt vmcnt(0) lgkmcnt(0)
	buffer_store_dword v6, off, s[0:3], 0 offset:4
	buffer_store_dword v5, off, s[0:3], 0
	flat_load_dwordx2 v[7:8], v[3:4]
	v_lshlrev_b64 v[5:6], 3, v[9:10]
	s_waitcnt vmcnt(0) lgkmcnt(0)
	buffer_store_dword v8, off, s[0:3], 0 offset:12
	buffer_store_dword v7, off, s[0:3], 0 offset:8
	v_add_co_u32 v5, vcc_lo, s5, v5
	v_add_co_ci_u32_e64 v6, null, s8, v6, vcc_lo
	v_lshlrev_b64 v[7:8], 3, v[12:13]
	flat_load_dwordx2 v[10:11], v[5:6]
	s_waitcnt vmcnt(0) lgkmcnt(0)
	buffer_store_dword v11, off, s[0:3], 0 offset:20
	buffer_store_dword v10, off, s[0:3], 0 offset:16
	v_add_co_u32 v7, vcc_lo, s5, v7
	v_add_co_ci_u32_e64 v8, null, s8, v8, vcc_lo
	v_add_nc_u32_e32 v11, s9, v12
	flat_load_dwordx2 v[13:14], v[7:8]
	s_waitcnt vmcnt(0) lgkmcnt(0)
	buffer_store_dword v14, off, s[0:3], 0 offset:28
	buffer_store_dword v13, off, s[0:3], 0 offset:24
	v_ashrrev_i32_e32 v12, 31, v11
	v_add_nc_u32_e32 v15, s9, v11
	v_lshlrev_b64 v[9:10], 3, v[11:12]
	v_ashrrev_i32_e32 v16, 31, v15
	v_add_nc_u32_e32 v18, s9, v15
	v_add_co_u32 v9, vcc_lo, s5, v9
	v_add_co_ci_u32_e64 v10, null, s8, v10, vcc_lo
	v_lshlrev_b64 v[11:12], 3, v[15:16]
	v_ashrrev_i32_e32 v19, 31, v18
	flat_load_dwordx2 v[13:14], v[9:10]
	s_waitcnt vmcnt(0) lgkmcnt(0)
	buffer_store_dword v14, off, s[0:3], 0 offset:36
	buffer_store_dword v13, off, s[0:3], 0 offset:32
	v_add_co_u32 v11, vcc_lo, s5, v11
	v_add_co_ci_u32_e64 v12, null, s8, v12, vcc_lo
	v_lshlrev_b64 v[13:14], 3, v[18:19]
	flat_load_dwordx2 v[16:17], v[11:12]
	s_waitcnt vmcnt(0) lgkmcnt(0)
	buffer_store_dword v17, off, s[0:3], 0 offset:44
	buffer_store_dword v16, off, s[0:3], 0 offset:40
	v_add_co_u32 v13, vcc_lo, s5, v13
	v_add_co_ci_u32_e64 v14, null, s8, v14, vcc_lo
	v_add_nc_u32_e32 v17, s9, v18
	flat_load_dwordx2 v[19:20], v[13:14]
	s_waitcnt vmcnt(0) lgkmcnt(0)
	buffer_store_dword v20, off, s[0:3], 0 offset:52
	buffer_store_dword v19, off, s[0:3], 0 offset:48
	v_ashrrev_i32_e32 v18, 31, v17
	v_add_nc_u32_e32 v21, s9, v17
	v_lshlrev_b64 v[15:16], 3, v[17:18]
	v_ashrrev_i32_e32 v22, 31, v21
	v_add_nc_u32_e32 v24, s9, v21
	v_add_co_u32 v15, vcc_lo, s5, v15
	v_add_co_ci_u32_e64 v16, null, s8, v16, vcc_lo
	v_lshlrev_b64 v[17:18], 3, v[21:22]
	v_ashrrev_i32_e32 v25, 31, v24
	flat_load_dwordx2 v[19:20], v[15:16]
	;; [unrolled: 27-line block ×8, first 2 shown]
	s_waitcnt vmcnt(0) lgkmcnt(0)
	buffer_store_dword v56, off, s[0:3], 0 offset:204
	buffer_store_dword v55, off, s[0:3], 0 offset:200
	v_add_co_u32 v53, vcc_lo, s5, v53
	v_add_co_ci_u32_e64 v54, null, s8, v54, vcc_lo
	v_lshlrev_b64 v[55:56], 3, v[60:61]
	flat_load_dwordx2 v[58:59], v[53:54]
	s_waitcnt vmcnt(0) lgkmcnt(0)
	buffer_store_dword v59, off, s[0:3], 0 offset:212
	buffer_store_dword v58, off, s[0:3], 0 offset:208
	v_add_co_u32 v55, vcc_lo, s5, v55
	v_add_co_ci_u32_e64 v56, null, s8, v56, vcc_lo
	v_add_nc_u32_e32 v59, s9, v60
	flat_load_dwordx2 v[61:62], v[55:56]
	s_waitcnt vmcnt(0) lgkmcnt(0)
	buffer_store_dword v62, off, s[0:3], 0 offset:220
	buffer_store_dword v61, off, s[0:3], 0 offset:216
	v_ashrrev_i32_e32 v60, 31, v59
	v_lshlrev_b64 v[57:58], 3, v[59:60]
	v_add_nc_u32_e32 v59, s9, v59
	v_add_co_u32 v57, vcc_lo, s5, v57
	v_add_co_ci_u32_e64 v58, null, s8, v58, vcc_lo
	v_ashrrev_i32_e32 v60, 31, v59
	flat_load_dwordx2 v[61:62], v[57:58]
	s_waitcnt vmcnt(0) lgkmcnt(0)
	buffer_store_dword v62, off, s[0:3], 0 offset:228
	buffer_store_dword v61, off, s[0:3], 0 offset:224
	v_lshlrev_b64 v[59:60], 3, v[59:60]
	v_add_co_u32 v59, vcc_lo, s5, v59
	v_add_co_ci_u32_e64 v60, null, s8, v60, vcc_lo
	s_mov_b32 s5, -1
	flat_load_dwordx2 v[61:62], v[59:60]
	s_waitcnt vmcnt(0) lgkmcnt(0)
	buffer_store_dword v62, off, s[0:3], 0 offset:236
	buffer_store_dword v61, off, s[0:3], 0 offset:232
	s_cbranch_scc1 .LBB93_132
; %bb.4:
	v_cmp_eq_u32_e64 s4, 0, v0
	s_and_saveexec_b32 s5, s4
; %bb.5:
	v_mov_b32_e32 v61, 0
	ds_write_b32 v61, v61 offset:480
; %bb.6:
	s_or_b32 exec_lo, exec_lo, s5
	v_lshl_add_u32 v65, v0, 3, 0
	s_waitcnt lgkmcnt(0)
	s_waitcnt_vscnt null, 0x0
	s_barrier
	buffer_gl0_inv
	s_clause 0x1
	buffer_load_dword v61, v65, s[0:3], 0 offen
	buffer_load_dword v62, v65, s[0:3], 0 offen offset:4
	s_waitcnt vmcnt(1)
	v_cmp_eq_f32_e32 vcc_lo, 0, v61
	s_waitcnt vmcnt(0)
	v_cmp_eq_f32_e64 s5, 0, v62
	s_and_b32 s5, vcc_lo, s5
	s_and_saveexec_b32 s8, s5
	s_cbranch_execz .LBB93_10
; %bb.7:
	v_mov_b32_e32 v61, 0
	s_mov_b32 s9, 0
	ds_read_b32 v62, v61 offset:480
	s_waitcnt lgkmcnt(0)
	v_readfirstlane_b32 s5, v62
	v_add_nc_u32_e32 v62, 1, v0
	s_cmp_eq_u32 s5, 0
	v_cmp_gt_i32_e32 vcc_lo, s5, v62
	s_cselect_b32 s14, -1, 0
	s_or_b32 s14, s14, vcc_lo
	s_and_b32 exec_lo, exec_lo, s14
	s_cbranch_execz .LBB93_10
; %bb.8:
	v_mov_b32_e32 v64, s5
.LBB93_9:                               ; =>This Inner Loop Header: Depth=1
	ds_cmpst_rtn_b32 v64, v61, v64, v62 offset:480
	s_waitcnt lgkmcnt(0)
	v_cmp_ne_u32_e32 vcc_lo, 0, v64
	v_cmp_le_i32_e64 s5, v64, v62
	s_and_b32 s5, vcc_lo, s5
	s_and_b32 s5, exec_lo, s5
	s_or_b32 s9, s5, s9
	s_andn2_b32 exec_lo, exec_lo, s9
	s_cbranch_execnz .LBB93_9
.LBB93_10:
	s_or_b32 exec_lo, exec_lo, s8
	v_mov_b32_e32 v61, 0
	s_barrier
	buffer_gl0_inv
	ds_read_b32 v62, v61 offset:480
	s_and_saveexec_b32 s5, s4
	s_cbranch_execz .LBB93_12
; %bb.11:
	s_lshl_b64 s[8:9], s[6:7], 2
	s_add_u32 s8, s10, s8
	s_addc_u32 s9, s11, s9
	s_waitcnt lgkmcnt(0)
	global_store_dword v61, v62, s[8:9]
.LBB93_12:
	s_or_b32 exec_lo, exec_lo, s5
	s_waitcnt lgkmcnt(0)
	v_cmp_ne_u32_e32 vcc_lo, 0, v62
	s_mov_b32 s5, 0
	s_cbranch_vccnz .LBB93_132
; %bb.13:
	s_clause 0x1
	buffer_load_dword v62, v65, s[0:3], 0 offen
	buffer_load_dword v64, v65, s[0:3], 0 offen offset:4
                                        ; implicit-def: $vgpr67
                                        ; implicit-def: $vgpr66
                                        ; implicit-def: $vgpr61
	s_waitcnt vmcnt(0)
	v_cmp_ngt_f32_e64 s5, |v62|, |v64|
	s_and_saveexec_b32 s8, s5
	s_xor_b32 s5, exec_lo, s8
	s_cbranch_execz .LBB93_15
; %bb.14:
	v_div_scale_f32 v61, null, v64, v64, v62
	v_div_scale_f32 v68, vcc_lo, v62, v64, v62
	v_rcp_f32_e32 v66, v61
	v_fma_f32 v67, -v61, v66, 1.0
	v_fmac_f32_e32 v66, v67, v66
	v_mul_f32_e32 v67, v68, v66
	v_fma_f32 v69, -v61, v67, v68
	v_fmac_f32_e32 v67, v69, v66
	v_fma_f32 v61, -v61, v67, v68
	v_div_fmas_f32 v61, v61, v66, v67
	v_div_fixup_f32 v61, v61, v64, v62
	v_fmac_f32_e32 v64, v62, v61
	v_div_scale_f32 v62, null, v64, v64, 1.0
	v_rcp_f32_e32 v66, v62
	v_fma_f32 v67, -v62, v66, 1.0
	v_fmac_f32_e32 v66, v67, v66
	v_div_scale_f32 v67, vcc_lo, 1.0, v64, 1.0
	v_mul_f32_e32 v68, v67, v66
	v_fma_f32 v69, -v62, v68, v67
	v_fmac_f32_e32 v68, v69, v66
	v_fma_f32 v62, -v62, v68, v67
	v_div_fmas_f32 v62, v62, v66, v68
	v_div_fixup_f32 v62, v62, v64, 1.0
                                        ; implicit-def: $vgpr64
	v_mul_f32_e32 v67, v61, v62
	v_xor_b32_e32 v66, 0x80000000, v62
                                        ; implicit-def: $vgpr62
	v_xor_b32_e32 v61, 0x80000000, v67
.LBB93_15:
	s_andn2_saveexec_b32 s5, s5
	s_cbranch_execz .LBB93_17
; %bb.16:
	v_div_scale_f32 v61, null, v62, v62, v64
	v_div_scale_f32 v68, vcc_lo, v64, v62, v64
	v_rcp_f32_e32 v66, v61
	v_fma_f32 v67, -v61, v66, 1.0
	v_fmac_f32_e32 v66, v67, v66
	v_mul_f32_e32 v67, v68, v66
	v_fma_f32 v69, -v61, v67, v68
	v_fmac_f32_e32 v67, v69, v66
	v_fma_f32 v61, -v61, v67, v68
	v_div_fmas_f32 v61, v61, v66, v67
	v_div_fixup_f32 v66, v61, v62, v64
	v_fmac_f32_e32 v62, v64, v66
	v_div_scale_f32 v61, null, v62, v62, 1.0
	v_div_scale_f32 v68, vcc_lo, 1.0, v62, 1.0
	v_rcp_f32_e32 v64, v61
	v_fma_f32 v67, -v61, v64, 1.0
	v_fmac_f32_e32 v64, v67, v64
	v_mul_f32_e32 v67, v68, v64
	v_fma_f32 v69, -v61, v67, v68
	v_fmac_f32_e32 v67, v69, v64
	v_fma_f32 v61, -v61, v67, v68
	v_div_fmas_f32 v61, v61, v64, v67
	v_div_fixup_f32 v67, v61, v62, 1.0
	v_xor_b32_e32 v61, 0x80000000, v67
	v_mul_f32_e64 v66, v66, -v67
.LBB93_17:
	s_or_b32 exec_lo, exec_lo, s5
	buffer_store_dword v67, v65, s[0:3], 0 offen
	buffer_store_dword v66, v65, s[0:3], 0 offen offset:4
	s_clause 0x1
	buffer_load_dword v68, off, s[0:3], 0 offset:12
	buffer_load_dword v67, off, s[0:3], 0 offset:8
	v_xor_b32_e32 v62, 0x80000000, v66
	v_add_nc_u32_e32 v64, 0xf0, v63
	s_waitcnt vmcnt(0)
	ds_write2_b64 v63, v[61:62], v[67:68] offset1:30
	s_waitcnt lgkmcnt(0)
	s_waitcnt_vscnt null, 0x0
	s_barrier
	buffer_gl0_inv
	s_and_saveexec_b32 s5, s4
	s_cbranch_execz .LBB93_19
; %bb.18:
	s_clause 0x1
	buffer_load_dword v68, v65, s[0:3], 0 offen offset:4
	buffer_load_dword v69, v65, s[0:3], 0 offen
	ds_read_b64 v[61:62], v64
	v_mov_b32_e32 v66, 0
	ds_read_b64 v[66:67], v66 offset:8
	s_waitcnt vmcnt(1) lgkmcnt(1)
	v_mul_f32_e32 v70, v61, v68
	v_mul_f32_e32 v68, v62, v68
	s_waitcnt vmcnt(0)
	v_fmac_f32_e32 v70, v62, v69
	v_fma_f32 v61, v61, v69, -v68
	v_add_f32_e32 v62, 0, v70
	v_add_f32_e32 v61, 0, v61
	s_waitcnt lgkmcnt(0)
	v_mul_f32_e32 v68, v62, v67
	v_mul_f32_e32 v67, v61, v67
	v_fma_f32 v61, v61, v66, -v68
	v_fmac_f32_e32 v67, v62, v66
	buffer_store_dword v61, off, s[0:3], 0 offset:8
	buffer_store_dword v67, off, s[0:3], 0 offset:12
.LBB93_19:
	s_or_b32 exec_lo, exec_lo, s5
	s_waitcnt_vscnt null, 0x0
	s_barrier
	buffer_gl0_inv
	s_clause 0x1
	buffer_load_dword v61, off, s[0:3], 0 offset:16
	buffer_load_dword v62, off, s[0:3], 0 offset:20
	s_mov_b32 s5, exec_lo
	s_waitcnt vmcnt(0)
	ds_write_b64 v64, v[61:62]
	s_waitcnt lgkmcnt(0)
	s_barrier
	buffer_gl0_inv
	v_cmpx_gt_u32_e32 2, v0
	s_cbranch_execz .LBB93_23
; %bb.20:
	s_clause 0x1
	buffer_load_dword v66, v65, s[0:3], 0 offen offset:4
	buffer_load_dword v65, v65, s[0:3], 0 offen
	ds_read_b64 v[61:62], v64
	s_waitcnt vmcnt(1) lgkmcnt(0)
	v_mul_f32_e32 v67, v62, v66
	v_mul_f32_e32 v66, v61, v66
	s_waitcnt vmcnt(0)
	v_fma_f32 v61, v61, v65, -v67
	v_fmac_f32_e32 v66, v62, v65
	v_add_f32_e32 v62, 0, v61
	v_add_f32_e32 v61, 0, v66
	s_and_saveexec_b32 s8, s4
	s_cbranch_execz .LBB93_22
; %bb.21:
	s_clause 0x1
	buffer_load_dword v67, off, s[0:3], 0 offset:12
	buffer_load_dword v68, off, s[0:3], 0 offset:8
	v_mov_b32_e32 v65, 0
	ds_read_b64 v[65:66], v65 offset:248
	s_waitcnt vmcnt(1) lgkmcnt(0)
	v_mul_f32_e32 v69, v65, v67
	v_mul_f32_e32 v67, v66, v67
	s_waitcnt vmcnt(0)
	v_fmac_f32_e32 v69, v66, v68
	v_fma_f32 v65, v65, v68, -v67
	v_add_f32_e32 v61, v61, v69
	v_add_f32_e32 v62, v62, v65
.LBB93_22:
	s_or_b32 exec_lo, exec_lo, s8
	v_mov_b32_e32 v65, 0
	ds_read_b64 v[65:66], v65 offset:16
	s_waitcnt lgkmcnt(0)
	v_mul_f32_e32 v67, v61, v66
	v_mul_f32_e32 v66, v62, v66
	v_fma_f32 v62, v62, v65, -v67
	v_fmac_f32_e32 v66, v61, v65
	buffer_store_dword v62, off, s[0:3], 0 offset:16
	buffer_store_dword v66, off, s[0:3], 0 offset:20
.LBB93_23:
	s_or_b32 exec_lo, exec_lo, s5
	s_waitcnt_vscnt null, 0x0
	s_barrier
	buffer_gl0_inv
	s_clause 0x1
	buffer_load_dword v65, off, s[0:3], 0 offset:24
	buffer_load_dword v66, off, s[0:3], 0 offset:28
	v_add_nc_u32_e32 v61, -1, v0
	s_mov_b32 s4, exec_lo
	s_waitcnt vmcnt(0)
	ds_write_b64 v64, v[65:66]
	s_waitcnt lgkmcnt(0)
	s_barrier
	buffer_gl0_inv
	v_cmpx_gt_u32_e32 3, v0
	s_cbranch_execz .LBB93_27
; %bb.24:
	v_add_nc_u32_e32 v65, -1, v0
	v_add_nc_u32_e32 v66, 0xf0, v63
	v_mov_b32_e32 v67, v63
	v_mov_b32_e32 v62, 0
	;; [unrolled: 1-line block ×3, first 2 shown]
	s_mov_b32 s5, 0
	.p2align	6
.LBB93_25:                              ; =>This Inner Loop Header: Depth=1
	s_clause 0x1
	buffer_load_dword v71, v67, s[0:3], 0 offen offset:4
	buffer_load_dword v72, v67, s[0:3], 0 offen
	ds_read_b64 v[69:70], v66
	v_add_nc_u32_e32 v65, 1, v65
	v_add_nc_u32_e32 v66, 8, v66
	;; [unrolled: 1-line block ×3, first 2 shown]
	v_cmp_lt_u32_e32 vcc_lo, 1, v65
	s_or_b32 s5, vcc_lo, s5
	s_waitcnt vmcnt(1) lgkmcnt(0)
	v_mul_f32_e32 v73, v70, v71
	v_mul_f32_e32 v71, v69, v71
	s_waitcnt vmcnt(0)
	v_fma_f32 v69, v69, v72, -v73
	v_fmac_f32_e32 v71, v70, v72
	v_add_f32_e32 v68, v68, v69
	v_add_f32_e32 v62, v62, v71
	s_andn2_b32 exec_lo, exec_lo, s5
	s_cbranch_execnz .LBB93_25
; %bb.26:
	s_or_b32 exec_lo, exec_lo, s5
	v_mov_b32_e32 v65, 0
	ds_read_b64 v[65:66], v65 offset:24
	s_waitcnt lgkmcnt(0)
	v_mul_f32_e32 v67, v62, v66
	v_mul_f32_e32 v66, v68, v66
	v_fma_f32 v67, v68, v65, -v67
	v_fmac_f32_e32 v66, v62, v65
	buffer_store_dword v67, off, s[0:3], 0 offset:24
	buffer_store_dword v66, off, s[0:3], 0 offset:28
.LBB93_27:
	s_or_b32 exec_lo, exec_lo, s4
	s_waitcnt_vscnt null, 0x0
	s_barrier
	buffer_gl0_inv
	s_clause 0x1
	buffer_load_dword v65, off, s[0:3], 0 offset:32
	buffer_load_dword v66, off, s[0:3], 0 offset:36
	s_mov_b32 s4, exec_lo
	s_waitcnt vmcnt(0)
	ds_write_b64 v64, v[65:66]
	s_waitcnt lgkmcnt(0)
	s_barrier
	buffer_gl0_inv
	v_cmpx_gt_u32_e32 4, v0
	s_cbranch_execz .LBB93_31
; %bb.28:
	v_add_nc_u32_e32 v65, -1, v0
	v_add_nc_u32_e32 v66, 0xf0, v63
	v_mov_b32_e32 v67, v63
	v_mov_b32_e32 v62, 0
	;; [unrolled: 1-line block ×3, first 2 shown]
	s_mov_b32 s5, 0
	.p2align	6
.LBB93_29:                              ; =>This Inner Loop Header: Depth=1
	s_clause 0x1
	buffer_load_dword v71, v67, s[0:3], 0 offen offset:4
	buffer_load_dword v72, v67, s[0:3], 0 offen
	ds_read_b64 v[69:70], v66
	v_add_nc_u32_e32 v65, 1, v65
	v_add_nc_u32_e32 v66, 8, v66
	;; [unrolled: 1-line block ×3, first 2 shown]
	v_cmp_lt_u32_e32 vcc_lo, 2, v65
	s_or_b32 s5, vcc_lo, s5
	s_waitcnt vmcnt(1) lgkmcnt(0)
	v_mul_f32_e32 v73, v70, v71
	v_mul_f32_e32 v71, v69, v71
	s_waitcnt vmcnt(0)
	v_fma_f32 v69, v69, v72, -v73
	v_fmac_f32_e32 v71, v70, v72
	v_add_f32_e32 v68, v68, v69
	v_add_f32_e32 v62, v62, v71
	s_andn2_b32 exec_lo, exec_lo, s5
	s_cbranch_execnz .LBB93_29
; %bb.30:
	s_or_b32 exec_lo, exec_lo, s5
	v_mov_b32_e32 v65, 0
	ds_read_b64 v[65:66], v65 offset:32
	s_waitcnt lgkmcnt(0)
	v_mul_f32_e32 v67, v62, v66
	v_mul_f32_e32 v66, v68, v66
	v_fma_f32 v67, v68, v65, -v67
	v_fmac_f32_e32 v66, v62, v65
	buffer_store_dword v67, off, s[0:3], 0 offset:32
	buffer_store_dword v66, off, s[0:3], 0 offset:36
.LBB93_31:
	s_or_b32 exec_lo, exec_lo, s4
	s_waitcnt_vscnt null, 0x0
	s_barrier
	buffer_gl0_inv
	s_clause 0x1
	buffer_load_dword v65, off, s[0:3], 0 offset:40
	buffer_load_dword v66, off, s[0:3], 0 offset:44
	s_mov_b32 s4, exec_lo
	s_waitcnt vmcnt(0)
	ds_write_b64 v64, v[65:66]
	s_waitcnt lgkmcnt(0)
	s_barrier
	buffer_gl0_inv
	v_cmpx_gt_u32_e32 5, v0
	s_cbranch_execz .LBB93_35
; %bb.32:
	v_add_nc_u32_e32 v65, -1, v0
	v_add_nc_u32_e32 v66, 0xf0, v63
	v_mov_b32_e32 v67, v63
	v_mov_b32_e32 v62, 0
	v_mov_b32_e32 v68, 0
	s_mov_b32 s5, 0
	.p2align	6
.LBB93_33:                              ; =>This Inner Loop Header: Depth=1
	s_clause 0x1
	buffer_load_dword v71, v67, s[0:3], 0 offen offset:4
	buffer_load_dword v72, v67, s[0:3], 0 offen
	ds_read_b64 v[69:70], v66
	v_add_nc_u32_e32 v65, 1, v65
	v_add_nc_u32_e32 v66, 8, v66
	;; [unrolled: 1-line block ×3, first 2 shown]
	v_cmp_lt_u32_e32 vcc_lo, 3, v65
	s_or_b32 s5, vcc_lo, s5
	s_waitcnt vmcnt(1) lgkmcnt(0)
	v_mul_f32_e32 v73, v70, v71
	v_mul_f32_e32 v71, v69, v71
	s_waitcnt vmcnt(0)
	v_fma_f32 v69, v69, v72, -v73
	v_fmac_f32_e32 v71, v70, v72
	v_add_f32_e32 v68, v68, v69
	v_add_f32_e32 v62, v62, v71
	s_andn2_b32 exec_lo, exec_lo, s5
	s_cbranch_execnz .LBB93_33
; %bb.34:
	s_or_b32 exec_lo, exec_lo, s5
	v_mov_b32_e32 v65, 0
	ds_read_b64 v[65:66], v65 offset:40
	s_waitcnt lgkmcnt(0)
	v_mul_f32_e32 v67, v62, v66
	v_mul_f32_e32 v66, v68, v66
	v_fma_f32 v67, v68, v65, -v67
	v_fmac_f32_e32 v66, v62, v65
	buffer_store_dword v67, off, s[0:3], 0 offset:40
	buffer_store_dword v66, off, s[0:3], 0 offset:44
.LBB93_35:
	s_or_b32 exec_lo, exec_lo, s4
	s_waitcnt_vscnt null, 0x0
	s_barrier
	buffer_gl0_inv
	s_clause 0x1
	buffer_load_dword v65, off, s[0:3], 0 offset:48
	buffer_load_dword v66, off, s[0:3], 0 offset:52
	s_mov_b32 s4, exec_lo
	s_waitcnt vmcnt(0)
	ds_write_b64 v64, v[65:66]
	s_waitcnt lgkmcnt(0)
	s_barrier
	buffer_gl0_inv
	v_cmpx_gt_u32_e32 6, v0
	s_cbranch_execz .LBB93_39
; %bb.36:
	v_add_nc_u32_e32 v65, -1, v0
	v_add_nc_u32_e32 v66, 0xf0, v63
	v_mov_b32_e32 v67, v63
	v_mov_b32_e32 v62, 0
	v_mov_b32_e32 v68, 0
	s_mov_b32 s5, 0
	.p2align	6
.LBB93_37:                              ; =>This Inner Loop Header: Depth=1
	s_clause 0x1
	buffer_load_dword v71, v67, s[0:3], 0 offen offset:4
	buffer_load_dword v72, v67, s[0:3], 0 offen
	ds_read_b64 v[69:70], v66
	v_add_nc_u32_e32 v65, 1, v65
	v_add_nc_u32_e32 v66, 8, v66
	;; [unrolled: 1-line block ×3, first 2 shown]
	v_cmp_lt_u32_e32 vcc_lo, 4, v65
	s_or_b32 s5, vcc_lo, s5
	s_waitcnt vmcnt(1) lgkmcnt(0)
	v_mul_f32_e32 v73, v70, v71
	v_mul_f32_e32 v71, v69, v71
	s_waitcnt vmcnt(0)
	v_fma_f32 v69, v69, v72, -v73
	v_fmac_f32_e32 v71, v70, v72
	v_add_f32_e32 v68, v68, v69
	v_add_f32_e32 v62, v62, v71
	s_andn2_b32 exec_lo, exec_lo, s5
	s_cbranch_execnz .LBB93_37
; %bb.38:
	s_or_b32 exec_lo, exec_lo, s5
	v_mov_b32_e32 v65, 0
	ds_read_b64 v[65:66], v65 offset:48
	s_waitcnt lgkmcnt(0)
	v_mul_f32_e32 v67, v62, v66
	v_mul_f32_e32 v66, v68, v66
	v_fma_f32 v67, v68, v65, -v67
	v_fmac_f32_e32 v66, v62, v65
	buffer_store_dword v67, off, s[0:3], 0 offset:48
	buffer_store_dword v66, off, s[0:3], 0 offset:52
.LBB93_39:
	s_or_b32 exec_lo, exec_lo, s4
	s_waitcnt_vscnt null, 0x0
	s_barrier
	buffer_gl0_inv
	s_clause 0x1
	buffer_load_dword v65, off, s[0:3], 0 offset:56
	buffer_load_dword v66, off, s[0:3], 0 offset:60
	s_mov_b32 s4, exec_lo
	s_waitcnt vmcnt(0)
	ds_write_b64 v64, v[65:66]
	s_waitcnt lgkmcnt(0)
	s_barrier
	buffer_gl0_inv
	v_cmpx_gt_u32_e32 7, v0
	s_cbranch_execz .LBB93_43
; %bb.40:
	v_add_nc_u32_e32 v65, -1, v0
	v_add_nc_u32_e32 v66, 0xf0, v63
	v_mov_b32_e32 v67, v63
	v_mov_b32_e32 v62, 0
	;; [unrolled: 1-line block ×3, first 2 shown]
	s_mov_b32 s5, 0
	.p2align	6
.LBB93_41:                              ; =>This Inner Loop Header: Depth=1
	s_clause 0x1
	buffer_load_dword v71, v67, s[0:3], 0 offen offset:4
	buffer_load_dword v72, v67, s[0:3], 0 offen
	ds_read_b64 v[69:70], v66
	v_add_nc_u32_e32 v65, 1, v65
	v_add_nc_u32_e32 v66, 8, v66
	;; [unrolled: 1-line block ×3, first 2 shown]
	v_cmp_lt_u32_e32 vcc_lo, 5, v65
	s_or_b32 s5, vcc_lo, s5
	s_waitcnt vmcnt(1) lgkmcnt(0)
	v_mul_f32_e32 v73, v70, v71
	v_mul_f32_e32 v71, v69, v71
	s_waitcnt vmcnt(0)
	v_fma_f32 v69, v69, v72, -v73
	v_fmac_f32_e32 v71, v70, v72
	v_add_f32_e32 v68, v68, v69
	v_add_f32_e32 v62, v62, v71
	s_andn2_b32 exec_lo, exec_lo, s5
	s_cbranch_execnz .LBB93_41
; %bb.42:
	s_or_b32 exec_lo, exec_lo, s5
	v_mov_b32_e32 v65, 0
	ds_read_b64 v[65:66], v65 offset:56
	s_waitcnt lgkmcnt(0)
	v_mul_f32_e32 v67, v62, v66
	v_mul_f32_e32 v66, v68, v66
	v_fma_f32 v67, v68, v65, -v67
	v_fmac_f32_e32 v66, v62, v65
	buffer_store_dword v67, off, s[0:3], 0 offset:56
	buffer_store_dword v66, off, s[0:3], 0 offset:60
.LBB93_43:
	s_or_b32 exec_lo, exec_lo, s4
	s_waitcnt_vscnt null, 0x0
	s_barrier
	buffer_gl0_inv
	s_clause 0x1
	buffer_load_dword v65, off, s[0:3], 0 offset:64
	buffer_load_dword v66, off, s[0:3], 0 offset:68
	s_mov_b32 s4, exec_lo
	s_waitcnt vmcnt(0)
	ds_write_b64 v64, v[65:66]
	s_waitcnt lgkmcnt(0)
	s_barrier
	buffer_gl0_inv
	v_cmpx_gt_u32_e32 8, v0
	s_cbranch_execz .LBB93_47
; %bb.44:
	v_add_nc_u32_e32 v65, -1, v0
	v_add_nc_u32_e32 v66, 0xf0, v63
	v_mov_b32_e32 v67, v63
	v_mov_b32_e32 v62, 0
	;; [unrolled: 1-line block ×3, first 2 shown]
	s_mov_b32 s5, 0
	.p2align	6
.LBB93_45:                              ; =>This Inner Loop Header: Depth=1
	s_clause 0x1
	buffer_load_dword v71, v67, s[0:3], 0 offen offset:4
	buffer_load_dword v72, v67, s[0:3], 0 offen
	ds_read_b64 v[69:70], v66
	v_add_nc_u32_e32 v65, 1, v65
	v_add_nc_u32_e32 v66, 8, v66
	v_add_nc_u32_e32 v67, 8, v67
	v_cmp_lt_u32_e32 vcc_lo, 6, v65
	s_or_b32 s5, vcc_lo, s5
	s_waitcnt vmcnt(1) lgkmcnt(0)
	v_mul_f32_e32 v73, v70, v71
	v_mul_f32_e32 v71, v69, v71
	s_waitcnt vmcnt(0)
	v_fma_f32 v69, v69, v72, -v73
	v_fmac_f32_e32 v71, v70, v72
	v_add_f32_e32 v68, v68, v69
	v_add_f32_e32 v62, v62, v71
	s_andn2_b32 exec_lo, exec_lo, s5
	s_cbranch_execnz .LBB93_45
; %bb.46:
	s_or_b32 exec_lo, exec_lo, s5
	v_mov_b32_e32 v65, 0
	ds_read_b64 v[65:66], v65 offset:64
	s_waitcnt lgkmcnt(0)
	v_mul_f32_e32 v67, v62, v66
	v_mul_f32_e32 v66, v68, v66
	v_fma_f32 v67, v68, v65, -v67
	v_fmac_f32_e32 v66, v62, v65
	buffer_store_dword v67, off, s[0:3], 0 offset:64
	buffer_store_dword v66, off, s[0:3], 0 offset:68
.LBB93_47:
	s_or_b32 exec_lo, exec_lo, s4
	s_waitcnt_vscnt null, 0x0
	s_barrier
	buffer_gl0_inv
	s_clause 0x1
	buffer_load_dword v65, off, s[0:3], 0 offset:72
	buffer_load_dword v66, off, s[0:3], 0 offset:76
	s_mov_b32 s4, exec_lo
	s_waitcnt vmcnt(0)
	ds_write_b64 v64, v[65:66]
	s_waitcnt lgkmcnt(0)
	s_barrier
	buffer_gl0_inv
	v_cmpx_gt_u32_e32 9, v0
	s_cbranch_execz .LBB93_51
; %bb.48:
	v_add_nc_u32_e32 v65, -1, v0
	v_add_nc_u32_e32 v66, 0xf0, v63
	v_mov_b32_e32 v67, v63
	v_mov_b32_e32 v62, 0
	;; [unrolled: 1-line block ×3, first 2 shown]
	s_mov_b32 s5, 0
	.p2align	6
.LBB93_49:                              ; =>This Inner Loop Header: Depth=1
	s_clause 0x1
	buffer_load_dword v71, v67, s[0:3], 0 offen offset:4
	buffer_load_dword v72, v67, s[0:3], 0 offen
	ds_read_b64 v[69:70], v66
	v_add_nc_u32_e32 v65, 1, v65
	v_add_nc_u32_e32 v66, 8, v66
	;; [unrolled: 1-line block ×3, first 2 shown]
	v_cmp_lt_u32_e32 vcc_lo, 7, v65
	s_or_b32 s5, vcc_lo, s5
	s_waitcnt vmcnt(1) lgkmcnt(0)
	v_mul_f32_e32 v73, v70, v71
	v_mul_f32_e32 v71, v69, v71
	s_waitcnt vmcnt(0)
	v_fma_f32 v69, v69, v72, -v73
	v_fmac_f32_e32 v71, v70, v72
	v_add_f32_e32 v68, v68, v69
	v_add_f32_e32 v62, v62, v71
	s_andn2_b32 exec_lo, exec_lo, s5
	s_cbranch_execnz .LBB93_49
; %bb.50:
	s_or_b32 exec_lo, exec_lo, s5
	v_mov_b32_e32 v65, 0
	ds_read_b64 v[65:66], v65 offset:72
	s_waitcnt lgkmcnt(0)
	v_mul_f32_e32 v67, v62, v66
	v_mul_f32_e32 v66, v68, v66
	v_fma_f32 v67, v68, v65, -v67
	v_fmac_f32_e32 v66, v62, v65
	buffer_store_dword v67, off, s[0:3], 0 offset:72
	buffer_store_dword v66, off, s[0:3], 0 offset:76
.LBB93_51:
	s_or_b32 exec_lo, exec_lo, s4
	s_waitcnt_vscnt null, 0x0
	s_barrier
	buffer_gl0_inv
	s_clause 0x1
	buffer_load_dword v65, off, s[0:3], 0 offset:80
	buffer_load_dword v66, off, s[0:3], 0 offset:84
	s_mov_b32 s4, exec_lo
	s_waitcnt vmcnt(0)
	ds_write_b64 v64, v[65:66]
	s_waitcnt lgkmcnt(0)
	s_barrier
	buffer_gl0_inv
	v_cmpx_gt_u32_e32 10, v0
	s_cbranch_execz .LBB93_55
; %bb.52:
	v_add_nc_u32_e32 v65, -1, v0
	v_add_nc_u32_e32 v66, 0xf0, v63
	v_mov_b32_e32 v67, v63
	v_mov_b32_e32 v62, 0
	;; [unrolled: 1-line block ×3, first 2 shown]
	s_mov_b32 s5, 0
	.p2align	6
.LBB93_53:                              ; =>This Inner Loop Header: Depth=1
	s_clause 0x1
	buffer_load_dword v71, v67, s[0:3], 0 offen offset:4
	buffer_load_dword v72, v67, s[0:3], 0 offen
	ds_read_b64 v[69:70], v66
	v_add_nc_u32_e32 v65, 1, v65
	v_add_nc_u32_e32 v66, 8, v66
	;; [unrolled: 1-line block ×3, first 2 shown]
	v_cmp_lt_u32_e32 vcc_lo, 8, v65
	s_or_b32 s5, vcc_lo, s5
	s_waitcnt vmcnt(1) lgkmcnt(0)
	v_mul_f32_e32 v73, v70, v71
	v_mul_f32_e32 v71, v69, v71
	s_waitcnt vmcnt(0)
	v_fma_f32 v69, v69, v72, -v73
	v_fmac_f32_e32 v71, v70, v72
	v_add_f32_e32 v68, v68, v69
	v_add_f32_e32 v62, v62, v71
	s_andn2_b32 exec_lo, exec_lo, s5
	s_cbranch_execnz .LBB93_53
; %bb.54:
	s_or_b32 exec_lo, exec_lo, s5
	v_mov_b32_e32 v65, 0
	ds_read_b64 v[65:66], v65 offset:80
	s_waitcnt lgkmcnt(0)
	v_mul_f32_e32 v67, v62, v66
	v_mul_f32_e32 v66, v68, v66
	v_fma_f32 v67, v68, v65, -v67
	v_fmac_f32_e32 v66, v62, v65
	buffer_store_dword v67, off, s[0:3], 0 offset:80
	buffer_store_dword v66, off, s[0:3], 0 offset:84
.LBB93_55:
	s_or_b32 exec_lo, exec_lo, s4
	s_waitcnt_vscnt null, 0x0
	s_barrier
	buffer_gl0_inv
	s_clause 0x1
	buffer_load_dword v65, off, s[0:3], 0 offset:88
	buffer_load_dword v66, off, s[0:3], 0 offset:92
	s_mov_b32 s4, exec_lo
	s_waitcnt vmcnt(0)
	ds_write_b64 v64, v[65:66]
	s_waitcnt lgkmcnt(0)
	s_barrier
	buffer_gl0_inv
	v_cmpx_gt_u32_e32 11, v0
	s_cbranch_execz .LBB93_59
; %bb.56:
	v_add_nc_u32_e32 v65, -1, v0
	v_add_nc_u32_e32 v66, 0xf0, v63
	v_mov_b32_e32 v67, v63
	v_mov_b32_e32 v62, 0
	;; [unrolled: 1-line block ×3, first 2 shown]
	s_mov_b32 s5, 0
	.p2align	6
.LBB93_57:                              ; =>This Inner Loop Header: Depth=1
	s_clause 0x1
	buffer_load_dword v71, v67, s[0:3], 0 offen offset:4
	buffer_load_dword v72, v67, s[0:3], 0 offen
	ds_read_b64 v[69:70], v66
	v_add_nc_u32_e32 v65, 1, v65
	v_add_nc_u32_e32 v66, 8, v66
	;; [unrolled: 1-line block ×3, first 2 shown]
	v_cmp_lt_u32_e32 vcc_lo, 9, v65
	s_or_b32 s5, vcc_lo, s5
	s_waitcnt vmcnt(1) lgkmcnt(0)
	v_mul_f32_e32 v73, v70, v71
	v_mul_f32_e32 v71, v69, v71
	s_waitcnt vmcnt(0)
	v_fma_f32 v69, v69, v72, -v73
	v_fmac_f32_e32 v71, v70, v72
	v_add_f32_e32 v68, v68, v69
	v_add_f32_e32 v62, v62, v71
	s_andn2_b32 exec_lo, exec_lo, s5
	s_cbranch_execnz .LBB93_57
; %bb.58:
	s_or_b32 exec_lo, exec_lo, s5
	v_mov_b32_e32 v65, 0
	ds_read_b64 v[65:66], v65 offset:88
	s_waitcnt lgkmcnt(0)
	v_mul_f32_e32 v67, v62, v66
	v_mul_f32_e32 v66, v68, v66
	v_fma_f32 v67, v68, v65, -v67
	v_fmac_f32_e32 v66, v62, v65
	buffer_store_dword v67, off, s[0:3], 0 offset:88
	buffer_store_dword v66, off, s[0:3], 0 offset:92
.LBB93_59:
	s_or_b32 exec_lo, exec_lo, s4
	s_waitcnt_vscnt null, 0x0
	s_barrier
	buffer_gl0_inv
	s_clause 0x1
	buffer_load_dword v65, off, s[0:3], 0 offset:96
	buffer_load_dword v66, off, s[0:3], 0 offset:100
	s_mov_b32 s4, exec_lo
	s_waitcnt vmcnt(0)
	ds_write_b64 v64, v[65:66]
	s_waitcnt lgkmcnt(0)
	s_barrier
	buffer_gl0_inv
	v_cmpx_gt_u32_e32 12, v0
	s_cbranch_execz .LBB93_63
; %bb.60:
	v_add_nc_u32_e32 v65, -1, v0
	v_add_nc_u32_e32 v66, 0xf0, v63
	v_mov_b32_e32 v67, v63
	v_mov_b32_e32 v62, 0
	v_mov_b32_e32 v68, 0
	s_mov_b32 s5, 0
	.p2align	6
.LBB93_61:                              ; =>This Inner Loop Header: Depth=1
	s_clause 0x1
	buffer_load_dword v71, v67, s[0:3], 0 offen offset:4
	buffer_load_dword v72, v67, s[0:3], 0 offen
	ds_read_b64 v[69:70], v66
	v_add_nc_u32_e32 v65, 1, v65
	v_add_nc_u32_e32 v66, 8, v66
	;; [unrolled: 1-line block ×3, first 2 shown]
	v_cmp_lt_u32_e32 vcc_lo, 10, v65
	s_or_b32 s5, vcc_lo, s5
	s_waitcnt vmcnt(1) lgkmcnt(0)
	v_mul_f32_e32 v73, v70, v71
	v_mul_f32_e32 v71, v69, v71
	s_waitcnt vmcnt(0)
	v_fma_f32 v69, v69, v72, -v73
	v_fmac_f32_e32 v71, v70, v72
	v_add_f32_e32 v68, v68, v69
	v_add_f32_e32 v62, v62, v71
	s_andn2_b32 exec_lo, exec_lo, s5
	s_cbranch_execnz .LBB93_61
; %bb.62:
	s_or_b32 exec_lo, exec_lo, s5
	v_mov_b32_e32 v65, 0
	ds_read_b64 v[65:66], v65 offset:96
	s_waitcnt lgkmcnt(0)
	v_mul_f32_e32 v67, v62, v66
	v_mul_f32_e32 v66, v68, v66
	v_fma_f32 v67, v68, v65, -v67
	v_fmac_f32_e32 v66, v62, v65
	buffer_store_dword v67, off, s[0:3], 0 offset:96
	buffer_store_dword v66, off, s[0:3], 0 offset:100
.LBB93_63:
	s_or_b32 exec_lo, exec_lo, s4
	s_waitcnt_vscnt null, 0x0
	s_barrier
	buffer_gl0_inv
	s_clause 0x1
	buffer_load_dword v65, off, s[0:3], 0 offset:104
	buffer_load_dword v66, off, s[0:3], 0 offset:108
	s_mov_b32 s4, exec_lo
	s_waitcnt vmcnt(0)
	ds_write_b64 v64, v[65:66]
	s_waitcnt lgkmcnt(0)
	s_barrier
	buffer_gl0_inv
	v_cmpx_gt_u32_e32 13, v0
	s_cbranch_execz .LBB93_67
; %bb.64:
	v_add_nc_u32_e32 v65, -1, v0
	v_add_nc_u32_e32 v66, 0xf0, v63
	v_mov_b32_e32 v67, v63
	v_mov_b32_e32 v62, 0
	;; [unrolled: 1-line block ×3, first 2 shown]
	s_mov_b32 s5, 0
	.p2align	6
.LBB93_65:                              ; =>This Inner Loop Header: Depth=1
	s_clause 0x1
	buffer_load_dword v71, v67, s[0:3], 0 offen offset:4
	buffer_load_dword v72, v67, s[0:3], 0 offen
	ds_read_b64 v[69:70], v66
	v_add_nc_u32_e32 v65, 1, v65
	v_add_nc_u32_e32 v66, 8, v66
	;; [unrolled: 1-line block ×3, first 2 shown]
	v_cmp_lt_u32_e32 vcc_lo, 11, v65
	s_or_b32 s5, vcc_lo, s5
	s_waitcnt vmcnt(1) lgkmcnt(0)
	v_mul_f32_e32 v73, v70, v71
	v_mul_f32_e32 v71, v69, v71
	s_waitcnt vmcnt(0)
	v_fma_f32 v69, v69, v72, -v73
	v_fmac_f32_e32 v71, v70, v72
	v_add_f32_e32 v68, v68, v69
	v_add_f32_e32 v62, v62, v71
	s_andn2_b32 exec_lo, exec_lo, s5
	s_cbranch_execnz .LBB93_65
; %bb.66:
	s_or_b32 exec_lo, exec_lo, s5
	v_mov_b32_e32 v65, 0
	ds_read_b64 v[65:66], v65 offset:104
	s_waitcnt lgkmcnt(0)
	v_mul_f32_e32 v67, v62, v66
	v_mul_f32_e32 v66, v68, v66
	v_fma_f32 v67, v68, v65, -v67
	v_fmac_f32_e32 v66, v62, v65
	buffer_store_dword v67, off, s[0:3], 0 offset:104
	buffer_store_dword v66, off, s[0:3], 0 offset:108
.LBB93_67:
	s_or_b32 exec_lo, exec_lo, s4
	s_waitcnt_vscnt null, 0x0
	s_barrier
	buffer_gl0_inv
	s_clause 0x1
	buffer_load_dword v65, off, s[0:3], 0 offset:112
	buffer_load_dword v66, off, s[0:3], 0 offset:116
	s_mov_b32 s4, exec_lo
	s_waitcnt vmcnt(0)
	ds_write_b64 v64, v[65:66]
	s_waitcnt lgkmcnt(0)
	s_barrier
	buffer_gl0_inv
	v_cmpx_gt_u32_e32 14, v0
	s_cbranch_execz .LBB93_71
; %bb.68:
	v_add_nc_u32_e32 v65, -1, v0
	v_add_nc_u32_e32 v66, 0xf0, v63
	v_mov_b32_e32 v67, v63
	v_mov_b32_e32 v62, 0
	v_mov_b32_e32 v68, 0
	s_mov_b32 s5, 0
	.p2align	6
.LBB93_69:                              ; =>This Inner Loop Header: Depth=1
	s_clause 0x1
	buffer_load_dword v71, v67, s[0:3], 0 offen offset:4
	buffer_load_dword v72, v67, s[0:3], 0 offen
	ds_read_b64 v[69:70], v66
	v_add_nc_u32_e32 v65, 1, v65
	v_add_nc_u32_e32 v66, 8, v66
	v_add_nc_u32_e32 v67, 8, v67
	v_cmp_lt_u32_e32 vcc_lo, 12, v65
	s_or_b32 s5, vcc_lo, s5
	s_waitcnt vmcnt(1) lgkmcnt(0)
	v_mul_f32_e32 v73, v70, v71
	v_mul_f32_e32 v71, v69, v71
	s_waitcnt vmcnt(0)
	v_fma_f32 v69, v69, v72, -v73
	v_fmac_f32_e32 v71, v70, v72
	v_add_f32_e32 v68, v68, v69
	v_add_f32_e32 v62, v62, v71
	s_andn2_b32 exec_lo, exec_lo, s5
	s_cbranch_execnz .LBB93_69
; %bb.70:
	s_or_b32 exec_lo, exec_lo, s5
	v_mov_b32_e32 v65, 0
	ds_read_b64 v[65:66], v65 offset:112
	s_waitcnt lgkmcnt(0)
	v_mul_f32_e32 v67, v62, v66
	v_mul_f32_e32 v66, v68, v66
	v_fma_f32 v67, v68, v65, -v67
	v_fmac_f32_e32 v66, v62, v65
	buffer_store_dword v67, off, s[0:3], 0 offset:112
	buffer_store_dword v66, off, s[0:3], 0 offset:116
.LBB93_71:
	s_or_b32 exec_lo, exec_lo, s4
	s_waitcnt_vscnt null, 0x0
	s_barrier
	buffer_gl0_inv
	s_clause 0x1
	buffer_load_dword v65, off, s[0:3], 0 offset:120
	buffer_load_dword v66, off, s[0:3], 0 offset:124
	s_mov_b32 s4, exec_lo
	s_waitcnt vmcnt(0)
	ds_write_b64 v64, v[65:66]
	s_waitcnt lgkmcnt(0)
	s_barrier
	buffer_gl0_inv
	v_cmpx_gt_u32_e32 15, v0
	s_cbranch_execz .LBB93_75
; %bb.72:
	v_add_nc_u32_e32 v65, -1, v0
	v_add_nc_u32_e32 v66, 0xf0, v63
	v_mov_b32_e32 v67, v63
	v_mov_b32_e32 v62, 0
	;; [unrolled: 1-line block ×3, first 2 shown]
	s_mov_b32 s5, 0
	.p2align	6
.LBB93_73:                              ; =>This Inner Loop Header: Depth=1
	s_clause 0x1
	buffer_load_dword v71, v67, s[0:3], 0 offen offset:4
	buffer_load_dword v72, v67, s[0:3], 0 offen
	ds_read_b64 v[69:70], v66
	v_add_nc_u32_e32 v65, 1, v65
	v_add_nc_u32_e32 v66, 8, v66
	;; [unrolled: 1-line block ×3, first 2 shown]
	v_cmp_lt_u32_e32 vcc_lo, 13, v65
	s_or_b32 s5, vcc_lo, s5
	s_waitcnt vmcnt(1) lgkmcnt(0)
	v_mul_f32_e32 v73, v70, v71
	v_mul_f32_e32 v71, v69, v71
	s_waitcnt vmcnt(0)
	v_fma_f32 v69, v69, v72, -v73
	v_fmac_f32_e32 v71, v70, v72
	v_add_f32_e32 v68, v68, v69
	v_add_f32_e32 v62, v62, v71
	s_andn2_b32 exec_lo, exec_lo, s5
	s_cbranch_execnz .LBB93_73
; %bb.74:
	s_or_b32 exec_lo, exec_lo, s5
	v_mov_b32_e32 v65, 0
	ds_read_b64 v[65:66], v65 offset:120
	s_waitcnt lgkmcnt(0)
	v_mul_f32_e32 v67, v62, v66
	v_mul_f32_e32 v66, v68, v66
	v_fma_f32 v67, v68, v65, -v67
	v_fmac_f32_e32 v66, v62, v65
	buffer_store_dword v67, off, s[0:3], 0 offset:120
	buffer_store_dword v66, off, s[0:3], 0 offset:124
.LBB93_75:
	s_or_b32 exec_lo, exec_lo, s4
	s_waitcnt_vscnt null, 0x0
	s_barrier
	buffer_gl0_inv
	s_clause 0x1
	buffer_load_dword v65, off, s[0:3], 0 offset:128
	buffer_load_dword v66, off, s[0:3], 0 offset:132
	s_mov_b32 s4, exec_lo
	s_waitcnt vmcnt(0)
	ds_write_b64 v64, v[65:66]
	s_waitcnt lgkmcnt(0)
	s_barrier
	buffer_gl0_inv
	v_cmpx_gt_u32_e32 16, v0
	s_cbranch_execz .LBB93_79
; %bb.76:
	v_add_nc_u32_e32 v65, -1, v0
	v_add_nc_u32_e32 v66, 0xf0, v63
	v_mov_b32_e32 v67, v63
	v_mov_b32_e32 v62, 0
	;; [unrolled: 1-line block ×3, first 2 shown]
	s_mov_b32 s5, 0
	.p2align	6
.LBB93_77:                              ; =>This Inner Loop Header: Depth=1
	s_clause 0x1
	buffer_load_dword v71, v67, s[0:3], 0 offen offset:4
	buffer_load_dword v72, v67, s[0:3], 0 offen
	ds_read_b64 v[69:70], v66
	v_add_nc_u32_e32 v65, 1, v65
	v_add_nc_u32_e32 v66, 8, v66
	v_add_nc_u32_e32 v67, 8, v67
	v_cmp_lt_u32_e32 vcc_lo, 14, v65
	s_or_b32 s5, vcc_lo, s5
	s_waitcnt vmcnt(1) lgkmcnt(0)
	v_mul_f32_e32 v73, v70, v71
	v_mul_f32_e32 v71, v69, v71
	s_waitcnt vmcnt(0)
	v_fma_f32 v69, v69, v72, -v73
	v_fmac_f32_e32 v71, v70, v72
	v_add_f32_e32 v68, v68, v69
	v_add_f32_e32 v62, v62, v71
	s_andn2_b32 exec_lo, exec_lo, s5
	s_cbranch_execnz .LBB93_77
; %bb.78:
	s_or_b32 exec_lo, exec_lo, s5
	v_mov_b32_e32 v65, 0
	ds_read_b64 v[65:66], v65 offset:128
	s_waitcnt lgkmcnt(0)
	v_mul_f32_e32 v67, v62, v66
	v_mul_f32_e32 v66, v68, v66
	v_fma_f32 v67, v68, v65, -v67
	v_fmac_f32_e32 v66, v62, v65
	buffer_store_dword v67, off, s[0:3], 0 offset:128
	buffer_store_dword v66, off, s[0:3], 0 offset:132
.LBB93_79:
	s_or_b32 exec_lo, exec_lo, s4
	s_waitcnt_vscnt null, 0x0
	s_barrier
	buffer_gl0_inv
	s_clause 0x1
	buffer_load_dword v65, off, s[0:3], 0 offset:136
	buffer_load_dword v66, off, s[0:3], 0 offset:140
	s_mov_b32 s4, exec_lo
	s_waitcnt vmcnt(0)
	ds_write_b64 v64, v[65:66]
	s_waitcnt lgkmcnt(0)
	s_barrier
	buffer_gl0_inv
	v_cmpx_gt_u32_e32 17, v0
	s_cbranch_execz .LBB93_83
; %bb.80:
	v_add_nc_u32_e32 v65, -1, v0
	v_add_nc_u32_e32 v66, 0xf0, v63
	v_mov_b32_e32 v67, v63
	v_mov_b32_e32 v62, 0
	;; [unrolled: 1-line block ×3, first 2 shown]
	s_mov_b32 s5, 0
	.p2align	6
.LBB93_81:                              ; =>This Inner Loop Header: Depth=1
	s_clause 0x1
	buffer_load_dword v71, v67, s[0:3], 0 offen offset:4
	buffer_load_dword v72, v67, s[0:3], 0 offen
	ds_read_b64 v[69:70], v66
	v_add_nc_u32_e32 v65, 1, v65
	v_add_nc_u32_e32 v66, 8, v66
	v_add_nc_u32_e32 v67, 8, v67
	v_cmp_lt_u32_e32 vcc_lo, 15, v65
	s_or_b32 s5, vcc_lo, s5
	s_waitcnt vmcnt(1) lgkmcnt(0)
	v_mul_f32_e32 v73, v70, v71
	v_mul_f32_e32 v71, v69, v71
	s_waitcnt vmcnt(0)
	v_fma_f32 v69, v69, v72, -v73
	v_fmac_f32_e32 v71, v70, v72
	v_add_f32_e32 v68, v68, v69
	v_add_f32_e32 v62, v62, v71
	s_andn2_b32 exec_lo, exec_lo, s5
	s_cbranch_execnz .LBB93_81
; %bb.82:
	s_or_b32 exec_lo, exec_lo, s5
	v_mov_b32_e32 v65, 0
	ds_read_b64 v[65:66], v65 offset:136
	s_waitcnt lgkmcnt(0)
	v_mul_f32_e32 v67, v62, v66
	v_mul_f32_e32 v66, v68, v66
	v_fma_f32 v67, v68, v65, -v67
	v_fmac_f32_e32 v66, v62, v65
	buffer_store_dword v67, off, s[0:3], 0 offset:136
	buffer_store_dword v66, off, s[0:3], 0 offset:140
.LBB93_83:
	s_or_b32 exec_lo, exec_lo, s4
	s_waitcnt_vscnt null, 0x0
	s_barrier
	buffer_gl0_inv
	s_clause 0x1
	buffer_load_dword v65, off, s[0:3], 0 offset:144
	buffer_load_dword v66, off, s[0:3], 0 offset:148
	s_mov_b32 s4, exec_lo
	s_waitcnt vmcnt(0)
	ds_write_b64 v64, v[65:66]
	s_waitcnt lgkmcnt(0)
	s_barrier
	buffer_gl0_inv
	v_cmpx_gt_u32_e32 18, v0
	s_cbranch_execz .LBB93_87
; %bb.84:
	v_add_nc_u32_e32 v65, -1, v0
	v_add_nc_u32_e32 v66, 0xf0, v63
	v_mov_b32_e32 v67, v63
	v_mov_b32_e32 v62, 0
	;; [unrolled: 1-line block ×3, first 2 shown]
	s_mov_b32 s5, 0
	.p2align	6
.LBB93_85:                              ; =>This Inner Loop Header: Depth=1
	s_clause 0x1
	buffer_load_dword v71, v67, s[0:3], 0 offen offset:4
	buffer_load_dword v72, v67, s[0:3], 0 offen
	ds_read_b64 v[69:70], v66
	v_add_nc_u32_e32 v65, 1, v65
	v_add_nc_u32_e32 v66, 8, v66
	;; [unrolled: 1-line block ×3, first 2 shown]
	v_cmp_lt_u32_e32 vcc_lo, 16, v65
	s_or_b32 s5, vcc_lo, s5
	s_waitcnt vmcnt(1) lgkmcnt(0)
	v_mul_f32_e32 v73, v70, v71
	v_mul_f32_e32 v71, v69, v71
	s_waitcnt vmcnt(0)
	v_fma_f32 v69, v69, v72, -v73
	v_fmac_f32_e32 v71, v70, v72
	v_add_f32_e32 v68, v68, v69
	v_add_f32_e32 v62, v62, v71
	s_andn2_b32 exec_lo, exec_lo, s5
	s_cbranch_execnz .LBB93_85
; %bb.86:
	s_or_b32 exec_lo, exec_lo, s5
	v_mov_b32_e32 v65, 0
	ds_read_b64 v[65:66], v65 offset:144
	s_waitcnt lgkmcnt(0)
	v_mul_f32_e32 v67, v62, v66
	v_mul_f32_e32 v66, v68, v66
	v_fma_f32 v67, v68, v65, -v67
	v_fmac_f32_e32 v66, v62, v65
	buffer_store_dword v67, off, s[0:3], 0 offset:144
	buffer_store_dword v66, off, s[0:3], 0 offset:148
.LBB93_87:
	s_or_b32 exec_lo, exec_lo, s4
	s_waitcnt_vscnt null, 0x0
	s_barrier
	buffer_gl0_inv
	s_clause 0x1
	buffer_load_dword v65, off, s[0:3], 0 offset:152
	buffer_load_dword v66, off, s[0:3], 0 offset:156
	s_mov_b32 s4, exec_lo
	s_waitcnt vmcnt(0)
	ds_write_b64 v64, v[65:66]
	s_waitcnt lgkmcnt(0)
	s_barrier
	buffer_gl0_inv
	v_cmpx_gt_u32_e32 19, v0
	s_cbranch_execz .LBB93_91
; %bb.88:
	v_add_nc_u32_e32 v65, -1, v0
	v_add_nc_u32_e32 v66, 0xf0, v63
	v_mov_b32_e32 v67, v63
	v_mov_b32_e32 v62, 0
	;; [unrolled: 1-line block ×3, first 2 shown]
	s_mov_b32 s5, 0
	.p2align	6
.LBB93_89:                              ; =>This Inner Loop Header: Depth=1
	s_clause 0x1
	buffer_load_dword v71, v67, s[0:3], 0 offen offset:4
	buffer_load_dword v72, v67, s[0:3], 0 offen
	ds_read_b64 v[69:70], v66
	v_add_nc_u32_e32 v65, 1, v65
	v_add_nc_u32_e32 v66, 8, v66
	;; [unrolled: 1-line block ×3, first 2 shown]
	v_cmp_lt_u32_e32 vcc_lo, 17, v65
	s_or_b32 s5, vcc_lo, s5
	s_waitcnt vmcnt(1) lgkmcnt(0)
	v_mul_f32_e32 v73, v70, v71
	v_mul_f32_e32 v71, v69, v71
	s_waitcnt vmcnt(0)
	v_fma_f32 v69, v69, v72, -v73
	v_fmac_f32_e32 v71, v70, v72
	v_add_f32_e32 v68, v68, v69
	v_add_f32_e32 v62, v62, v71
	s_andn2_b32 exec_lo, exec_lo, s5
	s_cbranch_execnz .LBB93_89
; %bb.90:
	s_or_b32 exec_lo, exec_lo, s5
	v_mov_b32_e32 v65, 0
	ds_read_b64 v[65:66], v65 offset:152
	s_waitcnt lgkmcnt(0)
	v_mul_f32_e32 v67, v62, v66
	v_mul_f32_e32 v66, v68, v66
	v_fma_f32 v67, v68, v65, -v67
	v_fmac_f32_e32 v66, v62, v65
	buffer_store_dword v67, off, s[0:3], 0 offset:152
	buffer_store_dword v66, off, s[0:3], 0 offset:156
.LBB93_91:
	s_or_b32 exec_lo, exec_lo, s4
	s_waitcnt_vscnt null, 0x0
	s_barrier
	buffer_gl0_inv
	s_clause 0x1
	buffer_load_dword v65, off, s[0:3], 0 offset:160
	buffer_load_dword v66, off, s[0:3], 0 offset:164
	s_mov_b32 s4, exec_lo
	s_waitcnt vmcnt(0)
	ds_write_b64 v64, v[65:66]
	s_waitcnt lgkmcnt(0)
	s_barrier
	buffer_gl0_inv
	v_cmpx_gt_u32_e32 20, v0
	s_cbranch_execz .LBB93_95
; %bb.92:
	v_add_nc_u32_e32 v65, -1, v0
	v_add_nc_u32_e32 v66, 0xf0, v63
	v_mov_b32_e32 v67, v63
	v_mov_b32_e32 v62, 0
	v_mov_b32_e32 v68, 0
	s_mov_b32 s5, 0
	.p2align	6
.LBB93_93:                              ; =>This Inner Loop Header: Depth=1
	s_clause 0x1
	buffer_load_dword v71, v67, s[0:3], 0 offen offset:4
	buffer_load_dword v72, v67, s[0:3], 0 offen
	ds_read_b64 v[69:70], v66
	v_add_nc_u32_e32 v65, 1, v65
	v_add_nc_u32_e32 v66, 8, v66
	;; [unrolled: 1-line block ×3, first 2 shown]
	v_cmp_lt_u32_e32 vcc_lo, 18, v65
	s_or_b32 s5, vcc_lo, s5
	s_waitcnt vmcnt(1) lgkmcnt(0)
	v_mul_f32_e32 v73, v70, v71
	v_mul_f32_e32 v71, v69, v71
	s_waitcnt vmcnt(0)
	v_fma_f32 v69, v69, v72, -v73
	v_fmac_f32_e32 v71, v70, v72
	v_add_f32_e32 v68, v68, v69
	v_add_f32_e32 v62, v62, v71
	s_andn2_b32 exec_lo, exec_lo, s5
	s_cbranch_execnz .LBB93_93
; %bb.94:
	s_or_b32 exec_lo, exec_lo, s5
	v_mov_b32_e32 v65, 0
	ds_read_b64 v[65:66], v65 offset:160
	s_waitcnt lgkmcnt(0)
	v_mul_f32_e32 v67, v62, v66
	v_mul_f32_e32 v66, v68, v66
	v_fma_f32 v67, v68, v65, -v67
	v_fmac_f32_e32 v66, v62, v65
	buffer_store_dword v67, off, s[0:3], 0 offset:160
	buffer_store_dword v66, off, s[0:3], 0 offset:164
.LBB93_95:
	s_or_b32 exec_lo, exec_lo, s4
	s_waitcnt_vscnt null, 0x0
	s_barrier
	buffer_gl0_inv
	s_clause 0x1
	buffer_load_dword v65, off, s[0:3], 0 offset:168
	buffer_load_dword v66, off, s[0:3], 0 offset:172
	s_mov_b32 s4, exec_lo
	s_waitcnt vmcnt(0)
	ds_write_b64 v64, v[65:66]
	s_waitcnt lgkmcnt(0)
	s_barrier
	buffer_gl0_inv
	v_cmpx_gt_u32_e32 21, v0
	s_cbranch_execz .LBB93_99
; %bb.96:
	v_add_nc_u32_e32 v65, -1, v0
	v_add_nc_u32_e32 v66, 0xf0, v63
	v_mov_b32_e32 v67, v63
	v_mov_b32_e32 v62, 0
	;; [unrolled: 1-line block ×3, first 2 shown]
	s_mov_b32 s5, 0
	.p2align	6
.LBB93_97:                              ; =>This Inner Loop Header: Depth=1
	s_clause 0x1
	buffer_load_dword v71, v67, s[0:3], 0 offen offset:4
	buffer_load_dword v72, v67, s[0:3], 0 offen
	ds_read_b64 v[69:70], v66
	v_add_nc_u32_e32 v65, 1, v65
	v_add_nc_u32_e32 v66, 8, v66
	;; [unrolled: 1-line block ×3, first 2 shown]
	v_cmp_lt_u32_e32 vcc_lo, 19, v65
	s_or_b32 s5, vcc_lo, s5
	s_waitcnt vmcnt(1) lgkmcnt(0)
	v_mul_f32_e32 v73, v70, v71
	v_mul_f32_e32 v71, v69, v71
	s_waitcnt vmcnt(0)
	v_fma_f32 v69, v69, v72, -v73
	v_fmac_f32_e32 v71, v70, v72
	v_add_f32_e32 v68, v68, v69
	v_add_f32_e32 v62, v62, v71
	s_andn2_b32 exec_lo, exec_lo, s5
	s_cbranch_execnz .LBB93_97
; %bb.98:
	s_or_b32 exec_lo, exec_lo, s5
	v_mov_b32_e32 v65, 0
	ds_read_b64 v[65:66], v65 offset:168
	s_waitcnt lgkmcnt(0)
	v_mul_f32_e32 v67, v62, v66
	v_mul_f32_e32 v66, v68, v66
	v_fma_f32 v67, v68, v65, -v67
	v_fmac_f32_e32 v66, v62, v65
	buffer_store_dword v67, off, s[0:3], 0 offset:168
	buffer_store_dword v66, off, s[0:3], 0 offset:172
.LBB93_99:
	s_or_b32 exec_lo, exec_lo, s4
	s_waitcnt_vscnt null, 0x0
	s_barrier
	buffer_gl0_inv
	s_clause 0x1
	buffer_load_dword v65, off, s[0:3], 0 offset:176
	buffer_load_dword v66, off, s[0:3], 0 offset:180
	s_mov_b32 s4, exec_lo
	s_waitcnt vmcnt(0)
	ds_write_b64 v64, v[65:66]
	s_waitcnt lgkmcnt(0)
	s_barrier
	buffer_gl0_inv
	v_cmpx_gt_u32_e32 22, v0
	s_cbranch_execz .LBB93_103
; %bb.100:
	v_add_nc_u32_e32 v65, -1, v0
	v_add_nc_u32_e32 v66, 0xf0, v63
	v_mov_b32_e32 v67, v63
	v_mov_b32_e32 v62, 0
	;; [unrolled: 1-line block ×3, first 2 shown]
	s_mov_b32 s5, 0
	.p2align	6
.LBB93_101:                             ; =>This Inner Loop Header: Depth=1
	s_clause 0x1
	buffer_load_dword v71, v67, s[0:3], 0 offen offset:4
	buffer_load_dword v72, v67, s[0:3], 0 offen
	ds_read_b64 v[69:70], v66
	v_add_nc_u32_e32 v65, 1, v65
	v_add_nc_u32_e32 v66, 8, v66
	;; [unrolled: 1-line block ×3, first 2 shown]
	v_cmp_lt_u32_e32 vcc_lo, 20, v65
	s_or_b32 s5, vcc_lo, s5
	s_waitcnt vmcnt(1) lgkmcnt(0)
	v_mul_f32_e32 v73, v70, v71
	v_mul_f32_e32 v71, v69, v71
	s_waitcnt vmcnt(0)
	v_fma_f32 v69, v69, v72, -v73
	v_fmac_f32_e32 v71, v70, v72
	v_add_f32_e32 v68, v68, v69
	v_add_f32_e32 v62, v62, v71
	s_andn2_b32 exec_lo, exec_lo, s5
	s_cbranch_execnz .LBB93_101
; %bb.102:
	s_or_b32 exec_lo, exec_lo, s5
	v_mov_b32_e32 v65, 0
	ds_read_b64 v[65:66], v65 offset:176
	s_waitcnt lgkmcnt(0)
	v_mul_f32_e32 v67, v62, v66
	v_mul_f32_e32 v66, v68, v66
	v_fma_f32 v67, v68, v65, -v67
	v_fmac_f32_e32 v66, v62, v65
	buffer_store_dword v67, off, s[0:3], 0 offset:176
	buffer_store_dword v66, off, s[0:3], 0 offset:180
.LBB93_103:
	s_or_b32 exec_lo, exec_lo, s4
	s_waitcnt_vscnt null, 0x0
	s_barrier
	buffer_gl0_inv
	s_clause 0x1
	buffer_load_dword v65, off, s[0:3], 0 offset:184
	buffer_load_dword v66, off, s[0:3], 0 offset:188
	s_mov_b32 s4, exec_lo
	s_waitcnt vmcnt(0)
	ds_write_b64 v64, v[65:66]
	s_waitcnt lgkmcnt(0)
	s_barrier
	buffer_gl0_inv
	v_cmpx_gt_u32_e32 23, v0
	s_cbranch_execz .LBB93_107
; %bb.104:
	v_add_nc_u32_e32 v65, -1, v0
	v_add_nc_u32_e32 v66, 0xf0, v63
	v_mov_b32_e32 v67, v63
	v_mov_b32_e32 v62, 0
	;; [unrolled: 1-line block ×3, first 2 shown]
	s_mov_b32 s5, 0
	.p2align	6
.LBB93_105:                             ; =>This Inner Loop Header: Depth=1
	s_clause 0x1
	buffer_load_dword v71, v67, s[0:3], 0 offen offset:4
	buffer_load_dword v72, v67, s[0:3], 0 offen
	ds_read_b64 v[69:70], v66
	v_add_nc_u32_e32 v65, 1, v65
	v_add_nc_u32_e32 v66, 8, v66
	v_add_nc_u32_e32 v67, 8, v67
	v_cmp_lt_u32_e32 vcc_lo, 21, v65
	s_or_b32 s5, vcc_lo, s5
	s_waitcnt vmcnt(1) lgkmcnt(0)
	v_mul_f32_e32 v73, v70, v71
	v_mul_f32_e32 v71, v69, v71
	s_waitcnt vmcnt(0)
	v_fma_f32 v69, v69, v72, -v73
	v_fmac_f32_e32 v71, v70, v72
	v_add_f32_e32 v68, v68, v69
	v_add_f32_e32 v62, v62, v71
	s_andn2_b32 exec_lo, exec_lo, s5
	s_cbranch_execnz .LBB93_105
; %bb.106:
	s_or_b32 exec_lo, exec_lo, s5
	v_mov_b32_e32 v65, 0
	ds_read_b64 v[65:66], v65 offset:184
	s_waitcnt lgkmcnt(0)
	v_mul_f32_e32 v67, v62, v66
	v_mul_f32_e32 v66, v68, v66
	v_fma_f32 v67, v68, v65, -v67
	v_fmac_f32_e32 v66, v62, v65
	buffer_store_dword v67, off, s[0:3], 0 offset:184
	buffer_store_dword v66, off, s[0:3], 0 offset:188
.LBB93_107:
	s_or_b32 exec_lo, exec_lo, s4
	s_waitcnt_vscnt null, 0x0
	s_barrier
	buffer_gl0_inv
	s_clause 0x1
	buffer_load_dword v65, off, s[0:3], 0 offset:192
	buffer_load_dword v66, off, s[0:3], 0 offset:196
	s_mov_b32 s4, exec_lo
	s_waitcnt vmcnt(0)
	ds_write_b64 v64, v[65:66]
	s_waitcnt lgkmcnt(0)
	s_barrier
	buffer_gl0_inv
	v_cmpx_gt_u32_e32 24, v0
	s_cbranch_execz .LBB93_111
; %bb.108:
	v_add_nc_u32_e32 v65, -1, v0
	v_add_nc_u32_e32 v66, 0xf0, v63
	v_mov_b32_e32 v67, v63
	v_mov_b32_e32 v62, 0
	;; [unrolled: 1-line block ×3, first 2 shown]
	s_mov_b32 s5, 0
	.p2align	6
.LBB93_109:                             ; =>This Inner Loop Header: Depth=1
	s_clause 0x1
	buffer_load_dword v71, v67, s[0:3], 0 offen offset:4
	buffer_load_dword v72, v67, s[0:3], 0 offen
	ds_read_b64 v[69:70], v66
	v_add_nc_u32_e32 v65, 1, v65
	v_add_nc_u32_e32 v66, 8, v66
	;; [unrolled: 1-line block ×3, first 2 shown]
	v_cmp_lt_u32_e32 vcc_lo, 22, v65
	s_or_b32 s5, vcc_lo, s5
	s_waitcnt vmcnt(1) lgkmcnt(0)
	v_mul_f32_e32 v73, v70, v71
	v_mul_f32_e32 v71, v69, v71
	s_waitcnt vmcnt(0)
	v_fma_f32 v69, v69, v72, -v73
	v_fmac_f32_e32 v71, v70, v72
	v_add_f32_e32 v68, v68, v69
	v_add_f32_e32 v62, v62, v71
	s_andn2_b32 exec_lo, exec_lo, s5
	s_cbranch_execnz .LBB93_109
; %bb.110:
	s_or_b32 exec_lo, exec_lo, s5
	v_mov_b32_e32 v65, 0
	ds_read_b64 v[65:66], v65 offset:192
	s_waitcnt lgkmcnt(0)
	v_mul_f32_e32 v67, v62, v66
	v_mul_f32_e32 v66, v68, v66
	v_fma_f32 v67, v68, v65, -v67
	v_fmac_f32_e32 v66, v62, v65
	buffer_store_dword v67, off, s[0:3], 0 offset:192
	buffer_store_dword v66, off, s[0:3], 0 offset:196
.LBB93_111:
	s_or_b32 exec_lo, exec_lo, s4
	s_waitcnt_vscnt null, 0x0
	s_barrier
	buffer_gl0_inv
	s_clause 0x1
	buffer_load_dword v65, off, s[0:3], 0 offset:200
	buffer_load_dword v66, off, s[0:3], 0 offset:204
	s_mov_b32 s4, exec_lo
	s_waitcnt vmcnt(0)
	ds_write_b64 v64, v[65:66]
	s_waitcnt lgkmcnt(0)
	s_barrier
	buffer_gl0_inv
	v_cmpx_gt_u32_e32 25, v0
	s_cbranch_execz .LBB93_115
; %bb.112:
	v_add_nc_u32_e32 v65, -1, v0
	v_add_nc_u32_e32 v66, 0xf0, v63
	v_mov_b32_e32 v67, v63
	v_mov_b32_e32 v62, 0
	;; [unrolled: 1-line block ×3, first 2 shown]
	s_mov_b32 s5, 0
	.p2align	6
.LBB93_113:                             ; =>This Inner Loop Header: Depth=1
	s_clause 0x1
	buffer_load_dword v71, v67, s[0:3], 0 offen offset:4
	buffer_load_dword v72, v67, s[0:3], 0 offen
	ds_read_b64 v[69:70], v66
	v_add_nc_u32_e32 v65, 1, v65
	v_add_nc_u32_e32 v66, 8, v66
	;; [unrolled: 1-line block ×3, first 2 shown]
	v_cmp_lt_u32_e32 vcc_lo, 23, v65
	s_or_b32 s5, vcc_lo, s5
	s_waitcnt vmcnt(1) lgkmcnt(0)
	v_mul_f32_e32 v73, v70, v71
	v_mul_f32_e32 v71, v69, v71
	s_waitcnt vmcnt(0)
	v_fma_f32 v69, v69, v72, -v73
	v_fmac_f32_e32 v71, v70, v72
	v_add_f32_e32 v68, v68, v69
	v_add_f32_e32 v62, v62, v71
	s_andn2_b32 exec_lo, exec_lo, s5
	s_cbranch_execnz .LBB93_113
; %bb.114:
	s_or_b32 exec_lo, exec_lo, s5
	v_mov_b32_e32 v65, 0
	ds_read_b64 v[65:66], v65 offset:200
	s_waitcnt lgkmcnt(0)
	v_mul_f32_e32 v67, v62, v66
	v_mul_f32_e32 v66, v68, v66
	v_fma_f32 v67, v68, v65, -v67
	v_fmac_f32_e32 v66, v62, v65
	buffer_store_dword v67, off, s[0:3], 0 offset:200
	buffer_store_dword v66, off, s[0:3], 0 offset:204
.LBB93_115:
	s_or_b32 exec_lo, exec_lo, s4
	s_waitcnt_vscnt null, 0x0
	s_barrier
	buffer_gl0_inv
	s_clause 0x1
	buffer_load_dword v65, off, s[0:3], 0 offset:208
	buffer_load_dword v66, off, s[0:3], 0 offset:212
	s_mov_b32 s4, exec_lo
	s_waitcnt vmcnt(0)
	ds_write_b64 v64, v[65:66]
	s_waitcnt lgkmcnt(0)
	s_barrier
	buffer_gl0_inv
	v_cmpx_gt_u32_e32 26, v0
	s_cbranch_execz .LBB93_119
; %bb.116:
	v_add_nc_u32_e32 v65, -1, v0
	v_add_nc_u32_e32 v66, 0xf0, v63
	v_mov_b32_e32 v67, v63
	v_mov_b32_e32 v62, 0
	;; [unrolled: 1-line block ×3, first 2 shown]
	s_mov_b32 s5, 0
	.p2align	6
.LBB93_117:                             ; =>This Inner Loop Header: Depth=1
	s_clause 0x1
	buffer_load_dword v71, v67, s[0:3], 0 offen offset:4
	buffer_load_dword v72, v67, s[0:3], 0 offen
	ds_read_b64 v[69:70], v66
	v_add_nc_u32_e32 v65, 1, v65
	v_add_nc_u32_e32 v66, 8, v66
	v_add_nc_u32_e32 v67, 8, v67
	v_cmp_lt_u32_e32 vcc_lo, 24, v65
	s_or_b32 s5, vcc_lo, s5
	s_waitcnt vmcnt(1) lgkmcnt(0)
	v_mul_f32_e32 v73, v70, v71
	v_mul_f32_e32 v71, v69, v71
	s_waitcnt vmcnt(0)
	v_fma_f32 v69, v69, v72, -v73
	v_fmac_f32_e32 v71, v70, v72
	v_add_f32_e32 v68, v68, v69
	v_add_f32_e32 v62, v62, v71
	s_andn2_b32 exec_lo, exec_lo, s5
	s_cbranch_execnz .LBB93_117
; %bb.118:
	s_or_b32 exec_lo, exec_lo, s5
	v_mov_b32_e32 v65, 0
	ds_read_b64 v[65:66], v65 offset:208
	s_waitcnt lgkmcnt(0)
	v_mul_f32_e32 v67, v62, v66
	v_mul_f32_e32 v66, v68, v66
	v_fma_f32 v67, v68, v65, -v67
	v_fmac_f32_e32 v66, v62, v65
	buffer_store_dword v67, off, s[0:3], 0 offset:208
	buffer_store_dword v66, off, s[0:3], 0 offset:212
.LBB93_119:
	s_or_b32 exec_lo, exec_lo, s4
	s_waitcnt_vscnt null, 0x0
	s_barrier
	buffer_gl0_inv
	s_clause 0x1
	buffer_load_dword v65, off, s[0:3], 0 offset:216
	buffer_load_dword v66, off, s[0:3], 0 offset:220
	s_mov_b32 s4, exec_lo
	s_waitcnt vmcnt(0)
	ds_write_b64 v64, v[65:66]
	s_waitcnt lgkmcnt(0)
	s_barrier
	buffer_gl0_inv
	v_cmpx_gt_u32_e32 27, v0
	s_cbranch_execz .LBB93_123
; %bb.120:
	v_add_nc_u32_e32 v65, -1, v0
	v_add_nc_u32_e32 v66, 0xf0, v63
	v_mov_b32_e32 v67, v63
	v_mov_b32_e32 v62, 0
	v_mov_b32_e32 v68, 0
	s_mov_b32 s5, 0
	.p2align	6
.LBB93_121:                             ; =>This Inner Loop Header: Depth=1
	s_clause 0x1
	buffer_load_dword v71, v67, s[0:3], 0 offen offset:4
	buffer_load_dword v72, v67, s[0:3], 0 offen
	ds_read_b64 v[69:70], v66
	v_add_nc_u32_e32 v65, 1, v65
	v_add_nc_u32_e32 v66, 8, v66
	;; [unrolled: 1-line block ×3, first 2 shown]
	v_cmp_lt_u32_e32 vcc_lo, 25, v65
	s_or_b32 s5, vcc_lo, s5
	s_waitcnt vmcnt(1) lgkmcnt(0)
	v_mul_f32_e32 v73, v70, v71
	v_mul_f32_e32 v71, v69, v71
	s_waitcnt vmcnt(0)
	v_fma_f32 v69, v69, v72, -v73
	v_fmac_f32_e32 v71, v70, v72
	v_add_f32_e32 v68, v68, v69
	v_add_f32_e32 v62, v62, v71
	s_andn2_b32 exec_lo, exec_lo, s5
	s_cbranch_execnz .LBB93_121
; %bb.122:
	s_or_b32 exec_lo, exec_lo, s5
	v_mov_b32_e32 v65, 0
	ds_read_b64 v[65:66], v65 offset:216
	s_waitcnt lgkmcnt(0)
	v_mul_f32_e32 v67, v62, v66
	v_mul_f32_e32 v66, v68, v66
	v_fma_f32 v67, v68, v65, -v67
	v_fmac_f32_e32 v66, v62, v65
	buffer_store_dword v67, off, s[0:3], 0 offset:216
	buffer_store_dword v66, off, s[0:3], 0 offset:220
.LBB93_123:
	s_or_b32 exec_lo, exec_lo, s4
	s_waitcnt_vscnt null, 0x0
	s_barrier
	buffer_gl0_inv
	s_clause 0x1
	buffer_load_dword v65, off, s[0:3], 0 offset:224
	buffer_load_dword v66, off, s[0:3], 0 offset:228
	s_mov_b32 s4, exec_lo
	s_waitcnt vmcnt(0)
	ds_write_b64 v64, v[65:66]
	s_waitcnt lgkmcnt(0)
	s_barrier
	buffer_gl0_inv
	v_cmpx_gt_u32_e32 28, v0
	s_cbranch_execz .LBB93_127
; %bb.124:
	v_add_nc_u32_e32 v65, -1, v0
	v_add_nc_u32_e32 v66, 0xf0, v63
	v_mov_b32_e32 v67, v63
	v_mov_b32_e32 v62, 0
	;; [unrolled: 1-line block ×3, first 2 shown]
	s_mov_b32 s5, 0
	.p2align	6
.LBB93_125:                             ; =>This Inner Loop Header: Depth=1
	s_clause 0x1
	buffer_load_dword v71, v67, s[0:3], 0 offen offset:4
	buffer_load_dword v72, v67, s[0:3], 0 offen
	ds_read_b64 v[69:70], v66
	v_add_nc_u32_e32 v65, 1, v65
	v_add_nc_u32_e32 v66, 8, v66
	;; [unrolled: 1-line block ×3, first 2 shown]
	v_cmp_lt_u32_e32 vcc_lo, 26, v65
	s_or_b32 s5, vcc_lo, s5
	s_waitcnt vmcnt(1) lgkmcnt(0)
	v_mul_f32_e32 v73, v70, v71
	v_mul_f32_e32 v71, v69, v71
	s_waitcnt vmcnt(0)
	v_fma_f32 v69, v69, v72, -v73
	v_fmac_f32_e32 v71, v70, v72
	v_add_f32_e32 v68, v68, v69
	v_add_f32_e32 v62, v62, v71
	s_andn2_b32 exec_lo, exec_lo, s5
	s_cbranch_execnz .LBB93_125
; %bb.126:
	s_or_b32 exec_lo, exec_lo, s5
	v_mov_b32_e32 v65, 0
	ds_read_b64 v[65:66], v65 offset:224
	s_waitcnt lgkmcnt(0)
	v_mul_f32_e32 v67, v62, v66
	v_mul_f32_e32 v66, v68, v66
	v_fma_f32 v67, v68, v65, -v67
	v_fmac_f32_e32 v66, v62, v65
	buffer_store_dword v67, off, s[0:3], 0 offset:224
	buffer_store_dword v66, off, s[0:3], 0 offset:228
.LBB93_127:
	s_or_b32 exec_lo, exec_lo, s4
	s_waitcnt_vscnt null, 0x0
	s_barrier
	buffer_gl0_inv
	s_clause 0x1
	buffer_load_dword v65, off, s[0:3], 0 offset:232
	buffer_load_dword v66, off, s[0:3], 0 offset:236
	s_mov_b32 s4, exec_lo
	s_waitcnt vmcnt(0)
	ds_write_b64 v64, v[65:66]
	s_waitcnt lgkmcnt(0)
	s_barrier
	buffer_gl0_inv
	v_cmpx_ne_u32_e32 29, v0
	s_cbranch_execz .LBB93_131
; %bb.128:
	v_mov_b32_e32 v62, 0
	v_mov_b32_e32 v65, 0
	s_mov_b32 s5, 0
	.p2align	6
.LBB93_129:                             ; =>This Inner Loop Header: Depth=1
	s_clause 0x1
	buffer_load_dword v68, v63, s[0:3], 0 offen offset:4
	buffer_load_dword v69, v63, s[0:3], 0 offen
	ds_read_b64 v[66:67], v64
	v_add_nc_u32_e32 v61, 1, v61
	v_add_nc_u32_e32 v64, 8, v64
	;; [unrolled: 1-line block ×3, first 2 shown]
	v_cmp_lt_u32_e32 vcc_lo, 27, v61
	s_or_b32 s5, vcc_lo, s5
	s_waitcnt vmcnt(1) lgkmcnt(0)
	v_mul_f32_e32 v70, v67, v68
	v_mul_f32_e32 v68, v66, v68
	s_waitcnt vmcnt(0)
	v_fma_f32 v66, v66, v69, -v70
	v_fmac_f32_e32 v68, v67, v69
	v_add_f32_e32 v65, v65, v66
	v_add_f32_e32 v62, v62, v68
	s_andn2_b32 exec_lo, exec_lo, s5
	s_cbranch_execnz .LBB93_129
; %bb.130:
	s_or_b32 exec_lo, exec_lo, s5
	v_mov_b32_e32 v61, 0
	ds_read_b64 v[63:64], v61 offset:232
	s_waitcnt lgkmcnt(0)
	v_mul_f32_e32 v61, v62, v64
	v_mul_f32_e32 v64, v65, v64
	v_fma_f32 v61, v65, v63, -v61
	v_fmac_f32_e32 v64, v62, v63
	buffer_store_dword v61, off, s[0:3], 0 offset:232
	buffer_store_dword v64, off, s[0:3], 0 offset:236
.LBB93_131:
	s_or_b32 exec_lo, exec_lo, s4
	s_mov_b32 s5, -1
	s_waitcnt_vscnt null, 0x0
	s_barrier
	buffer_gl0_inv
.LBB93_132:
	s_and_b32 vcc_lo, exec_lo, s5
	s_cbranch_vccz .LBB93_134
; %bb.133:
	s_lshl_b64 s[4:5], s[6:7], 2
	v_mov_b32_e32 v61, 0
	s_add_u32 s4, s10, s4
	s_addc_u32 s5, s11, s5
	global_load_dword v61, v61, s[4:5]
	s_waitcnt vmcnt(0)
	v_cmp_ne_u32_e32 vcc_lo, 0, v61
	s_cbranch_vccz .LBB93_135
.LBB93_134:
	s_endpgm
.LBB93_135:
	v_lshl_add_u32 v61, v0, 3, 0xf0
	s_mov_b32 s4, exec_lo
	v_cmpx_eq_u32_e32 29, v0
	s_cbranch_execz .LBB93_137
; %bb.136:
	s_clause 0x1
	buffer_load_dword v62, off, s[0:3], 0 offset:224
	buffer_load_dword v63, off, s[0:3], 0 offset:228
	v_mov_b32_e32 v64, 0
	buffer_store_dword v64, off, s[0:3], 0 offset:224
	buffer_store_dword v64, off, s[0:3], 0 offset:228
	s_waitcnt vmcnt(0)
	ds_write_b64 v61, v[62:63]
.LBB93_137:
	s_or_b32 exec_lo, exec_lo, s4
	s_waitcnt lgkmcnt(0)
	s_waitcnt_vscnt null, 0x0
	s_barrier
	buffer_gl0_inv
	s_clause 0x3
	buffer_load_dword v65, off, s[0:3], 0 offset:236
	buffer_load_dword v66, off, s[0:3], 0 offset:232
	;; [unrolled: 1-line block ×4, first 2 shown]
	v_mov_b32_e32 v62, 0
	s_mov_b32 s4, exec_lo
	ds_read_b64 v[63:64], v62 offset:472
	s_waitcnt vmcnt(3) lgkmcnt(0)
	v_mul_f32_e32 v69, v64, v65
	v_mul_f32_e32 v65, v63, v65
	s_waitcnt vmcnt(2)
	v_fma_f32 v63, v63, v66, -v69
	v_fmac_f32_e32 v65, v64, v66
	v_add_f32_e32 v63, 0, v63
	v_add_f32_e32 v64, 0, v65
	s_waitcnt vmcnt(1)
	v_sub_f32_e32 v63, v67, v63
	s_waitcnt vmcnt(0)
	v_sub_f32_e32 v64, v68, v64
	buffer_store_dword v63, off, s[0:3], 0 offset:224
	buffer_store_dword v64, off, s[0:3], 0 offset:228
	v_cmpx_lt_u32_e32 27, v0
	s_cbranch_execz .LBB93_139
; %bb.138:
	s_clause 0x1
	buffer_load_dword v63, off, s[0:3], 0 offset:216
	buffer_load_dword v64, off, s[0:3], 0 offset:220
	buffer_store_dword v62, off, s[0:3], 0 offset:216
	buffer_store_dword v62, off, s[0:3], 0 offset:220
	s_waitcnt vmcnt(0)
	ds_write_b64 v61, v[63:64]
.LBB93_139:
	s_or_b32 exec_lo, exec_lo, s4
	s_waitcnt lgkmcnt(0)
	s_waitcnt_vscnt null, 0x0
	s_barrier
	buffer_gl0_inv
	s_clause 0x5
	buffer_load_dword v66, off, s[0:3], 0 offset:228
	buffer_load_dword v67, off, s[0:3], 0 offset:236
	;; [unrolled: 1-line block ×6, first 2 shown]
	ds_read_b128 v[62:65], v62 offset:464
	s_mov_b32 s4, exec_lo
	s_waitcnt vmcnt(5) lgkmcnt(0)
	v_mul_f32_e32 v72, v63, v66
	v_mul_f32_e32 v66, v62, v66
	s_waitcnt vmcnt(4)
	v_mul_f32_e32 v73, v64, v67
	v_mul_f32_e32 v67, v65, v67
	s_waitcnt vmcnt(3)
	v_fma_f32 v62, v62, v68, -v72
	v_fmac_f32_e32 v66, v63, v68
	s_waitcnt vmcnt(2)
	v_fmac_f32_e32 v73, v65, v69
	v_fma_f32 v63, v64, v69, -v67
	v_add_f32_e32 v62, 0, v62
	v_add_f32_e32 v64, 0, v66
	;; [unrolled: 1-line block ×4, first 2 shown]
	s_waitcnt vmcnt(1)
	v_sub_f32_e32 v62, v70, v62
	s_waitcnt vmcnt(0)
	v_sub_f32_e32 v63, v71, v63
	buffer_store_dword v62, off, s[0:3], 0 offset:216
	buffer_store_dword v63, off, s[0:3], 0 offset:220
	v_cmpx_lt_u32_e32 26, v0
	s_cbranch_execz .LBB93_141
; %bb.140:
	s_clause 0x1
	buffer_load_dword v62, off, s[0:3], 0 offset:208
	buffer_load_dword v63, off, s[0:3], 0 offset:212
	v_mov_b32_e32 v64, 0
	buffer_store_dword v64, off, s[0:3], 0 offset:208
	buffer_store_dword v64, off, s[0:3], 0 offset:212
	s_waitcnt vmcnt(0)
	ds_write_b64 v61, v[62:63]
.LBB93_141:
	s_or_b32 exec_lo, exec_lo, s4
	s_waitcnt lgkmcnt(0)
	s_waitcnt_vscnt null, 0x0
	s_barrier
	buffer_gl0_inv
	s_clause 0x7
	buffer_load_dword v69, off, s[0:3], 0 offset:220
	buffer_load_dword v70, off, s[0:3], 0 offset:228
	buffer_load_dword v71, off, s[0:3], 0 offset:236
	buffer_load_dword v72, off, s[0:3], 0 offset:216
	buffer_load_dword v73, off, s[0:3], 0 offset:224
	buffer_load_dword v74, off, s[0:3], 0 offset:232
	buffer_load_dword v75, off, s[0:3], 0 offset:208
	buffer_load_dword v76, off, s[0:3], 0 offset:212
	v_mov_b32_e32 v62, 0
	ds_read2_b64 v[63:66], v62 offset0:57 offset1:58
	ds_read_b64 v[67:68], v62 offset:472
	s_mov_b32 s4, exec_lo
	s_waitcnt vmcnt(7) lgkmcnt(1)
	v_mul_f32_e32 v77, v64, v69
	v_mul_f32_e32 v69, v63, v69
	s_waitcnt vmcnt(6)
	v_mul_f32_e32 v78, v65, v70
	v_mul_f32_e32 v70, v66, v70
	s_waitcnt vmcnt(5) lgkmcnt(0)
	v_mul_f32_e32 v79, v67, v71
	s_waitcnt vmcnt(4)
	v_fma_f32 v63, v63, v72, -v77
	v_fmac_f32_e32 v69, v64, v72
	v_mul_f32_e32 v64, v68, v71
	s_waitcnt vmcnt(3)
	v_fma_f32 v65, v65, v73, -v70
	v_fmac_f32_e32 v78, v66, v73
	v_add_f32_e32 v63, 0, v63
	v_add_f32_e32 v66, 0, v69
	s_waitcnt vmcnt(2)
	v_fma_f32 v64, v67, v74, -v64
	v_fmac_f32_e32 v79, v68, v74
	v_add_f32_e32 v63, v63, v65
	v_add_f32_e32 v65, v66, v78
	;; [unrolled: 1-line block ×4, first 2 shown]
	s_waitcnt vmcnt(1)
	v_sub_f32_e32 v63, v75, v63
	s_waitcnt vmcnt(0)
	v_sub_f32_e32 v64, v76, v64
	buffer_store_dword v63, off, s[0:3], 0 offset:208
	buffer_store_dword v64, off, s[0:3], 0 offset:212
	v_cmpx_lt_u32_e32 25, v0
	s_cbranch_execz .LBB93_143
; %bb.142:
	s_clause 0x1
	buffer_load_dword v63, off, s[0:3], 0 offset:200
	buffer_load_dword v64, off, s[0:3], 0 offset:204
	buffer_store_dword v62, off, s[0:3], 0 offset:200
	buffer_store_dword v62, off, s[0:3], 0 offset:204
	s_waitcnt vmcnt(0)
	ds_write_b64 v61, v[63:64]
.LBB93_143:
	s_or_b32 exec_lo, exec_lo, s4
	s_waitcnt lgkmcnt(0)
	s_waitcnt_vscnt null, 0x0
	s_barrier
	buffer_gl0_inv
	s_clause 0x9
	buffer_load_dword v71, off, s[0:3], 0 offset:212
	buffer_load_dword v72, off, s[0:3], 0 offset:220
	;; [unrolled: 1-line block ×10, first 2 shown]
	ds_read_b128 v[63:66], v62 offset:448
	ds_read_b128 v[67:70], v62 offset:464
	s_mov_b32 s4, exec_lo
	s_waitcnt vmcnt(9) lgkmcnt(1)
	v_mul_f32_e32 v62, v63, v71
	v_mul_f32_e32 v71, v64, v71
	s_waitcnt vmcnt(8)
	v_mul_f32_e32 v81, v65, v72
	v_mul_f32_e32 v72, v66, v72
	s_waitcnt vmcnt(7) lgkmcnt(0)
	v_mul_f32_e32 v82, v67, v73
	s_waitcnt vmcnt(5)
	v_fmac_f32_e32 v62, v64, v75
	v_fma_f32 v63, v63, v75, -v71
	v_mul_f32_e32 v64, v68, v73
	s_waitcnt vmcnt(4)
	v_fma_f32 v65, v65, v76, -v72
	v_fmac_f32_e32 v81, v66, v76
	v_add_f32_e32 v62, 0, v62
	v_add_f32_e32 v63, 0, v63
	v_mul_f32_e32 v66, v70, v74
	s_waitcnt vmcnt(3)
	v_fma_f32 v64, v67, v77, -v64
	v_mul_f32_e32 v83, v69, v74
	v_fmac_f32_e32 v82, v68, v77
	v_add_f32_e32 v63, v63, v65
	v_add_f32_e32 v62, v62, v81
	s_waitcnt vmcnt(2)
	v_fma_f32 v65, v69, v78, -v66
	v_fmac_f32_e32 v83, v70, v78
	v_add_f32_e32 v63, v63, v64
	v_add_f32_e32 v62, v62, v82
	;; [unrolled: 1-line block ×4, first 2 shown]
	s_waitcnt vmcnt(1)
	v_sub_f32_e32 v63, v79, v63
	s_waitcnt vmcnt(0)
	v_sub_f32_e32 v62, v80, v62
	buffer_store_dword v63, off, s[0:3], 0 offset:200
	buffer_store_dword v62, off, s[0:3], 0 offset:204
	v_cmpx_lt_u32_e32 24, v0
	s_cbranch_execz .LBB93_145
; %bb.144:
	s_clause 0x1
	buffer_load_dword v62, off, s[0:3], 0 offset:192
	buffer_load_dword v63, off, s[0:3], 0 offset:196
	v_mov_b32_e32 v64, 0
	buffer_store_dword v64, off, s[0:3], 0 offset:192
	buffer_store_dword v64, off, s[0:3], 0 offset:196
	s_waitcnt vmcnt(0)
	ds_write_b64 v61, v[62:63]
.LBB93_145:
	s_or_b32 exec_lo, exec_lo, s4
	s_waitcnt lgkmcnt(0)
	s_waitcnt_vscnt null, 0x0
	s_barrier
	buffer_gl0_inv
	s_clause 0xb
	buffer_load_dword v73, off, s[0:3], 0 offset:204
	buffer_load_dword v74, off, s[0:3], 0 offset:212
	;; [unrolled: 1-line block ×12, first 2 shown]
	v_mov_b32_e32 v62, 0
	ds_read2_b64 v[63:66], v62 offset0:55 offset1:56
	ds_read2_b64 v[67:70], v62 offset0:57 offset1:58
	ds_read_b64 v[71:72], v62 offset:472
	s_mov_b32 s4, exec_lo
	s_waitcnt vmcnt(11) lgkmcnt(2)
	v_mul_f32_e32 v85, v63, v73
	v_mul_f32_e32 v73, v64, v73
	s_waitcnt vmcnt(10)
	v_mul_f32_e32 v86, v65, v74
	v_mul_f32_e32 v74, v66, v74
	s_waitcnt vmcnt(9) lgkmcnt(1)
	v_mul_f32_e32 v87, v67, v75
	s_waitcnt vmcnt(6)
	v_fmac_f32_e32 v85, v64, v78
	v_fma_f32 v63, v63, v78, -v73
	v_mul_f32_e32 v64, v68, v75
	s_waitcnt vmcnt(5)
	v_fma_f32 v65, v65, v79, -v74
	v_fmac_f32_e32 v86, v66, v79
	v_add_f32_e32 v66, 0, v85
	v_add_f32_e32 v63, 0, v63
	v_mul_f32_e32 v73, v70, v76
	s_waitcnt vmcnt(4)
	v_fma_f32 v64, v67, v80, -v64
	v_mul_f32_e32 v88, v69, v76
	v_fmac_f32_e32 v87, v68, v80
	v_add_f32_e32 v63, v63, v65
	v_add_f32_e32 v65, v66, v86
	s_waitcnt lgkmcnt(0)
	v_mul_f32_e32 v66, v72, v77
	s_waitcnt vmcnt(3)
	v_fma_f32 v67, v69, v81, -v73
	v_mul_f32_e32 v89, v71, v77
	v_add_f32_e32 v63, v63, v64
	v_fmac_f32_e32 v88, v70, v81
	v_add_f32_e32 v64, v65, v87
	s_waitcnt vmcnt(2)
	v_fma_f32 v65, v71, v82, -v66
	v_fmac_f32_e32 v89, v72, v82
	v_add_f32_e32 v63, v63, v67
	v_add_f32_e32 v64, v64, v88
	;; [unrolled: 1-line block ×4, first 2 shown]
	s_waitcnt vmcnt(1)
	v_sub_f32_e32 v63, v83, v63
	s_waitcnt vmcnt(0)
	v_sub_f32_e32 v64, v84, v64
	buffer_store_dword v63, off, s[0:3], 0 offset:192
	buffer_store_dword v64, off, s[0:3], 0 offset:196
	v_cmpx_lt_u32_e32 23, v0
	s_cbranch_execz .LBB93_147
; %bb.146:
	s_clause 0x1
	buffer_load_dword v63, off, s[0:3], 0 offset:184
	buffer_load_dword v64, off, s[0:3], 0 offset:188
	buffer_store_dword v62, off, s[0:3], 0 offset:184
	buffer_store_dword v62, off, s[0:3], 0 offset:188
	s_waitcnt vmcnt(0)
	ds_write_b64 v61, v[63:64]
.LBB93_147:
	s_or_b32 exec_lo, exec_lo, s4
	s_waitcnt lgkmcnt(0)
	s_waitcnt_vscnt null, 0x0
	s_barrier
	buffer_gl0_inv
	s_clause 0xd
	buffer_load_dword v75, off, s[0:3], 0 offset:196
	buffer_load_dword v76, off, s[0:3], 0 offset:204
	;; [unrolled: 1-line block ×14, first 2 shown]
	ds_read_b128 v[63:66], v62 offset:432
	ds_read_b128 v[67:70], v62 offset:448
	;; [unrolled: 1-line block ×3, first 2 shown]
	s_mov_b32 s4, exec_lo
	s_waitcnt vmcnt(13) lgkmcnt(2)
	v_mul_f32_e32 v62, v63, v75
	v_mul_f32_e32 v75, v64, v75
	s_waitcnt vmcnt(12)
	v_mul_f32_e32 v89, v65, v76
	v_mul_f32_e32 v76, v66, v76
	s_waitcnt vmcnt(11) lgkmcnt(1)
	v_mul_f32_e32 v90, v67, v77
	s_waitcnt vmcnt(10)
	v_mul_f32_e32 v91, v69, v78
	s_waitcnt vmcnt(7)
	v_fma_f32 v63, v63, v81, -v75
	v_fmac_f32_e32 v62, v64, v81
	v_mul_f32_e32 v64, v68, v77
	s_waitcnt vmcnt(6)
	v_fma_f32 v65, v65, v82, -v76
	v_fmac_f32_e32 v89, v66, v82
	v_add_f32_e32 v63, 0, v63
	v_add_f32_e32 v62, 0, v62
	v_mul_f32_e32 v66, v70, v78
	s_waitcnt vmcnt(5)
	v_fma_f32 v64, v67, v83, -v64
	v_fmac_f32_e32 v90, v68, v83
	v_add_f32_e32 v63, v63, v65
	v_add_f32_e32 v62, v62, v89
	s_waitcnt lgkmcnt(0)
	v_mul_f32_e32 v65, v72, v79
	s_waitcnt vmcnt(4)
	v_fma_f32 v66, v69, v84, -v66
	v_mul_f32_e32 v92, v71, v79
	v_add_f32_e32 v63, v63, v64
	v_fmac_f32_e32 v91, v70, v84
	v_add_f32_e32 v62, v62, v90
	v_mul_f32_e32 v64, v74, v80
	s_waitcnt vmcnt(3)
	v_fma_f32 v65, v71, v85, -v65
	v_add_f32_e32 v63, v63, v66
	v_mul_f32_e32 v93, v73, v80
	v_fmac_f32_e32 v92, v72, v85
	v_add_f32_e32 v62, v62, v91
	s_waitcnt vmcnt(2)
	v_fma_f32 v64, v73, v86, -v64
	v_add_f32_e32 v63, v63, v65
	v_fmac_f32_e32 v93, v74, v86
	v_add_f32_e32 v62, v62, v92
	v_add_f32_e32 v63, v63, v64
	;; [unrolled: 1-line block ×3, first 2 shown]
	s_waitcnt vmcnt(1)
	v_sub_f32_e32 v63, v87, v63
	s_waitcnt vmcnt(0)
	v_sub_f32_e32 v62, v88, v62
	buffer_store_dword v63, off, s[0:3], 0 offset:184
	buffer_store_dword v62, off, s[0:3], 0 offset:188
	v_cmpx_lt_u32_e32 22, v0
	s_cbranch_execz .LBB93_149
; %bb.148:
	s_clause 0x1
	buffer_load_dword v62, off, s[0:3], 0 offset:176
	buffer_load_dword v63, off, s[0:3], 0 offset:180
	v_mov_b32_e32 v64, 0
	buffer_store_dword v64, off, s[0:3], 0 offset:176
	buffer_store_dword v64, off, s[0:3], 0 offset:180
	s_waitcnt vmcnt(0)
	ds_write_b64 v61, v[62:63]
.LBB93_149:
	s_or_b32 exec_lo, exec_lo, s4
	s_waitcnt lgkmcnt(0)
	s_waitcnt_vscnt null, 0x0
	s_barrier
	buffer_gl0_inv
	s_clause 0xf
	buffer_load_dword v77, off, s[0:3], 0 offset:188
	buffer_load_dword v78, off, s[0:3], 0 offset:196
	buffer_load_dword v79, off, s[0:3], 0 offset:204
	buffer_load_dword v80, off, s[0:3], 0 offset:212
	buffer_load_dword v81, off, s[0:3], 0 offset:220
	buffer_load_dword v82, off, s[0:3], 0 offset:228
	buffer_load_dword v83, off, s[0:3], 0 offset:236
	buffer_load_dword v84, off, s[0:3], 0 offset:184
	buffer_load_dword v85, off, s[0:3], 0 offset:192
	buffer_load_dword v86, off, s[0:3], 0 offset:200
	buffer_load_dword v87, off, s[0:3], 0 offset:208
	buffer_load_dword v88, off, s[0:3], 0 offset:216
	buffer_load_dword v89, off, s[0:3], 0 offset:224
	buffer_load_dword v90, off, s[0:3], 0 offset:232
	buffer_load_dword v91, off, s[0:3], 0 offset:176
	buffer_load_dword v92, off, s[0:3], 0 offset:180
	v_mov_b32_e32 v62, 0
	ds_read2_b64 v[63:66], v62 offset0:53 offset1:54
	ds_read2_b64 v[67:70], v62 offset0:55 offset1:56
	;; [unrolled: 1-line block ×3, first 2 shown]
	ds_read_b64 v[75:76], v62 offset:472
	s_mov_b32 s4, exec_lo
	s_waitcnt vmcnt(15) lgkmcnt(3)
	v_mul_f32_e32 v93, v63, v77
	v_mul_f32_e32 v77, v64, v77
	s_waitcnt vmcnt(14)
	v_mul_f32_e32 v94, v65, v78
	v_mul_f32_e32 v78, v66, v78
	s_waitcnt vmcnt(13) lgkmcnt(2)
	v_mul_f32_e32 v95, v67, v79
	s_waitcnt vmcnt(12)
	v_mul_f32_e32 v96, v69, v80
	s_waitcnt vmcnt(11) lgkmcnt(1)
	v_mul_f32_e32 v97, v71, v81
	s_waitcnt vmcnt(8)
	v_fma_f32 v63, v63, v84, -v77
	v_fmac_f32_e32 v93, v64, v84
	v_mul_f32_e32 v64, v68, v79
	s_waitcnt vmcnt(7)
	v_fma_f32 v65, v65, v85, -v78
	v_fmac_f32_e32 v94, v66, v85
	v_add_f32_e32 v63, 0, v63
	v_add_f32_e32 v66, 0, v93
	v_mul_f32_e32 v77, v70, v80
	s_waitcnt vmcnt(6)
	v_fma_f32 v64, v67, v86, -v64
	v_fmac_f32_e32 v95, v68, v86
	v_add_f32_e32 v63, v63, v65
	v_add_f32_e32 v65, v66, v94
	;; [unrolled: 6-line block ×3, first 2 shown]
	v_mul_f32_e32 v65, v74, v82
	s_waitcnt vmcnt(4)
	v_fma_f32 v66, v71, v88, -v66
	v_mul_f32_e32 v98, v73, v82
	v_add_f32_e32 v63, v63, v67
	v_fmac_f32_e32 v97, v72, v88
	v_add_f32_e32 v64, v64, v96
	s_waitcnt lgkmcnt(0)
	v_mul_f32_e32 v67, v76, v83
	s_waitcnt vmcnt(3)
	v_fma_f32 v65, v73, v89, -v65
	v_add_f32_e32 v63, v63, v66
	v_mul_f32_e32 v99, v75, v83
	v_fmac_f32_e32 v98, v74, v89
	v_add_f32_e32 v64, v64, v97
	s_waitcnt vmcnt(2)
	v_fma_f32 v66, v75, v90, -v67
	v_add_f32_e32 v63, v63, v65
	v_fmac_f32_e32 v99, v76, v90
	v_add_f32_e32 v64, v64, v98
	v_add_f32_e32 v63, v63, v66
	;; [unrolled: 1-line block ×3, first 2 shown]
	s_waitcnt vmcnt(1)
	v_sub_f32_e32 v63, v91, v63
	s_waitcnt vmcnt(0)
	v_sub_f32_e32 v64, v92, v64
	buffer_store_dword v63, off, s[0:3], 0 offset:176
	buffer_store_dword v64, off, s[0:3], 0 offset:180
	v_cmpx_lt_u32_e32 21, v0
	s_cbranch_execz .LBB93_151
; %bb.150:
	s_clause 0x1
	buffer_load_dword v63, off, s[0:3], 0 offset:168
	buffer_load_dword v64, off, s[0:3], 0 offset:172
	buffer_store_dword v62, off, s[0:3], 0 offset:168
	buffer_store_dword v62, off, s[0:3], 0 offset:172
	s_waitcnt vmcnt(0)
	ds_write_b64 v61, v[63:64]
.LBB93_151:
	s_or_b32 exec_lo, exec_lo, s4
	s_waitcnt lgkmcnt(0)
	s_waitcnt_vscnt null, 0x0
	s_barrier
	buffer_gl0_inv
	s_clause 0x11
	buffer_load_dword v79, off, s[0:3], 0 offset:180
	buffer_load_dword v80, off, s[0:3], 0 offset:188
	;; [unrolled: 1-line block ×18, first 2 shown]
	ds_read_b128 v[63:66], v62 offset:416
	ds_read_b128 v[67:70], v62 offset:432
	;; [unrolled: 1-line block ×4, first 2 shown]
	s_mov_b32 s4, exec_lo
	s_waitcnt vmcnt(17) lgkmcnt(3)
	v_mul_f32_e32 v62, v63, v79
	v_mul_f32_e32 v79, v64, v79
	s_waitcnt vmcnt(16)
	v_mul_f32_e32 v97, v65, v80
	v_mul_f32_e32 v80, v66, v80
	s_waitcnt vmcnt(15) lgkmcnt(2)
	v_mul_f32_e32 v98, v67, v81
	s_waitcnt vmcnt(14)
	v_mul_f32_e32 v99, v69, v82
	s_waitcnt vmcnt(13) lgkmcnt(1)
	v_mul_f32_e32 v100, v71, v83
	s_waitcnt vmcnt(12)
	v_mul_f32_e32 v101, v73, v84
	s_waitcnt vmcnt(9)
	v_fma_f32 v63, v63, v87, -v79
	v_fmac_f32_e32 v62, v64, v87
	v_mul_f32_e32 v64, v68, v81
	s_waitcnt vmcnt(8)
	v_fma_f32 v65, v65, v88, -v80
	v_fmac_f32_e32 v97, v66, v88
	v_add_f32_e32 v63, 0, v63
	v_add_f32_e32 v62, 0, v62
	v_mul_f32_e32 v66, v70, v82
	s_waitcnt vmcnt(7)
	v_fma_f32 v64, v67, v89, -v64
	v_fmac_f32_e32 v98, v68, v89
	v_add_f32_e32 v63, v63, v65
	v_add_f32_e32 v62, v62, v97
	;; [unrolled: 6-line block ×4, first 2 shown]
	s_waitcnt lgkmcnt(0)
	v_mul_f32_e32 v66, v76, v85
	s_waitcnt vmcnt(4)
	v_fma_f32 v64, v73, v92, -v64
	v_mul_f32_e32 v102, v75, v85
	v_add_f32_e32 v63, v63, v65
	v_fmac_f32_e32 v101, v74, v92
	v_add_f32_e32 v62, v62, v100
	v_mul_f32_e32 v65, v78, v86
	s_waitcnt vmcnt(3)
	v_fma_f32 v66, v75, v93, -v66
	v_add_f32_e32 v63, v63, v64
	v_mul_f32_e32 v103, v77, v86
	v_fmac_f32_e32 v102, v76, v93
	v_add_f32_e32 v62, v62, v101
	s_waitcnt vmcnt(2)
	v_fma_f32 v64, v77, v94, -v65
	v_add_f32_e32 v63, v63, v66
	v_fmac_f32_e32 v103, v78, v94
	v_add_f32_e32 v62, v62, v102
	v_add_f32_e32 v63, v63, v64
	v_add_f32_e32 v62, v62, v103
	s_waitcnt vmcnt(1)
	v_sub_f32_e32 v63, v95, v63
	s_waitcnt vmcnt(0)
	v_sub_f32_e32 v62, v96, v62
	buffer_store_dword v63, off, s[0:3], 0 offset:168
	buffer_store_dword v62, off, s[0:3], 0 offset:172
	v_cmpx_lt_u32_e32 20, v0
	s_cbranch_execz .LBB93_153
; %bb.152:
	s_clause 0x1
	buffer_load_dword v62, off, s[0:3], 0 offset:160
	buffer_load_dword v63, off, s[0:3], 0 offset:164
	v_mov_b32_e32 v64, 0
	buffer_store_dword v64, off, s[0:3], 0 offset:160
	buffer_store_dword v64, off, s[0:3], 0 offset:164
	s_waitcnt vmcnt(0)
	ds_write_b64 v61, v[62:63]
.LBB93_153:
	s_or_b32 exec_lo, exec_lo, s4
	s_waitcnt lgkmcnt(0)
	s_waitcnt_vscnt null, 0x0
	s_barrier
	buffer_gl0_inv
	s_clause 0x13
	buffer_load_dword v81, off, s[0:3], 0 offset:172
	buffer_load_dword v82, off, s[0:3], 0 offset:180
	buffer_load_dword v83, off, s[0:3], 0 offset:188
	buffer_load_dword v84, off, s[0:3], 0 offset:196
	buffer_load_dword v85, off, s[0:3], 0 offset:204
	buffer_load_dword v86, off, s[0:3], 0 offset:212
	buffer_load_dword v87, off, s[0:3], 0 offset:220
	buffer_load_dword v88, off, s[0:3], 0 offset:228
	buffer_load_dword v89, off, s[0:3], 0 offset:236
	buffer_load_dword v90, off, s[0:3], 0 offset:168
	buffer_load_dword v91, off, s[0:3], 0 offset:176
	buffer_load_dword v92, off, s[0:3], 0 offset:184
	buffer_load_dword v93, off, s[0:3], 0 offset:192
	buffer_load_dword v94, off, s[0:3], 0 offset:200
	buffer_load_dword v95, off, s[0:3], 0 offset:208
	buffer_load_dword v96, off, s[0:3], 0 offset:216
	buffer_load_dword v97, off, s[0:3], 0 offset:224
	buffer_load_dword v98, off, s[0:3], 0 offset:232
	buffer_load_dword v99, off, s[0:3], 0 offset:160
	buffer_load_dword v100, off, s[0:3], 0 offset:164
	v_mov_b32_e32 v62, 0
	ds_read2_b64 v[63:66], v62 offset0:51 offset1:52
	ds_read2_b64 v[67:70], v62 offset0:53 offset1:54
	;; [unrolled: 1-line block ×4, first 2 shown]
	ds_read_b64 v[79:80], v62 offset:472
	s_mov_b32 s4, exec_lo
	s_waitcnt vmcnt(19) lgkmcnt(4)
	v_mul_f32_e32 v101, v63, v81
	v_mul_f32_e32 v81, v64, v81
	s_waitcnt vmcnt(18)
	v_mul_f32_e32 v102, v65, v82
	v_mul_f32_e32 v82, v66, v82
	s_waitcnt vmcnt(17) lgkmcnt(3)
	v_mul_f32_e32 v103, v67, v83
	s_waitcnt vmcnt(16)
	v_mul_f32_e32 v104, v69, v84
	s_waitcnt vmcnt(15) lgkmcnt(2)
	v_mul_f32_e32 v105, v71, v85
	s_waitcnt vmcnt(14)
	;; [unrolled: 4-line block ×3, first 2 shown]
	v_fma_f32 v63, v63, v90, -v81
	v_fmac_f32_e32 v101, v64, v90
	v_mul_f32_e32 v64, v68, v83
	s_waitcnt vmcnt(9)
	v_fma_f32 v65, v65, v91, -v82
	v_fmac_f32_e32 v102, v66, v91
	v_add_f32_e32 v63, 0, v63
	v_add_f32_e32 v66, 0, v101
	v_mul_f32_e32 v81, v70, v84
	s_waitcnt vmcnt(8)
	v_fma_f32 v64, v67, v92, -v64
	v_fmac_f32_e32 v103, v68, v92
	v_add_f32_e32 v63, v63, v65
	v_add_f32_e32 v65, v66, v102
	v_mul_f32_e32 v66, v72, v85
	s_waitcnt vmcnt(7)
	v_fma_f32 v67, v69, v93, -v81
	v_fmac_f32_e32 v104, v70, v93
	v_add_f32_e32 v63, v63, v64
	v_add_f32_e32 v64, v65, v103
	v_mul_f32_e32 v65, v74, v86
	s_waitcnt vmcnt(6)
	v_fma_f32 v66, v71, v94, -v66
	v_fmac_f32_e32 v105, v72, v94
	v_add_f32_e32 v63, v63, v67
	v_add_f32_e32 v64, v64, v104
	v_mul_f32_e32 v67, v76, v87
	s_waitcnt vmcnt(5)
	v_fma_f32 v65, v73, v95, -v65
	v_fmac_f32_e32 v106, v74, v95
	v_add_f32_e32 v63, v63, v66
	v_add_f32_e32 v64, v64, v105
	v_mul_f32_e32 v66, v78, v88
	s_waitcnt vmcnt(4)
	v_fma_f32 v67, v75, v96, -v67
	v_mul_f32_e32 v108, v77, v88
	v_add_f32_e32 v63, v63, v65
	v_fmac_f32_e32 v107, v76, v96
	v_add_f32_e32 v64, v64, v106
	s_waitcnt lgkmcnt(0)
	v_mul_f32_e32 v65, v80, v89
	s_waitcnt vmcnt(3)
	v_fma_f32 v66, v77, v97, -v66
	v_add_f32_e32 v63, v63, v67
	v_mul_f32_e32 v109, v79, v89
	v_fmac_f32_e32 v108, v78, v97
	v_add_f32_e32 v64, v64, v107
	s_waitcnt vmcnt(2)
	v_fma_f32 v65, v79, v98, -v65
	v_add_f32_e32 v63, v63, v66
	v_fmac_f32_e32 v109, v80, v98
	v_add_f32_e32 v64, v64, v108
	v_add_f32_e32 v63, v63, v65
	;; [unrolled: 1-line block ×3, first 2 shown]
	s_waitcnt vmcnt(1)
	v_sub_f32_e32 v63, v99, v63
	s_waitcnt vmcnt(0)
	v_sub_f32_e32 v64, v100, v64
	buffer_store_dword v63, off, s[0:3], 0 offset:160
	buffer_store_dword v64, off, s[0:3], 0 offset:164
	v_cmpx_lt_u32_e32 19, v0
	s_cbranch_execz .LBB93_155
; %bb.154:
	s_clause 0x1
	buffer_load_dword v63, off, s[0:3], 0 offset:152
	buffer_load_dword v64, off, s[0:3], 0 offset:156
	buffer_store_dword v62, off, s[0:3], 0 offset:152
	buffer_store_dword v62, off, s[0:3], 0 offset:156
	s_waitcnt vmcnt(0)
	ds_write_b64 v61, v[63:64]
.LBB93_155:
	s_or_b32 exec_lo, exec_lo, s4
	s_waitcnt lgkmcnt(0)
	s_waitcnt_vscnt null, 0x0
	s_barrier
	buffer_gl0_inv
	s_clause 0x15
	buffer_load_dword v83, off, s[0:3], 0 offset:164
	buffer_load_dword v84, off, s[0:3], 0 offset:172
	;; [unrolled: 1-line block ×22, first 2 shown]
	ds_read_b128 v[63:66], v62 offset:400
	ds_read_b128 v[67:70], v62 offset:416
	;; [unrolled: 1-line block ×5, first 2 shown]
	s_mov_b32 s4, exec_lo
	s_waitcnt vmcnt(21) lgkmcnt(4)
	v_mul_f32_e32 v62, v63, v83
	v_mul_f32_e32 v83, v64, v83
	s_waitcnt vmcnt(20)
	v_mul_f32_e32 v105, v65, v84
	v_mul_f32_e32 v84, v66, v84
	s_waitcnt vmcnt(19) lgkmcnt(3)
	v_mul_f32_e32 v106, v67, v85
	s_waitcnt vmcnt(18)
	v_mul_f32_e32 v107, v69, v86
	s_waitcnt vmcnt(17) lgkmcnt(2)
	v_mul_f32_e32 v108, v71, v87
	s_waitcnt vmcnt(16)
	;; [unrolled: 4-line block ×3, first 2 shown]
	v_mul_f32_e32 v111, v77, v90
	s_waitcnt vmcnt(11)
	v_fma_f32 v63, v63, v93, -v83
	v_fmac_f32_e32 v62, v64, v93
	v_mul_f32_e32 v64, v68, v85
	s_waitcnt vmcnt(10)
	v_fma_f32 v65, v65, v94, -v84
	v_fmac_f32_e32 v105, v66, v94
	v_add_f32_e32 v63, 0, v63
	v_add_f32_e32 v62, 0, v62
	v_mul_f32_e32 v66, v70, v86
	s_waitcnt vmcnt(9)
	v_fma_f32 v64, v67, v95, -v64
	v_fmac_f32_e32 v106, v68, v95
	v_add_f32_e32 v63, v63, v65
	v_add_f32_e32 v62, v62, v105
	v_mul_f32_e32 v65, v72, v87
	s_waitcnt vmcnt(8)
	v_fma_f32 v66, v69, v96, -v66
	v_fmac_f32_e32 v107, v70, v96
	v_add_f32_e32 v63, v63, v64
	v_add_f32_e32 v62, v62, v106
	v_mul_f32_e32 v64, v74, v88
	s_waitcnt vmcnt(7)
	v_fma_f32 v65, v71, v97, -v65
	v_fmac_f32_e32 v108, v72, v97
	v_add_f32_e32 v63, v63, v66
	v_add_f32_e32 v62, v62, v107
	v_mul_f32_e32 v66, v76, v89
	s_waitcnt vmcnt(6)
	v_fma_f32 v64, v73, v98, -v64
	v_fmac_f32_e32 v109, v74, v98
	v_add_f32_e32 v63, v63, v65
	v_add_f32_e32 v62, v62, v108
	v_mul_f32_e32 v65, v78, v90
	s_waitcnt vmcnt(5)
	v_fma_f32 v66, v75, v99, -v66
	v_fmac_f32_e32 v110, v76, v99
	v_add_f32_e32 v63, v63, v64
	v_add_f32_e32 v62, v62, v109
	s_waitcnt lgkmcnt(0)
	v_mul_f32_e32 v64, v80, v91
	s_waitcnt vmcnt(4)
	v_fma_f32 v65, v77, v100, -v65
	v_mul_f32_e32 v112, v79, v91
	v_add_f32_e32 v63, v63, v66
	v_fmac_f32_e32 v111, v78, v100
	v_add_f32_e32 v62, v62, v110
	v_mul_f32_e32 v66, v82, v92
	s_waitcnt vmcnt(3)
	v_fma_f32 v64, v79, v101, -v64
	v_add_f32_e32 v63, v63, v65
	v_mul_f32_e32 v113, v81, v92
	v_fmac_f32_e32 v112, v80, v101
	v_add_f32_e32 v62, v62, v111
	s_waitcnt vmcnt(2)
	v_fma_f32 v65, v81, v102, -v66
	v_add_f32_e32 v63, v63, v64
	v_fmac_f32_e32 v113, v82, v102
	v_add_f32_e32 v62, v62, v112
	v_add_f32_e32 v63, v63, v65
	;; [unrolled: 1-line block ×3, first 2 shown]
	s_waitcnt vmcnt(1)
	v_sub_f32_e32 v63, v103, v63
	s_waitcnt vmcnt(0)
	v_sub_f32_e32 v62, v104, v62
	buffer_store_dword v63, off, s[0:3], 0 offset:152
	buffer_store_dword v62, off, s[0:3], 0 offset:156
	v_cmpx_lt_u32_e32 18, v0
	s_cbranch_execz .LBB93_157
; %bb.156:
	s_clause 0x1
	buffer_load_dword v62, off, s[0:3], 0 offset:144
	buffer_load_dword v63, off, s[0:3], 0 offset:148
	v_mov_b32_e32 v64, 0
	buffer_store_dword v64, off, s[0:3], 0 offset:144
	buffer_store_dword v64, off, s[0:3], 0 offset:148
	s_waitcnt vmcnt(0)
	ds_write_b64 v61, v[62:63]
.LBB93_157:
	s_or_b32 exec_lo, exec_lo, s4
	s_waitcnt lgkmcnt(0)
	s_waitcnt_vscnt null, 0x0
	s_barrier
	buffer_gl0_inv
	s_clause 0x17
	buffer_load_dword v85, off, s[0:3], 0 offset:156
	buffer_load_dword v86, off, s[0:3], 0 offset:164
	buffer_load_dword v87, off, s[0:3], 0 offset:172
	buffer_load_dword v88, off, s[0:3], 0 offset:180
	buffer_load_dword v89, off, s[0:3], 0 offset:188
	buffer_load_dword v90, off, s[0:3], 0 offset:196
	buffer_load_dword v91, off, s[0:3], 0 offset:204
	buffer_load_dword v92, off, s[0:3], 0 offset:212
	buffer_load_dword v93, off, s[0:3], 0 offset:220
	buffer_load_dword v94, off, s[0:3], 0 offset:228
	buffer_load_dword v95, off, s[0:3], 0 offset:236
	buffer_load_dword v96, off, s[0:3], 0 offset:152
	buffer_load_dword v97, off, s[0:3], 0 offset:160
	buffer_load_dword v98, off, s[0:3], 0 offset:168
	buffer_load_dword v99, off, s[0:3], 0 offset:176
	buffer_load_dword v100, off, s[0:3], 0 offset:184
	buffer_load_dword v101, off, s[0:3], 0 offset:192
	buffer_load_dword v102, off, s[0:3], 0 offset:200
	buffer_load_dword v103, off, s[0:3], 0 offset:208
	buffer_load_dword v104, off, s[0:3], 0 offset:216
	buffer_load_dword v105, off, s[0:3], 0 offset:224
	buffer_load_dword v106, off, s[0:3], 0 offset:232
	buffer_load_dword v107, off, s[0:3], 0 offset:144
	buffer_load_dword v108, off, s[0:3], 0 offset:148
	v_mov_b32_e32 v62, 0
	ds_read2_b64 v[63:66], v62 offset0:49 offset1:50
	ds_read2_b64 v[67:70], v62 offset0:51 offset1:52
	ds_read2_b64 v[71:74], v62 offset0:53 offset1:54
	ds_read2_b64 v[75:78], v62 offset0:55 offset1:56
	ds_read2_b64 v[79:82], v62 offset0:57 offset1:58
	ds_read_b64 v[83:84], v62 offset:472
	s_mov_b32 s4, exec_lo
	s_waitcnt vmcnt(23) lgkmcnt(5)
	v_mul_f32_e32 v109, v63, v85
	v_mul_f32_e32 v85, v64, v85
	s_waitcnt vmcnt(22)
	v_mul_f32_e32 v110, v65, v86
	v_mul_f32_e32 v86, v66, v86
	s_waitcnt vmcnt(21) lgkmcnt(4)
	v_mul_f32_e32 v111, v67, v87
	s_waitcnt vmcnt(20)
	v_mul_f32_e32 v112, v69, v88
	s_waitcnt vmcnt(19) lgkmcnt(3)
	v_mul_f32_e32 v113, v71, v89
	s_waitcnt vmcnt(18)
	;; [unrolled: 4-line block ×4, first 2 shown]
	v_fma_f32 v63, v63, v96, -v85
	v_fmac_f32_e32 v109, v64, v96
	v_mul_f32_e32 v64, v68, v87
	s_waitcnt vmcnt(11)
	v_fma_f32 v65, v65, v97, -v86
	v_fmac_f32_e32 v110, v66, v97
	v_add_f32_e32 v63, 0, v63
	v_add_f32_e32 v66, 0, v109
	v_mul_f32_e32 v85, v70, v88
	s_waitcnt vmcnt(10)
	v_fma_f32 v64, v67, v98, -v64
	v_fmac_f32_e32 v111, v68, v98
	v_add_f32_e32 v63, v63, v65
	v_add_f32_e32 v65, v66, v110
	;; [unrolled: 6-line block ×7, first 2 shown]
	v_mul_f32_e32 v67, v82, v94
	s_waitcnt vmcnt(4)
	v_fma_f32 v65, v79, v104, -v65
	v_mul_f32_e32 v118, v81, v94
	v_add_f32_e32 v63, v63, v66
	v_fmac_f32_e32 v117, v80, v104
	v_add_f32_e32 v64, v64, v116
	s_waitcnt lgkmcnt(0)
	v_mul_f32_e32 v66, v84, v95
	s_waitcnt vmcnt(3)
	v_fma_f32 v67, v81, v105, -v67
	v_add_f32_e32 v63, v63, v65
	v_mul_f32_e32 v119, v83, v95
	v_fmac_f32_e32 v118, v82, v105
	v_add_f32_e32 v64, v64, v117
	s_waitcnt vmcnt(2)
	v_fma_f32 v65, v83, v106, -v66
	v_add_f32_e32 v63, v63, v67
	v_fmac_f32_e32 v119, v84, v106
	v_add_f32_e32 v64, v64, v118
	v_add_f32_e32 v63, v63, v65
	;; [unrolled: 1-line block ×3, first 2 shown]
	s_waitcnt vmcnt(1)
	v_sub_f32_e32 v63, v107, v63
	s_waitcnt vmcnt(0)
	v_sub_f32_e32 v64, v108, v64
	buffer_store_dword v63, off, s[0:3], 0 offset:144
	buffer_store_dword v64, off, s[0:3], 0 offset:148
	v_cmpx_lt_u32_e32 17, v0
	s_cbranch_execz .LBB93_159
; %bb.158:
	s_clause 0x1
	buffer_load_dword v63, off, s[0:3], 0 offset:136
	buffer_load_dword v64, off, s[0:3], 0 offset:140
	buffer_store_dword v62, off, s[0:3], 0 offset:136
	buffer_store_dword v62, off, s[0:3], 0 offset:140
	s_waitcnt vmcnt(0)
	ds_write_b64 v61, v[63:64]
.LBB93_159:
	s_or_b32 exec_lo, exec_lo, s4
	s_waitcnt lgkmcnt(0)
	s_waitcnt_vscnt null, 0x0
	s_barrier
	buffer_gl0_inv
	s_clause 0x19
	buffer_load_dword v87, off, s[0:3], 0 offset:148
	buffer_load_dword v88, off, s[0:3], 0 offset:156
	;; [unrolled: 1-line block ×26, first 2 shown]
	ds_read_b128 v[63:66], v62 offset:384
	ds_read_b128 v[67:70], v62 offset:400
	;; [unrolled: 1-line block ×6, first 2 shown]
	s_mov_b32 s4, exec_lo
	s_waitcnt vmcnt(25) lgkmcnt(5)
	v_mul_f32_e32 v62, v63, v87
	v_mul_f32_e32 v87, v64, v87
	s_waitcnt vmcnt(24)
	v_mul_f32_e32 v113, v65, v88
	v_mul_f32_e32 v88, v66, v88
	s_waitcnt vmcnt(23) lgkmcnt(4)
	v_mul_f32_e32 v114, v67, v89
	s_waitcnt vmcnt(22)
	v_mul_f32_e32 v115, v69, v90
	s_waitcnt vmcnt(21) lgkmcnt(3)
	v_mul_f32_e32 v116, v71, v91
	s_waitcnt vmcnt(20)
	;; [unrolled: 4-line block ×4, first 2 shown]
	v_mul_f32_e32 v121, v81, v96
	s_waitcnt vmcnt(13)
	v_fma_f32 v63, v63, v99, -v87
	v_fmac_f32_e32 v62, v64, v99
	v_mul_f32_e32 v64, v68, v89
	s_waitcnt vmcnt(12)
	v_fma_f32 v65, v65, v100, -v88
	v_fmac_f32_e32 v113, v66, v100
	v_add_f32_e32 v63, 0, v63
	v_add_f32_e32 v62, 0, v62
	v_mul_f32_e32 v66, v70, v90
	s_waitcnt vmcnt(11)
	v_fma_f32 v64, v67, v101, -v64
	v_fmac_f32_e32 v114, v68, v101
	v_add_f32_e32 v63, v63, v65
	v_add_f32_e32 v62, v62, v113
	;; [unrolled: 6-line block ×8, first 2 shown]
	s_waitcnt lgkmcnt(0)
	v_mul_f32_e32 v65, v84, v97
	s_waitcnt vmcnt(4)
	v_fma_f32 v66, v81, v108, -v66
	v_mul_f32_e32 v122, v83, v97
	v_add_f32_e32 v63, v63, v64
	v_fmac_f32_e32 v121, v82, v108
	v_add_f32_e32 v62, v62, v120
	v_mul_f32_e32 v64, v86, v98
	s_waitcnt vmcnt(3)
	v_fma_f32 v65, v83, v109, -v65
	v_add_f32_e32 v63, v63, v66
	v_mul_f32_e32 v123, v85, v98
	v_fmac_f32_e32 v122, v84, v109
	v_add_f32_e32 v62, v62, v121
	s_waitcnt vmcnt(2)
	v_fma_f32 v64, v85, v110, -v64
	v_add_f32_e32 v63, v63, v65
	v_fmac_f32_e32 v123, v86, v110
	v_add_f32_e32 v62, v62, v122
	v_add_f32_e32 v63, v63, v64
	;; [unrolled: 1-line block ×3, first 2 shown]
	s_waitcnt vmcnt(1)
	v_sub_f32_e32 v63, v111, v63
	s_waitcnt vmcnt(0)
	v_sub_f32_e32 v62, v112, v62
	buffer_store_dword v63, off, s[0:3], 0 offset:136
	buffer_store_dword v62, off, s[0:3], 0 offset:140
	v_cmpx_lt_u32_e32 16, v0
	s_cbranch_execz .LBB93_161
; %bb.160:
	s_clause 0x1
	buffer_load_dword v62, off, s[0:3], 0 offset:128
	buffer_load_dword v63, off, s[0:3], 0 offset:132
	v_mov_b32_e32 v64, 0
	buffer_store_dword v64, off, s[0:3], 0 offset:128
	buffer_store_dword v64, off, s[0:3], 0 offset:132
	s_waitcnt vmcnt(0)
	ds_write_b64 v61, v[62:63]
.LBB93_161:
	s_or_b32 exec_lo, exec_lo, s4
	s_waitcnt lgkmcnt(0)
	s_waitcnt_vscnt null, 0x0
	s_barrier
	buffer_gl0_inv
	s_clause 0x1b
	buffer_load_dword v89, off, s[0:3], 0 offset:140
	buffer_load_dword v90, off, s[0:3], 0 offset:148
	;; [unrolled: 1-line block ×28, first 2 shown]
	v_mov_b32_e32 v62, 0
	ds_read2_b64 v[63:66], v62 offset0:47 offset1:48
	ds_read2_b64 v[67:70], v62 offset0:49 offset1:50
	;; [unrolled: 1-line block ×6, first 2 shown]
	ds_read_b64 v[87:88], v62 offset:472
	s_mov_b32 s4, exec_lo
	s_waitcnt vmcnt(27) lgkmcnt(6)
	v_mul_f32_e32 v117, v63, v89
	v_mul_f32_e32 v89, v64, v89
	s_waitcnt vmcnt(26)
	v_mul_f32_e32 v118, v65, v90
	v_mul_f32_e32 v90, v66, v90
	s_waitcnt vmcnt(25) lgkmcnt(5)
	v_mul_f32_e32 v119, v67, v91
	s_waitcnt vmcnt(24)
	v_mul_f32_e32 v120, v69, v92
	s_waitcnt vmcnt(23) lgkmcnt(4)
	v_mul_f32_e32 v121, v71, v93
	s_waitcnt vmcnt(22)
	v_mul_f32_e32 v122, v73, v94
	s_waitcnt vmcnt(21) lgkmcnt(3)
	v_mul_f32_e32 v123, v75, v95
	s_waitcnt vmcnt(20)
	v_mul_f32_e32 v124, v77, v96
	s_waitcnt vmcnt(19) lgkmcnt(2)
	v_mul_f32_e32 v125, v79, v97
	s_waitcnt vmcnt(18)
	v_mul_f32_e32 v126, v81, v98
	s_waitcnt vmcnt(17) lgkmcnt(1)
	v_mul_f32_e32 v127, v83, v99
	s_waitcnt vmcnt(14)
	v_fma_f32 v63, v63, v102, -v89
	v_fmac_f32_e32 v117, v64, v102
	v_mul_f32_e32 v64, v68, v91
	s_waitcnt vmcnt(13)
	v_fma_f32 v65, v65, v103, -v90
	v_fmac_f32_e32 v118, v66, v103
	v_add_f32_e32 v63, 0, v63
	v_add_f32_e32 v66, 0, v117
	v_mul_f32_e32 v89, v70, v92
	s_waitcnt vmcnt(12)
	v_fma_f32 v64, v67, v104, -v64
	v_fmac_f32_e32 v119, v68, v104
	v_add_f32_e32 v63, v63, v65
	v_add_f32_e32 v65, v66, v118
	;; [unrolled: 6-line block ×9, first 2 shown]
	v_mul_f32_e32 v65, v86, v100
	s_waitcnt vmcnt(4)
	v_fma_f32 v66, v83, v112, -v66
	v_mul_f32_e32 v128, v85, v100
	v_add_f32_e32 v63, v63, v67
	v_fmac_f32_e32 v127, v84, v112
	v_add_f32_e32 v64, v64, v126
	s_waitcnt lgkmcnt(0)
	v_mul_f32_e32 v67, v88, v101
	s_waitcnt vmcnt(3)
	v_fma_f32 v65, v85, v113, -v65
	v_add_f32_e32 v63, v63, v66
	v_mul_f32_e32 v129, v87, v101
	v_fmac_f32_e32 v128, v86, v113
	v_add_f32_e32 v64, v64, v127
	s_waitcnt vmcnt(2)
	v_fma_f32 v66, v87, v114, -v67
	v_add_f32_e32 v63, v63, v65
	v_fmac_f32_e32 v129, v88, v114
	v_add_f32_e32 v64, v64, v128
	v_add_f32_e32 v63, v63, v66
	;; [unrolled: 1-line block ×3, first 2 shown]
	s_waitcnt vmcnt(1)
	v_sub_f32_e32 v63, v115, v63
	s_waitcnt vmcnt(0)
	v_sub_f32_e32 v64, v116, v64
	buffer_store_dword v63, off, s[0:3], 0 offset:128
	buffer_store_dword v64, off, s[0:3], 0 offset:132
	v_cmpx_lt_u32_e32 15, v0
	s_cbranch_execz .LBB93_163
; %bb.162:
	s_clause 0x1
	buffer_load_dword v63, off, s[0:3], 0 offset:120
	buffer_load_dword v64, off, s[0:3], 0 offset:124
	buffer_store_dword v62, off, s[0:3], 0 offset:120
	buffer_store_dword v62, off, s[0:3], 0 offset:124
	s_waitcnt vmcnt(0)
	ds_write_b64 v61, v[63:64]
.LBB93_163:
	s_or_b32 exec_lo, exec_lo, s4
	s_waitcnt lgkmcnt(0)
	s_waitcnt_vscnt null, 0x0
	s_barrier
	buffer_gl0_inv
	s_clause 0x1d
	buffer_load_dword v91, off, s[0:3], 0 offset:132
	buffer_load_dword v92, off, s[0:3], 0 offset:140
	;; [unrolled: 1-line block ×30, first 2 shown]
	ds_read_b128 v[63:66], v62 offset:368
	ds_read_b128 v[67:70], v62 offset:384
	;; [unrolled: 1-line block ×7, first 2 shown]
	s_mov_b32 s4, exec_lo
	s_waitcnt vmcnt(29) lgkmcnt(6)
	v_mul_f32_e32 v62, v63, v91
	v_mul_f32_e32 v91, v64, v91
	s_waitcnt vmcnt(28)
	v_mul_f32_e32 v121, v65, v92
	v_mul_f32_e32 v92, v66, v92
	s_waitcnt vmcnt(27) lgkmcnt(5)
	v_mul_f32_e32 v122, v67, v93
	s_waitcnt vmcnt(26)
	v_mul_f32_e32 v123, v69, v94
	s_waitcnt vmcnt(25) lgkmcnt(4)
	v_mul_f32_e32 v124, v71, v95
	s_waitcnt vmcnt(24)
	;; [unrolled: 4-line block ×5, first 2 shown]
	v_mul_f32_e32 v131, v85, v102
	s_waitcnt vmcnt(15)
	v_fma_f32 v63, v63, v105, -v91
	v_fmac_f32_e32 v62, v64, v105
	v_mul_f32_e32 v64, v68, v93
	s_waitcnt vmcnt(14)
	v_fma_f32 v65, v65, v106, -v92
	v_fmac_f32_e32 v121, v66, v106
	v_add_f32_e32 v63, 0, v63
	v_add_f32_e32 v62, 0, v62
	v_mul_f32_e32 v66, v70, v94
	s_waitcnt vmcnt(13)
	v_fma_f32 v64, v67, v107, -v64
	v_fmac_f32_e32 v122, v68, v107
	v_add_f32_e32 v63, v63, v65
	v_add_f32_e32 v62, v62, v121
	;; [unrolled: 6-line block ×10, first 2 shown]
	s_waitcnt lgkmcnt(0)
	v_mul_f32_e32 v66, v88, v103
	s_waitcnt vmcnt(4)
	v_fma_f32 v64, v85, v116, -v64
	v_mul_f32_e32 v132, v87, v103
	v_add_f32_e32 v63, v63, v65
	v_fmac_f32_e32 v131, v86, v116
	v_add_f32_e32 v62, v62, v130
	v_mul_f32_e32 v65, v90, v104
	s_waitcnt vmcnt(3)
	v_fma_f32 v66, v87, v117, -v66
	v_add_f32_e32 v63, v63, v64
	v_mul_f32_e32 v133, v89, v104
	v_fmac_f32_e32 v132, v88, v117
	v_add_f32_e32 v62, v62, v131
	s_waitcnt vmcnt(2)
	v_fma_f32 v64, v89, v118, -v65
	v_add_f32_e32 v63, v63, v66
	v_fmac_f32_e32 v133, v90, v118
	v_add_f32_e32 v62, v62, v132
	v_add_f32_e32 v63, v63, v64
	;; [unrolled: 1-line block ×3, first 2 shown]
	s_waitcnt vmcnt(1)
	v_sub_f32_e32 v63, v119, v63
	s_waitcnt vmcnt(0)
	v_sub_f32_e32 v62, v120, v62
	buffer_store_dword v63, off, s[0:3], 0 offset:120
	buffer_store_dword v62, off, s[0:3], 0 offset:124
	v_cmpx_lt_u32_e32 14, v0
	s_cbranch_execz .LBB93_165
; %bb.164:
	s_clause 0x1
	buffer_load_dword v62, off, s[0:3], 0 offset:112
	buffer_load_dword v63, off, s[0:3], 0 offset:116
	v_mov_b32_e32 v64, 0
	buffer_store_dword v64, off, s[0:3], 0 offset:112
	buffer_store_dword v64, off, s[0:3], 0 offset:116
	s_waitcnt vmcnt(0)
	ds_write_b64 v61, v[62:63]
.LBB93_165:
	s_or_b32 exec_lo, exec_lo, s4
	s_waitcnt lgkmcnt(0)
	s_waitcnt_vscnt null, 0x0
	s_barrier
	buffer_gl0_inv
	s_clause 0x1f
	buffer_load_dword v93, off, s[0:3], 0 offset:124
	buffer_load_dword v94, off, s[0:3], 0 offset:132
	;; [unrolled: 1-line block ×32, first 2 shown]
	v_mov_b32_e32 v62, 0
	ds_read2_b64 v[63:66], v62 offset0:45 offset1:46
	ds_read2_b64 v[67:70], v62 offset0:47 offset1:48
	;; [unrolled: 1-line block ×7, first 2 shown]
	ds_read_b64 v[91:92], v62 offset:472
	s_mov_b32 s4, exec_lo
	s_waitcnt vmcnt(31) lgkmcnt(7)
	v_mul_f32_e32 v125, v63, v93
	v_mul_f32_e32 v93, v64, v93
	s_waitcnt vmcnt(30)
	v_mul_f32_e32 v126, v65, v94
	v_mul_f32_e32 v94, v66, v94
	s_waitcnt vmcnt(29) lgkmcnt(6)
	v_mul_f32_e32 v127, v67, v95
	s_waitcnt vmcnt(28)
	v_mul_f32_e32 v128, v69, v96
	s_waitcnt vmcnt(27) lgkmcnt(5)
	v_mul_f32_e32 v129, v71, v97
	s_waitcnt vmcnt(26)
	v_mul_f32_e32 v130, v73, v98
	s_waitcnt vmcnt(25) lgkmcnt(4)
	v_mul_f32_e32 v131, v75, v99
	s_waitcnt vmcnt(24)
	v_mul_f32_e32 v132, v77, v100
	s_waitcnt vmcnt(23) lgkmcnt(3)
	v_mul_f32_e32 v133, v79, v101
	s_waitcnt vmcnt(22)
	v_mul_f32_e32 v134, v81, v102
	s_waitcnt vmcnt(21) lgkmcnt(2)
	v_mul_f32_e32 v135, v83, v103
	s_waitcnt vmcnt(20)
	v_mul_f32_e32 v136, v85, v104
	s_waitcnt vmcnt(19) lgkmcnt(1)
	v_mul_f32_e32 v137, v87, v105
	s_waitcnt vmcnt(16)
	v_fma_f32 v63, v63, v108, -v93
	v_fmac_f32_e32 v125, v64, v108
	v_mul_f32_e32 v64, v68, v95
	s_waitcnt vmcnt(15)
	v_fma_f32 v65, v65, v109, -v94
	v_fmac_f32_e32 v126, v66, v109
	v_add_f32_e32 v63, 0, v63
	v_add_f32_e32 v66, 0, v125
	v_mul_f32_e32 v93, v70, v96
	s_waitcnt vmcnt(14)
	v_fma_f32 v64, v67, v110, -v64
	v_fmac_f32_e32 v127, v68, v110
	v_add_f32_e32 v63, v63, v65
	v_add_f32_e32 v65, v66, v126
	;; [unrolled: 6-line block ×11, first 2 shown]
	v_mul_f32_e32 v66, v90, v106
	s_waitcnt vmcnt(4)
	v_fma_f32 v67, v87, v120, -v67
	v_mul_f32_e32 v138, v89, v106
	v_add_f32_e32 v63, v63, v65
	v_fmac_f32_e32 v137, v88, v120
	v_add_f32_e32 v64, v64, v136
	s_waitcnt lgkmcnt(0)
	v_mul_f32_e32 v65, v92, v107
	s_waitcnt vmcnt(3)
	v_fma_f32 v66, v89, v121, -v66
	v_add_f32_e32 v63, v63, v67
	v_mul_f32_e32 v139, v91, v107
	v_fmac_f32_e32 v138, v90, v121
	v_add_f32_e32 v64, v64, v137
	s_waitcnt vmcnt(2)
	v_fma_f32 v65, v91, v122, -v65
	v_add_f32_e32 v63, v63, v66
	v_fmac_f32_e32 v139, v92, v122
	v_add_f32_e32 v64, v64, v138
	v_add_f32_e32 v63, v63, v65
	;; [unrolled: 1-line block ×3, first 2 shown]
	s_waitcnt vmcnt(1)
	v_sub_f32_e32 v63, v123, v63
	s_waitcnt vmcnt(0)
	v_sub_f32_e32 v64, v124, v64
	buffer_store_dword v63, off, s[0:3], 0 offset:112
	buffer_store_dword v64, off, s[0:3], 0 offset:116
	v_cmpx_lt_u32_e32 13, v0
	s_cbranch_execz .LBB93_167
; %bb.166:
	s_clause 0x1
	buffer_load_dword v63, off, s[0:3], 0 offset:104
	buffer_load_dword v64, off, s[0:3], 0 offset:108
	buffer_store_dword v62, off, s[0:3], 0 offset:104
	buffer_store_dword v62, off, s[0:3], 0 offset:108
	s_waitcnt vmcnt(0)
	ds_write_b64 v61, v[63:64]
.LBB93_167:
	s_or_b32 exec_lo, exec_lo, s4
	s_waitcnt lgkmcnt(0)
	s_waitcnt_vscnt null, 0x0
	s_barrier
	buffer_gl0_inv
	s_clause 0x21
	buffer_load_dword v95, off, s[0:3], 0 offset:116
	buffer_load_dword v96, off, s[0:3], 0 offset:124
	;; [unrolled: 1-line block ×34, first 2 shown]
	ds_read_b128 v[63:66], v62 offset:352
	ds_read_b128 v[67:70], v62 offset:368
	ds_read_b128 v[71:74], v62 offset:384
	ds_read_b128 v[75:78], v62 offset:400
	ds_read_b128 v[79:82], v62 offset:416
	ds_read_b128 v[83:86], v62 offset:432
	ds_read_b128 v[87:90], v62 offset:448
	ds_read_b128 v[91:94], v62 offset:464
	s_mov_b32 s4, exec_lo
	s_waitcnt vmcnt(33) lgkmcnt(7)
	v_mul_f32_e32 v62, v63, v95
	v_mul_f32_e32 v95, v64, v95
	s_waitcnt vmcnt(32)
	v_mul_f32_e32 v129, v65, v96
	v_mul_f32_e32 v96, v66, v96
	s_waitcnt vmcnt(31) lgkmcnt(6)
	v_mul_f32_e32 v130, v67, v97
	s_waitcnt vmcnt(30)
	v_mul_f32_e32 v131, v69, v98
	s_waitcnt vmcnt(29) lgkmcnt(5)
	v_mul_f32_e32 v132, v71, v99
	s_waitcnt vmcnt(28)
	;; [unrolled: 4-line block ×6, first 2 shown]
	v_mul_f32_e32 v141, v89, v108
	s_waitcnt vmcnt(17)
	v_fma_f32 v63, v63, v111, -v95
	v_fmac_f32_e32 v62, v64, v111
	v_mul_f32_e32 v64, v68, v97
	s_waitcnt vmcnt(16)
	v_fma_f32 v65, v65, v112, -v96
	v_fmac_f32_e32 v129, v66, v112
	v_add_f32_e32 v63, 0, v63
	v_add_f32_e32 v62, 0, v62
	v_mul_f32_e32 v66, v70, v98
	s_waitcnt vmcnt(15)
	v_fma_f32 v64, v67, v113, -v64
	v_fmac_f32_e32 v130, v68, v113
	v_add_f32_e32 v63, v63, v65
	v_add_f32_e32 v62, v62, v129
	;; [unrolled: 6-line block ×12, first 2 shown]
	s_waitcnt lgkmcnt(0)
	v_mul_f32_e32 v64, v92, v109
	s_waitcnt vmcnt(4)
	v_fma_f32 v65, v89, v124, -v65
	v_mul_f32_e32 v142, v91, v109
	v_add_f32_e32 v63, v63, v66
	v_fmac_f32_e32 v141, v90, v124
	v_add_f32_e32 v62, v62, v140
	v_mul_f32_e32 v66, v94, v110
	s_waitcnt vmcnt(3)
	v_fma_f32 v64, v91, v125, -v64
	v_add_f32_e32 v63, v63, v65
	v_mul_f32_e32 v143, v93, v110
	v_fmac_f32_e32 v142, v92, v125
	v_add_f32_e32 v62, v62, v141
	s_waitcnt vmcnt(2)
	v_fma_f32 v65, v93, v126, -v66
	v_add_f32_e32 v63, v63, v64
	v_fmac_f32_e32 v143, v94, v126
	v_add_f32_e32 v62, v62, v142
	v_add_f32_e32 v63, v63, v65
	;; [unrolled: 1-line block ×3, first 2 shown]
	s_waitcnt vmcnt(1)
	v_sub_f32_e32 v63, v127, v63
	s_waitcnt vmcnt(0)
	v_sub_f32_e32 v62, v128, v62
	buffer_store_dword v63, off, s[0:3], 0 offset:104
	buffer_store_dword v62, off, s[0:3], 0 offset:108
	v_cmpx_lt_u32_e32 12, v0
	s_cbranch_execz .LBB93_169
; %bb.168:
	s_clause 0x1
	buffer_load_dword v62, off, s[0:3], 0 offset:96
	buffer_load_dword v63, off, s[0:3], 0 offset:100
	v_mov_b32_e32 v64, 0
	buffer_store_dword v64, off, s[0:3], 0 offset:96
	buffer_store_dword v64, off, s[0:3], 0 offset:100
	s_waitcnt vmcnt(0)
	ds_write_b64 v61, v[62:63]
.LBB93_169:
	s_or_b32 exec_lo, exec_lo, s4
	s_waitcnt lgkmcnt(0)
	s_waitcnt_vscnt null, 0x0
	s_barrier
	buffer_gl0_inv
	s_clause 0x23
	buffer_load_dword v97, off, s[0:3], 0 offset:108
	buffer_load_dword v98, off, s[0:3], 0 offset:116
	;; [unrolled: 1-line block ×36, first 2 shown]
	v_mov_b32_e32 v62, 0
	ds_read2_b64 v[63:66], v62 offset0:43 offset1:44
	ds_read2_b64 v[67:70], v62 offset0:45 offset1:46
	;; [unrolled: 1-line block ×8, first 2 shown]
	ds_read_b64 v[95:96], v62 offset:472
	s_mov_b32 s4, exec_lo
	s_waitcnt vmcnt(35) lgkmcnt(8)
	v_mul_f32_e32 v133, v63, v97
	v_mul_f32_e32 v97, v64, v97
	s_waitcnt vmcnt(34)
	v_mul_f32_e32 v134, v65, v98
	v_mul_f32_e32 v98, v66, v98
	s_waitcnt vmcnt(33) lgkmcnt(7)
	v_mul_f32_e32 v135, v67, v99
	s_waitcnt vmcnt(32)
	v_mul_f32_e32 v136, v69, v100
	s_waitcnt vmcnt(31) lgkmcnt(6)
	v_mul_f32_e32 v137, v71, v101
	s_waitcnt vmcnt(30)
	;; [unrolled: 4-line block ×7, first 2 shown]
	v_fma_f32 v63, v63, v114, -v97
	v_fmac_f32_e32 v133, v64, v114
	v_mul_f32_e32 v64, v68, v99
	s_waitcnt vmcnt(17)
	v_fma_f32 v65, v65, v115, -v98
	v_fmac_f32_e32 v134, v66, v115
	v_add_f32_e32 v63, 0, v63
	v_add_f32_e32 v66, 0, v133
	v_mul_f32_e32 v97, v70, v100
	s_waitcnt vmcnt(16)
	v_fma_f32 v64, v67, v116, -v64
	v_fmac_f32_e32 v135, v68, v116
	v_add_f32_e32 v63, v63, v65
	v_add_f32_e32 v65, v66, v134
	;; [unrolled: 6-line block ×13, first 2 shown]
	v_mul_f32_e32 v67, v94, v112
	s_waitcnt vmcnt(4)
	v_fma_f32 v65, v91, v128, -v65
	v_mul_f32_e32 v148, v93, v112
	v_add_f32_e32 v63, v63, v66
	v_fmac_f32_e32 v147, v92, v128
	v_add_f32_e32 v64, v64, v146
	s_waitcnt lgkmcnt(0)
	v_mul_f32_e32 v66, v96, v113
	s_waitcnt vmcnt(3)
	v_fma_f32 v67, v93, v129, -v67
	v_add_f32_e32 v63, v63, v65
	v_mul_f32_e32 v149, v95, v113
	v_fmac_f32_e32 v148, v94, v129
	v_add_f32_e32 v64, v64, v147
	s_waitcnt vmcnt(2)
	v_fma_f32 v65, v95, v130, -v66
	v_add_f32_e32 v63, v63, v67
	v_fmac_f32_e32 v149, v96, v130
	v_add_f32_e32 v64, v64, v148
	v_add_f32_e32 v63, v63, v65
	;; [unrolled: 1-line block ×3, first 2 shown]
	s_waitcnt vmcnt(1)
	v_sub_f32_e32 v63, v131, v63
	s_waitcnt vmcnt(0)
	v_sub_f32_e32 v64, v132, v64
	buffer_store_dword v63, off, s[0:3], 0 offset:96
	buffer_store_dword v64, off, s[0:3], 0 offset:100
	v_cmpx_lt_u32_e32 11, v0
	s_cbranch_execz .LBB93_171
; %bb.170:
	s_clause 0x1
	buffer_load_dword v63, off, s[0:3], 0 offset:88
	buffer_load_dword v64, off, s[0:3], 0 offset:92
	buffer_store_dword v62, off, s[0:3], 0 offset:88
	buffer_store_dword v62, off, s[0:3], 0 offset:92
	s_waitcnt vmcnt(0)
	ds_write_b64 v61, v[63:64]
.LBB93_171:
	s_or_b32 exec_lo, exec_lo, s4
	s_waitcnt lgkmcnt(0)
	s_waitcnt_vscnt null, 0x0
	s_barrier
	buffer_gl0_inv
	s_clause 0x25
	buffer_load_dword v99, off, s[0:3], 0 offset:100
	buffer_load_dword v100, off, s[0:3], 0 offset:108
	;; [unrolled: 1-line block ×38, first 2 shown]
	ds_read_b128 v[63:66], v62 offset:336
	ds_read_b128 v[67:70], v62 offset:352
	;; [unrolled: 1-line block ×9, first 2 shown]
	s_mov_b32 s4, exec_lo
	s_waitcnt vmcnt(37) lgkmcnt(8)
	v_mul_f32_e32 v62, v63, v99
	v_mul_f32_e32 v99, v64, v99
	s_waitcnt vmcnt(36)
	v_mul_f32_e32 v137, v65, v100
	v_mul_f32_e32 v100, v66, v100
	s_waitcnt vmcnt(35) lgkmcnt(7)
	v_mul_f32_e32 v138, v67, v101
	s_waitcnt vmcnt(34)
	v_mul_f32_e32 v139, v69, v102
	s_waitcnt vmcnt(33) lgkmcnt(6)
	v_mul_f32_e32 v140, v71, v103
	s_waitcnt vmcnt(32)
	;; [unrolled: 4-line block ×7, first 2 shown]
	v_mul_f32_e32 v151, v93, v114
	s_waitcnt vmcnt(19)
	v_fma_f32 v63, v63, v117, -v99
	v_fmac_f32_e32 v62, v64, v117
	v_mul_f32_e32 v64, v68, v101
	s_waitcnt vmcnt(18)
	v_fma_f32 v65, v65, v118, -v100
	v_fmac_f32_e32 v137, v66, v118
	v_add_f32_e32 v63, 0, v63
	v_add_f32_e32 v62, 0, v62
	v_mul_f32_e32 v66, v70, v102
	s_waitcnt vmcnt(17)
	v_fma_f32 v64, v67, v119, -v64
	v_fmac_f32_e32 v138, v68, v119
	v_add_f32_e32 v63, v63, v65
	v_add_f32_e32 v62, v62, v137
	v_mul_f32_e32 v65, v72, v103
	s_waitcnt vmcnt(16)
	v_fma_f32 v66, v69, v120, -v66
	v_fmac_f32_e32 v139, v70, v120
	v_add_f32_e32 v63, v63, v64
	v_add_f32_e32 v62, v62, v138
	v_mul_f32_e32 v64, v74, v104
	s_waitcnt vmcnt(15)
	v_fma_f32 v65, v71, v121, -v65
	v_fmac_f32_e32 v140, v72, v121
	v_add_f32_e32 v63, v63, v66
	v_add_f32_e32 v62, v62, v139
	v_mul_f32_e32 v66, v76, v105
	s_waitcnt vmcnt(14)
	v_fma_f32 v64, v73, v122, -v64
	v_fmac_f32_e32 v141, v74, v122
	v_add_f32_e32 v63, v63, v65
	v_add_f32_e32 v62, v62, v140
	v_mul_f32_e32 v65, v78, v106
	s_waitcnt vmcnt(13)
	v_fma_f32 v66, v75, v123, -v66
	v_fmac_f32_e32 v142, v76, v123
	v_add_f32_e32 v63, v63, v64
	v_add_f32_e32 v62, v62, v141
	v_mul_f32_e32 v64, v80, v107
	s_waitcnt vmcnt(12)
	v_fma_f32 v65, v77, v124, -v65
	v_fmac_f32_e32 v143, v78, v124
	v_add_f32_e32 v63, v63, v66
	v_add_f32_e32 v62, v62, v142
	v_mul_f32_e32 v66, v82, v108
	s_waitcnt vmcnt(11)
	v_fma_f32 v64, v79, v125, -v64
	v_fmac_f32_e32 v144, v80, v125
	v_add_f32_e32 v63, v63, v65
	v_add_f32_e32 v62, v62, v143
	v_mul_f32_e32 v65, v84, v109
	s_waitcnt vmcnt(10)
	v_fma_f32 v66, v81, v126, -v66
	v_fmac_f32_e32 v145, v82, v126
	v_add_f32_e32 v63, v63, v64
	v_add_f32_e32 v62, v62, v144
	v_mul_f32_e32 v64, v86, v110
	s_waitcnt vmcnt(9)
	v_fma_f32 v65, v83, v127, -v65
	v_fmac_f32_e32 v146, v84, v127
	v_add_f32_e32 v63, v63, v66
	v_add_f32_e32 v62, v62, v145
	v_mul_f32_e32 v66, v88, v111
	s_waitcnt vmcnt(8)
	v_fma_f32 v64, v85, v128, -v64
	v_fmac_f32_e32 v147, v86, v128
	v_add_f32_e32 v63, v63, v65
	v_add_f32_e32 v62, v62, v146
	v_mul_f32_e32 v65, v90, v112
	s_waitcnt vmcnt(7)
	v_fma_f32 v66, v87, v129, -v66
	v_fmac_f32_e32 v148, v88, v129
	v_add_f32_e32 v63, v63, v64
	v_add_f32_e32 v62, v62, v147
	v_mul_f32_e32 v64, v92, v113
	s_waitcnt vmcnt(6)
	v_fma_f32 v65, v89, v130, -v65
	v_fmac_f32_e32 v149, v90, v130
	v_add_f32_e32 v63, v63, v66
	v_add_f32_e32 v62, v62, v148
	v_mul_f32_e32 v66, v94, v114
	s_waitcnt vmcnt(5)
	v_fma_f32 v64, v91, v131, -v64
	v_fmac_f32_e32 v150, v92, v131
	v_add_f32_e32 v63, v63, v65
	v_add_f32_e32 v62, v62, v149
	s_waitcnt lgkmcnt(0)
	v_mul_f32_e32 v65, v96, v115
	s_waitcnt vmcnt(4)
	v_fma_f32 v66, v93, v132, -v66
	v_mul_f32_e32 v152, v95, v115
	v_add_f32_e32 v63, v63, v64
	v_fmac_f32_e32 v151, v94, v132
	v_add_f32_e32 v62, v62, v150
	v_mul_f32_e32 v64, v98, v116
	s_waitcnt vmcnt(3)
	v_fma_f32 v65, v95, v133, -v65
	v_add_f32_e32 v63, v63, v66
	v_mul_f32_e32 v153, v97, v116
	v_fmac_f32_e32 v152, v96, v133
	v_add_f32_e32 v62, v62, v151
	s_waitcnt vmcnt(2)
	v_fma_f32 v64, v97, v134, -v64
	v_add_f32_e32 v63, v63, v65
	v_fmac_f32_e32 v153, v98, v134
	v_add_f32_e32 v62, v62, v152
	v_add_f32_e32 v63, v63, v64
	;; [unrolled: 1-line block ×3, first 2 shown]
	s_waitcnt vmcnt(1)
	v_sub_f32_e32 v63, v135, v63
	s_waitcnt vmcnt(0)
	v_sub_f32_e32 v62, v136, v62
	buffer_store_dword v63, off, s[0:3], 0 offset:88
	buffer_store_dword v62, off, s[0:3], 0 offset:92
	v_cmpx_lt_u32_e32 10, v0
	s_cbranch_execz .LBB93_173
; %bb.172:
	s_clause 0x1
	buffer_load_dword v62, off, s[0:3], 0 offset:80
	buffer_load_dword v63, off, s[0:3], 0 offset:84
	v_mov_b32_e32 v64, 0
	buffer_store_dword v64, off, s[0:3], 0 offset:80
	buffer_store_dword v64, off, s[0:3], 0 offset:84
	s_waitcnt vmcnt(0)
	ds_write_b64 v61, v[62:63]
.LBB93_173:
	s_or_b32 exec_lo, exec_lo, s4
	s_waitcnt lgkmcnt(0)
	s_waitcnt_vscnt null, 0x0
	s_barrier
	buffer_gl0_inv
	s_clause 0x27
	buffer_load_dword v101, off, s[0:3], 0 offset:92
	buffer_load_dword v102, off, s[0:3], 0 offset:100
	;; [unrolled: 1-line block ×40, first 2 shown]
	v_mov_b32_e32 v62, 0
	ds_read2_b64 v[63:66], v62 offset0:41 offset1:42
	ds_read2_b64 v[67:70], v62 offset0:43 offset1:44
	ds_read2_b64 v[71:74], v62 offset0:45 offset1:46
	ds_read2_b64 v[75:78], v62 offset0:47 offset1:48
	ds_read2_b64 v[79:82], v62 offset0:49 offset1:50
	ds_read2_b64 v[83:86], v62 offset0:51 offset1:52
	ds_read2_b64 v[87:90], v62 offset0:53 offset1:54
	ds_read2_b64 v[91:94], v62 offset0:55 offset1:56
	ds_read2_b64 v[95:98], v62 offset0:57 offset1:58
	ds_read_b64 v[99:100], v62 offset:472
	s_mov_b32 s4, exec_lo
	s_waitcnt vmcnt(39) lgkmcnt(9)
	v_mul_f32_e32 v141, v63, v101
	v_mul_f32_e32 v101, v64, v101
	s_waitcnt vmcnt(38)
	v_mul_f32_e32 v142, v65, v102
	v_mul_f32_e32 v102, v66, v102
	s_waitcnt vmcnt(37) lgkmcnt(8)
	v_mul_f32_e32 v143, v67, v103
	s_waitcnt vmcnt(36)
	v_mul_f32_e32 v144, v69, v104
	s_waitcnt vmcnt(35) lgkmcnt(7)
	v_mul_f32_e32 v145, v71, v105
	s_waitcnt vmcnt(34)
	;; [unrolled: 4-line block ×8, first 2 shown]
	v_fma_f32 v63, v63, v120, -v101
	v_fmac_f32_e32 v141, v64, v120
	v_mul_f32_e32 v64, v68, v103
	s_waitcnt vmcnt(19)
	v_fma_f32 v65, v65, v121, -v102
	v_fmac_f32_e32 v142, v66, v121
	v_add_f32_e32 v63, 0, v63
	v_add_f32_e32 v66, 0, v141
	v_mul_f32_e32 v101, v70, v104
	s_waitcnt vmcnt(18)
	v_fma_f32 v64, v67, v122, -v64
	v_fmac_f32_e32 v143, v68, v122
	v_add_f32_e32 v63, v63, v65
	v_add_f32_e32 v65, v66, v142
	;; [unrolled: 6-line block ×15, first 2 shown]
	v_mul_f32_e32 v65, v98, v118
	s_waitcnt vmcnt(4)
	v_fma_f32 v66, v95, v136, -v66
	v_mul_f32_e32 v158, v97, v118
	v_add_f32_e32 v63, v63, v67
	v_fmac_f32_e32 v157, v96, v136
	v_add_f32_e32 v64, v64, v156
	s_waitcnt lgkmcnt(0)
	v_mul_f32_e32 v67, v100, v119
	s_waitcnt vmcnt(3)
	v_fma_f32 v65, v97, v137, -v65
	v_add_f32_e32 v63, v63, v66
	v_mul_f32_e32 v159, v99, v119
	v_fmac_f32_e32 v158, v98, v137
	v_add_f32_e32 v64, v64, v157
	s_waitcnt vmcnt(2)
	v_fma_f32 v66, v99, v138, -v67
	v_add_f32_e32 v63, v63, v65
	v_fmac_f32_e32 v159, v100, v138
	v_add_f32_e32 v64, v64, v158
	v_add_f32_e32 v63, v63, v66
	;; [unrolled: 1-line block ×3, first 2 shown]
	s_waitcnt vmcnt(1)
	v_sub_f32_e32 v63, v139, v63
	s_waitcnt vmcnt(0)
	v_sub_f32_e32 v64, v140, v64
	buffer_store_dword v63, off, s[0:3], 0 offset:80
	buffer_store_dword v64, off, s[0:3], 0 offset:84
	v_cmpx_lt_u32_e32 9, v0
	s_cbranch_execz .LBB93_175
; %bb.174:
	s_clause 0x1
	buffer_load_dword v63, off, s[0:3], 0 offset:72
	buffer_load_dword v64, off, s[0:3], 0 offset:76
	buffer_store_dword v62, off, s[0:3], 0 offset:72
	buffer_store_dword v62, off, s[0:3], 0 offset:76
	s_waitcnt vmcnt(0)
	ds_write_b64 v61, v[63:64]
.LBB93_175:
	s_or_b32 exec_lo, exec_lo, s4
	s_waitcnt lgkmcnt(0)
	s_waitcnt_vscnt null, 0x0
	s_barrier
	buffer_gl0_inv
	s_clause 0x29
	buffer_load_dword v103, off, s[0:3], 0 offset:84
	buffer_load_dword v104, off, s[0:3], 0 offset:92
	;; [unrolled: 1-line block ×42, first 2 shown]
	ds_read_b128 v[63:66], v62 offset:320
	ds_read_b128 v[67:70], v62 offset:336
	;; [unrolled: 1-line block ×10, first 2 shown]
	s_mov_b32 s4, exec_lo
	s_waitcnt vmcnt(41) lgkmcnt(9)
	v_mul_f32_e32 v62, v63, v103
	v_mul_f32_e32 v103, v64, v103
	s_waitcnt vmcnt(40)
	v_mul_f32_e32 v145, v65, v104
	v_mul_f32_e32 v104, v66, v104
	s_waitcnt vmcnt(39) lgkmcnt(8)
	v_mul_f32_e32 v146, v67, v105
	s_waitcnt vmcnt(38)
	v_mul_f32_e32 v147, v69, v106
	s_waitcnt vmcnt(37) lgkmcnt(7)
	v_mul_f32_e32 v148, v71, v107
	s_waitcnt vmcnt(36)
	;; [unrolled: 4-line block ×8, first 2 shown]
	v_mul_f32_e32 v161, v97, v120
	s_waitcnt vmcnt(21)
	v_fma_f32 v63, v63, v123, -v103
	v_fmac_f32_e32 v62, v64, v123
	v_mul_f32_e32 v64, v68, v105
	s_waitcnt vmcnt(20)
	v_fma_f32 v65, v65, v124, -v104
	v_fmac_f32_e32 v145, v66, v124
	v_add_f32_e32 v63, 0, v63
	v_add_f32_e32 v62, 0, v62
	v_mul_f32_e32 v66, v70, v106
	s_waitcnt vmcnt(19)
	v_fma_f32 v64, v67, v125, -v64
	v_fmac_f32_e32 v146, v68, v125
	v_add_f32_e32 v63, v63, v65
	v_add_f32_e32 v62, v62, v145
	;; [unrolled: 6-line block ×16, first 2 shown]
	s_waitcnt lgkmcnt(0)
	v_mul_f32_e32 v66, v100, v121
	s_waitcnt vmcnt(4)
	v_fma_f32 v64, v97, v140, -v64
	v_mul_f32_e32 v162, v99, v121
	v_add_f32_e32 v63, v63, v65
	v_fmac_f32_e32 v161, v98, v140
	v_add_f32_e32 v62, v62, v160
	v_mul_f32_e32 v65, v102, v122
	s_waitcnt vmcnt(3)
	v_fma_f32 v66, v99, v141, -v66
	v_add_f32_e32 v63, v63, v64
	v_mul_f32_e32 v163, v101, v122
	v_fmac_f32_e32 v162, v100, v141
	v_add_f32_e32 v62, v62, v161
	s_waitcnt vmcnt(2)
	v_fma_f32 v64, v101, v142, -v65
	v_add_f32_e32 v63, v63, v66
	v_fmac_f32_e32 v163, v102, v142
	v_add_f32_e32 v62, v62, v162
	v_add_f32_e32 v63, v63, v64
	;; [unrolled: 1-line block ×3, first 2 shown]
	s_waitcnt vmcnt(1)
	v_sub_f32_e32 v63, v143, v63
	s_waitcnt vmcnt(0)
	v_sub_f32_e32 v62, v144, v62
	buffer_store_dword v63, off, s[0:3], 0 offset:72
	buffer_store_dword v62, off, s[0:3], 0 offset:76
	v_cmpx_lt_u32_e32 8, v0
	s_cbranch_execz .LBB93_177
; %bb.176:
	s_clause 0x1
	buffer_load_dword v62, off, s[0:3], 0 offset:64
	buffer_load_dword v63, off, s[0:3], 0 offset:68
	v_mov_b32_e32 v64, 0
	buffer_store_dword v64, off, s[0:3], 0 offset:64
	buffer_store_dword v64, off, s[0:3], 0 offset:68
	s_waitcnt vmcnt(0)
	ds_write_b64 v61, v[62:63]
.LBB93_177:
	s_or_b32 exec_lo, exec_lo, s4
	s_waitcnt lgkmcnt(0)
	s_waitcnt_vscnt null, 0x0
	s_barrier
	buffer_gl0_inv
	s_clause 0x2b
	buffer_load_dword v105, off, s[0:3], 0 offset:76
	buffer_load_dword v106, off, s[0:3], 0 offset:84
	;; [unrolled: 1-line block ×44, first 2 shown]
	v_mov_b32_e32 v62, 0
	ds_read2_b64 v[63:66], v62 offset0:39 offset1:40
	ds_read2_b64 v[67:70], v62 offset0:41 offset1:42
	;; [unrolled: 1-line block ×10, first 2 shown]
	ds_read_b64 v[103:104], v62 offset:472
	s_mov_b32 s4, exec_lo
	s_waitcnt vmcnt(43) lgkmcnt(10)
	v_mul_f32_e32 v149, v63, v105
	v_mul_f32_e32 v105, v64, v105
	s_waitcnt vmcnt(42)
	v_mul_f32_e32 v150, v65, v106
	v_mul_f32_e32 v106, v66, v106
	s_waitcnt vmcnt(41) lgkmcnt(9)
	v_mul_f32_e32 v151, v67, v107
	s_waitcnt vmcnt(40)
	v_mul_f32_e32 v152, v69, v108
	s_waitcnt vmcnt(39) lgkmcnt(8)
	v_mul_f32_e32 v153, v71, v109
	s_waitcnt vmcnt(38)
	;; [unrolled: 4-line block ×9, first 2 shown]
	v_fma_f32 v63, v63, v126, -v105
	v_fmac_f32_e32 v149, v64, v126
	v_mul_f32_e32 v64, v68, v107
	s_waitcnt vmcnt(21)
	v_fma_f32 v65, v65, v127, -v106
	v_fmac_f32_e32 v150, v66, v127
	v_add_f32_e32 v63, 0, v63
	v_add_f32_e32 v66, 0, v149
	v_mul_f32_e32 v105, v70, v108
	s_waitcnt vmcnt(20)
	v_fma_f32 v64, v67, v128, -v64
	v_fmac_f32_e32 v151, v68, v128
	v_add_f32_e32 v63, v63, v65
	v_add_f32_e32 v65, v66, v150
	;; [unrolled: 6-line block ×17, first 2 shown]
	v_mul_f32_e32 v66, v102, v124
	s_waitcnt vmcnt(4)
	v_fma_f32 v67, v99, v144, -v67
	v_mul_f32_e32 v168, v101, v124
	v_add_f32_e32 v63, v63, v65
	v_fmac_f32_e32 v167, v100, v144
	v_add_f32_e32 v64, v64, v166
	s_waitcnt lgkmcnt(0)
	v_mul_f32_e32 v65, v104, v125
	s_waitcnt vmcnt(3)
	v_fma_f32 v66, v101, v145, -v66
	v_add_f32_e32 v63, v63, v67
	v_mul_f32_e32 v169, v103, v125
	v_fmac_f32_e32 v168, v102, v145
	v_add_f32_e32 v64, v64, v167
	s_waitcnt vmcnt(2)
	v_fma_f32 v65, v103, v146, -v65
	v_add_f32_e32 v63, v63, v66
	v_fmac_f32_e32 v169, v104, v146
	v_add_f32_e32 v64, v64, v168
	v_add_f32_e32 v63, v63, v65
	;; [unrolled: 1-line block ×3, first 2 shown]
	s_waitcnt vmcnt(1)
	v_sub_f32_e32 v63, v147, v63
	s_waitcnt vmcnt(0)
	v_sub_f32_e32 v64, v148, v64
	buffer_store_dword v63, off, s[0:3], 0 offset:64
	buffer_store_dword v64, off, s[0:3], 0 offset:68
	v_cmpx_lt_u32_e32 7, v0
	s_cbranch_execz .LBB93_179
; %bb.178:
	s_clause 0x1
	buffer_load_dword v63, off, s[0:3], 0 offset:56
	buffer_load_dword v64, off, s[0:3], 0 offset:60
	buffer_store_dword v62, off, s[0:3], 0 offset:56
	buffer_store_dword v62, off, s[0:3], 0 offset:60
	s_waitcnt vmcnt(0)
	ds_write_b64 v61, v[63:64]
.LBB93_179:
	s_or_b32 exec_lo, exec_lo, s4
	s_waitcnt lgkmcnt(0)
	s_waitcnt_vscnt null, 0x0
	s_barrier
	buffer_gl0_inv
	s_clause 0x2d
	buffer_load_dword v107, off, s[0:3], 0 offset:68
	buffer_load_dword v108, off, s[0:3], 0 offset:76
	;; [unrolled: 1-line block ×46, first 2 shown]
	ds_read_b128 v[63:66], v62 offset:304
	ds_read_b128 v[67:70], v62 offset:320
	;; [unrolled: 1-line block ×11, first 2 shown]
	s_mov_b32 s4, exec_lo
	s_waitcnt vmcnt(45) lgkmcnt(10)
	v_mul_f32_e32 v62, v63, v107
	v_mul_f32_e32 v107, v64, v107
	s_waitcnt vmcnt(44)
	v_mul_f32_e32 v153, v65, v108
	v_mul_f32_e32 v108, v66, v108
	s_waitcnt vmcnt(43) lgkmcnt(9)
	v_mul_f32_e32 v154, v67, v109
	s_waitcnt vmcnt(42)
	v_mul_f32_e32 v155, v69, v110
	s_waitcnt vmcnt(41) lgkmcnt(8)
	v_mul_f32_e32 v156, v71, v111
	s_waitcnt vmcnt(40)
	;; [unrolled: 4-line block ×9, first 2 shown]
	v_mul_f32_e32 v171, v101, v126
	s_waitcnt vmcnt(23)
	v_fma_f32 v63, v63, v129, -v107
	v_fmac_f32_e32 v62, v64, v129
	v_mul_f32_e32 v64, v68, v109
	s_waitcnt vmcnt(22)
	v_fma_f32 v65, v65, v130, -v108
	v_fmac_f32_e32 v153, v66, v130
	v_add_f32_e32 v63, 0, v63
	v_add_f32_e32 v62, 0, v62
	v_mul_f32_e32 v66, v70, v110
	s_waitcnt vmcnt(21)
	v_fma_f32 v64, v67, v131, -v64
	v_fmac_f32_e32 v154, v68, v131
	v_add_f32_e32 v63, v63, v65
	v_add_f32_e32 v62, v62, v153
	;; [unrolled: 6-line block ×18, first 2 shown]
	s_waitcnt lgkmcnt(0)
	v_mul_f32_e32 v64, v104, v127
	s_waitcnt vmcnt(4)
	v_fma_f32 v65, v101, v148, -v65
	v_mul_f32_e32 v172, v103, v127
	v_add_f32_e32 v63, v63, v66
	v_fmac_f32_e32 v171, v102, v148
	v_add_f32_e32 v62, v62, v170
	v_mul_f32_e32 v66, v106, v128
	s_waitcnt vmcnt(3)
	v_fma_f32 v64, v103, v149, -v64
	v_add_f32_e32 v63, v63, v65
	v_mul_f32_e32 v173, v105, v128
	v_fmac_f32_e32 v172, v104, v149
	v_add_f32_e32 v62, v62, v171
	s_waitcnt vmcnt(2)
	v_fma_f32 v65, v105, v150, -v66
	v_add_f32_e32 v63, v63, v64
	v_fmac_f32_e32 v173, v106, v150
	v_add_f32_e32 v62, v62, v172
	v_add_f32_e32 v63, v63, v65
	v_add_f32_e32 v62, v62, v173
	s_waitcnt vmcnt(1)
	v_sub_f32_e32 v63, v151, v63
	s_waitcnt vmcnt(0)
	v_sub_f32_e32 v62, v152, v62
	buffer_store_dword v63, off, s[0:3], 0 offset:56
	buffer_store_dword v62, off, s[0:3], 0 offset:60
	v_cmpx_lt_u32_e32 6, v0
	s_cbranch_execz .LBB93_181
; %bb.180:
	s_clause 0x1
	buffer_load_dword v62, off, s[0:3], 0 offset:48
	buffer_load_dword v63, off, s[0:3], 0 offset:52
	v_mov_b32_e32 v64, 0
	buffer_store_dword v64, off, s[0:3], 0 offset:48
	buffer_store_dword v64, off, s[0:3], 0 offset:52
	s_waitcnt vmcnt(0)
	ds_write_b64 v61, v[62:63]
.LBB93_181:
	s_or_b32 exec_lo, exec_lo, s4
	s_waitcnt lgkmcnt(0)
	s_waitcnt_vscnt null, 0x0
	s_barrier
	buffer_gl0_inv
	s_clause 0x2f
	buffer_load_dword v109, off, s[0:3], 0 offset:60
	buffer_load_dword v110, off, s[0:3], 0 offset:68
	;; [unrolled: 1-line block ×48, first 2 shown]
	v_mov_b32_e32 v62, 0
	ds_read2_b64 v[63:66], v62 offset0:37 offset1:38
	ds_read2_b64 v[67:70], v62 offset0:39 offset1:40
	;; [unrolled: 1-line block ×11, first 2 shown]
	ds_read_b64 v[107:108], v62 offset:472
	s_mov_b32 s4, exec_lo
	s_waitcnt vmcnt(47) lgkmcnt(11)
	v_mul_f32_e32 v157, v63, v109
	v_mul_f32_e32 v109, v64, v109
	s_waitcnt vmcnt(46)
	v_mul_f32_e32 v158, v65, v110
	v_mul_f32_e32 v110, v66, v110
	s_waitcnt vmcnt(45) lgkmcnt(10)
	v_mul_f32_e32 v159, v67, v111
	s_waitcnt vmcnt(44)
	v_mul_f32_e32 v160, v69, v112
	s_waitcnt vmcnt(43) lgkmcnt(9)
	v_mul_f32_e32 v161, v71, v113
	s_waitcnt vmcnt(42)
	;; [unrolled: 4-line block ×10, first 2 shown]
	v_fma_f32 v63, v63, v132, -v109
	v_fmac_f32_e32 v157, v64, v132
	v_mul_f32_e32 v64, v68, v111
	s_waitcnt vmcnt(23)
	v_fma_f32 v65, v65, v133, -v110
	v_fmac_f32_e32 v158, v66, v133
	v_add_f32_e32 v63, 0, v63
	v_add_f32_e32 v66, 0, v157
	v_mul_f32_e32 v109, v70, v112
	s_waitcnt vmcnt(22)
	v_fma_f32 v64, v67, v134, -v64
	v_fmac_f32_e32 v159, v68, v134
	v_add_f32_e32 v63, v63, v65
	v_add_f32_e32 v65, v66, v158
	;; [unrolled: 6-line block ×19, first 2 shown]
	v_mul_f32_e32 v67, v106, v130
	s_waitcnt vmcnt(4)
	v_fma_f32 v65, v103, v152, -v65
	v_mul_f32_e32 v178, v105, v130
	v_add_f32_e32 v63, v63, v66
	v_fmac_f32_e32 v177, v104, v152
	v_add_f32_e32 v64, v64, v176
	s_waitcnt lgkmcnt(0)
	v_mul_f32_e32 v66, v108, v131
	s_waitcnt vmcnt(3)
	v_fma_f32 v67, v105, v153, -v67
	v_add_f32_e32 v63, v63, v65
	v_mul_f32_e32 v179, v107, v131
	v_fmac_f32_e32 v178, v106, v153
	v_add_f32_e32 v64, v64, v177
	s_waitcnt vmcnt(2)
	v_fma_f32 v65, v107, v154, -v66
	v_add_f32_e32 v63, v63, v67
	v_fmac_f32_e32 v179, v108, v154
	v_add_f32_e32 v64, v64, v178
	v_add_f32_e32 v63, v63, v65
	;; [unrolled: 1-line block ×3, first 2 shown]
	s_waitcnt vmcnt(1)
	v_sub_f32_e32 v63, v155, v63
	s_waitcnt vmcnt(0)
	v_sub_f32_e32 v64, v156, v64
	buffer_store_dword v63, off, s[0:3], 0 offset:48
	buffer_store_dword v64, off, s[0:3], 0 offset:52
	v_cmpx_lt_u32_e32 5, v0
	s_cbranch_execz .LBB93_183
; %bb.182:
	s_clause 0x1
	buffer_load_dword v63, off, s[0:3], 0 offset:40
	buffer_load_dword v64, off, s[0:3], 0 offset:44
	buffer_store_dword v62, off, s[0:3], 0 offset:40
	buffer_store_dword v62, off, s[0:3], 0 offset:44
	s_waitcnt vmcnt(0)
	ds_write_b64 v61, v[63:64]
.LBB93_183:
	s_or_b32 exec_lo, exec_lo, s4
	s_waitcnt lgkmcnt(0)
	s_waitcnt_vscnt null, 0x0
	s_barrier
	buffer_gl0_inv
	s_clause 0x31
	buffer_load_dword v111, off, s[0:3], 0 offset:52
	buffer_load_dword v112, off, s[0:3], 0 offset:60
	;; [unrolled: 1-line block ×50, first 2 shown]
	ds_read_b128 v[63:66], v62 offset:288
	ds_read_b128 v[67:70], v62 offset:304
	;; [unrolled: 1-line block ×12, first 2 shown]
	s_mov_b32 s4, exec_lo
	s_waitcnt vmcnt(49) lgkmcnt(11)
	v_mul_f32_e32 v62, v63, v111
	v_mul_f32_e32 v111, v64, v111
	s_waitcnt vmcnt(48)
	v_mul_f32_e32 v161, v65, v112
	v_mul_f32_e32 v112, v66, v112
	s_waitcnt vmcnt(47) lgkmcnt(10)
	v_mul_f32_e32 v162, v67, v113
	s_waitcnt vmcnt(46)
	v_mul_f32_e32 v163, v69, v114
	s_waitcnt vmcnt(45) lgkmcnt(9)
	v_mul_f32_e32 v164, v71, v115
	s_waitcnt vmcnt(44)
	;; [unrolled: 4-line block ×10, first 2 shown]
	v_mul_f32_e32 v181, v105, v132
	s_waitcnt vmcnt(25)
	v_fma_f32 v63, v63, v135, -v111
	v_fmac_f32_e32 v62, v64, v135
	v_mul_f32_e32 v64, v68, v113
	s_waitcnt vmcnt(24)
	v_fma_f32 v65, v65, v136, -v112
	v_fmac_f32_e32 v161, v66, v136
	v_add_f32_e32 v63, 0, v63
	v_add_f32_e32 v62, 0, v62
	v_mul_f32_e32 v66, v70, v114
	s_waitcnt vmcnt(23)
	v_fma_f32 v64, v67, v137, -v64
	v_fmac_f32_e32 v162, v68, v137
	v_add_f32_e32 v63, v63, v65
	v_add_f32_e32 v62, v62, v161
	;; [unrolled: 6-line block ×20, first 2 shown]
	s_waitcnt lgkmcnt(0)
	v_mul_f32_e32 v65, v108, v133
	s_waitcnt vmcnt(4)
	v_fma_f32 v66, v105, v156, -v66
	v_mul_f32_e32 v182, v107, v133
	v_add_f32_e32 v63, v63, v64
	v_fmac_f32_e32 v181, v106, v156
	v_add_f32_e32 v62, v62, v180
	v_mul_f32_e32 v64, v110, v134
	s_waitcnt vmcnt(3)
	v_fma_f32 v65, v107, v157, -v65
	v_add_f32_e32 v63, v63, v66
	v_mul_f32_e32 v183, v109, v134
	v_fmac_f32_e32 v182, v108, v157
	v_add_f32_e32 v62, v62, v181
	s_waitcnt vmcnt(2)
	v_fma_f32 v64, v109, v158, -v64
	v_add_f32_e32 v63, v63, v65
	v_fmac_f32_e32 v183, v110, v158
	v_add_f32_e32 v62, v62, v182
	v_add_f32_e32 v63, v63, v64
	;; [unrolled: 1-line block ×3, first 2 shown]
	s_waitcnt vmcnt(1)
	v_sub_f32_e32 v63, v159, v63
	s_waitcnt vmcnt(0)
	v_sub_f32_e32 v62, v160, v62
	buffer_store_dword v63, off, s[0:3], 0 offset:40
	buffer_store_dword v62, off, s[0:3], 0 offset:44
	v_cmpx_lt_u32_e32 4, v0
	s_cbranch_execz .LBB93_185
; %bb.184:
	s_clause 0x1
	buffer_load_dword v62, off, s[0:3], 0 offset:32
	buffer_load_dword v63, off, s[0:3], 0 offset:36
	v_mov_b32_e32 v64, 0
	buffer_store_dword v64, off, s[0:3], 0 offset:32
	buffer_store_dword v64, off, s[0:3], 0 offset:36
	s_waitcnt vmcnt(0)
	ds_write_b64 v61, v[62:63]
.LBB93_185:
	s_or_b32 exec_lo, exec_lo, s4
	s_waitcnt lgkmcnt(0)
	s_waitcnt_vscnt null, 0x0
	s_barrier
	buffer_gl0_inv
	s_clause 0x33
	buffer_load_dword v113, off, s[0:3], 0 offset:44
	buffer_load_dword v114, off, s[0:3], 0 offset:52
	;; [unrolled: 1-line block ×52, first 2 shown]
	v_mov_b32_e32 v62, 0
	ds_read2_b64 v[63:66], v62 offset0:35 offset1:36
	ds_read2_b64 v[67:70], v62 offset0:37 offset1:38
	;; [unrolled: 1-line block ×12, first 2 shown]
	ds_read_b64 v[111:112], v62 offset:472
	s_mov_b32 s4, exec_lo
	s_waitcnt vmcnt(51) lgkmcnt(12)
	v_mul_f32_e32 v165, v63, v113
	v_mul_f32_e32 v113, v64, v113
	s_waitcnt vmcnt(50)
	v_mul_f32_e32 v166, v65, v114
	v_mul_f32_e32 v114, v66, v114
	s_waitcnt vmcnt(49) lgkmcnt(11)
	v_mul_f32_e32 v167, v67, v115
	s_waitcnt vmcnt(48)
	v_mul_f32_e32 v168, v69, v116
	s_waitcnt vmcnt(47) lgkmcnt(10)
	v_mul_f32_e32 v169, v71, v117
	s_waitcnt vmcnt(46)
	;; [unrolled: 4-line block ×11, first 2 shown]
	v_fma_f32 v63, v63, v138, -v113
	v_fmac_f32_e32 v165, v64, v138
	v_mul_f32_e32 v64, v68, v115
	s_waitcnt vmcnt(25)
	v_fma_f32 v65, v65, v139, -v114
	v_fmac_f32_e32 v166, v66, v139
	v_add_f32_e32 v63, 0, v63
	v_add_f32_e32 v66, 0, v165
	v_mul_f32_e32 v113, v70, v116
	s_waitcnt vmcnt(24)
	v_fma_f32 v64, v67, v140, -v64
	v_fmac_f32_e32 v167, v68, v140
	v_add_f32_e32 v63, v63, v65
	v_add_f32_e32 v65, v66, v166
	;; [unrolled: 6-line block ×21, first 2 shown]
	v_mul_f32_e32 v65, v110, v136
	s_waitcnt vmcnt(4)
	v_fma_f32 v66, v107, v160, -v66
	v_mul_f32_e32 v188, v109, v136
	v_add_f32_e32 v63, v63, v67
	v_fmac_f32_e32 v187, v108, v160
	v_add_f32_e32 v64, v64, v186
	s_waitcnt lgkmcnt(0)
	v_mul_f32_e32 v67, v112, v137
	s_waitcnt vmcnt(3)
	v_fma_f32 v65, v109, v161, -v65
	v_add_f32_e32 v63, v63, v66
	v_mul_f32_e32 v189, v111, v137
	v_fmac_f32_e32 v188, v110, v161
	v_add_f32_e32 v64, v64, v187
	s_waitcnt vmcnt(2)
	v_fma_f32 v66, v111, v162, -v67
	v_add_f32_e32 v63, v63, v65
	v_fmac_f32_e32 v189, v112, v162
	v_add_f32_e32 v64, v64, v188
	v_add_f32_e32 v63, v63, v66
	;; [unrolled: 1-line block ×3, first 2 shown]
	s_waitcnt vmcnt(1)
	v_sub_f32_e32 v63, v163, v63
	s_waitcnt vmcnt(0)
	v_sub_f32_e32 v64, v164, v64
	buffer_store_dword v63, off, s[0:3], 0 offset:32
	buffer_store_dword v64, off, s[0:3], 0 offset:36
	v_cmpx_lt_u32_e32 3, v0
	s_cbranch_execz .LBB93_187
; %bb.186:
	s_clause 0x1
	buffer_load_dword v63, off, s[0:3], 0 offset:24
	buffer_load_dword v64, off, s[0:3], 0 offset:28
	buffer_store_dword v62, off, s[0:3], 0 offset:24
	buffer_store_dword v62, off, s[0:3], 0 offset:28
	s_waitcnt vmcnt(0)
	ds_write_b64 v61, v[63:64]
.LBB93_187:
	s_or_b32 exec_lo, exec_lo, s4
	s_waitcnt lgkmcnt(0)
	s_waitcnt_vscnt null, 0x0
	s_barrier
	buffer_gl0_inv
	s_clause 0x35
	buffer_load_dword v115, off, s[0:3], 0 offset:36
	buffer_load_dword v116, off, s[0:3], 0 offset:44
	;; [unrolled: 1-line block ×54, first 2 shown]
	ds_read_b128 v[63:66], v62 offset:272
	ds_read_b128 v[67:70], v62 offset:288
	;; [unrolled: 1-line block ×13, first 2 shown]
	s_mov_b32 s4, exec_lo
	s_waitcnt vmcnt(53) lgkmcnt(12)
	v_mul_f32_e32 v62, v63, v115
	v_mul_f32_e32 v115, v64, v115
	s_waitcnt vmcnt(52)
	v_mul_f32_e32 v169, v65, v116
	v_mul_f32_e32 v116, v66, v116
	s_waitcnt vmcnt(51) lgkmcnt(11)
	v_mul_f32_e32 v170, v67, v117
	s_waitcnt vmcnt(50)
	v_mul_f32_e32 v171, v69, v118
	s_waitcnt vmcnt(49) lgkmcnt(10)
	v_mul_f32_e32 v172, v71, v119
	s_waitcnt vmcnt(48)
	;; [unrolled: 4-line block ×11, first 2 shown]
	v_mul_f32_e32 v191, v109, v138
	s_waitcnt vmcnt(27)
	v_fma_f32 v63, v63, v141, -v115
	v_fmac_f32_e32 v62, v64, v141
	v_mul_f32_e32 v64, v68, v117
	s_waitcnt vmcnt(26)
	v_fma_f32 v65, v65, v142, -v116
	v_fmac_f32_e32 v169, v66, v142
	v_add_f32_e32 v63, 0, v63
	v_add_f32_e32 v62, 0, v62
	v_mul_f32_e32 v66, v70, v118
	s_waitcnt vmcnt(25)
	v_fma_f32 v64, v67, v143, -v64
	v_fmac_f32_e32 v170, v68, v143
	v_add_f32_e32 v63, v63, v65
	v_add_f32_e32 v62, v62, v169
	;; [unrolled: 6-line block ×22, first 2 shown]
	s_waitcnt lgkmcnt(0)
	v_mul_f32_e32 v66, v112, v139
	s_waitcnt vmcnt(4)
	v_fma_f32 v64, v109, v164, -v64
	v_mul_f32_e32 v192, v111, v139
	v_add_f32_e32 v63, v63, v65
	v_fmac_f32_e32 v191, v110, v164
	v_add_f32_e32 v62, v62, v190
	v_mul_f32_e32 v65, v114, v140
	s_waitcnt vmcnt(3)
	v_fma_f32 v66, v111, v165, -v66
	v_add_f32_e32 v63, v63, v64
	v_mul_f32_e32 v193, v113, v140
	v_fmac_f32_e32 v192, v112, v165
	v_add_f32_e32 v62, v62, v191
	s_waitcnt vmcnt(2)
	v_fma_f32 v64, v113, v166, -v65
	v_add_f32_e32 v63, v63, v66
	v_fmac_f32_e32 v193, v114, v166
	v_add_f32_e32 v62, v62, v192
	v_add_f32_e32 v63, v63, v64
	;; [unrolled: 1-line block ×3, first 2 shown]
	s_waitcnt vmcnt(1)
	v_sub_f32_e32 v63, v167, v63
	s_waitcnt vmcnt(0)
	v_sub_f32_e32 v62, v168, v62
	buffer_store_dword v63, off, s[0:3], 0 offset:24
	buffer_store_dword v62, off, s[0:3], 0 offset:28
	v_cmpx_lt_u32_e32 2, v0
	s_cbranch_execz .LBB93_189
; %bb.188:
	s_clause 0x1
	buffer_load_dword v62, off, s[0:3], 0 offset:16
	buffer_load_dword v63, off, s[0:3], 0 offset:20
	v_mov_b32_e32 v64, 0
	buffer_store_dword v64, off, s[0:3], 0 offset:16
	buffer_store_dword v64, off, s[0:3], 0 offset:20
	s_waitcnt vmcnt(0)
	ds_write_b64 v61, v[62:63]
.LBB93_189:
	s_or_b32 exec_lo, exec_lo, s4
	s_waitcnt lgkmcnt(0)
	s_waitcnt_vscnt null, 0x0
	s_barrier
	buffer_gl0_inv
	s_clause 0x37
	buffer_load_dword v117, off, s[0:3], 0 offset:28
	buffer_load_dword v118, off, s[0:3], 0 offset:36
	;; [unrolled: 1-line block ×56, first 2 shown]
	v_mov_b32_e32 v62, 0
	ds_read2_b64 v[63:66], v62 offset0:33 offset1:34
	ds_read2_b64 v[67:70], v62 offset0:35 offset1:36
	;; [unrolled: 1-line block ×13, first 2 shown]
	ds_read_b64 v[115:116], v62 offset:472
	s_mov_b32 s4, exec_lo
	s_waitcnt vmcnt(55) lgkmcnt(13)
	v_mul_f32_e32 v173, v63, v117
	v_mul_f32_e32 v117, v64, v117
	s_waitcnt vmcnt(54)
	v_mul_f32_e32 v174, v65, v118
	v_mul_f32_e32 v118, v66, v118
	s_waitcnt vmcnt(53) lgkmcnt(12)
	v_mul_f32_e32 v175, v67, v119
	s_waitcnt vmcnt(52)
	v_mul_f32_e32 v176, v69, v120
	s_waitcnt vmcnt(51) lgkmcnt(11)
	v_mul_f32_e32 v177, v71, v121
	s_waitcnt vmcnt(50)
	;; [unrolled: 4-line block ×12, first 2 shown]
	v_fma_f32 v63, v63, v144, -v117
	v_fmac_f32_e32 v173, v64, v144
	v_mul_f32_e32 v64, v68, v119
	s_waitcnt vmcnt(27)
	v_fma_f32 v65, v65, v145, -v118
	v_fmac_f32_e32 v174, v66, v145
	v_add_f32_e32 v63, 0, v63
	v_add_f32_e32 v66, 0, v173
	v_mul_f32_e32 v117, v70, v120
	s_waitcnt vmcnt(26)
	v_fma_f32 v64, v67, v146, -v64
	v_fmac_f32_e32 v175, v68, v146
	v_add_f32_e32 v63, v63, v65
	v_add_f32_e32 v65, v66, v174
	;; [unrolled: 6-line block ×23, first 2 shown]
	v_mul_f32_e32 v66, v114, v142
	s_waitcnt vmcnt(4)
	v_fma_f32 v67, v111, v168, -v67
	v_mul_f32_e32 v198, v113, v142
	v_add_f32_e32 v63, v63, v65
	v_fmac_f32_e32 v197, v112, v168
	v_add_f32_e32 v64, v64, v196
	s_waitcnt lgkmcnt(0)
	v_mul_f32_e32 v65, v116, v143
	s_waitcnt vmcnt(3)
	v_fma_f32 v66, v113, v169, -v66
	v_add_f32_e32 v63, v63, v67
	v_mul_f32_e32 v199, v115, v143
	v_fmac_f32_e32 v198, v114, v169
	v_add_f32_e32 v64, v64, v197
	s_waitcnt vmcnt(2)
	v_fma_f32 v65, v115, v170, -v65
	v_add_f32_e32 v63, v63, v66
	v_fmac_f32_e32 v199, v116, v170
	v_add_f32_e32 v64, v64, v198
	v_add_f32_e32 v63, v63, v65
	;; [unrolled: 1-line block ×3, first 2 shown]
	s_waitcnt vmcnt(1)
	v_sub_f32_e32 v63, v171, v63
	s_waitcnt vmcnt(0)
	v_sub_f32_e32 v64, v172, v64
	buffer_store_dword v63, off, s[0:3], 0 offset:16
	buffer_store_dword v64, off, s[0:3], 0 offset:20
	v_cmpx_lt_u32_e32 1, v0
	s_cbranch_execz .LBB93_191
; %bb.190:
	s_clause 0x1
	buffer_load_dword v63, off, s[0:3], 0 offset:8
	buffer_load_dword v64, off, s[0:3], 0 offset:12
	buffer_store_dword v62, off, s[0:3], 0 offset:8
	buffer_store_dword v62, off, s[0:3], 0 offset:12
	s_waitcnt vmcnt(0)
	ds_write_b64 v61, v[63:64]
.LBB93_191:
	s_or_b32 exec_lo, exec_lo, s4
	s_waitcnt lgkmcnt(0)
	s_waitcnt_vscnt null, 0x0
	s_barrier
	buffer_gl0_inv
	s_clause 0x39
	buffer_load_dword v119, off, s[0:3], 0 offset:20
	buffer_load_dword v120, off, s[0:3], 0 offset:28
	;; [unrolled: 1-line block ×58, first 2 shown]
	ds_read_b128 v[63:66], v62 offset:256
	ds_read_b128 v[67:70], v62 offset:272
	;; [unrolled: 1-line block ×14, first 2 shown]
	s_mov_b32 s4, exec_lo
	s_waitcnt vmcnt(57) lgkmcnt(13)
	v_mul_f32_e32 v62, v63, v119
	v_mul_f32_e32 v119, v64, v119
	s_waitcnt vmcnt(56)
	v_mul_f32_e32 v177, v65, v120
	v_mul_f32_e32 v120, v66, v120
	s_waitcnt vmcnt(55) lgkmcnt(12)
	v_mul_f32_e32 v178, v67, v121
	s_waitcnt vmcnt(54)
	v_mul_f32_e32 v179, v69, v122
	s_waitcnt vmcnt(53) lgkmcnt(11)
	v_mul_f32_e32 v180, v71, v123
	s_waitcnt vmcnt(52)
	;; [unrolled: 4-line block ×12, first 2 shown]
	v_mul_f32_e32 v201, v113, v144
	s_waitcnt vmcnt(29)
	v_fma_f32 v63, v63, v147, -v119
	v_fmac_f32_e32 v62, v64, v147
	v_mul_f32_e32 v64, v68, v121
	s_waitcnt vmcnt(28)
	v_fma_f32 v65, v65, v148, -v120
	v_fmac_f32_e32 v177, v66, v148
	v_add_f32_e32 v63, 0, v63
	v_add_f32_e32 v62, 0, v62
	v_mul_f32_e32 v66, v70, v122
	s_waitcnt vmcnt(27)
	v_fma_f32 v64, v67, v149, -v64
	v_fmac_f32_e32 v178, v68, v149
	v_add_f32_e32 v63, v63, v65
	v_add_f32_e32 v62, v62, v177
	;; [unrolled: 6-line block ×24, first 2 shown]
	s_waitcnt lgkmcnt(0)
	v_mul_f32_e32 v64, v116, v145
	s_waitcnt vmcnt(4)
	v_fma_f32 v65, v113, v172, -v65
	v_mul_f32_e32 v202, v115, v145
	v_add_f32_e32 v63, v63, v66
	v_fmac_f32_e32 v201, v114, v172
	v_add_f32_e32 v62, v62, v200
	v_mul_f32_e32 v66, v118, v146
	s_waitcnt vmcnt(3)
	v_fma_f32 v64, v115, v173, -v64
	v_add_f32_e32 v63, v63, v65
	v_mul_f32_e32 v203, v117, v146
	v_fmac_f32_e32 v202, v116, v173
	v_add_f32_e32 v62, v62, v201
	s_waitcnt vmcnt(2)
	v_fma_f32 v65, v117, v174, -v66
	v_add_f32_e32 v63, v63, v64
	v_fmac_f32_e32 v203, v118, v174
	v_add_f32_e32 v62, v62, v202
	v_add_f32_e32 v63, v63, v65
	;; [unrolled: 1-line block ×3, first 2 shown]
	s_waitcnt vmcnt(1)
	v_sub_f32_e32 v63, v175, v63
	s_waitcnt vmcnt(0)
	v_sub_f32_e32 v62, v176, v62
	buffer_store_dword v63, off, s[0:3], 0 offset:8
	buffer_store_dword v62, off, s[0:3], 0 offset:12
	v_cmpx_ne_u32_e32 0, v0
	s_cbranch_execz .LBB93_193
; %bb.192:
	s_clause 0x1
	buffer_load_dword v62, off, s[0:3], 0
	buffer_load_dword v63, off, s[0:3], 0 offset:4
	v_mov_b32_e32 v0, 0
	buffer_store_dword v0, off, s[0:3], 0
	buffer_store_dword v0, off, s[0:3], 0 offset:4
	s_waitcnt vmcnt(0)
	ds_write_b64 v61, v[62:63]
.LBB93_193:
	s_or_b32 exec_lo, exec_lo, s4
	s_waitcnt lgkmcnt(0)
	s_waitcnt_vscnt null, 0x0
	s_barrier
	buffer_gl0_inv
	s_clause 0x3b
	buffer_load_dword v119, off, s[0:3], 0 offset:12
	buffer_load_dword v120, off, s[0:3], 0 offset:20
	;; [unrolled: 1-line block ×58, first 2 shown]
	buffer_load_dword v177, off, s[0:3], 0
	buffer_load_dword v178, off, s[0:3], 0 offset:4
	v_mov_b32_e32 v0, 0
	ds_read2_b64 v[61:64], v0 offset0:31 offset1:32
	ds_read2_b64 v[65:68], v0 offset0:33 offset1:34
	ds_read2_b64 v[69:72], v0 offset0:35 offset1:36
	ds_read2_b64 v[73:76], v0 offset0:37 offset1:38
	ds_read2_b64 v[77:80], v0 offset0:39 offset1:40
	ds_read2_b64 v[81:84], v0 offset0:41 offset1:42
	ds_read2_b64 v[85:88], v0 offset0:43 offset1:44
	ds_read2_b64 v[89:92], v0 offset0:45 offset1:46
	ds_read2_b64 v[93:96], v0 offset0:47 offset1:48
	ds_read2_b64 v[97:100], v0 offset0:49 offset1:50
	ds_read2_b64 v[101:104], v0 offset0:51 offset1:52
	ds_read2_b64 v[105:108], v0 offset0:53 offset1:54
	ds_read2_b64 v[109:112], v0 offset0:55 offset1:56
	ds_read2_b64 v[113:116], v0 offset0:57 offset1:58
	ds_read_b64 v[117:118], v0 offset:472
	s_and_b32 vcc_lo, exec_lo, s16
	s_waitcnt vmcnt(59) lgkmcnt(14)
	v_mul_f32_e32 v179, v61, v119
	v_mul_f32_e32 v119, v62, v119
	s_waitcnt vmcnt(58)
	v_mul_f32_e32 v180, v63, v120
	v_mul_f32_e32 v120, v64, v120
	s_waitcnt vmcnt(57) lgkmcnt(13)
	v_mul_f32_e32 v181, v65, v121
	s_waitcnt vmcnt(56)
	v_mul_f32_e32 v182, v67, v122
	s_waitcnt vmcnt(55) lgkmcnt(12)
	v_mul_f32_e32 v183, v69, v123
	s_waitcnt vmcnt(54)
	;; [unrolled: 4-line block ×13, first 2 shown]
	v_fma_f32 v61, v61, v148, -v119
	v_fmac_f32_e32 v179, v62, v148
	v_mul_f32_e32 v62, v66, v121
	s_waitcnt vmcnt(29)
	v_fma_f32 v63, v63, v149, -v120
	v_fmac_f32_e32 v180, v64, v149
	v_add_f32_e32 v61, 0, v61
	v_add_f32_e32 v64, 0, v179
	v_mul_f32_e32 v119, v68, v122
	s_waitcnt vmcnt(28)
	v_fma_f32 v62, v65, v150, -v62
	v_fmac_f32_e32 v181, v66, v150
	v_add_f32_e32 v61, v61, v63
	v_add_f32_e32 v63, v64, v180
	;; [unrolled: 6-line block ×25, first 2 shown]
	v_mul_f32_e32 v65, v116, v146
	s_waitcnt vmcnt(4)
	v_fma_f32 v63, v113, v174, -v63
	v_mul_f32_e32 v206, v115, v146
	v_add_f32_e32 v61, v61, v64
	v_fmac_f32_e32 v205, v114, v174
	v_add_f32_e32 v62, v62, v204
	s_waitcnt lgkmcnt(0)
	v_mul_f32_e32 v64, v118, v147
	s_waitcnt vmcnt(3)
	v_fma_f32 v65, v115, v175, -v65
	v_add_f32_e32 v61, v61, v63
	v_mul_f32_e32 v207, v117, v147
	v_fmac_f32_e32 v206, v116, v175
	v_add_f32_e32 v62, v62, v205
	s_waitcnt vmcnt(2)
	v_fma_f32 v63, v117, v176, -v64
	v_add_f32_e32 v61, v61, v65
	v_fmac_f32_e32 v207, v118, v176
	v_add_f32_e32 v62, v62, v206
	v_add_f32_e32 v61, v61, v63
	;; [unrolled: 1-line block ×3, first 2 shown]
	s_waitcnt vmcnt(1)
	v_sub_f32_e32 v61, v177, v61
	s_waitcnt vmcnt(0)
	v_sub_f32_e32 v62, v178, v62
	buffer_store_dword v61, off, s[0:3], 0
	buffer_store_dword v62, off, s[0:3], 0 offset:4
	s_cbranch_vccz .LBB93_252
; %bb.194:
	global_load_dword v0, v0, s[12:13] offset:112
	s_waitcnt vmcnt(0)
	v_add_nc_u32_e32 v0, -1, v0
	v_cmp_ne_u32_e32 vcc_lo, 28, v0
	s_cbranch_vccz .LBB93_196
; %bb.195:
	v_lshlrev_b32_e32 v0, 3, v0
	s_clause 0x3
	buffer_load_dword v61, v0, s[0:3], 0 offen
	buffer_load_dword v62, v0, s[0:3], 0 offen offset:4
	buffer_load_dword v63, off, s[0:3], 0 offset:228
	buffer_load_dword v64, off, s[0:3], 0 offset:224
	s_waitcnt vmcnt(3)
	buffer_store_dword v61, off, s[0:3], 0 offset:224
	s_waitcnt vmcnt(2)
	buffer_store_dword v62, off, s[0:3], 0 offset:228
	s_waitcnt vmcnt(1)
	buffer_store_dword v63, v0, s[0:3], 0 offen offset:4
	s_waitcnt vmcnt(0)
	buffer_store_dword v64, v0, s[0:3], 0 offen
.LBB93_196:
	v_mov_b32_e32 v0, 0
	global_load_dword v61, v0, s[12:13] offset:108
	s_waitcnt vmcnt(0)
	v_add_nc_u32_e32 v61, -1, v61
	v_cmp_eq_u32_e32 vcc_lo, 27, v61
	s_cbranch_vccnz .LBB93_198
; %bb.197:
	v_lshlrev_b32_e32 v61, 3, v61
	s_clause 0x3
	buffer_load_dword v62, v61, s[0:3], 0 offen
	buffer_load_dword v63, v61, s[0:3], 0 offen offset:4
	buffer_load_dword v64, off, s[0:3], 0 offset:216
	buffer_load_dword v65, off, s[0:3], 0 offset:220
	s_waitcnt vmcnt(3)
	buffer_store_dword v62, off, s[0:3], 0 offset:216
	s_waitcnt vmcnt(2)
	buffer_store_dword v63, off, s[0:3], 0 offset:220
	s_waitcnt vmcnt(1)
	buffer_store_dword v64, v61, s[0:3], 0 offen
	s_waitcnt vmcnt(0)
	buffer_store_dword v65, v61, s[0:3], 0 offen offset:4
.LBB93_198:
	global_load_dword v0, v0, s[12:13] offset:104
	s_waitcnt vmcnt(0)
	v_add_nc_u32_e32 v0, -1, v0
	v_cmp_eq_u32_e32 vcc_lo, 26, v0
	s_cbranch_vccnz .LBB93_200
; %bb.199:
	v_lshlrev_b32_e32 v0, 3, v0
	s_clause 0x3
	buffer_load_dword v61, v0, s[0:3], 0 offen
	buffer_load_dword v62, v0, s[0:3], 0 offen offset:4
	buffer_load_dword v63, off, s[0:3], 0 offset:212
	buffer_load_dword v64, off, s[0:3], 0 offset:208
	s_waitcnt vmcnt(3)
	buffer_store_dword v61, off, s[0:3], 0 offset:208
	s_waitcnt vmcnt(2)
	buffer_store_dword v62, off, s[0:3], 0 offset:212
	s_waitcnt vmcnt(1)
	buffer_store_dword v63, v0, s[0:3], 0 offen offset:4
	s_waitcnt vmcnt(0)
	buffer_store_dword v64, v0, s[0:3], 0 offen
.LBB93_200:
	v_mov_b32_e32 v0, 0
	global_load_dword v61, v0, s[12:13] offset:100
	s_waitcnt vmcnt(0)
	v_add_nc_u32_e32 v61, -1, v61
	v_cmp_eq_u32_e32 vcc_lo, 25, v61
	s_cbranch_vccnz .LBB93_202
; %bb.201:
	v_lshlrev_b32_e32 v61, 3, v61
	s_clause 0x3
	buffer_load_dword v62, v61, s[0:3], 0 offen
	buffer_load_dword v63, v61, s[0:3], 0 offen offset:4
	buffer_load_dword v64, off, s[0:3], 0 offset:200
	buffer_load_dword v65, off, s[0:3], 0 offset:204
	s_waitcnt vmcnt(3)
	buffer_store_dword v62, off, s[0:3], 0 offset:200
	s_waitcnt vmcnt(2)
	buffer_store_dword v63, off, s[0:3], 0 offset:204
	s_waitcnt vmcnt(1)
	buffer_store_dword v64, v61, s[0:3], 0 offen
	s_waitcnt vmcnt(0)
	buffer_store_dword v65, v61, s[0:3], 0 offen offset:4
.LBB93_202:
	global_load_dword v0, v0, s[12:13] offset:96
	s_waitcnt vmcnt(0)
	v_add_nc_u32_e32 v0, -1, v0
	v_cmp_eq_u32_e32 vcc_lo, 24, v0
	s_cbranch_vccnz .LBB93_204
; %bb.203:
	v_lshlrev_b32_e32 v0, 3, v0
	s_clause 0x3
	buffer_load_dword v61, v0, s[0:3], 0 offen
	buffer_load_dword v62, v0, s[0:3], 0 offen offset:4
	buffer_load_dword v63, off, s[0:3], 0 offset:196
	buffer_load_dword v64, off, s[0:3], 0 offset:192
	s_waitcnt vmcnt(3)
	buffer_store_dword v61, off, s[0:3], 0 offset:192
	s_waitcnt vmcnt(2)
	buffer_store_dword v62, off, s[0:3], 0 offset:196
	s_waitcnt vmcnt(1)
	buffer_store_dword v63, v0, s[0:3], 0 offen offset:4
	s_waitcnt vmcnt(0)
	buffer_store_dword v64, v0, s[0:3], 0 offen
.LBB93_204:
	;; [unrolled: 43-line block ×13, first 2 shown]
	v_mov_b32_e32 v0, 0
	global_load_dword v61, v0, s[12:13] offset:4
	s_waitcnt vmcnt(0)
	v_add_nc_u32_e32 v61, -1, v61
	v_cmp_eq_u32_e32 vcc_lo, 1, v61
	s_cbranch_vccnz .LBB93_250
; %bb.249:
	v_lshlrev_b32_e32 v61, 3, v61
	s_clause 0x3
	buffer_load_dword v62, v61, s[0:3], 0 offen
	buffer_load_dword v63, v61, s[0:3], 0 offen offset:4
	buffer_load_dword v64, off, s[0:3], 0 offset:8
	buffer_load_dword v65, off, s[0:3], 0 offset:12
	s_waitcnt vmcnt(3)
	buffer_store_dword v62, off, s[0:3], 0 offset:8
	s_waitcnt vmcnt(2)
	buffer_store_dword v63, off, s[0:3], 0 offset:12
	s_waitcnt vmcnt(1)
	buffer_store_dword v64, v61, s[0:3], 0 offen
	s_waitcnt vmcnt(0)
	buffer_store_dword v65, v61, s[0:3], 0 offen offset:4
.LBB93_250:
	global_load_dword v0, v0, s[12:13]
	s_waitcnt vmcnt(0)
	v_add_nc_u32_e32 v0, -1, v0
	v_cmp_eq_u32_e32 vcc_lo, 0, v0
	s_cbranch_vccnz .LBB93_252
; %bb.251:
	v_lshlrev_b32_e32 v0, 3, v0
	s_clause 0x3
	buffer_load_dword v61, v0, s[0:3], 0 offen
	buffer_load_dword v62, v0, s[0:3], 0 offen offset:4
	buffer_load_dword v63, off, s[0:3], 0 offset:4
	buffer_load_dword v64, off, s[0:3], 0
	s_waitcnt vmcnt(3)
	buffer_store_dword v61, off, s[0:3], 0
	s_waitcnt vmcnt(2)
	buffer_store_dword v62, off, s[0:3], 0 offset:4
	s_waitcnt vmcnt(1)
	buffer_store_dword v63, v0, s[0:3], 0 offen offset:4
	s_waitcnt vmcnt(0)
	buffer_store_dword v64, v0, s[0:3], 0 offen
.LBB93_252:
	s_clause 0x1
	buffer_load_dword v61, off, s[0:3], 0
	buffer_load_dword v62, off, s[0:3], 0 offset:4
	s_waitcnt vmcnt(0)
	flat_store_dwordx2 v[1:2], v[61:62]
	s_clause 0x1
	buffer_load_dword v0, off, s[0:3], 0 offset:8
	buffer_load_dword v1, off, s[0:3], 0 offset:12
	s_waitcnt vmcnt(0)
	flat_store_dwordx2 v[3:4], v[0:1]
	s_clause 0x1
	buffer_load_dword v0, off, s[0:3], 0 offset:16
	;; [unrolled: 5-line block ×29, first 2 shown]
	buffer_load_dword v1, off, s[0:3], 0 offset:236
	s_waitcnt vmcnt(0)
	flat_store_dwordx2 v[59:60], v[0:1]
	s_endpgm
	.section	.rodata,"a",@progbits
	.p2align	6, 0x0
	.amdhsa_kernel _ZN9rocsolver6v33100L18getri_kernel_smallILi30E19rocblas_complex_numIfEPKPS3_EEvT1_iilPiilS8_bb
		.amdhsa_group_segment_fixed_size 484
		.amdhsa_private_segment_fixed_size 256
		.amdhsa_kernarg_size 60
		.amdhsa_user_sgpr_count 6
		.amdhsa_user_sgpr_private_segment_buffer 1
		.amdhsa_user_sgpr_dispatch_ptr 0
		.amdhsa_user_sgpr_queue_ptr 0
		.amdhsa_user_sgpr_kernarg_segment_ptr 1
		.amdhsa_user_sgpr_dispatch_id 0
		.amdhsa_user_sgpr_flat_scratch_init 0
		.amdhsa_user_sgpr_private_segment_size 0
		.amdhsa_wavefront_size32 1
		.amdhsa_uses_dynamic_stack 0
		.amdhsa_system_sgpr_private_segment_wavefront_offset 1
		.amdhsa_system_sgpr_workgroup_id_x 1
		.amdhsa_system_sgpr_workgroup_id_y 0
		.amdhsa_system_sgpr_workgroup_id_z 0
		.amdhsa_system_sgpr_workgroup_info 0
		.amdhsa_system_vgpr_workitem_id 0
		.amdhsa_next_free_vgpr 208
		.amdhsa_next_free_sgpr 20
		.amdhsa_reserve_vcc 1
		.amdhsa_reserve_flat_scratch 0
		.amdhsa_float_round_mode_32 0
		.amdhsa_float_round_mode_16_64 0
		.amdhsa_float_denorm_mode_32 3
		.amdhsa_float_denorm_mode_16_64 3
		.amdhsa_dx10_clamp 1
		.amdhsa_ieee_mode 1
		.amdhsa_fp16_overflow 0
		.amdhsa_workgroup_processor_mode 1
		.amdhsa_memory_ordered 1
		.amdhsa_forward_progress 1
		.amdhsa_shared_vgpr_count 0
		.amdhsa_exception_fp_ieee_invalid_op 0
		.amdhsa_exception_fp_denorm_src 0
		.amdhsa_exception_fp_ieee_div_zero 0
		.amdhsa_exception_fp_ieee_overflow 0
		.amdhsa_exception_fp_ieee_underflow 0
		.amdhsa_exception_fp_ieee_inexact 0
		.amdhsa_exception_int_div_zero 0
	.end_amdhsa_kernel
	.section	.text._ZN9rocsolver6v33100L18getri_kernel_smallILi30E19rocblas_complex_numIfEPKPS3_EEvT1_iilPiilS8_bb,"axG",@progbits,_ZN9rocsolver6v33100L18getri_kernel_smallILi30E19rocblas_complex_numIfEPKPS3_EEvT1_iilPiilS8_bb,comdat
.Lfunc_end93:
	.size	_ZN9rocsolver6v33100L18getri_kernel_smallILi30E19rocblas_complex_numIfEPKPS3_EEvT1_iilPiilS8_bb, .Lfunc_end93-_ZN9rocsolver6v33100L18getri_kernel_smallILi30E19rocblas_complex_numIfEPKPS3_EEvT1_iilPiilS8_bb
                                        ; -- End function
	.set _ZN9rocsolver6v33100L18getri_kernel_smallILi30E19rocblas_complex_numIfEPKPS3_EEvT1_iilPiilS8_bb.num_vgpr, 208
	.set _ZN9rocsolver6v33100L18getri_kernel_smallILi30E19rocblas_complex_numIfEPKPS3_EEvT1_iilPiilS8_bb.num_agpr, 0
	.set _ZN9rocsolver6v33100L18getri_kernel_smallILi30E19rocblas_complex_numIfEPKPS3_EEvT1_iilPiilS8_bb.numbered_sgpr, 20
	.set _ZN9rocsolver6v33100L18getri_kernel_smallILi30E19rocblas_complex_numIfEPKPS3_EEvT1_iilPiilS8_bb.num_named_barrier, 0
	.set _ZN9rocsolver6v33100L18getri_kernel_smallILi30E19rocblas_complex_numIfEPKPS3_EEvT1_iilPiilS8_bb.private_seg_size, 256
	.set _ZN9rocsolver6v33100L18getri_kernel_smallILi30E19rocblas_complex_numIfEPKPS3_EEvT1_iilPiilS8_bb.uses_vcc, 1
	.set _ZN9rocsolver6v33100L18getri_kernel_smallILi30E19rocblas_complex_numIfEPKPS3_EEvT1_iilPiilS8_bb.uses_flat_scratch, 0
	.set _ZN9rocsolver6v33100L18getri_kernel_smallILi30E19rocblas_complex_numIfEPKPS3_EEvT1_iilPiilS8_bb.has_dyn_sized_stack, 0
	.set _ZN9rocsolver6v33100L18getri_kernel_smallILi30E19rocblas_complex_numIfEPKPS3_EEvT1_iilPiilS8_bb.has_recursion, 0
	.set _ZN9rocsolver6v33100L18getri_kernel_smallILi30E19rocblas_complex_numIfEPKPS3_EEvT1_iilPiilS8_bb.has_indirect_call, 0
	.section	.AMDGPU.csdata,"",@progbits
; Kernel info:
; codeLenInByte = 42872
; TotalNumSgprs: 22
; NumVgprs: 208
; ScratchSize: 256
; MemoryBound: 0
; FloatMode: 240
; IeeeMode: 1
; LDSByteSize: 484 bytes/workgroup (compile time only)
; SGPRBlocks: 0
; VGPRBlocks: 25
; NumSGPRsForWavesPerEU: 22
; NumVGPRsForWavesPerEU: 208
; Occupancy: 4
; WaveLimiterHint : 1
; COMPUTE_PGM_RSRC2:SCRATCH_EN: 1
; COMPUTE_PGM_RSRC2:USER_SGPR: 6
; COMPUTE_PGM_RSRC2:TRAP_HANDLER: 0
; COMPUTE_PGM_RSRC2:TGID_X_EN: 1
; COMPUTE_PGM_RSRC2:TGID_Y_EN: 0
; COMPUTE_PGM_RSRC2:TGID_Z_EN: 0
; COMPUTE_PGM_RSRC2:TIDIG_COMP_CNT: 0
	.section	.text._ZN9rocsolver6v33100L18getri_kernel_smallILi31E19rocblas_complex_numIfEPKPS3_EEvT1_iilPiilS8_bb,"axG",@progbits,_ZN9rocsolver6v33100L18getri_kernel_smallILi31E19rocblas_complex_numIfEPKPS3_EEvT1_iilPiilS8_bb,comdat
	.globl	_ZN9rocsolver6v33100L18getri_kernel_smallILi31E19rocblas_complex_numIfEPKPS3_EEvT1_iilPiilS8_bb ; -- Begin function _ZN9rocsolver6v33100L18getri_kernel_smallILi31E19rocblas_complex_numIfEPKPS3_EEvT1_iilPiilS8_bb
	.p2align	8
	.type	_ZN9rocsolver6v33100L18getri_kernel_smallILi31E19rocblas_complex_numIfEPKPS3_EEvT1_iilPiilS8_bb,@function
_ZN9rocsolver6v33100L18getri_kernel_smallILi31E19rocblas_complex_numIfEPKPS3_EEvT1_iilPiilS8_bb: ; @_ZN9rocsolver6v33100L18getri_kernel_smallILi31E19rocblas_complex_numIfEPKPS3_EEvT1_iilPiilS8_bb
; %bb.0:
	s_add_u32 s0, s0, s7
	s_addc_u32 s1, s1, 0
	s_mov_b32 s7, exec_lo
	v_cmpx_gt_u32_e32 31, v0
	s_cbranch_execz .LBB94_138
; %bb.1:
	s_clause 0x2
	s_load_dword s17, s[4:5], 0x38
	s_load_dwordx2 s[12:13], s[4:5], 0x0
	s_load_dwordx4 s[8:11], s[4:5], 0x28
	s_waitcnt lgkmcnt(0)
	s_bitcmp1_b32 s17, 8
	s_cselect_b32 s16, -1, 0
	s_ashr_i32 s7, s6, 31
	s_lshl_b64 s[14:15], s[6:7], 3
	s_add_u32 s12, s12, s14
	s_addc_u32 s13, s13, s15
	s_load_dwordx2 s[14:15], s[12:13], 0x0
	s_bfe_u32 s12, s17, 0x10008
	s_cmp_eq_u32 s12, 0
                                        ; implicit-def: $sgpr12_sgpr13
	s_cbranch_scc1 .LBB94_3
; %bb.2:
	s_clause 0x1
	s_load_dword s12, s[4:5], 0x20
	s_load_dwordx2 s[18:19], s[4:5], 0x18
	s_mul_i32 s13, s8, s7
	s_mul_hi_u32 s17, s8, s6
	s_mul_i32 s9, s9, s6
	s_add_i32 s13, s17, s13
	s_mul_i32 s8, s8, s6
	s_add_i32 s9, s13, s9
	s_lshl_b64 s[8:9], s[8:9], 2
	s_waitcnt lgkmcnt(0)
	s_ashr_i32 s13, s12, 31
	s_add_u32 s17, s18, s8
	s_addc_u32 s18, s19, s9
	s_lshl_b64 s[8:9], s[12:13], 2
	s_add_u32 s12, s17, s8
	s_addc_u32 s13, s18, s9
.LBB94_3:
	s_clause 0x1
	s_load_dwordx2 s[8:9], s[4:5], 0x8
	s_load_dword s17, s[4:5], 0x38
	v_lshlrev_b32_e32 v65, 3, v0
	s_waitcnt lgkmcnt(0)
	s_ashr_i32 s5, s8, 31
	s_mov_b32 s4, s8
	v_add3_u32 v9, s9, s9, v0
	s_lshl_b64 s[4:5], s[4:5], 3
	s_add_u32 s4, s14, s4
	s_addc_u32 s5, s15, s5
	v_add_co_u32 v1, s8, s4, v65
	v_add_co_ci_u32_e64 v2, null, s5, 0, s8
	s_mov_b32 s14, s9
	s_ashr_i32 s15, s9, 31
	v_ashrrev_i32_e32 v10, 31, v9
	flat_load_dwordx2 v[5:6], v[1:2]
	s_lshl_b64 s[14:15], s[14:15], 3
	v_add_nc_u32_e32 v12, s9, v9
	v_add_co_u32 v3, vcc_lo, v1, s14
	v_add_co_ci_u32_e64 v4, null, s15, v2, vcc_lo
	v_ashrrev_i32_e32 v13, 31, v12
	s_bitcmp0_b32 s17, 0
	s_waitcnt vmcnt(0) lgkmcnt(0)
	buffer_store_dword v6, off, s[0:3], 0 offset:4
	buffer_store_dword v5, off, s[0:3], 0
	flat_load_dwordx2 v[7:8], v[3:4]
	v_lshlrev_b64 v[5:6], 3, v[9:10]
	s_waitcnt vmcnt(0) lgkmcnt(0)
	buffer_store_dword v8, off, s[0:3], 0 offset:12
	buffer_store_dword v7, off, s[0:3], 0 offset:8
	v_add_co_u32 v5, vcc_lo, s4, v5
	v_add_co_ci_u32_e64 v6, null, s5, v6, vcc_lo
	v_lshlrev_b64 v[7:8], 3, v[12:13]
	flat_load_dwordx2 v[10:11], v[5:6]
	s_waitcnt vmcnt(0) lgkmcnt(0)
	buffer_store_dword v11, off, s[0:3], 0 offset:20
	buffer_store_dword v10, off, s[0:3], 0 offset:16
	v_add_co_u32 v7, vcc_lo, s4, v7
	v_add_co_ci_u32_e64 v8, null, s5, v8, vcc_lo
	v_add_nc_u32_e32 v11, s9, v12
	flat_load_dwordx2 v[13:14], v[7:8]
	s_waitcnt vmcnt(0) lgkmcnt(0)
	buffer_store_dword v14, off, s[0:3], 0 offset:28
	buffer_store_dword v13, off, s[0:3], 0 offset:24
	v_ashrrev_i32_e32 v12, 31, v11
	v_add_nc_u32_e32 v15, s9, v11
	v_lshlrev_b64 v[9:10], 3, v[11:12]
	v_ashrrev_i32_e32 v16, 31, v15
	v_add_nc_u32_e32 v18, s9, v15
	v_add_co_u32 v9, vcc_lo, s4, v9
	v_add_co_ci_u32_e64 v10, null, s5, v10, vcc_lo
	v_lshlrev_b64 v[11:12], 3, v[15:16]
	v_ashrrev_i32_e32 v19, 31, v18
	flat_load_dwordx2 v[13:14], v[9:10]
	s_waitcnt vmcnt(0) lgkmcnt(0)
	buffer_store_dword v14, off, s[0:3], 0 offset:36
	buffer_store_dword v13, off, s[0:3], 0 offset:32
	v_add_co_u32 v11, vcc_lo, s4, v11
	v_add_co_ci_u32_e64 v12, null, s5, v12, vcc_lo
	v_lshlrev_b64 v[13:14], 3, v[18:19]
	flat_load_dwordx2 v[16:17], v[11:12]
	s_waitcnt vmcnt(0) lgkmcnt(0)
	buffer_store_dword v17, off, s[0:3], 0 offset:44
	buffer_store_dword v16, off, s[0:3], 0 offset:40
	v_add_co_u32 v13, vcc_lo, s4, v13
	v_add_co_ci_u32_e64 v14, null, s5, v14, vcc_lo
	v_add_nc_u32_e32 v17, s9, v18
	flat_load_dwordx2 v[19:20], v[13:14]
	s_waitcnt vmcnt(0) lgkmcnt(0)
	buffer_store_dword v20, off, s[0:3], 0 offset:52
	buffer_store_dword v19, off, s[0:3], 0 offset:48
	v_ashrrev_i32_e32 v18, 31, v17
	v_add_nc_u32_e32 v21, s9, v17
	v_lshlrev_b64 v[15:16], 3, v[17:18]
	v_ashrrev_i32_e32 v22, 31, v21
	v_add_nc_u32_e32 v24, s9, v21
	v_add_co_u32 v15, vcc_lo, s4, v15
	v_add_co_ci_u32_e64 v16, null, s5, v16, vcc_lo
	v_lshlrev_b64 v[17:18], 3, v[21:22]
	v_ashrrev_i32_e32 v25, 31, v24
	flat_load_dwordx2 v[19:20], v[15:16]
	;; [unrolled: 27-line block ×8, first 2 shown]
	s_waitcnt vmcnt(0) lgkmcnt(0)
	buffer_store_dword v56, off, s[0:3], 0 offset:204
	buffer_store_dword v55, off, s[0:3], 0 offset:200
	v_add_co_u32 v53, vcc_lo, s4, v53
	v_add_co_ci_u32_e64 v54, null, s5, v54, vcc_lo
	v_lshlrev_b64 v[55:56], 3, v[60:61]
	flat_load_dwordx2 v[58:59], v[53:54]
	s_waitcnt vmcnt(0) lgkmcnt(0)
	buffer_store_dword v59, off, s[0:3], 0 offset:212
	buffer_store_dword v58, off, s[0:3], 0 offset:208
	v_add_co_u32 v55, vcc_lo, s4, v55
	v_add_co_ci_u32_e64 v56, null, s5, v56, vcc_lo
	v_add_nc_u32_e32 v59, s9, v60
	flat_load_dwordx2 v[61:62], v[55:56]
	s_waitcnt vmcnt(0) lgkmcnt(0)
	buffer_store_dword v62, off, s[0:3], 0 offset:220
	buffer_store_dword v61, off, s[0:3], 0 offset:216
	v_ashrrev_i32_e32 v60, 31, v59
	v_add_nc_u32_e32 v63, s9, v59
	v_lshlrev_b64 v[57:58], 3, v[59:60]
	v_ashrrev_i32_e32 v64, 31, v63
	v_add_co_u32 v57, vcc_lo, s4, v57
	v_add_co_ci_u32_e64 v58, null, s5, v58, vcc_lo
	v_lshlrev_b64 v[59:60], 3, v[63:64]
	flat_load_dwordx2 v[61:62], v[57:58]
	s_waitcnt vmcnt(0) lgkmcnt(0)
	buffer_store_dword v62, off, s[0:3], 0 offset:228
	buffer_store_dword v61, off, s[0:3], 0 offset:224
	v_add_co_u32 v59, vcc_lo, s4, v59
	v_add_co_ci_u32_e64 v60, null, s5, v60, vcc_lo
	v_add_nc_u32_e32 v61, s9, v63
	flat_load_dwordx2 v[66:67], v[59:60]
	s_waitcnt vmcnt(0) lgkmcnt(0)
	buffer_store_dword v67, off, s[0:3], 0 offset:236
	buffer_store_dword v66, off, s[0:3], 0 offset:232
	v_ashrrev_i32_e32 v62, 31, v61
	v_lshlrev_b64 v[61:62], 3, v[61:62]
	v_add_co_u32 v61, vcc_lo, s4, v61
	v_add_co_ci_u32_e64 v62, null, s5, v62, vcc_lo
	s_mov_b32 s5, -1
	flat_load_dwordx2 v[63:64], v[61:62]
	s_waitcnt vmcnt(0) lgkmcnt(0)
	buffer_store_dword v64, off, s[0:3], 0 offset:244
	buffer_store_dword v63, off, s[0:3], 0 offset:240
	s_cbranch_scc1 .LBB94_136
; %bb.4:
	v_cmp_eq_u32_e64 s4, 0, v0
	s_and_saveexec_b32 s5, s4
; %bb.5:
	v_mov_b32_e32 v63, 0
	ds_write_b32 v63, v63 offset:248
; %bb.6:
	s_or_b32 exec_lo, exec_lo, s5
	v_lshl_add_u32 v67, v0, 3, 0
	s_waitcnt lgkmcnt(0)
	s_waitcnt_vscnt null, 0x0
	s_barrier
	buffer_gl0_inv
	s_clause 0x1
	buffer_load_dword v63, v67, s[0:3], 0 offen
	buffer_load_dword v64, v67, s[0:3], 0 offen offset:4
	s_waitcnt vmcnt(1)
	v_cmp_eq_f32_e32 vcc_lo, 0, v63
	s_waitcnt vmcnt(0)
	v_cmp_eq_f32_e64 s5, 0, v64
	s_and_b32 s5, vcc_lo, s5
	s_and_saveexec_b32 s8, s5
	s_cbranch_execz .LBB94_10
; %bb.7:
	v_mov_b32_e32 v63, 0
	s_mov_b32 s9, 0
	ds_read_b32 v64, v63 offset:248
	s_waitcnt lgkmcnt(0)
	v_readfirstlane_b32 s5, v64
	v_add_nc_u32_e32 v64, 1, v0
	s_cmp_eq_u32 s5, 0
	v_cmp_gt_i32_e32 vcc_lo, s5, v64
	s_cselect_b32 s14, -1, 0
	s_or_b32 s14, s14, vcc_lo
	s_and_b32 exec_lo, exec_lo, s14
	s_cbranch_execz .LBB94_10
; %bb.8:
	v_mov_b32_e32 v66, s5
.LBB94_9:                               ; =>This Inner Loop Header: Depth=1
	ds_cmpst_rtn_b32 v66, v63, v66, v64 offset:248
	s_waitcnt lgkmcnt(0)
	v_cmp_ne_u32_e32 vcc_lo, 0, v66
	v_cmp_le_i32_e64 s5, v66, v64
	s_and_b32 s5, vcc_lo, s5
	s_and_b32 s5, exec_lo, s5
	s_or_b32 s9, s5, s9
	s_andn2_b32 exec_lo, exec_lo, s9
	s_cbranch_execnz .LBB94_9
.LBB94_10:
	s_or_b32 exec_lo, exec_lo, s8
	v_mov_b32_e32 v63, 0
	s_barrier
	buffer_gl0_inv
	ds_read_b32 v64, v63 offset:248
	s_and_saveexec_b32 s5, s4
	s_cbranch_execz .LBB94_12
; %bb.11:
	s_lshl_b64 s[8:9], s[6:7], 2
	s_add_u32 s8, s10, s8
	s_addc_u32 s9, s11, s9
	s_waitcnt lgkmcnt(0)
	global_store_dword v63, v64, s[8:9]
.LBB94_12:
	s_or_b32 exec_lo, exec_lo, s5
	s_waitcnt lgkmcnt(0)
	v_cmp_ne_u32_e32 vcc_lo, 0, v64
	s_mov_b32 s5, 0
	s_cbranch_vccnz .LBB94_136
; %bb.13:
	s_clause 0x1
	buffer_load_dword v64, v67, s[0:3], 0 offen
	buffer_load_dword v66, v67, s[0:3], 0 offen offset:4
                                        ; implicit-def: $vgpr69
                                        ; implicit-def: $vgpr68
                                        ; implicit-def: $vgpr63
	s_waitcnt vmcnt(0)
	v_cmp_ngt_f32_e64 s5, |v64|, |v66|
	s_and_saveexec_b32 s8, s5
	s_xor_b32 s5, exec_lo, s8
	s_cbranch_execz .LBB94_15
; %bb.14:
	v_div_scale_f32 v63, null, v66, v66, v64
	v_div_scale_f32 v70, vcc_lo, v64, v66, v64
	v_rcp_f32_e32 v68, v63
	v_fma_f32 v69, -v63, v68, 1.0
	v_fmac_f32_e32 v68, v69, v68
	v_mul_f32_e32 v69, v70, v68
	v_fma_f32 v71, -v63, v69, v70
	v_fmac_f32_e32 v69, v71, v68
	v_fma_f32 v63, -v63, v69, v70
	v_div_fmas_f32 v63, v63, v68, v69
	v_div_fixup_f32 v63, v63, v66, v64
	v_fmac_f32_e32 v66, v64, v63
	v_div_scale_f32 v64, null, v66, v66, 1.0
	v_rcp_f32_e32 v68, v64
	v_fma_f32 v69, -v64, v68, 1.0
	v_fmac_f32_e32 v68, v69, v68
	v_div_scale_f32 v69, vcc_lo, 1.0, v66, 1.0
	v_mul_f32_e32 v70, v69, v68
	v_fma_f32 v71, -v64, v70, v69
	v_fmac_f32_e32 v70, v71, v68
	v_fma_f32 v64, -v64, v70, v69
	v_div_fmas_f32 v64, v64, v68, v70
	v_div_fixup_f32 v64, v64, v66, 1.0
                                        ; implicit-def: $vgpr66
	v_mul_f32_e32 v69, v63, v64
	v_xor_b32_e32 v68, 0x80000000, v64
                                        ; implicit-def: $vgpr64
	v_xor_b32_e32 v63, 0x80000000, v69
.LBB94_15:
	s_andn2_saveexec_b32 s5, s5
	s_cbranch_execz .LBB94_17
; %bb.16:
	v_div_scale_f32 v63, null, v64, v64, v66
	v_div_scale_f32 v70, vcc_lo, v66, v64, v66
	v_rcp_f32_e32 v68, v63
	v_fma_f32 v69, -v63, v68, 1.0
	v_fmac_f32_e32 v68, v69, v68
	v_mul_f32_e32 v69, v70, v68
	v_fma_f32 v71, -v63, v69, v70
	v_fmac_f32_e32 v69, v71, v68
	v_fma_f32 v63, -v63, v69, v70
	v_div_fmas_f32 v63, v63, v68, v69
	v_div_fixup_f32 v68, v63, v64, v66
	v_fmac_f32_e32 v64, v66, v68
	v_div_scale_f32 v63, null, v64, v64, 1.0
	v_div_scale_f32 v70, vcc_lo, 1.0, v64, 1.0
	v_rcp_f32_e32 v66, v63
	v_fma_f32 v69, -v63, v66, 1.0
	v_fmac_f32_e32 v66, v69, v66
	v_mul_f32_e32 v69, v70, v66
	v_fma_f32 v71, -v63, v69, v70
	v_fmac_f32_e32 v69, v71, v66
	v_fma_f32 v63, -v63, v69, v70
	v_div_fmas_f32 v63, v63, v66, v69
	v_div_fixup_f32 v69, v63, v64, 1.0
	v_xor_b32_e32 v63, 0x80000000, v69
	v_mul_f32_e64 v68, v68, -v69
.LBB94_17:
	s_or_b32 exec_lo, exec_lo, s5
	buffer_store_dword v69, v67, s[0:3], 0 offen
	buffer_store_dword v68, v67, s[0:3], 0 offen offset:4
	s_clause 0x1
	buffer_load_dword v70, off, s[0:3], 0 offset:12
	buffer_load_dword v69, off, s[0:3], 0 offset:8
	v_xor_b32_e32 v64, 0x80000000, v68
	v_add_nc_u32_e32 v66, 0x100, v65
	s_waitcnt vmcnt(0)
	ds_write2_b64 v65, v[63:64], v[69:70] offset1:32
	s_waitcnt lgkmcnt(0)
	s_waitcnt_vscnt null, 0x0
	s_barrier
	buffer_gl0_inv
	s_and_saveexec_b32 s5, s4
	s_cbranch_execz .LBB94_19
; %bb.18:
	s_clause 0x1
	buffer_load_dword v70, v67, s[0:3], 0 offen offset:4
	buffer_load_dword v71, v67, s[0:3], 0 offen
	ds_read_b64 v[63:64], v66
	v_mov_b32_e32 v68, 0
	ds_read_b64 v[68:69], v68 offset:8
	s_waitcnt vmcnt(1) lgkmcnt(1)
	v_mul_f32_e32 v72, v63, v70
	v_mul_f32_e32 v70, v64, v70
	s_waitcnt vmcnt(0)
	v_fmac_f32_e32 v72, v64, v71
	v_fma_f32 v63, v63, v71, -v70
	v_add_f32_e32 v64, 0, v72
	v_add_f32_e32 v63, 0, v63
	s_waitcnt lgkmcnt(0)
	v_mul_f32_e32 v70, v64, v69
	v_mul_f32_e32 v69, v63, v69
	v_fma_f32 v63, v63, v68, -v70
	v_fmac_f32_e32 v69, v64, v68
	buffer_store_dword v63, off, s[0:3], 0 offset:8
	buffer_store_dword v69, off, s[0:3], 0 offset:12
.LBB94_19:
	s_or_b32 exec_lo, exec_lo, s5
	s_waitcnt_vscnt null, 0x0
	s_barrier
	buffer_gl0_inv
	s_clause 0x1
	buffer_load_dword v63, off, s[0:3], 0 offset:16
	buffer_load_dword v64, off, s[0:3], 0 offset:20
	s_mov_b32 s5, exec_lo
	s_waitcnt vmcnt(0)
	ds_write_b64 v66, v[63:64]
	s_waitcnt lgkmcnt(0)
	s_barrier
	buffer_gl0_inv
	v_cmpx_gt_u32_e32 2, v0
	s_cbranch_execz .LBB94_23
; %bb.20:
	s_clause 0x1
	buffer_load_dword v68, v67, s[0:3], 0 offen offset:4
	buffer_load_dword v67, v67, s[0:3], 0 offen
	ds_read_b64 v[63:64], v66
	s_waitcnt vmcnt(1) lgkmcnt(0)
	v_mul_f32_e32 v69, v64, v68
	v_mul_f32_e32 v68, v63, v68
	s_waitcnt vmcnt(0)
	v_fma_f32 v63, v63, v67, -v69
	v_fmac_f32_e32 v68, v64, v67
	v_add_f32_e32 v64, 0, v63
	v_add_f32_e32 v63, 0, v68
	s_and_saveexec_b32 s8, s4
	s_cbranch_execz .LBB94_22
; %bb.21:
	s_clause 0x1
	buffer_load_dword v69, off, s[0:3], 0 offset:12
	buffer_load_dword v70, off, s[0:3], 0 offset:8
	v_mov_b32_e32 v67, 0
	ds_read_b64 v[67:68], v67 offset:264
	s_waitcnt vmcnt(1) lgkmcnt(0)
	v_mul_f32_e32 v71, v67, v69
	v_mul_f32_e32 v69, v68, v69
	s_waitcnt vmcnt(0)
	v_fmac_f32_e32 v71, v68, v70
	v_fma_f32 v67, v67, v70, -v69
	v_add_f32_e32 v63, v63, v71
	v_add_f32_e32 v64, v64, v67
.LBB94_22:
	s_or_b32 exec_lo, exec_lo, s8
	v_mov_b32_e32 v67, 0
	ds_read_b64 v[67:68], v67 offset:16
	s_waitcnt lgkmcnt(0)
	v_mul_f32_e32 v69, v63, v68
	v_mul_f32_e32 v68, v64, v68
	v_fma_f32 v64, v64, v67, -v69
	v_fmac_f32_e32 v68, v63, v67
	buffer_store_dword v64, off, s[0:3], 0 offset:16
	buffer_store_dword v68, off, s[0:3], 0 offset:20
.LBB94_23:
	s_or_b32 exec_lo, exec_lo, s5
	s_waitcnt_vscnt null, 0x0
	s_barrier
	buffer_gl0_inv
	s_clause 0x1
	buffer_load_dword v67, off, s[0:3], 0 offset:24
	buffer_load_dword v68, off, s[0:3], 0 offset:28
	v_add_nc_u32_e32 v63, -1, v0
	s_mov_b32 s4, exec_lo
	s_waitcnt vmcnt(0)
	ds_write_b64 v66, v[67:68]
	s_waitcnt lgkmcnt(0)
	s_barrier
	buffer_gl0_inv
	v_cmpx_gt_u32_e32 3, v0
	s_cbranch_execz .LBB94_27
; %bb.24:
	v_add_nc_u32_e32 v67, -1, v0
	v_add_nc_u32_e32 v68, 0x100, v65
	v_mov_b32_e32 v69, v65
	v_mov_b32_e32 v64, 0
	v_mov_b32_e32 v70, 0
	s_mov_b32 s5, 0
	.p2align	6
.LBB94_25:                              ; =>This Inner Loop Header: Depth=1
	s_clause 0x1
	buffer_load_dword v73, v69, s[0:3], 0 offen offset:4
	buffer_load_dword v74, v69, s[0:3], 0 offen
	ds_read_b64 v[71:72], v68
	v_add_nc_u32_e32 v67, 1, v67
	v_add_nc_u32_e32 v68, 8, v68
	v_add_nc_u32_e32 v69, 8, v69
	v_cmp_lt_u32_e32 vcc_lo, 1, v67
	s_or_b32 s5, vcc_lo, s5
	s_waitcnt vmcnt(1) lgkmcnt(0)
	v_mul_f32_e32 v75, v72, v73
	v_mul_f32_e32 v73, v71, v73
	s_waitcnt vmcnt(0)
	v_fma_f32 v71, v71, v74, -v75
	v_fmac_f32_e32 v73, v72, v74
	v_add_f32_e32 v70, v70, v71
	v_add_f32_e32 v64, v64, v73
	s_andn2_b32 exec_lo, exec_lo, s5
	s_cbranch_execnz .LBB94_25
; %bb.26:
	s_or_b32 exec_lo, exec_lo, s5
	v_mov_b32_e32 v67, 0
	ds_read_b64 v[67:68], v67 offset:24
	s_waitcnt lgkmcnt(0)
	v_mul_f32_e32 v69, v64, v68
	v_mul_f32_e32 v68, v70, v68
	v_fma_f32 v69, v70, v67, -v69
	v_fmac_f32_e32 v68, v64, v67
	buffer_store_dword v69, off, s[0:3], 0 offset:24
	buffer_store_dword v68, off, s[0:3], 0 offset:28
.LBB94_27:
	s_or_b32 exec_lo, exec_lo, s4
	s_waitcnt_vscnt null, 0x0
	s_barrier
	buffer_gl0_inv
	s_clause 0x1
	buffer_load_dword v67, off, s[0:3], 0 offset:32
	buffer_load_dword v68, off, s[0:3], 0 offset:36
	s_mov_b32 s4, exec_lo
	s_waitcnt vmcnt(0)
	ds_write_b64 v66, v[67:68]
	s_waitcnt lgkmcnt(0)
	s_barrier
	buffer_gl0_inv
	v_cmpx_gt_u32_e32 4, v0
	s_cbranch_execz .LBB94_31
; %bb.28:
	v_add_nc_u32_e32 v67, -1, v0
	v_add_nc_u32_e32 v68, 0x100, v65
	v_mov_b32_e32 v69, v65
	v_mov_b32_e32 v64, 0
	;; [unrolled: 1-line block ×3, first 2 shown]
	s_mov_b32 s5, 0
	.p2align	6
.LBB94_29:                              ; =>This Inner Loop Header: Depth=1
	s_clause 0x1
	buffer_load_dword v73, v69, s[0:3], 0 offen offset:4
	buffer_load_dword v74, v69, s[0:3], 0 offen
	ds_read_b64 v[71:72], v68
	v_add_nc_u32_e32 v67, 1, v67
	v_add_nc_u32_e32 v68, 8, v68
	;; [unrolled: 1-line block ×3, first 2 shown]
	v_cmp_lt_u32_e32 vcc_lo, 2, v67
	s_or_b32 s5, vcc_lo, s5
	s_waitcnt vmcnt(1) lgkmcnt(0)
	v_mul_f32_e32 v75, v72, v73
	v_mul_f32_e32 v73, v71, v73
	s_waitcnt vmcnt(0)
	v_fma_f32 v71, v71, v74, -v75
	v_fmac_f32_e32 v73, v72, v74
	v_add_f32_e32 v70, v70, v71
	v_add_f32_e32 v64, v64, v73
	s_andn2_b32 exec_lo, exec_lo, s5
	s_cbranch_execnz .LBB94_29
; %bb.30:
	s_or_b32 exec_lo, exec_lo, s5
	v_mov_b32_e32 v67, 0
	ds_read_b64 v[67:68], v67 offset:32
	s_waitcnt lgkmcnt(0)
	v_mul_f32_e32 v69, v64, v68
	v_mul_f32_e32 v68, v70, v68
	v_fma_f32 v69, v70, v67, -v69
	v_fmac_f32_e32 v68, v64, v67
	buffer_store_dword v69, off, s[0:3], 0 offset:32
	buffer_store_dword v68, off, s[0:3], 0 offset:36
.LBB94_31:
	s_or_b32 exec_lo, exec_lo, s4
	s_waitcnt_vscnt null, 0x0
	s_barrier
	buffer_gl0_inv
	s_clause 0x1
	buffer_load_dword v67, off, s[0:3], 0 offset:40
	buffer_load_dword v68, off, s[0:3], 0 offset:44
	s_mov_b32 s4, exec_lo
	s_waitcnt vmcnt(0)
	ds_write_b64 v66, v[67:68]
	s_waitcnt lgkmcnt(0)
	s_barrier
	buffer_gl0_inv
	v_cmpx_gt_u32_e32 5, v0
	s_cbranch_execz .LBB94_35
; %bb.32:
	v_add_nc_u32_e32 v67, -1, v0
	v_add_nc_u32_e32 v68, 0x100, v65
	v_mov_b32_e32 v69, v65
	v_mov_b32_e32 v64, 0
	;; [unrolled: 1-line block ×3, first 2 shown]
	s_mov_b32 s5, 0
	.p2align	6
.LBB94_33:                              ; =>This Inner Loop Header: Depth=1
	s_clause 0x1
	buffer_load_dword v73, v69, s[0:3], 0 offen offset:4
	buffer_load_dword v74, v69, s[0:3], 0 offen
	ds_read_b64 v[71:72], v68
	v_add_nc_u32_e32 v67, 1, v67
	v_add_nc_u32_e32 v68, 8, v68
	;; [unrolled: 1-line block ×3, first 2 shown]
	v_cmp_lt_u32_e32 vcc_lo, 3, v67
	s_or_b32 s5, vcc_lo, s5
	s_waitcnt vmcnt(1) lgkmcnt(0)
	v_mul_f32_e32 v75, v72, v73
	v_mul_f32_e32 v73, v71, v73
	s_waitcnt vmcnt(0)
	v_fma_f32 v71, v71, v74, -v75
	v_fmac_f32_e32 v73, v72, v74
	v_add_f32_e32 v70, v70, v71
	v_add_f32_e32 v64, v64, v73
	s_andn2_b32 exec_lo, exec_lo, s5
	s_cbranch_execnz .LBB94_33
; %bb.34:
	s_or_b32 exec_lo, exec_lo, s5
	v_mov_b32_e32 v67, 0
	ds_read_b64 v[67:68], v67 offset:40
	s_waitcnt lgkmcnt(0)
	v_mul_f32_e32 v69, v64, v68
	v_mul_f32_e32 v68, v70, v68
	v_fma_f32 v69, v70, v67, -v69
	v_fmac_f32_e32 v68, v64, v67
	buffer_store_dword v69, off, s[0:3], 0 offset:40
	buffer_store_dword v68, off, s[0:3], 0 offset:44
.LBB94_35:
	s_or_b32 exec_lo, exec_lo, s4
	s_waitcnt_vscnt null, 0x0
	s_barrier
	buffer_gl0_inv
	s_clause 0x1
	buffer_load_dword v67, off, s[0:3], 0 offset:48
	buffer_load_dword v68, off, s[0:3], 0 offset:52
	s_mov_b32 s4, exec_lo
	s_waitcnt vmcnt(0)
	ds_write_b64 v66, v[67:68]
	s_waitcnt lgkmcnt(0)
	s_barrier
	buffer_gl0_inv
	v_cmpx_gt_u32_e32 6, v0
	s_cbranch_execz .LBB94_39
; %bb.36:
	v_add_nc_u32_e32 v67, -1, v0
	v_add_nc_u32_e32 v68, 0x100, v65
	v_mov_b32_e32 v69, v65
	v_mov_b32_e32 v64, 0
	;; [unrolled: 1-line block ×3, first 2 shown]
	s_mov_b32 s5, 0
	.p2align	6
.LBB94_37:                              ; =>This Inner Loop Header: Depth=1
	s_clause 0x1
	buffer_load_dword v73, v69, s[0:3], 0 offen offset:4
	buffer_load_dword v74, v69, s[0:3], 0 offen
	ds_read_b64 v[71:72], v68
	v_add_nc_u32_e32 v67, 1, v67
	v_add_nc_u32_e32 v68, 8, v68
	;; [unrolled: 1-line block ×3, first 2 shown]
	v_cmp_lt_u32_e32 vcc_lo, 4, v67
	s_or_b32 s5, vcc_lo, s5
	s_waitcnt vmcnt(1) lgkmcnt(0)
	v_mul_f32_e32 v75, v72, v73
	v_mul_f32_e32 v73, v71, v73
	s_waitcnt vmcnt(0)
	v_fma_f32 v71, v71, v74, -v75
	v_fmac_f32_e32 v73, v72, v74
	v_add_f32_e32 v70, v70, v71
	v_add_f32_e32 v64, v64, v73
	s_andn2_b32 exec_lo, exec_lo, s5
	s_cbranch_execnz .LBB94_37
; %bb.38:
	s_or_b32 exec_lo, exec_lo, s5
	v_mov_b32_e32 v67, 0
	ds_read_b64 v[67:68], v67 offset:48
	s_waitcnt lgkmcnt(0)
	v_mul_f32_e32 v69, v64, v68
	v_mul_f32_e32 v68, v70, v68
	v_fma_f32 v69, v70, v67, -v69
	v_fmac_f32_e32 v68, v64, v67
	buffer_store_dword v69, off, s[0:3], 0 offset:48
	buffer_store_dword v68, off, s[0:3], 0 offset:52
.LBB94_39:
	s_or_b32 exec_lo, exec_lo, s4
	s_waitcnt_vscnt null, 0x0
	s_barrier
	buffer_gl0_inv
	s_clause 0x1
	buffer_load_dword v67, off, s[0:3], 0 offset:56
	buffer_load_dword v68, off, s[0:3], 0 offset:60
	s_mov_b32 s4, exec_lo
	s_waitcnt vmcnt(0)
	ds_write_b64 v66, v[67:68]
	s_waitcnt lgkmcnt(0)
	s_barrier
	buffer_gl0_inv
	v_cmpx_gt_u32_e32 7, v0
	s_cbranch_execz .LBB94_43
; %bb.40:
	v_add_nc_u32_e32 v67, -1, v0
	v_add_nc_u32_e32 v68, 0x100, v65
	v_mov_b32_e32 v69, v65
	v_mov_b32_e32 v64, 0
	;; [unrolled: 1-line block ×3, first 2 shown]
	s_mov_b32 s5, 0
	.p2align	6
.LBB94_41:                              ; =>This Inner Loop Header: Depth=1
	s_clause 0x1
	buffer_load_dword v73, v69, s[0:3], 0 offen offset:4
	buffer_load_dword v74, v69, s[0:3], 0 offen
	ds_read_b64 v[71:72], v68
	v_add_nc_u32_e32 v67, 1, v67
	v_add_nc_u32_e32 v68, 8, v68
	;; [unrolled: 1-line block ×3, first 2 shown]
	v_cmp_lt_u32_e32 vcc_lo, 5, v67
	s_or_b32 s5, vcc_lo, s5
	s_waitcnt vmcnt(1) lgkmcnt(0)
	v_mul_f32_e32 v75, v72, v73
	v_mul_f32_e32 v73, v71, v73
	s_waitcnt vmcnt(0)
	v_fma_f32 v71, v71, v74, -v75
	v_fmac_f32_e32 v73, v72, v74
	v_add_f32_e32 v70, v70, v71
	v_add_f32_e32 v64, v64, v73
	s_andn2_b32 exec_lo, exec_lo, s5
	s_cbranch_execnz .LBB94_41
; %bb.42:
	s_or_b32 exec_lo, exec_lo, s5
	v_mov_b32_e32 v67, 0
	ds_read_b64 v[67:68], v67 offset:56
	s_waitcnt lgkmcnt(0)
	v_mul_f32_e32 v69, v64, v68
	v_mul_f32_e32 v68, v70, v68
	v_fma_f32 v69, v70, v67, -v69
	v_fmac_f32_e32 v68, v64, v67
	buffer_store_dword v69, off, s[0:3], 0 offset:56
	buffer_store_dword v68, off, s[0:3], 0 offset:60
.LBB94_43:
	s_or_b32 exec_lo, exec_lo, s4
	s_waitcnt_vscnt null, 0x0
	s_barrier
	buffer_gl0_inv
	s_clause 0x1
	buffer_load_dword v67, off, s[0:3], 0 offset:64
	buffer_load_dword v68, off, s[0:3], 0 offset:68
	s_mov_b32 s4, exec_lo
	s_waitcnt vmcnt(0)
	ds_write_b64 v66, v[67:68]
	s_waitcnt lgkmcnt(0)
	s_barrier
	buffer_gl0_inv
	v_cmpx_gt_u32_e32 8, v0
	s_cbranch_execz .LBB94_47
; %bb.44:
	v_add_nc_u32_e32 v67, -1, v0
	v_add_nc_u32_e32 v68, 0x100, v65
	v_mov_b32_e32 v69, v65
	v_mov_b32_e32 v64, 0
	;; [unrolled: 1-line block ×3, first 2 shown]
	s_mov_b32 s5, 0
	.p2align	6
.LBB94_45:                              ; =>This Inner Loop Header: Depth=1
	s_clause 0x1
	buffer_load_dword v73, v69, s[0:3], 0 offen offset:4
	buffer_load_dword v74, v69, s[0:3], 0 offen
	ds_read_b64 v[71:72], v68
	v_add_nc_u32_e32 v67, 1, v67
	v_add_nc_u32_e32 v68, 8, v68
	;; [unrolled: 1-line block ×3, first 2 shown]
	v_cmp_lt_u32_e32 vcc_lo, 6, v67
	s_or_b32 s5, vcc_lo, s5
	s_waitcnt vmcnt(1) lgkmcnt(0)
	v_mul_f32_e32 v75, v72, v73
	v_mul_f32_e32 v73, v71, v73
	s_waitcnt vmcnt(0)
	v_fma_f32 v71, v71, v74, -v75
	v_fmac_f32_e32 v73, v72, v74
	v_add_f32_e32 v70, v70, v71
	v_add_f32_e32 v64, v64, v73
	s_andn2_b32 exec_lo, exec_lo, s5
	s_cbranch_execnz .LBB94_45
; %bb.46:
	s_or_b32 exec_lo, exec_lo, s5
	v_mov_b32_e32 v67, 0
	ds_read_b64 v[67:68], v67 offset:64
	s_waitcnt lgkmcnt(0)
	v_mul_f32_e32 v69, v64, v68
	v_mul_f32_e32 v68, v70, v68
	v_fma_f32 v69, v70, v67, -v69
	v_fmac_f32_e32 v68, v64, v67
	buffer_store_dword v69, off, s[0:3], 0 offset:64
	buffer_store_dword v68, off, s[0:3], 0 offset:68
.LBB94_47:
	s_or_b32 exec_lo, exec_lo, s4
	s_waitcnt_vscnt null, 0x0
	s_barrier
	buffer_gl0_inv
	s_clause 0x1
	buffer_load_dword v67, off, s[0:3], 0 offset:72
	buffer_load_dword v68, off, s[0:3], 0 offset:76
	s_mov_b32 s4, exec_lo
	s_waitcnt vmcnt(0)
	ds_write_b64 v66, v[67:68]
	s_waitcnt lgkmcnt(0)
	s_barrier
	buffer_gl0_inv
	v_cmpx_gt_u32_e32 9, v0
	s_cbranch_execz .LBB94_51
; %bb.48:
	v_add_nc_u32_e32 v67, -1, v0
	v_add_nc_u32_e32 v68, 0x100, v65
	v_mov_b32_e32 v69, v65
	v_mov_b32_e32 v64, 0
	;; [unrolled: 1-line block ×3, first 2 shown]
	s_mov_b32 s5, 0
	.p2align	6
.LBB94_49:                              ; =>This Inner Loop Header: Depth=1
	s_clause 0x1
	buffer_load_dword v73, v69, s[0:3], 0 offen offset:4
	buffer_load_dword v74, v69, s[0:3], 0 offen
	ds_read_b64 v[71:72], v68
	v_add_nc_u32_e32 v67, 1, v67
	v_add_nc_u32_e32 v68, 8, v68
	;; [unrolled: 1-line block ×3, first 2 shown]
	v_cmp_lt_u32_e32 vcc_lo, 7, v67
	s_or_b32 s5, vcc_lo, s5
	s_waitcnt vmcnt(1) lgkmcnt(0)
	v_mul_f32_e32 v75, v72, v73
	v_mul_f32_e32 v73, v71, v73
	s_waitcnt vmcnt(0)
	v_fma_f32 v71, v71, v74, -v75
	v_fmac_f32_e32 v73, v72, v74
	v_add_f32_e32 v70, v70, v71
	v_add_f32_e32 v64, v64, v73
	s_andn2_b32 exec_lo, exec_lo, s5
	s_cbranch_execnz .LBB94_49
; %bb.50:
	s_or_b32 exec_lo, exec_lo, s5
	v_mov_b32_e32 v67, 0
	ds_read_b64 v[67:68], v67 offset:72
	s_waitcnt lgkmcnt(0)
	v_mul_f32_e32 v69, v64, v68
	v_mul_f32_e32 v68, v70, v68
	v_fma_f32 v69, v70, v67, -v69
	v_fmac_f32_e32 v68, v64, v67
	buffer_store_dword v69, off, s[0:3], 0 offset:72
	buffer_store_dword v68, off, s[0:3], 0 offset:76
.LBB94_51:
	s_or_b32 exec_lo, exec_lo, s4
	s_waitcnt_vscnt null, 0x0
	s_barrier
	buffer_gl0_inv
	s_clause 0x1
	buffer_load_dword v67, off, s[0:3], 0 offset:80
	buffer_load_dword v68, off, s[0:3], 0 offset:84
	s_mov_b32 s4, exec_lo
	s_waitcnt vmcnt(0)
	ds_write_b64 v66, v[67:68]
	s_waitcnt lgkmcnt(0)
	s_barrier
	buffer_gl0_inv
	v_cmpx_gt_u32_e32 10, v0
	s_cbranch_execz .LBB94_55
; %bb.52:
	v_add_nc_u32_e32 v67, -1, v0
	v_add_nc_u32_e32 v68, 0x100, v65
	v_mov_b32_e32 v69, v65
	v_mov_b32_e32 v64, 0
	v_mov_b32_e32 v70, 0
	s_mov_b32 s5, 0
	.p2align	6
.LBB94_53:                              ; =>This Inner Loop Header: Depth=1
	s_clause 0x1
	buffer_load_dword v73, v69, s[0:3], 0 offen offset:4
	buffer_load_dword v74, v69, s[0:3], 0 offen
	ds_read_b64 v[71:72], v68
	v_add_nc_u32_e32 v67, 1, v67
	v_add_nc_u32_e32 v68, 8, v68
	;; [unrolled: 1-line block ×3, first 2 shown]
	v_cmp_lt_u32_e32 vcc_lo, 8, v67
	s_or_b32 s5, vcc_lo, s5
	s_waitcnt vmcnt(1) lgkmcnt(0)
	v_mul_f32_e32 v75, v72, v73
	v_mul_f32_e32 v73, v71, v73
	s_waitcnt vmcnt(0)
	v_fma_f32 v71, v71, v74, -v75
	v_fmac_f32_e32 v73, v72, v74
	v_add_f32_e32 v70, v70, v71
	v_add_f32_e32 v64, v64, v73
	s_andn2_b32 exec_lo, exec_lo, s5
	s_cbranch_execnz .LBB94_53
; %bb.54:
	s_or_b32 exec_lo, exec_lo, s5
	v_mov_b32_e32 v67, 0
	ds_read_b64 v[67:68], v67 offset:80
	s_waitcnt lgkmcnt(0)
	v_mul_f32_e32 v69, v64, v68
	v_mul_f32_e32 v68, v70, v68
	v_fma_f32 v69, v70, v67, -v69
	v_fmac_f32_e32 v68, v64, v67
	buffer_store_dword v69, off, s[0:3], 0 offset:80
	buffer_store_dword v68, off, s[0:3], 0 offset:84
.LBB94_55:
	s_or_b32 exec_lo, exec_lo, s4
	s_waitcnt_vscnt null, 0x0
	s_barrier
	buffer_gl0_inv
	s_clause 0x1
	buffer_load_dword v67, off, s[0:3], 0 offset:88
	buffer_load_dword v68, off, s[0:3], 0 offset:92
	s_mov_b32 s4, exec_lo
	s_waitcnt vmcnt(0)
	ds_write_b64 v66, v[67:68]
	s_waitcnt lgkmcnt(0)
	s_barrier
	buffer_gl0_inv
	v_cmpx_gt_u32_e32 11, v0
	s_cbranch_execz .LBB94_59
; %bb.56:
	v_add_nc_u32_e32 v67, -1, v0
	v_add_nc_u32_e32 v68, 0x100, v65
	v_mov_b32_e32 v69, v65
	v_mov_b32_e32 v64, 0
	;; [unrolled: 1-line block ×3, first 2 shown]
	s_mov_b32 s5, 0
	.p2align	6
.LBB94_57:                              ; =>This Inner Loop Header: Depth=1
	s_clause 0x1
	buffer_load_dword v73, v69, s[0:3], 0 offen offset:4
	buffer_load_dword v74, v69, s[0:3], 0 offen
	ds_read_b64 v[71:72], v68
	v_add_nc_u32_e32 v67, 1, v67
	v_add_nc_u32_e32 v68, 8, v68
	;; [unrolled: 1-line block ×3, first 2 shown]
	v_cmp_lt_u32_e32 vcc_lo, 9, v67
	s_or_b32 s5, vcc_lo, s5
	s_waitcnt vmcnt(1) lgkmcnt(0)
	v_mul_f32_e32 v75, v72, v73
	v_mul_f32_e32 v73, v71, v73
	s_waitcnt vmcnt(0)
	v_fma_f32 v71, v71, v74, -v75
	v_fmac_f32_e32 v73, v72, v74
	v_add_f32_e32 v70, v70, v71
	v_add_f32_e32 v64, v64, v73
	s_andn2_b32 exec_lo, exec_lo, s5
	s_cbranch_execnz .LBB94_57
; %bb.58:
	s_or_b32 exec_lo, exec_lo, s5
	v_mov_b32_e32 v67, 0
	ds_read_b64 v[67:68], v67 offset:88
	s_waitcnt lgkmcnt(0)
	v_mul_f32_e32 v69, v64, v68
	v_mul_f32_e32 v68, v70, v68
	v_fma_f32 v69, v70, v67, -v69
	v_fmac_f32_e32 v68, v64, v67
	buffer_store_dword v69, off, s[0:3], 0 offset:88
	buffer_store_dword v68, off, s[0:3], 0 offset:92
.LBB94_59:
	s_or_b32 exec_lo, exec_lo, s4
	s_waitcnt_vscnt null, 0x0
	s_barrier
	buffer_gl0_inv
	s_clause 0x1
	buffer_load_dword v67, off, s[0:3], 0 offset:96
	buffer_load_dword v68, off, s[0:3], 0 offset:100
	s_mov_b32 s4, exec_lo
	s_waitcnt vmcnt(0)
	ds_write_b64 v66, v[67:68]
	s_waitcnt lgkmcnt(0)
	s_barrier
	buffer_gl0_inv
	v_cmpx_gt_u32_e32 12, v0
	s_cbranch_execz .LBB94_63
; %bb.60:
	v_add_nc_u32_e32 v67, -1, v0
	v_add_nc_u32_e32 v68, 0x100, v65
	v_mov_b32_e32 v69, v65
	v_mov_b32_e32 v64, 0
	;; [unrolled: 1-line block ×3, first 2 shown]
	s_mov_b32 s5, 0
	.p2align	6
.LBB94_61:                              ; =>This Inner Loop Header: Depth=1
	s_clause 0x1
	buffer_load_dword v73, v69, s[0:3], 0 offen offset:4
	buffer_load_dword v74, v69, s[0:3], 0 offen
	ds_read_b64 v[71:72], v68
	v_add_nc_u32_e32 v67, 1, v67
	v_add_nc_u32_e32 v68, 8, v68
	v_add_nc_u32_e32 v69, 8, v69
	v_cmp_lt_u32_e32 vcc_lo, 10, v67
	s_or_b32 s5, vcc_lo, s5
	s_waitcnt vmcnt(1) lgkmcnt(0)
	v_mul_f32_e32 v75, v72, v73
	v_mul_f32_e32 v73, v71, v73
	s_waitcnt vmcnt(0)
	v_fma_f32 v71, v71, v74, -v75
	v_fmac_f32_e32 v73, v72, v74
	v_add_f32_e32 v70, v70, v71
	v_add_f32_e32 v64, v64, v73
	s_andn2_b32 exec_lo, exec_lo, s5
	s_cbranch_execnz .LBB94_61
; %bb.62:
	s_or_b32 exec_lo, exec_lo, s5
	v_mov_b32_e32 v67, 0
	ds_read_b64 v[67:68], v67 offset:96
	s_waitcnt lgkmcnt(0)
	v_mul_f32_e32 v69, v64, v68
	v_mul_f32_e32 v68, v70, v68
	v_fma_f32 v69, v70, v67, -v69
	v_fmac_f32_e32 v68, v64, v67
	buffer_store_dword v69, off, s[0:3], 0 offset:96
	buffer_store_dword v68, off, s[0:3], 0 offset:100
.LBB94_63:
	s_or_b32 exec_lo, exec_lo, s4
	s_waitcnt_vscnt null, 0x0
	s_barrier
	buffer_gl0_inv
	s_clause 0x1
	buffer_load_dword v67, off, s[0:3], 0 offset:104
	buffer_load_dword v68, off, s[0:3], 0 offset:108
	s_mov_b32 s4, exec_lo
	s_waitcnt vmcnt(0)
	ds_write_b64 v66, v[67:68]
	s_waitcnt lgkmcnt(0)
	s_barrier
	buffer_gl0_inv
	v_cmpx_gt_u32_e32 13, v0
	s_cbranch_execz .LBB94_67
; %bb.64:
	v_add_nc_u32_e32 v67, -1, v0
	v_add_nc_u32_e32 v68, 0x100, v65
	v_mov_b32_e32 v69, v65
	v_mov_b32_e32 v64, 0
	v_mov_b32_e32 v70, 0
	s_mov_b32 s5, 0
	.p2align	6
.LBB94_65:                              ; =>This Inner Loop Header: Depth=1
	s_clause 0x1
	buffer_load_dword v73, v69, s[0:3], 0 offen offset:4
	buffer_load_dword v74, v69, s[0:3], 0 offen
	ds_read_b64 v[71:72], v68
	v_add_nc_u32_e32 v67, 1, v67
	v_add_nc_u32_e32 v68, 8, v68
	;; [unrolled: 1-line block ×3, first 2 shown]
	v_cmp_lt_u32_e32 vcc_lo, 11, v67
	s_or_b32 s5, vcc_lo, s5
	s_waitcnt vmcnt(1) lgkmcnt(0)
	v_mul_f32_e32 v75, v72, v73
	v_mul_f32_e32 v73, v71, v73
	s_waitcnt vmcnt(0)
	v_fma_f32 v71, v71, v74, -v75
	v_fmac_f32_e32 v73, v72, v74
	v_add_f32_e32 v70, v70, v71
	v_add_f32_e32 v64, v64, v73
	s_andn2_b32 exec_lo, exec_lo, s5
	s_cbranch_execnz .LBB94_65
; %bb.66:
	s_or_b32 exec_lo, exec_lo, s5
	v_mov_b32_e32 v67, 0
	ds_read_b64 v[67:68], v67 offset:104
	s_waitcnt lgkmcnt(0)
	v_mul_f32_e32 v69, v64, v68
	v_mul_f32_e32 v68, v70, v68
	v_fma_f32 v69, v70, v67, -v69
	v_fmac_f32_e32 v68, v64, v67
	buffer_store_dword v69, off, s[0:3], 0 offset:104
	buffer_store_dword v68, off, s[0:3], 0 offset:108
.LBB94_67:
	s_or_b32 exec_lo, exec_lo, s4
	s_waitcnt_vscnt null, 0x0
	s_barrier
	buffer_gl0_inv
	s_clause 0x1
	buffer_load_dword v67, off, s[0:3], 0 offset:112
	buffer_load_dword v68, off, s[0:3], 0 offset:116
	s_mov_b32 s4, exec_lo
	s_waitcnt vmcnt(0)
	ds_write_b64 v66, v[67:68]
	s_waitcnt lgkmcnt(0)
	s_barrier
	buffer_gl0_inv
	v_cmpx_gt_u32_e32 14, v0
	s_cbranch_execz .LBB94_71
; %bb.68:
	v_add_nc_u32_e32 v67, -1, v0
	v_add_nc_u32_e32 v68, 0x100, v65
	v_mov_b32_e32 v69, v65
	v_mov_b32_e32 v64, 0
	;; [unrolled: 1-line block ×3, first 2 shown]
	s_mov_b32 s5, 0
	.p2align	6
.LBB94_69:                              ; =>This Inner Loop Header: Depth=1
	s_clause 0x1
	buffer_load_dword v73, v69, s[0:3], 0 offen offset:4
	buffer_load_dword v74, v69, s[0:3], 0 offen
	ds_read_b64 v[71:72], v68
	v_add_nc_u32_e32 v67, 1, v67
	v_add_nc_u32_e32 v68, 8, v68
	;; [unrolled: 1-line block ×3, first 2 shown]
	v_cmp_lt_u32_e32 vcc_lo, 12, v67
	s_or_b32 s5, vcc_lo, s5
	s_waitcnt vmcnt(1) lgkmcnt(0)
	v_mul_f32_e32 v75, v72, v73
	v_mul_f32_e32 v73, v71, v73
	s_waitcnt vmcnt(0)
	v_fma_f32 v71, v71, v74, -v75
	v_fmac_f32_e32 v73, v72, v74
	v_add_f32_e32 v70, v70, v71
	v_add_f32_e32 v64, v64, v73
	s_andn2_b32 exec_lo, exec_lo, s5
	s_cbranch_execnz .LBB94_69
; %bb.70:
	s_or_b32 exec_lo, exec_lo, s5
	v_mov_b32_e32 v67, 0
	ds_read_b64 v[67:68], v67 offset:112
	s_waitcnt lgkmcnt(0)
	v_mul_f32_e32 v69, v64, v68
	v_mul_f32_e32 v68, v70, v68
	v_fma_f32 v69, v70, v67, -v69
	v_fmac_f32_e32 v68, v64, v67
	buffer_store_dword v69, off, s[0:3], 0 offset:112
	buffer_store_dword v68, off, s[0:3], 0 offset:116
.LBB94_71:
	s_or_b32 exec_lo, exec_lo, s4
	s_waitcnt_vscnt null, 0x0
	s_barrier
	buffer_gl0_inv
	s_clause 0x1
	buffer_load_dword v67, off, s[0:3], 0 offset:120
	buffer_load_dword v68, off, s[0:3], 0 offset:124
	s_mov_b32 s4, exec_lo
	s_waitcnt vmcnt(0)
	ds_write_b64 v66, v[67:68]
	s_waitcnt lgkmcnt(0)
	s_barrier
	buffer_gl0_inv
	v_cmpx_gt_u32_e32 15, v0
	s_cbranch_execz .LBB94_75
; %bb.72:
	v_add_nc_u32_e32 v67, -1, v0
	v_add_nc_u32_e32 v68, 0x100, v65
	v_mov_b32_e32 v69, v65
	v_mov_b32_e32 v64, 0
	;; [unrolled: 1-line block ×3, first 2 shown]
	s_mov_b32 s5, 0
	.p2align	6
.LBB94_73:                              ; =>This Inner Loop Header: Depth=1
	s_clause 0x1
	buffer_load_dword v73, v69, s[0:3], 0 offen offset:4
	buffer_load_dword v74, v69, s[0:3], 0 offen
	ds_read_b64 v[71:72], v68
	v_add_nc_u32_e32 v67, 1, v67
	v_add_nc_u32_e32 v68, 8, v68
	;; [unrolled: 1-line block ×3, first 2 shown]
	v_cmp_lt_u32_e32 vcc_lo, 13, v67
	s_or_b32 s5, vcc_lo, s5
	s_waitcnt vmcnt(1) lgkmcnt(0)
	v_mul_f32_e32 v75, v72, v73
	v_mul_f32_e32 v73, v71, v73
	s_waitcnt vmcnt(0)
	v_fma_f32 v71, v71, v74, -v75
	v_fmac_f32_e32 v73, v72, v74
	v_add_f32_e32 v70, v70, v71
	v_add_f32_e32 v64, v64, v73
	s_andn2_b32 exec_lo, exec_lo, s5
	s_cbranch_execnz .LBB94_73
; %bb.74:
	s_or_b32 exec_lo, exec_lo, s5
	v_mov_b32_e32 v67, 0
	ds_read_b64 v[67:68], v67 offset:120
	s_waitcnt lgkmcnt(0)
	v_mul_f32_e32 v69, v64, v68
	v_mul_f32_e32 v68, v70, v68
	v_fma_f32 v69, v70, v67, -v69
	v_fmac_f32_e32 v68, v64, v67
	buffer_store_dword v69, off, s[0:3], 0 offset:120
	buffer_store_dword v68, off, s[0:3], 0 offset:124
.LBB94_75:
	s_or_b32 exec_lo, exec_lo, s4
	s_waitcnt_vscnt null, 0x0
	s_barrier
	buffer_gl0_inv
	s_clause 0x1
	buffer_load_dword v67, off, s[0:3], 0 offset:128
	buffer_load_dword v68, off, s[0:3], 0 offset:132
	s_mov_b32 s4, exec_lo
	s_waitcnt vmcnt(0)
	ds_write_b64 v66, v[67:68]
	s_waitcnt lgkmcnt(0)
	s_barrier
	buffer_gl0_inv
	v_cmpx_gt_u32_e32 16, v0
	s_cbranch_execz .LBB94_79
; %bb.76:
	v_add_nc_u32_e32 v67, -1, v0
	v_add_nc_u32_e32 v68, 0x100, v65
	v_mov_b32_e32 v69, v65
	v_mov_b32_e32 v64, 0
	;; [unrolled: 1-line block ×3, first 2 shown]
	s_mov_b32 s5, 0
	.p2align	6
.LBB94_77:                              ; =>This Inner Loop Header: Depth=1
	s_clause 0x1
	buffer_load_dword v73, v69, s[0:3], 0 offen offset:4
	buffer_load_dword v74, v69, s[0:3], 0 offen
	ds_read_b64 v[71:72], v68
	v_add_nc_u32_e32 v67, 1, v67
	v_add_nc_u32_e32 v68, 8, v68
	;; [unrolled: 1-line block ×3, first 2 shown]
	v_cmp_lt_u32_e32 vcc_lo, 14, v67
	s_or_b32 s5, vcc_lo, s5
	s_waitcnt vmcnt(1) lgkmcnt(0)
	v_mul_f32_e32 v75, v72, v73
	v_mul_f32_e32 v73, v71, v73
	s_waitcnt vmcnt(0)
	v_fma_f32 v71, v71, v74, -v75
	v_fmac_f32_e32 v73, v72, v74
	v_add_f32_e32 v70, v70, v71
	v_add_f32_e32 v64, v64, v73
	s_andn2_b32 exec_lo, exec_lo, s5
	s_cbranch_execnz .LBB94_77
; %bb.78:
	s_or_b32 exec_lo, exec_lo, s5
	v_mov_b32_e32 v67, 0
	ds_read_b64 v[67:68], v67 offset:128
	s_waitcnt lgkmcnt(0)
	v_mul_f32_e32 v69, v64, v68
	v_mul_f32_e32 v68, v70, v68
	v_fma_f32 v69, v70, v67, -v69
	v_fmac_f32_e32 v68, v64, v67
	buffer_store_dword v69, off, s[0:3], 0 offset:128
	buffer_store_dword v68, off, s[0:3], 0 offset:132
.LBB94_79:
	s_or_b32 exec_lo, exec_lo, s4
	s_waitcnt_vscnt null, 0x0
	s_barrier
	buffer_gl0_inv
	s_clause 0x1
	buffer_load_dword v67, off, s[0:3], 0 offset:136
	buffer_load_dword v68, off, s[0:3], 0 offset:140
	s_mov_b32 s4, exec_lo
	s_waitcnt vmcnt(0)
	ds_write_b64 v66, v[67:68]
	s_waitcnt lgkmcnt(0)
	s_barrier
	buffer_gl0_inv
	v_cmpx_gt_u32_e32 17, v0
	s_cbranch_execz .LBB94_83
; %bb.80:
	v_add_nc_u32_e32 v67, -1, v0
	v_add_nc_u32_e32 v68, 0x100, v65
	v_mov_b32_e32 v69, v65
	v_mov_b32_e32 v64, 0
	;; [unrolled: 1-line block ×3, first 2 shown]
	s_mov_b32 s5, 0
	.p2align	6
.LBB94_81:                              ; =>This Inner Loop Header: Depth=1
	s_clause 0x1
	buffer_load_dword v73, v69, s[0:3], 0 offen offset:4
	buffer_load_dword v74, v69, s[0:3], 0 offen
	ds_read_b64 v[71:72], v68
	v_add_nc_u32_e32 v67, 1, v67
	v_add_nc_u32_e32 v68, 8, v68
	;; [unrolled: 1-line block ×3, first 2 shown]
	v_cmp_lt_u32_e32 vcc_lo, 15, v67
	s_or_b32 s5, vcc_lo, s5
	s_waitcnt vmcnt(1) lgkmcnt(0)
	v_mul_f32_e32 v75, v72, v73
	v_mul_f32_e32 v73, v71, v73
	s_waitcnt vmcnt(0)
	v_fma_f32 v71, v71, v74, -v75
	v_fmac_f32_e32 v73, v72, v74
	v_add_f32_e32 v70, v70, v71
	v_add_f32_e32 v64, v64, v73
	s_andn2_b32 exec_lo, exec_lo, s5
	s_cbranch_execnz .LBB94_81
; %bb.82:
	s_or_b32 exec_lo, exec_lo, s5
	v_mov_b32_e32 v67, 0
	ds_read_b64 v[67:68], v67 offset:136
	s_waitcnt lgkmcnt(0)
	v_mul_f32_e32 v69, v64, v68
	v_mul_f32_e32 v68, v70, v68
	v_fma_f32 v69, v70, v67, -v69
	v_fmac_f32_e32 v68, v64, v67
	buffer_store_dword v69, off, s[0:3], 0 offset:136
	buffer_store_dword v68, off, s[0:3], 0 offset:140
.LBB94_83:
	s_or_b32 exec_lo, exec_lo, s4
	s_waitcnt_vscnt null, 0x0
	s_barrier
	buffer_gl0_inv
	s_clause 0x1
	buffer_load_dword v67, off, s[0:3], 0 offset:144
	buffer_load_dword v68, off, s[0:3], 0 offset:148
	s_mov_b32 s4, exec_lo
	s_waitcnt vmcnt(0)
	ds_write_b64 v66, v[67:68]
	s_waitcnt lgkmcnt(0)
	s_barrier
	buffer_gl0_inv
	v_cmpx_gt_u32_e32 18, v0
	s_cbranch_execz .LBB94_87
; %bb.84:
	v_add_nc_u32_e32 v67, -1, v0
	v_add_nc_u32_e32 v68, 0x100, v65
	v_mov_b32_e32 v69, v65
	v_mov_b32_e32 v64, 0
	v_mov_b32_e32 v70, 0
	s_mov_b32 s5, 0
	.p2align	6
.LBB94_85:                              ; =>This Inner Loop Header: Depth=1
	s_clause 0x1
	buffer_load_dword v73, v69, s[0:3], 0 offen offset:4
	buffer_load_dword v74, v69, s[0:3], 0 offen
	ds_read_b64 v[71:72], v68
	v_add_nc_u32_e32 v67, 1, v67
	v_add_nc_u32_e32 v68, 8, v68
	;; [unrolled: 1-line block ×3, first 2 shown]
	v_cmp_lt_u32_e32 vcc_lo, 16, v67
	s_or_b32 s5, vcc_lo, s5
	s_waitcnt vmcnt(1) lgkmcnt(0)
	v_mul_f32_e32 v75, v72, v73
	v_mul_f32_e32 v73, v71, v73
	s_waitcnt vmcnt(0)
	v_fma_f32 v71, v71, v74, -v75
	v_fmac_f32_e32 v73, v72, v74
	v_add_f32_e32 v70, v70, v71
	v_add_f32_e32 v64, v64, v73
	s_andn2_b32 exec_lo, exec_lo, s5
	s_cbranch_execnz .LBB94_85
; %bb.86:
	s_or_b32 exec_lo, exec_lo, s5
	v_mov_b32_e32 v67, 0
	ds_read_b64 v[67:68], v67 offset:144
	s_waitcnt lgkmcnt(0)
	v_mul_f32_e32 v69, v64, v68
	v_mul_f32_e32 v68, v70, v68
	v_fma_f32 v69, v70, v67, -v69
	v_fmac_f32_e32 v68, v64, v67
	buffer_store_dword v69, off, s[0:3], 0 offset:144
	buffer_store_dword v68, off, s[0:3], 0 offset:148
.LBB94_87:
	s_or_b32 exec_lo, exec_lo, s4
	s_waitcnt_vscnt null, 0x0
	s_barrier
	buffer_gl0_inv
	s_clause 0x1
	buffer_load_dword v67, off, s[0:3], 0 offset:152
	buffer_load_dword v68, off, s[0:3], 0 offset:156
	s_mov_b32 s4, exec_lo
	s_waitcnt vmcnt(0)
	ds_write_b64 v66, v[67:68]
	s_waitcnt lgkmcnt(0)
	s_barrier
	buffer_gl0_inv
	v_cmpx_gt_u32_e32 19, v0
	s_cbranch_execz .LBB94_91
; %bb.88:
	v_add_nc_u32_e32 v67, -1, v0
	v_add_nc_u32_e32 v68, 0x100, v65
	v_mov_b32_e32 v69, v65
	v_mov_b32_e32 v64, 0
	;; [unrolled: 1-line block ×3, first 2 shown]
	s_mov_b32 s5, 0
	.p2align	6
.LBB94_89:                              ; =>This Inner Loop Header: Depth=1
	s_clause 0x1
	buffer_load_dword v73, v69, s[0:3], 0 offen offset:4
	buffer_load_dword v74, v69, s[0:3], 0 offen
	ds_read_b64 v[71:72], v68
	v_add_nc_u32_e32 v67, 1, v67
	v_add_nc_u32_e32 v68, 8, v68
	;; [unrolled: 1-line block ×3, first 2 shown]
	v_cmp_lt_u32_e32 vcc_lo, 17, v67
	s_or_b32 s5, vcc_lo, s5
	s_waitcnt vmcnt(1) lgkmcnt(0)
	v_mul_f32_e32 v75, v72, v73
	v_mul_f32_e32 v73, v71, v73
	s_waitcnt vmcnt(0)
	v_fma_f32 v71, v71, v74, -v75
	v_fmac_f32_e32 v73, v72, v74
	v_add_f32_e32 v70, v70, v71
	v_add_f32_e32 v64, v64, v73
	s_andn2_b32 exec_lo, exec_lo, s5
	s_cbranch_execnz .LBB94_89
; %bb.90:
	s_or_b32 exec_lo, exec_lo, s5
	v_mov_b32_e32 v67, 0
	ds_read_b64 v[67:68], v67 offset:152
	s_waitcnt lgkmcnt(0)
	v_mul_f32_e32 v69, v64, v68
	v_mul_f32_e32 v68, v70, v68
	v_fma_f32 v69, v70, v67, -v69
	v_fmac_f32_e32 v68, v64, v67
	buffer_store_dword v69, off, s[0:3], 0 offset:152
	buffer_store_dword v68, off, s[0:3], 0 offset:156
.LBB94_91:
	s_or_b32 exec_lo, exec_lo, s4
	s_waitcnt_vscnt null, 0x0
	s_barrier
	buffer_gl0_inv
	s_clause 0x1
	buffer_load_dword v67, off, s[0:3], 0 offset:160
	buffer_load_dword v68, off, s[0:3], 0 offset:164
	s_mov_b32 s4, exec_lo
	s_waitcnt vmcnt(0)
	ds_write_b64 v66, v[67:68]
	s_waitcnt lgkmcnt(0)
	s_barrier
	buffer_gl0_inv
	v_cmpx_gt_u32_e32 20, v0
	s_cbranch_execz .LBB94_95
; %bb.92:
	v_add_nc_u32_e32 v67, -1, v0
	v_add_nc_u32_e32 v68, 0x100, v65
	v_mov_b32_e32 v69, v65
	v_mov_b32_e32 v64, 0
	v_mov_b32_e32 v70, 0
	s_mov_b32 s5, 0
	.p2align	6
.LBB94_93:                              ; =>This Inner Loop Header: Depth=1
	s_clause 0x1
	buffer_load_dword v73, v69, s[0:3], 0 offen offset:4
	buffer_load_dword v74, v69, s[0:3], 0 offen
	ds_read_b64 v[71:72], v68
	v_add_nc_u32_e32 v67, 1, v67
	v_add_nc_u32_e32 v68, 8, v68
	v_add_nc_u32_e32 v69, 8, v69
	v_cmp_lt_u32_e32 vcc_lo, 18, v67
	s_or_b32 s5, vcc_lo, s5
	s_waitcnt vmcnt(1) lgkmcnt(0)
	v_mul_f32_e32 v75, v72, v73
	v_mul_f32_e32 v73, v71, v73
	s_waitcnt vmcnt(0)
	v_fma_f32 v71, v71, v74, -v75
	v_fmac_f32_e32 v73, v72, v74
	v_add_f32_e32 v70, v70, v71
	v_add_f32_e32 v64, v64, v73
	s_andn2_b32 exec_lo, exec_lo, s5
	s_cbranch_execnz .LBB94_93
; %bb.94:
	s_or_b32 exec_lo, exec_lo, s5
	v_mov_b32_e32 v67, 0
	ds_read_b64 v[67:68], v67 offset:160
	s_waitcnt lgkmcnt(0)
	v_mul_f32_e32 v69, v64, v68
	v_mul_f32_e32 v68, v70, v68
	v_fma_f32 v69, v70, v67, -v69
	v_fmac_f32_e32 v68, v64, v67
	buffer_store_dword v69, off, s[0:3], 0 offset:160
	buffer_store_dword v68, off, s[0:3], 0 offset:164
.LBB94_95:
	s_or_b32 exec_lo, exec_lo, s4
	s_waitcnt_vscnt null, 0x0
	s_barrier
	buffer_gl0_inv
	s_clause 0x1
	buffer_load_dword v67, off, s[0:3], 0 offset:168
	buffer_load_dword v68, off, s[0:3], 0 offset:172
	s_mov_b32 s4, exec_lo
	s_waitcnt vmcnt(0)
	ds_write_b64 v66, v[67:68]
	s_waitcnt lgkmcnt(0)
	s_barrier
	buffer_gl0_inv
	v_cmpx_gt_u32_e32 21, v0
	s_cbranch_execz .LBB94_99
; %bb.96:
	v_add_nc_u32_e32 v67, -1, v0
	v_add_nc_u32_e32 v68, 0x100, v65
	v_mov_b32_e32 v69, v65
	v_mov_b32_e32 v64, 0
	;; [unrolled: 1-line block ×3, first 2 shown]
	s_mov_b32 s5, 0
	.p2align	6
.LBB94_97:                              ; =>This Inner Loop Header: Depth=1
	s_clause 0x1
	buffer_load_dword v73, v69, s[0:3], 0 offen offset:4
	buffer_load_dword v74, v69, s[0:3], 0 offen
	ds_read_b64 v[71:72], v68
	v_add_nc_u32_e32 v67, 1, v67
	v_add_nc_u32_e32 v68, 8, v68
	;; [unrolled: 1-line block ×3, first 2 shown]
	v_cmp_lt_u32_e32 vcc_lo, 19, v67
	s_or_b32 s5, vcc_lo, s5
	s_waitcnt vmcnt(1) lgkmcnt(0)
	v_mul_f32_e32 v75, v72, v73
	v_mul_f32_e32 v73, v71, v73
	s_waitcnt vmcnt(0)
	v_fma_f32 v71, v71, v74, -v75
	v_fmac_f32_e32 v73, v72, v74
	v_add_f32_e32 v70, v70, v71
	v_add_f32_e32 v64, v64, v73
	s_andn2_b32 exec_lo, exec_lo, s5
	s_cbranch_execnz .LBB94_97
; %bb.98:
	s_or_b32 exec_lo, exec_lo, s5
	v_mov_b32_e32 v67, 0
	ds_read_b64 v[67:68], v67 offset:168
	s_waitcnt lgkmcnt(0)
	v_mul_f32_e32 v69, v64, v68
	v_mul_f32_e32 v68, v70, v68
	v_fma_f32 v69, v70, v67, -v69
	v_fmac_f32_e32 v68, v64, v67
	buffer_store_dword v69, off, s[0:3], 0 offset:168
	buffer_store_dword v68, off, s[0:3], 0 offset:172
.LBB94_99:
	s_or_b32 exec_lo, exec_lo, s4
	s_waitcnt_vscnt null, 0x0
	s_barrier
	buffer_gl0_inv
	s_clause 0x1
	buffer_load_dword v67, off, s[0:3], 0 offset:176
	buffer_load_dword v68, off, s[0:3], 0 offset:180
	s_mov_b32 s4, exec_lo
	s_waitcnt vmcnt(0)
	ds_write_b64 v66, v[67:68]
	s_waitcnt lgkmcnt(0)
	s_barrier
	buffer_gl0_inv
	v_cmpx_gt_u32_e32 22, v0
	s_cbranch_execz .LBB94_103
; %bb.100:
	v_add_nc_u32_e32 v67, -1, v0
	v_add_nc_u32_e32 v68, 0x100, v65
	v_mov_b32_e32 v69, v65
	v_mov_b32_e32 v64, 0
	;; [unrolled: 1-line block ×3, first 2 shown]
	s_mov_b32 s5, 0
	.p2align	6
.LBB94_101:                             ; =>This Inner Loop Header: Depth=1
	s_clause 0x1
	buffer_load_dword v73, v69, s[0:3], 0 offen offset:4
	buffer_load_dword v74, v69, s[0:3], 0 offen
	ds_read_b64 v[71:72], v68
	v_add_nc_u32_e32 v67, 1, v67
	v_add_nc_u32_e32 v68, 8, v68
	;; [unrolled: 1-line block ×3, first 2 shown]
	v_cmp_lt_u32_e32 vcc_lo, 20, v67
	s_or_b32 s5, vcc_lo, s5
	s_waitcnt vmcnt(1) lgkmcnt(0)
	v_mul_f32_e32 v75, v72, v73
	v_mul_f32_e32 v73, v71, v73
	s_waitcnt vmcnt(0)
	v_fma_f32 v71, v71, v74, -v75
	v_fmac_f32_e32 v73, v72, v74
	v_add_f32_e32 v70, v70, v71
	v_add_f32_e32 v64, v64, v73
	s_andn2_b32 exec_lo, exec_lo, s5
	s_cbranch_execnz .LBB94_101
; %bb.102:
	s_or_b32 exec_lo, exec_lo, s5
	v_mov_b32_e32 v67, 0
	ds_read_b64 v[67:68], v67 offset:176
	s_waitcnt lgkmcnt(0)
	v_mul_f32_e32 v69, v64, v68
	v_mul_f32_e32 v68, v70, v68
	v_fma_f32 v69, v70, v67, -v69
	v_fmac_f32_e32 v68, v64, v67
	buffer_store_dword v69, off, s[0:3], 0 offset:176
	buffer_store_dword v68, off, s[0:3], 0 offset:180
.LBB94_103:
	s_or_b32 exec_lo, exec_lo, s4
	s_waitcnt_vscnt null, 0x0
	s_barrier
	buffer_gl0_inv
	s_clause 0x1
	buffer_load_dword v67, off, s[0:3], 0 offset:184
	buffer_load_dword v68, off, s[0:3], 0 offset:188
	s_mov_b32 s4, exec_lo
	s_waitcnt vmcnt(0)
	ds_write_b64 v66, v[67:68]
	s_waitcnt lgkmcnt(0)
	s_barrier
	buffer_gl0_inv
	v_cmpx_gt_u32_e32 23, v0
	s_cbranch_execz .LBB94_107
; %bb.104:
	v_add_nc_u32_e32 v67, -1, v0
	v_add_nc_u32_e32 v68, 0x100, v65
	v_mov_b32_e32 v69, v65
	v_mov_b32_e32 v64, 0
	v_mov_b32_e32 v70, 0
	s_mov_b32 s5, 0
	.p2align	6
.LBB94_105:                             ; =>This Inner Loop Header: Depth=1
	s_clause 0x1
	buffer_load_dword v73, v69, s[0:3], 0 offen offset:4
	buffer_load_dword v74, v69, s[0:3], 0 offen
	ds_read_b64 v[71:72], v68
	v_add_nc_u32_e32 v67, 1, v67
	v_add_nc_u32_e32 v68, 8, v68
	;; [unrolled: 1-line block ×3, first 2 shown]
	v_cmp_lt_u32_e32 vcc_lo, 21, v67
	s_or_b32 s5, vcc_lo, s5
	s_waitcnt vmcnt(1) lgkmcnt(0)
	v_mul_f32_e32 v75, v72, v73
	v_mul_f32_e32 v73, v71, v73
	s_waitcnt vmcnt(0)
	v_fma_f32 v71, v71, v74, -v75
	v_fmac_f32_e32 v73, v72, v74
	v_add_f32_e32 v70, v70, v71
	v_add_f32_e32 v64, v64, v73
	s_andn2_b32 exec_lo, exec_lo, s5
	s_cbranch_execnz .LBB94_105
; %bb.106:
	s_or_b32 exec_lo, exec_lo, s5
	v_mov_b32_e32 v67, 0
	ds_read_b64 v[67:68], v67 offset:184
	s_waitcnt lgkmcnt(0)
	v_mul_f32_e32 v69, v64, v68
	v_mul_f32_e32 v68, v70, v68
	v_fma_f32 v69, v70, v67, -v69
	v_fmac_f32_e32 v68, v64, v67
	buffer_store_dword v69, off, s[0:3], 0 offset:184
	buffer_store_dword v68, off, s[0:3], 0 offset:188
.LBB94_107:
	s_or_b32 exec_lo, exec_lo, s4
	s_waitcnt_vscnt null, 0x0
	s_barrier
	buffer_gl0_inv
	s_clause 0x1
	buffer_load_dword v67, off, s[0:3], 0 offset:192
	buffer_load_dword v68, off, s[0:3], 0 offset:196
	s_mov_b32 s4, exec_lo
	s_waitcnt vmcnt(0)
	ds_write_b64 v66, v[67:68]
	s_waitcnt lgkmcnt(0)
	s_barrier
	buffer_gl0_inv
	v_cmpx_gt_u32_e32 24, v0
	s_cbranch_execz .LBB94_111
; %bb.108:
	v_add_nc_u32_e32 v67, -1, v0
	v_add_nc_u32_e32 v68, 0x100, v65
	v_mov_b32_e32 v69, v65
	v_mov_b32_e32 v64, 0
	;; [unrolled: 1-line block ×3, first 2 shown]
	s_mov_b32 s5, 0
	.p2align	6
.LBB94_109:                             ; =>This Inner Loop Header: Depth=1
	s_clause 0x1
	buffer_load_dword v73, v69, s[0:3], 0 offen offset:4
	buffer_load_dword v74, v69, s[0:3], 0 offen
	ds_read_b64 v[71:72], v68
	v_add_nc_u32_e32 v67, 1, v67
	v_add_nc_u32_e32 v68, 8, v68
	;; [unrolled: 1-line block ×3, first 2 shown]
	v_cmp_lt_u32_e32 vcc_lo, 22, v67
	s_or_b32 s5, vcc_lo, s5
	s_waitcnt vmcnt(1) lgkmcnt(0)
	v_mul_f32_e32 v75, v72, v73
	v_mul_f32_e32 v73, v71, v73
	s_waitcnt vmcnt(0)
	v_fma_f32 v71, v71, v74, -v75
	v_fmac_f32_e32 v73, v72, v74
	v_add_f32_e32 v70, v70, v71
	v_add_f32_e32 v64, v64, v73
	s_andn2_b32 exec_lo, exec_lo, s5
	s_cbranch_execnz .LBB94_109
; %bb.110:
	s_or_b32 exec_lo, exec_lo, s5
	v_mov_b32_e32 v67, 0
	ds_read_b64 v[67:68], v67 offset:192
	s_waitcnt lgkmcnt(0)
	v_mul_f32_e32 v69, v64, v68
	v_mul_f32_e32 v68, v70, v68
	v_fma_f32 v69, v70, v67, -v69
	v_fmac_f32_e32 v68, v64, v67
	buffer_store_dword v69, off, s[0:3], 0 offset:192
	buffer_store_dword v68, off, s[0:3], 0 offset:196
.LBB94_111:
	s_or_b32 exec_lo, exec_lo, s4
	s_waitcnt_vscnt null, 0x0
	s_barrier
	buffer_gl0_inv
	s_clause 0x1
	buffer_load_dword v67, off, s[0:3], 0 offset:200
	buffer_load_dword v68, off, s[0:3], 0 offset:204
	s_mov_b32 s4, exec_lo
	s_waitcnt vmcnt(0)
	ds_write_b64 v66, v[67:68]
	s_waitcnt lgkmcnt(0)
	s_barrier
	buffer_gl0_inv
	v_cmpx_gt_u32_e32 25, v0
	s_cbranch_execz .LBB94_115
; %bb.112:
	v_add_nc_u32_e32 v67, -1, v0
	v_add_nc_u32_e32 v68, 0x100, v65
	v_mov_b32_e32 v69, v65
	v_mov_b32_e32 v64, 0
	;; [unrolled: 1-line block ×3, first 2 shown]
	s_mov_b32 s5, 0
	.p2align	6
.LBB94_113:                             ; =>This Inner Loop Header: Depth=1
	s_clause 0x1
	buffer_load_dword v73, v69, s[0:3], 0 offen offset:4
	buffer_load_dword v74, v69, s[0:3], 0 offen
	ds_read_b64 v[71:72], v68
	v_add_nc_u32_e32 v67, 1, v67
	v_add_nc_u32_e32 v68, 8, v68
	;; [unrolled: 1-line block ×3, first 2 shown]
	v_cmp_lt_u32_e32 vcc_lo, 23, v67
	s_or_b32 s5, vcc_lo, s5
	s_waitcnt vmcnt(1) lgkmcnt(0)
	v_mul_f32_e32 v75, v72, v73
	v_mul_f32_e32 v73, v71, v73
	s_waitcnt vmcnt(0)
	v_fma_f32 v71, v71, v74, -v75
	v_fmac_f32_e32 v73, v72, v74
	v_add_f32_e32 v70, v70, v71
	v_add_f32_e32 v64, v64, v73
	s_andn2_b32 exec_lo, exec_lo, s5
	s_cbranch_execnz .LBB94_113
; %bb.114:
	s_or_b32 exec_lo, exec_lo, s5
	v_mov_b32_e32 v67, 0
	ds_read_b64 v[67:68], v67 offset:200
	s_waitcnt lgkmcnt(0)
	v_mul_f32_e32 v69, v64, v68
	v_mul_f32_e32 v68, v70, v68
	v_fma_f32 v69, v70, v67, -v69
	v_fmac_f32_e32 v68, v64, v67
	buffer_store_dword v69, off, s[0:3], 0 offset:200
	buffer_store_dword v68, off, s[0:3], 0 offset:204
.LBB94_115:
	s_or_b32 exec_lo, exec_lo, s4
	s_waitcnt_vscnt null, 0x0
	s_barrier
	buffer_gl0_inv
	s_clause 0x1
	buffer_load_dword v67, off, s[0:3], 0 offset:208
	buffer_load_dword v68, off, s[0:3], 0 offset:212
	s_mov_b32 s4, exec_lo
	s_waitcnt vmcnt(0)
	ds_write_b64 v66, v[67:68]
	s_waitcnt lgkmcnt(0)
	s_barrier
	buffer_gl0_inv
	v_cmpx_gt_u32_e32 26, v0
	s_cbranch_execz .LBB94_119
; %bb.116:
	v_add_nc_u32_e32 v67, -1, v0
	v_add_nc_u32_e32 v68, 0x100, v65
	v_mov_b32_e32 v69, v65
	v_mov_b32_e32 v64, 0
	;; [unrolled: 1-line block ×3, first 2 shown]
	s_mov_b32 s5, 0
	.p2align	6
.LBB94_117:                             ; =>This Inner Loop Header: Depth=1
	s_clause 0x1
	buffer_load_dword v73, v69, s[0:3], 0 offen offset:4
	buffer_load_dword v74, v69, s[0:3], 0 offen
	ds_read_b64 v[71:72], v68
	v_add_nc_u32_e32 v67, 1, v67
	v_add_nc_u32_e32 v68, 8, v68
	;; [unrolled: 1-line block ×3, first 2 shown]
	v_cmp_lt_u32_e32 vcc_lo, 24, v67
	s_or_b32 s5, vcc_lo, s5
	s_waitcnt vmcnt(1) lgkmcnt(0)
	v_mul_f32_e32 v75, v72, v73
	v_mul_f32_e32 v73, v71, v73
	s_waitcnt vmcnt(0)
	v_fma_f32 v71, v71, v74, -v75
	v_fmac_f32_e32 v73, v72, v74
	v_add_f32_e32 v70, v70, v71
	v_add_f32_e32 v64, v64, v73
	s_andn2_b32 exec_lo, exec_lo, s5
	s_cbranch_execnz .LBB94_117
; %bb.118:
	s_or_b32 exec_lo, exec_lo, s5
	v_mov_b32_e32 v67, 0
	ds_read_b64 v[67:68], v67 offset:208
	s_waitcnt lgkmcnt(0)
	v_mul_f32_e32 v69, v64, v68
	v_mul_f32_e32 v68, v70, v68
	v_fma_f32 v69, v70, v67, -v69
	v_fmac_f32_e32 v68, v64, v67
	buffer_store_dword v69, off, s[0:3], 0 offset:208
	buffer_store_dword v68, off, s[0:3], 0 offset:212
.LBB94_119:
	s_or_b32 exec_lo, exec_lo, s4
	s_waitcnt_vscnt null, 0x0
	s_barrier
	buffer_gl0_inv
	s_clause 0x1
	buffer_load_dword v67, off, s[0:3], 0 offset:216
	buffer_load_dword v68, off, s[0:3], 0 offset:220
	s_mov_b32 s4, exec_lo
	s_waitcnt vmcnt(0)
	ds_write_b64 v66, v[67:68]
	s_waitcnt lgkmcnt(0)
	s_barrier
	buffer_gl0_inv
	v_cmpx_gt_u32_e32 27, v0
	s_cbranch_execz .LBB94_123
; %bb.120:
	v_add_nc_u32_e32 v67, -1, v0
	v_add_nc_u32_e32 v68, 0x100, v65
	v_mov_b32_e32 v69, v65
	v_mov_b32_e32 v64, 0
	;; [unrolled: 1-line block ×3, first 2 shown]
	s_mov_b32 s5, 0
	.p2align	6
.LBB94_121:                             ; =>This Inner Loop Header: Depth=1
	s_clause 0x1
	buffer_load_dword v73, v69, s[0:3], 0 offen offset:4
	buffer_load_dword v74, v69, s[0:3], 0 offen
	ds_read_b64 v[71:72], v68
	v_add_nc_u32_e32 v67, 1, v67
	v_add_nc_u32_e32 v68, 8, v68
	v_add_nc_u32_e32 v69, 8, v69
	v_cmp_lt_u32_e32 vcc_lo, 25, v67
	s_or_b32 s5, vcc_lo, s5
	s_waitcnt vmcnt(1) lgkmcnt(0)
	v_mul_f32_e32 v75, v72, v73
	v_mul_f32_e32 v73, v71, v73
	s_waitcnt vmcnt(0)
	v_fma_f32 v71, v71, v74, -v75
	v_fmac_f32_e32 v73, v72, v74
	v_add_f32_e32 v70, v70, v71
	v_add_f32_e32 v64, v64, v73
	s_andn2_b32 exec_lo, exec_lo, s5
	s_cbranch_execnz .LBB94_121
; %bb.122:
	s_or_b32 exec_lo, exec_lo, s5
	v_mov_b32_e32 v67, 0
	ds_read_b64 v[67:68], v67 offset:216
	s_waitcnt lgkmcnt(0)
	v_mul_f32_e32 v69, v64, v68
	v_mul_f32_e32 v68, v70, v68
	v_fma_f32 v69, v70, v67, -v69
	v_fmac_f32_e32 v68, v64, v67
	buffer_store_dword v69, off, s[0:3], 0 offset:216
	buffer_store_dword v68, off, s[0:3], 0 offset:220
.LBB94_123:
	s_or_b32 exec_lo, exec_lo, s4
	s_waitcnt_vscnt null, 0x0
	s_barrier
	buffer_gl0_inv
	s_clause 0x1
	buffer_load_dword v67, off, s[0:3], 0 offset:224
	buffer_load_dword v68, off, s[0:3], 0 offset:228
	s_mov_b32 s4, exec_lo
	s_waitcnt vmcnt(0)
	ds_write_b64 v66, v[67:68]
	s_waitcnt lgkmcnt(0)
	s_barrier
	buffer_gl0_inv
	v_cmpx_gt_u32_e32 28, v0
	s_cbranch_execz .LBB94_127
; %bb.124:
	v_add_nc_u32_e32 v67, -1, v0
	v_add_nc_u32_e32 v68, 0x100, v65
	v_mov_b32_e32 v69, v65
	v_mov_b32_e32 v64, 0
	v_mov_b32_e32 v70, 0
	s_mov_b32 s5, 0
	.p2align	6
.LBB94_125:                             ; =>This Inner Loop Header: Depth=1
	s_clause 0x1
	buffer_load_dword v73, v69, s[0:3], 0 offen offset:4
	buffer_load_dword v74, v69, s[0:3], 0 offen
	ds_read_b64 v[71:72], v68
	v_add_nc_u32_e32 v67, 1, v67
	v_add_nc_u32_e32 v68, 8, v68
	;; [unrolled: 1-line block ×3, first 2 shown]
	v_cmp_lt_u32_e32 vcc_lo, 26, v67
	s_or_b32 s5, vcc_lo, s5
	s_waitcnt vmcnt(1) lgkmcnt(0)
	v_mul_f32_e32 v75, v72, v73
	v_mul_f32_e32 v73, v71, v73
	s_waitcnt vmcnt(0)
	v_fma_f32 v71, v71, v74, -v75
	v_fmac_f32_e32 v73, v72, v74
	v_add_f32_e32 v70, v70, v71
	v_add_f32_e32 v64, v64, v73
	s_andn2_b32 exec_lo, exec_lo, s5
	s_cbranch_execnz .LBB94_125
; %bb.126:
	s_or_b32 exec_lo, exec_lo, s5
	v_mov_b32_e32 v67, 0
	ds_read_b64 v[67:68], v67 offset:224
	s_waitcnt lgkmcnt(0)
	v_mul_f32_e32 v69, v64, v68
	v_mul_f32_e32 v68, v70, v68
	v_fma_f32 v69, v70, v67, -v69
	v_fmac_f32_e32 v68, v64, v67
	buffer_store_dword v69, off, s[0:3], 0 offset:224
	buffer_store_dword v68, off, s[0:3], 0 offset:228
.LBB94_127:
	s_or_b32 exec_lo, exec_lo, s4
	s_waitcnt_vscnt null, 0x0
	s_barrier
	buffer_gl0_inv
	s_clause 0x1
	buffer_load_dword v67, off, s[0:3], 0 offset:232
	buffer_load_dword v68, off, s[0:3], 0 offset:236
	s_mov_b32 s4, exec_lo
	s_waitcnt vmcnt(0)
	ds_write_b64 v66, v[67:68]
	s_waitcnt lgkmcnt(0)
	s_barrier
	buffer_gl0_inv
	v_cmpx_gt_u32_e32 29, v0
	s_cbranch_execz .LBB94_131
; %bb.128:
	v_add_nc_u32_e32 v67, -1, v0
	v_add_nc_u32_e32 v68, 0x100, v65
	v_mov_b32_e32 v69, v65
	v_mov_b32_e32 v64, 0
	;; [unrolled: 1-line block ×3, first 2 shown]
	s_mov_b32 s5, 0
	.p2align	6
.LBB94_129:                             ; =>This Inner Loop Header: Depth=1
	s_clause 0x1
	buffer_load_dword v73, v69, s[0:3], 0 offen offset:4
	buffer_load_dword v74, v69, s[0:3], 0 offen
	ds_read_b64 v[71:72], v68
	v_add_nc_u32_e32 v67, 1, v67
	v_add_nc_u32_e32 v68, 8, v68
	;; [unrolled: 1-line block ×3, first 2 shown]
	v_cmp_lt_u32_e32 vcc_lo, 27, v67
	s_or_b32 s5, vcc_lo, s5
	s_waitcnt vmcnt(1) lgkmcnt(0)
	v_mul_f32_e32 v75, v72, v73
	v_mul_f32_e32 v73, v71, v73
	s_waitcnt vmcnt(0)
	v_fma_f32 v71, v71, v74, -v75
	v_fmac_f32_e32 v73, v72, v74
	v_add_f32_e32 v70, v70, v71
	v_add_f32_e32 v64, v64, v73
	s_andn2_b32 exec_lo, exec_lo, s5
	s_cbranch_execnz .LBB94_129
; %bb.130:
	s_or_b32 exec_lo, exec_lo, s5
	v_mov_b32_e32 v67, 0
	ds_read_b64 v[67:68], v67 offset:232
	s_waitcnt lgkmcnt(0)
	v_mul_f32_e32 v69, v64, v68
	v_mul_f32_e32 v68, v70, v68
	v_fma_f32 v69, v70, v67, -v69
	v_fmac_f32_e32 v68, v64, v67
	buffer_store_dword v69, off, s[0:3], 0 offset:232
	buffer_store_dword v68, off, s[0:3], 0 offset:236
.LBB94_131:
	s_or_b32 exec_lo, exec_lo, s4
	s_waitcnt_vscnt null, 0x0
	s_barrier
	buffer_gl0_inv
	s_clause 0x1
	buffer_load_dword v67, off, s[0:3], 0 offset:240
	buffer_load_dword v68, off, s[0:3], 0 offset:244
	s_mov_b32 s4, exec_lo
	s_waitcnt vmcnt(0)
	ds_write_b64 v66, v[67:68]
	s_waitcnt lgkmcnt(0)
	s_barrier
	buffer_gl0_inv
	v_cmpx_ne_u32_e32 30, v0
	s_cbranch_execz .LBB94_135
; %bb.132:
	v_mov_b32_e32 v64, 0
	v_mov_b32_e32 v67, 0
	s_mov_b32 s5, 0
	.p2align	6
.LBB94_133:                             ; =>This Inner Loop Header: Depth=1
	s_clause 0x1
	buffer_load_dword v70, v65, s[0:3], 0 offen offset:4
	buffer_load_dword v71, v65, s[0:3], 0 offen
	ds_read_b64 v[68:69], v66
	v_add_nc_u32_e32 v63, 1, v63
	v_add_nc_u32_e32 v66, 8, v66
	;; [unrolled: 1-line block ×3, first 2 shown]
	v_cmp_lt_u32_e32 vcc_lo, 28, v63
	s_or_b32 s5, vcc_lo, s5
	s_waitcnt vmcnt(1) lgkmcnt(0)
	v_mul_f32_e32 v72, v69, v70
	v_mul_f32_e32 v70, v68, v70
	s_waitcnt vmcnt(0)
	v_fma_f32 v68, v68, v71, -v72
	v_fmac_f32_e32 v70, v69, v71
	v_add_f32_e32 v67, v67, v68
	v_add_f32_e32 v64, v64, v70
	s_andn2_b32 exec_lo, exec_lo, s5
	s_cbranch_execnz .LBB94_133
; %bb.134:
	s_or_b32 exec_lo, exec_lo, s5
	v_mov_b32_e32 v63, 0
	ds_read_b64 v[65:66], v63 offset:240
	s_waitcnt lgkmcnt(0)
	v_mul_f32_e32 v63, v64, v66
	v_mul_f32_e32 v66, v67, v66
	v_fma_f32 v63, v67, v65, -v63
	v_fmac_f32_e32 v66, v64, v65
	buffer_store_dword v63, off, s[0:3], 0 offset:240
	buffer_store_dword v66, off, s[0:3], 0 offset:244
.LBB94_135:
	s_or_b32 exec_lo, exec_lo, s4
	s_mov_b32 s5, -1
	s_waitcnt_vscnt null, 0x0
	s_barrier
	buffer_gl0_inv
.LBB94_136:
	s_and_b32 vcc_lo, exec_lo, s5
	s_cbranch_vccz .LBB94_138
; %bb.137:
	s_lshl_b64 s[4:5], s[6:7], 2
	v_mov_b32_e32 v63, 0
	s_add_u32 s4, s10, s4
	s_addc_u32 s5, s11, s5
	global_load_dword v63, v63, s[4:5]
	s_waitcnt vmcnt(0)
	v_cmp_ne_u32_e32 vcc_lo, 0, v63
	s_cbranch_vccz .LBB94_139
.LBB94_138:
	s_endpgm
.LBB94_139:
	v_lshl_add_u32 v63, v0, 3, 0x100
	s_mov_b32 s4, exec_lo
	v_cmpx_eq_u32_e32 30, v0
	s_cbranch_execz .LBB94_141
; %bb.140:
	s_clause 0x1
	buffer_load_dword v64, off, s[0:3], 0 offset:232
	buffer_load_dword v65, off, s[0:3], 0 offset:236
	v_mov_b32_e32 v66, 0
	buffer_store_dword v66, off, s[0:3], 0 offset:232
	buffer_store_dword v66, off, s[0:3], 0 offset:236
	s_waitcnt vmcnt(0)
	ds_write_b64 v63, v[64:65]
.LBB94_141:
	s_or_b32 exec_lo, exec_lo, s4
	s_waitcnt lgkmcnt(0)
	s_waitcnt_vscnt null, 0x0
	s_barrier
	buffer_gl0_inv
	s_clause 0x3
	buffer_load_dword v67, off, s[0:3], 0 offset:244
	buffer_load_dword v68, off, s[0:3], 0 offset:240
	;; [unrolled: 1-line block ×4, first 2 shown]
	v_mov_b32_e32 v64, 0
	s_mov_b32 s4, exec_lo
	ds_read_b64 v[65:66], v64 offset:496
	s_waitcnt vmcnt(3) lgkmcnt(0)
	v_mul_f32_e32 v71, v66, v67
	v_mul_f32_e32 v67, v65, v67
	s_waitcnt vmcnt(2)
	v_fma_f32 v65, v65, v68, -v71
	v_fmac_f32_e32 v67, v66, v68
	v_add_f32_e32 v65, 0, v65
	v_add_f32_e32 v66, 0, v67
	s_waitcnt vmcnt(1)
	v_sub_f32_e32 v65, v69, v65
	s_waitcnt vmcnt(0)
	v_sub_f32_e32 v66, v70, v66
	buffer_store_dword v65, off, s[0:3], 0 offset:232
	buffer_store_dword v66, off, s[0:3], 0 offset:236
	v_cmpx_lt_u32_e32 28, v0
	s_cbranch_execz .LBB94_143
; %bb.142:
	s_clause 0x1
	buffer_load_dword v65, off, s[0:3], 0 offset:224
	buffer_load_dword v66, off, s[0:3], 0 offset:228
	buffer_store_dword v64, off, s[0:3], 0 offset:224
	buffer_store_dword v64, off, s[0:3], 0 offset:228
	s_waitcnt vmcnt(0)
	ds_write_b64 v63, v[65:66]
.LBB94_143:
	s_or_b32 exec_lo, exec_lo, s4
	s_waitcnt lgkmcnt(0)
	s_waitcnt_vscnt null, 0x0
	s_barrier
	buffer_gl0_inv
	s_clause 0x5
	buffer_load_dword v68, off, s[0:3], 0 offset:236
	buffer_load_dword v69, off, s[0:3], 0 offset:244
	buffer_load_dword v70, off, s[0:3], 0 offset:232
	buffer_load_dword v71, off, s[0:3], 0 offset:240
	buffer_load_dword v72, off, s[0:3], 0 offset:224
	buffer_load_dword v73, off, s[0:3], 0 offset:228
	ds_read2_b64 v[64:67], v64 offset0:61 offset1:62
	s_mov_b32 s4, exec_lo
	s_waitcnt vmcnt(5) lgkmcnt(0)
	v_mul_f32_e32 v74, v65, v68
	v_mul_f32_e32 v68, v64, v68
	s_waitcnt vmcnt(4)
	v_mul_f32_e32 v75, v66, v69
	v_mul_f32_e32 v69, v67, v69
	s_waitcnt vmcnt(3)
	v_fma_f32 v64, v64, v70, -v74
	v_fmac_f32_e32 v68, v65, v70
	s_waitcnt vmcnt(2)
	v_fmac_f32_e32 v75, v67, v71
	v_fma_f32 v65, v66, v71, -v69
	v_add_f32_e32 v64, 0, v64
	v_add_f32_e32 v66, 0, v68
	;; [unrolled: 1-line block ×4, first 2 shown]
	s_waitcnt vmcnt(1)
	v_sub_f32_e32 v64, v72, v64
	s_waitcnt vmcnt(0)
	v_sub_f32_e32 v65, v73, v65
	buffer_store_dword v64, off, s[0:3], 0 offset:224
	buffer_store_dword v65, off, s[0:3], 0 offset:228
	v_cmpx_lt_u32_e32 27, v0
	s_cbranch_execz .LBB94_145
; %bb.144:
	s_clause 0x1
	buffer_load_dword v64, off, s[0:3], 0 offset:216
	buffer_load_dword v65, off, s[0:3], 0 offset:220
	v_mov_b32_e32 v66, 0
	buffer_store_dword v66, off, s[0:3], 0 offset:216
	buffer_store_dword v66, off, s[0:3], 0 offset:220
	s_waitcnt vmcnt(0)
	ds_write_b64 v63, v[64:65]
.LBB94_145:
	s_or_b32 exec_lo, exec_lo, s4
	s_waitcnt lgkmcnt(0)
	s_waitcnt_vscnt null, 0x0
	s_barrier
	buffer_gl0_inv
	s_clause 0x7
	buffer_load_dword v71, off, s[0:3], 0 offset:228
	buffer_load_dword v72, off, s[0:3], 0 offset:236
	;; [unrolled: 1-line block ×8, first 2 shown]
	v_mov_b32_e32 v64, 0
	ds_read_b128 v[65:68], v64 offset:480
	ds_read_b64 v[69:70], v64 offset:496
	s_mov_b32 s4, exec_lo
	s_waitcnt vmcnt(7) lgkmcnt(1)
	v_mul_f32_e32 v79, v66, v71
	v_mul_f32_e32 v71, v65, v71
	s_waitcnt vmcnt(6)
	v_mul_f32_e32 v80, v67, v72
	v_mul_f32_e32 v72, v68, v72
	s_waitcnt vmcnt(5) lgkmcnt(0)
	v_mul_f32_e32 v81, v69, v73
	s_waitcnt vmcnt(4)
	v_fma_f32 v65, v65, v74, -v79
	v_fmac_f32_e32 v71, v66, v74
	v_mul_f32_e32 v66, v70, v73
	s_waitcnt vmcnt(3)
	v_fma_f32 v67, v67, v75, -v72
	v_fmac_f32_e32 v80, v68, v75
	v_add_f32_e32 v65, 0, v65
	v_add_f32_e32 v68, 0, v71
	s_waitcnt vmcnt(2)
	v_fma_f32 v66, v69, v76, -v66
	v_fmac_f32_e32 v81, v70, v76
	v_add_f32_e32 v65, v65, v67
	v_add_f32_e32 v67, v68, v80
	;; [unrolled: 1-line block ×4, first 2 shown]
	s_waitcnt vmcnt(1)
	v_sub_f32_e32 v65, v77, v65
	s_waitcnt vmcnt(0)
	v_sub_f32_e32 v66, v78, v66
	buffer_store_dword v65, off, s[0:3], 0 offset:216
	buffer_store_dword v66, off, s[0:3], 0 offset:220
	v_cmpx_lt_u32_e32 26, v0
	s_cbranch_execz .LBB94_147
; %bb.146:
	s_clause 0x1
	buffer_load_dword v65, off, s[0:3], 0 offset:208
	buffer_load_dword v66, off, s[0:3], 0 offset:212
	buffer_store_dword v64, off, s[0:3], 0 offset:208
	buffer_store_dword v64, off, s[0:3], 0 offset:212
	s_waitcnt vmcnt(0)
	ds_write_b64 v63, v[65:66]
.LBB94_147:
	s_or_b32 exec_lo, exec_lo, s4
	s_waitcnt lgkmcnt(0)
	s_waitcnt_vscnt null, 0x0
	s_barrier
	buffer_gl0_inv
	s_clause 0x9
	buffer_load_dword v73, off, s[0:3], 0 offset:220
	buffer_load_dword v74, off, s[0:3], 0 offset:228
	;; [unrolled: 1-line block ×10, first 2 shown]
	ds_read2_b64 v[65:68], v64 offset0:59 offset1:60
	ds_read2_b64 v[69:72], v64 offset0:61 offset1:62
	s_mov_b32 s4, exec_lo
	s_waitcnt vmcnt(9) lgkmcnt(1)
	v_mul_f32_e32 v64, v65, v73
	v_mul_f32_e32 v73, v66, v73
	s_waitcnt vmcnt(8)
	v_mul_f32_e32 v83, v67, v74
	v_mul_f32_e32 v74, v68, v74
	s_waitcnt vmcnt(7) lgkmcnt(0)
	v_mul_f32_e32 v84, v69, v75
	s_waitcnt vmcnt(5)
	v_fmac_f32_e32 v64, v66, v77
	v_fma_f32 v65, v65, v77, -v73
	v_mul_f32_e32 v66, v70, v75
	s_waitcnt vmcnt(4)
	v_fma_f32 v67, v67, v78, -v74
	v_fmac_f32_e32 v83, v68, v78
	v_add_f32_e32 v64, 0, v64
	v_add_f32_e32 v65, 0, v65
	v_mul_f32_e32 v68, v72, v76
	s_waitcnt vmcnt(3)
	v_fma_f32 v66, v69, v79, -v66
	v_mul_f32_e32 v85, v71, v76
	v_fmac_f32_e32 v84, v70, v79
	v_add_f32_e32 v65, v65, v67
	v_add_f32_e32 v64, v64, v83
	s_waitcnt vmcnt(2)
	v_fma_f32 v67, v71, v80, -v68
	v_fmac_f32_e32 v85, v72, v80
	v_add_f32_e32 v65, v65, v66
	v_add_f32_e32 v64, v64, v84
	;; [unrolled: 1-line block ×4, first 2 shown]
	s_waitcnt vmcnt(1)
	v_sub_f32_e32 v65, v81, v65
	s_waitcnt vmcnt(0)
	v_sub_f32_e32 v64, v82, v64
	buffer_store_dword v65, off, s[0:3], 0 offset:208
	buffer_store_dword v64, off, s[0:3], 0 offset:212
	v_cmpx_lt_u32_e32 25, v0
	s_cbranch_execz .LBB94_149
; %bb.148:
	s_clause 0x1
	buffer_load_dword v64, off, s[0:3], 0 offset:200
	buffer_load_dword v65, off, s[0:3], 0 offset:204
	v_mov_b32_e32 v66, 0
	buffer_store_dword v66, off, s[0:3], 0 offset:200
	buffer_store_dword v66, off, s[0:3], 0 offset:204
	s_waitcnt vmcnt(0)
	ds_write_b64 v63, v[64:65]
.LBB94_149:
	s_or_b32 exec_lo, exec_lo, s4
	s_waitcnt lgkmcnt(0)
	s_waitcnt_vscnt null, 0x0
	s_barrier
	buffer_gl0_inv
	s_clause 0xb
	buffer_load_dword v75, off, s[0:3], 0 offset:212
	buffer_load_dword v76, off, s[0:3], 0 offset:220
	;; [unrolled: 1-line block ×12, first 2 shown]
	v_mov_b32_e32 v64, 0
	ds_read_b128 v[65:68], v64 offset:464
	ds_read_b128 v[69:72], v64 offset:480
	ds_read_b64 v[73:74], v64 offset:496
	s_mov_b32 s4, exec_lo
	s_waitcnt vmcnt(11) lgkmcnt(2)
	v_mul_f32_e32 v87, v65, v75
	v_mul_f32_e32 v75, v66, v75
	s_waitcnt vmcnt(10)
	v_mul_f32_e32 v88, v67, v76
	v_mul_f32_e32 v76, v68, v76
	s_waitcnt vmcnt(9) lgkmcnt(1)
	v_mul_f32_e32 v89, v69, v77
	s_waitcnt vmcnt(6)
	v_fmac_f32_e32 v87, v66, v80
	v_fma_f32 v65, v65, v80, -v75
	v_mul_f32_e32 v66, v70, v77
	s_waitcnt vmcnt(5)
	v_fma_f32 v67, v67, v81, -v76
	v_fmac_f32_e32 v88, v68, v81
	v_add_f32_e32 v68, 0, v87
	v_add_f32_e32 v65, 0, v65
	v_mul_f32_e32 v75, v72, v78
	s_waitcnt vmcnt(4)
	v_fma_f32 v66, v69, v82, -v66
	v_mul_f32_e32 v90, v71, v78
	v_fmac_f32_e32 v89, v70, v82
	v_add_f32_e32 v65, v65, v67
	v_add_f32_e32 v67, v68, v88
	s_waitcnt lgkmcnt(0)
	v_mul_f32_e32 v68, v74, v79
	s_waitcnt vmcnt(3)
	v_fma_f32 v69, v71, v83, -v75
	v_mul_f32_e32 v91, v73, v79
	v_add_f32_e32 v65, v65, v66
	v_fmac_f32_e32 v90, v72, v83
	v_add_f32_e32 v66, v67, v89
	s_waitcnt vmcnt(2)
	v_fma_f32 v67, v73, v84, -v68
	v_fmac_f32_e32 v91, v74, v84
	v_add_f32_e32 v65, v65, v69
	v_add_f32_e32 v66, v66, v90
	;; [unrolled: 1-line block ×4, first 2 shown]
	s_waitcnt vmcnt(1)
	v_sub_f32_e32 v65, v85, v65
	s_waitcnt vmcnt(0)
	v_sub_f32_e32 v66, v86, v66
	buffer_store_dword v65, off, s[0:3], 0 offset:200
	buffer_store_dword v66, off, s[0:3], 0 offset:204
	v_cmpx_lt_u32_e32 24, v0
	s_cbranch_execz .LBB94_151
; %bb.150:
	s_clause 0x1
	buffer_load_dword v65, off, s[0:3], 0 offset:192
	buffer_load_dword v66, off, s[0:3], 0 offset:196
	buffer_store_dword v64, off, s[0:3], 0 offset:192
	buffer_store_dword v64, off, s[0:3], 0 offset:196
	s_waitcnt vmcnt(0)
	ds_write_b64 v63, v[65:66]
.LBB94_151:
	s_or_b32 exec_lo, exec_lo, s4
	s_waitcnt lgkmcnt(0)
	s_waitcnt_vscnt null, 0x0
	s_barrier
	buffer_gl0_inv
	s_clause 0xd
	buffer_load_dword v77, off, s[0:3], 0 offset:204
	buffer_load_dword v78, off, s[0:3], 0 offset:212
	;; [unrolled: 1-line block ×14, first 2 shown]
	ds_read2_b64 v[65:68], v64 offset0:57 offset1:58
	ds_read2_b64 v[69:72], v64 offset0:59 offset1:60
	;; [unrolled: 1-line block ×3, first 2 shown]
	s_mov_b32 s4, exec_lo
	s_waitcnt vmcnt(13) lgkmcnt(2)
	v_mul_f32_e32 v64, v65, v77
	v_mul_f32_e32 v77, v66, v77
	s_waitcnt vmcnt(12)
	v_mul_f32_e32 v91, v67, v78
	v_mul_f32_e32 v78, v68, v78
	s_waitcnt vmcnt(11) lgkmcnt(1)
	v_mul_f32_e32 v92, v69, v79
	s_waitcnt vmcnt(10)
	v_mul_f32_e32 v93, v71, v80
	s_waitcnt vmcnt(7)
	v_fma_f32 v65, v65, v83, -v77
	v_fmac_f32_e32 v64, v66, v83
	v_mul_f32_e32 v66, v70, v79
	s_waitcnt vmcnt(6)
	v_fma_f32 v67, v67, v84, -v78
	v_fmac_f32_e32 v91, v68, v84
	v_add_f32_e32 v65, 0, v65
	v_add_f32_e32 v64, 0, v64
	v_mul_f32_e32 v68, v72, v80
	s_waitcnt vmcnt(5)
	v_fma_f32 v66, v69, v85, -v66
	v_fmac_f32_e32 v92, v70, v85
	v_add_f32_e32 v65, v65, v67
	v_add_f32_e32 v64, v64, v91
	s_waitcnt lgkmcnt(0)
	v_mul_f32_e32 v67, v74, v81
	s_waitcnt vmcnt(4)
	v_fma_f32 v68, v71, v86, -v68
	v_mul_f32_e32 v94, v73, v81
	v_add_f32_e32 v65, v65, v66
	v_fmac_f32_e32 v93, v72, v86
	v_add_f32_e32 v64, v64, v92
	v_mul_f32_e32 v66, v76, v82
	s_waitcnt vmcnt(3)
	v_fma_f32 v67, v73, v87, -v67
	v_add_f32_e32 v65, v65, v68
	v_mul_f32_e32 v95, v75, v82
	v_fmac_f32_e32 v94, v74, v87
	v_add_f32_e32 v64, v64, v93
	s_waitcnt vmcnt(2)
	v_fma_f32 v66, v75, v88, -v66
	v_add_f32_e32 v65, v65, v67
	v_fmac_f32_e32 v95, v76, v88
	v_add_f32_e32 v64, v64, v94
	v_add_f32_e32 v65, v65, v66
	;; [unrolled: 1-line block ×3, first 2 shown]
	s_waitcnt vmcnt(1)
	v_sub_f32_e32 v65, v89, v65
	s_waitcnt vmcnt(0)
	v_sub_f32_e32 v64, v90, v64
	buffer_store_dword v65, off, s[0:3], 0 offset:192
	buffer_store_dword v64, off, s[0:3], 0 offset:196
	v_cmpx_lt_u32_e32 23, v0
	s_cbranch_execz .LBB94_153
; %bb.152:
	s_clause 0x1
	buffer_load_dword v64, off, s[0:3], 0 offset:184
	buffer_load_dword v65, off, s[0:3], 0 offset:188
	v_mov_b32_e32 v66, 0
	buffer_store_dword v66, off, s[0:3], 0 offset:184
	buffer_store_dword v66, off, s[0:3], 0 offset:188
	s_waitcnt vmcnt(0)
	ds_write_b64 v63, v[64:65]
.LBB94_153:
	s_or_b32 exec_lo, exec_lo, s4
	s_waitcnt lgkmcnt(0)
	s_waitcnt_vscnt null, 0x0
	s_barrier
	buffer_gl0_inv
	s_clause 0xf
	buffer_load_dword v79, off, s[0:3], 0 offset:196
	buffer_load_dword v80, off, s[0:3], 0 offset:204
	;; [unrolled: 1-line block ×16, first 2 shown]
	v_mov_b32_e32 v64, 0
	ds_read_b128 v[65:68], v64 offset:448
	ds_read_b128 v[69:72], v64 offset:464
	;; [unrolled: 1-line block ×3, first 2 shown]
	ds_read_b64 v[77:78], v64 offset:496
	s_mov_b32 s4, exec_lo
	s_waitcnt vmcnt(15) lgkmcnt(3)
	v_mul_f32_e32 v95, v65, v79
	v_mul_f32_e32 v79, v66, v79
	s_waitcnt vmcnt(14)
	v_mul_f32_e32 v96, v67, v80
	v_mul_f32_e32 v80, v68, v80
	s_waitcnt vmcnt(13) lgkmcnt(2)
	v_mul_f32_e32 v97, v69, v81
	s_waitcnt vmcnt(12)
	v_mul_f32_e32 v98, v71, v82
	s_waitcnt vmcnt(11) lgkmcnt(1)
	v_mul_f32_e32 v99, v73, v83
	s_waitcnt vmcnt(8)
	v_fma_f32 v65, v65, v86, -v79
	v_fmac_f32_e32 v95, v66, v86
	v_mul_f32_e32 v66, v70, v81
	s_waitcnt vmcnt(7)
	v_fma_f32 v67, v67, v87, -v80
	v_fmac_f32_e32 v96, v68, v87
	v_add_f32_e32 v65, 0, v65
	v_add_f32_e32 v68, 0, v95
	v_mul_f32_e32 v79, v72, v82
	s_waitcnt vmcnt(6)
	v_fma_f32 v66, v69, v88, -v66
	v_fmac_f32_e32 v97, v70, v88
	v_add_f32_e32 v65, v65, v67
	v_add_f32_e32 v67, v68, v96
	;; [unrolled: 6-line block ×3, first 2 shown]
	v_mul_f32_e32 v67, v76, v84
	s_waitcnt vmcnt(4)
	v_fma_f32 v68, v73, v90, -v68
	v_mul_f32_e32 v100, v75, v84
	v_add_f32_e32 v65, v65, v69
	v_fmac_f32_e32 v99, v74, v90
	v_add_f32_e32 v66, v66, v98
	s_waitcnt lgkmcnt(0)
	v_mul_f32_e32 v69, v78, v85
	s_waitcnt vmcnt(3)
	v_fma_f32 v67, v75, v91, -v67
	v_add_f32_e32 v65, v65, v68
	v_mul_f32_e32 v101, v77, v85
	v_fmac_f32_e32 v100, v76, v91
	v_add_f32_e32 v66, v66, v99
	s_waitcnt vmcnt(2)
	v_fma_f32 v68, v77, v92, -v69
	v_add_f32_e32 v65, v65, v67
	v_fmac_f32_e32 v101, v78, v92
	v_add_f32_e32 v66, v66, v100
	v_add_f32_e32 v65, v65, v68
	;; [unrolled: 1-line block ×3, first 2 shown]
	s_waitcnt vmcnt(1)
	v_sub_f32_e32 v65, v93, v65
	s_waitcnt vmcnt(0)
	v_sub_f32_e32 v66, v94, v66
	buffer_store_dword v65, off, s[0:3], 0 offset:184
	buffer_store_dword v66, off, s[0:3], 0 offset:188
	v_cmpx_lt_u32_e32 22, v0
	s_cbranch_execz .LBB94_155
; %bb.154:
	s_clause 0x1
	buffer_load_dword v65, off, s[0:3], 0 offset:176
	buffer_load_dword v66, off, s[0:3], 0 offset:180
	buffer_store_dword v64, off, s[0:3], 0 offset:176
	buffer_store_dword v64, off, s[0:3], 0 offset:180
	s_waitcnt vmcnt(0)
	ds_write_b64 v63, v[65:66]
.LBB94_155:
	s_or_b32 exec_lo, exec_lo, s4
	s_waitcnt lgkmcnt(0)
	s_waitcnt_vscnt null, 0x0
	s_barrier
	buffer_gl0_inv
	s_clause 0x11
	buffer_load_dword v81, off, s[0:3], 0 offset:188
	buffer_load_dword v82, off, s[0:3], 0 offset:196
	;; [unrolled: 1-line block ×18, first 2 shown]
	ds_read2_b64 v[65:68], v64 offset0:55 offset1:56
	ds_read2_b64 v[69:72], v64 offset0:57 offset1:58
	;; [unrolled: 1-line block ×4, first 2 shown]
	s_mov_b32 s4, exec_lo
	s_waitcnt vmcnt(17) lgkmcnt(3)
	v_mul_f32_e32 v64, v65, v81
	v_mul_f32_e32 v81, v66, v81
	s_waitcnt vmcnt(16)
	v_mul_f32_e32 v99, v67, v82
	v_mul_f32_e32 v82, v68, v82
	s_waitcnt vmcnt(15) lgkmcnt(2)
	v_mul_f32_e32 v100, v69, v83
	s_waitcnt vmcnt(14)
	v_mul_f32_e32 v101, v71, v84
	s_waitcnt vmcnt(13) lgkmcnt(1)
	v_mul_f32_e32 v102, v73, v85
	s_waitcnt vmcnt(12)
	v_mul_f32_e32 v103, v75, v86
	s_waitcnt vmcnt(9)
	v_fma_f32 v65, v65, v89, -v81
	v_fmac_f32_e32 v64, v66, v89
	v_mul_f32_e32 v66, v70, v83
	s_waitcnt vmcnt(8)
	v_fma_f32 v67, v67, v90, -v82
	v_fmac_f32_e32 v99, v68, v90
	v_add_f32_e32 v65, 0, v65
	v_add_f32_e32 v64, 0, v64
	v_mul_f32_e32 v68, v72, v84
	s_waitcnt vmcnt(7)
	v_fma_f32 v66, v69, v91, -v66
	v_fmac_f32_e32 v100, v70, v91
	v_add_f32_e32 v65, v65, v67
	v_add_f32_e32 v64, v64, v99
	;; [unrolled: 6-line block ×4, first 2 shown]
	s_waitcnt lgkmcnt(0)
	v_mul_f32_e32 v68, v78, v87
	s_waitcnt vmcnt(4)
	v_fma_f32 v66, v75, v94, -v66
	v_mul_f32_e32 v104, v77, v87
	v_add_f32_e32 v65, v65, v67
	v_fmac_f32_e32 v103, v76, v94
	v_add_f32_e32 v64, v64, v102
	v_mul_f32_e32 v67, v80, v88
	s_waitcnt vmcnt(3)
	v_fma_f32 v68, v77, v95, -v68
	v_add_f32_e32 v65, v65, v66
	v_mul_f32_e32 v105, v79, v88
	v_fmac_f32_e32 v104, v78, v95
	v_add_f32_e32 v64, v64, v103
	s_waitcnt vmcnt(2)
	v_fma_f32 v66, v79, v96, -v67
	v_add_f32_e32 v65, v65, v68
	v_fmac_f32_e32 v105, v80, v96
	v_add_f32_e32 v64, v64, v104
	v_add_f32_e32 v65, v65, v66
	;; [unrolled: 1-line block ×3, first 2 shown]
	s_waitcnt vmcnt(1)
	v_sub_f32_e32 v65, v97, v65
	s_waitcnt vmcnt(0)
	v_sub_f32_e32 v64, v98, v64
	buffer_store_dword v65, off, s[0:3], 0 offset:176
	buffer_store_dword v64, off, s[0:3], 0 offset:180
	v_cmpx_lt_u32_e32 21, v0
	s_cbranch_execz .LBB94_157
; %bb.156:
	s_clause 0x1
	buffer_load_dword v64, off, s[0:3], 0 offset:168
	buffer_load_dword v65, off, s[0:3], 0 offset:172
	v_mov_b32_e32 v66, 0
	buffer_store_dword v66, off, s[0:3], 0 offset:168
	buffer_store_dword v66, off, s[0:3], 0 offset:172
	s_waitcnt vmcnt(0)
	ds_write_b64 v63, v[64:65]
.LBB94_157:
	s_or_b32 exec_lo, exec_lo, s4
	s_waitcnt lgkmcnt(0)
	s_waitcnt_vscnt null, 0x0
	s_barrier
	buffer_gl0_inv
	s_clause 0x13
	buffer_load_dword v83, off, s[0:3], 0 offset:180
	buffer_load_dword v84, off, s[0:3], 0 offset:188
	;; [unrolled: 1-line block ×20, first 2 shown]
	v_mov_b32_e32 v64, 0
	ds_read_b128 v[65:68], v64 offset:432
	ds_read_b128 v[69:72], v64 offset:448
	ds_read_b128 v[73:76], v64 offset:464
	ds_read_b128 v[77:80], v64 offset:480
	ds_read_b64 v[81:82], v64 offset:496
	s_mov_b32 s4, exec_lo
	s_waitcnt vmcnt(19) lgkmcnt(4)
	v_mul_f32_e32 v103, v65, v83
	v_mul_f32_e32 v83, v66, v83
	s_waitcnt vmcnt(18)
	v_mul_f32_e32 v104, v67, v84
	v_mul_f32_e32 v84, v68, v84
	s_waitcnt vmcnt(17) lgkmcnt(3)
	v_mul_f32_e32 v105, v69, v85
	s_waitcnt vmcnt(16)
	v_mul_f32_e32 v106, v71, v86
	s_waitcnt vmcnt(15) lgkmcnt(2)
	v_mul_f32_e32 v107, v73, v87
	s_waitcnt vmcnt(14)
	;; [unrolled: 4-line block ×3, first 2 shown]
	v_fma_f32 v65, v65, v92, -v83
	v_fmac_f32_e32 v103, v66, v92
	v_mul_f32_e32 v66, v70, v85
	s_waitcnt vmcnt(9)
	v_fma_f32 v67, v67, v93, -v84
	v_fmac_f32_e32 v104, v68, v93
	v_add_f32_e32 v65, 0, v65
	v_add_f32_e32 v68, 0, v103
	v_mul_f32_e32 v83, v72, v86
	s_waitcnt vmcnt(8)
	v_fma_f32 v66, v69, v94, -v66
	v_fmac_f32_e32 v105, v70, v94
	v_add_f32_e32 v65, v65, v67
	v_add_f32_e32 v67, v68, v104
	;; [unrolled: 6-line block ×5, first 2 shown]
	v_mul_f32_e32 v68, v80, v90
	s_waitcnt vmcnt(4)
	v_fma_f32 v69, v77, v98, -v69
	v_mul_f32_e32 v110, v79, v90
	v_add_f32_e32 v65, v65, v67
	v_fmac_f32_e32 v109, v78, v98
	v_add_f32_e32 v66, v66, v108
	s_waitcnt lgkmcnt(0)
	v_mul_f32_e32 v67, v82, v91
	s_waitcnt vmcnt(3)
	v_fma_f32 v68, v79, v99, -v68
	v_add_f32_e32 v65, v65, v69
	v_mul_f32_e32 v111, v81, v91
	v_fmac_f32_e32 v110, v80, v99
	v_add_f32_e32 v66, v66, v109
	s_waitcnt vmcnt(2)
	v_fma_f32 v67, v81, v100, -v67
	v_add_f32_e32 v65, v65, v68
	v_fmac_f32_e32 v111, v82, v100
	v_add_f32_e32 v66, v66, v110
	v_add_f32_e32 v65, v65, v67
	;; [unrolled: 1-line block ×3, first 2 shown]
	s_waitcnt vmcnt(1)
	v_sub_f32_e32 v65, v101, v65
	s_waitcnt vmcnt(0)
	v_sub_f32_e32 v66, v102, v66
	buffer_store_dword v65, off, s[0:3], 0 offset:168
	buffer_store_dword v66, off, s[0:3], 0 offset:172
	v_cmpx_lt_u32_e32 20, v0
	s_cbranch_execz .LBB94_159
; %bb.158:
	s_clause 0x1
	buffer_load_dword v65, off, s[0:3], 0 offset:160
	buffer_load_dword v66, off, s[0:3], 0 offset:164
	buffer_store_dword v64, off, s[0:3], 0 offset:160
	buffer_store_dword v64, off, s[0:3], 0 offset:164
	s_waitcnt vmcnt(0)
	ds_write_b64 v63, v[65:66]
.LBB94_159:
	s_or_b32 exec_lo, exec_lo, s4
	s_waitcnt lgkmcnt(0)
	s_waitcnt_vscnt null, 0x0
	s_barrier
	buffer_gl0_inv
	s_clause 0x15
	buffer_load_dword v85, off, s[0:3], 0 offset:172
	buffer_load_dword v86, off, s[0:3], 0 offset:180
	;; [unrolled: 1-line block ×22, first 2 shown]
	ds_read2_b64 v[65:68], v64 offset0:53 offset1:54
	ds_read2_b64 v[69:72], v64 offset0:55 offset1:56
	;; [unrolled: 1-line block ×5, first 2 shown]
	s_mov_b32 s4, exec_lo
	s_waitcnt vmcnt(21) lgkmcnt(4)
	v_mul_f32_e32 v64, v65, v85
	v_mul_f32_e32 v85, v66, v85
	s_waitcnt vmcnt(20)
	v_mul_f32_e32 v107, v67, v86
	v_mul_f32_e32 v86, v68, v86
	s_waitcnt vmcnt(19) lgkmcnt(3)
	v_mul_f32_e32 v108, v69, v87
	s_waitcnt vmcnt(18)
	v_mul_f32_e32 v109, v71, v88
	s_waitcnt vmcnt(17) lgkmcnt(2)
	v_mul_f32_e32 v110, v73, v89
	s_waitcnt vmcnt(16)
	;; [unrolled: 4-line block ×3, first 2 shown]
	v_mul_f32_e32 v113, v79, v92
	s_waitcnt vmcnt(11)
	v_fma_f32 v65, v65, v95, -v85
	v_fmac_f32_e32 v64, v66, v95
	v_mul_f32_e32 v66, v70, v87
	s_waitcnt vmcnt(10)
	v_fma_f32 v67, v67, v96, -v86
	v_fmac_f32_e32 v107, v68, v96
	v_add_f32_e32 v65, 0, v65
	v_add_f32_e32 v64, 0, v64
	v_mul_f32_e32 v68, v72, v88
	s_waitcnt vmcnt(9)
	v_fma_f32 v66, v69, v97, -v66
	v_fmac_f32_e32 v108, v70, v97
	v_add_f32_e32 v65, v65, v67
	v_add_f32_e32 v64, v64, v107
	v_mul_f32_e32 v67, v74, v89
	s_waitcnt vmcnt(8)
	v_fma_f32 v68, v71, v98, -v68
	v_fmac_f32_e32 v109, v72, v98
	v_add_f32_e32 v65, v65, v66
	v_add_f32_e32 v64, v64, v108
	v_mul_f32_e32 v66, v76, v90
	s_waitcnt vmcnt(7)
	v_fma_f32 v67, v73, v99, -v67
	v_fmac_f32_e32 v110, v74, v99
	v_add_f32_e32 v65, v65, v68
	v_add_f32_e32 v64, v64, v109
	v_mul_f32_e32 v68, v78, v91
	s_waitcnt vmcnt(6)
	v_fma_f32 v66, v75, v100, -v66
	v_fmac_f32_e32 v111, v76, v100
	v_add_f32_e32 v65, v65, v67
	v_add_f32_e32 v64, v64, v110
	v_mul_f32_e32 v67, v80, v92
	s_waitcnt vmcnt(5)
	v_fma_f32 v68, v77, v101, -v68
	v_fmac_f32_e32 v112, v78, v101
	v_add_f32_e32 v65, v65, v66
	v_add_f32_e32 v64, v64, v111
	s_waitcnt lgkmcnt(0)
	v_mul_f32_e32 v66, v82, v93
	s_waitcnt vmcnt(4)
	v_fma_f32 v67, v79, v102, -v67
	v_mul_f32_e32 v114, v81, v93
	v_add_f32_e32 v65, v65, v68
	v_fmac_f32_e32 v113, v80, v102
	v_add_f32_e32 v64, v64, v112
	v_mul_f32_e32 v68, v84, v94
	s_waitcnt vmcnt(3)
	v_fma_f32 v66, v81, v103, -v66
	v_add_f32_e32 v65, v65, v67
	v_mul_f32_e32 v115, v83, v94
	v_fmac_f32_e32 v114, v82, v103
	v_add_f32_e32 v64, v64, v113
	s_waitcnt vmcnt(2)
	v_fma_f32 v67, v83, v104, -v68
	v_add_f32_e32 v65, v65, v66
	v_fmac_f32_e32 v115, v84, v104
	v_add_f32_e32 v64, v64, v114
	v_add_f32_e32 v65, v65, v67
	;; [unrolled: 1-line block ×3, first 2 shown]
	s_waitcnt vmcnt(1)
	v_sub_f32_e32 v65, v105, v65
	s_waitcnt vmcnt(0)
	v_sub_f32_e32 v64, v106, v64
	buffer_store_dword v65, off, s[0:3], 0 offset:160
	buffer_store_dword v64, off, s[0:3], 0 offset:164
	v_cmpx_lt_u32_e32 19, v0
	s_cbranch_execz .LBB94_161
; %bb.160:
	s_clause 0x1
	buffer_load_dword v64, off, s[0:3], 0 offset:152
	buffer_load_dword v65, off, s[0:3], 0 offset:156
	v_mov_b32_e32 v66, 0
	buffer_store_dword v66, off, s[0:3], 0 offset:152
	buffer_store_dword v66, off, s[0:3], 0 offset:156
	s_waitcnt vmcnt(0)
	ds_write_b64 v63, v[64:65]
.LBB94_161:
	s_or_b32 exec_lo, exec_lo, s4
	s_waitcnt lgkmcnt(0)
	s_waitcnt_vscnt null, 0x0
	s_barrier
	buffer_gl0_inv
	s_clause 0x17
	buffer_load_dword v87, off, s[0:3], 0 offset:164
	buffer_load_dword v88, off, s[0:3], 0 offset:172
	;; [unrolled: 1-line block ×24, first 2 shown]
	v_mov_b32_e32 v64, 0
	ds_read_b128 v[65:68], v64 offset:416
	ds_read_b128 v[69:72], v64 offset:432
	;; [unrolled: 1-line block ×5, first 2 shown]
	ds_read_b64 v[85:86], v64 offset:496
	s_mov_b32 s4, exec_lo
	s_waitcnt vmcnt(23) lgkmcnt(5)
	v_mul_f32_e32 v111, v65, v87
	v_mul_f32_e32 v87, v66, v87
	s_waitcnt vmcnt(22)
	v_mul_f32_e32 v112, v67, v88
	v_mul_f32_e32 v88, v68, v88
	s_waitcnt vmcnt(21) lgkmcnt(4)
	v_mul_f32_e32 v113, v69, v89
	s_waitcnt vmcnt(20)
	v_mul_f32_e32 v114, v71, v90
	s_waitcnt vmcnt(19) lgkmcnt(3)
	v_mul_f32_e32 v115, v73, v91
	s_waitcnt vmcnt(18)
	;; [unrolled: 4-line block ×4, first 2 shown]
	v_fma_f32 v65, v65, v98, -v87
	v_fmac_f32_e32 v111, v66, v98
	v_mul_f32_e32 v66, v70, v89
	s_waitcnt vmcnt(11)
	v_fma_f32 v67, v67, v99, -v88
	v_fmac_f32_e32 v112, v68, v99
	v_add_f32_e32 v65, 0, v65
	v_add_f32_e32 v68, 0, v111
	v_mul_f32_e32 v87, v72, v90
	s_waitcnt vmcnt(10)
	v_fma_f32 v66, v69, v100, -v66
	v_fmac_f32_e32 v113, v70, v100
	v_add_f32_e32 v65, v65, v67
	v_add_f32_e32 v67, v68, v112
	;; [unrolled: 6-line block ×7, first 2 shown]
	v_mul_f32_e32 v69, v84, v96
	s_waitcnt vmcnt(4)
	v_fma_f32 v67, v81, v106, -v67
	v_mul_f32_e32 v120, v83, v96
	v_add_f32_e32 v65, v65, v68
	v_fmac_f32_e32 v119, v82, v106
	v_add_f32_e32 v66, v66, v118
	s_waitcnt lgkmcnt(0)
	v_mul_f32_e32 v68, v86, v97
	s_waitcnt vmcnt(3)
	v_fma_f32 v69, v83, v107, -v69
	v_add_f32_e32 v65, v65, v67
	v_mul_f32_e32 v121, v85, v97
	v_fmac_f32_e32 v120, v84, v107
	v_add_f32_e32 v66, v66, v119
	s_waitcnt vmcnt(2)
	v_fma_f32 v67, v85, v108, -v68
	v_add_f32_e32 v65, v65, v69
	v_fmac_f32_e32 v121, v86, v108
	v_add_f32_e32 v66, v66, v120
	v_add_f32_e32 v65, v65, v67
	;; [unrolled: 1-line block ×3, first 2 shown]
	s_waitcnt vmcnt(1)
	v_sub_f32_e32 v65, v109, v65
	s_waitcnt vmcnt(0)
	v_sub_f32_e32 v66, v110, v66
	buffer_store_dword v65, off, s[0:3], 0 offset:152
	buffer_store_dword v66, off, s[0:3], 0 offset:156
	v_cmpx_lt_u32_e32 18, v0
	s_cbranch_execz .LBB94_163
; %bb.162:
	s_clause 0x1
	buffer_load_dword v65, off, s[0:3], 0 offset:144
	buffer_load_dword v66, off, s[0:3], 0 offset:148
	buffer_store_dword v64, off, s[0:3], 0 offset:144
	buffer_store_dword v64, off, s[0:3], 0 offset:148
	s_waitcnt vmcnt(0)
	ds_write_b64 v63, v[65:66]
.LBB94_163:
	s_or_b32 exec_lo, exec_lo, s4
	s_waitcnt lgkmcnt(0)
	s_waitcnt_vscnt null, 0x0
	s_barrier
	buffer_gl0_inv
	s_clause 0x19
	buffer_load_dword v89, off, s[0:3], 0 offset:156
	buffer_load_dword v90, off, s[0:3], 0 offset:164
	;; [unrolled: 1-line block ×26, first 2 shown]
	ds_read2_b64 v[65:68], v64 offset0:51 offset1:52
	ds_read2_b64 v[69:72], v64 offset0:53 offset1:54
	;; [unrolled: 1-line block ×6, first 2 shown]
	s_mov_b32 s4, exec_lo
	s_waitcnt vmcnt(25) lgkmcnt(5)
	v_mul_f32_e32 v64, v65, v89
	v_mul_f32_e32 v89, v66, v89
	s_waitcnt vmcnt(24)
	v_mul_f32_e32 v115, v67, v90
	v_mul_f32_e32 v90, v68, v90
	s_waitcnt vmcnt(23) lgkmcnt(4)
	v_mul_f32_e32 v116, v69, v91
	s_waitcnt vmcnt(22)
	v_mul_f32_e32 v117, v71, v92
	s_waitcnt vmcnt(21) lgkmcnt(3)
	v_mul_f32_e32 v118, v73, v93
	s_waitcnt vmcnt(20)
	;; [unrolled: 4-line block ×4, first 2 shown]
	v_mul_f32_e32 v123, v83, v98
	s_waitcnt vmcnt(13)
	v_fma_f32 v65, v65, v101, -v89
	v_fmac_f32_e32 v64, v66, v101
	v_mul_f32_e32 v66, v70, v91
	s_waitcnt vmcnt(12)
	v_fma_f32 v67, v67, v102, -v90
	v_fmac_f32_e32 v115, v68, v102
	v_add_f32_e32 v65, 0, v65
	v_add_f32_e32 v64, 0, v64
	v_mul_f32_e32 v68, v72, v92
	s_waitcnt vmcnt(11)
	v_fma_f32 v66, v69, v103, -v66
	v_fmac_f32_e32 v116, v70, v103
	v_add_f32_e32 v65, v65, v67
	v_add_f32_e32 v64, v64, v115
	;; [unrolled: 6-line block ×8, first 2 shown]
	s_waitcnt lgkmcnt(0)
	v_mul_f32_e32 v67, v86, v99
	s_waitcnt vmcnt(4)
	v_fma_f32 v68, v83, v110, -v68
	v_mul_f32_e32 v124, v85, v99
	v_add_f32_e32 v65, v65, v66
	v_fmac_f32_e32 v123, v84, v110
	v_add_f32_e32 v64, v64, v122
	v_mul_f32_e32 v66, v88, v100
	s_waitcnt vmcnt(3)
	v_fma_f32 v67, v85, v111, -v67
	v_add_f32_e32 v65, v65, v68
	v_mul_f32_e32 v125, v87, v100
	v_fmac_f32_e32 v124, v86, v111
	v_add_f32_e32 v64, v64, v123
	s_waitcnt vmcnt(2)
	v_fma_f32 v66, v87, v112, -v66
	v_add_f32_e32 v65, v65, v67
	v_fmac_f32_e32 v125, v88, v112
	v_add_f32_e32 v64, v64, v124
	v_add_f32_e32 v65, v65, v66
	v_add_f32_e32 v64, v64, v125
	s_waitcnt vmcnt(1)
	v_sub_f32_e32 v65, v113, v65
	s_waitcnt vmcnt(0)
	v_sub_f32_e32 v64, v114, v64
	buffer_store_dword v65, off, s[0:3], 0 offset:144
	buffer_store_dword v64, off, s[0:3], 0 offset:148
	v_cmpx_lt_u32_e32 17, v0
	s_cbranch_execz .LBB94_165
; %bb.164:
	s_clause 0x1
	buffer_load_dword v64, off, s[0:3], 0 offset:136
	buffer_load_dword v65, off, s[0:3], 0 offset:140
	v_mov_b32_e32 v66, 0
	buffer_store_dword v66, off, s[0:3], 0 offset:136
	buffer_store_dword v66, off, s[0:3], 0 offset:140
	s_waitcnt vmcnt(0)
	ds_write_b64 v63, v[64:65]
.LBB94_165:
	s_or_b32 exec_lo, exec_lo, s4
	s_waitcnt lgkmcnt(0)
	s_waitcnt_vscnt null, 0x0
	s_barrier
	buffer_gl0_inv
	s_clause 0x1b
	buffer_load_dword v91, off, s[0:3], 0 offset:148
	buffer_load_dword v92, off, s[0:3], 0 offset:156
	;; [unrolled: 1-line block ×28, first 2 shown]
	v_mov_b32_e32 v64, 0
	ds_read_b128 v[65:68], v64 offset:400
	ds_read_b128 v[69:72], v64 offset:416
	;; [unrolled: 1-line block ×6, first 2 shown]
	ds_read_b64 v[89:90], v64 offset:496
	s_mov_b32 s4, exec_lo
	s_waitcnt vmcnt(27) lgkmcnt(6)
	v_mul_f32_e32 v119, v65, v91
	v_mul_f32_e32 v91, v66, v91
	s_waitcnt vmcnt(26)
	v_mul_f32_e32 v120, v67, v92
	v_mul_f32_e32 v92, v68, v92
	s_waitcnt vmcnt(25) lgkmcnt(5)
	v_mul_f32_e32 v121, v69, v93
	s_waitcnt vmcnt(24)
	v_mul_f32_e32 v122, v71, v94
	s_waitcnt vmcnt(23) lgkmcnt(4)
	v_mul_f32_e32 v123, v73, v95
	s_waitcnt vmcnt(22)
	;; [unrolled: 4-line block ×5, first 2 shown]
	v_fma_f32 v65, v65, v104, -v91
	v_fmac_f32_e32 v119, v66, v104
	v_mul_f32_e32 v66, v70, v93
	s_waitcnt vmcnt(13)
	v_fma_f32 v67, v67, v105, -v92
	v_fmac_f32_e32 v120, v68, v105
	v_add_f32_e32 v65, 0, v65
	v_add_f32_e32 v68, 0, v119
	v_mul_f32_e32 v91, v72, v94
	s_waitcnt vmcnt(12)
	v_fma_f32 v66, v69, v106, -v66
	v_fmac_f32_e32 v121, v70, v106
	v_add_f32_e32 v65, v65, v67
	v_add_f32_e32 v67, v68, v120
	;; [unrolled: 6-line block ×9, first 2 shown]
	v_mul_f32_e32 v67, v88, v102
	s_waitcnt vmcnt(4)
	v_fma_f32 v68, v85, v114, -v68
	v_mul_f32_e32 v130, v87, v102
	v_add_f32_e32 v65, v65, v69
	v_fmac_f32_e32 v129, v86, v114
	v_add_f32_e32 v66, v66, v128
	s_waitcnt lgkmcnt(0)
	v_mul_f32_e32 v69, v90, v103
	s_waitcnt vmcnt(3)
	v_fma_f32 v67, v87, v115, -v67
	v_add_f32_e32 v65, v65, v68
	v_mul_f32_e32 v131, v89, v103
	v_fmac_f32_e32 v130, v88, v115
	v_add_f32_e32 v66, v66, v129
	s_waitcnt vmcnt(2)
	v_fma_f32 v68, v89, v116, -v69
	v_add_f32_e32 v65, v65, v67
	v_fmac_f32_e32 v131, v90, v116
	v_add_f32_e32 v66, v66, v130
	v_add_f32_e32 v65, v65, v68
	;; [unrolled: 1-line block ×3, first 2 shown]
	s_waitcnt vmcnt(1)
	v_sub_f32_e32 v65, v117, v65
	s_waitcnt vmcnt(0)
	v_sub_f32_e32 v66, v118, v66
	buffer_store_dword v65, off, s[0:3], 0 offset:136
	buffer_store_dword v66, off, s[0:3], 0 offset:140
	v_cmpx_lt_u32_e32 16, v0
	s_cbranch_execz .LBB94_167
; %bb.166:
	s_clause 0x1
	buffer_load_dword v65, off, s[0:3], 0 offset:128
	buffer_load_dword v66, off, s[0:3], 0 offset:132
	buffer_store_dword v64, off, s[0:3], 0 offset:128
	buffer_store_dword v64, off, s[0:3], 0 offset:132
	s_waitcnt vmcnt(0)
	ds_write_b64 v63, v[65:66]
.LBB94_167:
	s_or_b32 exec_lo, exec_lo, s4
	s_waitcnt lgkmcnt(0)
	s_waitcnt_vscnt null, 0x0
	s_barrier
	buffer_gl0_inv
	s_clause 0x1d
	buffer_load_dword v93, off, s[0:3], 0 offset:140
	buffer_load_dword v94, off, s[0:3], 0 offset:148
	;; [unrolled: 1-line block ×30, first 2 shown]
	ds_read2_b64 v[65:68], v64 offset0:49 offset1:50
	ds_read2_b64 v[69:72], v64 offset0:51 offset1:52
	;; [unrolled: 1-line block ×7, first 2 shown]
	s_mov_b32 s4, exec_lo
	s_waitcnt vmcnt(29) lgkmcnt(6)
	v_mul_f32_e32 v64, v65, v93
	v_mul_f32_e32 v93, v66, v93
	s_waitcnt vmcnt(28)
	v_mul_f32_e32 v123, v67, v94
	v_mul_f32_e32 v94, v68, v94
	s_waitcnt vmcnt(27) lgkmcnt(5)
	v_mul_f32_e32 v124, v69, v95
	s_waitcnt vmcnt(26)
	v_mul_f32_e32 v125, v71, v96
	s_waitcnt vmcnt(25) lgkmcnt(4)
	v_mul_f32_e32 v126, v73, v97
	s_waitcnt vmcnt(24)
	;; [unrolled: 4-line block ×5, first 2 shown]
	v_mul_f32_e32 v133, v87, v104
	s_waitcnt vmcnt(15)
	v_fma_f32 v65, v65, v107, -v93
	v_fmac_f32_e32 v64, v66, v107
	v_mul_f32_e32 v66, v70, v95
	s_waitcnt vmcnt(14)
	v_fma_f32 v67, v67, v108, -v94
	v_fmac_f32_e32 v123, v68, v108
	v_add_f32_e32 v65, 0, v65
	v_add_f32_e32 v64, 0, v64
	v_mul_f32_e32 v68, v72, v96
	s_waitcnt vmcnt(13)
	v_fma_f32 v66, v69, v109, -v66
	v_fmac_f32_e32 v124, v70, v109
	v_add_f32_e32 v65, v65, v67
	v_add_f32_e32 v64, v64, v123
	v_mul_f32_e32 v67, v74, v97
	s_waitcnt vmcnt(12)
	v_fma_f32 v68, v71, v110, -v68
	v_fmac_f32_e32 v125, v72, v110
	v_add_f32_e32 v65, v65, v66
	v_add_f32_e32 v64, v64, v124
	v_mul_f32_e32 v66, v76, v98
	s_waitcnt vmcnt(11)
	v_fma_f32 v67, v73, v111, -v67
	v_fmac_f32_e32 v126, v74, v111
	v_add_f32_e32 v65, v65, v68
	v_add_f32_e32 v64, v64, v125
	v_mul_f32_e32 v68, v78, v99
	s_waitcnt vmcnt(10)
	v_fma_f32 v66, v75, v112, -v66
	v_fmac_f32_e32 v127, v76, v112
	v_add_f32_e32 v65, v65, v67
	v_add_f32_e32 v64, v64, v126
	v_mul_f32_e32 v67, v80, v100
	s_waitcnt vmcnt(9)
	v_fma_f32 v68, v77, v113, -v68
	v_fmac_f32_e32 v128, v78, v113
	v_add_f32_e32 v65, v65, v66
	v_add_f32_e32 v64, v64, v127
	v_mul_f32_e32 v66, v82, v101
	s_waitcnt vmcnt(8)
	v_fma_f32 v67, v79, v114, -v67
	v_fmac_f32_e32 v129, v80, v114
	v_add_f32_e32 v65, v65, v68
	v_add_f32_e32 v64, v64, v128
	v_mul_f32_e32 v68, v84, v102
	s_waitcnt vmcnt(7)
	v_fma_f32 v66, v81, v115, -v66
	v_fmac_f32_e32 v130, v82, v115
	v_add_f32_e32 v65, v65, v67
	v_add_f32_e32 v64, v64, v129
	v_mul_f32_e32 v67, v86, v103
	s_waitcnt vmcnt(6)
	v_fma_f32 v68, v83, v116, -v68
	v_fmac_f32_e32 v131, v84, v116
	v_add_f32_e32 v65, v65, v66
	v_add_f32_e32 v64, v64, v130
	v_mul_f32_e32 v66, v88, v104
	s_waitcnt vmcnt(5)
	v_fma_f32 v67, v85, v117, -v67
	v_fmac_f32_e32 v132, v86, v117
	v_add_f32_e32 v65, v65, v68
	v_add_f32_e32 v64, v64, v131
	s_waitcnt lgkmcnt(0)
	v_mul_f32_e32 v68, v90, v105
	s_waitcnt vmcnt(4)
	v_fma_f32 v66, v87, v118, -v66
	v_mul_f32_e32 v134, v89, v105
	v_add_f32_e32 v65, v65, v67
	v_fmac_f32_e32 v133, v88, v118
	v_add_f32_e32 v64, v64, v132
	v_mul_f32_e32 v67, v92, v106
	s_waitcnt vmcnt(3)
	v_fma_f32 v68, v89, v119, -v68
	v_add_f32_e32 v65, v65, v66
	v_mul_f32_e32 v135, v91, v106
	v_fmac_f32_e32 v134, v90, v119
	v_add_f32_e32 v64, v64, v133
	s_waitcnt vmcnt(2)
	v_fma_f32 v66, v91, v120, -v67
	v_add_f32_e32 v65, v65, v68
	v_fmac_f32_e32 v135, v92, v120
	v_add_f32_e32 v64, v64, v134
	v_add_f32_e32 v65, v65, v66
	;; [unrolled: 1-line block ×3, first 2 shown]
	s_waitcnt vmcnt(1)
	v_sub_f32_e32 v65, v121, v65
	s_waitcnt vmcnt(0)
	v_sub_f32_e32 v64, v122, v64
	buffer_store_dword v65, off, s[0:3], 0 offset:128
	buffer_store_dword v64, off, s[0:3], 0 offset:132
	v_cmpx_lt_u32_e32 15, v0
	s_cbranch_execz .LBB94_169
; %bb.168:
	s_clause 0x1
	buffer_load_dword v64, off, s[0:3], 0 offset:120
	buffer_load_dword v65, off, s[0:3], 0 offset:124
	v_mov_b32_e32 v66, 0
	buffer_store_dword v66, off, s[0:3], 0 offset:120
	buffer_store_dword v66, off, s[0:3], 0 offset:124
	s_waitcnt vmcnt(0)
	ds_write_b64 v63, v[64:65]
.LBB94_169:
	s_or_b32 exec_lo, exec_lo, s4
	s_waitcnt lgkmcnt(0)
	s_waitcnt_vscnt null, 0x0
	s_barrier
	buffer_gl0_inv
	s_clause 0x1f
	buffer_load_dword v95, off, s[0:3], 0 offset:132
	buffer_load_dword v96, off, s[0:3], 0 offset:140
	;; [unrolled: 1-line block ×32, first 2 shown]
	v_mov_b32_e32 v64, 0
	ds_read_b128 v[65:68], v64 offset:384
	ds_read_b128 v[69:72], v64 offset:400
	;; [unrolled: 1-line block ×7, first 2 shown]
	ds_read_b64 v[93:94], v64 offset:496
	s_mov_b32 s4, exec_lo
	s_waitcnt vmcnt(31) lgkmcnt(7)
	v_mul_f32_e32 v127, v65, v95
	v_mul_f32_e32 v95, v66, v95
	s_waitcnt vmcnt(30)
	v_mul_f32_e32 v128, v67, v96
	v_mul_f32_e32 v96, v68, v96
	s_waitcnt vmcnt(29) lgkmcnt(6)
	v_mul_f32_e32 v129, v69, v97
	s_waitcnt vmcnt(28)
	v_mul_f32_e32 v130, v71, v98
	s_waitcnt vmcnt(27) lgkmcnt(5)
	v_mul_f32_e32 v131, v73, v99
	s_waitcnt vmcnt(26)
	;; [unrolled: 4-line block ×6, first 2 shown]
	v_fma_f32 v65, v65, v110, -v95
	v_fmac_f32_e32 v127, v66, v110
	v_mul_f32_e32 v66, v70, v97
	s_waitcnt vmcnt(15)
	v_fma_f32 v67, v67, v111, -v96
	v_fmac_f32_e32 v128, v68, v111
	v_add_f32_e32 v65, 0, v65
	v_add_f32_e32 v68, 0, v127
	v_mul_f32_e32 v95, v72, v98
	s_waitcnt vmcnt(14)
	v_fma_f32 v66, v69, v112, -v66
	v_fmac_f32_e32 v129, v70, v112
	v_add_f32_e32 v65, v65, v67
	v_add_f32_e32 v67, v68, v128
	;; [unrolled: 6-line block ×11, first 2 shown]
	v_mul_f32_e32 v68, v92, v108
	s_waitcnt vmcnt(4)
	v_fma_f32 v69, v89, v122, -v69
	v_mul_f32_e32 v140, v91, v108
	v_add_f32_e32 v65, v65, v67
	v_fmac_f32_e32 v139, v90, v122
	v_add_f32_e32 v66, v66, v138
	s_waitcnt lgkmcnt(0)
	v_mul_f32_e32 v67, v94, v109
	s_waitcnt vmcnt(3)
	v_fma_f32 v68, v91, v123, -v68
	v_add_f32_e32 v65, v65, v69
	v_mul_f32_e32 v141, v93, v109
	v_fmac_f32_e32 v140, v92, v123
	v_add_f32_e32 v66, v66, v139
	s_waitcnt vmcnt(2)
	v_fma_f32 v67, v93, v124, -v67
	v_add_f32_e32 v65, v65, v68
	v_fmac_f32_e32 v141, v94, v124
	v_add_f32_e32 v66, v66, v140
	v_add_f32_e32 v65, v65, v67
	;; [unrolled: 1-line block ×3, first 2 shown]
	s_waitcnt vmcnt(1)
	v_sub_f32_e32 v65, v125, v65
	s_waitcnt vmcnt(0)
	v_sub_f32_e32 v66, v126, v66
	buffer_store_dword v65, off, s[0:3], 0 offset:120
	buffer_store_dword v66, off, s[0:3], 0 offset:124
	v_cmpx_lt_u32_e32 14, v0
	s_cbranch_execz .LBB94_171
; %bb.170:
	s_clause 0x1
	buffer_load_dword v65, off, s[0:3], 0 offset:112
	buffer_load_dword v66, off, s[0:3], 0 offset:116
	buffer_store_dword v64, off, s[0:3], 0 offset:112
	buffer_store_dword v64, off, s[0:3], 0 offset:116
	s_waitcnt vmcnt(0)
	ds_write_b64 v63, v[65:66]
.LBB94_171:
	s_or_b32 exec_lo, exec_lo, s4
	s_waitcnt lgkmcnt(0)
	s_waitcnt_vscnt null, 0x0
	s_barrier
	buffer_gl0_inv
	s_clause 0x21
	buffer_load_dword v97, off, s[0:3], 0 offset:124
	buffer_load_dword v98, off, s[0:3], 0 offset:132
	;; [unrolled: 1-line block ×34, first 2 shown]
	ds_read2_b64 v[65:68], v64 offset0:47 offset1:48
	ds_read2_b64 v[69:72], v64 offset0:49 offset1:50
	;; [unrolled: 1-line block ×8, first 2 shown]
	s_mov_b32 s4, exec_lo
	s_waitcnt vmcnt(33) lgkmcnt(7)
	v_mul_f32_e32 v64, v65, v97
	v_mul_f32_e32 v97, v66, v97
	s_waitcnt vmcnt(32)
	v_mul_f32_e32 v131, v67, v98
	v_mul_f32_e32 v98, v68, v98
	s_waitcnt vmcnt(31) lgkmcnt(6)
	v_mul_f32_e32 v132, v69, v99
	s_waitcnt vmcnt(30)
	v_mul_f32_e32 v133, v71, v100
	s_waitcnt vmcnt(29) lgkmcnt(5)
	v_mul_f32_e32 v134, v73, v101
	s_waitcnt vmcnt(28)
	;; [unrolled: 4-line block ×6, first 2 shown]
	v_mul_f32_e32 v143, v91, v110
	s_waitcnt vmcnt(17)
	v_fma_f32 v65, v65, v113, -v97
	v_fmac_f32_e32 v64, v66, v113
	v_mul_f32_e32 v66, v70, v99
	s_waitcnt vmcnt(16)
	v_fma_f32 v67, v67, v114, -v98
	v_fmac_f32_e32 v131, v68, v114
	v_add_f32_e32 v65, 0, v65
	v_add_f32_e32 v64, 0, v64
	v_mul_f32_e32 v68, v72, v100
	s_waitcnt vmcnt(15)
	v_fma_f32 v66, v69, v115, -v66
	v_fmac_f32_e32 v132, v70, v115
	v_add_f32_e32 v65, v65, v67
	v_add_f32_e32 v64, v64, v131
	;; [unrolled: 6-line block ×12, first 2 shown]
	s_waitcnt lgkmcnt(0)
	v_mul_f32_e32 v66, v94, v111
	s_waitcnt vmcnt(4)
	v_fma_f32 v67, v91, v126, -v67
	v_mul_f32_e32 v144, v93, v111
	v_add_f32_e32 v65, v65, v68
	v_fmac_f32_e32 v143, v92, v126
	v_add_f32_e32 v64, v64, v142
	v_mul_f32_e32 v68, v96, v112
	s_waitcnt vmcnt(3)
	v_fma_f32 v66, v93, v127, -v66
	v_add_f32_e32 v65, v65, v67
	v_mul_f32_e32 v145, v95, v112
	v_fmac_f32_e32 v144, v94, v127
	v_add_f32_e32 v64, v64, v143
	s_waitcnt vmcnt(2)
	v_fma_f32 v67, v95, v128, -v68
	v_add_f32_e32 v65, v65, v66
	v_fmac_f32_e32 v145, v96, v128
	v_add_f32_e32 v64, v64, v144
	v_add_f32_e32 v65, v65, v67
	;; [unrolled: 1-line block ×3, first 2 shown]
	s_waitcnt vmcnt(1)
	v_sub_f32_e32 v65, v129, v65
	s_waitcnt vmcnt(0)
	v_sub_f32_e32 v64, v130, v64
	buffer_store_dword v65, off, s[0:3], 0 offset:112
	buffer_store_dword v64, off, s[0:3], 0 offset:116
	v_cmpx_lt_u32_e32 13, v0
	s_cbranch_execz .LBB94_173
; %bb.172:
	s_clause 0x1
	buffer_load_dword v64, off, s[0:3], 0 offset:104
	buffer_load_dword v65, off, s[0:3], 0 offset:108
	v_mov_b32_e32 v66, 0
	buffer_store_dword v66, off, s[0:3], 0 offset:104
	buffer_store_dword v66, off, s[0:3], 0 offset:108
	s_waitcnt vmcnt(0)
	ds_write_b64 v63, v[64:65]
.LBB94_173:
	s_or_b32 exec_lo, exec_lo, s4
	s_waitcnt lgkmcnt(0)
	s_waitcnt_vscnt null, 0x0
	s_barrier
	buffer_gl0_inv
	s_clause 0x23
	buffer_load_dword v99, off, s[0:3], 0 offset:116
	buffer_load_dword v100, off, s[0:3], 0 offset:124
	buffer_load_dword v101, off, s[0:3], 0 offset:132
	buffer_load_dword v102, off, s[0:3], 0 offset:140
	buffer_load_dword v103, off, s[0:3], 0 offset:148
	buffer_load_dword v104, off, s[0:3], 0 offset:156
	buffer_load_dword v105, off, s[0:3], 0 offset:164
	buffer_load_dword v106, off, s[0:3], 0 offset:172
	buffer_load_dword v107, off, s[0:3], 0 offset:180
	buffer_load_dword v108, off, s[0:3], 0 offset:188
	buffer_load_dword v109, off, s[0:3], 0 offset:196
	buffer_load_dword v110, off, s[0:3], 0 offset:204
	buffer_load_dword v111, off, s[0:3], 0 offset:212
	buffer_load_dword v112, off, s[0:3], 0 offset:220
	buffer_load_dword v113, off, s[0:3], 0 offset:228
	buffer_load_dword v114, off, s[0:3], 0 offset:236
	buffer_load_dword v115, off, s[0:3], 0 offset:244
	buffer_load_dword v116, off, s[0:3], 0 offset:112
	buffer_load_dword v117, off, s[0:3], 0 offset:120
	buffer_load_dword v118, off, s[0:3], 0 offset:128
	buffer_load_dword v119, off, s[0:3], 0 offset:136
	buffer_load_dword v120, off, s[0:3], 0 offset:144
	buffer_load_dword v121, off, s[0:3], 0 offset:152
	buffer_load_dword v122, off, s[0:3], 0 offset:160
	buffer_load_dword v123, off, s[0:3], 0 offset:168
	buffer_load_dword v124, off, s[0:3], 0 offset:176
	buffer_load_dword v125, off, s[0:3], 0 offset:184
	buffer_load_dword v126, off, s[0:3], 0 offset:192
	buffer_load_dword v127, off, s[0:3], 0 offset:200
	buffer_load_dword v128, off, s[0:3], 0 offset:208
	buffer_load_dword v129, off, s[0:3], 0 offset:216
	buffer_load_dword v130, off, s[0:3], 0 offset:224
	buffer_load_dword v131, off, s[0:3], 0 offset:232
	buffer_load_dword v132, off, s[0:3], 0 offset:240
	buffer_load_dword v133, off, s[0:3], 0 offset:104
	buffer_load_dword v134, off, s[0:3], 0 offset:108
	v_mov_b32_e32 v64, 0
	ds_read_b128 v[65:68], v64 offset:368
	ds_read_b128 v[69:72], v64 offset:384
	;; [unrolled: 1-line block ×8, first 2 shown]
	ds_read_b64 v[97:98], v64 offset:496
	s_mov_b32 s4, exec_lo
	s_waitcnt vmcnt(35) lgkmcnt(8)
	v_mul_f32_e32 v135, v65, v99
	v_mul_f32_e32 v99, v66, v99
	s_waitcnt vmcnt(34)
	v_mul_f32_e32 v136, v67, v100
	v_mul_f32_e32 v100, v68, v100
	s_waitcnt vmcnt(33) lgkmcnt(7)
	v_mul_f32_e32 v137, v69, v101
	s_waitcnt vmcnt(32)
	v_mul_f32_e32 v138, v71, v102
	s_waitcnt vmcnt(31) lgkmcnt(6)
	v_mul_f32_e32 v139, v73, v103
	s_waitcnt vmcnt(30)
	;; [unrolled: 4-line block ×7, first 2 shown]
	v_fma_f32 v65, v65, v116, -v99
	v_fmac_f32_e32 v135, v66, v116
	v_mul_f32_e32 v66, v70, v101
	s_waitcnt vmcnt(17)
	v_fma_f32 v67, v67, v117, -v100
	v_fmac_f32_e32 v136, v68, v117
	v_add_f32_e32 v65, 0, v65
	v_add_f32_e32 v68, 0, v135
	v_mul_f32_e32 v99, v72, v102
	s_waitcnt vmcnt(16)
	v_fma_f32 v66, v69, v118, -v66
	v_fmac_f32_e32 v137, v70, v118
	v_add_f32_e32 v65, v65, v67
	v_add_f32_e32 v67, v68, v136
	;; [unrolled: 6-line block ×13, first 2 shown]
	v_mul_f32_e32 v69, v96, v114
	s_waitcnt vmcnt(4)
	v_fma_f32 v67, v93, v130, -v67
	v_mul_f32_e32 v150, v95, v114
	v_add_f32_e32 v65, v65, v68
	v_fmac_f32_e32 v149, v94, v130
	v_add_f32_e32 v66, v66, v148
	s_waitcnt lgkmcnt(0)
	v_mul_f32_e32 v68, v98, v115
	s_waitcnt vmcnt(3)
	v_fma_f32 v69, v95, v131, -v69
	v_add_f32_e32 v65, v65, v67
	v_mul_f32_e32 v151, v97, v115
	v_fmac_f32_e32 v150, v96, v131
	v_add_f32_e32 v66, v66, v149
	s_waitcnt vmcnt(2)
	v_fma_f32 v67, v97, v132, -v68
	v_add_f32_e32 v65, v65, v69
	v_fmac_f32_e32 v151, v98, v132
	v_add_f32_e32 v66, v66, v150
	v_add_f32_e32 v65, v65, v67
	;; [unrolled: 1-line block ×3, first 2 shown]
	s_waitcnt vmcnt(1)
	v_sub_f32_e32 v65, v133, v65
	s_waitcnt vmcnt(0)
	v_sub_f32_e32 v66, v134, v66
	buffer_store_dword v65, off, s[0:3], 0 offset:104
	buffer_store_dword v66, off, s[0:3], 0 offset:108
	v_cmpx_lt_u32_e32 12, v0
	s_cbranch_execz .LBB94_175
; %bb.174:
	s_clause 0x1
	buffer_load_dword v65, off, s[0:3], 0 offset:96
	buffer_load_dword v66, off, s[0:3], 0 offset:100
	buffer_store_dword v64, off, s[0:3], 0 offset:96
	buffer_store_dword v64, off, s[0:3], 0 offset:100
	s_waitcnt vmcnt(0)
	ds_write_b64 v63, v[65:66]
.LBB94_175:
	s_or_b32 exec_lo, exec_lo, s4
	s_waitcnt lgkmcnt(0)
	s_waitcnt_vscnt null, 0x0
	s_barrier
	buffer_gl0_inv
	s_clause 0x25
	buffer_load_dword v101, off, s[0:3], 0 offset:108
	buffer_load_dword v102, off, s[0:3], 0 offset:116
	;; [unrolled: 1-line block ×38, first 2 shown]
	ds_read2_b64 v[65:68], v64 offset0:45 offset1:46
	ds_read2_b64 v[69:72], v64 offset0:47 offset1:48
	;; [unrolled: 1-line block ×9, first 2 shown]
	s_mov_b32 s4, exec_lo
	s_waitcnt vmcnt(37) lgkmcnt(8)
	v_mul_f32_e32 v64, v65, v101
	v_mul_f32_e32 v101, v66, v101
	s_waitcnt vmcnt(36)
	v_mul_f32_e32 v139, v67, v102
	v_mul_f32_e32 v102, v68, v102
	s_waitcnt vmcnt(35) lgkmcnt(7)
	v_mul_f32_e32 v140, v69, v103
	s_waitcnt vmcnt(34)
	v_mul_f32_e32 v141, v71, v104
	s_waitcnt vmcnt(33) lgkmcnt(6)
	v_mul_f32_e32 v142, v73, v105
	s_waitcnt vmcnt(32)
	;; [unrolled: 4-line block ×7, first 2 shown]
	v_mul_f32_e32 v153, v95, v116
	s_waitcnt vmcnt(19)
	v_fma_f32 v65, v65, v119, -v101
	v_fmac_f32_e32 v64, v66, v119
	v_mul_f32_e32 v66, v70, v103
	s_waitcnt vmcnt(18)
	v_fma_f32 v67, v67, v120, -v102
	v_fmac_f32_e32 v139, v68, v120
	v_add_f32_e32 v65, 0, v65
	v_add_f32_e32 v64, 0, v64
	v_mul_f32_e32 v68, v72, v104
	s_waitcnt vmcnt(17)
	v_fma_f32 v66, v69, v121, -v66
	v_fmac_f32_e32 v140, v70, v121
	v_add_f32_e32 v65, v65, v67
	v_add_f32_e32 v64, v64, v139
	;; [unrolled: 6-line block ×14, first 2 shown]
	s_waitcnt lgkmcnt(0)
	v_mul_f32_e32 v67, v98, v117
	s_waitcnt vmcnt(4)
	v_fma_f32 v68, v95, v134, -v68
	v_mul_f32_e32 v154, v97, v117
	v_add_f32_e32 v65, v65, v66
	v_fmac_f32_e32 v153, v96, v134
	v_add_f32_e32 v64, v64, v152
	v_mul_f32_e32 v66, v100, v118
	s_waitcnt vmcnt(3)
	v_fma_f32 v67, v97, v135, -v67
	v_add_f32_e32 v65, v65, v68
	v_mul_f32_e32 v155, v99, v118
	v_fmac_f32_e32 v154, v98, v135
	v_add_f32_e32 v64, v64, v153
	s_waitcnt vmcnt(2)
	v_fma_f32 v66, v99, v136, -v66
	v_add_f32_e32 v65, v65, v67
	v_fmac_f32_e32 v155, v100, v136
	v_add_f32_e32 v64, v64, v154
	v_add_f32_e32 v65, v65, v66
	;; [unrolled: 1-line block ×3, first 2 shown]
	s_waitcnt vmcnt(1)
	v_sub_f32_e32 v65, v137, v65
	s_waitcnt vmcnt(0)
	v_sub_f32_e32 v64, v138, v64
	buffer_store_dword v65, off, s[0:3], 0 offset:96
	buffer_store_dword v64, off, s[0:3], 0 offset:100
	v_cmpx_lt_u32_e32 11, v0
	s_cbranch_execz .LBB94_177
; %bb.176:
	s_clause 0x1
	buffer_load_dword v64, off, s[0:3], 0 offset:88
	buffer_load_dword v65, off, s[0:3], 0 offset:92
	v_mov_b32_e32 v66, 0
	buffer_store_dword v66, off, s[0:3], 0 offset:88
	buffer_store_dword v66, off, s[0:3], 0 offset:92
	s_waitcnt vmcnt(0)
	ds_write_b64 v63, v[64:65]
.LBB94_177:
	s_or_b32 exec_lo, exec_lo, s4
	s_waitcnt lgkmcnt(0)
	s_waitcnt_vscnt null, 0x0
	s_barrier
	buffer_gl0_inv
	s_clause 0x27
	buffer_load_dword v103, off, s[0:3], 0 offset:100
	buffer_load_dword v104, off, s[0:3], 0 offset:108
	;; [unrolled: 1-line block ×40, first 2 shown]
	v_mov_b32_e32 v64, 0
	ds_read_b128 v[65:68], v64 offset:352
	ds_read_b128 v[69:72], v64 offset:368
	;; [unrolled: 1-line block ×9, first 2 shown]
	ds_read_b64 v[101:102], v64 offset:496
	s_mov_b32 s4, exec_lo
	s_waitcnt vmcnt(39) lgkmcnt(9)
	v_mul_f32_e32 v143, v65, v103
	v_mul_f32_e32 v103, v66, v103
	s_waitcnt vmcnt(38)
	v_mul_f32_e32 v144, v67, v104
	v_mul_f32_e32 v104, v68, v104
	s_waitcnt vmcnt(37) lgkmcnt(8)
	v_mul_f32_e32 v145, v69, v105
	s_waitcnt vmcnt(36)
	v_mul_f32_e32 v146, v71, v106
	s_waitcnt vmcnt(35) lgkmcnt(7)
	v_mul_f32_e32 v147, v73, v107
	s_waitcnt vmcnt(34)
	;; [unrolled: 4-line block ×8, first 2 shown]
	v_fma_f32 v65, v65, v122, -v103
	v_fmac_f32_e32 v143, v66, v122
	v_mul_f32_e32 v66, v70, v105
	s_waitcnt vmcnt(19)
	v_fma_f32 v67, v67, v123, -v104
	v_fmac_f32_e32 v144, v68, v123
	v_add_f32_e32 v65, 0, v65
	v_add_f32_e32 v68, 0, v143
	v_mul_f32_e32 v103, v72, v106
	s_waitcnt vmcnt(18)
	v_fma_f32 v66, v69, v124, -v66
	v_fmac_f32_e32 v145, v70, v124
	v_add_f32_e32 v65, v65, v67
	v_add_f32_e32 v67, v68, v144
	;; [unrolled: 6-line block ×15, first 2 shown]
	v_mul_f32_e32 v67, v100, v120
	s_waitcnt vmcnt(4)
	v_fma_f32 v68, v97, v138, -v68
	v_mul_f32_e32 v160, v99, v120
	v_add_f32_e32 v65, v65, v69
	v_fmac_f32_e32 v159, v98, v138
	v_add_f32_e32 v66, v66, v158
	s_waitcnt lgkmcnt(0)
	v_mul_f32_e32 v69, v102, v121
	s_waitcnt vmcnt(3)
	v_fma_f32 v67, v99, v139, -v67
	v_add_f32_e32 v65, v65, v68
	v_mul_f32_e32 v161, v101, v121
	v_fmac_f32_e32 v160, v100, v139
	v_add_f32_e32 v66, v66, v159
	s_waitcnt vmcnt(2)
	v_fma_f32 v68, v101, v140, -v69
	v_add_f32_e32 v65, v65, v67
	v_fmac_f32_e32 v161, v102, v140
	v_add_f32_e32 v66, v66, v160
	v_add_f32_e32 v65, v65, v68
	;; [unrolled: 1-line block ×3, first 2 shown]
	s_waitcnt vmcnt(1)
	v_sub_f32_e32 v65, v141, v65
	s_waitcnt vmcnt(0)
	v_sub_f32_e32 v66, v142, v66
	buffer_store_dword v65, off, s[0:3], 0 offset:88
	buffer_store_dword v66, off, s[0:3], 0 offset:92
	v_cmpx_lt_u32_e32 10, v0
	s_cbranch_execz .LBB94_179
; %bb.178:
	s_clause 0x1
	buffer_load_dword v65, off, s[0:3], 0 offset:80
	buffer_load_dword v66, off, s[0:3], 0 offset:84
	buffer_store_dword v64, off, s[0:3], 0 offset:80
	buffer_store_dword v64, off, s[0:3], 0 offset:84
	s_waitcnt vmcnt(0)
	ds_write_b64 v63, v[65:66]
.LBB94_179:
	s_or_b32 exec_lo, exec_lo, s4
	s_waitcnt lgkmcnt(0)
	s_waitcnt_vscnt null, 0x0
	s_barrier
	buffer_gl0_inv
	s_clause 0x29
	buffer_load_dword v105, off, s[0:3], 0 offset:92
	buffer_load_dword v106, off, s[0:3], 0 offset:100
	;; [unrolled: 1-line block ×42, first 2 shown]
	ds_read2_b64 v[65:68], v64 offset0:43 offset1:44
	ds_read2_b64 v[69:72], v64 offset0:45 offset1:46
	;; [unrolled: 1-line block ×10, first 2 shown]
	s_mov_b32 s4, exec_lo
	s_waitcnt vmcnt(41) lgkmcnt(9)
	v_mul_f32_e32 v64, v65, v105
	v_mul_f32_e32 v105, v66, v105
	s_waitcnt vmcnt(40)
	v_mul_f32_e32 v147, v67, v106
	v_mul_f32_e32 v106, v68, v106
	s_waitcnt vmcnt(39) lgkmcnt(8)
	v_mul_f32_e32 v148, v69, v107
	s_waitcnt vmcnt(38)
	v_mul_f32_e32 v149, v71, v108
	s_waitcnt vmcnt(37) lgkmcnt(7)
	v_mul_f32_e32 v150, v73, v109
	s_waitcnt vmcnt(36)
	;; [unrolled: 4-line block ×8, first 2 shown]
	v_mul_f32_e32 v163, v99, v122
	s_waitcnt vmcnt(21)
	v_fma_f32 v65, v65, v125, -v105
	v_fmac_f32_e32 v64, v66, v125
	v_mul_f32_e32 v66, v70, v107
	s_waitcnt vmcnt(20)
	v_fma_f32 v67, v67, v126, -v106
	v_fmac_f32_e32 v147, v68, v126
	v_add_f32_e32 v65, 0, v65
	v_add_f32_e32 v64, 0, v64
	v_mul_f32_e32 v68, v72, v108
	s_waitcnt vmcnt(19)
	v_fma_f32 v66, v69, v127, -v66
	v_fmac_f32_e32 v148, v70, v127
	v_add_f32_e32 v65, v65, v67
	v_add_f32_e32 v64, v64, v147
	;; [unrolled: 6-line block ×16, first 2 shown]
	s_waitcnt lgkmcnt(0)
	v_mul_f32_e32 v68, v102, v123
	s_waitcnt vmcnt(4)
	v_fma_f32 v66, v99, v142, -v66
	v_mul_f32_e32 v164, v101, v123
	v_add_f32_e32 v65, v65, v67
	v_fmac_f32_e32 v163, v100, v142
	v_add_f32_e32 v64, v64, v162
	v_mul_f32_e32 v67, v104, v124
	s_waitcnt vmcnt(3)
	v_fma_f32 v68, v101, v143, -v68
	v_add_f32_e32 v65, v65, v66
	v_mul_f32_e32 v165, v103, v124
	v_fmac_f32_e32 v164, v102, v143
	v_add_f32_e32 v64, v64, v163
	s_waitcnt vmcnt(2)
	v_fma_f32 v66, v103, v144, -v67
	v_add_f32_e32 v65, v65, v68
	v_fmac_f32_e32 v165, v104, v144
	v_add_f32_e32 v64, v64, v164
	v_add_f32_e32 v65, v65, v66
	;; [unrolled: 1-line block ×3, first 2 shown]
	s_waitcnt vmcnt(1)
	v_sub_f32_e32 v65, v145, v65
	s_waitcnt vmcnt(0)
	v_sub_f32_e32 v64, v146, v64
	buffer_store_dword v65, off, s[0:3], 0 offset:80
	buffer_store_dword v64, off, s[0:3], 0 offset:84
	v_cmpx_lt_u32_e32 9, v0
	s_cbranch_execz .LBB94_181
; %bb.180:
	s_clause 0x1
	buffer_load_dword v64, off, s[0:3], 0 offset:72
	buffer_load_dword v65, off, s[0:3], 0 offset:76
	v_mov_b32_e32 v66, 0
	buffer_store_dword v66, off, s[0:3], 0 offset:72
	buffer_store_dword v66, off, s[0:3], 0 offset:76
	s_waitcnt vmcnt(0)
	ds_write_b64 v63, v[64:65]
.LBB94_181:
	s_or_b32 exec_lo, exec_lo, s4
	s_waitcnt lgkmcnt(0)
	s_waitcnt_vscnt null, 0x0
	s_barrier
	buffer_gl0_inv
	s_clause 0x2b
	buffer_load_dword v107, off, s[0:3], 0 offset:84
	buffer_load_dword v108, off, s[0:3], 0 offset:92
	;; [unrolled: 1-line block ×44, first 2 shown]
	v_mov_b32_e32 v64, 0
	ds_read_b128 v[65:68], v64 offset:336
	ds_read_b128 v[69:72], v64 offset:352
	;; [unrolled: 1-line block ×10, first 2 shown]
	ds_read_b64 v[105:106], v64 offset:496
	s_mov_b32 s4, exec_lo
	s_waitcnt vmcnt(43) lgkmcnt(10)
	v_mul_f32_e32 v151, v65, v107
	v_mul_f32_e32 v107, v66, v107
	s_waitcnt vmcnt(42)
	v_mul_f32_e32 v152, v67, v108
	v_mul_f32_e32 v108, v68, v108
	s_waitcnt vmcnt(41) lgkmcnt(9)
	v_mul_f32_e32 v153, v69, v109
	s_waitcnt vmcnt(40)
	v_mul_f32_e32 v154, v71, v110
	s_waitcnt vmcnt(39) lgkmcnt(8)
	v_mul_f32_e32 v155, v73, v111
	s_waitcnt vmcnt(38)
	;; [unrolled: 4-line block ×9, first 2 shown]
	v_fma_f32 v65, v65, v128, -v107
	v_fmac_f32_e32 v151, v66, v128
	v_mul_f32_e32 v66, v70, v109
	s_waitcnt vmcnt(21)
	v_fma_f32 v67, v67, v129, -v108
	v_fmac_f32_e32 v152, v68, v129
	v_add_f32_e32 v65, 0, v65
	v_add_f32_e32 v68, 0, v151
	v_mul_f32_e32 v107, v72, v110
	s_waitcnt vmcnt(20)
	v_fma_f32 v66, v69, v130, -v66
	v_fmac_f32_e32 v153, v70, v130
	v_add_f32_e32 v65, v65, v67
	v_add_f32_e32 v67, v68, v152
	;; [unrolled: 6-line block ×17, first 2 shown]
	v_mul_f32_e32 v68, v104, v126
	s_waitcnt vmcnt(4)
	v_fma_f32 v69, v101, v146, -v69
	v_mul_f32_e32 v170, v103, v126
	v_add_f32_e32 v65, v65, v67
	v_fmac_f32_e32 v169, v102, v146
	v_add_f32_e32 v66, v66, v168
	s_waitcnt lgkmcnt(0)
	v_mul_f32_e32 v67, v106, v127
	s_waitcnt vmcnt(3)
	v_fma_f32 v68, v103, v147, -v68
	v_add_f32_e32 v65, v65, v69
	v_mul_f32_e32 v171, v105, v127
	v_fmac_f32_e32 v170, v104, v147
	v_add_f32_e32 v66, v66, v169
	s_waitcnt vmcnt(2)
	v_fma_f32 v67, v105, v148, -v67
	v_add_f32_e32 v65, v65, v68
	v_fmac_f32_e32 v171, v106, v148
	v_add_f32_e32 v66, v66, v170
	v_add_f32_e32 v65, v65, v67
	;; [unrolled: 1-line block ×3, first 2 shown]
	s_waitcnt vmcnt(1)
	v_sub_f32_e32 v65, v149, v65
	s_waitcnt vmcnt(0)
	v_sub_f32_e32 v66, v150, v66
	buffer_store_dword v65, off, s[0:3], 0 offset:72
	buffer_store_dword v66, off, s[0:3], 0 offset:76
	v_cmpx_lt_u32_e32 8, v0
	s_cbranch_execz .LBB94_183
; %bb.182:
	s_clause 0x1
	buffer_load_dword v65, off, s[0:3], 0 offset:64
	buffer_load_dword v66, off, s[0:3], 0 offset:68
	buffer_store_dword v64, off, s[0:3], 0 offset:64
	buffer_store_dword v64, off, s[0:3], 0 offset:68
	s_waitcnt vmcnt(0)
	ds_write_b64 v63, v[65:66]
.LBB94_183:
	s_or_b32 exec_lo, exec_lo, s4
	s_waitcnt lgkmcnt(0)
	s_waitcnt_vscnt null, 0x0
	s_barrier
	buffer_gl0_inv
	s_clause 0x2d
	buffer_load_dword v109, off, s[0:3], 0 offset:76
	buffer_load_dword v110, off, s[0:3], 0 offset:84
	;; [unrolled: 1-line block ×46, first 2 shown]
	ds_read2_b64 v[65:68], v64 offset0:41 offset1:42
	ds_read2_b64 v[69:72], v64 offset0:43 offset1:44
	;; [unrolled: 1-line block ×11, first 2 shown]
	s_mov_b32 s4, exec_lo
	s_waitcnt vmcnt(45) lgkmcnt(10)
	v_mul_f32_e32 v64, v65, v109
	v_mul_f32_e32 v109, v66, v109
	s_waitcnt vmcnt(44)
	v_mul_f32_e32 v155, v67, v110
	v_mul_f32_e32 v110, v68, v110
	s_waitcnt vmcnt(43) lgkmcnt(9)
	v_mul_f32_e32 v156, v69, v111
	s_waitcnt vmcnt(42)
	v_mul_f32_e32 v157, v71, v112
	s_waitcnt vmcnt(41) lgkmcnt(8)
	v_mul_f32_e32 v158, v73, v113
	s_waitcnt vmcnt(40)
	;; [unrolled: 4-line block ×9, first 2 shown]
	v_mul_f32_e32 v173, v103, v128
	s_waitcnt vmcnt(23)
	v_fma_f32 v65, v65, v131, -v109
	v_fmac_f32_e32 v64, v66, v131
	v_mul_f32_e32 v66, v70, v111
	s_waitcnt vmcnt(22)
	v_fma_f32 v67, v67, v132, -v110
	v_fmac_f32_e32 v155, v68, v132
	v_add_f32_e32 v65, 0, v65
	v_add_f32_e32 v64, 0, v64
	v_mul_f32_e32 v68, v72, v112
	s_waitcnt vmcnt(21)
	v_fma_f32 v66, v69, v133, -v66
	v_fmac_f32_e32 v156, v70, v133
	v_add_f32_e32 v65, v65, v67
	v_add_f32_e32 v64, v64, v155
	;; [unrolled: 6-line block ×18, first 2 shown]
	s_waitcnt lgkmcnt(0)
	v_mul_f32_e32 v66, v106, v129
	s_waitcnt vmcnt(4)
	v_fma_f32 v67, v103, v150, -v67
	v_mul_f32_e32 v174, v105, v129
	v_add_f32_e32 v65, v65, v68
	v_fmac_f32_e32 v173, v104, v150
	v_add_f32_e32 v64, v64, v172
	v_mul_f32_e32 v68, v108, v130
	s_waitcnt vmcnt(3)
	v_fma_f32 v66, v105, v151, -v66
	v_add_f32_e32 v65, v65, v67
	v_mul_f32_e32 v175, v107, v130
	v_fmac_f32_e32 v174, v106, v151
	v_add_f32_e32 v64, v64, v173
	s_waitcnt vmcnt(2)
	v_fma_f32 v67, v107, v152, -v68
	v_add_f32_e32 v65, v65, v66
	v_fmac_f32_e32 v175, v108, v152
	v_add_f32_e32 v64, v64, v174
	v_add_f32_e32 v65, v65, v67
	;; [unrolled: 1-line block ×3, first 2 shown]
	s_waitcnt vmcnt(1)
	v_sub_f32_e32 v65, v153, v65
	s_waitcnt vmcnt(0)
	v_sub_f32_e32 v64, v154, v64
	buffer_store_dword v65, off, s[0:3], 0 offset:64
	buffer_store_dword v64, off, s[0:3], 0 offset:68
	v_cmpx_lt_u32_e32 7, v0
	s_cbranch_execz .LBB94_185
; %bb.184:
	s_clause 0x1
	buffer_load_dword v64, off, s[0:3], 0 offset:56
	buffer_load_dword v65, off, s[0:3], 0 offset:60
	v_mov_b32_e32 v66, 0
	buffer_store_dword v66, off, s[0:3], 0 offset:56
	buffer_store_dword v66, off, s[0:3], 0 offset:60
	s_waitcnt vmcnt(0)
	ds_write_b64 v63, v[64:65]
.LBB94_185:
	s_or_b32 exec_lo, exec_lo, s4
	s_waitcnt lgkmcnt(0)
	s_waitcnt_vscnt null, 0x0
	s_barrier
	buffer_gl0_inv
	s_clause 0x2f
	buffer_load_dword v111, off, s[0:3], 0 offset:68
	buffer_load_dword v112, off, s[0:3], 0 offset:76
	;; [unrolled: 1-line block ×48, first 2 shown]
	v_mov_b32_e32 v64, 0
	ds_read_b128 v[65:68], v64 offset:320
	ds_read_b128 v[69:72], v64 offset:336
	;; [unrolled: 1-line block ×11, first 2 shown]
	ds_read_b64 v[109:110], v64 offset:496
	s_mov_b32 s4, exec_lo
	s_waitcnt vmcnt(47) lgkmcnt(11)
	v_mul_f32_e32 v159, v65, v111
	v_mul_f32_e32 v111, v66, v111
	s_waitcnt vmcnt(46)
	v_mul_f32_e32 v160, v67, v112
	v_mul_f32_e32 v112, v68, v112
	s_waitcnt vmcnt(45) lgkmcnt(10)
	v_mul_f32_e32 v161, v69, v113
	s_waitcnt vmcnt(44)
	v_mul_f32_e32 v162, v71, v114
	s_waitcnt vmcnt(43) lgkmcnt(9)
	v_mul_f32_e32 v163, v73, v115
	s_waitcnt vmcnt(42)
	;; [unrolled: 4-line block ×10, first 2 shown]
	v_fma_f32 v65, v65, v134, -v111
	v_fmac_f32_e32 v159, v66, v134
	v_mul_f32_e32 v66, v70, v113
	s_waitcnt vmcnt(23)
	v_fma_f32 v67, v67, v135, -v112
	v_fmac_f32_e32 v160, v68, v135
	v_add_f32_e32 v65, 0, v65
	v_add_f32_e32 v68, 0, v159
	v_mul_f32_e32 v111, v72, v114
	s_waitcnt vmcnt(22)
	v_fma_f32 v66, v69, v136, -v66
	v_fmac_f32_e32 v161, v70, v136
	v_add_f32_e32 v65, v65, v67
	v_add_f32_e32 v67, v68, v160
	;; [unrolled: 6-line block ×19, first 2 shown]
	v_mul_f32_e32 v69, v108, v132
	s_waitcnt vmcnt(4)
	v_fma_f32 v67, v105, v154, -v67
	v_mul_f32_e32 v180, v107, v132
	v_add_f32_e32 v65, v65, v68
	v_fmac_f32_e32 v179, v106, v154
	v_add_f32_e32 v66, v66, v178
	s_waitcnt lgkmcnt(0)
	v_mul_f32_e32 v68, v110, v133
	s_waitcnt vmcnt(3)
	v_fma_f32 v69, v107, v155, -v69
	v_add_f32_e32 v65, v65, v67
	v_mul_f32_e32 v181, v109, v133
	v_fmac_f32_e32 v180, v108, v155
	v_add_f32_e32 v66, v66, v179
	s_waitcnt vmcnt(2)
	v_fma_f32 v67, v109, v156, -v68
	v_add_f32_e32 v65, v65, v69
	v_fmac_f32_e32 v181, v110, v156
	v_add_f32_e32 v66, v66, v180
	v_add_f32_e32 v65, v65, v67
	;; [unrolled: 1-line block ×3, first 2 shown]
	s_waitcnt vmcnt(1)
	v_sub_f32_e32 v65, v157, v65
	s_waitcnt vmcnt(0)
	v_sub_f32_e32 v66, v158, v66
	buffer_store_dword v65, off, s[0:3], 0 offset:56
	buffer_store_dword v66, off, s[0:3], 0 offset:60
	v_cmpx_lt_u32_e32 6, v0
	s_cbranch_execz .LBB94_187
; %bb.186:
	s_clause 0x1
	buffer_load_dword v65, off, s[0:3], 0 offset:48
	buffer_load_dword v66, off, s[0:3], 0 offset:52
	buffer_store_dword v64, off, s[0:3], 0 offset:48
	buffer_store_dword v64, off, s[0:3], 0 offset:52
	s_waitcnt vmcnt(0)
	ds_write_b64 v63, v[65:66]
.LBB94_187:
	s_or_b32 exec_lo, exec_lo, s4
	s_waitcnt lgkmcnt(0)
	s_waitcnt_vscnt null, 0x0
	s_barrier
	buffer_gl0_inv
	s_clause 0x31
	buffer_load_dword v113, off, s[0:3], 0 offset:60
	buffer_load_dword v114, off, s[0:3], 0 offset:68
	buffer_load_dword v115, off, s[0:3], 0 offset:76
	buffer_load_dword v116, off, s[0:3], 0 offset:84
	buffer_load_dword v117, off, s[0:3], 0 offset:92
	buffer_load_dword v118, off, s[0:3], 0 offset:100
	buffer_load_dword v119, off, s[0:3], 0 offset:108
	buffer_load_dword v120, off, s[0:3], 0 offset:116
	buffer_load_dword v121, off, s[0:3], 0 offset:124
	buffer_load_dword v122, off, s[0:3], 0 offset:132
	buffer_load_dword v123, off, s[0:3], 0 offset:140
	buffer_load_dword v124, off, s[0:3], 0 offset:148
	buffer_load_dword v125, off, s[0:3], 0 offset:156
	buffer_load_dword v126, off, s[0:3], 0 offset:164
	buffer_load_dword v127, off, s[0:3], 0 offset:172
	buffer_load_dword v128, off, s[0:3], 0 offset:180
	buffer_load_dword v129, off, s[0:3], 0 offset:188
	buffer_load_dword v130, off, s[0:3], 0 offset:196
	buffer_load_dword v131, off, s[0:3], 0 offset:204
	buffer_load_dword v132, off, s[0:3], 0 offset:212
	buffer_load_dword v133, off, s[0:3], 0 offset:220
	buffer_load_dword v134, off, s[0:3], 0 offset:228
	buffer_load_dword v135, off, s[0:3], 0 offset:236
	buffer_load_dword v136, off, s[0:3], 0 offset:244
	buffer_load_dword v137, off, s[0:3], 0 offset:56
	buffer_load_dword v138, off, s[0:3], 0 offset:64
	buffer_load_dword v139, off, s[0:3], 0 offset:72
	buffer_load_dword v140, off, s[0:3], 0 offset:80
	buffer_load_dword v141, off, s[0:3], 0 offset:88
	buffer_load_dword v142, off, s[0:3], 0 offset:96
	buffer_load_dword v143, off, s[0:3], 0 offset:104
	buffer_load_dword v144, off, s[0:3], 0 offset:112
	buffer_load_dword v145, off, s[0:3], 0 offset:120
	buffer_load_dword v146, off, s[0:3], 0 offset:128
	buffer_load_dword v147, off, s[0:3], 0 offset:136
	buffer_load_dword v148, off, s[0:3], 0 offset:144
	buffer_load_dword v149, off, s[0:3], 0 offset:152
	buffer_load_dword v150, off, s[0:3], 0 offset:160
	buffer_load_dword v151, off, s[0:3], 0 offset:168
	buffer_load_dword v152, off, s[0:3], 0 offset:176
	buffer_load_dword v153, off, s[0:3], 0 offset:184
	buffer_load_dword v154, off, s[0:3], 0 offset:192
	buffer_load_dword v155, off, s[0:3], 0 offset:200
	buffer_load_dword v156, off, s[0:3], 0 offset:208
	buffer_load_dword v157, off, s[0:3], 0 offset:216
	buffer_load_dword v158, off, s[0:3], 0 offset:224
	buffer_load_dword v159, off, s[0:3], 0 offset:232
	buffer_load_dword v160, off, s[0:3], 0 offset:240
	buffer_load_dword v161, off, s[0:3], 0 offset:48
	buffer_load_dword v162, off, s[0:3], 0 offset:52
	ds_read2_b64 v[65:68], v64 offset0:39 offset1:40
	ds_read2_b64 v[69:72], v64 offset0:41 offset1:42
	;; [unrolled: 1-line block ×12, first 2 shown]
	s_mov_b32 s4, exec_lo
	s_waitcnt vmcnt(49) lgkmcnt(11)
	v_mul_f32_e32 v64, v65, v113
	v_mul_f32_e32 v113, v66, v113
	s_waitcnt vmcnt(48)
	v_mul_f32_e32 v163, v67, v114
	v_mul_f32_e32 v114, v68, v114
	s_waitcnt vmcnt(47) lgkmcnt(10)
	v_mul_f32_e32 v164, v69, v115
	s_waitcnt vmcnt(46)
	v_mul_f32_e32 v165, v71, v116
	s_waitcnt vmcnt(45) lgkmcnt(9)
	v_mul_f32_e32 v166, v73, v117
	s_waitcnt vmcnt(44)
	;; [unrolled: 4-line block ×10, first 2 shown]
	v_mul_f32_e32 v183, v107, v134
	s_waitcnt vmcnt(25)
	v_fma_f32 v65, v65, v137, -v113
	v_fmac_f32_e32 v64, v66, v137
	v_mul_f32_e32 v66, v70, v115
	s_waitcnt vmcnt(24)
	v_fma_f32 v67, v67, v138, -v114
	v_fmac_f32_e32 v163, v68, v138
	v_add_f32_e32 v65, 0, v65
	v_add_f32_e32 v64, 0, v64
	v_mul_f32_e32 v68, v72, v116
	s_waitcnt vmcnt(23)
	v_fma_f32 v66, v69, v139, -v66
	v_fmac_f32_e32 v164, v70, v139
	v_add_f32_e32 v65, v65, v67
	v_add_f32_e32 v64, v64, v163
	;; [unrolled: 6-line block ×20, first 2 shown]
	s_waitcnt lgkmcnt(0)
	v_mul_f32_e32 v67, v110, v135
	s_waitcnt vmcnt(4)
	v_fma_f32 v68, v107, v158, -v68
	v_mul_f32_e32 v184, v109, v135
	v_add_f32_e32 v65, v65, v66
	v_fmac_f32_e32 v183, v108, v158
	v_add_f32_e32 v64, v64, v182
	v_mul_f32_e32 v66, v112, v136
	s_waitcnt vmcnt(3)
	v_fma_f32 v67, v109, v159, -v67
	v_add_f32_e32 v65, v65, v68
	v_mul_f32_e32 v185, v111, v136
	v_fmac_f32_e32 v184, v110, v159
	v_add_f32_e32 v64, v64, v183
	s_waitcnt vmcnt(2)
	v_fma_f32 v66, v111, v160, -v66
	v_add_f32_e32 v65, v65, v67
	v_fmac_f32_e32 v185, v112, v160
	v_add_f32_e32 v64, v64, v184
	v_add_f32_e32 v65, v65, v66
	;; [unrolled: 1-line block ×3, first 2 shown]
	s_waitcnt vmcnt(1)
	v_sub_f32_e32 v65, v161, v65
	s_waitcnt vmcnt(0)
	v_sub_f32_e32 v64, v162, v64
	buffer_store_dword v65, off, s[0:3], 0 offset:48
	buffer_store_dword v64, off, s[0:3], 0 offset:52
	v_cmpx_lt_u32_e32 5, v0
	s_cbranch_execz .LBB94_189
; %bb.188:
	s_clause 0x1
	buffer_load_dword v64, off, s[0:3], 0 offset:40
	buffer_load_dword v65, off, s[0:3], 0 offset:44
	v_mov_b32_e32 v66, 0
	buffer_store_dword v66, off, s[0:3], 0 offset:40
	buffer_store_dword v66, off, s[0:3], 0 offset:44
	s_waitcnt vmcnt(0)
	ds_write_b64 v63, v[64:65]
.LBB94_189:
	s_or_b32 exec_lo, exec_lo, s4
	s_waitcnt lgkmcnt(0)
	s_waitcnt_vscnt null, 0x0
	s_barrier
	buffer_gl0_inv
	s_clause 0x33
	buffer_load_dword v115, off, s[0:3], 0 offset:52
	buffer_load_dword v116, off, s[0:3], 0 offset:60
	;; [unrolled: 1-line block ×52, first 2 shown]
	v_mov_b32_e32 v64, 0
	ds_read_b128 v[65:68], v64 offset:304
	ds_read_b128 v[69:72], v64 offset:320
	;; [unrolled: 1-line block ×12, first 2 shown]
	ds_read_b64 v[113:114], v64 offset:496
	s_mov_b32 s4, exec_lo
	s_waitcnt vmcnt(51) lgkmcnt(12)
	v_mul_f32_e32 v167, v65, v115
	v_mul_f32_e32 v115, v66, v115
	s_waitcnt vmcnt(50)
	v_mul_f32_e32 v168, v67, v116
	v_mul_f32_e32 v116, v68, v116
	s_waitcnt vmcnt(49) lgkmcnt(11)
	v_mul_f32_e32 v169, v69, v117
	s_waitcnt vmcnt(48)
	v_mul_f32_e32 v170, v71, v118
	s_waitcnt vmcnt(47) lgkmcnt(10)
	v_mul_f32_e32 v171, v73, v119
	s_waitcnt vmcnt(46)
	;; [unrolled: 4-line block ×11, first 2 shown]
	v_fma_f32 v65, v65, v140, -v115
	v_fmac_f32_e32 v167, v66, v140
	v_mul_f32_e32 v66, v70, v117
	s_waitcnt vmcnt(25)
	v_fma_f32 v67, v67, v141, -v116
	v_fmac_f32_e32 v168, v68, v141
	v_add_f32_e32 v65, 0, v65
	v_add_f32_e32 v68, 0, v167
	v_mul_f32_e32 v115, v72, v118
	s_waitcnt vmcnt(24)
	v_fma_f32 v66, v69, v142, -v66
	v_fmac_f32_e32 v169, v70, v142
	v_add_f32_e32 v65, v65, v67
	v_add_f32_e32 v67, v68, v168
	;; [unrolled: 6-line block ×21, first 2 shown]
	v_mul_f32_e32 v67, v112, v138
	s_waitcnt vmcnt(4)
	v_fma_f32 v68, v109, v162, -v68
	v_mul_f32_e32 v190, v111, v138
	v_add_f32_e32 v65, v65, v69
	v_fmac_f32_e32 v189, v110, v162
	v_add_f32_e32 v66, v66, v188
	s_waitcnt lgkmcnt(0)
	v_mul_f32_e32 v69, v114, v139
	s_waitcnt vmcnt(3)
	v_fma_f32 v67, v111, v163, -v67
	v_add_f32_e32 v65, v65, v68
	v_mul_f32_e32 v191, v113, v139
	v_fmac_f32_e32 v190, v112, v163
	v_add_f32_e32 v66, v66, v189
	s_waitcnt vmcnt(2)
	v_fma_f32 v68, v113, v164, -v69
	v_add_f32_e32 v65, v65, v67
	v_fmac_f32_e32 v191, v114, v164
	v_add_f32_e32 v66, v66, v190
	v_add_f32_e32 v65, v65, v68
	;; [unrolled: 1-line block ×3, first 2 shown]
	s_waitcnt vmcnt(1)
	v_sub_f32_e32 v65, v165, v65
	s_waitcnt vmcnt(0)
	v_sub_f32_e32 v66, v166, v66
	buffer_store_dword v65, off, s[0:3], 0 offset:40
	buffer_store_dword v66, off, s[0:3], 0 offset:44
	v_cmpx_lt_u32_e32 4, v0
	s_cbranch_execz .LBB94_191
; %bb.190:
	s_clause 0x1
	buffer_load_dword v65, off, s[0:3], 0 offset:32
	buffer_load_dword v66, off, s[0:3], 0 offset:36
	buffer_store_dword v64, off, s[0:3], 0 offset:32
	buffer_store_dword v64, off, s[0:3], 0 offset:36
	s_waitcnt vmcnt(0)
	ds_write_b64 v63, v[65:66]
.LBB94_191:
	s_or_b32 exec_lo, exec_lo, s4
	s_waitcnt lgkmcnt(0)
	s_waitcnt_vscnt null, 0x0
	s_barrier
	buffer_gl0_inv
	s_clause 0x35
	buffer_load_dword v117, off, s[0:3], 0 offset:44
	buffer_load_dword v118, off, s[0:3], 0 offset:52
	;; [unrolled: 1-line block ×54, first 2 shown]
	ds_read2_b64 v[65:68], v64 offset0:37 offset1:38
	ds_read2_b64 v[69:72], v64 offset0:39 offset1:40
	;; [unrolled: 1-line block ×13, first 2 shown]
	s_mov_b32 s4, exec_lo
	s_waitcnt vmcnt(53) lgkmcnt(12)
	v_mul_f32_e32 v64, v65, v117
	v_mul_f32_e32 v117, v66, v117
	s_waitcnt vmcnt(52)
	v_mul_f32_e32 v171, v67, v118
	v_mul_f32_e32 v118, v68, v118
	s_waitcnt vmcnt(51) lgkmcnt(11)
	v_mul_f32_e32 v172, v69, v119
	s_waitcnt vmcnt(50)
	v_mul_f32_e32 v173, v71, v120
	s_waitcnt vmcnt(49) lgkmcnt(10)
	v_mul_f32_e32 v174, v73, v121
	s_waitcnt vmcnt(48)
	;; [unrolled: 4-line block ×11, first 2 shown]
	v_mul_f32_e32 v193, v111, v140
	s_waitcnt vmcnt(27)
	v_fma_f32 v65, v65, v143, -v117
	v_fmac_f32_e32 v64, v66, v143
	v_mul_f32_e32 v66, v70, v119
	s_waitcnt vmcnt(26)
	v_fma_f32 v67, v67, v144, -v118
	v_fmac_f32_e32 v171, v68, v144
	v_add_f32_e32 v65, 0, v65
	v_add_f32_e32 v64, 0, v64
	v_mul_f32_e32 v68, v72, v120
	s_waitcnt vmcnt(25)
	v_fma_f32 v66, v69, v145, -v66
	v_fmac_f32_e32 v172, v70, v145
	v_add_f32_e32 v65, v65, v67
	v_add_f32_e32 v64, v64, v171
	;; [unrolled: 6-line block ×22, first 2 shown]
	s_waitcnt lgkmcnt(0)
	v_mul_f32_e32 v68, v114, v141
	s_waitcnt vmcnt(4)
	v_fma_f32 v66, v111, v166, -v66
	v_mul_f32_e32 v194, v113, v141
	v_add_f32_e32 v65, v65, v67
	v_fmac_f32_e32 v193, v112, v166
	v_add_f32_e32 v64, v64, v192
	v_mul_f32_e32 v67, v116, v142
	s_waitcnt vmcnt(3)
	v_fma_f32 v68, v113, v167, -v68
	v_add_f32_e32 v65, v65, v66
	v_mul_f32_e32 v195, v115, v142
	v_fmac_f32_e32 v194, v114, v167
	v_add_f32_e32 v64, v64, v193
	s_waitcnt vmcnt(2)
	v_fma_f32 v66, v115, v168, -v67
	v_add_f32_e32 v65, v65, v68
	v_fmac_f32_e32 v195, v116, v168
	v_add_f32_e32 v64, v64, v194
	v_add_f32_e32 v65, v65, v66
	;; [unrolled: 1-line block ×3, first 2 shown]
	s_waitcnt vmcnt(1)
	v_sub_f32_e32 v65, v169, v65
	s_waitcnt vmcnt(0)
	v_sub_f32_e32 v64, v170, v64
	buffer_store_dword v65, off, s[0:3], 0 offset:32
	buffer_store_dword v64, off, s[0:3], 0 offset:36
	v_cmpx_lt_u32_e32 3, v0
	s_cbranch_execz .LBB94_193
; %bb.192:
	s_clause 0x1
	buffer_load_dword v64, off, s[0:3], 0 offset:24
	buffer_load_dword v65, off, s[0:3], 0 offset:28
	v_mov_b32_e32 v66, 0
	buffer_store_dword v66, off, s[0:3], 0 offset:24
	buffer_store_dword v66, off, s[0:3], 0 offset:28
	s_waitcnt vmcnt(0)
	ds_write_b64 v63, v[64:65]
.LBB94_193:
	s_or_b32 exec_lo, exec_lo, s4
	s_waitcnt lgkmcnt(0)
	s_waitcnt_vscnt null, 0x0
	s_barrier
	buffer_gl0_inv
	s_clause 0x37
	buffer_load_dword v119, off, s[0:3], 0 offset:36
	buffer_load_dword v120, off, s[0:3], 0 offset:44
	buffer_load_dword v121, off, s[0:3], 0 offset:52
	buffer_load_dword v122, off, s[0:3], 0 offset:60
	buffer_load_dword v123, off, s[0:3], 0 offset:68
	buffer_load_dword v124, off, s[0:3], 0 offset:76
	buffer_load_dword v125, off, s[0:3], 0 offset:84
	buffer_load_dword v126, off, s[0:3], 0 offset:92
	buffer_load_dword v127, off, s[0:3], 0 offset:100
	buffer_load_dword v128, off, s[0:3], 0 offset:108
	buffer_load_dword v129, off, s[0:3], 0 offset:116
	buffer_load_dword v130, off, s[0:3], 0 offset:124
	buffer_load_dword v131, off, s[0:3], 0 offset:132
	buffer_load_dword v132, off, s[0:3], 0 offset:140
	buffer_load_dword v133, off, s[0:3], 0 offset:148
	buffer_load_dword v134, off, s[0:3], 0 offset:156
	buffer_load_dword v135, off, s[0:3], 0 offset:164
	buffer_load_dword v136, off, s[0:3], 0 offset:172
	buffer_load_dword v137, off, s[0:3], 0 offset:180
	buffer_load_dword v138, off, s[0:3], 0 offset:188
	buffer_load_dword v139, off, s[0:3], 0 offset:196
	buffer_load_dword v140, off, s[0:3], 0 offset:204
	buffer_load_dword v141, off, s[0:3], 0 offset:212
	buffer_load_dword v142, off, s[0:3], 0 offset:220
	buffer_load_dword v143, off, s[0:3], 0 offset:228
	buffer_load_dword v144, off, s[0:3], 0 offset:236
	buffer_load_dword v145, off, s[0:3], 0 offset:244
	buffer_load_dword v146, off, s[0:3], 0 offset:32
	buffer_load_dword v147, off, s[0:3], 0 offset:40
	buffer_load_dword v148, off, s[0:3], 0 offset:48
	buffer_load_dword v149, off, s[0:3], 0 offset:56
	buffer_load_dword v150, off, s[0:3], 0 offset:64
	buffer_load_dword v151, off, s[0:3], 0 offset:72
	buffer_load_dword v152, off, s[0:3], 0 offset:80
	buffer_load_dword v153, off, s[0:3], 0 offset:88
	buffer_load_dword v154, off, s[0:3], 0 offset:96
	buffer_load_dword v155, off, s[0:3], 0 offset:104
	buffer_load_dword v156, off, s[0:3], 0 offset:112
	buffer_load_dword v157, off, s[0:3], 0 offset:120
	buffer_load_dword v158, off, s[0:3], 0 offset:128
	buffer_load_dword v159, off, s[0:3], 0 offset:136
	buffer_load_dword v160, off, s[0:3], 0 offset:144
	buffer_load_dword v161, off, s[0:3], 0 offset:152
	buffer_load_dword v162, off, s[0:3], 0 offset:160
	buffer_load_dword v163, off, s[0:3], 0 offset:168
	buffer_load_dword v164, off, s[0:3], 0 offset:176
	buffer_load_dword v165, off, s[0:3], 0 offset:184
	buffer_load_dword v166, off, s[0:3], 0 offset:192
	buffer_load_dword v167, off, s[0:3], 0 offset:200
	buffer_load_dword v168, off, s[0:3], 0 offset:208
	buffer_load_dword v169, off, s[0:3], 0 offset:216
	buffer_load_dword v170, off, s[0:3], 0 offset:224
	buffer_load_dword v171, off, s[0:3], 0 offset:232
	buffer_load_dword v172, off, s[0:3], 0 offset:240
	buffer_load_dword v173, off, s[0:3], 0 offset:24
	buffer_load_dword v174, off, s[0:3], 0 offset:28
	v_mov_b32_e32 v64, 0
	ds_read_b128 v[65:68], v64 offset:288
	ds_read_b128 v[69:72], v64 offset:304
	;; [unrolled: 1-line block ×13, first 2 shown]
	ds_read_b64 v[117:118], v64 offset:496
	s_mov_b32 s4, exec_lo
	s_waitcnt vmcnt(55) lgkmcnt(13)
	v_mul_f32_e32 v175, v65, v119
	v_mul_f32_e32 v119, v66, v119
	s_waitcnt vmcnt(54)
	v_mul_f32_e32 v176, v67, v120
	v_mul_f32_e32 v120, v68, v120
	s_waitcnt vmcnt(53) lgkmcnt(12)
	v_mul_f32_e32 v177, v69, v121
	s_waitcnt vmcnt(52)
	v_mul_f32_e32 v178, v71, v122
	s_waitcnt vmcnt(51) lgkmcnt(11)
	v_mul_f32_e32 v179, v73, v123
	s_waitcnt vmcnt(50)
	;; [unrolled: 4-line block ×12, first 2 shown]
	v_fma_f32 v65, v65, v146, -v119
	v_fmac_f32_e32 v175, v66, v146
	v_mul_f32_e32 v66, v70, v121
	s_waitcnt vmcnt(27)
	v_fma_f32 v67, v67, v147, -v120
	v_fmac_f32_e32 v176, v68, v147
	v_add_f32_e32 v65, 0, v65
	v_add_f32_e32 v68, 0, v175
	v_mul_f32_e32 v119, v72, v122
	s_waitcnt vmcnt(26)
	v_fma_f32 v66, v69, v148, -v66
	v_fmac_f32_e32 v177, v70, v148
	v_add_f32_e32 v65, v65, v67
	v_add_f32_e32 v67, v68, v176
	;; [unrolled: 6-line block ×23, first 2 shown]
	v_mul_f32_e32 v68, v116, v144
	s_waitcnt vmcnt(4)
	v_fma_f32 v69, v113, v170, -v69
	v_mul_f32_e32 v200, v115, v144
	v_add_f32_e32 v65, v65, v67
	v_fmac_f32_e32 v199, v114, v170
	v_add_f32_e32 v66, v66, v198
	s_waitcnt lgkmcnt(0)
	v_mul_f32_e32 v67, v118, v145
	s_waitcnt vmcnt(3)
	v_fma_f32 v68, v115, v171, -v68
	v_add_f32_e32 v65, v65, v69
	v_mul_f32_e32 v201, v117, v145
	v_fmac_f32_e32 v200, v116, v171
	v_add_f32_e32 v66, v66, v199
	s_waitcnt vmcnt(2)
	v_fma_f32 v67, v117, v172, -v67
	v_add_f32_e32 v65, v65, v68
	v_fmac_f32_e32 v201, v118, v172
	v_add_f32_e32 v66, v66, v200
	v_add_f32_e32 v65, v65, v67
	;; [unrolled: 1-line block ×3, first 2 shown]
	s_waitcnt vmcnt(1)
	v_sub_f32_e32 v65, v173, v65
	s_waitcnt vmcnt(0)
	v_sub_f32_e32 v66, v174, v66
	buffer_store_dword v65, off, s[0:3], 0 offset:24
	buffer_store_dword v66, off, s[0:3], 0 offset:28
	v_cmpx_lt_u32_e32 2, v0
	s_cbranch_execz .LBB94_195
; %bb.194:
	s_clause 0x1
	buffer_load_dword v65, off, s[0:3], 0 offset:16
	buffer_load_dword v66, off, s[0:3], 0 offset:20
	buffer_store_dword v64, off, s[0:3], 0 offset:16
	buffer_store_dword v64, off, s[0:3], 0 offset:20
	s_waitcnt vmcnt(0)
	ds_write_b64 v63, v[65:66]
.LBB94_195:
	s_or_b32 exec_lo, exec_lo, s4
	s_waitcnt lgkmcnt(0)
	s_waitcnt_vscnt null, 0x0
	s_barrier
	buffer_gl0_inv
	s_clause 0x39
	buffer_load_dword v121, off, s[0:3], 0 offset:28
	buffer_load_dword v122, off, s[0:3], 0 offset:36
	;; [unrolled: 1-line block ×58, first 2 shown]
	ds_read2_b64 v[65:68], v64 offset0:35 offset1:36
	ds_read2_b64 v[69:72], v64 offset0:37 offset1:38
	;; [unrolled: 1-line block ×14, first 2 shown]
	s_mov_b32 s4, exec_lo
	s_waitcnt vmcnt(57) lgkmcnt(13)
	v_mul_f32_e32 v64, v65, v121
	v_mul_f32_e32 v121, v66, v121
	s_waitcnt vmcnt(56)
	v_mul_f32_e32 v179, v67, v122
	v_mul_f32_e32 v122, v68, v122
	s_waitcnt vmcnt(55) lgkmcnt(12)
	v_mul_f32_e32 v180, v69, v123
	s_waitcnt vmcnt(54)
	v_mul_f32_e32 v181, v71, v124
	s_waitcnt vmcnt(53) lgkmcnt(11)
	v_mul_f32_e32 v182, v73, v125
	s_waitcnt vmcnt(52)
	;; [unrolled: 4-line block ×12, first 2 shown]
	v_mul_f32_e32 v203, v115, v146
	s_waitcnt vmcnt(29)
	v_fma_f32 v65, v65, v149, -v121
	v_fmac_f32_e32 v64, v66, v149
	v_mul_f32_e32 v66, v70, v123
	s_waitcnt vmcnt(28)
	v_fma_f32 v67, v67, v150, -v122
	v_fmac_f32_e32 v179, v68, v150
	v_add_f32_e32 v65, 0, v65
	v_add_f32_e32 v64, 0, v64
	v_mul_f32_e32 v68, v72, v124
	s_waitcnt vmcnt(27)
	v_fma_f32 v66, v69, v151, -v66
	v_fmac_f32_e32 v180, v70, v151
	v_add_f32_e32 v65, v65, v67
	v_add_f32_e32 v64, v64, v179
	;; [unrolled: 6-line block ×24, first 2 shown]
	s_waitcnt lgkmcnt(0)
	v_mul_f32_e32 v66, v118, v147
	s_waitcnt vmcnt(4)
	v_fma_f32 v67, v115, v174, -v67
	v_mul_f32_e32 v204, v117, v147
	v_add_f32_e32 v65, v65, v68
	v_fmac_f32_e32 v203, v116, v174
	v_add_f32_e32 v64, v64, v202
	v_mul_f32_e32 v68, v120, v148
	s_waitcnt vmcnt(3)
	v_fma_f32 v66, v117, v175, -v66
	v_add_f32_e32 v65, v65, v67
	v_mul_f32_e32 v205, v119, v148
	v_fmac_f32_e32 v204, v118, v175
	v_add_f32_e32 v64, v64, v203
	s_waitcnt vmcnt(2)
	v_fma_f32 v67, v119, v176, -v68
	v_add_f32_e32 v65, v65, v66
	v_fmac_f32_e32 v205, v120, v176
	v_add_f32_e32 v64, v64, v204
	v_add_f32_e32 v65, v65, v67
	v_add_f32_e32 v64, v64, v205
	s_waitcnt vmcnt(1)
	v_sub_f32_e32 v65, v177, v65
	s_waitcnt vmcnt(0)
	v_sub_f32_e32 v64, v178, v64
	buffer_store_dword v65, off, s[0:3], 0 offset:16
	buffer_store_dword v64, off, s[0:3], 0 offset:20
	v_cmpx_lt_u32_e32 1, v0
	s_cbranch_execz .LBB94_197
; %bb.196:
	s_clause 0x1
	buffer_load_dword v64, off, s[0:3], 0 offset:8
	buffer_load_dword v65, off, s[0:3], 0 offset:12
	v_mov_b32_e32 v66, 0
	buffer_store_dword v66, off, s[0:3], 0 offset:8
	buffer_store_dword v66, off, s[0:3], 0 offset:12
	s_waitcnt vmcnt(0)
	ds_write_b64 v63, v[64:65]
.LBB94_197:
	s_or_b32 exec_lo, exec_lo, s4
	s_waitcnt lgkmcnt(0)
	s_waitcnt_vscnt null, 0x0
	s_barrier
	buffer_gl0_inv
	s_clause 0x3b
	buffer_load_dword v123, off, s[0:3], 0 offset:20
	buffer_load_dword v124, off, s[0:3], 0 offset:28
	;; [unrolled: 1-line block ×60, first 2 shown]
	v_mov_b32_e32 v64, 0
	ds_read_b128 v[65:68], v64 offset:272
	ds_read_b128 v[69:72], v64 offset:288
	;; [unrolled: 1-line block ×14, first 2 shown]
	ds_read_b64 v[121:122], v64 offset:496
	s_mov_b32 s4, exec_lo
	s_waitcnt vmcnt(59) lgkmcnt(14)
	v_mul_f32_e32 v183, v65, v123
	v_mul_f32_e32 v123, v66, v123
	s_waitcnt vmcnt(58)
	v_mul_f32_e32 v184, v67, v124
	v_mul_f32_e32 v124, v68, v124
	s_waitcnt vmcnt(57) lgkmcnt(13)
	v_mul_f32_e32 v185, v69, v125
	s_waitcnt vmcnt(56)
	v_mul_f32_e32 v186, v71, v126
	s_waitcnt vmcnt(55) lgkmcnt(12)
	v_mul_f32_e32 v187, v73, v127
	s_waitcnt vmcnt(54)
	;; [unrolled: 4-line block ×13, first 2 shown]
	v_fma_f32 v65, v65, v152, -v123
	v_fmac_f32_e32 v183, v66, v152
	v_mul_f32_e32 v66, v70, v125
	s_waitcnt vmcnt(29)
	v_fma_f32 v67, v67, v153, -v124
	v_fmac_f32_e32 v184, v68, v153
	v_add_f32_e32 v65, 0, v65
	v_add_f32_e32 v68, 0, v183
	v_mul_f32_e32 v123, v72, v126
	s_waitcnt vmcnt(28)
	v_fma_f32 v66, v69, v154, -v66
	v_fmac_f32_e32 v185, v70, v154
	v_add_f32_e32 v65, v65, v67
	v_add_f32_e32 v67, v68, v184
	;; [unrolled: 6-line block ×25, first 2 shown]
	v_mul_f32_e32 v69, v120, v150
	s_waitcnt vmcnt(4)
	v_fma_f32 v67, v117, v178, -v67
	v_mul_f32_e32 v210, v119, v150
	v_add_f32_e32 v65, v65, v68
	v_fmac_f32_e32 v209, v118, v178
	v_add_f32_e32 v66, v66, v208
	s_waitcnt lgkmcnt(0)
	v_mul_f32_e32 v68, v122, v151
	s_waitcnt vmcnt(3)
	v_fma_f32 v69, v119, v179, -v69
	v_add_f32_e32 v65, v65, v67
	v_mul_f32_e32 v211, v121, v151
	v_fmac_f32_e32 v210, v120, v179
	v_add_f32_e32 v66, v66, v209
	s_waitcnt vmcnt(2)
	v_fma_f32 v67, v121, v180, -v68
	v_add_f32_e32 v65, v65, v69
	v_fmac_f32_e32 v211, v122, v180
	v_add_f32_e32 v66, v66, v210
	v_add_f32_e32 v65, v65, v67
	;; [unrolled: 1-line block ×3, first 2 shown]
	s_waitcnt vmcnt(1)
	v_sub_f32_e32 v65, v181, v65
	s_waitcnt vmcnt(0)
	v_sub_f32_e32 v66, v182, v66
	buffer_store_dword v65, off, s[0:3], 0 offset:8
	buffer_store_dword v66, off, s[0:3], 0 offset:12
	v_cmpx_ne_u32_e32 0, v0
	s_cbranch_execz .LBB94_199
; %bb.198:
	s_clause 0x1
	buffer_load_dword v65, off, s[0:3], 0
	buffer_load_dword v66, off, s[0:3], 0 offset:4
	buffer_store_dword v64, off, s[0:3], 0
	buffer_store_dword v64, off, s[0:3], 0 offset:4
	s_waitcnt vmcnt(0)
	ds_write_b64 v63, v[65:66]
.LBB94_199:
	s_or_b32 exec_lo, exec_lo, s4
	s_waitcnt lgkmcnt(0)
	s_waitcnt_vscnt null, 0x0
	s_barrier
	buffer_gl0_inv
	s_clause 0x3d
	buffer_load_dword v0, off, s[0:3], 0 offset:12
	buffer_load_dword v63, off, s[0:3], 0 offset:20
	;; [unrolled: 1-line block ×60, first 2 shown]
	buffer_load_dword v183, off, s[0:3], 0
	buffer_load_dword v184, off, s[0:3], 0 offset:4
	ds_read2_b64 v[65:68], v64 offset0:33 offset1:34
	ds_read2_b64 v[69:72], v64 offset0:35 offset1:36
	;; [unrolled: 1-line block ×15, first 2 shown]
	s_and_b32 vcc_lo, exec_lo, s16
	s_waitcnt vmcnt(61) lgkmcnt(14)
	v_mul_f32_e32 v64, v65, v0
	v_mul_f32_e32 v0, v66, v0
	s_waitcnt vmcnt(60)
	v_mul_f32_e32 v185, v67, v63
	v_mul_f32_e32 v63, v68, v63
	s_waitcnt vmcnt(59) lgkmcnt(13)
	v_mul_f32_e32 v186, v69, v125
	s_waitcnt vmcnt(58)
	v_mul_f32_e32 v187, v71, v126
	s_waitcnt vmcnt(57) lgkmcnt(12)
	v_mul_f32_e32 v188, v73, v127
	s_waitcnt vmcnt(56)
	;; [unrolled: 4-line block ×13, first 2 shown]
	v_mul_f32_e32 v211, v119, v150
	s_waitcnt vmcnt(31)
	v_fma_f32 v0, v65, v153, -v0
	v_fmac_f32_e32 v64, v66, v153
	v_mul_f32_e32 v65, v70, v125
	s_waitcnt vmcnt(30)
	v_fma_f32 v63, v67, v154, -v63
	v_fmac_f32_e32 v185, v68, v154
	v_add_f32_e32 v0, 0, v0
	v_add_f32_e32 v64, 0, v64
	v_mul_f32_e32 v66, v72, v126
	s_waitcnt vmcnt(29)
	v_fma_f32 v65, v69, v155, -v65
	v_fmac_f32_e32 v186, v70, v155
	v_add_f32_e32 v0, v0, v63
	v_add_f32_e32 v63, v64, v185
	;; [unrolled: 6-line block ×26, first 2 shown]
	s_waitcnt lgkmcnt(0)
	v_mul_f32_e32 v64, v122, v151
	s_waitcnt vmcnt(4)
	v_fma_f32 v66, v119, v180, -v66
	v_mul_f32_e32 v212, v121, v151
	v_add_f32_e32 v0, v0, v65
	v_fmac_f32_e32 v211, v120, v180
	v_add_f32_e32 v63, v63, v210
	v_mul_f32_e32 v65, v124, v152
	s_waitcnt vmcnt(3)
	v_fma_f32 v64, v121, v181, -v64
	v_add_f32_e32 v0, v0, v66
	v_mul_f32_e32 v213, v123, v152
	v_fmac_f32_e32 v212, v122, v181
	v_add_f32_e32 v63, v63, v211
	s_waitcnt vmcnt(2)
	v_fma_f32 v65, v123, v182, -v65
	v_add_f32_e32 v0, v0, v64
	v_fmac_f32_e32 v213, v124, v182
	v_add_f32_e32 v63, v63, v212
	v_add_f32_e32 v0, v0, v65
	;; [unrolled: 1-line block ×3, first 2 shown]
	s_waitcnt vmcnt(1)
	v_sub_f32_e32 v0, v183, v0
	s_waitcnt vmcnt(0)
	v_sub_f32_e32 v63, v184, v63
	buffer_store_dword v0, off, s[0:3], 0
	buffer_store_dword v63, off, s[0:3], 0 offset:4
	s_cbranch_vccz .LBB94_260
; %bb.200:
	v_mov_b32_e32 v0, 0
	global_load_dword v63, v0, s[12:13] offset:116
	s_waitcnt vmcnt(0)
	v_add_nc_u32_e32 v63, -1, v63
	v_cmp_ne_u32_e32 vcc_lo, 29, v63
	s_cbranch_vccz .LBB94_202
; %bb.201:
	v_lshlrev_b32_e32 v63, 3, v63
	s_clause 0x3
	buffer_load_dword v64, v63, s[0:3], 0 offen
	buffer_load_dword v65, v63, s[0:3], 0 offen offset:4
	buffer_load_dword v66, off, s[0:3], 0 offset:232
	buffer_load_dword v67, off, s[0:3], 0 offset:236
	s_waitcnt vmcnt(3)
	buffer_store_dword v64, off, s[0:3], 0 offset:232
	s_waitcnt vmcnt(2)
	buffer_store_dword v65, off, s[0:3], 0 offset:236
	s_waitcnt vmcnt(1)
	buffer_store_dword v66, v63, s[0:3], 0 offen
	s_waitcnt vmcnt(0)
	buffer_store_dword v67, v63, s[0:3], 0 offen offset:4
.LBB94_202:
	global_load_dword v0, v0, s[12:13] offset:112
	s_waitcnt vmcnt(0)
	v_add_nc_u32_e32 v0, -1, v0
	v_cmp_eq_u32_e32 vcc_lo, 28, v0
	s_cbranch_vccnz .LBB94_204
; %bb.203:
	v_lshlrev_b32_e32 v0, 3, v0
	s_clause 0x3
	buffer_load_dword v63, v0, s[0:3], 0 offen
	buffer_load_dword v64, v0, s[0:3], 0 offen offset:4
	buffer_load_dword v65, off, s[0:3], 0 offset:228
	buffer_load_dword v66, off, s[0:3], 0 offset:224
	s_waitcnt vmcnt(3)
	buffer_store_dword v63, off, s[0:3], 0 offset:224
	s_waitcnt vmcnt(2)
	buffer_store_dword v64, off, s[0:3], 0 offset:228
	s_waitcnt vmcnt(1)
	buffer_store_dword v65, v0, s[0:3], 0 offen offset:4
	s_waitcnt vmcnt(0)
	buffer_store_dword v66, v0, s[0:3], 0 offen
.LBB94_204:
	v_mov_b32_e32 v0, 0
	global_load_dword v63, v0, s[12:13] offset:108
	s_waitcnt vmcnt(0)
	v_add_nc_u32_e32 v63, -1, v63
	v_cmp_eq_u32_e32 vcc_lo, 27, v63
	s_cbranch_vccnz .LBB94_206
; %bb.205:
	v_lshlrev_b32_e32 v63, 3, v63
	s_clause 0x3
	buffer_load_dword v64, v63, s[0:3], 0 offen
	buffer_load_dword v65, v63, s[0:3], 0 offen offset:4
	buffer_load_dword v66, off, s[0:3], 0 offset:216
	buffer_load_dword v67, off, s[0:3], 0 offset:220
	s_waitcnt vmcnt(3)
	buffer_store_dword v64, off, s[0:3], 0 offset:216
	s_waitcnt vmcnt(2)
	buffer_store_dword v65, off, s[0:3], 0 offset:220
	s_waitcnt vmcnt(1)
	buffer_store_dword v66, v63, s[0:3], 0 offen
	s_waitcnt vmcnt(0)
	buffer_store_dword v67, v63, s[0:3], 0 offen offset:4
.LBB94_206:
	global_load_dword v0, v0, s[12:13] offset:104
	s_waitcnt vmcnt(0)
	v_add_nc_u32_e32 v0, -1, v0
	v_cmp_eq_u32_e32 vcc_lo, 26, v0
	s_cbranch_vccnz .LBB94_208
; %bb.207:
	v_lshlrev_b32_e32 v0, 3, v0
	s_clause 0x3
	buffer_load_dword v63, v0, s[0:3], 0 offen
	buffer_load_dword v64, v0, s[0:3], 0 offen offset:4
	buffer_load_dword v65, off, s[0:3], 0 offset:212
	buffer_load_dword v66, off, s[0:3], 0 offset:208
	s_waitcnt vmcnt(3)
	buffer_store_dword v63, off, s[0:3], 0 offset:208
	s_waitcnt vmcnt(2)
	buffer_store_dword v64, off, s[0:3], 0 offset:212
	s_waitcnt vmcnt(1)
	buffer_store_dword v65, v0, s[0:3], 0 offen offset:4
	s_waitcnt vmcnt(0)
	buffer_store_dword v66, v0, s[0:3], 0 offen
.LBB94_208:
	v_mov_b32_e32 v0, 0
	global_load_dword v63, v0, s[12:13] offset:100
	s_waitcnt vmcnt(0)
	v_add_nc_u32_e32 v63, -1, v63
	v_cmp_eq_u32_e32 vcc_lo, 25, v63
	s_cbranch_vccnz .LBB94_210
; %bb.209:
	v_lshlrev_b32_e32 v63, 3, v63
	s_clause 0x3
	buffer_load_dword v64, v63, s[0:3], 0 offen
	buffer_load_dword v65, v63, s[0:3], 0 offen offset:4
	buffer_load_dword v66, off, s[0:3], 0 offset:200
	buffer_load_dword v67, off, s[0:3], 0 offset:204
	s_waitcnt vmcnt(3)
	buffer_store_dword v64, off, s[0:3], 0 offset:200
	s_waitcnt vmcnt(2)
	buffer_store_dword v65, off, s[0:3], 0 offset:204
	s_waitcnt vmcnt(1)
	buffer_store_dword v66, v63, s[0:3], 0 offen
	s_waitcnt vmcnt(0)
	buffer_store_dword v67, v63, s[0:3], 0 offen offset:4
.LBB94_210:
	;; [unrolled: 43-line block ×14, first 2 shown]
	global_load_dword v0, v0, s[12:13]
	s_waitcnt vmcnt(0)
	v_add_nc_u32_e32 v0, -1, v0
	v_cmp_eq_u32_e32 vcc_lo, 0, v0
	s_cbranch_vccnz .LBB94_260
; %bb.259:
	v_lshlrev_b32_e32 v0, 3, v0
	s_clause 0x3
	buffer_load_dword v63, v0, s[0:3], 0 offen
	buffer_load_dword v64, v0, s[0:3], 0 offen offset:4
	buffer_load_dword v65, off, s[0:3], 0 offset:4
	buffer_load_dword v66, off, s[0:3], 0
	s_waitcnt vmcnt(3)
	buffer_store_dword v63, off, s[0:3], 0
	s_waitcnt vmcnt(2)
	buffer_store_dword v64, off, s[0:3], 0 offset:4
	s_waitcnt vmcnt(1)
	buffer_store_dword v65, v0, s[0:3], 0 offen offset:4
	s_waitcnt vmcnt(0)
	buffer_store_dword v66, v0, s[0:3], 0 offen
.LBB94_260:
	s_clause 0x1
	buffer_load_dword v63, off, s[0:3], 0
	buffer_load_dword v64, off, s[0:3], 0 offset:4
	s_waitcnt vmcnt(0)
	flat_store_dwordx2 v[1:2], v[63:64]
	s_clause 0x1
	buffer_load_dword v0, off, s[0:3], 0 offset:8
	buffer_load_dword v1, off, s[0:3], 0 offset:12
	s_waitcnt vmcnt(0)
	flat_store_dwordx2 v[3:4], v[0:1]
	s_clause 0x1
	buffer_load_dword v0, off, s[0:3], 0 offset:16
	;; [unrolled: 5-line block ×30, first 2 shown]
	buffer_load_dword v1, off, s[0:3], 0 offset:244
	s_waitcnt vmcnt(0)
	flat_store_dwordx2 v[61:62], v[0:1]
	s_endpgm
	.section	.rodata,"a",@progbits
	.p2align	6, 0x0
	.amdhsa_kernel _ZN9rocsolver6v33100L18getri_kernel_smallILi31E19rocblas_complex_numIfEPKPS3_EEvT1_iilPiilS8_bb
		.amdhsa_group_segment_fixed_size 504
		.amdhsa_private_segment_fixed_size 256
		.amdhsa_kernarg_size 60
		.amdhsa_user_sgpr_count 6
		.amdhsa_user_sgpr_private_segment_buffer 1
		.amdhsa_user_sgpr_dispatch_ptr 0
		.amdhsa_user_sgpr_queue_ptr 0
		.amdhsa_user_sgpr_kernarg_segment_ptr 1
		.amdhsa_user_sgpr_dispatch_id 0
		.amdhsa_user_sgpr_flat_scratch_init 0
		.amdhsa_user_sgpr_private_segment_size 0
		.amdhsa_wavefront_size32 1
		.amdhsa_uses_dynamic_stack 0
		.amdhsa_system_sgpr_private_segment_wavefront_offset 1
		.amdhsa_system_sgpr_workgroup_id_x 1
		.amdhsa_system_sgpr_workgroup_id_y 0
		.amdhsa_system_sgpr_workgroup_id_z 0
		.amdhsa_system_sgpr_workgroup_info 0
		.amdhsa_system_vgpr_workitem_id 0
		.amdhsa_next_free_vgpr 214
		.amdhsa_next_free_sgpr 20
		.amdhsa_reserve_vcc 1
		.amdhsa_reserve_flat_scratch 0
		.amdhsa_float_round_mode_32 0
		.amdhsa_float_round_mode_16_64 0
		.amdhsa_float_denorm_mode_32 3
		.amdhsa_float_denorm_mode_16_64 3
		.amdhsa_dx10_clamp 1
		.amdhsa_ieee_mode 1
		.amdhsa_fp16_overflow 0
		.amdhsa_workgroup_processor_mode 1
		.amdhsa_memory_ordered 1
		.amdhsa_forward_progress 1
		.amdhsa_shared_vgpr_count 0
		.amdhsa_exception_fp_ieee_invalid_op 0
		.amdhsa_exception_fp_denorm_src 0
		.amdhsa_exception_fp_ieee_div_zero 0
		.amdhsa_exception_fp_ieee_overflow 0
		.amdhsa_exception_fp_ieee_underflow 0
		.amdhsa_exception_fp_ieee_inexact 0
		.amdhsa_exception_int_div_zero 0
	.end_amdhsa_kernel
	.section	.text._ZN9rocsolver6v33100L18getri_kernel_smallILi31E19rocblas_complex_numIfEPKPS3_EEvT1_iilPiilS8_bb,"axG",@progbits,_ZN9rocsolver6v33100L18getri_kernel_smallILi31E19rocblas_complex_numIfEPKPS3_EEvT1_iilPiilS8_bb,comdat
.Lfunc_end94:
	.size	_ZN9rocsolver6v33100L18getri_kernel_smallILi31E19rocblas_complex_numIfEPKPS3_EEvT1_iilPiilS8_bb, .Lfunc_end94-_ZN9rocsolver6v33100L18getri_kernel_smallILi31E19rocblas_complex_numIfEPKPS3_EEvT1_iilPiilS8_bb
                                        ; -- End function
	.set _ZN9rocsolver6v33100L18getri_kernel_smallILi31E19rocblas_complex_numIfEPKPS3_EEvT1_iilPiilS8_bb.num_vgpr, 214
	.set _ZN9rocsolver6v33100L18getri_kernel_smallILi31E19rocblas_complex_numIfEPKPS3_EEvT1_iilPiilS8_bb.num_agpr, 0
	.set _ZN9rocsolver6v33100L18getri_kernel_smallILi31E19rocblas_complex_numIfEPKPS3_EEvT1_iilPiilS8_bb.numbered_sgpr, 20
	.set _ZN9rocsolver6v33100L18getri_kernel_smallILi31E19rocblas_complex_numIfEPKPS3_EEvT1_iilPiilS8_bb.num_named_barrier, 0
	.set _ZN9rocsolver6v33100L18getri_kernel_smallILi31E19rocblas_complex_numIfEPKPS3_EEvT1_iilPiilS8_bb.private_seg_size, 256
	.set _ZN9rocsolver6v33100L18getri_kernel_smallILi31E19rocblas_complex_numIfEPKPS3_EEvT1_iilPiilS8_bb.uses_vcc, 1
	.set _ZN9rocsolver6v33100L18getri_kernel_smallILi31E19rocblas_complex_numIfEPKPS3_EEvT1_iilPiilS8_bb.uses_flat_scratch, 0
	.set _ZN9rocsolver6v33100L18getri_kernel_smallILi31E19rocblas_complex_numIfEPKPS3_EEvT1_iilPiilS8_bb.has_dyn_sized_stack, 0
	.set _ZN9rocsolver6v33100L18getri_kernel_smallILi31E19rocblas_complex_numIfEPKPS3_EEvT1_iilPiilS8_bb.has_recursion, 0
	.set _ZN9rocsolver6v33100L18getri_kernel_smallILi31E19rocblas_complex_numIfEPKPS3_EEvT1_iilPiilS8_bb.has_indirect_call, 0
	.section	.AMDGPU.csdata,"",@progbits
; Kernel info:
; codeLenInByte = 45152
; TotalNumSgprs: 22
; NumVgprs: 214
; ScratchSize: 256
; MemoryBound: 0
; FloatMode: 240
; IeeeMode: 1
; LDSByteSize: 504 bytes/workgroup (compile time only)
; SGPRBlocks: 0
; VGPRBlocks: 26
; NumSGPRsForWavesPerEU: 22
; NumVGPRsForWavesPerEU: 214
; Occupancy: 4
; WaveLimiterHint : 1
; COMPUTE_PGM_RSRC2:SCRATCH_EN: 1
; COMPUTE_PGM_RSRC2:USER_SGPR: 6
; COMPUTE_PGM_RSRC2:TRAP_HANDLER: 0
; COMPUTE_PGM_RSRC2:TGID_X_EN: 1
; COMPUTE_PGM_RSRC2:TGID_Y_EN: 0
; COMPUTE_PGM_RSRC2:TGID_Z_EN: 0
; COMPUTE_PGM_RSRC2:TIDIG_COMP_CNT: 0
	.section	.text._ZN9rocsolver6v33100L18getri_kernel_smallILi32E19rocblas_complex_numIfEPKPS3_EEvT1_iilPiilS8_bb,"axG",@progbits,_ZN9rocsolver6v33100L18getri_kernel_smallILi32E19rocblas_complex_numIfEPKPS3_EEvT1_iilPiilS8_bb,comdat
	.globl	_ZN9rocsolver6v33100L18getri_kernel_smallILi32E19rocblas_complex_numIfEPKPS3_EEvT1_iilPiilS8_bb ; -- Begin function _ZN9rocsolver6v33100L18getri_kernel_smallILi32E19rocblas_complex_numIfEPKPS3_EEvT1_iilPiilS8_bb
	.p2align	8
	.type	_ZN9rocsolver6v33100L18getri_kernel_smallILi32E19rocblas_complex_numIfEPKPS3_EEvT1_iilPiilS8_bb,@function
_ZN9rocsolver6v33100L18getri_kernel_smallILi32E19rocblas_complex_numIfEPKPS3_EEvT1_iilPiilS8_bb: ; @_ZN9rocsolver6v33100L18getri_kernel_smallILi32E19rocblas_complex_numIfEPKPS3_EEvT1_iilPiilS8_bb
; %bb.0:
	s_add_u32 s0, s0, s7
	s_addc_u32 s1, s1, 0
	s_mov_b32 s7, exec_lo
	v_cmpx_gt_u32_e32 32, v0
	s_cbranch_execz .LBB95_142
; %bb.1:
	s_clause 0x2
	s_load_dword s17, s[4:5], 0x38
	s_load_dwordx2 s[12:13], s[4:5], 0x0
	s_load_dwordx4 s[8:11], s[4:5], 0x28
	s_waitcnt lgkmcnt(0)
	s_bitcmp1_b32 s17, 8
	s_cselect_b32 s16, -1, 0
	s_ashr_i32 s7, s6, 31
	s_lshl_b64 s[14:15], s[6:7], 3
	s_add_u32 s12, s12, s14
	s_addc_u32 s13, s13, s15
	s_load_dwordx2 s[14:15], s[12:13], 0x0
	s_bfe_u32 s12, s17, 0x10008
	s_cmp_eq_u32 s12, 0
                                        ; implicit-def: $sgpr12_sgpr13
	s_cbranch_scc1 .LBB95_3
; %bb.2:
	s_clause 0x1
	s_load_dword s12, s[4:5], 0x20
	s_load_dwordx2 s[18:19], s[4:5], 0x18
	s_mul_i32 s13, s8, s7
	s_mul_hi_u32 s17, s8, s6
	s_mul_i32 s9, s9, s6
	s_add_i32 s13, s17, s13
	s_mul_i32 s8, s8, s6
	s_add_i32 s9, s13, s9
	s_lshl_b64 s[8:9], s[8:9], 2
	s_waitcnt lgkmcnt(0)
	s_ashr_i32 s13, s12, 31
	s_add_u32 s17, s18, s8
	s_addc_u32 s18, s19, s9
	s_lshl_b64 s[8:9], s[12:13], 2
	s_add_u32 s12, s17, s8
	s_addc_u32 s13, s18, s9
.LBB95_3:
	s_clause 0x1
	s_load_dwordx2 s[8:9], s[4:5], 0x8
	s_load_dword s17, s[4:5], 0x38
	v_lshlrev_b32_e32 v67, 3, v0
	s_waitcnt lgkmcnt(0)
	s_ashr_i32 s5, s8, 31
	s_mov_b32 s4, s8
	v_add3_u32 v9, s9, s9, v0
	s_lshl_b64 s[4:5], s[4:5], 3
	s_add_u32 s4, s14, s4
	s_addc_u32 s5, s15, s5
	v_add_co_u32 v1, s8, s4, v67
	v_add_co_ci_u32_e64 v2, null, s5, 0, s8
	s_mov_b32 s14, s9
	s_ashr_i32 s15, s9, 31
	v_ashrrev_i32_e32 v10, 31, v9
	flat_load_dwordx2 v[5:6], v[1:2]
	s_lshl_b64 s[14:15], s[14:15], 3
	v_add_nc_u32_e32 v12, s9, v9
	v_add_co_u32 v3, vcc_lo, v1, s14
	v_add_co_ci_u32_e64 v4, null, s15, v2, vcc_lo
	v_ashrrev_i32_e32 v13, 31, v12
	s_bitcmp0_b32 s17, 0
	s_waitcnt vmcnt(0) lgkmcnt(0)
	buffer_store_dword v6, off, s[0:3], 0 offset:4
	buffer_store_dword v5, off, s[0:3], 0
	flat_load_dwordx2 v[7:8], v[3:4]
	v_lshlrev_b64 v[5:6], 3, v[9:10]
	s_waitcnt vmcnt(0) lgkmcnt(0)
	buffer_store_dword v8, off, s[0:3], 0 offset:12
	buffer_store_dword v7, off, s[0:3], 0 offset:8
	v_add_co_u32 v5, vcc_lo, s4, v5
	v_add_co_ci_u32_e64 v6, null, s5, v6, vcc_lo
	v_lshlrev_b64 v[7:8], 3, v[12:13]
	flat_load_dwordx2 v[10:11], v[5:6]
	s_waitcnt vmcnt(0) lgkmcnt(0)
	buffer_store_dword v11, off, s[0:3], 0 offset:20
	buffer_store_dword v10, off, s[0:3], 0 offset:16
	v_add_co_u32 v7, vcc_lo, s4, v7
	v_add_co_ci_u32_e64 v8, null, s5, v8, vcc_lo
	v_add_nc_u32_e32 v11, s9, v12
	flat_load_dwordx2 v[13:14], v[7:8]
	s_waitcnt vmcnt(0) lgkmcnt(0)
	buffer_store_dword v14, off, s[0:3], 0 offset:28
	buffer_store_dword v13, off, s[0:3], 0 offset:24
	v_ashrrev_i32_e32 v12, 31, v11
	v_add_nc_u32_e32 v15, s9, v11
	v_lshlrev_b64 v[9:10], 3, v[11:12]
	v_ashrrev_i32_e32 v16, 31, v15
	v_add_nc_u32_e32 v18, s9, v15
	v_add_co_u32 v9, vcc_lo, s4, v9
	v_add_co_ci_u32_e64 v10, null, s5, v10, vcc_lo
	v_lshlrev_b64 v[11:12], 3, v[15:16]
	v_ashrrev_i32_e32 v19, 31, v18
	flat_load_dwordx2 v[13:14], v[9:10]
	s_waitcnt vmcnt(0) lgkmcnt(0)
	buffer_store_dword v14, off, s[0:3], 0 offset:36
	buffer_store_dword v13, off, s[0:3], 0 offset:32
	v_add_co_u32 v11, vcc_lo, s4, v11
	v_add_co_ci_u32_e64 v12, null, s5, v12, vcc_lo
	v_lshlrev_b64 v[13:14], 3, v[18:19]
	flat_load_dwordx2 v[16:17], v[11:12]
	s_waitcnt vmcnt(0) lgkmcnt(0)
	buffer_store_dword v17, off, s[0:3], 0 offset:44
	buffer_store_dword v16, off, s[0:3], 0 offset:40
	v_add_co_u32 v13, vcc_lo, s4, v13
	v_add_co_ci_u32_e64 v14, null, s5, v14, vcc_lo
	v_add_nc_u32_e32 v17, s9, v18
	flat_load_dwordx2 v[19:20], v[13:14]
	s_waitcnt vmcnt(0) lgkmcnt(0)
	buffer_store_dword v20, off, s[0:3], 0 offset:52
	buffer_store_dword v19, off, s[0:3], 0 offset:48
	v_ashrrev_i32_e32 v18, 31, v17
	v_add_nc_u32_e32 v21, s9, v17
	v_lshlrev_b64 v[15:16], 3, v[17:18]
	v_ashrrev_i32_e32 v22, 31, v21
	v_add_nc_u32_e32 v24, s9, v21
	v_add_co_u32 v15, vcc_lo, s4, v15
	v_add_co_ci_u32_e64 v16, null, s5, v16, vcc_lo
	v_lshlrev_b64 v[17:18], 3, v[21:22]
	v_ashrrev_i32_e32 v25, 31, v24
	flat_load_dwordx2 v[19:20], v[15:16]
	;; [unrolled: 27-line block ×8, first 2 shown]
	s_waitcnt vmcnt(0) lgkmcnt(0)
	buffer_store_dword v56, off, s[0:3], 0 offset:204
	buffer_store_dword v55, off, s[0:3], 0 offset:200
	v_add_co_u32 v53, vcc_lo, s4, v53
	v_add_co_ci_u32_e64 v54, null, s5, v54, vcc_lo
	v_lshlrev_b64 v[55:56], 3, v[60:61]
	flat_load_dwordx2 v[58:59], v[53:54]
	s_waitcnt vmcnt(0) lgkmcnt(0)
	buffer_store_dword v59, off, s[0:3], 0 offset:212
	buffer_store_dword v58, off, s[0:3], 0 offset:208
	v_add_co_u32 v55, vcc_lo, s4, v55
	v_add_co_ci_u32_e64 v56, null, s5, v56, vcc_lo
	v_add_nc_u32_e32 v59, s9, v60
	flat_load_dwordx2 v[61:62], v[55:56]
	s_waitcnt vmcnt(0) lgkmcnt(0)
	buffer_store_dword v62, off, s[0:3], 0 offset:220
	buffer_store_dword v61, off, s[0:3], 0 offset:216
	v_ashrrev_i32_e32 v60, 31, v59
	v_add_nc_u32_e32 v63, s9, v59
	v_lshlrev_b64 v[57:58], 3, v[59:60]
	v_ashrrev_i32_e32 v64, 31, v63
	v_add_nc_u32_e32 v68, s9, v63
	v_add_co_u32 v57, vcc_lo, s4, v57
	v_add_co_ci_u32_e64 v58, null, s5, v58, vcc_lo
	v_lshlrev_b64 v[59:60], 3, v[63:64]
	v_ashrrev_i32_e32 v69, 31, v68
	v_add_nc_u32_e32 v63, s9, v68
	flat_load_dwordx2 v[61:62], v[57:58]
	s_waitcnt vmcnt(0) lgkmcnt(0)
	buffer_store_dword v62, off, s[0:3], 0 offset:228
	buffer_store_dword v61, off, s[0:3], 0 offset:224
	v_add_co_u32 v59, vcc_lo, s4, v59
	v_add_co_ci_u32_e64 v60, null, s5, v60, vcc_lo
	v_lshlrev_b64 v[61:62], 3, v[68:69]
	flat_load_dwordx2 v[64:65], v[59:60]
	s_waitcnt vmcnt(0) lgkmcnt(0)
	buffer_store_dword v65, off, s[0:3], 0 offset:236
	buffer_store_dword v64, off, s[0:3], 0 offset:232
	v_add_co_u32 v61, vcc_lo, s4, v61
	v_add_co_ci_u32_e64 v62, null, s5, v62, vcc_lo
	v_ashrrev_i32_e32 v64, 31, v63
	flat_load_dwordx2 v[65:66], v[61:62]
	s_waitcnt vmcnt(0) lgkmcnt(0)
	buffer_store_dword v66, off, s[0:3], 0 offset:244
	buffer_store_dword v65, off, s[0:3], 0 offset:240
	v_lshlrev_b64 v[63:64], 3, v[63:64]
	v_add_co_u32 v63, vcc_lo, s4, v63
	v_add_co_ci_u32_e64 v64, null, s5, v64, vcc_lo
	s_mov_b32 s5, -1
	flat_load_dwordx2 v[65:66], v[63:64]
	s_waitcnt vmcnt(0) lgkmcnt(0)
	buffer_store_dword v66, off, s[0:3], 0 offset:252
	buffer_store_dword v65, off, s[0:3], 0 offset:248
	s_cbranch_scc1 .LBB95_140
; %bb.4:
	v_cmp_eq_u32_e64 s4, 0, v0
	s_and_saveexec_b32 s5, s4
; %bb.5:
	v_mov_b32_e32 v65, 0
	ds_write_b32 v65, v65 offset:512
; %bb.6:
	s_or_b32 exec_lo, exec_lo, s5
	v_lshl_add_u32 v69, v0, 3, 0
	s_waitcnt lgkmcnt(0)
	s_waitcnt_vscnt null, 0x0
	s_barrier
	buffer_gl0_inv
	s_clause 0x1
	buffer_load_dword v65, v69, s[0:3], 0 offen
	buffer_load_dword v66, v69, s[0:3], 0 offen offset:4
	s_waitcnt vmcnt(1)
	v_cmp_eq_f32_e32 vcc_lo, 0, v65
	s_waitcnt vmcnt(0)
	v_cmp_eq_f32_e64 s5, 0, v66
	s_and_b32 s5, vcc_lo, s5
	s_and_saveexec_b32 s8, s5
	s_cbranch_execz .LBB95_10
; %bb.7:
	v_mov_b32_e32 v65, 0
	s_mov_b32 s9, 0
	ds_read_b32 v66, v65 offset:512
	s_waitcnt lgkmcnt(0)
	v_readfirstlane_b32 s5, v66
	v_add_nc_u32_e32 v66, 1, v0
	s_cmp_eq_u32 s5, 0
	v_cmp_gt_i32_e32 vcc_lo, s5, v66
	s_cselect_b32 s14, -1, 0
	s_or_b32 s14, s14, vcc_lo
	s_and_b32 exec_lo, exec_lo, s14
	s_cbranch_execz .LBB95_10
; %bb.8:
	v_mov_b32_e32 v68, s5
.LBB95_9:                               ; =>This Inner Loop Header: Depth=1
	ds_cmpst_rtn_b32 v68, v65, v68, v66 offset:512
	s_waitcnt lgkmcnt(0)
	v_cmp_ne_u32_e32 vcc_lo, 0, v68
	v_cmp_le_i32_e64 s5, v68, v66
	s_and_b32 s5, vcc_lo, s5
	s_and_b32 s5, exec_lo, s5
	s_or_b32 s9, s5, s9
	s_andn2_b32 exec_lo, exec_lo, s9
	s_cbranch_execnz .LBB95_9
.LBB95_10:
	s_or_b32 exec_lo, exec_lo, s8
	v_mov_b32_e32 v65, 0
	s_barrier
	buffer_gl0_inv
	ds_read_b32 v66, v65 offset:512
	s_and_saveexec_b32 s5, s4
	s_cbranch_execz .LBB95_12
; %bb.11:
	s_lshl_b64 s[8:9], s[6:7], 2
	s_add_u32 s8, s10, s8
	s_addc_u32 s9, s11, s9
	s_waitcnt lgkmcnt(0)
	global_store_dword v65, v66, s[8:9]
.LBB95_12:
	s_or_b32 exec_lo, exec_lo, s5
	s_waitcnt lgkmcnt(0)
	v_cmp_ne_u32_e32 vcc_lo, 0, v66
	s_mov_b32 s5, 0
	s_cbranch_vccnz .LBB95_140
; %bb.13:
	s_clause 0x1
	buffer_load_dword v66, v69, s[0:3], 0 offen
	buffer_load_dword v68, v69, s[0:3], 0 offen offset:4
                                        ; implicit-def: $vgpr71
                                        ; implicit-def: $vgpr70
                                        ; implicit-def: $vgpr65
	s_waitcnt vmcnt(0)
	v_cmp_ngt_f32_e64 s5, |v66|, |v68|
	s_and_saveexec_b32 s8, s5
	s_xor_b32 s5, exec_lo, s8
	s_cbranch_execz .LBB95_15
; %bb.14:
	v_div_scale_f32 v65, null, v68, v68, v66
	v_div_scale_f32 v72, vcc_lo, v66, v68, v66
	v_rcp_f32_e32 v70, v65
	v_fma_f32 v71, -v65, v70, 1.0
	v_fmac_f32_e32 v70, v71, v70
	v_mul_f32_e32 v71, v72, v70
	v_fma_f32 v73, -v65, v71, v72
	v_fmac_f32_e32 v71, v73, v70
	v_fma_f32 v65, -v65, v71, v72
	v_div_fmas_f32 v65, v65, v70, v71
	v_div_fixup_f32 v65, v65, v68, v66
	v_fmac_f32_e32 v68, v66, v65
	v_div_scale_f32 v66, null, v68, v68, 1.0
	v_rcp_f32_e32 v70, v66
	v_fma_f32 v71, -v66, v70, 1.0
	v_fmac_f32_e32 v70, v71, v70
	v_div_scale_f32 v71, vcc_lo, 1.0, v68, 1.0
	v_mul_f32_e32 v72, v71, v70
	v_fma_f32 v73, -v66, v72, v71
	v_fmac_f32_e32 v72, v73, v70
	v_fma_f32 v66, -v66, v72, v71
	v_div_fmas_f32 v66, v66, v70, v72
	v_div_fixup_f32 v66, v66, v68, 1.0
                                        ; implicit-def: $vgpr68
	v_mul_f32_e32 v71, v65, v66
	v_xor_b32_e32 v70, 0x80000000, v66
                                        ; implicit-def: $vgpr66
	v_xor_b32_e32 v65, 0x80000000, v71
.LBB95_15:
	s_andn2_saveexec_b32 s5, s5
	s_cbranch_execz .LBB95_17
; %bb.16:
	v_div_scale_f32 v65, null, v66, v66, v68
	v_div_scale_f32 v72, vcc_lo, v68, v66, v68
	v_rcp_f32_e32 v70, v65
	v_fma_f32 v71, -v65, v70, 1.0
	v_fmac_f32_e32 v70, v71, v70
	v_mul_f32_e32 v71, v72, v70
	v_fma_f32 v73, -v65, v71, v72
	v_fmac_f32_e32 v71, v73, v70
	v_fma_f32 v65, -v65, v71, v72
	v_div_fmas_f32 v65, v65, v70, v71
	v_div_fixup_f32 v70, v65, v66, v68
	v_fmac_f32_e32 v66, v68, v70
	v_div_scale_f32 v65, null, v66, v66, 1.0
	v_div_scale_f32 v72, vcc_lo, 1.0, v66, 1.0
	v_rcp_f32_e32 v68, v65
	v_fma_f32 v71, -v65, v68, 1.0
	v_fmac_f32_e32 v68, v71, v68
	v_mul_f32_e32 v71, v72, v68
	v_fma_f32 v73, -v65, v71, v72
	v_fmac_f32_e32 v71, v73, v68
	v_fma_f32 v65, -v65, v71, v72
	v_div_fmas_f32 v65, v65, v68, v71
	v_div_fixup_f32 v71, v65, v66, 1.0
	v_xor_b32_e32 v65, 0x80000000, v71
	v_mul_f32_e64 v70, v70, -v71
.LBB95_17:
	s_or_b32 exec_lo, exec_lo, s5
	buffer_store_dword v71, v69, s[0:3], 0 offen
	buffer_store_dword v70, v69, s[0:3], 0 offen offset:4
	s_clause 0x1
	buffer_load_dword v72, off, s[0:3], 0 offset:12
	buffer_load_dword v71, off, s[0:3], 0 offset:8
	v_xor_b32_e32 v66, 0x80000000, v70
	v_add_nc_u32_e32 v68, 0x100, v67
	s_waitcnt vmcnt(0)
	ds_write2_b64 v67, v[65:66], v[71:72] offset1:32
	s_waitcnt lgkmcnt(0)
	s_waitcnt_vscnt null, 0x0
	s_barrier
	buffer_gl0_inv
	s_and_saveexec_b32 s5, s4
	s_cbranch_execz .LBB95_19
; %bb.18:
	s_clause 0x1
	buffer_load_dword v72, v69, s[0:3], 0 offen offset:4
	buffer_load_dword v73, v69, s[0:3], 0 offen
	ds_read_b64 v[65:66], v68
	v_mov_b32_e32 v70, 0
	ds_read_b64 v[70:71], v70 offset:8
	s_waitcnt vmcnt(1) lgkmcnt(1)
	v_mul_f32_e32 v74, v65, v72
	v_mul_f32_e32 v72, v66, v72
	s_waitcnt vmcnt(0)
	v_fmac_f32_e32 v74, v66, v73
	v_fma_f32 v65, v65, v73, -v72
	v_add_f32_e32 v66, 0, v74
	v_add_f32_e32 v65, 0, v65
	s_waitcnt lgkmcnt(0)
	v_mul_f32_e32 v72, v66, v71
	v_mul_f32_e32 v71, v65, v71
	v_fma_f32 v65, v65, v70, -v72
	v_fmac_f32_e32 v71, v66, v70
	buffer_store_dword v65, off, s[0:3], 0 offset:8
	buffer_store_dword v71, off, s[0:3], 0 offset:12
.LBB95_19:
	s_or_b32 exec_lo, exec_lo, s5
	s_waitcnt_vscnt null, 0x0
	s_barrier
	buffer_gl0_inv
	s_clause 0x1
	buffer_load_dword v65, off, s[0:3], 0 offset:16
	buffer_load_dword v66, off, s[0:3], 0 offset:20
	s_mov_b32 s5, exec_lo
	s_waitcnt vmcnt(0)
	ds_write_b64 v68, v[65:66]
	s_waitcnt lgkmcnt(0)
	s_barrier
	buffer_gl0_inv
	v_cmpx_gt_u32_e32 2, v0
	s_cbranch_execz .LBB95_23
; %bb.20:
	s_clause 0x1
	buffer_load_dword v70, v69, s[0:3], 0 offen offset:4
	buffer_load_dword v69, v69, s[0:3], 0 offen
	ds_read_b64 v[65:66], v68
	s_waitcnt vmcnt(1) lgkmcnt(0)
	v_mul_f32_e32 v71, v66, v70
	v_mul_f32_e32 v70, v65, v70
	s_waitcnt vmcnt(0)
	v_fma_f32 v65, v65, v69, -v71
	v_fmac_f32_e32 v70, v66, v69
	v_add_f32_e32 v66, 0, v65
	v_add_f32_e32 v65, 0, v70
	s_and_saveexec_b32 s8, s4
	s_cbranch_execz .LBB95_22
; %bb.21:
	s_clause 0x1
	buffer_load_dword v71, off, s[0:3], 0 offset:12
	buffer_load_dword v72, off, s[0:3], 0 offset:8
	v_mov_b32_e32 v69, 0
	ds_read_b64 v[69:70], v69 offset:264
	s_waitcnt vmcnt(1) lgkmcnt(0)
	v_mul_f32_e32 v73, v69, v71
	v_mul_f32_e32 v71, v70, v71
	s_waitcnt vmcnt(0)
	v_fmac_f32_e32 v73, v70, v72
	v_fma_f32 v69, v69, v72, -v71
	v_add_f32_e32 v65, v65, v73
	v_add_f32_e32 v66, v66, v69
.LBB95_22:
	s_or_b32 exec_lo, exec_lo, s8
	v_mov_b32_e32 v69, 0
	ds_read_b64 v[69:70], v69 offset:16
	s_waitcnt lgkmcnt(0)
	v_mul_f32_e32 v71, v65, v70
	v_mul_f32_e32 v70, v66, v70
	v_fma_f32 v66, v66, v69, -v71
	v_fmac_f32_e32 v70, v65, v69
	buffer_store_dword v66, off, s[0:3], 0 offset:16
	buffer_store_dword v70, off, s[0:3], 0 offset:20
.LBB95_23:
	s_or_b32 exec_lo, exec_lo, s5
	s_waitcnt_vscnt null, 0x0
	s_barrier
	buffer_gl0_inv
	s_clause 0x1
	buffer_load_dword v69, off, s[0:3], 0 offset:24
	buffer_load_dword v70, off, s[0:3], 0 offset:28
	v_add_nc_u32_e32 v65, -1, v0
	s_mov_b32 s4, exec_lo
	s_waitcnt vmcnt(0)
	ds_write_b64 v68, v[69:70]
	s_waitcnt lgkmcnt(0)
	s_barrier
	buffer_gl0_inv
	v_cmpx_gt_u32_e32 3, v0
	s_cbranch_execz .LBB95_27
; %bb.24:
	v_add_nc_u32_e32 v69, -1, v0
	v_add_nc_u32_e32 v70, 0x100, v67
	v_mov_b32_e32 v71, v67
	v_mov_b32_e32 v66, 0
	;; [unrolled: 1-line block ×3, first 2 shown]
	s_mov_b32 s5, 0
	.p2align	6
.LBB95_25:                              ; =>This Inner Loop Header: Depth=1
	s_clause 0x1
	buffer_load_dword v75, v71, s[0:3], 0 offen offset:4
	buffer_load_dword v76, v71, s[0:3], 0 offen
	ds_read_b64 v[73:74], v70
	v_add_nc_u32_e32 v69, 1, v69
	v_add_nc_u32_e32 v70, 8, v70
	v_add_nc_u32_e32 v71, 8, v71
	v_cmp_lt_u32_e32 vcc_lo, 1, v69
	s_or_b32 s5, vcc_lo, s5
	s_waitcnt vmcnt(1) lgkmcnt(0)
	v_mul_f32_e32 v77, v74, v75
	v_mul_f32_e32 v75, v73, v75
	s_waitcnt vmcnt(0)
	v_fma_f32 v73, v73, v76, -v77
	v_fmac_f32_e32 v75, v74, v76
	v_add_f32_e32 v72, v72, v73
	v_add_f32_e32 v66, v66, v75
	s_andn2_b32 exec_lo, exec_lo, s5
	s_cbranch_execnz .LBB95_25
; %bb.26:
	s_or_b32 exec_lo, exec_lo, s5
	v_mov_b32_e32 v69, 0
	ds_read_b64 v[69:70], v69 offset:24
	s_waitcnt lgkmcnt(0)
	v_mul_f32_e32 v71, v66, v70
	v_mul_f32_e32 v70, v72, v70
	v_fma_f32 v71, v72, v69, -v71
	v_fmac_f32_e32 v70, v66, v69
	buffer_store_dword v71, off, s[0:3], 0 offset:24
	buffer_store_dword v70, off, s[0:3], 0 offset:28
.LBB95_27:
	s_or_b32 exec_lo, exec_lo, s4
	s_waitcnt_vscnt null, 0x0
	s_barrier
	buffer_gl0_inv
	s_clause 0x1
	buffer_load_dword v69, off, s[0:3], 0 offset:32
	buffer_load_dword v70, off, s[0:3], 0 offset:36
	s_mov_b32 s4, exec_lo
	s_waitcnt vmcnt(0)
	ds_write_b64 v68, v[69:70]
	s_waitcnt lgkmcnt(0)
	s_barrier
	buffer_gl0_inv
	v_cmpx_gt_u32_e32 4, v0
	s_cbranch_execz .LBB95_31
; %bb.28:
	v_add_nc_u32_e32 v69, -1, v0
	v_add_nc_u32_e32 v70, 0x100, v67
	v_mov_b32_e32 v71, v67
	v_mov_b32_e32 v66, 0
	;; [unrolled: 1-line block ×3, first 2 shown]
	s_mov_b32 s5, 0
	.p2align	6
.LBB95_29:                              ; =>This Inner Loop Header: Depth=1
	s_clause 0x1
	buffer_load_dword v75, v71, s[0:3], 0 offen offset:4
	buffer_load_dword v76, v71, s[0:3], 0 offen
	ds_read_b64 v[73:74], v70
	v_add_nc_u32_e32 v69, 1, v69
	v_add_nc_u32_e32 v70, 8, v70
	;; [unrolled: 1-line block ×3, first 2 shown]
	v_cmp_lt_u32_e32 vcc_lo, 2, v69
	s_or_b32 s5, vcc_lo, s5
	s_waitcnt vmcnt(1) lgkmcnt(0)
	v_mul_f32_e32 v77, v74, v75
	v_mul_f32_e32 v75, v73, v75
	s_waitcnt vmcnt(0)
	v_fma_f32 v73, v73, v76, -v77
	v_fmac_f32_e32 v75, v74, v76
	v_add_f32_e32 v72, v72, v73
	v_add_f32_e32 v66, v66, v75
	s_andn2_b32 exec_lo, exec_lo, s5
	s_cbranch_execnz .LBB95_29
; %bb.30:
	s_or_b32 exec_lo, exec_lo, s5
	v_mov_b32_e32 v69, 0
	ds_read_b64 v[69:70], v69 offset:32
	s_waitcnt lgkmcnt(0)
	v_mul_f32_e32 v71, v66, v70
	v_mul_f32_e32 v70, v72, v70
	v_fma_f32 v71, v72, v69, -v71
	v_fmac_f32_e32 v70, v66, v69
	buffer_store_dword v71, off, s[0:3], 0 offset:32
	buffer_store_dword v70, off, s[0:3], 0 offset:36
.LBB95_31:
	s_or_b32 exec_lo, exec_lo, s4
	s_waitcnt_vscnt null, 0x0
	s_barrier
	buffer_gl0_inv
	s_clause 0x1
	buffer_load_dword v69, off, s[0:3], 0 offset:40
	buffer_load_dword v70, off, s[0:3], 0 offset:44
	s_mov_b32 s4, exec_lo
	s_waitcnt vmcnt(0)
	ds_write_b64 v68, v[69:70]
	s_waitcnt lgkmcnt(0)
	s_barrier
	buffer_gl0_inv
	v_cmpx_gt_u32_e32 5, v0
	s_cbranch_execz .LBB95_35
; %bb.32:
	v_add_nc_u32_e32 v69, -1, v0
	v_add_nc_u32_e32 v70, 0x100, v67
	v_mov_b32_e32 v71, v67
	v_mov_b32_e32 v66, 0
	;; [unrolled: 1-line block ×3, first 2 shown]
	s_mov_b32 s5, 0
	.p2align	6
.LBB95_33:                              ; =>This Inner Loop Header: Depth=1
	s_clause 0x1
	buffer_load_dword v75, v71, s[0:3], 0 offen offset:4
	buffer_load_dword v76, v71, s[0:3], 0 offen
	ds_read_b64 v[73:74], v70
	v_add_nc_u32_e32 v69, 1, v69
	v_add_nc_u32_e32 v70, 8, v70
	v_add_nc_u32_e32 v71, 8, v71
	v_cmp_lt_u32_e32 vcc_lo, 3, v69
	s_or_b32 s5, vcc_lo, s5
	s_waitcnt vmcnt(1) lgkmcnt(0)
	v_mul_f32_e32 v77, v74, v75
	v_mul_f32_e32 v75, v73, v75
	s_waitcnt vmcnt(0)
	v_fma_f32 v73, v73, v76, -v77
	v_fmac_f32_e32 v75, v74, v76
	v_add_f32_e32 v72, v72, v73
	v_add_f32_e32 v66, v66, v75
	s_andn2_b32 exec_lo, exec_lo, s5
	s_cbranch_execnz .LBB95_33
; %bb.34:
	s_or_b32 exec_lo, exec_lo, s5
	v_mov_b32_e32 v69, 0
	ds_read_b64 v[69:70], v69 offset:40
	s_waitcnt lgkmcnt(0)
	v_mul_f32_e32 v71, v66, v70
	v_mul_f32_e32 v70, v72, v70
	v_fma_f32 v71, v72, v69, -v71
	v_fmac_f32_e32 v70, v66, v69
	buffer_store_dword v71, off, s[0:3], 0 offset:40
	buffer_store_dword v70, off, s[0:3], 0 offset:44
.LBB95_35:
	s_or_b32 exec_lo, exec_lo, s4
	s_waitcnt_vscnt null, 0x0
	s_barrier
	buffer_gl0_inv
	s_clause 0x1
	buffer_load_dword v69, off, s[0:3], 0 offset:48
	buffer_load_dword v70, off, s[0:3], 0 offset:52
	s_mov_b32 s4, exec_lo
	s_waitcnt vmcnt(0)
	ds_write_b64 v68, v[69:70]
	s_waitcnt lgkmcnt(0)
	s_barrier
	buffer_gl0_inv
	v_cmpx_gt_u32_e32 6, v0
	s_cbranch_execz .LBB95_39
; %bb.36:
	v_add_nc_u32_e32 v69, -1, v0
	v_add_nc_u32_e32 v70, 0x100, v67
	v_mov_b32_e32 v71, v67
	v_mov_b32_e32 v66, 0
	v_mov_b32_e32 v72, 0
	s_mov_b32 s5, 0
	.p2align	6
.LBB95_37:                              ; =>This Inner Loop Header: Depth=1
	s_clause 0x1
	buffer_load_dword v75, v71, s[0:3], 0 offen offset:4
	buffer_load_dword v76, v71, s[0:3], 0 offen
	ds_read_b64 v[73:74], v70
	v_add_nc_u32_e32 v69, 1, v69
	v_add_nc_u32_e32 v70, 8, v70
	;; [unrolled: 1-line block ×3, first 2 shown]
	v_cmp_lt_u32_e32 vcc_lo, 4, v69
	s_or_b32 s5, vcc_lo, s5
	s_waitcnt vmcnt(1) lgkmcnt(0)
	v_mul_f32_e32 v77, v74, v75
	v_mul_f32_e32 v75, v73, v75
	s_waitcnt vmcnt(0)
	v_fma_f32 v73, v73, v76, -v77
	v_fmac_f32_e32 v75, v74, v76
	v_add_f32_e32 v72, v72, v73
	v_add_f32_e32 v66, v66, v75
	s_andn2_b32 exec_lo, exec_lo, s5
	s_cbranch_execnz .LBB95_37
; %bb.38:
	s_or_b32 exec_lo, exec_lo, s5
	v_mov_b32_e32 v69, 0
	ds_read_b64 v[69:70], v69 offset:48
	s_waitcnt lgkmcnt(0)
	v_mul_f32_e32 v71, v66, v70
	v_mul_f32_e32 v70, v72, v70
	v_fma_f32 v71, v72, v69, -v71
	v_fmac_f32_e32 v70, v66, v69
	buffer_store_dword v71, off, s[0:3], 0 offset:48
	buffer_store_dword v70, off, s[0:3], 0 offset:52
.LBB95_39:
	s_or_b32 exec_lo, exec_lo, s4
	s_waitcnt_vscnt null, 0x0
	s_barrier
	buffer_gl0_inv
	s_clause 0x1
	buffer_load_dword v69, off, s[0:3], 0 offset:56
	buffer_load_dword v70, off, s[0:3], 0 offset:60
	s_mov_b32 s4, exec_lo
	s_waitcnt vmcnt(0)
	ds_write_b64 v68, v[69:70]
	s_waitcnt lgkmcnt(0)
	s_barrier
	buffer_gl0_inv
	v_cmpx_gt_u32_e32 7, v0
	s_cbranch_execz .LBB95_43
; %bb.40:
	v_add_nc_u32_e32 v69, -1, v0
	v_add_nc_u32_e32 v70, 0x100, v67
	v_mov_b32_e32 v71, v67
	v_mov_b32_e32 v66, 0
	;; [unrolled: 1-line block ×3, first 2 shown]
	s_mov_b32 s5, 0
	.p2align	6
.LBB95_41:                              ; =>This Inner Loop Header: Depth=1
	s_clause 0x1
	buffer_load_dword v75, v71, s[0:3], 0 offen offset:4
	buffer_load_dword v76, v71, s[0:3], 0 offen
	ds_read_b64 v[73:74], v70
	v_add_nc_u32_e32 v69, 1, v69
	v_add_nc_u32_e32 v70, 8, v70
	;; [unrolled: 1-line block ×3, first 2 shown]
	v_cmp_lt_u32_e32 vcc_lo, 5, v69
	s_or_b32 s5, vcc_lo, s5
	s_waitcnt vmcnt(1) lgkmcnt(0)
	v_mul_f32_e32 v77, v74, v75
	v_mul_f32_e32 v75, v73, v75
	s_waitcnt vmcnt(0)
	v_fma_f32 v73, v73, v76, -v77
	v_fmac_f32_e32 v75, v74, v76
	v_add_f32_e32 v72, v72, v73
	v_add_f32_e32 v66, v66, v75
	s_andn2_b32 exec_lo, exec_lo, s5
	s_cbranch_execnz .LBB95_41
; %bb.42:
	s_or_b32 exec_lo, exec_lo, s5
	v_mov_b32_e32 v69, 0
	ds_read_b64 v[69:70], v69 offset:56
	s_waitcnt lgkmcnt(0)
	v_mul_f32_e32 v71, v66, v70
	v_mul_f32_e32 v70, v72, v70
	v_fma_f32 v71, v72, v69, -v71
	v_fmac_f32_e32 v70, v66, v69
	buffer_store_dword v71, off, s[0:3], 0 offset:56
	buffer_store_dword v70, off, s[0:3], 0 offset:60
.LBB95_43:
	s_or_b32 exec_lo, exec_lo, s4
	s_waitcnt_vscnt null, 0x0
	s_barrier
	buffer_gl0_inv
	s_clause 0x1
	buffer_load_dword v69, off, s[0:3], 0 offset:64
	buffer_load_dword v70, off, s[0:3], 0 offset:68
	s_mov_b32 s4, exec_lo
	s_waitcnt vmcnt(0)
	ds_write_b64 v68, v[69:70]
	s_waitcnt lgkmcnt(0)
	s_barrier
	buffer_gl0_inv
	v_cmpx_gt_u32_e32 8, v0
	s_cbranch_execz .LBB95_47
; %bb.44:
	v_add_nc_u32_e32 v69, -1, v0
	v_add_nc_u32_e32 v70, 0x100, v67
	v_mov_b32_e32 v71, v67
	v_mov_b32_e32 v66, 0
	;; [unrolled: 1-line block ×3, first 2 shown]
	s_mov_b32 s5, 0
	.p2align	6
.LBB95_45:                              ; =>This Inner Loop Header: Depth=1
	s_clause 0x1
	buffer_load_dword v75, v71, s[0:3], 0 offen offset:4
	buffer_load_dword v76, v71, s[0:3], 0 offen
	ds_read_b64 v[73:74], v70
	v_add_nc_u32_e32 v69, 1, v69
	v_add_nc_u32_e32 v70, 8, v70
	;; [unrolled: 1-line block ×3, first 2 shown]
	v_cmp_lt_u32_e32 vcc_lo, 6, v69
	s_or_b32 s5, vcc_lo, s5
	s_waitcnt vmcnt(1) lgkmcnt(0)
	v_mul_f32_e32 v77, v74, v75
	v_mul_f32_e32 v75, v73, v75
	s_waitcnt vmcnt(0)
	v_fma_f32 v73, v73, v76, -v77
	v_fmac_f32_e32 v75, v74, v76
	v_add_f32_e32 v72, v72, v73
	v_add_f32_e32 v66, v66, v75
	s_andn2_b32 exec_lo, exec_lo, s5
	s_cbranch_execnz .LBB95_45
; %bb.46:
	s_or_b32 exec_lo, exec_lo, s5
	v_mov_b32_e32 v69, 0
	ds_read_b64 v[69:70], v69 offset:64
	s_waitcnt lgkmcnt(0)
	v_mul_f32_e32 v71, v66, v70
	v_mul_f32_e32 v70, v72, v70
	v_fma_f32 v71, v72, v69, -v71
	v_fmac_f32_e32 v70, v66, v69
	buffer_store_dword v71, off, s[0:3], 0 offset:64
	buffer_store_dword v70, off, s[0:3], 0 offset:68
.LBB95_47:
	s_or_b32 exec_lo, exec_lo, s4
	s_waitcnt_vscnt null, 0x0
	s_barrier
	buffer_gl0_inv
	s_clause 0x1
	buffer_load_dword v69, off, s[0:3], 0 offset:72
	buffer_load_dword v70, off, s[0:3], 0 offset:76
	s_mov_b32 s4, exec_lo
	s_waitcnt vmcnt(0)
	ds_write_b64 v68, v[69:70]
	s_waitcnt lgkmcnt(0)
	s_barrier
	buffer_gl0_inv
	v_cmpx_gt_u32_e32 9, v0
	s_cbranch_execz .LBB95_51
; %bb.48:
	v_add_nc_u32_e32 v69, -1, v0
	v_add_nc_u32_e32 v70, 0x100, v67
	v_mov_b32_e32 v71, v67
	v_mov_b32_e32 v66, 0
	;; [unrolled: 1-line block ×3, first 2 shown]
	s_mov_b32 s5, 0
	.p2align	6
.LBB95_49:                              ; =>This Inner Loop Header: Depth=1
	s_clause 0x1
	buffer_load_dword v75, v71, s[0:3], 0 offen offset:4
	buffer_load_dword v76, v71, s[0:3], 0 offen
	ds_read_b64 v[73:74], v70
	v_add_nc_u32_e32 v69, 1, v69
	v_add_nc_u32_e32 v70, 8, v70
	;; [unrolled: 1-line block ×3, first 2 shown]
	v_cmp_lt_u32_e32 vcc_lo, 7, v69
	s_or_b32 s5, vcc_lo, s5
	s_waitcnt vmcnt(1) lgkmcnt(0)
	v_mul_f32_e32 v77, v74, v75
	v_mul_f32_e32 v75, v73, v75
	s_waitcnt vmcnt(0)
	v_fma_f32 v73, v73, v76, -v77
	v_fmac_f32_e32 v75, v74, v76
	v_add_f32_e32 v72, v72, v73
	v_add_f32_e32 v66, v66, v75
	s_andn2_b32 exec_lo, exec_lo, s5
	s_cbranch_execnz .LBB95_49
; %bb.50:
	s_or_b32 exec_lo, exec_lo, s5
	v_mov_b32_e32 v69, 0
	ds_read_b64 v[69:70], v69 offset:72
	s_waitcnt lgkmcnt(0)
	v_mul_f32_e32 v71, v66, v70
	v_mul_f32_e32 v70, v72, v70
	v_fma_f32 v71, v72, v69, -v71
	v_fmac_f32_e32 v70, v66, v69
	buffer_store_dword v71, off, s[0:3], 0 offset:72
	buffer_store_dword v70, off, s[0:3], 0 offset:76
.LBB95_51:
	s_or_b32 exec_lo, exec_lo, s4
	s_waitcnt_vscnt null, 0x0
	s_barrier
	buffer_gl0_inv
	s_clause 0x1
	buffer_load_dword v69, off, s[0:3], 0 offset:80
	buffer_load_dword v70, off, s[0:3], 0 offset:84
	s_mov_b32 s4, exec_lo
	s_waitcnt vmcnt(0)
	ds_write_b64 v68, v[69:70]
	s_waitcnt lgkmcnt(0)
	s_barrier
	buffer_gl0_inv
	v_cmpx_gt_u32_e32 10, v0
	s_cbranch_execz .LBB95_55
; %bb.52:
	v_add_nc_u32_e32 v69, -1, v0
	v_add_nc_u32_e32 v70, 0x100, v67
	v_mov_b32_e32 v71, v67
	v_mov_b32_e32 v66, 0
	;; [unrolled: 1-line block ×3, first 2 shown]
	s_mov_b32 s5, 0
	.p2align	6
.LBB95_53:                              ; =>This Inner Loop Header: Depth=1
	s_clause 0x1
	buffer_load_dword v75, v71, s[0:3], 0 offen offset:4
	buffer_load_dword v76, v71, s[0:3], 0 offen
	ds_read_b64 v[73:74], v70
	v_add_nc_u32_e32 v69, 1, v69
	v_add_nc_u32_e32 v70, 8, v70
	;; [unrolled: 1-line block ×3, first 2 shown]
	v_cmp_lt_u32_e32 vcc_lo, 8, v69
	s_or_b32 s5, vcc_lo, s5
	s_waitcnt vmcnt(1) lgkmcnt(0)
	v_mul_f32_e32 v77, v74, v75
	v_mul_f32_e32 v75, v73, v75
	s_waitcnt vmcnt(0)
	v_fma_f32 v73, v73, v76, -v77
	v_fmac_f32_e32 v75, v74, v76
	v_add_f32_e32 v72, v72, v73
	v_add_f32_e32 v66, v66, v75
	s_andn2_b32 exec_lo, exec_lo, s5
	s_cbranch_execnz .LBB95_53
; %bb.54:
	s_or_b32 exec_lo, exec_lo, s5
	v_mov_b32_e32 v69, 0
	ds_read_b64 v[69:70], v69 offset:80
	s_waitcnt lgkmcnt(0)
	v_mul_f32_e32 v71, v66, v70
	v_mul_f32_e32 v70, v72, v70
	v_fma_f32 v71, v72, v69, -v71
	v_fmac_f32_e32 v70, v66, v69
	buffer_store_dword v71, off, s[0:3], 0 offset:80
	buffer_store_dword v70, off, s[0:3], 0 offset:84
.LBB95_55:
	s_or_b32 exec_lo, exec_lo, s4
	s_waitcnt_vscnt null, 0x0
	s_barrier
	buffer_gl0_inv
	s_clause 0x1
	buffer_load_dword v69, off, s[0:3], 0 offset:88
	buffer_load_dword v70, off, s[0:3], 0 offset:92
	s_mov_b32 s4, exec_lo
	s_waitcnt vmcnt(0)
	ds_write_b64 v68, v[69:70]
	s_waitcnt lgkmcnt(0)
	s_barrier
	buffer_gl0_inv
	v_cmpx_gt_u32_e32 11, v0
	s_cbranch_execz .LBB95_59
; %bb.56:
	v_add_nc_u32_e32 v69, -1, v0
	v_add_nc_u32_e32 v70, 0x100, v67
	v_mov_b32_e32 v71, v67
	v_mov_b32_e32 v66, 0
	;; [unrolled: 1-line block ×3, first 2 shown]
	s_mov_b32 s5, 0
	.p2align	6
.LBB95_57:                              ; =>This Inner Loop Header: Depth=1
	s_clause 0x1
	buffer_load_dword v75, v71, s[0:3], 0 offen offset:4
	buffer_load_dword v76, v71, s[0:3], 0 offen
	ds_read_b64 v[73:74], v70
	v_add_nc_u32_e32 v69, 1, v69
	v_add_nc_u32_e32 v70, 8, v70
	;; [unrolled: 1-line block ×3, first 2 shown]
	v_cmp_lt_u32_e32 vcc_lo, 9, v69
	s_or_b32 s5, vcc_lo, s5
	s_waitcnt vmcnt(1) lgkmcnt(0)
	v_mul_f32_e32 v77, v74, v75
	v_mul_f32_e32 v75, v73, v75
	s_waitcnt vmcnt(0)
	v_fma_f32 v73, v73, v76, -v77
	v_fmac_f32_e32 v75, v74, v76
	v_add_f32_e32 v72, v72, v73
	v_add_f32_e32 v66, v66, v75
	s_andn2_b32 exec_lo, exec_lo, s5
	s_cbranch_execnz .LBB95_57
; %bb.58:
	s_or_b32 exec_lo, exec_lo, s5
	v_mov_b32_e32 v69, 0
	ds_read_b64 v[69:70], v69 offset:88
	s_waitcnt lgkmcnt(0)
	v_mul_f32_e32 v71, v66, v70
	v_mul_f32_e32 v70, v72, v70
	v_fma_f32 v71, v72, v69, -v71
	v_fmac_f32_e32 v70, v66, v69
	buffer_store_dword v71, off, s[0:3], 0 offset:88
	buffer_store_dword v70, off, s[0:3], 0 offset:92
.LBB95_59:
	s_or_b32 exec_lo, exec_lo, s4
	s_waitcnt_vscnt null, 0x0
	s_barrier
	buffer_gl0_inv
	s_clause 0x1
	buffer_load_dword v69, off, s[0:3], 0 offset:96
	buffer_load_dword v70, off, s[0:3], 0 offset:100
	s_mov_b32 s4, exec_lo
	s_waitcnt vmcnt(0)
	ds_write_b64 v68, v[69:70]
	s_waitcnt lgkmcnt(0)
	s_barrier
	buffer_gl0_inv
	v_cmpx_gt_u32_e32 12, v0
	s_cbranch_execz .LBB95_63
; %bb.60:
	v_add_nc_u32_e32 v69, -1, v0
	v_add_nc_u32_e32 v70, 0x100, v67
	v_mov_b32_e32 v71, v67
	v_mov_b32_e32 v66, 0
	;; [unrolled: 1-line block ×3, first 2 shown]
	s_mov_b32 s5, 0
	.p2align	6
.LBB95_61:                              ; =>This Inner Loop Header: Depth=1
	s_clause 0x1
	buffer_load_dword v75, v71, s[0:3], 0 offen offset:4
	buffer_load_dword v76, v71, s[0:3], 0 offen
	ds_read_b64 v[73:74], v70
	v_add_nc_u32_e32 v69, 1, v69
	v_add_nc_u32_e32 v70, 8, v70
	;; [unrolled: 1-line block ×3, first 2 shown]
	v_cmp_lt_u32_e32 vcc_lo, 10, v69
	s_or_b32 s5, vcc_lo, s5
	s_waitcnt vmcnt(1) lgkmcnt(0)
	v_mul_f32_e32 v77, v74, v75
	v_mul_f32_e32 v75, v73, v75
	s_waitcnt vmcnt(0)
	v_fma_f32 v73, v73, v76, -v77
	v_fmac_f32_e32 v75, v74, v76
	v_add_f32_e32 v72, v72, v73
	v_add_f32_e32 v66, v66, v75
	s_andn2_b32 exec_lo, exec_lo, s5
	s_cbranch_execnz .LBB95_61
; %bb.62:
	s_or_b32 exec_lo, exec_lo, s5
	v_mov_b32_e32 v69, 0
	ds_read_b64 v[69:70], v69 offset:96
	s_waitcnt lgkmcnt(0)
	v_mul_f32_e32 v71, v66, v70
	v_mul_f32_e32 v70, v72, v70
	v_fma_f32 v71, v72, v69, -v71
	v_fmac_f32_e32 v70, v66, v69
	buffer_store_dword v71, off, s[0:3], 0 offset:96
	buffer_store_dword v70, off, s[0:3], 0 offset:100
.LBB95_63:
	s_or_b32 exec_lo, exec_lo, s4
	s_waitcnt_vscnt null, 0x0
	s_barrier
	buffer_gl0_inv
	s_clause 0x1
	buffer_load_dword v69, off, s[0:3], 0 offset:104
	buffer_load_dword v70, off, s[0:3], 0 offset:108
	s_mov_b32 s4, exec_lo
	s_waitcnt vmcnt(0)
	ds_write_b64 v68, v[69:70]
	s_waitcnt lgkmcnt(0)
	s_barrier
	buffer_gl0_inv
	v_cmpx_gt_u32_e32 13, v0
	s_cbranch_execz .LBB95_67
; %bb.64:
	v_add_nc_u32_e32 v69, -1, v0
	v_add_nc_u32_e32 v70, 0x100, v67
	v_mov_b32_e32 v71, v67
	v_mov_b32_e32 v66, 0
	;; [unrolled: 1-line block ×3, first 2 shown]
	s_mov_b32 s5, 0
	.p2align	6
.LBB95_65:                              ; =>This Inner Loop Header: Depth=1
	s_clause 0x1
	buffer_load_dword v75, v71, s[0:3], 0 offen offset:4
	buffer_load_dword v76, v71, s[0:3], 0 offen
	ds_read_b64 v[73:74], v70
	v_add_nc_u32_e32 v69, 1, v69
	v_add_nc_u32_e32 v70, 8, v70
	;; [unrolled: 1-line block ×3, first 2 shown]
	v_cmp_lt_u32_e32 vcc_lo, 11, v69
	s_or_b32 s5, vcc_lo, s5
	s_waitcnt vmcnt(1) lgkmcnt(0)
	v_mul_f32_e32 v77, v74, v75
	v_mul_f32_e32 v75, v73, v75
	s_waitcnt vmcnt(0)
	v_fma_f32 v73, v73, v76, -v77
	v_fmac_f32_e32 v75, v74, v76
	v_add_f32_e32 v72, v72, v73
	v_add_f32_e32 v66, v66, v75
	s_andn2_b32 exec_lo, exec_lo, s5
	s_cbranch_execnz .LBB95_65
; %bb.66:
	s_or_b32 exec_lo, exec_lo, s5
	v_mov_b32_e32 v69, 0
	ds_read_b64 v[69:70], v69 offset:104
	s_waitcnt lgkmcnt(0)
	v_mul_f32_e32 v71, v66, v70
	v_mul_f32_e32 v70, v72, v70
	v_fma_f32 v71, v72, v69, -v71
	v_fmac_f32_e32 v70, v66, v69
	buffer_store_dword v71, off, s[0:3], 0 offset:104
	buffer_store_dword v70, off, s[0:3], 0 offset:108
.LBB95_67:
	s_or_b32 exec_lo, exec_lo, s4
	s_waitcnt_vscnt null, 0x0
	s_barrier
	buffer_gl0_inv
	s_clause 0x1
	buffer_load_dword v69, off, s[0:3], 0 offset:112
	buffer_load_dword v70, off, s[0:3], 0 offset:116
	s_mov_b32 s4, exec_lo
	s_waitcnt vmcnt(0)
	ds_write_b64 v68, v[69:70]
	s_waitcnt lgkmcnt(0)
	s_barrier
	buffer_gl0_inv
	v_cmpx_gt_u32_e32 14, v0
	s_cbranch_execz .LBB95_71
; %bb.68:
	v_add_nc_u32_e32 v69, -1, v0
	v_add_nc_u32_e32 v70, 0x100, v67
	v_mov_b32_e32 v71, v67
	v_mov_b32_e32 v66, 0
	;; [unrolled: 1-line block ×3, first 2 shown]
	s_mov_b32 s5, 0
	.p2align	6
.LBB95_69:                              ; =>This Inner Loop Header: Depth=1
	s_clause 0x1
	buffer_load_dword v75, v71, s[0:3], 0 offen offset:4
	buffer_load_dword v76, v71, s[0:3], 0 offen
	ds_read_b64 v[73:74], v70
	v_add_nc_u32_e32 v69, 1, v69
	v_add_nc_u32_e32 v70, 8, v70
	v_add_nc_u32_e32 v71, 8, v71
	v_cmp_lt_u32_e32 vcc_lo, 12, v69
	s_or_b32 s5, vcc_lo, s5
	s_waitcnt vmcnt(1) lgkmcnt(0)
	v_mul_f32_e32 v77, v74, v75
	v_mul_f32_e32 v75, v73, v75
	s_waitcnt vmcnt(0)
	v_fma_f32 v73, v73, v76, -v77
	v_fmac_f32_e32 v75, v74, v76
	v_add_f32_e32 v72, v72, v73
	v_add_f32_e32 v66, v66, v75
	s_andn2_b32 exec_lo, exec_lo, s5
	s_cbranch_execnz .LBB95_69
; %bb.70:
	s_or_b32 exec_lo, exec_lo, s5
	v_mov_b32_e32 v69, 0
	ds_read_b64 v[69:70], v69 offset:112
	s_waitcnt lgkmcnt(0)
	v_mul_f32_e32 v71, v66, v70
	v_mul_f32_e32 v70, v72, v70
	v_fma_f32 v71, v72, v69, -v71
	v_fmac_f32_e32 v70, v66, v69
	buffer_store_dword v71, off, s[0:3], 0 offset:112
	buffer_store_dword v70, off, s[0:3], 0 offset:116
.LBB95_71:
	s_or_b32 exec_lo, exec_lo, s4
	s_waitcnt_vscnt null, 0x0
	s_barrier
	buffer_gl0_inv
	s_clause 0x1
	buffer_load_dword v69, off, s[0:3], 0 offset:120
	buffer_load_dword v70, off, s[0:3], 0 offset:124
	s_mov_b32 s4, exec_lo
	s_waitcnt vmcnt(0)
	ds_write_b64 v68, v[69:70]
	s_waitcnt lgkmcnt(0)
	s_barrier
	buffer_gl0_inv
	v_cmpx_gt_u32_e32 15, v0
	s_cbranch_execz .LBB95_75
; %bb.72:
	v_add_nc_u32_e32 v69, -1, v0
	v_add_nc_u32_e32 v70, 0x100, v67
	v_mov_b32_e32 v71, v67
	v_mov_b32_e32 v66, 0
	;; [unrolled: 1-line block ×3, first 2 shown]
	s_mov_b32 s5, 0
	.p2align	6
.LBB95_73:                              ; =>This Inner Loop Header: Depth=1
	s_clause 0x1
	buffer_load_dword v75, v71, s[0:3], 0 offen offset:4
	buffer_load_dword v76, v71, s[0:3], 0 offen
	ds_read_b64 v[73:74], v70
	v_add_nc_u32_e32 v69, 1, v69
	v_add_nc_u32_e32 v70, 8, v70
	;; [unrolled: 1-line block ×3, first 2 shown]
	v_cmp_lt_u32_e32 vcc_lo, 13, v69
	s_or_b32 s5, vcc_lo, s5
	s_waitcnt vmcnt(1) lgkmcnt(0)
	v_mul_f32_e32 v77, v74, v75
	v_mul_f32_e32 v75, v73, v75
	s_waitcnt vmcnt(0)
	v_fma_f32 v73, v73, v76, -v77
	v_fmac_f32_e32 v75, v74, v76
	v_add_f32_e32 v72, v72, v73
	v_add_f32_e32 v66, v66, v75
	s_andn2_b32 exec_lo, exec_lo, s5
	s_cbranch_execnz .LBB95_73
; %bb.74:
	s_or_b32 exec_lo, exec_lo, s5
	v_mov_b32_e32 v69, 0
	ds_read_b64 v[69:70], v69 offset:120
	s_waitcnt lgkmcnt(0)
	v_mul_f32_e32 v71, v66, v70
	v_mul_f32_e32 v70, v72, v70
	v_fma_f32 v71, v72, v69, -v71
	v_fmac_f32_e32 v70, v66, v69
	buffer_store_dword v71, off, s[0:3], 0 offset:120
	buffer_store_dword v70, off, s[0:3], 0 offset:124
.LBB95_75:
	s_or_b32 exec_lo, exec_lo, s4
	s_waitcnt_vscnt null, 0x0
	s_barrier
	buffer_gl0_inv
	s_clause 0x1
	buffer_load_dword v69, off, s[0:3], 0 offset:128
	buffer_load_dword v70, off, s[0:3], 0 offset:132
	s_mov_b32 s4, exec_lo
	s_waitcnt vmcnt(0)
	ds_write_b64 v68, v[69:70]
	s_waitcnt lgkmcnt(0)
	s_barrier
	buffer_gl0_inv
	v_cmpx_gt_u32_e32 16, v0
	s_cbranch_execz .LBB95_79
; %bb.76:
	v_add_nc_u32_e32 v69, -1, v0
	v_add_nc_u32_e32 v70, 0x100, v67
	v_mov_b32_e32 v71, v67
	v_mov_b32_e32 v66, 0
	;; [unrolled: 1-line block ×3, first 2 shown]
	s_mov_b32 s5, 0
	.p2align	6
.LBB95_77:                              ; =>This Inner Loop Header: Depth=1
	s_clause 0x1
	buffer_load_dword v75, v71, s[0:3], 0 offen offset:4
	buffer_load_dword v76, v71, s[0:3], 0 offen
	ds_read_b64 v[73:74], v70
	v_add_nc_u32_e32 v69, 1, v69
	v_add_nc_u32_e32 v70, 8, v70
	;; [unrolled: 1-line block ×3, first 2 shown]
	v_cmp_lt_u32_e32 vcc_lo, 14, v69
	s_or_b32 s5, vcc_lo, s5
	s_waitcnt vmcnt(1) lgkmcnt(0)
	v_mul_f32_e32 v77, v74, v75
	v_mul_f32_e32 v75, v73, v75
	s_waitcnt vmcnt(0)
	v_fma_f32 v73, v73, v76, -v77
	v_fmac_f32_e32 v75, v74, v76
	v_add_f32_e32 v72, v72, v73
	v_add_f32_e32 v66, v66, v75
	s_andn2_b32 exec_lo, exec_lo, s5
	s_cbranch_execnz .LBB95_77
; %bb.78:
	s_or_b32 exec_lo, exec_lo, s5
	v_mov_b32_e32 v69, 0
	ds_read_b64 v[69:70], v69 offset:128
	s_waitcnt lgkmcnt(0)
	v_mul_f32_e32 v71, v66, v70
	v_mul_f32_e32 v70, v72, v70
	v_fma_f32 v71, v72, v69, -v71
	v_fmac_f32_e32 v70, v66, v69
	buffer_store_dword v71, off, s[0:3], 0 offset:128
	buffer_store_dword v70, off, s[0:3], 0 offset:132
.LBB95_79:
	s_or_b32 exec_lo, exec_lo, s4
	s_waitcnt_vscnt null, 0x0
	s_barrier
	buffer_gl0_inv
	s_clause 0x1
	buffer_load_dword v69, off, s[0:3], 0 offset:136
	buffer_load_dword v70, off, s[0:3], 0 offset:140
	s_mov_b32 s4, exec_lo
	s_waitcnt vmcnt(0)
	ds_write_b64 v68, v[69:70]
	s_waitcnt lgkmcnt(0)
	s_barrier
	buffer_gl0_inv
	v_cmpx_gt_u32_e32 17, v0
	s_cbranch_execz .LBB95_83
; %bb.80:
	v_add_nc_u32_e32 v69, -1, v0
	v_add_nc_u32_e32 v70, 0x100, v67
	v_mov_b32_e32 v71, v67
	v_mov_b32_e32 v66, 0
	;; [unrolled: 1-line block ×3, first 2 shown]
	s_mov_b32 s5, 0
	.p2align	6
.LBB95_81:                              ; =>This Inner Loop Header: Depth=1
	s_clause 0x1
	buffer_load_dword v75, v71, s[0:3], 0 offen offset:4
	buffer_load_dword v76, v71, s[0:3], 0 offen
	ds_read_b64 v[73:74], v70
	v_add_nc_u32_e32 v69, 1, v69
	v_add_nc_u32_e32 v70, 8, v70
	;; [unrolled: 1-line block ×3, first 2 shown]
	v_cmp_lt_u32_e32 vcc_lo, 15, v69
	s_or_b32 s5, vcc_lo, s5
	s_waitcnt vmcnt(1) lgkmcnt(0)
	v_mul_f32_e32 v77, v74, v75
	v_mul_f32_e32 v75, v73, v75
	s_waitcnt vmcnt(0)
	v_fma_f32 v73, v73, v76, -v77
	v_fmac_f32_e32 v75, v74, v76
	v_add_f32_e32 v72, v72, v73
	v_add_f32_e32 v66, v66, v75
	s_andn2_b32 exec_lo, exec_lo, s5
	s_cbranch_execnz .LBB95_81
; %bb.82:
	s_or_b32 exec_lo, exec_lo, s5
	v_mov_b32_e32 v69, 0
	ds_read_b64 v[69:70], v69 offset:136
	s_waitcnt lgkmcnt(0)
	v_mul_f32_e32 v71, v66, v70
	v_mul_f32_e32 v70, v72, v70
	v_fma_f32 v71, v72, v69, -v71
	v_fmac_f32_e32 v70, v66, v69
	buffer_store_dword v71, off, s[0:3], 0 offset:136
	buffer_store_dword v70, off, s[0:3], 0 offset:140
.LBB95_83:
	s_or_b32 exec_lo, exec_lo, s4
	s_waitcnt_vscnt null, 0x0
	s_barrier
	buffer_gl0_inv
	s_clause 0x1
	buffer_load_dword v69, off, s[0:3], 0 offset:144
	buffer_load_dword v70, off, s[0:3], 0 offset:148
	s_mov_b32 s4, exec_lo
	s_waitcnt vmcnt(0)
	ds_write_b64 v68, v[69:70]
	s_waitcnt lgkmcnt(0)
	s_barrier
	buffer_gl0_inv
	v_cmpx_gt_u32_e32 18, v0
	s_cbranch_execz .LBB95_87
; %bb.84:
	v_add_nc_u32_e32 v69, -1, v0
	v_add_nc_u32_e32 v70, 0x100, v67
	v_mov_b32_e32 v71, v67
	v_mov_b32_e32 v66, 0
	;; [unrolled: 1-line block ×3, first 2 shown]
	s_mov_b32 s5, 0
	.p2align	6
.LBB95_85:                              ; =>This Inner Loop Header: Depth=1
	s_clause 0x1
	buffer_load_dword v75, v71, s[0:3], 0 offen offset:4
	buffer_load_dword v76, v71, s[0:3], 0 offen
	ds_read_b64 v[73:74], v70
	v_add_nc_u32_e32 v69, 1, v69
	v_add_nc_u32_e32 v70, 8, v70
	;; [unrolled: 1-line block ×3, first 2 shown]
	v_cmp_lt_u32_e32 vcc_lo, 16, v69
	s_or_b32 s5, vcc_lo, s5
	s_waitcnt vmcnt(1) lgkmcnt(0)
	v_mul_f32_e32 v77, v74, v75
	v_mul_f32_e32 v75, v73, v75
	s_waitcnt vmcnt(0)
	v_fma_f32 v73, v73, v76, -v77
	v_fmac_f32_e32 v75, v74, v76
	v_add_f32_e32 v72, v72, v73
	v_add_f32_e32 v66, v66, v75
	s_andn2_b32 exec_lo, exec_lo, s5
	s_cbranch_execnz .LBB95_85
; %bb.86:
	s_or_b32 exec_lo, exec_lo, s5
	v_mov_b32_e32 v69, 0
	ds_read_b64 v[69:70], v69 offset:144
	s_waitcnt lgkmcnt(0)
	v_mul_f32_e32 v71, v66, v70
	v_mul_f32_e32 v70, v72, v70
	v_fma_f32 v71, v72, v69, -v71
	v_fmac_f32_e32 v70, v66, v69
	buffer_store_dword v71, off, s[0:3], 0 offset:144
	buffer_store_dword v70, off, s[0:3], 0 offset:148
.LBB95_87:
	s_or_b32 exec_lo, exec_lo, s4
	s_waitcnt_vscnt null, 0x0
	s_barrier
	buffer_gl0_inv
	s_clause 0x1
	buffer_load_dword v69, off, s[0:3], 0 offset:152
	buffer_load_dword v70, off, s[0:3], 0 offset:156
	s_mov_b32 s4, exec_lo
	s_waitcnt vmcnt(0)
	ds_write_b64 v68, v[69:70]
	s_waitcnt lgkmcnt(0)
	s_barrier
	buffer_gl0_inv
	v_cmpx_gt_u32_e32 19, v0
	s_cbranch_execz .LBB95_91
; %bb.88:
	v_add_nc_u32_e32 v69, -1, v0
	v_add_nc_u32_e32 v70, 0x100, v67
	v_mov_b32_e32 v71, v67
	v_mov_b32_e32 v66, 0
	;; [unrolled: 1-line block ×3, first 2 shown]
	s_mov_b32 s5, 0
	.p2align	6
.LBB95_89:                              ; =>This Inner Loop Header: Depth=1
	s_clause 0x1
	buffer_load_dword v75, v71, s[0:3], 0 offen offset:4
	buffer_load_dword v76, v71, s[0:3], 0 offen
	ds_read_b64 v[73:74], v70
	v_add_nc_u32_e32 v69, 1, v69
	v_add_nc_u32_e32 v70, 8, v70
	;; [unrolled: 1-line block ×3, first 2 shown]
	v_cmp_lt_u32_e32 vcc_lo, 17, v69
	s_or_b32 s5, vcc_lo, s5
	s_waitcnt vmcnt(1) lgkmcnt(0)
	v_mul_f32_e32 v77, v74, v75
	v_mul_f32_e32 v75, v73, v75
	s_waitcnt vmcnt(0)
	v_fma_f32 v73, v73, v76, -v77
	v_fmac_f32_e32 v75, v74, v76
	v_add_f32_e32 v72, v72, v73
	v_add_f32_e32 v66, v66, v75
	s_andn2_b32 exec_lo, exec_lo, s5
	s_cbranch_execnz .LBB95_89
; %bb.90:
	s_or_b32 exec_lo, exec_lo, s5
	v_mov_b32_e32 v69, 0
	ds_read_b64 v[69:70], v69 offset:152
	s_waitcnt lgkmcnt(0)
	v_mul_f32_e32 v71, v66, v70
	v_mul_f32_e32 v70, v72, v70
	v_fma_f32 v71, v72, v69, -v71
	v_fmac_f32_e32 v70, v66, v69
	buffer_store_dword v71, off, s[0:3], 0 offset:152
	buffer_store_dword v70, off, s[0:3], 0 offset:156
.LBB95_91:
	s_or_b32 exec_lo, exec_lo, s4
	s_waitcnt_vscnt null, 0x0
	s_barrier
	buffer_gl0_inv
	s_clause 0x1
	buffer_load_dword v69, off, s[0:3], 0 offset:160
	buffer_load_dword v70, off, s[0:3], 0 offset:164
	s_mov_b32 s4, exec_lo
	s_waitcnt vmcnt(0)
	ds_write_b64 v68, v[69:70]
	s_waitcnt lgkmcnt(0)
	s_barrier
	buffer_gl0_inv
	v_cmpx_gt_u32_e32 20, v0
	s_cbranch_execz .LBB95_95
; %bb.92:
	v_add_nc_u32_e32 v69, -1, v0
	v_add_nc_u32_e32 v70, 0x100, v67
	v_mov_b32_e32 v71, v67
	v_mov_b32_e32 v66, 0
	;; [unrolled: 1-line block ×3, first 2 shown]
	s_mov_b32 s5, 0
	.p2align	6
.LBB95_93:                              ; =>This Inner Loop Header: Depth=1
	s_clause 0x1
	buffer_load_dword v75, v71, s[0:3], 0 offen offset:4
	buffer_load_dword v76, v71, s[0:3], 0 offen
	ds_read_b64 v[73:74], v70
	v_add_nc_u32_e32 v69, 1, v69
	v_add_nc_u32_e32 v70, 8, v70
	;; [unrolled: 1-line block ×3, first 2 shown]
	v_cmp_lt_u32_e32 vcc_lo, 18, v69
	s_or_b32 s5, vcc_lo, s5
	s_waitcnt vmcnt(1) lgkmcnt(0)
	v_mul_f32_e32 v77, v74, v75
	v_mul_f32_e32 v75, v73, v75
	s_waitcnt vmcnt(0)
	v_fma_f32 v73, v73, v76, -v77
	v_fmac_f32_e32 v75, v74, v76
	v_add_f32_e32 v72, v72, v73
	v_add_f32_e32 v66, v66, v75
	s_andn2_b32 exec_lo, exec_lo, s5
	s_cbranch_execnz .LBB95_93
; %bb.94:
	s_or_b32 exec_lo, exec_lo, s5
	v_mov_b32_e32 v69, 0
	ds_read_b64 v[69:70], v69 offset:160
	s_waitcnt lgkmcnt(0)
	v_mul_f32_e32 v71, v66, v70
	v_mul_f32_e32 v70, v72, v70
	v_fma_f32 v71, v72, v69, -v71
	v_fmac_f32_e32 v70, v66, v69
	buffer_store_dword v71, off, s[0:3], 0 offset:160
	buffer_store_dword v70, off, s[0:3], 0 offset:164
.LBB95_95:
	s_or_b32 exec_lo, exec_lo, s4
	s_waitcnt_vscnt null, 0x0
	s_barrier
	buffer_gl0_inv
	s_clause 0x1
	buffer_load_dword v69, off, s[0:3], 0 offset:168
	buffer_load_dword v70, off, s[0:3], 0 offset:172
	s_mov_b32 s4, exec_lo
	s_waitcnt vmcnt(0)
	ds_write_b64 v68, v[69:70]
	s_waitcnt lgkmcnt(0)
	s_barrier
	buffer_gl0_inv
	v_cmpx_gt_u32_e32 21, v0
	s_cbranch_execz .LBB95_99
; %bb.96:
	v_add_nc_u32_e32 v69, -1, v0
	v_add_nc_u32_e32 v70, 0x100, v67
	v_mov_b32_e32 v71, v67
	v_mov_b32_e32 v66, 0
	;; [unrolled: 1-line block ×3, first 2 shown]
	s_mov_b32 s5, 0
	.p2align	6
.LBB95_97:                              ; =>This Inner Loop Header: Depth=1
	s_clause 0x1
	buffer_load_dword v75, v71, s[0:3], 0 offen offset:4
	buffer_load_dword v76, v71, s[0:3], 0 offen
	ds_read_b64 v[73:74], v70
	v_add_nc_u32_e32 v69, 1, v69
	v_add_nc_u32_e32 v70, 8, v70
	;; [unrolled: 1-line block ×3, first 2 shown]
	v_cmp_lt_u32_e32 vcc_lo, 19, v69
	s_or_b32 s5, vcc_lo, s5
	s_waitcnt vmcnt(1) lgkmcnt(0)
	v_mul_f32_e32 v77, v74, v75
	v_mul_f32_e32 v75, v73, v75
	s_waitcnt vmcnt(0)
	v_fma_f32 v73, v73, v76, -v77
	v_fmac_f32_e32 v75, v74, v76
	v_add_f32_e32 v72, v72, v73
	v_add_f32_e32 v66, v66, v75
	s_andn2_b32 exec_lo, exec_lo, s5
	s_cbranch_execnz .LBB95_97
; %bb.98:
	s_or_b32 exec_lo, exec_lo, s5
	v_mov_b32_e32 v69, 0
	ds_read_b64 v[69:70], v69 offset:168
	s_waitcnt lgkmcnt(0)
	v_mul_f32_e32 v71, v66, v70
	v_mul_f32_e32 v70, v72, v70
	v_fma_f32 v71, v72, v69, -v71
	v_fmac_f32_e32 v70, v66, v69
	buffer_store_dword v71, off, s[0:3], 0 offset:168
	buffer_store_dword v70, off, s[0:3], 0 offset:172
.LBB95_99:
	s_or_b32 exec_lo, exec_lo, s4
	s_waitcnt_vscnt null, 0x0
	s_barrier
	buffer_gl0_inv
	s_clause 0x1
	buffer_load_dword v69, off, s[0:3], 0 offset:176
	buffer_load_dword v70, off, s[0:3], 0 offset:180
	s_mov_b32 s4, exec_lo
	s_waitcnt vmcnt(0)
	ds_write_b64 v68, v[69:70]
	s_waitcnt lgkmcnt(0)
	s_barrier
	buffer_gl0_inv
	v_cmpx_gt_u32_e32 22, v0
	s_cbranch_execz .LBB95_103
; %bb.100:
	v_add_nc_u32_e32 v69, -1, v0
	v_add_nc_u32_e32 v70, 0x100, v67
	v_mov_b32_e32 v71, v67
	v_mov_b32_e32 v66, 0
	;; [unrolled: 1-line block ×3, first 2 shown]
	s_mov_b32 s5, 0
	.p2align	6
.LBB95_101:                             ; =>This Inner Loop Header: Depth=1
	s_clause 0x1
	buffer_load_dword v75, v71, s[0:3], 0 offen offset:4
	buffer_load_dword v76, v71, s[0:3], 0 offen
	ds_read_b64 v[73:74], v70
	v_add_nc_u32_e32 v69, 1, v69
	v_add_nc_u32_e32 v70, 8, v70
	v_add_nc_u32_e32 v71, 8, v71
	v_cmp_lt_u32_e32 vcc_lo, 20, v69
	s_or_b32 s5, vcc_lo, s5
	s_waitcnt vmcnt(1) lgkmcnt(0)
	v_mul_f32_e32 v77, v74, v75
	v_mul_f32_e32 v75, v73, v75
	s_waitcnt vmcnt(0)
	v_fma_f32 v73, v73, v76, -v77
	v_fmac_f32_e32 v75, v74, v76
	v_add_f32_e32 v72, v72, v73
	v_add_f32_e32 v66, v66, v75
	s_andn2_b32 exec_lo, exec_lo, s5
	s_cbranch_execnz .LBB95_101
; %bb.102:
	s_or_b32 exec_lo, exec_lo, s5
	v_mov_b32_e32 v69, 0
	ds_read_b64 v[69:70], v69 offset:176
	s_waitcnt lgkmcnt(0)
	v_mul_f32_e32 v71, v66, v70
	v_mul_f32_e32 v70, v72, v70
	v_fma_f32 v71, v72, v69, -v71
	v_fmac_f32_e32 v70, v66, v69
	buffer_store_dword v71, off, s[0:3], 0 offset:176
	buffer_store_dword v70, off, s[0:3], 0 offset:180
.LBB95_103:
	s_or_b32 exec_lo, exec_lo, s4
	s_waitcnt_vscnt null, 0x0
	s_barrier
	buffer_gl0_inv
	s_clause 0x1
	buffer_load_dword v69, off, s[0:3], 0 offset:184
	buffer_load_dword v70, off, s[0:3], 0 offset:188
	s_mov_b32 s4, exec_lo
	s_waitcnt vmcnt(0)
	ds_write_b64 v68, v[69:70]
	s_waitcnt lgkmcnt(0)
	s_barrier
	buffer_gl0_inv
	v_cmpx_gt_u32_e32 23, v0
	s_cbranch_execz .LBB95_107
; %bb.104:
	v_add_nc_u32_e32 v69, -1, v0
	v_add_nc_u32_e32 v70, 0x100, v67
	v_mov_b32_e32 v71, v67
	v_mov_b32_e32 v66, 0
	;; [unrolled: 1-line block ×3, first 2 shown]
	s_mov_b32 s5, 0
	.p2align	6
.LBB95_105:                             ; =>This Inner Loop Header: Depth=1
	s_clause 0x1
	buffer_load_dword v75, v71, s[0:3], 0 offen offset:4
	buffer_load_dword v76, v71, s[0:3], 0 offen
	ds_read_b64 v[73:74], v70
	v_add_nc_u32_e32 v69, 1, v69
	v_add_nc_u32_e32 v70, 8, v70
	;; [unrolled: 1-line block ×3, first 2 shown]
	v_cmp_lt_u32_e32 vcc_lo, 21, v69
	s_or_b32 s5, vcc_lo, s5
	s_waitcnt vmcnt(1) lgkmcnt(0)
	v_mul_f32_e32 v77, v74, v75
	v_mul_f32_e32 v75, v73, v75
	s_waitcnt vmcnt(0)
	v_fma_f32 v73, v73, v76, -v77
	v_fmac_f32_e32 v75, v74, v76
	v_add_f32_e32 v72, v72, v73
	v_add_f32_e32 v66, v66, v75
	s_andn2_b32 exec_lo, exec_lo, s5
	s_cbranch_execnz .LBB95_105
; %bb.106:
	s_or_b32 exec_lo, exec_lo, s5
	v_mov_b32_e32 v69, 0
	ds_read_b64 v[69:70], v69 offset:184
	s_waitcnt lgkmcnt(0)
	v_mul_f32_e32 v71, v66, v70
	v_mul_f32_e32 v70, v72, v70
	v_fma_f32 v71, v72, v69, -v71
	v_fmac_f32_e32 v70, v66, v69
	buffer_store_dword v71, off, s[0:3], 0 offset:184
	buffer_store_dword v70, off, s[0:3], 0 offset:188
.LBB95_107:
	s_or_b32 exec_lo, exec_lo, s4
	s_waitcnt_vscnt null, 0x0
	s_barrier
	buffer_gl0_inv
	s_clause 0x1
	buffer_load_dword v69, off, s[0:3], 0 offset:192
	buffer_load_dword v70, off, s[0:3], 0 offset:196
	s_mov_b32 s4, exec_lo
	s_waitcnt vmcnt(0)
	ds_write_b64 v68, v[69:70]
	s_waitcnt lgkmcnt(0)
	s_barrier
	buffer_gl0_inv
	v_cmpx_gt_u32_e32 24, v0
	s_cbranch_execz .LBB95_111
; %bb.108:
	v_add_nc_u32_e32 v69, -1, v0
	v_add_nc_u32_e32 v70, 0x100, v67
	v_mov_b32_e32 v71, v67
	v_mov_b32_e32 v66, 0
	;; [unrolled: 1-line block ×3, first 2 shown]
	s_mov_b32 s5, 0
	.p2align	6
.LBB95_109:                             ; =>This Inner Loop Header: Depth=1
	s_clause 0x1
	buffer_load_dword v75, v71, s[0:3], 0 offen offset:4
	buffer_load_dword v76, v71, s[0:3], 0 offen
	ds_read_b64 v[73:74], v70
	v_add_nc_u32_e32 v69, 1, v69
	v_add_nc_u32_e32 v70, 8, v70
	;; [unrolled: 1-line block ×3, first 2 shown]
	v_cmp_lt_u32_e32 vcc_lo, 22, v69
	s_or_b32 s5, vcc_lo, s5
	s_waitcnt vmcnt(1) lgkmcnt(0)
	v_mul_f32_e32 v77, v74, v75
	v_mul_f32_e32 v75, v73, v75
	s_waitcnt vmcnt(0)
	v_fma_f32 v73, v73, v76, -v77
	v_fmac_f32_e32 v75, v74, v76
	v_add_f32_e32 v72, v72, v73
	v_add_f32_e32 v66, v66, v75
	s_andn2_b32 exec_lo, exec_lo, s5
	s_cbranch_execnz .LBB95_109
; %bb.110:
	s_or_b32 exec_lo, exec_lo, s5
	v_mov_b32_e32 v69, 0
	ds_read_b64 v[69:70], v69 offset:192
	s_waitcnt lgkmcnt(0)
	v_mul_f32_e32 v71, v66, v70
	v_mul_f32_e32 v70, v72, v70
	v_fma_f32 v71, v72, v69, -v71
	v_fmac_f32_e32 v70, v66, v69
	buffer_store_dword v71, off, s[0:3], 0 offset:192
	buffer_store_dword v70, off, s[0:3], 0 offset:196
.LBB95_111:
	s_or_b32 exec_lo, exec_lo, s4
	s_waitcnt_vscnt null, 0x0
	s_barrier
	buffer_gl0_inv
	s_clause 0x1
	buffer_load_dword v69, off, s[0:3], 0 offset:200
	buffer_load_dword v70, off, s[0:3], 0 offset:204
	s_mov_b32 s4, exec_lo
	s_waitcnt vmcnt(0)
	ds_write_b64 v68, v[69:70]
	s_waitcnt lgkmcnt(0)
	s_barrier
	buffer_gl0_inv
	v_cmpx_gt_u32_e32 25, v0
	s_cbranch_execz .LBB95_115
; %bb.112:
	v_add_nc_u32_e32 v69, -1, v0
	v_add_nc_u32_e32 v70, 0x100, v67
	v_mov_b32_e32 v71, v67
	v_mov_b32_e32 v66, 0
	;; [unrolled: 1-line block ×3, first 2 shown]
	s_mov_b32 s5, 0
	.p2align	6
.LBB95_113:                             ; =>This Inner Loop Header: Depth=1
	s_clause 0x1
	buffer_load_dword v75, v71, s[0:3], 0 offen offset:4
	buffer_load_dword v76, v71, s[0:3], 0 offen
	ds_read_b64 v[73:74], v70
	v_add_nc_u32_e32 v69, 1, v69
	v_add_nc_u32_e32 v70, 8, v70
	;; [unrolled: 1-line block ×3, first 2 shown]
	v_cmp_lt_u32_e32 vcc_lo, 23, v69
	s_or_b32 s5, vcc_lo, s5
	s_waitcnt vmcnt(1) lgkmcnt(0)
	v_mul_f32_e32 v77, v74, v75
	v_mul_f32_e32 v75, v73, v75
	s_waitcnt vmcnt(0)
	v_fma_f32 v73, v73, v76, -v77
	v_fmac_f32_e32 v75, v74, v76
	v_add_f32_e32 v72, v72, v73
	v_add_f32_e32 v66, v66, v75
	s_andn2_b32 exec_lo, exec_lo, s5
	s_cbranch_execnz .LBB95_113
; %bb.114:
	s_or_b32 exec_lo, exec_lo, s5
	v_mov_b32_e32 v69, 0
	ds_read_b64 v[69:70], v69 offset:200
	s_waitcnt lgkmcnt(0)
	v_mul_f32_e32 v71, v66, v70
	v_mul_f32_e32 v70, v72, v70
	v_fma_f32 v71, v72, v69, -v71
	v_fmac_f32_e32 v70, v66, v69
	buffer_store_dword v71, off, s[0:3], 0 offset:200
	buffer_store_dword v70, off, s[0:3], 0 offset:204
.LBB95_115:
	s_or_b32 exec_lo, exec_lo, s4
	s_waitcnt_vscnt null, 0x0
	s_barrier
	buffer_gl0_inv
	s_clause 0x1
	buffer_load_dword v69, off, s[0:3], 0 offset:208
	buffer_load_dword v70, off, s[0:3], 0 offset:212
	s_mov_b32 s4, exec_lo
	s_waitcnt vmcnt(0)
	ds_write_b64 v68, v[69:70]
	s_waitcnt lgkmcnt(0)
	s_barrier
	buffer_gl0_inv
	v_cmpx_gt_u32_e32 26, v0
	s_cbranch_execz .LBB95_119
; %bb.116:
	v_add_nc_u32_e32 v69, -1, v0
	v_add_nc_u32_e32 v70, 0x100, v67
	v_mov_b32_e32 v71, v67
	v_mov_b32_e32 v66, 0
	;; [unrolled: 1-line block ×3, first 2 shown]
	s_mov_b32 s5, 0
	.p2align	6
.LBB95_117:                             ; =>This Inner Loop Header: Depth=1
	s_clause 0x1
	buffer_load_dword v75, v71, s[0:3], 0 offen offset:4
	buffer_load_dword v76, v71, s[0:3], 0 offen
	ds_read_b64 v[73:74], v70
	v_add_nc_u32_e32 v69, 1, v69
	v_add_nc_u32_e32 v70, 8, v70
	;; [unrolled: 1-line block ×3, first 2 shown]
	v_cmp_lt_u32_e32 vcc_lo, 24, v69
	s_or_b32 s5, vcc_lo, s5
	s_waitcnt vmcnt(1) lgkmcnt(0)
	v_mul_f32_e32 v77, v74, v75
	v_mul_f32_e32 v75, v73, v75
	s_waitcnt vmcnt(0)
	v_fma_f32 v73, v73, v76, -v77
	v_fmac_f32_e32 v75, v74, v76
	v_add_f32_e32 v72, v72, v73
	v_add_f32_e32 v66, v66, v75
	s_andn2_b32 exec_lo, exec_lo, s5
	s_cbranch_execnz .LBB95_117
; %bb.118:
	s_or_b32 exec_lo, exec_lo, s5
	v_mov_b32_e32 v69, 0
	ds_read_b64 v[69:70], v69 offset:208
	s_waitcnt lgkmcnt(0)
	v_mul_f32_e32 v71, v66, v70
	v_mul_f32_e32 v70, v72, v70
	v_fma_f32 v71, v72, v69, -v71
	v_fmac_f32_e32 v70, v66, v69
	buffer_store_dword v71, off, s[0:3], 0 offset:208
	buffer_store_dword v70, off, s[0:3], 0 offset:212
.LBB95_119:
	s_or_b32 exec_lo, exec_lo, s4
	s_waitcnt_vscnt null, 0x0
	s_barrier
	buffer_gl0_inv
	s_clause 0x1
	buffer_load_dword v69, off, s[0:3], 0 offset:216
	buffer_load_dword v70, off, s[0:3], 0 offset:220
	s_mov_b32 s4, exec_lo
	s_waitcnt vmcnt(0)
	ds_write_b64 v68, v[69:70]
	s_waitcnt lgkmcnt(0)
	s_barrier
	buffer_gl0_inv
	v_cmpx_gt_u32_e32 27, v0
	s_cbranch_execz .LBB95_123
; %bb.120:
	v_add_nc_u32_e32 v69, -1, v0
	v_add_nc_u32_e32 v70, 0x100, v67
	v_mov_b32_e32 v71, v67
	v_mov_b32_e32 v66, 0
	;; [unrolled: 1-line block ×3, first 2 shown]
	s_mov_b32 s5, 0
	.p2align	6
.LBB95_121:                             ; =>This Inner Loop Header: Depth=1
	s_clause 0x1
	buffer_load_dword v75, v71, s[0:3], 0 offen offset:4
	buffer_load_dword v76, v71, s[0:3], 0 offen
	ds_read_b64 v[73:74], v70
	v_add_nc_u32_e32 v69, 1, v69
	v_add_nc_u32_e32 v70, 8, v70
	v_add_nc_u32_e32 v71, 8, v71
	v_cmp_lt_u32_e32 vcc_lo, 25, v69
	s_or_b32 s5, vcc_lo, s5
	s_waitcnt vmcnt(1) lgkmcnt(0)
	v_mul_f32_e32 v77, v74, v75
	v_mul_f32_e32 v75, v73, v75
	s_waitcnt vmcnt(0)
	v_fma_f32 v73, v73, v76, -v77
	v_fmac_f32_e32 v75, v74, v76
	v_add_f32_e32 v72, v72, v73
	v_add_f32_e32 v66, v66, v75
	s_andn2_b32 exec_lo, exec_lo, s5
	s_cbranch_execnz .LBB95_121
; %bb.122:
	s_or_b32 exec_lo, exec_lo, s5
	v_mov_b32_e32 v69, 0
	ds_read_b64 v[69:70], v69 offset:216
	s_waitcnt lgkmcnt(0)
	v_mul_f32_e32 v71, v66, v70
	v_mul_f32_e32 v70, v72, v70
	v_fma_f32 v71, v72, v69, -v71
	v_fmac_f32_e32 v70, v66, v69
	buffer_store_dword v71, off, s[0:3], 0 offset:216
	buffer_store_dword v70, off, s[0:3], 0 offset:220
.LBB95_123:
	s_or_b32 exec_lo, exec_lo, s4
	s_waitcnt_vscnt null, 0x0
	s_barrier
	buffer_gl0_inv
	s_clause 0x1
	buffer_load_dword v69, off, s[0:3], 0 offset:224
	buffer_load_dword v70, off, s[0:3], 0 offset:228
	s_mov_b32 s4, exec_lo
	s_waitcnt vmcnt(0)
	ds_write_b64 v68, v[69:70]
	s_waitcnt lgkmcnt(0)
	s_barrier
	buffer_gl0_inv
	v_cmpx_gt_u32_e32 28, v0
	s_cbranch_execz .LBB95_127
; %bb.124:
	v_add_nc_u32_e32 v69, -1, v0
	v_add_nc_u32_e32 v70, 0x100, v67
	v_mov_b32_e32 v71, v67
	v_mov_b32_e32 v66, 0
	v_mov_b32_e32 v72, 0
	s_mov_b32 s5, 0
	.p2align	6
.LBB95_125:                             ; =>This Inner Loop Header: Depth=1
	s_clause 0x1
	buffer_load_dword v75, v71, s[0:3], 0 offen offset:4
	buffer_load_dword v76, v71, s[0:3], 0 offen
	ds_read_b64 v[73:74], v70
	v_add_nc_u32_e32 v69, 1, v69
	v_add_nc_u32_e32 v70, 8, v70
	;; [unrolled: 1-line block ×3, first 2 shown]
	v_cmp_lt_u32_e32 vcc_lo, 26, v69
	s_or_b32 s5, vcc_lo, s5
	s_waitcnt vmcnt(1) lgkmcnt(0)
	v_mul_f32_e32 v77, v74, v75
	v_mul_f32_e32 v75, v73, v75
	s_waitcnt vmcnt(0)
	v_fma_f32 v73, v73, v76, -v77
	v_fmac_f32_e32 v75, v74, v76
	v_add_f32_e32 v72, v72, v73
	v_add_f32_e32 v66, v66, v75
	s_andn2_b32 exec_lo, exec_lo, s5
	s_cbranch_execnz .LBB95_125
; %bb.126:
	s_or_b32 exec_lo, exec_lo, s5
	v_mov_b32_e32 v69, 0
	ds_read_b64 v[69:70], v69 offset:224
	s_waitcnt lgkmcnt(0)
	v_mul_f32_e32 v71, v66, v70
	v_mul_f32_e32 v70, v72, v70
	v_fma_f32 v71, v72, v69, -v71
	v_fmac_f32_e32 v70, v66, v69
	buffer_store_dword v71, off, s[0:3], 0 offset:224
	buffer_store_dword v70, off, s[0:3], 0 offset:228
.LBB95_127:
	s_or_b32 exec_lo, exec_lo, s4
	s_waitcnt_vscnt null, 0x0
	s_barrier
	buffer_gl0_inv
	s_clause 0x1
	buffer_load_dword v69, off, s[0:3], 0 offset:232
	buffer_load_dword v70, off, s[0:3], 0 offset:236
	s_mov_b32 s4, exec_lo
	s_waitcnt vmcnt(0)
	ds_write_b64 v68, v[69:70]
	s_waitcnt lgkmcnt(0)
	s_barrier
	buffer_gl0_inv
	v_cmpx_gt_u32_e32 29, v0
	s_cbranch_execz .LBB95_131
; %bb.128:
	v_add_nc_u32_e32 v69, -1, v0
	v_add_nc_u32_e32 v70, 0x100, v67
	v_mov_b32_e32 v71, v67
	v_mov_b32_e32 v66, 0
	;; [unrolled: 1-line block ×3, first 2 shown]
	s_mov_b32 s5, 0
	.p2align	6
.LBB95_129:                             ; =>This Inner Loop Header: Depth=1
	s_clause 0x1
	buffer_load_dword v75, v71, s[0:3], 0 offen offset:4
	buffer_load_dword v76, v71, s[0:3], 0 offen
	ds_read_b64 v[73:74], v70
	v_add_nc_u32_e32 v69, 1, v69
	v_add_nc_u32_e32 v70, 8, v70
	v_add_nc_u32_e32 v71, 8, v71
	v_cmp_lt_u32_e32 vcc_lo, 27, v69
	s_or_b32 s5, vcc_lo, s5
	s_waitcnt vmcnt(1) lgkmcnt(0)
	v_mul_f32_e32 v77, v74, v75
	v_mul_f32_e32 v75, v73, v75
	s_waitcnt vmcnt(0)
	v_fma_f32 v73, v73, v76, -v77
	v_fmac_f32_e32 v75, v74, v76
	v_add_f32_e32 v72, v72, v73
	v_add_f32_e32 v66, v66, v75
	s_andn2_b32 exec_lo, exec_lo, s5
	s_cbranch_execnz .LBB95_129
; %bb.130:
	s_or_b32 exec_lo, exec_lo, s5
	v_mov_b32_e32 v69, 0
	ds_read_b64 v[69:70], v69 offset:232
	s_waitcnt lgkmcnt(0)
	v_mul_f32_e32 v71, v66, v70
	v_mul_f32_e32 v70, v72, v70
	v_fma_f32 v71, v72, v69, -v71
	v_fmac_f32_e32 v70, v66, v69
	buffer_store_dword v71, off, s[0:3], 0 offset:232
	buffer_store_dword v70, off, s[0:3], 0 offset:236
.LBB95_131:
	s_or_b32 exec_lo, exec_lo, s4
	s_waitcnt_vscnt null, 0x0
	s_barrier
	buffer_gl0_inv
	s_clause 0x1
	buffer_load_dword v69, off, s[0:3], 0 offset:240
	buffer_load_dword v70, off, s[0:3], 0 offset:244
	s_mov_b32 s4, exec_lo
	s_waitcnt vmcnt(0)
	ds_write_b64 v68, v[69:70]
	s_waitcnt lgkmcnt(0)
	s_barrier
	buffer_gl0_inv
	v_cmpx_gt_u32_e32 30, v0
	s_cbranch_execz .LBB95_135
; %bb.132:
	v_add_nc_u32_e32 v69, -1, v0
	v_add_nc_u32_e32 v70, 0x100, v67
	v_mov_b32_e32 v71, v67
	v_mov_b32_e32 v66, 0
	;; [unrolled: 1-line block ×3, first 2 shown]
	s_mov_b32 s5, 0
	.p2align	6
.LBB95_133:                             ; =>This Inner Loop Header: Depth=1
	s_clause 0x1
	buffer_load_dword v75, v71, s[0:3], 0 offen offset:4
	buffer_load_dword v76, v71, s[0:3], 0 offen
	ds_read_b64 v[73:74], v70
	v_add_nc_u32_e32 v69, 1, v69
	v_add_nc_u32_e32 v70, 8, v70
	;; [unrolled: 1-line block ×3, first 2 shown]
	v_cmp_lt_u32_e32 vcc_lo, 28, v69
	s_or_b32 s5, vcc_lo, s5
	s_waitcnt vmcnt(1) lgkmcnt(0)
	v_mul_f32_e32 v77, v74, v75
	v_mul_f32_e32 v75, v73, v75
	s_waitcnt vmcnt(0)
	v_fma_f32 v73, v73, v76, -v77
	v_fmac_f32_e32 v75, v74, v76
	v_add_f32_e32 v72, v72, v73
	v_add_f32_e32 v66, v66, v75
	s_andn2_b32 exec_lo, exec_lo, s5
	s_cbranch_execnz .LBB95_133
; %bb.134:
	s_or_b32 exec_lo, exec_lo, s5
	v_mov_b32_e32 v69, 0
	ds_read_b64 v[69:70], v69 offset:240
	s_waitcnt lgkmcnt(0)
	v_mul_f32_e32 v71, v66, v70
	v_mul_f32_e32 v70, v72, v70
	v_fma_f32 v71, v72, v69, -v71
	v_fmac_f32_e32 v70, v66, v69
	buffer_store_dword v71, off, s[0:3], 0 offset:240
	buffer_store_dword v70, off, s[0:3], 0 offset:244
.LBB95_135:
	s_or_b32 exec_lo, exec_lo, s4
	s_waitcnt_vscnt null, 0x0
	s_barrier
	buffer_gl0_inv
	s_clause 0x1
	buffer_load_dword v69, off, s[0:3], 0 offset:248
	buffer_load_dword v70, off, s[0:3], 0 offset:252
	s_mov_b32 s4, exec_lo
	s_waitcnt vmcnt(0)
	ds_write_b64 v68, v[69:70]
	s_waitcnt lgkmcnt(0)
	s_barrier
	buffer_gl0_inv
	v_cmpx_ne_u32_e32 31, v0
	s_cbranch_execz .LBB95_139
; %bb.136:
	v_mov_b32_e32 v66, 0
	v_mov_b32_e32 v69, 0
	s_mov_b32 s5, 0
	.p2align	6
.LBB95_137:                             ; =>This Inner Loop Header: Depth=1
	s_clause 0x1
	buffer_load_dword v72, v67, s[0:3], 0 offen offset:4
	buffer_load_dword v73, v67, s[0:3], 0 offen
	ds_read_b64 v[70:71], v68
	v_add_nc_u32_e32 v65, 1, v65
	v_add_nc_u32_e32 v68, 8, v68
	;; [unrolled: 1-line block ×3, first 2 shown]
	v_cmp_lt_u32_e32 vcc_lo, 29, v65
	s_or_b32 s5, vcc_lo, s5
	s_waitcnt vmcnt(1) lgkmcnt(0)
	v_mul_f32_e32 v74, v71, v72
	v_mul_f32_e32 v72, v70, v72
	s_waitcnt vmcnt(0)
	v_fma_f32 v70, v70, v73, -v74
	v_fmac_f32_e32 v72, v71, v73
	v_add_f32_e32 v69, v69, v70
	v_add_f32_e32 v66, v66, v72
	s_andn2_b32 exec_lo, exec_lo, s5
	s_cbranch_execnz .LBB95_137
; %bb.138:
	s_or_b32 exec_lo, exec_lo, s5
	v_mov_b32_e32 v65, 0
	ds_read_b64 v[67:68], v65 offset:248
	s_waitcnt lgkmcnt(0)
	v_mul_f32_e32 v65, v66, v68
	v_mul_f32_e32 v68, v69, v68
	v_fma_f32 v65, v69, v67, -v65
	v_fmac_f32_e32 v68, v66, v67
	buffer_store_dword v65, off, s[0:3], 0 offset:248
	buffer_store_dword v68, off, s[0:3], 0 offset:252
.LBB95_139:
	s_or_b32 exec_lo, exec_lo, s4
	s_mov_b32 s5, -1
	s_waitcnt_vscnt null, 0x0
	s_barrier
	buffer_gl0_inv
.LBB95_140:
	s_and_b32 vcc_lo, exec_lo, s5
	s_cbranch_vccz .LBB95_142
; %bb.141:
	s_lshl_b64 s[4:5], s[6:7], 2
	v_mov_b32_e32 v65, 0
	s_add_u32 s4, s10, s4
	s_addc_u32 s5, s11, s5
	global_load_dword v65, v65, s[4:5]
	s_waitcnt vmcnt(0)
	v_cmp_ne_u32_e32 vcc_lo, 0, v65
	s_cbranch_vccz .LBB95_143
.LBB95_142:
	s_endpgm
.LBB95_143:
	v_lshl_add_u32 v65, v0, 3, 0x100
	s_mov_b32 s4, exec_lo
	v_cmpx_eq_u32_e32 31, v0
	s_cbranch_execz .LBB95_145
; %bb.144:
	s_clause 0x1
	buffer_load_dword v66, off, s[0:3], 0 offset:240
	buffer_load_dword v67, off, s[0:3], 0 offset:244
	v_mov_b32_e32 v68, 0
	buffer_store_dword v68, off, s[0:3], 0 offset:240
	buffer_store_dword v68, off, s[0:3], 0 offset:244
	s_waitcnt vmcnt(0)
	ds_write_b64 v65, v[66:67]
.LBB95_145:
	s_or_b32 exec_lo, exec_lo, s4
	s_waitcnt lgkmcnt(0)
	s_waitcnt_vscnt null, 0x0
	s_barrier
	buffer_gl0_inv
	s_clause 0x3
	buffer_load_dword v69, off, s[0:3], 0 offset:252
	buffer_load_dword v70, off, s[0:3], 0 offset:248
	;; [unrolled: 1-line block ×4, first 2 shown]
	v_mov_b32_e32 v66, 0
	s_mov_b32 s4, exec_lo
	ds_read_b64 v[67:68], v66 offset:504
	s_waitcnt vmcnt(3) lgkmcnt(0)
	v_mul_f32_e32 v73, v68, v69
	v_mul_f32_e32 v69, v67, v69
	s_waitcnt vmcnt(2)
	v_fma_f32 v67, v67, v70, -v73
	v_fmac_f32_e32 v69, v68, v70
	v_add_f32_e32 v67, 0, v67
	v_add_f32_e32 v68, 0, v69
	s_waitcnt vmcnt(1)
	v_sub_f32_e32 v67, v71, v67
	s_waitcnt vmcnt(0)
	v_sub_f32_e32 v68, v72, v68
	buffer_store_dword v67, off, s[0:3], 0 offset:240
	buffer_store_dword v68, off, s[0:3], 0 offset:244
	v_cmpx_lt_u32_e32 29, v0
	s_cbranch_execz .LBB95_147
; %bb.146:
	s_clause 0x1
	buffer_load_dword v67, off, s[0:3], 0 offset:232
	buffer_load_dword v68, off, s[0:3], 0 offset:236
	buffer_store_dword v66, off, s[0:3], 0 offset:232
	buffer_store_dword v66, off, s[0:3], 0 offset:236
	s_waitcnt vmcnt(0)
	ds_write_b64 v65, v[67:68]
.LBB95_147:
	s_or_b32 exec_lo, exec_lo, s4
	s_waitcnt lgkmcnt(0)
	s_waitcnt_vscnt null, 0x0
	s_barrier
	buffer_gl0_inv
	s_clause 0x5
	buffer_load_dword v70, off, s[0:3], 0 offset:244
	buffer_load_dword v71, off, s[0:3], 0 offset:252
	;; [unrolled: 1-line block ×6, first 2 shown]
	ds_read_b128 v[66:69], v66 offset:496
	s_mov_b32 s4, exec_lo
	s_waitcnt vmcnt(5) lgkmcnt(0)
	v_mul_f32_e32 v76, v67, v70
	v_mul_f32_e32 v70, v66, v70
	s_waitcnt vmcnt(4)
	v_mul_f32_e32 v77, v68, v71
	v_mul_f32_e32 v71, v69, v71
	s_waitcnt vmcnt(3)
	v_fma_f32 v66, v66, v72, -v76
	v_fmac_f32_e32 v70, v67, v72
	s_waitcnt vmcnt(2)
	v_fmac_f32_e32 v77, v69, v73
	v_fma_f32 v67, v68, v73, -v71
	v_add_f32_e32 v66, 0, v66
	v_add_f32_e32 v68, 0, v70
	;; [unrolled: 1-line block ×4, first 2 shown]
	s_waitcnt vmcnt(1)
	v_sub_f32_e32 v66, v74, v66
	s_waitcnt vmcnt(0)
	v_sub_f32_e32 v67, v75, v67
	buffer_store_dword v66, off, s[0:3], 0 offset:232
	buffer_store_dword v67, off, s[0:3], 0 offset:236
	v_cmpx_lt_u32_e32 28, v0
	s_cbranch_execz .LBB95_149
; %bb.148:
	s_clause 0x1
	buffer_load_dword v66, off, s[0:3], 0 offset:224
	buffer_load_dword v67, off, s[0:3], 0 offset:228
	v_mov_b32_e32 v68, 0
	buffer_store_dword v68, off, s[0:3], 0 offset:224
	buffer_store_dword v68, off, s[0:3], 0 offset:228
	s_waitcnt vmcnt(0)
	ds_write_b64 v65, v[66:67]
.LBB95_149:
	s_or_b32 exec_lo, exec_lo, s4
	s_waitcnt lgkmcnt(0)
	s_waitcnt_vscnt null, 0x0
	s_barrier
	buffer_gl0_inv
	s_clause 0x7
	buffer_load_dword v73, off, s[0:3], 0 offset:236
	buffer_load_dword v74, off, s[0:3], 0 offset:244
	;; [unrolled: 1-line block ×8, first 2 shown]
	v_mov_b32_e32 v66, 0
	ds_read2_b64 v[67:70], v66 offset0:61 offset1:62
	ds_read_b64 v[71:72], v66 offset:504
	s_mov_b32 s4, exec_lo
	s_waitcnt vmcnt(7) lgkmcnt(1)
	v_mul_f32_e32 v81, v68, v73
	v_mul_f32_e32 v73, v67, v73
	s_waitcnt vmcnt(6)
	v_mul_f32_e32 v82, v69, v74
	v_mul_f32_e32 v74, v70, v74
	s_waitcnt vmcnt(5) lgkmcnt(0)
	v_mul_f32_e32 v83, v71, v75
	s_waitcnt vmcnt(4)
	v_fma_f32 v67, v67, v76, -v81
	v_fmac_f32_e32 v73, v68, v76
	v_mul_f32_e32 v68, v72, v75
	s_waitcnt vmcnt(3)
	v_fma_f32 v69, v69, v77, -v74
	v_fmac_f32_e32 v82, v70, v77
	v_add_f32_e32 v67, 0, v67
	v_add_f32_e32 v70, 0, v73
	s_waitcnt vmcnt(2)
	v_fma_f32 v68, v71, v78, -v68
	v_fmac_f32_e32 v83, v72, v78
	v_add_f32_e32 v67, v67, v69
	v_add_f32_e32 v69, v70, v82
	;; [unrolled: 1-line block ×4, first 2 shown]
	s_waitcnt vmcnt(1)
	v_sub_f32_e32 v67, v79, v67
	s_waitcnt vmcnt(0)
	v_sub_f32_e32 v68, v80, v68
	buffer_store_dword v67, off, s[0:3], 0 offset:224
	buffer_store_dword v68, off, s[0:3], 0 offset:228
	v_cmpx_lt_u32_e32 27, v0
	s_cbranch_execz .LBB95_151
; %bb.150:
	s_clause 0x1
	buffer_load_dword v67, off, s[0:3], 0 offset:216
	buffer_load_dword v68, off, s[0:3], 0 offset:220
	buffer_store_dword v66, off, s[0:3], 0 offset:216
	buffer_store_dword v66, off, s[0:3], 0 offset:220
	s_waitcnt vmcnt(0)
	ds_write_b64 v65, v[67:68]
.LBB95_151:
	s_or_b32 exec_lo, exec_lo, s4
	s_waitcnt lgkmcnt(0)
	s_waitcnt_vscnt null, 0x0
	s_barrier
	buffer_gl0_inv
	s_clause 0x9
	buffer_load_dword v75, off, s[0:3], 0 offset:228
	buffer_load_dword v76, off, s[0:3], 0 offset:236
	;; [unrolled: 1-line block ×10, first 2 shown]
	ds_read_b128 v[67:70], v66 offset:480
	ds_read_b128 v[71:74], v66 offset:496
	s_mov_b32 s4, exec_lo
	s_waitcnt vmcnt(9) lgkmcnt(1)
	v_mul_f32_e32 v66, v67, v75
	v_mul_f32_e32 v75, v68, v75
	s_waitcnt vmcnt(8)
	v_mul_f32_e32 v85, v69, v76
	v_mul_f32_e32 v76, v70, v76
	s_waitcnt vmcnt(7) lgkmcnt(0)
	v_mul_f32_e32 v86, v71, v77
	s_waitcnt vmcnt(5)
	v_fmac_f32_e32 v66, v68, v79
	v_fma_f32 v67, v67, v79, -v75
	v_mul_f32_e32 v68, v72, v77
	s_waitcnt vmcnt(4)
	v_fma_f32 v69, v69, v80, -v76
	v_fmac_f32_e32 v85, v70, v80
	v_add_f32_e32 v66, 0, v66
	v_add_f32_e32 v67, 0, v67
	v_mul_f32_e32 v70, v74, v78
	s_waitcnt vmcnt(3)
	v_fma_f32 v68, v71, v81, -v68
	v_mul_f32_e32 v87, v73, v78
	v_fmac_f32_e32 v86, v72, v81
	v_add_f32_e32 v67, v67, v69
	v_add_f32_e32 v66, v66, v85
	s_waitcnt vmcnt(2)
	v_fma_f32 v69, v73, v82, -v70
	v_fmac_f32_e32 v87, v74, v82
	v_add_f32_e32 v67, v67, v68
	v_add_f32_e32 v66, v66, v86
	;; [unrolled: 1-line block ×4, first 2 shown]
	s_waitcnt vmcnt(1)
	v_sub_f32_e32 v67, v83, v67
	s_waitcnt vmcnt(0)
	v_sub_f32_e32 v66, v84, v66
	buffer_store_dword v67, off, s[0:3], 0 offset:216
	buffer_store_dword v66, off, s[0:3], 0 offset:220
	v_cmpx_lt_u32_e32 26, v0
	s_cbranch_execz .LBB95_153
; %bb.152:
	s_clause 0x1
	buffer_load_dword v66, off, s[0:3], 0 offset:208
	buffer_load_dword v67, off, s[0:3], 0 offset:212
	v_mov_b32_e32 v68, 0
	buffer_store_dword v68, off, s[0:3], 0 offset:208
	buffer_store_dword v68, off, s[0:3], 0 offset:212
	s_waitcnt vmcnt(0)
	ds_write_b64 v65, v[66:67]
.LBB95_153:
	s_or_b32 exec_lo, exec_lo, s4
	s_waitcnt lgkmcnt(0)
	s_waitcnt_vscnt null, 0x0
	s_barrier
	buffer_gl0_inv
	s_clause 0xb
	buffer_load_dword v77, off, s[0:3], 0 offset:220
	buffer_load_dword v78, off, s[0:3], 0 offset:228
	;; [unrolled: 1-line block ×12, first 2 shown]
	v_mov_b32_e32 v66, 0
	ds_read2_b64 v[67:70], v66 offset0:59 offset1:60
	ds_read2_b64 v[71:74], v66 offset0:61 offset1:62
	ds_read_b64 v[75:76], v66 offset:504
	s_mov_b32 s4, exec_lo
	s_waitcnt vmcnt(11) lgkmcnt(2)
	v_mul_f32_e32 v89, v67, v77
	v_mul_f32_e32 v77, v68, v77
	s_waitcnt vmcnt(10)
	v_mul_f32_e32 v90, v69, v78
	v_mul_f32_e32 v78, v70, v78
	s_waitcnt vmcnt(9) lgkmcnt(1)
	v_mul_f32_e32 v91, v71, v79
	s_waitcnt vmcnt(6)
	v_fmac_f32_e32 v89, v68, v82
	v_fma_f32 v67, v67, v82, -v77
	v_mul_f32_e32 v68, v72, v79
	s_waitcnt vmcnt(5)
	v_fma_f32 v69, v69, v83, -v78
	v_fmac_f32_e32 v90, v70, v83
	v_add_f32_e32 v70, 0, v89
	v_add_f32_e32 v67, 0, v67
	v_mul_f32_e32 v77, v74, v80
	s_waitcnt vmcnt(4)
	v_fma_f32 v68, v71, v84, -v68
	v_mul_f32_e32 v92, v73, v80
	v_fmac_f32_e32 v91, v72, v84
	v_add_f32_e32 v67, v67, v69
	v_add_f32_e32 v69, v70, v90
	s_waitcnt lgkmcnt(0)
	v_mul_f32_e32 v70, v76, v81
	s_waitcnt vmcnt(3)
	v_fma_f32 v71, v73, v85, -v77
	v_mul_f32_e32 v93, v75, v81
	v_add_f32_e32 v67, v67, v68
	v_fmac_f32_e32 v92, v74, v85
	v_add_f32_e32 v68, v69, v91
	s_waitcnt vmcnt(2)
	v_fma_f32 v69, v75, v86, -v70
	v_fmac_f32_e32 v93, v76, v86
	v_add_f32_e32 v67, v67, v71
	v_add_f32_e32 v68, v68, v92
	;; [unrolled: 1-line block ×4, first 2 shown]
	s_waitcnt vmcnt(1)
	v_sub_f32_e32 v67, v87, v67
	s_waitcnt vmcnt(0)
	v_sub_f32_e32 v68, v88, v68
	buffer_store_dword v67, off, s[0:3], 0 offset:208
	buffer_store_dword v68, off, s[0:3], 0 offset:212
	v_cmpx_lt_u32_e32 25, v0
	s_cbranch_execz .LBB95_155
; %bb.154:
	s_clause 0x1
	buffer_load_dword v67, off, s[0:3], 0 offset:200
	buffer_load_dword v68, off, s[0:3], 0 offset:204
	buffer_store_dword v66, off, s[0:3], 0 offset:200
	buffer_store_dword v66, off, s[0:3], 0 offset:204
	s_waitcnt vmcnt(0)
	ds_write_b64 v65, v[67:68]
.LBB95_155:
	s_or_b32 exec_lo, exec_lo, s4
	s_waitcnt lgkmcnt(0)
	s_waitcnt_vscnt null, 0x0
	s_barrier
	buffer_gl0_inv
	s_clause 0xd
	buffer_load_dword v79, off, s[0:3], 0 offset:212
	buffer_load_dword v80, off, s[0:3], 0 offset:220
	;; [unrolled: 1-line block ×14, first 2 shown]
	ds_read_b128 v[67:70], v66 offset:464
	ds_read_b128 v[71:74], v66 offset:480
	;; [unrolled: 1-line block ×3, first 2 shown]
	s_mov_b32 s4, exec_lo
	s_waitcnt vmcnt(13) lgkmcnt(2)
	v_mul_f32_e32 v66, v67, v79
	v_mul_f32_e32 v79, v68, v79
	s_waitcnt vmcnt(12)
	v_mul_f32_e32 v93, v69, v80
	v_mul_f32_e32 v80, v70, v80
	s_waitcnt vmcnt(11) lgkmcnt(1)
	v_mul_f32_e32 v94, v71, v81
	s_waitcnt vmcnt(10)
	v_mul_f32_e32 v95, v73, v82
	s_waitcnt vmcnt(7)
	v_fma_f32 v67, v67, v85, -v79
	v_fmac_f32_e32 v66, v68, v85
	v_mul_f32_e32 v68, v72, v81
	s_waitcnt vmcnt(6)
	v_fma_f32 v69, v69, v86, -v80
	v_fmac_f32_e32 v93, v70, v86
	v_add_f32_e32 v67, 0, v67
	v_add_f32_e32 v66, 0, v66
	v_mul_f32_e32 v70, v74, v82
	s_waitcnt vmcnt(5)
	v_fma_f32 v68, v71, v87, -v68
	v_fmac_f32_e32 v94, v72, v87
	v_add_f32_e32 v67, v67, v69
	v_add_f32_e32 v66, v66, v93
	s_waitcnt lgkmcnt(0)
	v_mul_f32_e32 v69, v76, v83
	s_waitcnt vmcnt(4)
	v_fma_f32 v70, v73, v88, -v70
	v_mul_f32_e32 v96, v75, v83
	v_add_f32_e32 v67, v67, v68
	v_fmac_f32_e32 v95, v74, v88
	v_add_f32_e32 v66, v66, v94
	v_mul_f32_e32 v68, v78, v84
	s_waitcnt vmcnt(3)
	v_fma_f32 v69, v75, v89, -v69
	v_add_f32_e32 v67, v67, v70
	v_mul_f32_e32 v97, v77, v84
	v_fmac_f32_e32 v96, v76, v89
	v_add_f32_e32 v66, v66, v95
	s_waitcnt vmcnt(2)
	v_fma_f32 v68, v77, v90, -v68
	v_add_f32_e32 v67, v67, v69
	v_fmac_f32_e32 v97, v78, v90
	v_add_f32_e32 v66, v66, v96
	v_add_f32_e32 v67, v67, v68
	v_add_f32_e32 v66, v66, v97
	s_waitcnt vmcnt(1)
	v_sub_f32_e32 v67, v91, v67
	s_waitcnt vmcnt(0)
	v_sub_f32_e32 v66, v92, v66
	buffer_store_dword v67, off, s[0:3], 0 offset:200
	buffer_store_dword v66, off, s[0:3], 0 offset:204
	v_cmpx_lt_u32_e32 24, v0
	s_cbranch_execz .LBB95_157
; %bb.156:
	s_clause 0x1
	buffer_load_dword v66, off, s[0:3], 0 offset:192
	buffer_load_dword v67, off, s[0:3], 0 offset:196
	v_mov_b32_e32 v68, 0
	buffer_store_dword v68, off, s[0:3], 0 offset:192
	buffer_store_dword v68, off, s[0:3], 0 offset:196
	s_waitcnt vmcnt(0)
	ds_write_b64 v65, v[66:67]
.LBB95_157:
	s_or_b32 exec_lo, exec_lo, s4
	s_waitcnt lgkmcnt(0)
	s_waitcnt_vscnt null, 0x0
	s_barrier
	buffer_gl0_inv
	s_clause 0xf
	buffer_load_dword v81, off, s[0:3], 0 offset:204
	buffer_load_dword v82, off, s[0:3], 0 offset:212
	;; [unrolled: 1-line block ×16, first 2 shown]
	v_mov_b32_e32 v66, 0
	ds_read2_b64 v[67:70], v66 offset0:57 offset1:58
	ds_read2_b64 v[71:74], v66 offset0:59 offset1:60
	;; [unrolled: 1-line block ×3, first 2 shown]
	ds_read_b64 v[79:80], v66 offset:504
	s_mov_b32 s4, exec_lo
	s_waitcnt vmcnt(15) lgkmcnt(3)
	v_mul_f32_e32 v97, v67, v81
	v_mul_f32_e32 v81, v68, v81
	s_waitcnt vmcnt(14)
	v_mul_f32_e32 v98, v69, v82
	v_mul_f32_e32 v82, v70, v82
	s_waitcnt vmcnt(13) lgkmcnt(2)
	v_mul_f32_e32 v99, v71, v83
	s_waitcnt vmcnt(12)
	v_mul_f32_e32 v100, v73, v84
	s_waitcnt vmcnt(11) lgkmcnt(1)
	v_mul_f32_e32 v101, v75, v85
	s_waitcnt vmcnt(8)
	v_fma_f32 v67, v67, v88, -v81
	v_fmac_f32_e32 v97, v68, v88
	v_mul_f32_e32 v68, v72, v83
	s_waitcnt vmcnt(7)
	v_fma_f32 v69, v69, v89, -v82
	v_fmac_f32_e32 v98, v70, v89
	v_add_f32_e32 v67, 0, v67
	v_add_f32_e32 v70, 0, v97
	v_mul_f32_e32 v81, v74, v84
	s_waitcnt vmcnt(6)
	v_fma_f32 v68, v71, v90, -v68
	v_fmac_f32_e32 v99, v72, v90
	v_add_f32_e32 v67, v67, v69
	v_add_f32_e32 v69, v70, v98
	;; [unrolled: 6-line block ×3, first 2 shown]
	v_mul_f32_e32 v69, v78, v86
	s_waitcnt vmcnt(4)
	v_fma_f32 v70, v75, v92, -v70
	v_mul_f32_e32 v102, v77, v86
	v_add_f32_e32 v67, v67, v71
	v_fmac_f32_e32 v101, v76, v92
	v_add_f32_e32 v68, v68, v100
	s_waitcnt lgkmcnt(0)
	v_mul_f32_e32 v71, v80, v87
	s_waitcnt vmcnt(3)
	v_fma_f32 v69, v77, v93, -v69
	v_add_f32_e32 v67, v67, v70
	v_mul_f32_e32 v103, v79, v87
	v_fmac_f32_e32 v102, v78, v93
	v_add_f32_e32 v68, v68, v101
	s_waitcnt vmcnt(2)
	v_fma_f32 v70, v79, v94, -v71
	v_add_f32_e32 v67, v67, v69
	v_fmac_f32_e32 v103, v80, v94
	v_add_f32_e32 v68, v68, v102
	v_add_f32_e32 v67, v67, v70
	;; [unrolled: 1-line block ×3, first 2 shown]
	s_waitcnt vmcnt(1)
	v_sub_f32_e32 v67, v95, v67
	s_waitcnt vmcnt(0)
	v_sub_f32_e32 v68, v96, v68
	buffer_store_dword v67, off, s[0:3], 0 offset:192
	buffer_store_dword v68, off, s[0:3], 0 offset:196
	v_cmpx_lt_u32_e32 23, v0
	s_cbranch_execz .LBB95_159
; %bb.158:
	s_clause 0x1
	buffer_load_dword v67, off, s[0:3], 0 offset:184
	buffer_load_dword v68, off, s[0:3], 0 offset:188
	buffer_store_dword v66, off, s[0:3], 0 offset:184
	buffer_store_dword v66, off, s[0:3], 0 offset:188
	s_waitcnt vmcnt(0)
	ds_write_b64 v65, v[67:68]
.LBB95_159:
	s_or_b32 exec_lo, exec_lo, s4
	s_waitcnt lgkmcnt(0)
	s_waitcnt_vscnt null, 0x0
	s_barrier
	buffer_gl0_inv
	s_clause 0x11
	buffer_load_dword v83, off, s[0:3], 0 offset:196
	buffer_load_dword v84, off, s[0:3], 0 offset:204
	buffer_load_dword v85, off, s[0:3], 0 offset:212
	buffer_load_dword v86, off, s[0:3], 0 offset:220
	buffer_load_dword v87, off, s[0:3], 0 offset:228
	buffer_load_dword v88, off, s[0:3], 0 offset:236
	buffer_load_dword v89, off, s[0:3], 0 offset:244
	buffer_load_dword v90, off, s[0:3], 0 offset:252
	buffer_load_dword v91, off, s[0:3], 0 offset:192
	buffer_load_dword v92, off, s[0:3], 0 offset:200
	buffer_load_dword v93, off, s[0:3], 0 offset:208
	buffer_load_dword v94, off, s[0:3], 0 offset:216
	buffer_load_dword v95, off, s[0:3], 0 offset:224
	buffer_load_dword v96, off, s[0:3], 0 offset:232
	buffer_load_dword v97, off, s[0:3], 0 offset:240
	buffer_load_dword v98, off, s[0:3], 0 offset:248
	buffer_load_dword v99, off, s[0:3], 0 offset:184
	buffer_load_dword v100, off, s[0:3], 0 offset:188
	ds_read_b128 v[67:70], v66 offset:448
	ds_read_b128 v[71:74], v66 offset:464
	;; [unrolled: 1-line block ×4, first 2 shown]
	s_mov_b32 s4, exec_lo
	s_waitcnt vmcnt(17) lgkmcnt(3)
	v_mul_f32_e32 v66, v67, v83
	v_mul_f32_e32 v83, v68, v83
	s_waitcnt vmcnt(16)
	v_mul_f32_e32 v101, v69, v84
	v_mul_f32_e32 v84, v70, v84
	s_waitcnt vmcnt(15) lgkmcnt(2)
	v_mul_f32_e32 v102, v71, v85
	s_waitcnt vmcnt(14)
	v_mul_f32_e32 v103, v73, v86
	s_waitcnt vmcnt(13) lgkmcnt(1)
	v_mul_f32_e32 v104, v75, v87
	s_waitcnt vmcnt(12)
	v_mul_f32_e32 v105, v77, v88
	s_waitcnt vmcnt(9)
	v_fma_f32 v67, v67, v91, -v83
	v_fmac_f32_e32 v66, v68, v91
	v_mul_f32_e32 v68, v72, v85
	s_waitcnt vmcnt(8)
	v_fma_f32 v69, v69, v92, -v84
	v_fmac_f32_e32 v101, v70, v92
	v_add_f32_e32 v67, 0, v67
	v_add_f32_e32 v66, 0, v66
	v_mul_f32_e32 v70, v74, v86
	s_waitcnt vmcnt(7)
	v_fma_f32 v68, v71, v93, -v68
	v_fmac_f32_e32 v102, v72, v93
	v_add_f32_e32 v67, v67, v69
	v_add_f32_e32 v66, v66, v101
	;; [unrolled: 6-line block ×4, first 2 shown]
	s_waitcnt lgkmcnt(0)
	v_mul_f32_e32 v70, v80, v89
	s_waitcnt vmcnt(4)
	v_fma_f32 v68, v77, v96, -v68
	v_mul_f32_e32 v106, v79, v89
	v_add_f32_e32 v67, v67, v69
	v_fmac_f32_e32 v105, v78, v96
	v_add_f32_e32 v66, v66, v104
	v_mul_f32_e32 v69, v82, v90
	s_waitcnt vmcnt(3)
	v_fma_f32 v70, v79, v97, -v70
	v_add_f32_e32 v67, v67, v68
	v_mul_f32_e32 v107, v81, v90
	v_fmac_f32_e32 v106, v80, v97
	v_add_f32_e32 v66, v66, v105
	s_waitcnt vmcnt(2)
	v_fma_f32 v68, v81, v98, -v69
	v_add_f32_e32 v67, v67, v70
	v_fmac_f32_e32 v107, v82, v98
	v_add_f32_e32 v66, v66, v106
	v_add_f32_e32 v67, v67, v68
	;; [unrolled: 1-line block ×3, first 2 shown]
	s_waitcnt vmcnt(1)
	v_sub_f32_e32 v67, v99, v67
	s_waitcnt vmcnt(0)
	v_sub_f32_e32 v66, v100, v66
	buffer_store_dword v67, off, s[0:3], 0 offset:184
	buffer_store_dword v66, off, s[0:3], 0 offset:188
	v_cmpx_lt_u32_e32 22, v0
	s_cbranch_execz .LBB95_161
; %bb.160:
	s_clause 0x1
	buffer_load_dword v66, off, s[0:3], 0 offset:176
	buffer_load_dword v67, off, s[0:3], 0 offset:180
	v_mov_b32_e32 v68, 0
	buffer_store_dword v68, off, s[0:3], 0 offset:176
	buffer_store_dword v68, off, s[0:3], 0 offset:180
	s_waitcnt vmcnt(0)
	ds_write_b64 v65, v[66:67]
.LBB95_161:
	s_or_b32 exec_lo, exec_lo, s4
	s_waitcnt lgkmcnt(0)
	s_waitcnt_vscnt null, 0x0
	s_barrier
	buffer_gl0_inv
	s_clause 0x13
	buffer_load_dword v85, off, s[0:3], 0 offset:188
	buffer_load_dword v86, off, s[0:3], 0 offset:196
	;; [unrolled: 1-line block ×20, first 2 shown]
	v_mov_b32_e32 v66, 0
	ds_read2_b64 v[67:70], v66 offset0:55 offset1:56
	ds_read2_b64 v[71:74], v66 offset0:57 offset1:58
	;; [unrolled: 1-line block ×4, first 2 shown]
	ds_read_b64 v[83:84], v66 offset:504
	s_mov_b32 s4, exec_lo
	s_waitcnt vmcnt(19) lgkmcnt(4)
	v_mul_f32_e32 v105, v67, v85
	v_mul_f32_e32 v85, v68, v85
	s_waitcnt vmcnt(18)
	v_mul_f32_e32 v106, v69, v86
	v_mul_f32_e32 v86, v70, v86
	s_waitcnt vmcnt(17) lgkmcnt(3)
	v_mul_f32_e32 v107, v71, v87
	s_waitcnt vmcnt(16)
	v_mul_f32_e32 v108, v73, v88
	s_waitcnt vmcnt(15) lgkmcnt(2)
	v_mul_f32_e32 v109, v75, v89
	s_waitcnt vmcnt(14)
	;; [unrolled: 4-line block ×3, first 2 shown]
	v_fma_f32 v67, v67, v94, -v85
	v_fmac_f32_e32 v105, v68, v94
	v_mul_f32_e32 v68, v72, v87
	s_waitcnt vmcnt(9)
	v_fma_f32 v69, v69, v95, -v86
	v_fmac_f32_e32 v106, v70, v95
	v_add_f32_e32 v67, 0, v67
	v_add_f32_e32 v70, 0, v105
	v_mul_f32_e32 v85, v74, v88
	s_waitcnt vmcnt(8)
	v_fma_f32 v68, v71, v96, -v68
	v_fmac_f32_e32 v107, v72, v96
	v_add_f32_e32 v67, v67, v69
	v_add_f32_e32 v69, v70, v106
	;; [unrolled: 6-line block ×5, first 2 shown]
	v_mul_f32_e32 v70, v82, v92
	s_waitcnt vmcnt(4)
	v_fma_f32 v71, v79, v100, -v71
	v_mul_f32_e32 v112, v81, v92
	v_add_f32_e32 v67, v67, v69
	v_fmac_f32_e32 v111, v80, v100
	v_add_f32_e32 v68, v68, v110
	s_waitcnt lgkmcnt(0)
	v_mul_f32_e32 v69, v84, v93
	s_waitcnt vmcnt(3)
	v_fma_f32 v70, v81, v101, -v70
	v_add_f32_e32 v67, v67, v71
	v_mul_f32_e32 v113, v83, v93
	v_fmac_f32_e32 v112, v82, v101
	v_add_f32_e32 v68, v68, v111
	s_waitcnt vmcnt(2)
	v_fma_f32 v69, v83, v102, -v69
	v_add_f32_e32 v67, v67, v70
	v_fmac_f32_e32 v113, v84, v102
	v_add_f32_e32 v68, v68, v112
	v_add_f32_e32 v67, v67, v69
	v_add_f32_e32 v68, v68, v113
	s_waitcnt vmcnt(1)
	v_sub_f32_e32 v67, v103, v67
	s_waitcnt vmcnt(0)
	v_sub_f32_e32 v68, v104, v68
	buffer_store_dword v67, off, s[0:3], 0 offset:176
	buffer_store_dword v68, off, s[0:3], 0 offset:180
	v_cmpx_lt_u32_e32 21, v0
	s_cbranch_execz .LBB95_163
; %bb.162:
	s_clause 0x1
	buffer_load_dword v67, off, s[0:3], 0 offset:168
	buffer_load_dword v68, off, s[0:3], 0 offset:172
	buffer_store_dword v66, off, s[0:3], 0 offset:168
	buffer_store_dword v66, off, s[0:3], 0 offset:172
	s_waitcnt vmcnt(0)
	ds_write_b64 v65, v[67:68]
.LBB95_163:
	s_or_b32 exec_lo, exec_lo, s4
	s_waitcnt lgkmcnt(0)
	s_waitcnt_vscnt null, 0x0
	s_barrier
	buffer_gl0_inv
	s_clause 0x15
	buffer_load_dword v87, off, s[0:3], 0 offset:180
	buffer_load_dword v88, off, s[0:3], 0 offset:188
	;; [unrolled: 1-line block ×22, first 2 shown]
	ds_read_b128 v[67:70], v66 offset:432
	ds_read_b128 v[71:74], v66 offset:448
	;; [unrolled: 1-line block ×5, first 2 shown]
	s_mov_b32 s4, exec_lo
	s_waitcnt vmcnt(21) lgkmcnt(4)
	v_mul_f32_e32 v66, v67, v87
	v_mul_f32_e32 v87, v68, v87
	s_waitcnt vmcnt(20)
	v_mul_f32_e32 v109, v69, v88
	v_mul_f32_e32 v88, v70, v88
	s_waitcnt vmcnt(19) lgkmcnt(3)
	v_mul_f32_e32 v110, v71, v89
	s_waitcnt vmcnt(18)
	v_mul_f32_e32 v111, v73, v90
	s_waitcnt vmcnt(17) lgkmcnt(2)
	v_mul_f32_e32 v112, v75, v91
	s_waitcnt vmcnt(16)
	;; [unrolled: 4-line block ×3, first 2 shown]
	v_mul_f32_e32 v115, v81, v94
	s_waitcnt vmcnt(11)
	v_fma_f32 v67, v67, v97, -v87
	v_fmac_f32_e32 v66, v68, v97
	v_mul_f32_e32 v68, v72, v89
	s_waitcnt vmcnt(10)
	v_fma_f32 v69, v69, v98, -v88
	v_fmac_f32_e32 v109, v70, v98
	v_add_f32_e32 v67, 0, v67
	v_add_f32_e32 v66, 0, v66
	v_mul_f32_e32 v70, v74, v90
	s_waitcnt vmcnt(9)
	v_fma_f32 v68, v71, v99, -v68
	v_fmac_f32_e32 v110, v72, v99
	v_add_f32_e32 v67, v67, v69
	v_add_f32_e32 v66, v66, v109
	;; [unrolled: 6-line block ×6, first 2 shown]
	s_waitcnt lgkmcnt(0)
	v_mul_f32_e32 v68, v84, v95
	s_waitcnt vmcnt(4)
	v_fma_f32 v69, v81, v104, -v69
	v_mul_f32_e32 v116, v83, v95
	v_add_f32_e32 v67, v67, v70
	v_fmac_f32_e32 v115, v82, v104
	v_add_f32_e32 v66, v66, v114
	v_mul_f32_e32 v70, v86, v96
	s_waitcnt vmcnt(3)
	v_fma_f32 v68, v83, v105, -v68
	v_add_f32_e32 v67, v67, v69
	v_mul_f32_e32 v117, v85, v96
	v_fmac_f32_e32 v116, v84, v105
	v_add_f32_e32 v66, v66, v115
	s_waitcnt vmcnt(2)
	v_fma_f32 v69, v85, v106, -v70
	v_add_f32_e32 v67, v67, v68
	v_fmac_f32_e32 v117, v86, v106
	v_add_f32_e32 v66, v66, v116
	v_add_f32_e32 v67, v67, v69
	;; [unrolled: 1-line block ×3, first 2 shown]
	s_waitcnt vmcnt(1)
	v_sub_f32_e32 v67, v107, v67
	s_waitcnt vmcnt(0)
	v_sub_f32_e32 v66, v108, v66
	buffer_store_dword v67, off, s[0:3], 0 offset:168
	buffer_store_dword v66, off, s[0:3], 0 offset:172
	v_cmpx_lt_u32_e32 20, v0
	s_cbranch_execz .LBB95_165
; %bb.164:
	s_clause 0x1
	buffer_load_dword v66, off, s[0:3], 0 offset:160
	buffer_load_dword v67, off, s[0:3], 0 offset:164
	v_mov_b32_e32 v68, 0
	buffer_store_dword v68, off, s[0:3], 0 offset:160
	buffer_store_dword v68, off, s[0:3], 0 offset:164
	s_waitcnt vmcnt(0)
	ds_write_b64 v65, v[66:67]
.LBB95_165:
	s_or_b32 exec_lo, exec_lo, s4
	s_waitcnt lgkmcnt(0)
	s_waitcnt_vscnt null, 0x0
	s_barrier
	buffer_gl0_inv
	s_clause 0x17
	buffer_load_dword v89, off, s[0:3], 0 offset:172
	buffer_load_dword v90, off, s[0:3], 0 offset:180
	;; [unrolled: 1-line block ×24, first 2 shown]
	v_mov_b32_e32 v66, 0
	ds_read2_b64 v[67:70], v66 offset0:53 offset1:54
	ds_read2_b64 v[71:74], v66 offset0:55 offset1:56
	;; [unrolled: 1-line block ×5, first 2 shown]
	ds_read_b64 v[87:88], v66 offset:504
	s_mov_b32 s4, exec_lo
	s_waitcnt vmcnt(23) lgkmcnt(5)
	v_mul_f32_e32 v113, v67, v89
	v_mul_f32_e32 v89, v68, v89
	s_waitcnt vmcnt(22)
	v_mul_f32_e32 v114, v69, v90
	v_mul_f32_e32 v90, v70, v90
	s_waitcnt vmcnt(21) lgkmcnt(4)
	v_mul_f32_e32 v115, v71, v91
	s_waitcnt vmcnt(20)
	v_mul_f32_e32 v116, v73, v92
	s_waitcnt vmcnt(19) lgkmcnt(3)
	v_mul_f32_e32 v117, v75, v93
	s_waitcnt vmcnt(18)
	;; [unrolled: 4-line block ×4, first 2 shown]
	v_fma_f32 v67, v67, v100, -v89
	v_fmac_f32_e32 v113, v68, v100
	v_mul_f32_e32 v68, v72, v91
	s_waitcnt vmcnt(11)
	v_fma_f32 v69, v69, v101, -v90
	v_fmac_f32_e32 v114, v70, v101
	v_add_f32_e32 v67, 0, v67
	v_add_f32_e32 v70, 0, v113
	v_mul_f32_e32 v89, v74, v92
	s_waitcnt vmcnt(10)
	v_fma_f32 v68, v71, v102, -v68
	v_fmac_f32_e32 v115, v72, v102
	v_add_f32_e32 v67, v67, v69
	v_add_f32_e32 v69, v70, v114
	;; [unrolled: 6-line block ×7, first 2 shown]
	v_mul_f32_e32 v71, v86, v98
	s_waitcnt vmcnt(4)
	v_fma_f32 v69, v83, v108, -v69
	v_mul_f32_e32 v122, v85, v98
	v_add_f32_e32 v67, v67, v70
	v_fmac_f32_e32 v121, v84, v108
	v_add_f32_e32 v68, v68, v120
	s_waitcnt lgkmcnt(0)
	v_mul_f32_e32 v70, v88, v99
	s_waitcnt vmcnt(3)
	v_fma_f32 v71, v85, v109, -v71
	v_add_f32_e32 v67, v67, v69
	v_mul_f32_e32 v123, v87, v99
	v_fmac_f32_e32 v122, v86, v109
	v_add_f32_e32 v68, v68, v121
	s_waitcnt vmcnt(2)
	v_fma_f32 v69, v87, v110, -v70
	v_add_f32_e32 v67, v67, v71
	v_fmac_f32_e32 v123, v88, v110
	v_add_f32_e32 v68, v68, v122
	v_add_f32_e32 v67, v67, v69
	;; [unrolled: 1-line block ×3, first 2 shown]
	s_waitcnt vmcnt(1)
	v_sub_f32_e32 v67, v111, v67
	s_waitcnt vmcnt(0)
	v_sub_f32_e32 v68, v112, v68
	buffer_store_dword v67, off, s[0:3], 0 offset:160
	buffer_store_dword v68, off, s[0:3], 0 offset:164
	v_cmpx_lt_u32_e32 19, v0
	s_cbranch_execz .LBB95_167
; %bb.166:
	s_clause 0x1
	buffer_load_dword v67, off, s[0:3], 0 offset:152
	buffer_load_dword v68, off, s[0:3], 0 offset:156
	buffer_store_dword v66, off, s[0:3], 0 offset:152
	buffer_store_dword v66, off, s[0:3], 0 offset:156
	s_waitcnt vmcnt(0)
	ds_write_b64 v65, v[67:68]
.LBB95_167:
	s_or_b32 exec_lo, exec_lo, s4
	s_waitcnt lgkmcnt(0)
	s_waitcnt_vscnt null, 0x0
	s_barrier
	buffer_gl0_inv
	s_clause 0x19
	buffer_load_dword v91, off, s[0:3], 0 offset:164
	buffer_load_dword v92, off, s[0:3], 0 offset:172
	;; [unrolled: 1-line block ×26, first 2 shown]
	ds_read_b128 v[67:70], v66 offset:416
	ds_read_b128 v[71:74], v66 offset:432
	;; [unrolled: 1-line block ×6, first 2 shown]
	s_mov_b32 s4, exec_lo
	s_waitcnt vmcnt(25) lgkmcnt(5)
	v_mul_f32_e32 v66, v67, v91
	v_mul_f32_e32 v91, v68, v91
	s_waitcnt vmcnt(24)
	v_mul_f32_e32 v117, v69, v92
	v_mul_f32_e32 v92, v70, v92
	s_waitcnt vmcnt(23) lgkmcnt(4)
	v_mul_f32_e32 v118, v71, v93
	s_waitcnt vmcnt(22)
	v_mul_f32_e32 v119, v73, v94
	s_waitcnt vmcnt(21) lgkmcnt(3)
	v_mul_f32_e32 v120, v75, v95
	s_waitcnt vmcnt(20)
	;; [unrolled: 4-line block ×4, first 2 shown]
	v_mul_f32_e32 v125, v85, v100
	s_waitcnt vmcnt(13)
	v_fma_f32 v67, v67, v103, -v91
	v_fmac_f32_e32 v66, v68, v103
	v_mul_f32_e32 v68, v72, v93
	s_waitcnt vmcnt(12)
	v_fma_f32 v69, v69, v104, -v92
	v_fmac_f32_e32 v117, v70, v104
	v_add_f32_e32 v67, 0, v67
	v_add_f32_e32 v66, 0, v66
	v_mul_f32_e32 v70, v74, v94
	s_waitcnt vmcnt(11)
	v_fma_f32 v68, v71, v105, -v68
	v_fmac_f32_e32 v118, v72, v105
	v_add_f32_e32 v67, v67, v69
	v_add_f32_e32 v66, v66, v117
	;; [unrolled: 6-line block ×8, first 2 shown]
	s_waitcnt lgkmcnt(0)
	v_mul_f32_e32 v69, v88, v101
	s_waitcnt vmcnt(4)
	v_fma_f32 v70, v85, v112, -v70
	v_mul_f32_e32 v126, v87, v101
	v_add_f32_e32 v67, v67, v68
	v_fmac_f32_e32 v125, v86, v112
	v_add_f32_e32 v66, v66, v124
	v_mul_f32_e32 v68, v90, v102
	s_waitcnt vmcnt(3)
	v_fma_f32 v69, v87, v113, -v69
	v_add_f32_e32 v67, v67, v70
	v_mul_f32_e32 v127, v89, v102
	v_fmac_f32_e32 v126, v88, v113
	v_add_f32_e32 v66, v66, v125
	s_waitcnt vmcnt(2)
	v_fma_f32 v68, v89, v114, -v68
	v_add_f32_e32 v67, v67, v69
	v_fmac_f32_e32 v127, v90, v114
	v_add_f32_e32 v66, v66, v126
	v_add_f32_e32 v67, v67, v68
	v_add_f32_e32 v66, v66, v127
	s_waitcnt vmcnt(1)
	v_sub_f32_e32 v67, v115, v67
	s_waitcnt vmcnt(0)
	v_sub_f32_e32 v66, v116, v66
	buffer_store_dword v67, off, s[0:3], 0 offset:152
	buffer_store_dword v66, off, s[0:3], 0 offset:156
	v_cmpx_lt_u32_e32 18, v0
	s_cbranch_execz .LBB95_169
; %bb.168:
	s_clause 0x1
	buffer_load_dword v66, off, s[0:3], 0 offset:144
	buffer_load_dword v67, off, s[0:3], 0 offset:148
	v_mov_b32_e32 v68, 0
	buffer_store_dword v68, off, s[0:3], 0 offset:144
	buffer_store_dword v68, off, s[0:3], 0 offset:148
	s_waitcnt vmcnt(0)
	ds_write_b64 v65, v[66:67]
.LBB95_169:
	s_or_b32 exec_lo, exec_lo, s4
	s_waitcnt lgkmcnt(0)
	s_waitcnt_vscnt null, 0x0
	s_barrier
	buffer_gl0_inv
	s_clause 0x1b
	buffer_load_dword v93, off, s[0:3], 0 offset:156
	buffer_load_dword v94, off, s[0:3], 0 offset:164
	;; [unrolled: 1-line block ×28, first 2 shown]
	v_mov_b32_e32 v66, 0
	ds_read2_b64 v[67:70], v66 offset0:51 offset1:52
	ds_read2_b64 v[71:74], v66 offset0:53 offset1:54
	;; [unrolled: 1-line block ×6, first 2 shown]
	ds_read_b64 v[91:92], v66 offset:504
	s_mov_b32 s4, exec_lo
	s_waitcnt vmcnt(27) lgkmcnt(6)
	v_mul_f32_e32 v121, v67, v93
	v_mul_f32_e32 v93, v68, v93
	s_waitcnt vmcnt(26)
	v_mul_f32_e32 v122, v69, v94
	v_mul_f32_e32 v94, v70, v94
	s_waitcnt vmcnt(25) lgkmcnt(5)
	v_mul_f32_e32 v123, v71, v95
	s_waitcnt vmcnt(24)
	v_mul_f32_e32 v124, v73, v96
	s_waitcnt vmcnt(23) lgkmcnt(4)
	v_mul_f32_e32 v125, v75, v97
	s_waitcnt vmcnt(22)
	;; [unrolled: 4-line block ×5, first 2 shown]
	v_fma_f32 v67, v67, v106, -v93
	v_fmac_f32_e32 v121, v68, v106
	v_mul_f32_e32 v68, v72, v95
	s_waitcnt vmcnt(13)
	v_fma_f32 v69, v69, v107, -v94
	v_fmac_f32_e32 v122, v70, v107
	v_add_f32_e32 v67, 0, v67
	v_add_f32_e32 v70, 0, v121
	v_mul_f32_e32 v93, v74, v96
	s_waitcnt vmcnt(12)
	v_fma_f32 v68, v71, v108, -v68
	v_fmac_f32_e32 v123, v72, v108
	v_add_f32_e32 v67, v67, v69
	v_add_f32_e32 v69, v70, v122
	;; [unrolled: 6-line block ×9, first 2 shown]
	v_mul_f32_e32 v69, v90, v104
	s_waitcnt vmcnt(4)
	v_fma_f32 v70, v87, v116, -v70
	v_mul_f32_e32 v132, v89, v104
	v_add_f32_e32 v67, v67, v71
	v_fmac_f32_e32 v131, v88, v116
	v_add_f32_e32 v68, v68, v130
	s_waitcnt lgkmcnt(0)
	v_mul_f32_e32 v71, v92, v105
	s_waitcnt vmcnt(3)
	v_fma_f32 v69, v89, v117, -v69
	v_add_f32_e32 v67, v67, v70
	v_mul_f32_e32 v133, v91, v105
	v_fmac_f32_e32 v132, v90, v117
	v_add_f32_e32 v68, v68, v131
	s_waitcnt vmcnt(2)
	v_fma_f32 v70, v91, v118, -v71
	v_add_f32_e32 v67, v67, v69
	v_fmac_f32_e32 v133, v92, v118
	v_add_f32_e32 v68, v68, v132
	v_add_f32_e32 v67, v67, v70
	;; [unrolled: 1-line block ×3, first 2 shown]
	s_waitcnt vmcnt(1)
	v_sub_f32_e32 v67, v119, v67
	s_waitcnt vmcnt(0)
	v_sub_f32_e32 v68, v120, v68
	buffer_store_dword v67, off, s[0:3], 0 offset:144
	buffer_store_dword v68, off, s[0:3], 0 offset:148
	v_cmpx_lt_u32_e32 17, v0
	s_cbranch_execz .LBB95_171
; %bb.170:
	s_clause 0x1
	buffer_load_dword v67, off, s[0:3], 0 offset:136
	buffer_load_dword v68, off, s[0:3], 0 offset:140
	buffer_store_dword v66, off, s[0:3], 0 offset:136
	buffer_store_dword v66, off, s[0:3], 0 offset:140
	s_waitcnt vmcnt(0)
	ds_write_b64 v65, v[67:68]
.LBB95_171:
	s_or_b32 exec_lo, exec_lo, s4
	s_waitcnt lgkmcnt(0)
	s_waitcnt_vscnt null, 0x0
	s_barrier
	buffer_gl0_inv
	s_clause 0x1d
	buffer_load_dword v95, off, s[0:3], 0 offset:148
	buffer_load_dword v96, off, s[0:3], 0 offset:156
	;; [unrolled: 1-line block ×30, first 2 shown]
	ds_read_b128 v[67:70], v66 offset:400
	ds_read_b128 v[71:74], v66 offset:416
	;; [unrolled: 1-line block ×7, first 2 shown]
	s_mov_b32 s4, exec_lo
	s_waitcnt vmcnt(29) lgkmcnt(6)
	v_mul_f32_e32 v66, v67, v95
	v_mul_f32_e32 v95, v68, v95
	s_waitcnt vmcnt(28)
	v_mul_f32_e32 v125, v69, v96
	v_mul_f32_e32 v96, v70, v96
	s_waitcnt vmcnt(27) lgkmcnt(5)
	v_mul_f32_e32 v126, v71, v97
	s_waitcnt vmcnt(26)
	v_mul_f32_e32 v127, v73, v98
	s_waitcnt vmcnt(25) lgkmcnt(4)
	v_mul_f32_e32 v128, v75, v99
	s_waitcnt vmcnt(24)
	;; [unrolled: 4-line block ×5, first 2 shown]
	v_mul_f32_e32 v135, v89, v106
	s_waitcnt vmcnt(15)
	v_fma_f32 v67, v67, v109, -v95
	v_fmac_f32_e32 v66, v68, v109
	v_mul_f32_e32 v68, v72, v97
	s_waitcnt vmcnt(14)
	v_fma_f32 v69, v69, v110, -v96
	v_fmac_f32_e32 v125, v70, v110
	v_add_f32_e32 v67, 0, v67
	v_add_f32_e32 v66, 0, v66
	v_mul_f32_e32 v70, v74, v98
	s_waitcnt vmcnt(13)
	v_fma_f32 v68, v71, v111, -v68
	v_fmac_f32_e32 v126, v72, v111
	v_add_f32_e32 v67, v67, v69
	v_add_f32_e32 v66, v66, v125
	;; [unrolled: 6-line block ×10, first 2 shown]
	s_waitcnt lgkmcnt(0)
	v_mul_f32_e32 v70, v92, v107
	s_waitcnt vmcnt(4)
	v_fma_f32 v68, v89, v120, -v68
	v_mul_f32_e32 v136, v91, v107
	v_add_f32_e32 v67, v67, v69
	v_fmac_f32_e32 v135, v90, v120
	v_add_f32_e32 v66, v66, v134
	v_mul_f32_e32 v69, v94, v108
	s_waitcnt vmcnt(3)
	v_fma_f32 v70, v91, v121, -v70
	v_add_f32_e32 v67, v67, v68
	v_mul_f32_e32 v137, v93, v108
	v_fmac_f32_e32 v136, v92, v121
	v_add_f32_e32 v66, v66, v135
	s_waitcnt vmcnt(2)
	v_fma_f32 v68, v93, v122, -v69
	v_add_f32_e32 v67, v67, v70
	v_fmac_f32_e32 v137, v94, v122
	v_add_f32_e32 v66, v66, v136
	v_add_f32_e32 v67, v67, v68
	;; [unrolled: 1-line block ×3, first 2 shown]
	s_waitcnt vmcnt(1)
	v_sub_f32_e32 v67, v123, v67
	s_waitcnt vmcnt(0)
	v_sub_f32_e32 v66, v124, v66
	buffer_store_dword v67, off, s[0:3], 0 offset:136
	buffer_store_dword v66, off, s[0:3], 0 offset:140
	v_cmpx_lt_u32_e32 16, v0
	s_cbranch_execz .LBB95_173
; %bb.172:
	s_clause 0x1
	buffer_load_dword v66, off, s[0:3], 0 offset:128
	buffer_load_dword v67, off, s[0:3], 0 offset:132
	v_mov_b32_e32 v68, 0
	buffer_store_dword v68, off, s[0:3], 0 offset:128
	buffer_store_dword v68, off, s[0:3], 0 offset:132
	s_waitcnt vmcnt(0)
	ds_write_b64 v65, v[66:67]
.LBB95_173:
	s_or_b32 exec_lo, exec_lo, s4
	s_waitcnt lgkmcnt(0)
	s_waitcnt_vscnt null, 0x0
	s_barrier
	buffer_gl0_inv
	s_clause 0x1f
	buffer_load_dword v97, off, s[0:3], 0 offset:140
	buffer_load_dword v98, off, s[0:3], 0 offset:148
	;; [unrolled: 1-line block ×32, first 2 shown]
	v_mov_b32_e32 v66, 0
	ds_read2_b64 v[67:70], v66 offset0:49 offset1:50
	ds_read2_b64 v[71:74], v66 offset0:51 offset1:52
	;; [unrolled: 1-line block ×7, first 2 shown]
	ds_read_b64 v[95:96], v66 offset:504
	s_mov_b32 s4, exec_lo
	s_waitcnt vmcnt(31) lgkmcnt(7)
	v_mul_f32_e32 v129, v67, v97
	v_mul_f32_e32 v97, v68, v97
	s_waitcnt vmcnt(30)
	v_mul_f32_e32 v130, v69, v98
	v_mul_f32_e32 v98, v70, v98
	s_waitcnt vmcnt(29) lgkmcnt(6)
	v_mul_f32_e32 v131, v71, v99
	s_waitcnt vmcnt(28)
	v_mul_f32_e32 v132, v73, v100
	s_waitcnt vmcnt(27) lgkmcnt(5)
	v_mul_f32_e32 v133, v75, v101
	s_waitcnt vmcnt(26)
	v_mul_f32_e32 v134, v77, v102
	s_waitcnt vmcnt(25) lgkmcnt(4)
	v_mul_f32_e32 v135, v79, v103
	s_waitcnt vmcnt(24)
	v_mul_f32_e32 v136, v81, v104
	s_waitcnt vmcnt(23) lgkmcnt(3)
	v_mul_f32_e32 v137, v83, v105
	s_waitcnt vmcnt(22)
	v_mul_f32_e32 v138, v85, v106
	s_waitcnt vmcnt(21) lgkmcnt(2)
	v_mul_f32_e32 v139, v87, v107
	s_waitcnt vmcnt(20)
	v_mul_f32_e32 v140, v89, v108
	s_waitcnt vmcnt(19) lgkmcnt(1)
	v_mul_f32_e32 v141, v91, v109
	s_waitcnt vmcnt(16)
	v_fma_f32 v67, v67, v112, -v97
	v_fmac_f32_e32 v129, v68, v112
	v_mul_f32_e32 v68, v72, v99
	s_waitcnt vmcnt(15)
	v_fma_f32 v69, v69, v113, -v98
	v_fmac_f32_e32 v130, v70, v113
	v_add_f32_e32 v67, 0, v67
	v_add_f32_e32 v70, 0, v129
	v_mul_f32_e32 v97, v74, v100
	s_waitcnt vmcnt(14)
	v_fma_f32 v68, v71, v114, -v68
	v_fmac_f32_e32 v131, v72, v114
	v_add_f32_e32 v67, v67, v69
	v_add_f32_e32 v69, v70, v130
	;; [unrolled: 6-line block ×11, first 2 shown]
	v_mul_f32_e32 v70, v94, v110
	s_waitcnt vmcnt(4)
	v_fma_f32 v71, v91, v124, -v71
	v_mul_f32_e32 v142, v93, v110
	v_add_f32_e32 v67, v67, v69
	v_fmac_f32_e32 v141, v92, v124
	v_add_f32_e32 v68, v68, v140
	s_waitcnt lgkmcnt(0)
	v_mul_f32_e32 v69, v96, v111
	s_waitcnt vmcnt(3)
	v_fma_f32 v70, v93, v125, -v70
	v_add_f32_e32 v67, v67, v71
	v_mul_f32_e32 v143, v95, v111
	v_fmac_f32_e32 v142, v94, v125
	v_add_f32_e32 v68, v68, v141
	s_waitcnt vmcnt(2)
	v_fma_f32 v69, v95, v126, -v69
	v_add_f32_e32 v67, v67, v70
	v_fmac_f32_e32 v143, v96, v126
	v_add_f32_e32 v68, v68, v142
	v_add_f32_e32 v67, v67, v69
	;; [unrolled: 1-line block ×3, first 2 shown]
	s_waitcnt vmcnt(1)
	v_sub_f32_e32 v67, v127, v67
	s_waitcnt vmcnt(0)
	v_sub_f32_e32 v68, v128, v68
	buffer_store_dword v67, off, s[0:3], 0 offset:128
	buffer_store_dword v68, off, s[0:3], 0 offset:132
	v_cmpx_lt_u32_e32 15, v0
	s_cbranch_execz .LBB95_175
; %bb.174:
	s_clause 0x1
	buffer_load_dword v67, off, s[0:3], 0 offset:120
	buffer_load_dword v68, off, s[0:3], 0 offset:124
	buffer_store_dword v66, off, s[0:3], 0 offset:120
	buffer_store_dword v66, off, s[0:3], 0 offset:124
	s_waitcnt vmcnt(0)
	ds_write_b64 v65, v[67:68]
.LBB95_175:
	s_or_b32 exec_lo, exec_lo, s4
	s_waitcnt lgkmcnt(0)
	s_waitcnt_vscnt null, 0x0
	s_barrier
	buffer_gl0_inv
	s_clause 0x21
	buffer_load_dword v99, off, s[0:3], 0 offset:132
	buffer_load_dword v100, off, s[0:3], 0 offset:140
	buffer_load_dword v101, off, s[0:3], 0 offset:148
	buffer_load_dword v102, off, s[0:3], 0 offset:156
	buffer_load_dword v103, off, s[0:3], 0 offset:164
	buffer_load_dword v104, off, s[0:3], 0 offset:172
	buffer_load_dword v105, off, s[0:3], 0 offset:180
	buffer_load_dword v106, off, s[0:3], 0 offset:188
	buffer_load_dword v107, off, s[0:3], 0 offset:196
	buffer_load_dword v108, off, s[0:3], 0 offset:204
	buffer_load_dword v109, off, s[0:3], 0 offset:212
	buffer_load_dword v110, off, s[0:3], 0 offset:220
	buffer_load_dword v111, off, s[0:3], 0 offset:228
	buffer_load_dword v112, off, s[0:3], 0 offset:236
	buffer_load_dword v113, off, s[0:3], 0 offset:244
	buffer_load_dword v114, off, s[0:3], 0 offset:252
	buffer_load_dword v115, off, s[0:3], 0 offset:128
	buffer_load_dword v116, off, s[0:3], 0 offset:136
	buffer_load_dword v117, off, s[0:3], 0 offset:144
	buffer_load_dword v118, off, s[0:3], 0 offset:152
	buffer_load_dword v119, off, s[0:3], 0 offset:160
	buffer_load_dword v120, off, s[0:3], 0 offset:168
	buffer_load_dword v121, off, s[0:3], 0 offset:176
	buffer_load_dword v122, off, s[0:3], 0 offset:184
	buffer_load_dword v123, off, s[0:3], 0 offset:192
	buffer_load_dword v124, off, s[0:3], 0 offset:200
	buffer_load_dword v125, off, s[0:3], 0 offset:208
	buffer_load_dword v126, off, s[0:3], 0 offset:216
	buffer_load_dword v127, off, s[0:3], 0 offset:224
	buffer_load_dword v128, off, s[0:3], 0 offset:232
	buffer_load_dword v129, off, s[0:3], 0 offset:240
	buffer_load_dword v130, off, s[0:3], 0 offset:248
	buffer_load_dword v131, off, s[0:3], 0 offset:120
	buffer_load_dword v132, off, s[0:3], 0 offset:124
	ds_read_b128 v[67:70], v66 offset:384
	ds_read_b128 v[71:74], v66 offset:400
	ds_read_b128 v[75:78], v66 offset:416
	ds_read_b128 v[79:82], v66 offset:432
	ds_read_b128 v[83:86], v66 offset:448
	ds_read_b128 v[87:90], v66 offset:464
	ds_read_b128 v[91:94], v66 offset:480
	ds_read_b128 v[95:98], v66 offset:496
	s_mov_b32 s4, exec_lo
	s_waitcnt vmcnt(33) lgkmcnt(7)
	v_mul_f32_e32 v66, v67, v99
	v_mul_f32_e32 v99, v68, v99
	s_waitcnt vmcnt(32)
	v_mul_f32_e32 v133, v69, v100
	v_mul_f32_e32 v100, v70, v100
	s_waitcnt vmcnt(31) lgkmcnt(6)
	v_mul_f32_e32 v134, v71, v101
	s_waitcnt vmcnt(30)
	v_mul_f32_e32 v135, v73, v102
	s_waitcnt vmcnt(29) lgkmcnt(5)
	v_mul_f32_e32 v136, v75, v103
	s_waitcnt vmcnt(28)
	;; [unrolled: 4-line block ×6, first 2 shown]
	v_mul_f32_e32 v145, v93, v112
	s_waitcnt vmcnt(17)
	v_fma_f32 v67, v67, v115, -v99
	v_fmac_f32_e32 v66, v68, v115
	v_mul_f32_e32 v68, v72, v101
	s_waitcnt vmcnt(16)
	v_fma_f32 v69, v69, v116, -v100
	v_fmac_f32_e32 v133, v70, v116
	v_add_f32_e32 v67, 0, v67
	v_add_f32_e32 v66, 0, v66
	v_mul_f32_e32 v70, v74, v102
	s_waitcnt vmcnt(15)
	v_fma_f32 v68, v71, v117, -v68
	v_fmac_f32_e32 v134, v72, v117
	v_add_f32_e32 v67, v67, v69
	v_add_f32_e32 v66, v66, v133
	;; [unrolled: 6-line block ×12, first 2 shown]
	s_waitcnt lgkmcnt(0)
	v_mul_f32_e32 v68, v96, v113
	s_waitcnt vmcnt(4)
	v_fma_f32 v69, v93, v128, -v69
	v_mul_f32_e32 v146, v95, v113
	v_add_f32_e32 v67, v67, v70
	v_fmac_f32_e32 v145, v94, v128
	v_add_f32_e32 v66, v66, v144
	v_mul_f32_e32 v70, v98, v114
	s_waitcnt vmcnt(3)
	v_fma_f32 v68, v95, v129, -v68
	v_add_f32_e32 v67, v67, v69
	v_mul_f32_e32 v147, v97, v114
	v_fmac_f32_e32 v146, v96, v129
	v_add_f32_e32 v66, v66, v145
	s_waitcnt vmcnt(2)
	v_fma_f32 v69, v97, v130, -v70
	v_add_f32_e32 v67, v67, v68
	v_fmac_f32_e32 v147, v98, v130
	v_add_f32_e32 v66, v66, v146
	v_add_f32_e32 v67, v67, v69
	;; [unrolled: 1-line block ×3, first 2 shown]
	s_waitcnt vmcnt(1)
	v_sub_f32_e32 v67, v131, v67
	s_waitcnt vmcnt(0)
	v_sub_f32_e32 v66, v132, v66
	buffer_store_dword v67, off, s[0:3], 0 offset:120
	buffer_store_dword v66, off, s[0:3], 0 offset:124
	v_cmpx_lt_u32_e32 14, v0
	s_cbranch_execz .LBB95_177
; %bb.176:
	s_clause 0x1
	buffer_load_dword v66, off, s[0:3], 0 offset:112
	buffer_load_dword v67, off, s[0:3], 0 offset:116
	v_mov_b32_e32 v68, 0
	buffer_store_dword v68, off, s[0:3], 0 offset:112
	buffer_store_dword v68, off, s[0:3], 0 offset:116
	s_waitcnt vmcnt(0)
	ds_write_b64 v65, v[66:67]
.LBB95_177:
	s_or_b32 exec_lo, exec_lo, s4
	s_waitcnt lgkmcnt(0)
	s_waitcnt_vscnt null, 0x0
	s_barrier
	buffer_gl0_inv
	s_clause 0x23
	buffer_load_dword v101, off, s[0:3], 0 offset:124
	buffer_load_dword v102, off, s[0:3], 0 offset:132
	;; [unrolled: 1-line block ×36, first 2 shown]
	v_mov_b32_e32 v66, 0
	ds_read2_b64 v[67:70], v66 offset0:47 offset1:48
	ds_read2_b64 v[71:74], v66 offset0:49 offset1:50
	;; [unrolled: 1-line block ×8, first 2 shown]
	ds_read_b64 v[99:100], v66 offset:504
	s_mov_b32 s4, exec_lo
	s_waitcnt vmcnt(35) lgkmcnt(8)
	v_mul_f32_e32 v137, v67, v101
	v_mul_f32_e32 v101, v68, v101
	s_waitcnt vmcnt(34)
	v_mul_f32_e32 v138, v69, v102
	v_mul_f32_e32 v102, v70, v102
	s_waitcnt vmcnt(33) lgkmcnt(7)
	v_mul_f32_e32 v139, v71, v103
	s_waitcnt vmcnt(32)
	v_mul_f32_e32 v140, v73, v104
	s_waitcnt vmcnt(31) lgkmcnt(6)
	v_mul_f32_e32 v141, v75, v105
	s_waitcnt vmcnt(30)
	;; [unrolled: 4-line block ×7, first 2 shown]
	v_fma_f32 v67, v67, v118, -v101
	v_fmac_f32_e32 v137, v68, v118
	v_mul_f32_e32 v68, v72, v103
	s_waitcnt vmcnt(17)
	v_fma_f32 v69, v69, v119, -v102
	v_fmac_f32_e32 v138, v70, v119
	v_add_f32_e32 v67, 0, v67
	v_add_f32_e32 v70, 0, v137
	v_mul_f32_e32 v101, v74, v104
	s_waitcnt vmcnt(16)
	v_fma_f32 v68, v71, v120, -v68
	v_fmac_f32_e32 v139, v72, v120
	v_add_f32_e32 v67, v67, v69
	v_add_f32_e32 v69, v70, v138
	;; [unrolled: 6-line block ×13, first 2 shown]
	v_mul_f32_e32 v71, v98, v116
	s_waitcnt vmcnt(4)
	v_fma_f32 v69, v95, v132, -v69
	v_mul_f32_e32 v152, v97, v116
	v_add_f32_e32 v67, v67, v70
	v_fmac_f32_e32 v151, v96, v132
	v_add_f32_e32 v68, v68, v150
	s_waitcnt lgkmcnt(0)
	v_mul_f32_e32 v70, v100, v117
	s_waitcnt vmcnt(3)
	v_fma_f32 v71, v97, v133, -v71
	v_add_f32_e32 v67, v67, v69
	v_mul_f32_e32 v153, v99, v117
	v_fmac_f32_e32 v152, v98, v133
	v_add_f32_e32 v68, v68, v151
	s_waitcnt vmcnt(2)
	v_fma_f32 v69, v99, v134, -v70
	v_add_f32_e32 v67, v67, v71
	v_fmac_f32_e32 v153, v100, v134
	v_add_f32_e32 v68, v68, v152
	v_add_f32_e32 v67, v67, v69
	;; [unrolled: 1-line block ×3, first 2 shown]
	s_waitcnt vmcnt(1)
	v_sub_f32_e32 v67, v135, v67
	s_waitcnt vmcnt(0)
	v_sub_f32_e32 v68, v136, v68
	buffer_store_dword v67, off, s[0:3], 0 offset:112
	buffer_store_dword v68, off, s[0:3], 0 offset:116
	v_cmpx_lt_u32_e32 13, v0
	s_cbranch_execz .LBB95_179
; %bb.178:
	s_clause 0x1
	buffer_load_dword v67, off, s[0:3], 0 offset:104
	buffer_load_dword v68, off, s[0:3], 0 offset:108
	buffer_store_dword v66, off, s[0:3], 0 offset:104
	buffer_store_dword v66, off, s[0:3], 0 offset:108
	s_waitcnt vmcnt(0)
	ds_write_b64 v65, v[67:68]
.LBB95_179:
	s_or_b32 exec_lo, exec_lo, s4
	s_waitcnt lgkmcnt(0)
	s_waitcnt_vscnt null, 0x0
	s_barrier
	buffer_gl0_inv
	s_clause 0x25
	buffer_load_dword v103, off, s[0:3], 0 offset:116
	buffer_load_dword v104, off, s[0:3], 0 offset:124
	;; [unrolled: 1-line block ×38, first 2 shown]
	ds_read_b128 v[67:70], v66 offset:368
	ds_read_b128 v[71:74], v66 offset:384
	;; [unrolled: 1-line block ×9, first 2 shown]
	s_mov_b32 s4, exec_lo
	s_waitcnt vmcnt(37) lgkmcnt(8)
	v_mul_f32_e32 v66, v67, v103
	v_mul_f32_e32 v103, v68, v103
	s_waitcnt vmcnt(36)
	v_mul_f32_e32 v141, v69, v104
	v_mul_f32_e32 v104, v70, v104
	s_waitcnt vmcnt(35) lgkmcnt(7)
	v_mul_f32_e32 v142, v71, v105
	s_waitcnt vmcnt(34)
	v_mul_f32_e32 v143, v73, v106
	s_waitcnt vmcnt(33) lgkmcnt(6)
	v_mul_f32_e32 v144, v75, v107
	s_waitcnt vmcnt(32)
	;; [unrolled: 4-line block ×7, first 2 shown]
	v_mul_f32_e32 v155, v97, v118
	s_waitcnt vmcnt(19)
	v_fma_f32 v67, v67, v121, -v103
	v_fmac_f32_e32 v66, v68, v121
	v_mul_f32_e32 v68, v72, v105
	s_waitcnt vmcnt(18)
	v_fma_f32 v69, v69, v122, -v104
	v_fmac_f32_e32 v141, v70, v122
	v_add_f32_e32 v67, 0, v67
	v_add_f32_e32 v66, 0, v66
	v_mul_f32_e32 v70, v74, v106
	s_waitcnt vmcnt(17)
	v_fma_f32 v68, v71, v123, -v68
	v_fmac_f32_e32 v142, v72, v123
	v_add_f32_e32 v67, v67, v69
	v_add_f32_e32 v66, v66, v141
	;; [unrolled: 6-line block ×14, first 2 shown]
	s_waitcnt lgkmcnt(0)
	v_mul_f32_e32 v69, v100, v119
	s_waitcnt vmcnt(4)
	v_fma_f32 v70, v97, v136, -v70
	v_mul_f32_e32 v156, v99, v119
	v_add_f32_e32 v67, v67, v68
	v_fmac_f32_e32 v155, v98, v136
	v_add_f32_e32 v66, v66, v154
	v_mul_f32_e32 v68, v102, v120
	s_waitcnt vmcnt(3)
	v_fma_f32 v69, v99, v137, -v69
	v_add_f32_e32 v67, v67, v70
	v_mul_f32_e32 v157, v101, v120
	v_fmac_f32_e32 v156, v100, v137
	v_add_f32_e32 v66, v66, v155
	s_waitcnt vmcnt(2)
	v_fma_f32 v68, v101, v138, -v68
	v_add_f32_e32 v67, v67, v69
	v_fmac_f32_e32 v157, v102, v138
	v_add_f32_e32 v66, v66, v156
	v_add_f32_e32 v67, v67, v68
	;; [unrolled: 1-line block ×3, first 2 shown]
	s_waitcnt vmcnt(1)
	v_sub_f32_e32 v67, v139, v67
	s_waitcnt vmcnt(0)
	v_sub_f32_e32 v66, v140, v66
	buffer_store_dword v67, off, s[0:3], 0 offset:104
	buffer_store_dword v66, off, s[0:3], 0 offset:108
	v_cmpx_lt_u32_e32 12, v0
	s_cbranch_execz .LBB95_181
; %bb.180:
	s_clause 0x1
	buffer_load_dword v66, off, s[0:3], 0 offset:96
	buffer_load_dword v67, off, s[0:3], 0 offset:100
	v_mov_b32_e32 v68, 0
	buffer_store_dword v68, off, s[0:3], 0 offset:96
	buffer_store_dword v68, off, s[0:3], 0 offset:100
	s_waitcnt vmcnt(0)
	ds_write_b64 v65, v[66:67]
.LBB95_181:
	s_or_b32 exec_lo, exec_lo, s4
	s_waitcnt lgkmcnt(0)
	s_waitcnt_vscnt null, 0x0
	s_barrier
	buffer_gl0_inv
	s_clause 0x27
	buffer_load_dword v105, off, s[0:3], 0 offset:108
	buffer_load_dword v106, off, s[0:3], 0 offset:116
	;; [unrolled: 1-line block ×40, first 2 shown]
	v_mov_b32_e32 v66, 0
	ds_read2_b64 v[67:70], v66 offset0:45 offset1:46
	ds_read2_b64 v[71:74], v66 offset0:47 offset1:48
	;; [unrolled: 1-line block ×9, first 2 shown]
	ds_read_b64 v[103:104], v66 offset:504
	s_mov_b32 s4, exec_lo
	s_waitcnt vmcnt(39) lgkmcnt(9)
	v_mul_f32_e32 v145, v67, v105
	v_mul_f32_e32 v105, v68, v105
	s_waitcnt vmcnt(38)
	v_mul_f32_e32 v146, v69, v106
	v_mul_f32_e32 v106, v70, v106
	s_waitcnt vmcnt(37) lgkmcnt(8)
	v_mul_f32_e32 v147, v71, v107
	s_waitcnt vmcnt(36)
	v_mul_f32_e32 v148, v73, v108
	s_waitcnt vmcnt(35) lgkmcnt(7)
	v_mul_f32_e32 v149, v75, v109
	s_waitcnt vmcnt(34)
	;; [unrolled: 4-line block ×8, first 2 shown]
	v_fma_f32 v67, v67, v124, -v105
	v_fmac_f32_e32 v145, v68, v124
	v_mul_f32_e32 v68, v72, v107
	s_waitcnt vmcnt(19)
	v_fma_f32 v69, v69, v125, -v106
	v_fmac_f32_e32 v146, v70, v125
	v_add_f32_e32 v67, 0, v67
	v_add_f32_e32 v70, 0, v145
	v_mul_f32_e32 v105, v74, v108
	s_waitcnt vmcnt(18)
	v_fma_f32 v68, v71, v126, -v68
	v_fmac_f32_e32 v147, v72, v126
	v_add_f32_e32 v67, v67, v69
	v_add_f32_e32 v69, v70, v146
	;; [unrolled: 6-line block ×15, first 2 shown]
	v_mul_f32_e32 v69, v102, v122
	s_waitcnt vmcnt(4)
	v_fma_f32 v70, v99, v140, -v70
	v_mul_f32_e32 v162, v101, v122
	v_add_f32_e32 v67, v67, v71
	v_fmac_f32_e32 v161, v100, v140
	v_add_f32_e32 v68, v68, v160
	s_waitcnt lgkmcnt(0)
	v_mul_f32_e32 v71, v104, v123
	s_waitcnt vmcnt(3)
	v_fma_f32 v69, v101, v141, -v69
	v_add_f32_e32 v67, v67, v70
	v_mul_f32_e32 v163, v103, v123
	v_fmac_f32_e32 v162, v102, v141
	v_add_f32_e32 v68, v68, v161
	s_waitcnt vmcnt(2)
	v_fma_f32 v70, v103, v142, -v71
	v_add_f32_e32 v67, v67, v69
	v_fmac_f32_e32 v163, v104, v142
	v_add_f32_e32 v68, v68, v162
	v_add_f32_e32 v67, v67, v70
	;; [unrolled: 1-line block ×3, first 2 shown]
	s_waitcnt vmcnt(1)
	v_sub_f32_e32 v67, v143, v67
	s_waitcnt vmcnt(0)
	v_sub_f32_e32 v68, v144, v68
	buffer_store_dword v67, off, s[0:3], 0 offset:96
	buffer_store_dword v68, off, s[0:3], 0 offset:100
	v_cmpx_lt_u32_e32 11, v0
	s_cbranch_execz .LBB95_183
; %bb.182:
	s_clause 0x1
	buffer_load_dword v67, off, s[0:3], 0 offset:88
	buffer_load_dword v68, off, s[0:3], 0 offset:92
	buffer_store_dword v66, off, s[0:3], 0 offset:88
	buffer_store_dword v66, off, s[0:3], 0 offset:92
	s_waitcnt vmcnt(0)
	ds_write_b64 v65, v[67:68]
.LBB95_183:
	s_or_b32 exec_lo, exec_lo, s4
	s_waitcnt lgkmcnt(0)
	s_waitcnt_vscnt null, 0x0
	s_barrier
	buffer_gl0_inv
	s_clause 0x29
	buffer_load_dword v107, off, s[0:3], 0 offset:100
	buffer_load_dword v108, off, s[0:3], 0 offset:108
	;; [unrolled: 1-line block ×42, first 2 shown]
	ds_read_b128 v[67:70], v66 offset:352
	ds_read_b128 v[71:74], v66 offset:368
	;; [unrolled: 1-line block ×10, first 2 shown]
	s_mov_b32 s4, exec_lo
	s_waitcnt vmcnt(41) lgkmcnt(9)
	v_mul_f32_e32 v66, v67, v107
	v_mul_f32_e32 v107, v68, v107
	s_waitcnt vmcnt(40)
	v_mul_f32_e32 v149, v69, v108
	v_mul_f32_e32 v108, v70, v108
	s_waitcnt vmcnt(39) lgkmcnt(8)
	v_mul_f32_e32 v150, v71, v109
	s_waitcnt vmcnt(38)
	v_mul_f32_e32 v151, v73, v110
	s_waitcnt vmcnt(37) lgkmcnt(7)
	v_mul_f32_e32 v152, v75, v111
	s_waitcnt vmcnt(36)
	;; [unrolled: 4-line block ×8, first 2 shown]
	v_mul_f32_e32 v165, v101, v124
	s_waitcnt vmcnt(21)
	v_fma_f32 v67, v67, v127, -v107
	v_fmac_f32_e32 v66, v68, v127
	v_mul_f32_e32 v68, v72, v109
	s_waitcnt vmcnt(20)
	v_fma_f32 v69, v69, v128, -v108
	v_fmac_f32_e32 v149, v70, v128
	v_add_f32_e32 v67, 0, v67
	v_add_f32_e32 v66, 0, v66
	v_mul_f32_e32 v70, v74, v110
	s_waitcnt vmcnt(19)
	v_fma_f32 v68, v71, v129, -v68
	v_fmac_f32_e32 v150, v72, v129
	v_add_f32_e32 v67, v67, v69
	v_add_f32_e32 v66, v66, v149
	;; [unrolled: 6-line block ×16, first 2 shown]
	s_waitcnt lgkmcnt(0)
	v_mul_f32_e32 v70, v104, v125
	s_waitcnt vmcnt(4)
	v_fma_f32 v68, v101, v144, -v68
	v_mul_f32_e32 v166, v103, v125
	v_add_f32_e32 v67, v67, v69
	v_fmac_f32_e32 v165, v102, v144
	v_add_f32_e32 v66, v66, v164
	v_mul_f32_e32 v69, v106, v126
	s_waitcnt vmcnt(3)
	v_fma_f32 v70, v103, v145, -v70
	v_add_f32_e32 v67, v67, v68
	v_mul_f32_e32 v167, v105, v126
	v_fmac_f32_e32 v166, v104, v145
	v_add_f32_e32 v66, v66, v165
	s_waitcnt vmcnt(2)
	v_fma_f32 v68, v105, v146, -v69
	v_add_f32_e32 v67, v67, v70
	v_fmac_f32_e32 v167, v106, v146
	v_add_f32_e32 v66, v66, v166
	v_add_f32_e32 v67, v67, v68
	;; [unrolled: 1-line block ×3, first 2 shown]
	s_waitcnt vmcnt(1)
	v_sub_f32_e32 v67, v147, v67
	s_waitcnt vmcnt(0)
	v_sub_f32_e32 v66, v148, v66
	buffer_store_dword v67, off, s[0:3], 0 offset:88
	buffer_store_dword v66, off, s[0:3], 0 offset:92
	v_cmpx_lt_u32_e32 10, v0
	s_cbranch_execz .LBB95_185
; %bb.184:
	s_clause 0x1
	buffer_load_dword v66, off, s[0:3], 0 offset:80
	buffer_load_dword v67, off, s[0:3], 0 offset:84
	v_mov_b32_e32 v68, 0
	buffer_store_dword v68, off, s[0:3], 0 offset:80
	buffer_store_dword v68, off, s[0:3], 0 offset:84
	s_waitcnt vmcnt(0)
	ds_write_b64 v65, v[66:67]
.LBB95_185:
	s_or_b32 exec_lo, exec_lo, s4
	s_waitcnt lgkmcnt(0)
	s_waitcnt_vscnt null, 0x0
	s_barrier
	buffer_gl0_inv
	s_clause 0x2b
	buffer_load_dword v109, off, s[0:3], 0 offset:92
	buffer_load_dword v110, off, s[0:3], 0 offset:100
	;; [unrolled: 1-line block ×44, first 2 shown]
	v_mov_b32_e32 v66, 0
	ds_read2_b64 v[67:70], v66 offset0:43 offset1:44
	ds_read2_b64 v[71:74], v66 offset0:45 offset1:46
	;; [unrolled: 1-line block ×10, first 2 shown]
	ds_read_b64 v[107:108], v66 offset:504
	s_mov_b32 s4, exec_lo
	s_waitcnt vmcnt(43) lgkmcnt(10)
	v_mul_f32_e32 v153, v67, v109
	v_mul_f32_e32 v109, v68, v109
	s_waitcnt vmcnt(42)
	v_mul_f32_e32 v154, v69, v110
	v_mul_f32_e32 v110, v70, v110
	s_waitcnt vmcnt(41) lgkmcnt(9)
	v_mul_f32_e32 v155, v71, v111
	s_waitcnt vmcnt(40)
	v_mul_f32_e32 v156, v73, v112
	s_waitcnt vmcnt(39) lgkmcnt(8)
	v_mul_f32_e32 v157, v75, v113
	s_waitcnt vmcnt(38)
	;; [unrolled: 4-line block ×9, first 2 shown]
	v_fma_f32 v67, v67, v130, -v109
	v_fmac_f32_e32 v153, v68, v130
	v_mul_f32_e32 v68, v72, v111
	s_waitcnt vmcnt(21)
	v_fma_f32 v69, v69, v131, -v110
	v_fmac_f32_e32 v154, v70, v131
	v_add_f32_e32 v67, 0, v67
	v_add_f32_e32 v70, 0, v153
	v_mul_f32_e32 v109, v74, v112
	s_waitcnt vmcnt(20)
	v_fma_f32 v68, v71, v132, -v68
	v_fmac_f32_e32 v155, v72, v132
	v_add_f32_e32 v67, v67, v69
	v_add_f32_e32 v69, v70, v154
	;; [unrolled: 6-line block ×17, first 2 shown]
	v_mul_f32_e32 v70, v106, v128
	s_waitcnt vmcnt(4)
	v_fma_f32 v71, v103, v148, -v71
	v_mul_f32_e32 v172, v105, v128
	v_add_f32_e32 v67, v67, v69
	v_fmac_f32_e32 v171, v104, v148
	v_add_f32_e32 v68, v68, v170
	s_waitcnt lgkmcnt(0)
	v_mul_f32_e32 v69, v108, v129
	s_waitcnt vmcnt(3)
	v_fma_f32 v70, v105, v149, -v70
	v_add_f32_e32 v67, v67, v71
	v_mul_f32_e32 v173, v107, v129
	v_fmac_f32_e32 v172, v106, v149
	v_add_f32_e32 v68, v68, v171
	s_waitcnt vmcnt(2)
	v_fma_f32 v69, v107, v150, -v69
	v_add_f32_e32 v67, v67, v70
	v_fmac_f32_e32 v173, v108, v150
	v_add_f32_e32 v68, v68, v172
	v_add_f32_e32 v67, v67, v69
	v_add_f32_e32 v68, v68, v173
	s_waitcnt vmcnt(1)
	v_sub_f32_e32 v67, v151, v67
	s_waitcnt vmcnt(0)
	v_sub_f32_e32 v68, v152, v68
	buffer_store_dword v67, off, s[0:3], 0 offset:80
	buffer_store_dword v68, off, s[0:3], 0 offset:84
	v_cmpx_lt_u32_e32 9, v0
	s_cbranch_execz .LBB95_187
; %bb.186:
	s_clause 0x1
	buffer_load_dword v67, off, s[0:3], 0 offset:72
	buffer_load_dword v68, off, s[0:3], 0 offset:76
	buffer_store_dword v66, off, s[0:3], 0 offset:72
	buffer_store_dword v66, off, s[0:3], 0 offset:76
	s_waitcnt vmcnt(0)
	ds_write_b64 v65, v[67:68]
.LBB95_187:
	s_or_b32 exec_lo, exec_lo, s4
	s_waitcnt lgkmcnt(0)
	s_waitcnt_vscnt null, 0x0
	s_barrier
	buffer_gl0_inv
	s_clause 0x2d
	buffer_load_dword v111, off, s[0:3], 0 offset:84
	buffer_load_dword v112, off, s[0:3], 0 offset:92
	;; [unrolled: 1-line block ×46, first 2 shown]
	ds_read_b128 v[67:70], v66 offset:336
	ds_read_b128 v[71:74], v66 offset:352
	;; [unrolled: 1-line block ×11, first 2 shown]
	s_mov_b32 s4, exec_lo
	s_waitcnt vmcnt(45) lgkmcnt(10)
	v_mul_f32_e32 v66, v67, v111
	v_mul_f32_e32 v111, v68, v111
	s_waitcnt vmcnt(44)
	v_mul_f32_e32 v157, v69, v112
	v_mul_f32_e32 v112, v70, v112
	s_waitcnt vmcnt(43) lgkmcnt(9)
	v_mul_f32_e32 v158, v71, v113
	s_waitcnt vmcnt(42)
	v_mul_f32_e32 v159, v73, v114
	s_waitcnt vmcnt(41) lgkmcnt(8)
	v_mul_f32_e32 v160, v75, v115
	s_waitcnt vmcnt(40)
	;; [unrolled: 4-line block ×9, first 2 shown]
	v_mul_f32_e32 v175, v105, v130
	s_waitcnt vmcnt(23)
	v_fma_f32 v67, v67, v133, -v111
	v_fmac_f32_e32 v66, v68, v133
	v_mul_f32_e32 v68, v72, v113
	s_waitcnt vmcnt(22)
	v_fma_f32 v69, v69, v134, -v112
	v_fmac_f32_e32 v157, v70, v134
	v_add_f32_e32 v67, 0, v67
	v_add_f32_e32 v66, 0, v66
	v_mul_f32_e32 v70, v74, v114
	s_waitcnt vmcnt(21)
	v_fma_f32 v68, v71, v135, -v68
	v_fmac_f32_e32 v158, v72, v135
	v_add_f32_e32 v67, v67, v69
	v_add_f32_e32 v66, v66, v157
	;; [unrolled: 6-line block ×18, first 2 shown]
	s_waitcnt lgkmcnt(0)
	v_mul_f32_e32 v68, v108, v131
	s_waitcnt vmcnt(4)
	v_fma_f32 v69, v105, v152, -v69
	v_mul_f32_e32 v176, v107, v131
	v_add_f32_e32 v67, v67, v70
	v_fmac_f32_e32 v175, v106, v152
	v_add_f32_e32 v66, v66, v174
	v_mul_f32_e32 v70, v110, v132
	s_waitcnt vmcnt(3)
	v_fma_f32 v68, v107, v153, -v68
	v_add_f32_e32 v67, v67, v69
	v_mul_f32_e32 v177, v109, v132
	v_fmac_f32_e32 v176, v108, v153
	v_add_f32_e32 v66, v66, v175
	s_waitcnt vmcnt(2)
	v_fma_f32 v69, v109, v154, -v70
	v_add_f32_e32 v67, v67, v68
	v_fmac_f32_e32 v177, v110, v154
	v_add_f32_e32 v66, v66, v176
	v_add_f32_e32 v67, v67, v69
	;; [unrolled: 1-line block ×3, first 2 shown]
	s_waitcnt vmcnt(1)
	v_sub_f32_e32 v67, v155, v67
	s_waitcnt vmcnt(0)
	v_sub_f32_e32 v66, v156, v66
	buffer_store_dword v67, off, s[0:3], 0 offset:72
	buffer_store_dword v66, off, s[0:3], 0 offset:76
	v_cmpx_lt_u32_e32 8, v0
	s_cbranch_execz .LBB95_189
; %bb.188:
	s_clause 0x1
	buffer_load_dword v66, off, s[0:3], 0 offset:64
	buffer_load_dword v67, off, s[0:3], 0 offset:68
	v_mov_b32_e32 v68, 0
	buffer_store_dword v68, off, s[0:3], 0 offset:64
	buffer_store_dword v68, off, s[0:3], 0 offset:68
	s_waitcnt vmcnt(0)
	ds_write_b64 v65, v[66:67]
.LBB95_189:
	s_or_b32 exec_lo, exec_lo, s4
	s_waitcnt lgkmcnt(0)
	s_waitcnt_vscnt null, 0x0
	s_barrier
	buffer_gl0_inv
	s_clause 0x2f
	buffer_load_dword v113, off, s[0:3], 0 offset:76
	buffer_load_dword v114, off, s[0:3], 0 offset:84
	;; [unrolled: 1-line block ×48, first 2 shown]
	v_mov_b32_e32 v66, 0
	ds_read2_b64 v[67:70], v66 offset0:41 offset1:42
	ds_read2_b64 v[71:74], v66 offset0:43 offset1:44
	;; [unrolled: 1-line block ×11, first 2 shown]
	ds_read_b64 v[111:112], v66 offset:504
	s_mov_b32 s4, exec_lo
	s_waitcnt vmcnt(47) lgkmcnt(11)
	v_mul_f32_e32 v161, v67, v113
	v_mul_f32_e32 v113, v68, v113
	s_waitcnt vmcnt(46)
	v_mul_f32_e32 v162, v69, v114
	v_mul_f32_e32 v114, v70, v114
	s_waitcnt vmcnt(45) lgkmcnt(10)
	v_mul_f32_e32 v163, v71, v115
	s_waitcnt vmcnt(44)
	v_mul_f32_e32 v164, v73, v116
	s_waitcnt vmcnt(43) lgkmcnt(9)
	v_mul_f32_e32 v165, v75, v117
	s_waitcnt vmcnt(42)
	;; [unrolled: 4-line block ×10, first 2 shown]
	v_fma_f32 v67, v67, v136, -v113
	v_fmac_f32_e32 v161, v68, v136
	v_mul_f32_e32 v68, v72, v115
	s_waitcnt vmcnt(23)
	v_fma_f32 v69, v69, v137, -v114
	v_fmac_f32_e32 v162, v70, v137
	v_add_f32_e32 v67, 0, v67
	v_add_f32_e32 v70, 0, v161
	v_mul_f32_e32 v113, v74, v116
	s_waitcnt vmcnt(22)
	v_fma_f32 v68, v71, v138, -v68
	v_fmac_f32_e32 v163, v72, v138
	v_add_f32_e32 v67, v67, v69
	v_add_f32_e32 v69, v70, v162
	;; [unrolled: 6-line block ×19, first 2 shown]
	v_mul_f32_e32 v71, v110, v134
	s_waitcnt vmcnt(4)
	v_fma_f32 v69, v107, v156, -v69
	v_mul_f32_e32 v182, v109, v134
	v_add_f32_e32 v67, v67, v70
	v_fmac_f32_e32 v181, v108, v156
	v_add_f32_e32 v68, v68, v180
	s_waitcnt lgkmcnt(0)
	v_mul_f32_e32 v70, v112, v135
	s_waitcnt vmcnt(3)
	v_fma_f32 v71, v109, v157, -v71
	v_add_f32_e32 v67, v67, v69
	v_mul_f32_e32 v183, v111, v135
	v_fmac_f32_e32 v182, v110, v157
	v_add_f32_e32 v68, v68, v181
	s_waitcnt vmcnt(2)
	v_fma_f32 v69, v111, v158, -v70
	v_add_f32_e32 v67, v67, v71
	v_fmac_f32_e32 v183, v112, v158
	v_add_f32_e32 v68, v68, v182
	v_add_f32_e32 v67, v67, v69
	;; [unrolled: 1-line block ×3, first 2 shown]
	s_waitcnt vmcnt(1)
	v_sub_f32_e32 v67, v159, v67
	s_waitcnt vmcnt(0)
	v_sub_f32_e32 v68, v160, v68
	buffer_store_dword v67, off, s[0:3], 0 offset:64
	buffer_store_dword v68, off, s[0:3], 0 offset:68
	v_cmpx_lt_u32_e32 7, v0
	s_cbranch_execz .LBB95_191
; %bb.190:
	s_clause 0x1
	buffer_load_dword v67, off, s[0:3], 0 offset:56
	buffer_load_dword v68, off, s[0:3], 0 offset:60
	buffer_store_dword v66, off, s[0:3], 0 offset:56
	buffer_store_dword v66, off, s[0:3], 0 offset:60
	s_waitcnt vmcnt(0)
	ds_write_b64 v65, v[67:68]
.LBB95_191:
	s_or_b32 exec_lo, exec_lo, s4
	s_waitcnt lgkmcnt(0)
	s_waitcnt_vscnt null, 0x0
	s_barrier
	buffer_gl0_inv
	s_clause 0x31
	buffer_load_dword v115, off, s[0:3], 0 offset:68
	buffer_load_dword v116, off, s[0:3], 0 offset:76
	;; [unrolled: 1-line block ×50, first 2 shown]
	ds_read_b128 v[67:70], v66 offset:320
	ds_read_b128 v[71:74], v66 offset:336
	;; [unrolled: 1-line block ×12, first 2 shown]
	s_mov_b32 s4, exec_lo
	s_waitcnt vmcnt(49) lgkmcnt(11)
	v_mul_f32_e32 v66, v67, v115
	v_mul_f32_e32 v115, v68, v115
	s_waitcnt vmcnt(48)
	v_mul_f32_e32 v165, v69, v116
	v_mul_f32_e32 v116, v70, v116
	s_waitcnt vmcnt(47) lgkmcnt(10)
	v_mul_f32_e32 v166, v71, v117
	s_waitcnt vmcnt(46)
	v_mul_f32_e32 v167, v73, v118
	s_waitcnt vmcnt(45) lgkmcnt(9)
	v_mul_f32_e32 v168, v75, v119
	s_waitcnt vmcnt(44)
	;; [unrolled: 4-line block ×10, first 2 shown]
	v_mul_f32_e32 v185, v109, v136
	s_waitcnt vmcnt(25)
	v_fma_f32 v67, v67, v139, -v115
	v_fmac_f32_e32 v66, v68, v139
	v_mul_f32_e32 v68, v72, v117
	s_waitcnt vmcnt(24)
	v_fma_f32 v69, v69, v140, -v116
	v_fmac_f32_e32 v165, v70, v140
	v_add_f32_e32 v67, 0, v67
	v_add_f32_e32 v66, 0, v66
	v_mul_f32_e32 v70, v74, v118
	s_waitcnt vmcnt(23)
	v_fma_f32 v68, v71, v141, -v68
	v_fmac_f32_e32 v166, v72, v141
	v_add_f32_e32 v67, v67, v69
	v_add_f32_e32 v66, v66, v165
	;; [unrolled: 6-line block ×20, first 2 shown]
	s_waitcnt lgkmcnt(0)
	v_mul_f32_e32 v69, v112, v137
	s_waitcnt vmcnt(4)
	v_fma_f32 v70, v109, v160, -v70
	v_mul_f32_e32 v186, v111, v137
	v_add_f32_e32 v67, v67, v68
	v_fmac_f32_e32 v185, v110, v160
	v_add_f32_e32 v66, v66, v184
	v_mul_f32_e32 v68, v114, v138
	s_waitcnt vmcnt(3)
	v_fma_f32 v69, v111, v161, -v69
	v_add_f32_e32 v67, v67, v70
	v_mul_f32_e32 v187, v113, v138
	v_fmac_f32_e32 v186, v112, v161
	v_add_f32_e32 v66, v66, v185
	s_waitcnt vmcnt(2)
	v_fma_f32 v68, v113, v162, -v68
	v_add_f32_e32 v67, v67, v69
	v_fmac_f32_e32 v187, v114, v162
	v_add_f32_e32 v66, v66, v186
	v_add_f32_e32 v67, v67, v68
	;; [unrolled: 1-line block ×3, first 2 shown]
	s_waitcnt vmcnt(1)
	v_sub_f32_e32 v67, v163, v67
	s_waitcnt vmcnt(0)
	v_sub_f32_e32 v66, v164, v66
	buffer_store_dword v67, off, s[0:3], 0 offset:56
	buffer_store_dword v66, off, s[0:3], 0 offset:60
	v_cmpx_lt_u32_e32 6, v0
	s_cbranch_execz .LBB95_193
; %bb.192:
	s_clause 0x1
	buffer_load_dword v66, off, s[0:3], 0 offset:48
	buffer_load_dword v67, off, s[0:3], 0 offset:52
	v_mov_b32_e32 v68, 0
	buffer_store_dword v68, off, s[0:3], 0 offset:48
	buffer_store_dword v68, off, s[0:3], 0 offset:52
	s_waitcnt vmcnt(0)
	ds_write_b64 v65, v[66:67]
.LBB95_193:
	s_or_b32 exec_lo, exec_lo, s4
	s_waitcnt lgkmcnt(0)
	s_waitcnt_vscnt null, 0x0
	s_barrier
	buffer_gl0_inv
	s_clause 0x33
	buffer_load_dword v117, off, s[0:3], 0 offset:60
	buffer_load_dword v118, off, s[0:3], 0 offset:68
	;; [unrolled: 1-line block ×52, first 2 shown]
	v_mov_b32_e32 v66, 0
	ds_read2_b64 v[67:70], v66 offset0:39 offset1:40
	ds_read2_b64 v[71:74], v66 offset0:41 offset1:42
	;; [unrolled: 1-line block ×12, first 2 shown]
	ds_read_b64 v[115:116], v66 offset:504
	s_mov_b32 s4, exec_lo
	s_waitcnt vmcnt(51) lgkmcnt(12)
	v_mul_f32_e32 v169, v67, v117
	v_mul_f32_e32 v117, v68, v117
	s_waitcnt vmcnt(50)
	v_mul_f32_e32 v170, v69, v118
	v_mul_f32_e32 v118, v70, v118
	s_waitcnt vmcnt(49) lgkmcnt(11)
	v_mul_f32_e32 v171, v71, v119
	s_waitcnt vmcnt(48)
	v_mul_f32_e32 v172, v73, v120
	s_waitcnt vmcnt(47) lgkmcnt(10)
	v_mul_f32_e32 v173, v75, v121
	s_waitcnt vmcnt(46)
	;; [unrolled: 4-line block ×11, first 2 shown]
	v_fma_f32 v67, v67, v142, -v117
	v_fmac_f32_e32 v169, v68, v142
	v_mul_f32_e32 v68, v72, v119
	s_waitcnt vmcnt(25)
	v_fma_f32 v69, v69, v143, -v118
	v_fmac_f32_e32 v170, v70, v143
	v_add_f32_e32 v67, 0, v67
	v_add_f32_e32 v70, 0, v169
	v_mul_f32_e32 v117, v74, v120
	s_waitcnt vmcnt(24)
	v_fma_f32 v68, v71, v144, -v68
	v_fmac_f32_e32 v171, v72, v144
	v_add_f32_e32 v67, v67, v69
	v_add_f32_e32 v69, v70, v170
	;; [unrolled: 6-line block ×21, first 2 shown]
	v_mul_f32_e32 v69, v114, v140
	s_waitcnt vmcnt(4)
	v_fma_f32 v70, v111, v164, -v70
	v_mul_f32_e32 v192, v113, v140
	v_add_f32_e32 v67, v67, v71
	v_fmac_f32_e32 v191, v112, v164
	v_add_f32_e32 v68, v68, v190
	s_waitcnt lgkmcnt(0)
	v_mul_f32_e32 v71, v116, v141
	s_waitcnt vmcnt(3)
	v_fma_f32 v69, v113, v165, -v69
	v_add_f32_e32 v67, v67, v70
	v_mul_f32_e32 v193, v115, v141
	v_fmac_f32_e32 v192, v114, v165
	v_add_f32_e32 v68, v68, v191
	s_waitcnt vmcnt(2)
	v_fma_f32 v70, v115, v166, -v71
	v_add_f32_e32 v67, v67, v69
	v_fmac_f32_e32 v193, v116, v166
	v_add_f32_e32 v68, v68, v192
	v_add_f32_e32 v67, v67, v70
	;; [unrolled: 1-line block ×3, first 2 shown]
	s_waitcnt vmcnt(1)
	v_sub_f32_e32 v67, v167, v67
	s_waitcnt vmcnt(0)
	v_sub_f32_e32 v68, v168, v68
	buffer_store_dword v67, off, s[0:3], 0 offset:48
	buffer_store_dword v68, off, s[0:3], 0 offset:52
	v_cmpx_lt_u32_e32 5, v0
	s_cbranch_execz .LBB95_195
; %bb.194:
	s_clause 0x1
	buffer_load_dword v67, off, s[0:3], 0 offset:40
	buffer_load_dword v68, off, s[0:3], 0 offset:44
	buffer_store_dword v66, off, s[0:3], 0 offset:40
	buffer_store_dword v66, off, s[0:3], 0 offset:44
	s_waitcnt vmcnt(0)
	ds_write_b64 v65, v[67:68]
.LBB95_195:
	s_or_b32 exec_lo, exec_lo, s4
	s_waitcnt lgkmcnt(0)
	s_waitcnt_vscnt null, 0x0
	s_barrier
	buffer_gl0_inv
	s_clause 0x35
	buffer_load_dword v119, off, s[0:3], 0 offset:52
	buffer_load_dword v120, off, s[0:3], 0 offset:60
	;; [unrolled: 1-line block ×54, first 2 shown]
	ds_read_b128 v[67:70], v66 offset:304
	ds_read_b128 v[71:74], v66 offset:320
	;; [unrolled: 1-line block ×13, first 2 shown]
	s_mov_b32 s4, exec_lo
	s_waitcnt vmcnt(53) lgkmcnt(12)
	v_mul_f32_e32 v66, v67, v119
	v_mul_f32_e32 v119, v68, v119
	s_waitcnt vmcnt(52)
	v_mul_f32_e32 v173, v69, v120
	v_mul_f32_e32 v120, v70, v120
	s_waitcnt vmcnt(51) lgkmcnt(11)
	v_mul_f32_e32 v174, v71, v121
	s_waitcnt vmcnt(50)
	v_mul_f32_e32 v175, v73, v122
	s_waitcnt vmcnt(49) lgkmcnt(10)
	v_mul_f32_e32 v176, v75, v123
	s_waitcnt vmcnt(48)
	;; [unrolled: 4-line block ×11, first 2 shown]
	v_mul_f32_e32 v195, v113, v142
	s_waitcnt vmcnt(27)
	v_fma_f32 v67, v67, v145, -v119
	v_fmac_f32_e32 v66, v68, v145
	v_mul_f32_e32 v68, v72, v121
	s_waitcnt vmcnt(26)
	v_fma_f32 v69, v69, v146, -v120
	v_fmac_f32_e32 v173, v70, v146
	v_add_f32_e32 v67, 0, v67
	v_add_f32_e32 v66, 0, v66
	v_mul_f32_e32 v70, v74, v122
	s_waitcnt vmcnt(25)
	v_fma_f32 v68, v71, v147, -v68
	v_fmac_f32_e32 v174, v72, v147
	v_add_f32_e32 v67, v67, v69
	v_add_f32_e32 v66, v66, v173
	;; [unrolled: 6-line block ×22, first 2 shown]
	s_waitcnt lgkmcnt(0)
	v_mul_f32_e32 v70, v116, v143
	s_waitcnt vmcnt(4)
	v_fma_f32 v68, v113, v168, -v68
	v_mul_f32_e32 v196, v115, v143
	v_add_f32_e32 v67, v67, v69
	v_fmac_f32_e32 v195, v114, v168
	v_add_f32_e32 v66, v66, v194
	v_mul_f32_e32 v69, v118, v144
	s_waitcnt vmcnt(3)
	v_fma_f32 v70, v115, v169, -v70
	v_add_f32_e32 v67, v67, v68
	v_mul_f32_e32 v197, v117, v144
	v_fmac_f32_e32 v196, v116, v169
	v_add_f32_e32 v66, v66, v195
	s_waitcnt vmcnt(2)
	v_fma_f32 v68, v117, v170, -v69
	v_add_f32_e32 v67, v67, v70
	v_fmac_f32_e32 v197, v118, v170
	v_add_f32_e32 v66, v66, v196
	v_add_f32_e32 v67, v67, v68
	;; [unrolled: 1-line block ×3, first 2 shown]
	s_waitcnt vmcnt(1)
	v_sub_f32_e32 v67, v171, v67
	s_waitcnt vmcnt(0)
	v_sub_f32_e32 v66, v172, v66
	buffer_store_dword v67, off, s[0:3], 0 offset:40
	buffer_store_dword v66, off, s[0:3], 0 offset:44
	v_cmpx_lt_u32_e32 4, v0
	s_cbranch_execz .LBB95_197
; %bb.196:
	s_clause 0x1
	buffer_load_dword v66, off, s[0:3], 0 offset:32
	buffer_load_dword v67, off, s[0:3], 0 offset:36
	v_mov_b32_e32 v68, 0
	buffer_store_dword v68, off, s[0:3], 0 offset:32
	buffer_store_dword v68, off, s[0:3], 0 offset:36
	s_waitcnt vmcnt(0)
	ds_write_b64 v65, v[66:67]
.LBB95_197:
	s_or_b32 exec_lo, exec_lo, s4
	s_waitcnt lgkmcnt(0)
	s_waitcnt_vscnt null, 0x0
	s_barrier
	buffer_gl0_inv
	s_clause 0x37
	buffer_load_dword v121, off, s[0:3], 0 offset:44
	buffer_load_dword v122, off, s[0:3], 0 offset:52
	;; [unrolled: 1-line block ×56, first 2 shown]
	v_mov_b32_e32 v66, 0
	ds_read2_b64 v[67:70], v66 offset0:37 offset1:38
	ds_read2_b64 v[71:74], v66 offset0:39 offset1:40
	ds_read2_b64 v[75:78], v66 offset0:41 offset1:42
	ds_read2_b64 v[79:82], v66 offset0:43 offset1:44
	ds_read2_b64 v[83:86], v66 offset0:45 offset1:46
	ds_read2_b64 v[87:90], v66 offset0:47 offset1:48
	ds_read2_b64 v[91:94], v66 offset0:49 offset1:50
	ds_read2_b64 v[95:98], v66 offset0:51 offset1:52
	ds_read2_b64 v[99:102], v66 offset0:53 offset1:54
	ds_read2_b64 v[103:106], v66 offset0:55 offset1:56
	ds_read2_b64 v[107:110], v66 offset0:57 offset1:58
	ds_read2_b64 v[111:114], v66 offset0:59 offset1:60
	ds_read2_b64 v[115:118], v66 offset0:61 offset1:62
	ds_read_b64 v[119:120], v66 offset:504
	s_mov_b32 s4, exec_lo
	s_waitcnt vmcnt(55) lgkmcnt(13)
	v_mul_f32_e32 v177, v67, v121
	v_mul_f32_e32 v121, v68, v121
	s_waitcnt vmcnt(54)
	v_mul_f32_e32 v178, v69, v122
	v_mul_f32_e32 v122, v70, v122
	s_waitcnt vmcnt(53) lgkmcnt(12)
	v_mul_f32_e32 v179, v71, v123
	s_waitcnt vmcnt(52)
	v_mul_f32_e32 v180, v73, v124
	s_waitcnt vmcnt(51) lgkmcnt(11)
	v_mul_f32_e32 v181, v75, v125
	s_waitcnt vmcnt(50)
	;; [unrolled: 4-line block ×12, first 2 shown]
	v_fma_f32 v67, v67, v148, -v121
	v_fmac_f32_e32 v177, v68, v148
	v_mul_f32_e32 v68, v72, v123
	s_waitcnt vmcnt(27)
	v_fma_f32 v69, v69, v149, -v122
	v_fmac_f32_e32 v178, v70, v149
	v_add_f32_e32 v67, 0, v67
	v_add_f32_e32 v70, 0, v177
	v_mul_f32_e32 v121, v74, v124
	s_waitcnt vmcnt(26)
	v_fma_f32 v68, v71, v150, -v68
	v_fmac_f32_e32 v179, v72, v150
	v_add_f32_e32 v67, v67, v69
	v_add_f32_e32 v69, v70, v178
	;; [unrolled: 6-line block ×23, first 2 shown]
	v_mul_f32_e32 v70, v118, v146
	s_waitcnt vmcnt(4)
	v_fma_f32 v71, v115, v172, -v71
	v_mul_f32_e32 v202, v117, v146
	v_add_f32_e32 v67, v67, v69
	v_fmac_f32_e32 v201, v116, v172
	v_add_f32_e32 v68, v68, v200
	s_waitcnt lgkmcnt(0)
	v_mul_f32_e32 v69, v120, v147
	s_waitcnt vmcnt(3)
	v_fma_f32 v70, v117, v173, -v70
	v_add_f32_e32 v67, v67, v71
	v_mul_f32_e32 v203, v119, v147
	v_fmac_f32_e32 v202, v118, v173
	v_add_f32_e32 v68, v68, v201
	s_waitcnt vmcnt(2)
	v_fma_f32 v69, v119, v174, -v69
	v_add_f32_e32 v67, v67, v70
	v_fmac_f32_e32 v203, v120, v174
	v_add_f32_e32 v68, v68, v202
	v_add_f32_e32 v67, v67, v69
	;; [unrolled: 1-line block ×3, first 2 shown]
	s_waitcnt vmcnt(1)
	v_sub_f32_e32 v67, v175, v67
	s_waitcnt vmcnt(0)
	v_sub_f32_e32 v68, v176, v68
	buffer_store_dword v67, off, s[0:3], 0 offset:32
	buffer_store_dword v68, off, s[0:3], 0 offset:36
	v_cmpx_lt_u32_e32 3, v0
	s_cbranch_execz .LBB95_199
; %bb.198:
	s_clause 0x1
	buffer_load_dword v67, off, s[0:3], 0 offset:24
	buffer_load_dword v68, off, s[0:3], 0 offset:28
	buffer_store_dword v66, off, s[0:3], 0 offset:24
	buffer_store_dword v66, off, s[0:3], 0 offset:28
	s_waitcnt vmcnt(0)
	ds_write_b64 v65, v[67:68]
.LBB95_199:
	s_or_b32 exec_lo, exec_lo, s4
	s_waitcnt lgkmcnt(0)
	s_waitcnt_vscnt null, 0x0
	s_barrier
	buffer_gl0_inv
	s_clause 0x39
	buffer_load_dword v123, off, s[0:3], 0 offset:36
	buffer_load_dword v124, off, s[0:3], 0 offset:44
	;; [unrolled: 1-line block ×58, first 2 shown]
	ds_read_b128 v[67:70], v66 offset:288
	ds_read_b128 v[71:74], v66 offset:304
	;; [unrolled: 1-line block ×14, first 2 shown]
	s_mov_b32 s4, exec_lo
	s_waitcnt vmcnt(57) lgkmcnt(13)
	v_mul_f32_e32 v66, v67, v123
	v_mul_f32_e32 v123, v68, v123
	s_waitcnt vmcnt(56)
	v_mul_f32_e32 v181, v69, v124
	v_mul_f32_e32 v124, v70, v124
	s_waitcnt vmcnt(55) lgkmcnt(12)
	v_mul_f32_e32 v182, v71, v125
	s_waitcnt vmcnt(54)
	v_mul_f32_e32 v183, v73, v126
	s_waitcnt vmcnt(53) lgkmcnt(11)
	v_mul_f32_e32 v184, v75, v127
	s_waitcnt vmcnt(52)
	;; [unrolled: 4-line block ×12, first 2 shown]
	v_mul_f32_e32 v205, v117, v148
	s_waitcnt vmcnt(29)
	v_fma_f32 v67, v67, v151, -v123
	v_fmac_f32_e32 v66, v68, v151
	v_mul_f32_e32 v68, v72, v125
	s_waitcnt vmcnt(28)
	v_fma_f32 v69, v69, v152, -v124
	v_fmac_f32_e32 v181, v70, v152
	v_add_f32_e32 v67, 0, v67
	v_add_f32_e32 v66, 0, v66
	v_mul_f32_e32 v70, v74, v126
	s_waitcnt vmcnt(27)
	v_fma_f32 v68, v71, v153, -v68
	v_fmac_f32_e32 v182, v72, v153
	v_add_f32_e32 v67, v67, v69
	v_add_f32_e32 v66, v66, v181
	;; [unrolled: 6-line block ×24, first 2 shown]
	s_waitcnt lgkmcnt(0)
	v_mul_f32_e32 v68, v120, v149
	s_waitcnt vmcnt(4)
	v_fma_f32 v69, v117, v176, -v69
	v_mul_f32_e32 v206, v119, v149
	v_add_f32_e32 v67, v67, v70
	v_fmac_f32_e32 v205, v118, v176
	v_add_f32_e32 v66, v66, v204
	v_mul_f32_e32 v70, v122, v150
	s_waitcnt vmcnt(3)
	v_fma_f32 v68, v119, v177, -v68
	v_add_f32_e32 v67, v67, v69
	v_mul_f32_e32 v207, v121, v150
	v_fmac_f32_e32 v206, v120, v177
	v_add_f32_e32 v66, v66, v205
	s_waitcnt vmcnt(2)
	v_fma_f32 v69, v121, v178, -v70
	v_add_f32_e32 v67, v67, v68
	v_fmac_f32_e32 v207, v122, v178
	v_add_f32_e32 v66, v66, v206
	v_add_f32_e32 v67, v67, v69
	;; [unrolled: 1-line block ×3, first 2 shown]
	s_waitcnt vmcnt(1)
	v_sub_f32_e32 v67, v179, v67
	s_waitcnt vmcnt(0)
	v_sub_f32_e32 v66, v180, v66
	buffer_store_dword v67, off, s[0:3], 0 offset:24
	buffer_store_dword v66, off, s[0:3], 0 offset:28
	v_cmpx_lt_u32_e32 2, v0
	s_cbranch_execz .LBB95_201
; %bb.200:
	s_clause 0x1
	buffer_load_dword v66, off, s[0:3], 0 offset:16
	buffer_load_dword v67, off, s[0:3], 0 offset:20
	v_mov_b32_e32 v68, 0
	buffer_store_dword v68, off, s[0:3], 0 offset:16
	buffer_store_dword v68, off, s[0:3], 0 offset:20
	s_waitcnt vmcnt(0)
	ds_write_b64 v65, v[66:67]
.LBB95_201:
	s_or_b32 exec_lo, exec_lo, s4
	s_waitcnt lgkmcnt(0)
	s_waitcnt_vscnt null, 0x0
	s_barrier
	buffer_gl0_inv
	s_clause 0x3b
	buffer_load_dword v125, off, s[0:3], 0 offset:28
	buffer_load_dword v126, off, s[0:3], 0 offset:36
	;; [unrolled: 1-line block ×60, first 2 shown]
	v_mov_b32_e32 v66, 0
	ds_read2_b64 v[67:70], v66 offset0:35 offset1:36
	ds_read2_b64 v[71:74], v66 offset0:37 offset1:38
	;; [unrolled: 1-line block ×14, first 2 shown]
	ds_read_b64 v[123:124], v66 offset:504
	s_mov_b32 s4, exec_lo
	s_waitcnt vmcnt(59) lgkmcnt(14)
	v_mul_f32_e32 v185, v67, v125
	v_mul_f32_e32 v125, v68, v125
	s_waitcnt vmcnt(58)
	v_mul_f32_e32 v186, v69, v126
	v_mul_f32_e32 v126, v70, v126
	s_waitcnt vmcnt(57) lgkmcnt(13)
	v_mul_f32_e32 v187, v71, v127
	s_waitcnt vmcnt(56)
	v_mul_f32_e32 v188, v73, v128
	s_waitcnt vmcnt(55) lgkmcnt(12)
	v_mul_f32_e32 v189, v75, v129
	s_waitcnt vmcnt(54)
	;; [unrolled: 4-line block ×13, first 2 shown]
	v_fma_f32 v67, v67, v154, -v125
	v_fmac_f32_e32 v185, v68, v154
	v_mul_f32_e32 v68, v72, v127
	s_waitcnt vmcnt(29)
	v_fma_f32 v69, v69, v155, -v126
	v_fmac_f32_e32 v186, v70, v155
	v_add_f32_e32 v67, 0, v67
	v_add_f32_e32 v70, 0, v185
	v_mul_f32_e32 v125, v74, v128
	s_waitcnt vmcnt(28)
	v_fma_f32 v68, v71, v156, -v68
	v_fmac_f32_e32 v187, v72, v156
	v_add_f32_e32 v67, v67, v69
	v_add_f32_e32 v69, v70, v186
	;; [unrolled: 6-line block ×25, first 2 shown]
	v_mul_f32_e32 v71, v122, v152
	s_waitcnt vmcnt(4)
	v_fma_f32 v69, v119, v180, -v69
	v_mul_f32_e32 v212, v121, v152
	v_add_f32_e32 v67, v67, v70
	v_fmac_f32_e32 v211, v120, v180
	v_add_f32_e32 v68, v68, v210
	s_waitcnt lgkmcnt(0)
	v_mul_f32_e32 v70, v124, v153
	s_waitcnt vmcnt(3)
	v_fma_f32 v71, v121, v181, -v71
	v_add_f32_e32 v67, v67, v69
	v_mul_f32_e32 v213, v123, v153
	v_fmac_f32_e32 v212, v122, v181
	v_add_f32_e32 v68, v68, v211
	s_waitcnt vmcnt(2)
	v_fma_f32 v69, v123, v182, -v70
	v_add_f32_e32 v67, v67, v71
	v_fmac_f32_e32 v213, v124, v182
	v_add_f32_e32 v68, v68, v212
	v_add_f32_e32 v67, v67, v69
	;; [unrolled: 1-line block ×3, first 2 shown]
	s_waitcnt vmcnt(1)
	v_sub_f32_e32 v67, v183, v67
	s_waitcnt vmcnt(0)
	v_sub_f32_e32 v68, v184, v68
	buffer_store_dword v67, off, s[0:3], 0 offset:16
	buffer_store_dword v68, off, s[0:3], 0 offset:20
	v_cmpx_lt_u32_e32 1, v0
	s_cbranch_execz .LBB95_203
; %bb.202:
	s_clause 0x1
	buffer_load_dword v67, off, s[0:3], 0 offset:8
	buffer_load_dword v68, off, s[0:3], 0 offset:12
	buffer_store_dword v66, off, s[0:3], 0 offset:8
	buffer_store_dword v66, off, s[0:3], 0 offset:12
	s_waitcnt vmcnt(0)
	ds_write_b64 v65, v[67:68]
.LBB95_203:
	s_or_b32 exec_lo, exec_lo, s4
	s_waitcnt lgkmcnt(0)
	s_waitcnt_vscnt null, 0x0
	s_barrier
	buffer_gl0_inv
	s_clause 0x3d
	buffer_load_dword v127, off, s[0:3], 0 offset:20
	buffer_load_dword v128, off, s[0:3], 0 offset:28
	;; [unrolled: 1-line block ×62, first 2 shown]
	ds_read_b128 v[67:70], v66 offset:272
	ds_read_b128 v[71:74], v66 offset:288
	;; [unrolled: 1-line block ×15, first 2 shown]
	s_mov_b32 s4, exec_lo
	s_waitcnt vmcnt(61) lgkmcnt(14)
	v_mul_f32_e32 v66, v67, v127
	v_mul_f32_e32 v127, v68, v127
	s_waitcnt vmcnt(60)
	v_mul_f32_e32 v189, v69, v128
	v_mul_f32_e32 v128, v70, v128
	s_waitcnt vmcnt(59) lgkmcnt(13)
	v_mul_f32_e32 v190, v71, v129
	s_waitcnt vmcnt(58)
	v_mul_f32_e32 v191, v73, v130
	s_waitcnt vmcnt(57) lgkmcnt(12)
	v_mul_f32_e32 v192, v75, v131
	s_waitcnt vmcnt(56)
	;; [unrolled: 4-line block ×13, first 2 shown]
	v_mul_f32_e32 v215, v121, v154
	s_waitcnt vmcnt(31)
	v_fma_f32 v67, v67, v157, -v127
	v_fmac_f32_e32 v66, v68, v157
	v_mul_f32_e32 v68, v72, v129
	s_waitcnt vmcnt(30)
	v_fma_f32 v69, v69, v158, -v128
	v_fmac_f32_e32 v189, v70, v158
	v_add_f32_e32 v67, 0, v67
	v_add_f32_e32 v66, 0, v66
	v_mul_f32_e32 v70, v74, v130
	s_waitcnt vmcnt(29)
	v_fma_f32 v68, v71, v159, -v68
	v_fmac_f32_e32 v190, v72, v159
	v_add_f32_e32 v67, v67, v69
	v_add_f32_e32 v66, v66, v189
	;; [unrolled: 6-line block ×26, first 2 shown]
	s_waitcnt lgkmcnt(0)
	v_mul_f32_e32 v69, v124, v155
	s_waitcnt vmcnt(4)
	v_fma_f32 v70, v121, v184, -v70
	v_mul_f32_e32 v216, v123, v155
	v_add_f32_e32 v67, v67, v68
	v_fmac_f32_e32 v215, v122, v184
	v_add_f32_e32 v66, v66, v214
	v_mul_f32_e32 v68, v126, v156
	s_waitcnt vmcnt(3)
	v_fma_f32 v69, v123, v185, -v69
	v_add_f32_e32 v67, v67, v70
	v_mul_f32_e32 v217, v125, v156
	v_fmac_f32_e32 v216, v124, v185
	v_add_f32_e32 v66, v66, v215
	s_waitcnt vmcnt(2)
	v_fma_f32 v68, v125, v186, -v68
	v_add_f32_e32 v67, v67, v69
	v_fmac_f32_e32 v217, v126, v186
	v_add_f32_e32 v66, v66, v216
	v_add_f32_e32 v67, v67, v68
	;; [unrolled: 1-line block ×3, first 2 shown]
	s_waitcnt vmcnt(1)
	v_sub_f32_e32 v67, v187, v67
	s_waitcnt vmcnt(0)
	v_sub_f32_e32 v66, v188, v66
	buffer_store_dword v67, off, s[0:3], 0 offset:8
	buffer_store_dword v66, off, s[0:3], 0 offset:12
	v_cmpx_ne_u32_e32 0, v0
	s_cbranch_execz .LBB95_205
; %bb.204:
	s_clause 0x1
	buffer_load_dword v66, off, s[0:3], 0
	buffer_load_dword v67, off, s[0:3], 0 offset:4
	v_mov_b32_e32 v0, 0
	buffer_store_dword v0, off, s[0:3], 0
	buffer_store_dword v0, off, s[0:3], 0 offset:4
	s_waitcnt vmcnt(0)
	ds_write_b64 v65, v[66:67]
.LBB95_205:
	s_or_b32 exec_lo, exec_lo, s4
	s_waitcnt lgkmcnt(0)
	s_waitcnt_vscnt null, 0x0
	s_barrier
	buffer_gl0_inv
	s_clause 0x3e
	buffer_load_dword v127, off, s[0:3], 0 offset:12
	buffer_load_dword v128, off, s[0:3], 0 offset:20
	;; [unrolled: 1-line block ×62, first 2 shown]
	buffer_load_dword v189, off, s[0:3], 0
	buffer_load_dword v190, off, s[0:3], 0 offset:4
	v_mov_b32_e32 v0, 0
	ds_read2_b64 v[65:68], v0 offset0:33 offset1:34
	ds_read2_b64 v[69:72], v0 offset0:35 offset1:36
	;; [unrolled: 1-line block ×15, first 2 shown]
	ds_read_b64 v[125:126], v0 offset:504
	s_and_b32 vcc_lo, exec_lo, s16
	s_waitcnt vmcnt(62) lgkmcnt(15)
	v_mul_f32_e32 v191, v65, v127
	v_mul_f32_e32 v127, v66, v127
	;; [unrolled: 1-line block ×4, first 2 shown]
	s_waitcnt vmcnt(61) lgkmcnt(14)
	v_mul_f32_e32 v193, v69, v129
	s_waitcnt vmcnt(60)
	v_mul_f32_e32 v194, v71, v130
	s_waitcnt vmcnt(59) lgkmcnt(13)
	v_mul_f32_e32 v195, v73, v131
	s_waitcnt vmcnt(58)
	v_mul_f32_e32 v196, v75, v132
	;; [unrolled: 4-line block ×13, first 2 shown]
	s_waitcnt vmcnt(35) lgkmcnt(1)
	v_mul_f32_e32 v219, v121, v155
	s_waitcnt vmcnt(32)
	v_fma_f32 v65, v65, v158, -v127
	v_fmac_f32_e32 v191, v66, v158
	v_mul_f32_e32 v66, v70, v129
	s_waitcnt vmcnt(31)
	v_fma_f32 v67, v67, v159, -v128
	v_fmac_f32_e32 v192, v68, v159
	v_add_f32_e32 v65, 0, v65
	v_add_f32_e32 v68, 0, v191
	v_mul_f32_e32 v127, v72, v130
	s_waitcnt vmcnt(30)
	v_fma_f32 v66, v69, v160, -v66
	v_fmac_f32_e32 v193, v70, v160
	v_add_f32_e32 v65, v65, v67
	v_add_f32_e32 v67, v68, v192
	;; [unrolled: 6-line block ×27, first 2 shown]
	v_mul_f32_e32 v67, v124, v156
	s_waitcnt vmcnt(4)
	v_fma_f32 v68, v121, v186, -v68
	v_mul_f32_e32 v220, v123, v156
	v_add_f32_e32 v65, v65, v69
	v_fmac_f32_e32 v219, v122, v186
	v_add_f32_e32 v66, v66, v218
	s_waitcnt lgkmcnt(0)
	v_mul_f32_e32 v69, v126, v157
	s_waitcnt vmcnt(3)
	v_fma_f32 v67, v123, v187, -v67
	v_add_f32_e32 v65, v65, v68
	v_mul_f32_e32 v221, v125, v157
	v_fmac_f32_e32 v220, v124, v187
	v_add_f32_e32 v66, v66, v219
	s_waitcnt vmcnt(2)
	v_fma_f32 v68, v125, v188, -v69
	v_add_f32_e32 v65, v65, v67
	v_fmac_f32_e32 v221, v126, v188
	v_add_f32_e32 v66, v66, v220
	v_add_f32_e32 v65, v65, v68
	;; [unrolled: 1-line block ×3, first 2 shown]
	s_waitcnt vmcnt(1)
	v_sub_f32_e32 v65, v189, v65
	s_waitcnt vmcnt(0)
	v_sub_f32_e32 v66, v190, v66
	buffer_store_dword v65, off, s[0:3], 0
	buffer_store_dword v66, off, s[0:3], 0 offset:4
	s_cbranch_vccz .LBB95_268
; %bb.206:
	global_load_dword v0, v0, s[12:13] offset:120
	s_waitcnt vmcnt(0)
	v_add_nc_u32_e32 v0, -1, v0
	v_cmp_ne_u32_e32 vcc_lo, 30, v0
	s_cbranch_vccz .LBB95_208
; %bb.207:
	v_lshlrev_b32_e32 v0, 3, v0
	s_clause 0x3
	buffer_load_dword v65, v0, s[0:3], 0 offen
	buffer_load_dword v66, v0, s[0:3], 0 offen offset:4
	buffer_load_dword v67, off, s[0:3], 0 offset:244
	buffer_load_dword v68, off, s[0:3], 0 offset:240
	s_waitcnt vmcnt(3)
	buffer_store_dword v65, off, s[0:3], 0 offset:240
	s_waitcnt vmcnt(2)
	buffer_store_dword v66, off, s[0:3], 0 offset:244
	s_waitcnt vmcnt(1)
	buffer_store_dword v67, v0, s[0:3], 0 offen offset:4
	s_waitcnt vmcnt(0)
	buffer_store_dword v68, v0, s[0:3], 0 offen
.LBB95_208:
	v_mov_b32_e32 v0, 0
	global_load_dword v65, v0, s[12:13] offset:116
	s_waitcnt vmcnt(0)
	v_add_nc_u32_e32 v65, -1, v65
	v_cmp_eq_u32_e32 vcc_lo, 29, v65
	s_cbranch_vccnz .LBB95_210
; %bb.209:
	v_lshlrev_b32_e32 v65, 3, v65
	s_clause 0x3
	buffer_load_dword v66, v65, s[0:3], 0 offen
	buffer_load_dword v67, v65, s[0:3], 0 offen offset:4
	buffer_load_dword v68, off, s[0:3], 0 offset:232
	buffer_load_dword v69, off, s[0:3], 0 offset:236
	s_waitcnt vmcnt(3)
	buffer_store_dword v66, off, s[0:3], 0 offset:232
	s_waitcnt vmcnt(2)
	buffer_store_dword v67, off, s[0:3], 0 offset:236
	s_waitcnt vmcnt(1)
	buffer_store_dword v68, v65, s[0:3], 0 offen
	s_waitcnt vmcnt(0)
	buffer_store_dword v69, v65, s[0:3], 0 offen offset:4
.LBB95_210:
	global_load_dword v0, v0, s[12:13] offset:112
	s_waitcnt vmcnt(0)
	v_add_nc_u32_e32 v0, -1, v0
	v_cmp_eq_u32_e32 vcc_lo, 28, v0
	s_cbranch_vccnz .LBB95_212
; %bb.211:
	v_lshlrev_b32_e32 v0, 3, v0
	s_clause 0x3
	buffer_load_dword v65, v0, s[0:3], 0 offen
	buffer_load_dword v66, v0, s[0:3], 0 offen offset:4
	buffer_load_dword v67, off, s[0:3], 0 offset:228
	buffer_load_dword v68, off, s[0:3], 0 offset:224
	s_waitcnt vmcnt(3)
	buffer_store_dword v65, off, s[0:3], 0 offset:224
	s_waitcnt vmcnt(2)
	buffer_store_dword v66, off, s[0:3], 0 offset:228
	s_waitcnt vmcnt(1)
	buffer_store_dword v67, v0, s[0:3], 0 offen offset:4
	s_waitcnt vmcnt(0)
	buffer_store_dword v68, v0, s[0:3], 0 offen
.LBB95_212:
	v_mov_b32_e32 v0, 0
	global_load_dword v65, v0, s[12:13] offset:108
	s_waitcnt vmcnt(0)
	v_add_nc_u32_e32 v65, -1, v65
	v_cmp_eq_u32_e32 vcc_lo, 27, v65
	s_cbranch_vccnz .LBB95_214
; %bb.213:
	v_lshlrev_b32_e32 v65, 3, v65
	s_clause 0x3
	buffer_load_dword v66, v65, s[0:3], 0 offen
	buffer_load_dword v67, v65, s[0:3], 0 offen offset:4
	buffer_load_dword v68, off, s[0:3], 0 offset:216
	buffer_load_dword v69, off, s[0:3], 0 offset:220
	s_waitcnt vmcnt(3)
	buffer_store_dword v66, off, s[0:3], 0 offset:216
	s_waitcnt vmcnt(2)
	buffer_store_dword v67, off, s[0:3], 0 offset:220
	s_waitcnt vmcnt(1)
	buffer_store_dword v68, v65, s[0:3], 0 offen
	s_waitcnt vmcnt(0)
	buffer_store_dword v69, v65, s[0:3], 0 offen offset:4
.LBB95_214:
	global_load_dword v0, v0, s[12:13] offset:104
	s_waitcnt vmcnt(0)
	v_add_nc_u32_e32 v0, -1, v0
	v_cmp_eq_u32_e32 vcc_lo, 26, v0
	s_cbranch_vccnz .LBB95_216
; %bb.215:
	v_lshlrev_b32_e32 v0, 3, v0
	s_clause 0x3
	buffer_load_dword v65, v0, s[0:3], 0 offen
	buffer_load_dword v66, v0, s[0:3], 0 offen offset:4
	buffer_load_dword v67, off, s[0:3], 0 offset:212
	buffer_load_dword v68, off, s[0:3], 0 offset:208
	s_waitcnt vmcnt(3)
	buffer_store_dword v65, off, s[0:3], 0 offset:208
	s_waitcnt vmcnt(2)
	buffer_store_dword v66, off, s[0:3], 0 offset:212
	s_waitcnt vmcnt(1)
	buffer_store_dword v67, v0, s[0:3], 0 offen offset:4
	s_waitcnt vmcnt(0)
	buffer_store_dword v68, v0, s[0:3], 0 offen
.LBB95_216:
	v_mov_b32_e32 v0, 0
	global_load_dword v65, v0, s[12:13] offset:100
	s_waitcnt vmcnt(0)
	v_add_nc_u32_e32 v65, -1, v65
	v_cmp_eq_u32_e32 vcc_lo, 25, v65
	s_cbranch_vccnz .LBB95_218
; %bb.217:
	v_lshlrev_b32_e32 v65, 3, v65
	s_clause 0x3
	buffer_load_dword v66, v65, s[0:3], 0 offen
	buffer_load_dword v67, v65, s[0:3], 0 offen offset:4
	buffer_load_dword v68, off, s[0:3], 0 offset:200
	buffer_load_dword v69, off, s[0:3], 0 offset:204
	s_waitcnt vmcnt(3)
	buffer_store_dword v66, off, s[0:3], 0 offset:200
	s_waitcnt vmcnt(2)
	buffer_store_dword v67, off, s[0:3], 0 offset:204
	s_waitcnt vmcnt(1)
	buffer_store_dword v68, v65, s[0:3], 0 offen
	s_waitcnt vmcnt(0)
	buffer_store_dword v69, v65, s[0:3], 0 offen offset:4
.LBB95_218:
	global_load_dword v0, v0, s[12:13] offset:96
	s_waitcnt vmcnt(0)
	v_add_nc_u32_e32 v0, -1, v0
	v_cmp_eq_u32_e32 vcc_lo, 24, v0
	s_cbranch_vccnz .LBB95_220
; %bb.219:
	v_lshlrev_b32_e32 v0, 3, v0
	s_clause 0x3
	buffer_load_dword v65, v0, s[0:3], 0 offen
	buffer_load_dword v66, v0, s[0:3], 0 offen offset:4
	buffer_load_dword v67, off, s[0:3], 0 offset:196
	buffer_load_dword v68, off, s[0:3], 0 offset:192
	s_waitcnt vmcnt(3)
	buffer_store_dword v65, off, s[0:3], 0 offset:192
	s_waitcnt vmcnt(2)
	buffer_store_dword v66, off, s[0:3], 0 offset:196
	s_waitcnt vmcnt(1)
	buffer_store_dword v67, v0, s[0:3], 0 offen offset:4
	s_waitcnt vmcnt(0)
	buffer_store_dword v68, v0, s[0:3], 0 offen
.LBB95_220:
	v_mov_b32_e32 v0, 0
	global_load_dword v65, v0, s[12:13] offset:92
	s_waitcnt vmcnt(0)
	v_add_nc_u32_e32 v65, -1, v65
	v_cmp_eq_u32_e32 vcc_lo, 23, v65
	s_cbranch_vccnz .LBB95_222
; %bb.221:
	v_lshlrev_b32_e32 v65, 3, v65
	s_clause 0x3
	buffer_load_dword v66, v65, s[0:3], 0 offen
	buffer_load_dword v67, v65, s[0:3], 0 offen offset:4
	buffer_load_dword v68, off, s[0:3], 0 offset:184
	buffer_load_dword v69, off, s[0:3], 0 offset:188
	s_waitcnt vmcnt(3)
	buffer_store_dword v66, off, s[0:3], 0 offset:184
	s_waitcnt vmcnt(2)
	buffer_store_dword v67, off, s[0:3], 0 offset:188
	s_waitcnt vmcnt(1)
	buffer_store_dword v68, v65, s[0:3], 0 offen
	s_waitcnt vmcnt(0)
	buffer_store_dword v69, v65, s[0:3], 0 offen offset:4
.LBB95_222:
	global_load_dword v0, v0, s[12:13] offset:88
	s_waitcnt vmcnt(0)
	v_add_nc_u32_e32 v0, -1, v0
	v_cmp_eq_u32_e32 vcc_lo, 22, v0
	s_cbranch_vccnz .LBB95_224
; %bb.223:
	v_lshlrev_b32_e32 v0, 3, v0
	s_clause 0x3
	buffer_load_dword v65, v0, s[0:3], 0 offen
	buffer_load_dword v66, v0, s[0:3], 0 offen offset:4
	buffer_load_dword v67, off, s[0:3], 0 offset:180
	buffer_load_dword v68, off, s[0:3], 0 offset:176
	s_waitcnt vmcnt(3)
	buffer_store_dword v65, off, s[0:3], 0 offset:176
	s_waitcnt vmcnt(2)
	buffer_store_dword v66, off, s[0:3], 0 offset:180
	s_waitcnt vmcnt(1)
	buffer_store_dword v67, v0, s[0:3], 0 offen offset:4
	s_waitcnt vmcnt(0)
	buffer_store_dword v68, v0, s[0:3], 0 offen
.LBB95_224:
	v_mov_b32_e32 v0, 0
	global_load_dword v65, v0, s[12:13] offset:84
	s_waitcnt vmcnt(0)
	v_add_nc_u32_e32 v65, -1, v65
	v_cmp_eq_u32_e32 vcc_lo, 21, v65
	s_cbranch_vccnz .LBB95_226
; %bb.225:
	v_lshlrev_b32_e32 v65, 3, v65
	s_clause 0x3
	buffer_load_dword v66, v65, s[0:3], 0 offen
	buffer_load_dword v67, v65, s[0:3], 0 offen offset:4
	buffer_load_dword v68, off, s[0:3], 0 offset:168
	buffer_load_dword v69, off, s[0:3], 0 offset:172
	s_waitcnt vmcnt(3)
	buffer_store_dword v66, off, s[0:3], 0 offset:168
	s_waitcnt vmcnt(2)
	buffer_store_dword v67, off, s[0:3], 0 offset:172
	s_waitcnt vmcnt(1)
	buffer_store_dword v68, v65, s[0:3], 0 offen
	s_waitcnt vmcnt(0)
	buffer_store_dword v69, v65, s[0:3], 0 offen offset:4
.LBB95_226:
	global_load_dword v0, v0, s[12:13] offset:80
	s_waitcnt vmcnt(0)
	v_add_nc_u32_e32 v0, -1, v0
	v_cmp_eq_u32_e32 vcc_lo, 20, v0
	s_cbranch_vccnz .LBB95_228
; %bb.227:
	v_lshlrev_b32_e32 v0, 3, v0
	s_clause 0x3
	buffer_load_dword v65, v0, s[0:3], 0 offen
	buffer_load_dword v66, v0, s[0:3], 0 offen offset:4
	buffer_load_dword v67, off, s[0:3], 0 offset:164
	buffer_load_dword v68, off, s[0:3], 0 offset:160
	s_waitcnt vmcnt(3)
	buffer_store_dword v65, off, s[0:3], 0 offset:160
	s_waitcnt vmcnt(2)
	buffer_store_dword v66, off, s[0:3], 0 offset:164
	s_waitcnt vmcnt(1)
	buffer_store_dword v67, v0, s[0:3], 0 offen offset:4
	s_waitcnt vmcnt(0)
	buffer_store_dword v68, v0, s[0:3], 0 offen
.LBB95_228:
	v_mov_b32_e32 v0, 0
	global_load_dword v65, v0, s[12:13] offset:76
	s_waitcnt vmcnt(0)
	v_add_nc_u32_e32 v65, -1, v65
	v_cmp_eq_u32_e32 vcc_lo, 19, v65
	s_cbranch_vccnz .LBB95_230
; %bb.229:
	v_lshlrev_b32_e32 v65, 3, v65
	s_clause 0x3
	buffer_load_dword v66, v65, s[0:3], 0 offen
	buffer_load_dword v67, v65, s[0:3], 0 offen offset:4
	buffer_load_dword v68, off, s[0:3], 0 offset:152
	buffer_load_dword v69, off, s[0:3], 0 offset:156
	s_waitcnt vmcnt(3)
	buffer_store_dword v66, off, s[0:3], 0 offset:152
	s_waitcnt vmcnt(2)
	buffer_store_dword v67, off, s[0:3], 0 offset:156
	s_waitcnt vmcnt(1)
	buffer_store_dword v68, v65, s[0:3], 0 offen
	s_waitcnt vmcnt(0)
	buffer_store_dword v69, v65, s[0:3], 0 offen offset:4
.LBB95_230:
	global_load_dword v0, v0, s[12:13] offset:72
	s_waitcnt vmcnt(0)
	v_add_nc_u32_e32 v0, -1, v0
	v_cmp_eq_u32_e32 vcc_lo, 18, v0
	s_cbranch_vccnz .LBB95_232
; %bb.231:
	v_lshlrev_b32_e32 v0, 3, v0
	s_clause 0x3
	buffer_load_dword v65, v0, s[0:3], 0 offen
	buffer_load_dword v66, v0, s[0:3], 0 offen offset:4
	buffer_load_dword v67, off, s[0:3], 0 offset:148
	buffer_load_dword v68, off, s[0:3], 0 offset:144
	s_waitcnt vmcnt(3)
	buffer_store_dword v65, off, s[0:3], 0 offset:144
	s_waitcnt vmcnt(2)
	buffer_store_dword v66, off, s[0:3], 0 offset:148
	s_waitcnt vmcnt(1)
	buffer_store_dword v67, v0, s[0:3], 0 offen offset:4
	s_waitcnt vmcnt(0)
	buffer_store_dword v68, v0, s[0:3], 0 offen
.LBB95_232:
	v_mov_b32_e32 v0, 0
	global_load_dword v65, v0, s[12:13] offset:68
	s_waitcnt vmcnt(0)
	v_add_nc_u32_e32 v65, -1, v65
	v_cmp_eq_u32_e32 vcc_lo, 17, v65
	s_cbranch_vccnz .LBB95_234
; %bb.233:
	v_lshlrev_b32_e32 v65, 3, v65
	s_clause 0x3
	buffer_load_dword v66, v65, s[0:3], 0 offen
	buffer_load_dword v67, v65, s[0:3], 0 offen offset:4
	buffer_load_dword v68, off, s[0:3], 0 offset:136
	buffer_load_dword v69, off, s[0:3], 0 offset:140
	s_waitcnt vmcnt(3)
	buffer_store_dword v66, off, s[0:3], 0 offset:136
	s_waitcnt vmcnt(2)
	buffer_store_dword v67, off, s[0:3], 0 offset:140
	s_waitcnt vmcnt(1)
	buffer_store_dword v68, v65, s[0:3], 0 offen
	s_waitcnt vmcnt(0)
	buffer_store_dword v69, v65, s[0:3], 0 offen offset:4
.LBB95_234:
	global_load_dword v0, v0, s[12:13] offset:64
	s_waitcnt vmcnt(0)
	v_add_nc_u32_e32 v0, -1, v0
	v_cmp_eq_u32_e32 vcc_lo, 16, v0
	s_cbranch_vccnz .LBB95_236
; %bb.235:
	v_lshlrev_b32_e32 v0, 3, v0
	s_clause 0x3
	buffer_load_dword v65, v0, s[0:3], 0 offen
	buffer_load_dword v66, v0, s[0:3], 0 offen offset:4
	buffer_load_dword v67, off, s[0:3], 0 offset:132
	buffer_load_dword v68, off, s[0:3], 0 offset:128
	s_waitcnt vmcnt(3)
	buffer_store_dword v65, off, s[0:3], 0 offset:128
	s_waitcnt vmcnt(2)
	buffer_store_dword v66, off, s[0:3], 0 offset:132
	s_waitcnt vmcnt(1)
	buffer_store_dword v67, v0, s[0:3], 0 offen offset:4
	s_waitcnt vmcnt(0)
	buffer_store_dword v68, v0, s[0:3], 0 offen
.LBB95_236:
	v_mov_b32_e32 v0, 0
	global_load_dword v65, v0, s[12:13] offset:60
	s_waitcnt vmcnt(0)
	v_add_nc_u32_e32 v65, -1, v65
	v_cmp_eq_u32_e32 vcc_lo, 15, v65
	s_cbranch_vccnz .LBB95_238
; %bb.237:
	v_lshlrev_b32_e32 v65, 3, v65
	s_clause 0x3
	buffer_load_dword v66, v65, s[0:3], 0 offen
	buffer_load_dword v67, v65, s[0:3], 0 offen offset:4
	buffer_load_dword v68, off, s[0:3], 0 offset:120
	buffer_load_dword v69, off, s[0:3], 0 offset:124
	s_waitcnt vmcnt(3)
	buffer_store_dword v66, off, s[0:3], 0 offset:120
	s_waitcnt vmcnt(2)
	buffer_store_dword v67, off, s[0:3], 0 offset:124
	s_waitcnt vmcnt(1)
	buffer_store_dword v68, v65, s[0:3], 0 offen
	s_waitcnt vmcnt(0)
	buffer_store_dword v69, v65, s[0:3], 0 offen offset:4
.LBB95_238:
	global_load_dword v0, v0, s[12:13] offset:56
	s_waitcnt vmcnt(0)
	v_add_nc_u32_e32 v0, -1, v0
	v_cmp_eq_u32_e32 vcc_lo, 14, v0
	s_cbranch_vccnz .LBB95_240
; %bb.239:
	v_lshlrev_b32_e32 v0, 3, v0
	s_clause 0x3
	buffer_load_dword v65, v0, s[0:3], 0 offen
	buffer_load_dword v66, v0, s[0:3], 0 offen offset:4
	buffer_load_dword v67, off, s[0:3], 0 offset:116
	buffer_load_dword v68, off, s[0:3], 0 offset:112
	s_waitcnt vmcnt(3)
	buffer_store_dword v65, off, s[0:3], 0 offset:112
	s_waitcnt vmcnt(2)
	buffer_store_dword v66, off, s[0:3], 0 offset:116
	s_waitcnt vmcnt(1)
	buffer_store_dword v67, v0, s[0:3], 0 offen offset:4
	s_waitcnt vmcnt(0)
	buffer_store_dword v68, v0, s[0:3], 0 offen
.LBB95_240:
	v_mov_b32_e32 v0, 0
	global_load_dword v65, v0, s[12:13] offset:52
	s_waitcnt vmcnt(0)
	v_add_nc_u32_e32 v65, -1, v65
	v_cmp_eq_u32_e32 vcc_lo, 13, v65
	s_cbranch_vccnz .LBB95_242
; %bb.241:
	v_lshlrev_b32_e32 v65, 3, v65
	s_clause 0x3
	buffer_load_dword v66, v65, s[0:3], 0 offen
	buffer_load_dword v67, v65, s[0:3], 0 offen offset:4
	buffer_load_dword v68, off, s[0:3], 0 offset:104
	buffer_load_dword v69, off, s[0:3], 0 offset:108
	s_waitcnt vmcnt(3)
	buffer_store_dword v66, off, s[0:3], 0 offset:104
	s_waitcnt vmcnt(2)
	buffer_store_dword v67, off, s[0:3], 0 offset:108
	s_waitcnt vmcnt(1)
	buffer_store_dword v68, v65, s[0:3], 0 offen
	s_waitcnt vmcnt(0)
	buffer_store_dword v69, v65, s[0:3], 0 offen offset:4
.LBB95_242:
	global_load_dword v0, v0, s[12:13] offset:48
	s_waitcnt vmcnt(0)
	v_add_nc_u32_e32 v0, -1, v0
	v_cmp_eq_u32_e32 vcc_lo, 12, v0
	s_cbranch_vccnz .LBB95_244
; %bb.243:
	v_lshlrev_b32_e32 v0, 3, v0
	s_clause 0x3
	buffer_load_dword v65, v0, s[0:3], 0 offen
	buffer_load_dword v66, v0, s[0:3], 0 offen offset:4
	buffer_load_dword v67, off, s[0:3], 0 offset:100
	buffer_load_dword v68, off, s[0:3], 0 offset:96
	s_waitcnt vmcnt(3)
	buffer_store_dword v65, off, s[0:3], 0 offset:96
	s_waitcnt vmcnt(2)
	buffer_store_dword v66, off, s[0:3], 0 offset:100
	s_waitcnt vmcnt(1)
	buffer_store_dword v67, v0, s[0:3], 0 offen offset:4
	s_waitcnt vmcnt(0)
	buffer_store_dword v68, v0, s[0:3], 0 offen
.LBB95_244:
	v_mov_b32_e32 v0, 0
	global_load_dword v65, v0, s[12:13] offset:44
	s_waitcnt vmcnt(0)
	v_add_nc_u32_e32 v65, -1, v65
	v_cmp_eq_u32_e32 vcc_lo, 11, v65
	s_cbranch_vccnz .LBB95_246
; %bb.245:
	v_lshlrev_b32_e32 v65, 3, v65
	s_clause 0x3
	buffer_load_dword v66, v65, s[0:3], 0 offen
	buffer_load_dword v67, v65, s[0:3], 0 offen offset:4
	buffer_load_dword v68, off, s[0:3], 0 offset:88
	buffer_load_dword v69, off, s[0:3], 0 offset:92
	s_waitcnt vmcnt(3)
	buffer_store_dword v66, off, s[0:3], 0 offset:88
	s_waitcnt vmcnt(2)
	buffer_store_dword v67, off, s[0:3], 0 offset:92
	s_waitcnt vmcnt(1)
	buffer_store_dword v68, v65, s[0:3], 0 offen
	s_waitcnt vmcnt(0)
	buffer_store_dword v69, v65, s[0:3], 0 offen offset:4
.LBB95_246:
	global_load_dword v0, v0, s[12:13] offset:40
	s_waitcnt vmcnt(0)
	v_add_nc_u32_e32 v0, -1, v0
	v_cmp_eq_u32_e32 vcc_lo, 10, v0
	s_cbranch_vccnz .LBB95_248
; %bb.247:
	v_lshlrev_b32_e32 v0, 3, v0
	s_clause 0x3
	buffer_load_dword v65, v0, s[0:3], 0 offen
	buffer_load_dword v66, v0, s[0:3], 0 offen offset:4
	buffer_load_dword v67, off, s[0:3], 0 offset:84
	buffer_load_dword v68, off, s[0:3], 0 offset:80
	s_waitcnt vmcnt(3)
	buffer_store_dword v65, off, s[0:3], 0 offset:80
	s_waitcnt vmcnt(2)
	buffer_store_dword v66, off, s[0:3], 0 offset:84
	s_waitcnt vmcnt(1)
	buffer_store_dword v67, v0, s[0:3], 0 offen offset:4
	s_waitcnt vmcnt(0)
	buffer_store_dword v68, v0, s[0:3], 0 offen
.LBB95_248:
	v_mov_b32_e32 v0, 0
	global_load_dword v65, v0, s[12:13] offset:36
	s_waitcnt vmcnt(0)
	v_add_nc_u32_e32 v65, -1, v65
	v_cmp_eq_u32_e32 vcc_lo, 9, v65
	s_cbranch_vccnz .LBB95_250
; %bb.249:
	v_lshlrev_b32_e32 v65, 3, v65
	s_clause 0x3
	buffer_load_dword v66, v65, s[0:3], 0 offen
	buffer_load_dword v67, v65, s[0:3], 0 offen offset:4
	buffer_load_dword v68, off, s[0:3], 0 offset:72
	buffer_load_dword v69, off, s[0:3], 0 offset:76
	s_waitcnt vmcnt(3)
	buffer_store_dword v66, off, s[0:3], 0 offset:72
	s_waitcnt vmcnt(2)
	buffer_store_dword v67, off, s[0:3], 0 offset:76
	s_waitcnt vmcnt(1)
	buffer_store_dword v68, v65, s[0:3], 0 offen
	s_waitcnt vmcnt(0)
	buffer_store_dword v69, v65, s[0:3], 0 offen offset:4
.LBB95_250:
	global_load_dword v0, v0, s[12:13] offset:32
	s_waitcnt vmcnt(0)
	v_add_nc_u32_e32 v0, -1, v0
	v_cmp_eq_u32_e32 vcc_lo, 8, v0
	s_cbranch_vccnz .LBB95_252
; %bb.251:
	v_lshlrev_b32_e32 v0, 3, v0
	s_clause 0x3
	buffer_load_dword v65, v0, s[0:3], 0 offen
	buffer_load_dword v66, v0, s[0:3], 0 offen offset:4
	buffer_load_dword v67, off, s[0:3], 0 offset:68
	buffer_load_dword v68, off, s[0:3], 0 offset:64
	s_waitcnt vmcnt(3)
	buffer_store_dword v65, off, s[0:3], 0 offset:64
	s_waitcnt vmcnt(2)
	buffer_store_dword v66, off, s[0:3], 0 offset:68
	s_waitcnt vmcnt(1)
	buffer_store_dword v67, v0, s[0:3], 0 offen offset:4
	s_waitcnt vmcnt(0)
	buffer_store_dword v68, v0, s[0:3], 0 offen
.LBB95_252:
	v_mov_b32_e32 v0, 0
	global_load_dword v65, v0, s[12:13] offset:28
	s_waitcnt vmcnt(0)
	v_add_nc_u32_e32 v65, -1, v65
	v_cmp_eq_u32_e32 vcc_lo, 7, v65
	s_cbranch_vccnz .LBB95_254
; %bb.253:
	v_lshlrev_b32_e32 v65, 3, v65
	s_clause 0x3
	buffer_load_dword v66, v65, s[0:3], 0 offen
	buffer_load_dword v67, v65, s[0:3], 0 offen offset:4
	buffer_load_dword v68, off, s[0:3], 0 offset:56
	buffer_load_dword v69, off, s[0:3], 0 offset:60
	s_waitcnt vmcnt(3)
	buffer_store_dword v66, off, s[0:3], 0 offset:56
	s_waitcnt vmcnt(2)
	buffer_store_dword v67, off, s[0:3], 0 offset:60
	s_waitcnt vmcnt(1)
	buffer_store_dword v68, v65, s[0:3], 0 offen
	s_waitcnt vmcnt(0)
	buffer_store_dword v69, v65, s[0:3], 0 offen offset:4
.LBB95_254:
	global_load_dword v0, v0, s[12:13] offset:24
	s_waitcnt vmcnt(0)
	v_add_nc_u32_e32 v0, -1, v0
	v_cmp_eq_u32_e32 vcc_lo, 6, v0
	s_cbranch_vccnz .LBB95_256
; %bb.255:
	v_lshlrev_b32_e32 v0, 3, v0
	s_clause 0x3
	buffer_load_dword v65, v0, s[0:3], 0 offen
	buffer_load_dword v66, v0, s[0:3], 0 offen offset:4
	buffer_load_dword v67, off, s[0:3], 0 offset:52
	buffer_load_dword v68, off, s[0:3], 0 offset:48
	s_waitcnt vmcnt(3)
	buffer_store_dword v65, off, s[0:3], 0 offset:48
	s_waitcnt vmcnt(2)
	buffer_store_dword v66, off, s[0:3], 0 offset:52
	s_waitcnt vmcnt(1)
	buffer_store_dword v67, v0, s[0:3], 0 offen offset:4
	s_waitcnt vmcnt(0)
	buffer_store_dword v68, v0, s[0:3], 0 offen
.LBB95_256:
	v_mov_b32_e32 v0, 0
	global_load_dword v65, v0, s[12:13] offset:20
	s_waitcnt vmcnt(0)
	v_add_nc_u32_e32 v65, -1, v65
	v_cmp_eq_u32_e32 vcc_lo, 5, v65
	s_cbranch_vccnz .LBB95_258
; %bb.257:
	v_lshlrev_b32_e32 v65, 3, v65
	s_clause 0x3
	buffer_load_dword v66, v65, s[0:3], 0 offen
	buffer_load_dword v67, v65, s[0:3], 0 offen offset:4
	buffer_load_dword v68, off, s[0:3], 0 offset:40
	buffer_load_dword v69, off, s[0:3], 0 offset:44
	s_waitcnt vmcnt(3)
	buffer_store_dword v66, off, s[0:3], 0 offset:40
	s_waitcnt vmcnt(2)
	buffer_store_dword v67, off, s[0:3], 0 offset:44
	s_waitcnt vmcnt(1)
	buffer_store_dword v68, v65, s[0:3], 0 offen
	s_waitcnt vmcnt(0)
	buffer_store_dword v69, v65, s[0:3], 0 offen offset:4
.LBB95_258:
	global_load_dword v0, v0, s[12:13] offset:16
	s_waitcnt vmcnt(0)
	v_add_nc_u32_e32 v0, -1, v0
	v_cmp_eq_u32_e32 vcc_lo, 4, v0
	s_cbranch_vccnz .LBB95_260
; %bb.259:
	v_lshlrev_b32_e32 v0, 3, v0
	s_clause 0x3
	buffer_load_dword v65, v0, s[0:3], 0 offen
	buffer_load_dword v66, v0, s[0:3], 0 offen offset:4
	buffer_load_dword v67, off, s[0:3], 0 offset:36
	buffer_load_dword v68, off, s[0:3], 0 offset:32
	s_waitcnt vmcnt(3)
	buffer_store_dword v65, off, s[0:3], 0 offset:32
	s_waitcnt vmcnt(2)
	buffer_store_dword v66, off, s[0:3], 0 offset:36
	s_waitcnt vmcnt(1)
	buffer_store_dword v67, v0, s[0:3], 0 offen offset:4
	s_waitcnt vmcnt(0)
	buffer_store_dword v68, v0, s[0:3], 0 offen
.LBB95_260:
	v_mov_b32_e32 v0, 0
	global_load_dword v65, v0, s[12:13] offset:12
	s_waitcnt vmcnt(0)
	v_add_nc_u32_e32 v65, -1, v65
	v_cmp_eq_u32_e32 vcc_lo, 3, v65
	s_cbranch_vccnz .LBB95_262
; %bb.261:
	v_lshlrev_b32_e32 v65, 3, v65
	s_clause 0x3
	buffer_load_dword v66, v65, s[0:3], 0 offen
	buffer_load_dword v67, v65, s[0:3], 0 offen offset:4
	buffer_load_dword v68, off, s[0:3], 0 offset:24
	buffer_load_dword v69, off, s[0:3], 0 offset:28
	s_waitcnt vmcnt(3)
	buffer_store_dword v66, off, s[0:3], 0 offset:24
	s_waitcnt vmcnt(2)
	buffer_store_dword v67, off, s[0:3], 0 offset:28
	s_waitcnt vmcnt(1)
	buffer_store_dword v68, v65, s[0:3], 0 offen
	s_waitcnt vmcnt(0)
	buffer_store_dword v69, v65, s[0:3], 0 offen offset:4
.LBB95_262:
	global_load_dword v0, v0, s[12:13] offset:8
	s_waitcnt vmcnt(0)
	v_add_nc_u32_e32 v0, -1, v0
	v_cmp_eq_u32_e32 vcc_lo, 2, v0
	s_cbranch_vccnz .LBB95_264
; %bb.263:
	v_lshlrev_b32_e32 v0, 3, v0
	s_clause 0x3
	buffer_load_dword v65, v0, s[0:3], 0 offen
	buffer_load_dword v66, v0, s[0:3], 0 offen offset:4
	buffer_load_dword v67, off, s[0:3], 0 offset:20
	buffer_load_dword v68, off, s[0:3], 0 offset:16
	s_waitcnt vmcnt(3)
	buffer_store_dword v65, off, s[0:3], 0 offset:16
	s_waitcnt vmcnt(2)
	buffer_store_dword v66, off, s[0:3], 0 offset:20
	s_waitcnt vmcnt(1)
	buffer_store_dword v67, v0, s[0:3], 0 offen offset:4
	s_waitcnt vmcnt(0)
	buffer_store_dword v68, v0, s[0:3], 0 offen
.LBB95_264:
	v_mov_b32_e32 v0, 0
	global_load_dword v65, v0, s[12:13] offset:4
	s_waitcnt vmcnt(0)
	v_add_nc_u32_e32 v65, -1, v65
	v_cmp_eq_u32_e32 vcc_lo, 1, v65
	s_cbranch_vccnz .LBB95_266
; %bb.265:
	v_lshlrev_b32_e32 v65, 3, v65
	s_clause 0x3
	buffer_load_dword v66, v65, s[0:3], 0 offen
	buffer_load_dword v67, v65, s[0:3], 0 offen offset:4
	buffer_load_dword v68, off, s[0:3], 0 offset:8
	buffer_load_dword v69, off, s[0:3], 0 offset:12
	s_waitcnt vmcnt(3)
	buffer_store_dword v66, off, s[0:3], 0 offset:8
	s_waitcnt vmcnt(2)
	buffer_store_dword v67, off, s[0:3], 0 offset:12
	s_waitcnt vmcnt(1)
	buffer_store_dword v68, v65, s[0:3], 0 offen
	s_waitcnt vmcnt(0)
	buffer_store_dword v69, v65, s[0:3], 0 offen offset:4
.LBB95_266:
	global_load_dword v0, v0, s[12:13]
	s_waitcnt vmcnt(0)
	v_add_nc_u32_e32 v0, -1, v0
	v_cmp_eq_u32_e32 vcc_lo, 0, v0
	s_cbranch_vccnz .LBB95_268
; %bb.267:
	v_lshlrev_b32_e32 v0, 3, v0
	s_clause 0x3
	buffer_load_dword v65, v0, s[0:3], 0 offen
	buffer_load_dword v66, v0, s[0:3], 0 offen offset:4
	buffer_load_dword v67, off, s[0:3], 0 offset:4
	buffer_load_dword v68, off, s[0:3], 0
	s_waitcnt vmcnt(3)
	buffer_store_dword v65, off, s[0:3], 0
	s_waitcnt vmcnt(2)
	buffer_store_dword v66, off, s[0:3], 0 offset:4
	s_waitcnt vmcnt(1)
	buffer_store_dword v67, v0, s[0:3], 0 offen offset:4
	s_waitcnt vmcnt(0)
	buffer_store_dword v68, v0, s[0:3], 0 offen
.LBB95_268:
	s_clause 0x1
	buffer_load_dword v65, off, s[0:3], 0
	buffer_load_dword v66, off, s[0:3], 0 offset:4
	s_waitcnt vmcnt(0)
	flat_store_dwordx2 v[1:2], v[65:66]
	s_clause 0x1
	buffer_load_dword v0, off, s[0:3], 0 offset:8
	buffer_load_dword v1, off, s[0:3], 0 offset:12
	s_waitcnt vmcnt(0)
	flat_store_dwordx2 v[3:4], v[0:1]
	s_clause 0x1
	buffer_load_dword v0, off, s[0:3], 0 offset:16
	;; [unrolled: 5-line block ×31, first 2 shown]
	buffer_load_dword v1, off, s[0:3], 0 offset:252
	s_waitcnt vmcnt(0)
	flat_store_dwordx2 v[63:64], v[0:1]
	s_endpgm
	.section	.rodata,"a",@progbits
	.p2align	6, 0x0
	.amdhsa_kernel _ZN9rocsolver6v33100L18getri_kernel_smallILi32E19rocblas_complex_numIfEPKPS3_EEvT1_iilPiilS8_bb
		.amdhsa_group_segment_fixed_size 516
		.amdhsa_private_segment_fixed_size 272
		.amdhsa_kernarg_size 60
		.amdhsa_user_sgpr_count 6
		.amdhsa_user_sgpr_private_segment_buffer 1
		.amdhsa_user_sgpr_dispatch_ptr 0
		.amdhsa_user_sgpr_queue_ptr 0
		.amdhsa_user_sgpr_kernarg_segment_ptr 1
		.amdhsa_user_sgpr_dispatch_id 0
		.amdhsa_user_sgpr_flat_scratch_init 0
		.amdhsa_user_sgpr_private_segment_size 0
		.amdhsa_wavefront_size32 1
		.amdhsa_uses_dynamic_stack 0
		.amdhsa_system_sgpr_private_segment_wavefront_offset 1
		.amdhsa_system_sgpr_workgroup_id_x 1
		.amdhsa_system_sgpr_workgroup_id_y 0
		.amdhsa_system_sgpr_workgroup_id_z 0
		.amdhsa_system_sgpr_workgroup_info 0
		.amdhsa_system_vgpr_workitem_id 0
		.amdhsa_next_free_vgpr 222
		.amdhsa_next_free_sgpr 20
		.amdhsa_reserve_vcc 1
		.amdhsa_reserve_flat_scratch 0
		.amdhsa_float_round_mode_32 0
		.amdhsa_float_round_mode_16_64 0
		.amdhsa_float_denorm_mode_32 3
		.amdhsa_float_denorm_mode_16_64 3
		.amdhsa_dx10_clamp 1
		.amdhsa_ieee_mode 1
		.amdhsa_fp16_overflow 0
		.amdhsa_workgroup_processor_mode 1
		.amdhsa_memory_ordered 1
		.amdhsa_forward_progress 1
		.amdhsa_shared_vgpr_count 0
		.amdhsa_exception_fp_ieee_invalid_op 0
		.amdhsa_exception_fp_denorm_src 0
		.amdhsa_exception_fp_ieee_div_zero 0
		.amdhsa_exception_fp_ieee_overflow 0
		.amdhsa_exception_fp_ieee_underflow 0
		.amdhsa_exception_fp_ieee_inexact 0
		.amdhsa_exception_int_div_zero 0
	.end_amdhsa_kernel
	.section	.text._ZN9rocsolver6v33100L18getri_kernel_smallILi32E19rocblas_complex_numIfEPKPS3_EEvT1_iilPiilS8_bb,"axG",@progbits,_ZN9rocsolver6v33100L18getri_kernel_smallILi32E19rocblas_complex_numIfEPKPS3_EEvT1_iilPiilS8_bb,comdat
.Lfunc_end95:
	.size	_ZN9rocsolver6v33100L18getri_kernel_smallILi32E19rocblas_complex_numIfEPKPS3_EEvT1_iilPiilS8_bb, .Lfunc_end95-_ZN9rocsolver6v33100L18getri_kernel_smallILi32E19rocblas_complex_numIfEPKPS3_EEvT1_iilPiilS8_bb
                                        ; -- End function
	.set _ZN9rocsolver6v33100L18getri_kernel_smallILi32E19rocblas_complex_numIfEPKPS3_EEvT1_iilPiilS8_bb.num_vgpr, 222
	.set _ZN9rocsolver6v33100L18getri_kernel_smallILi32E19rocblas_complex_numIfEPKPS3_EEvT1_iilPiilS8_bb.num_agpr, 0
	.set _ZN9rocsolver6v33100L18getri_kernel_smallILi32E19rocblas_complex_numIfEPKPS3_EEvT1_iilPiilS8_bb.numbered_sgpr, 20
	.set _ZN9rocsolver6v33100L18getri_kernel_smallILi32E19rocblas_complex_numIfEPKPS3_EEvT1_iilPiilS8_bb.num_named_barrier, 0
	.set _ZN9rocsolver6v33100L18getri_kernel_smallILi32E19rocblas_complex_numIfEPKPS3_EEvT1_iilPiilS8_bb.private_seg_size, 272
	.set _ZN9rocsolver6v33100L18getri_kernel_smallILi32E19rocblas_complex_numIfEPKPS3_EEvT1_iilPiilS8_bb.uses_vcc, 1
	.set _ZN9rocsolver6v33100L18getri_kernel_smallILi32E19rocblas_complex_numIfEPKPS3_EEvT1_iilPiilS8_bb.uses_flat_scratch, 0
	.set _ZN9rocsolver6v33100L18getri_kernel_smallILi32E19rocblas_complex_numIfEPKPS3_EEvT1_iilPiilS8_bb.has_dyn_sized_stack, 0
	.set _ZN9rocsolver6v33100L18getri_kernel_smallILi32E19rocblas_complex_numIfEPKPS3_EEvT1_iilPiilS8_bb.has_recursion, 0
	.set _ZN9rocsolver6v33100L18getri_kernel_smallILi32E19rocblas_complex_numIfEPKPS3_EEvT1_iilPiilS8_bb.has_indirect_call, 0
	.section	.AMDGPU.csdata,"",@progbits
; Kernel info:
; codeLenInByte = 47492
; TotalNumSgprs: 22
; NumVgprs: 222
; ScratchSize: 272
; MemoryBound: 0
; FloatMode: 240
; IeeeMode: 1
; LDSByteSize: 516 bytes/workgroup (compile time only)
; SGPRBlocks: 0
; VGPRBlocks: 27
; NumSGPRsForWavesPerEU: 22
; NumVGPRsForWavesPerEU: 222
; Occupancy: 4
; WaveLimiterHint : 1
; COMPUTE_PGM_RSRC2:SCRATCH_EN: 1
; COMPUTE_PGM_RSRC2:USER_SGPR: 6
; COMPUTE_PGM_RSRC2:TRAP_HANDLER: 0
; COMPUTE_PGM_RSRC2:TGID_X_EN: 1
; COMPUTE_PGM_RSRC2:TGID_Y_EN: 0
; COMPUTE_PGM_RSRC2:TGID_Z_EN: 0
; COMPUTE_PGM_RSRC2:TIDIG_COMP_CNT: 0
	.section	.text._ZN9rocsolver6v33100L18getri_kernel_smallILi33E19rocblas_complex_numIfEPKPS3_EEvT1_iilPiilS8_bb,"axG",@progbits,_ZN9rocsolver6v33100L18getri_kernel_smallILi33E19rocblas_complex_numIfEPKPS3_EEvT1_iilPiilS8_bb,comdat
	.globl	_ZN9rocsolver6v33100L18getri_kernel_smallILi33E19rocblas_complex_numIfEPKPS3_EEvT1_iilPiilS8_bb ; -- Begin function _ZN9rocsolver6v33100L18getri_kernel_smallILi33E19rocblas_complex_numIfEPKPS3_EEvT1_iilPiilS8_bb
	.p2align	8
	.type	_ZN9rocsolver6v33100L18getri_kernel_smallILi33E19rocblas_complex_numIfEPKPS3_EEvT1_iilPiilS8_bb,@function
_ZN9rocsolver6v33100L18getri_kernel_smallILi33E19rocblas_complex_numIfEPKPS3_EEvT1_iilPiilS8_bb: ; @_ZN9rocsolver6v33100L18getri_kernel_smallILi33E19rocblas_complex_numIfEPKPS3_EEvT1_iilPiilS8_bb
; %bb.0:
	s_add_u32 s0, s0, s7
	s_addc_u32 s1, s1, 0
	s_mov_b32 s7, exec_lo
	v_cmpx_gt_u32_e32 33, v0
	s_cbranch_execz .LBB96_146
; %bb.1:
	s_clause 0x2
	s_load_dword s17, s[4:5], 0x38
	s_load_dwordx2 s[12:13], s[4:5], 0x0
	s_load_dwordx4 s[8:11], s[4:5], 0x28
	s_waitcnt lgkmcnt(0)
	s_bitcmp1_b32 s17, 8
	s_cselect_b32 s16, -1, 0
	s_ashr_i32 s7, s6, 31
	s_lshl_b64 s[14:15], s[6:7], 3
	s_add_u32 s12, s12, s14
	s_addc_u32 s13, s13, s15
	s_load_dwordx2 s[14:15], s[12:13], 0x0
	s_bfe_u32 s12, s17, 0x10008
	s_cmp_eq_u32 s12, 0
                                        ; implicit-def: $sgpr12_sgpr13
	s_cbranch_scc1 .LBB96_3
; %bb.2:
	s_clause 0x1
	s_load_dword s12, s[4:5], 0x20
	s_load_dwordx2 s[18:19], s[4:5], 0x18
	s_mul_i32 s13, s8, s7
	s_mul_hi_u32 s17, s8, s6
	s_mul_i32 s9, s9, s6
	s_add_i32 s13, s17, s13
	s_mul_i32 s8, s8, s6
	s_add_i32 s9, s13, s9
	s_lshl_b64 s[8:9], s[8:9], 2
	s_waitcnt lgkmcnt(0)
	s_ashr_i32 s13, s12, 31
	s_add_u32 s17, s18, s8
	s_addc_u32 s18, s19, s9
	s_lshl_b64 s[8:9], s[12:13], 2
	s_add_u32 s12, s17, s8
	s_addc_u32 s13, s18, s9
.LBB96_3:
	s_clause 0x1
	s_load_dwordx2 s[8:9], s[4:5], 0x8
	s_load_dword s17, s[4:5], 0x38
	v_lshlrev_b32_e32 v69, 3, v0
	s_waitcnt lgkmcnt(0)
	s_ashr_i32 s5, s8, 31
	s_mov_b32 s4, s8
	v_add3_u32 v9, s9, s9, v0
	s_lshl_b64 s[4:5], s[4:5], 3
	s_add_u32 s4, s14, s4
	s_addc_u32 s5, s15, s5
	v_add_co_u32 v1, s8, s4, v69
	v_add_co_ci_u32_e64 v2, null, s5, 0, s8
	s_mov_b32 s14, s9
	s_ashr_i32 s15, s9, 31
	v_ashrrev_i32_e32 v10, 31, v9
	flat_load_dwordx2 v[5:6], v[1:2]
	s_lshl_b64 s[14:15], s[14:15], 3
	v_add_nc_u32_e32 v12, s9, v9
	v_add_co_u32 v3, vcc_lo, v1, s14
	v_add_co_ci_u32_e64 v4, null, s15, v2, vcc_lo
	v_ashrrev_i32_e32 v13, 31, v12
	s_bitcmp0_b32 s17, 0
	s_waitcnt vmcnt(0) lgkmcnt(0)
	buffer_store_dword v6, off, s[0:3], 0 offset:4
	buffer_store_dword v5, off, s[0:3], 0
	flat_load_dwordx2 v[7:8], v[3:4]
	v_lshlrev_b64 v[5:6], 3, v[9:10]
	s_waitcnt vmcnt(0) lgkmcnt(0)
	buffer_store_dword v8, off, s[0:3], 0 offset:12
	buffer_store_dword v7, off, s[0:3], 0 offset:8
	v_add_co_u32 v5, vcc_lo, s4, v5
	v_add_co_ci_u32_e64 v6, null, s5, v6, vcc_lo
	v_lshlrev_b64 v[7:8], 3, v[12:13]
	flat_load_dwordx2 v[10:11], v[5:6]
	s_waitcnt vmcnt(0) lgkmcnt(0)
	buffer_store_dword v11, off, s[0:3], 0 offset:20
	buffer_store_dword v10, off, s[0:3], 0 offset:16
	v_add_co_u32 v7, vcc_lo, s4, v7
	v_add_co_ci_u32_e64 v8, null, s5, v8, vcc_lo
	v_add_nc_u32_e32 v11, s9, v12
	flat_load_dwordx2 v[13:14], v[7:8]
	s_waitcnt vmcnt(0) lgkmcnt(0)
	buffer_store_dword v14, off, s[0:3], 0 offset:28
	buffer_store_dword v13, off, s[0:3], 0 offset:24
	v_ashrrev_i32_e32 v12, 31, v11
	v_add_nc_u32_e32 v15, s9, v11
	v_lshlrev_b64 v[9:10], 3, v[11:12]
	v_ashrrev_i32_e32 v16, 31, v15
	v_add_nc_u32_e32 v18, s9, v15
	v_add_co_u32 v9, vcc_lo, s4, v9
	v_add_co_ci_u32_e64 v10, null, s5, v10, vcc_lo
	v_lshlrev_b64 v[11:12], 3, v[15:16]
	v_ashrrev_i32_e32 v19, 31, v18
	flat_load_dwordx2 v[13:14], v[9:10]
	s_waitcnt vmcnt(0) lgkmcnt(0)
	buffer_store_dword v14, off, s[0:3], 0 offset:36
	buffer_store_dword v13, off, s[0:3], 0 offset:32
	v_add_co_u32 v11, vcc_lo, s4, v11
	v_add_co_ci_u32_e64 v12, null, s5, v12, vcc_lo
	v_lshlrev_b64 v[13:14], 3, v[18:19]
	flat_load_dwordx2 v[16:17], v[11:12]
	s_waitcnt vmcnt(0) lgkmcnt(0)
	buffer_store_dword v17, off, s[0:3], 0 offset:44
	buffer_store_dword v16, off, s[0:3], 0 offset:40
	v_add_co_u32 v13, vcc_lo, s4, v13
	v_add_co_ci_u32_e64 v14, null, s5, v14, vcc_lo
	v_add_nc_u32_e32 v17, s9, v18
	flat_load_dwordx2 v[19:20], v[13:14]
	s_waitcnt vmcnt(0) lgkmcnt(0)
	buffer_store_dword v20, off, s[0:3], 0 offset:52
	buffer_store_dword v19, off, s[0:3], 0 offset:48
	v_ashrrev_i32_e32 v18, 31, v17
	v_add_nc_u32_e32 v21, s9, v17
	v_lshlrev_b64 v[15:16], 3, v[17:18]
	v_ashrrev_i32_e32 v22, 31, v21
	v_add_nc_u32_e32 v24, s9, v21
	v_add_co_u32 v15, vcc_lo, s4, v15
	v_add_co_ci_u32_e64 v16, null, s5, v16, vcc_lo
	v_lshlrev_b64 v[17:18], 3, v[21:22]
	v_ashrrev_i32_e32 v25, 31, v24
	flat_load_dwordx2 v[19:20], v[15:16]
	;; [unrolled: 27-line block ×9, first 2 shown]
	s_waitcnt vmcnt(0) lgkmcnt(0)
	buffer_store_dword v62, off, s[0:3], 0 offset:228
	buffer_store_dword v61, off, s[0:3], 0 offset:224
	v_add_co_u32 v59, vcc_lo, s4, v59
	v_add_co_ci_u32_e64 v60, null, s5, v60, vcc_lo
	v_lshlrev_b64 v[61:62], 3, v[66:67]
	flat_load_dwordx2 v[64:65], v[59:60]
	s_waitcnt vmcnt(0) lgkmcnt(0)
	buffer_store_dword v65, off, s[0:3], 0 offset:236
	buffer_store_dword v64, off, s[0:3], 0 offset:232
	v_add_co_u32 v61, vcc_lo, s4, v61
	v_add_co_ci_u32_e64 v62, null, s5, v62, vcc_lo
	v_add_nc_u32_e32 v65, s9, v66
	flat_load_dwordx2 v[67:68], v[61:62]
	s_waitcnt vmcnt(0) lgkmcnt(0)
	buffer_store_dword v68, off, s[0:3], 0 offset:244
	buffer_store_dword v67, off, s[0:3], 0 offset:240
	v_ashrrev_i32_e32 v66, 31, v65
	v_lshlrev_b64 v[63:64], 3, v[65:66]
	v_add_nc_u32_e32 v65, s9, v65
	v_add_co_u32 v63, vcc_lo, s4, v63
	v_add_co_ci_u32_e64 v64, null, s5, v64, vcc_lo
	v_ashrrev_i32_e32 v66, 31, v65
	flat_load_dwordx2 v[67:68], v[63:64]
	s_waitcnt vmcnt(0) lgkmcnt(0)
	buffer_store_dword v68, off, s[0:3], 0 offset:252
	buffer_store_dword v67, off, s[0:3], 0 offset:248
	v_lshlrev_b64 v[65:66], 3, v[65:66]
	v_add_co_u32 v65, vcc_lo, s4, v65
	v_add_co_ci_u32_e64 v66, null, s5, v66, vcc_lo
	s_mov_b32 s5, -1
	flat_load_dwordx2 v[67:68], v[65:66]
	s_waitcnt vmcnt(0) lgkmcnt(0)
	buffer_store_dword v68, off, s[0:3], 0 offset:260
	buffer_store_dword v67, off, s[0:3], 0 offset:256
	s_cbranch_scc1 .LBB96_144
; %bb.4:
	v_cmp_eq_u32_e64 s4, 0, v0
	s_and_saveexec_b32 s5, s4
; %bb.5:
	v_mov_b32_e32 v67, 0
	ds_write_b32 v67, v67 offset:264
; %bb.6:
	s_or_b32 exec_lo, exec_lo, s5
	v_lshl_add_u32 v71, v0, 3, 0
	s_waitcnt lgkmcnt(0)
	s_waitcnt_vscnt null, 0x0
	s_barrier
	buffer_gl0_inv
	s_clause 0x1
	buffer_load_dword v67, v71, s[0:3], 0 offen
	buffer_load_dword v68, v71, s[0:3], 0 offen offset:4
	s_waitcnt vmcnt(1)
	v_cmp_eq_f32_e32 vcc_lo, 0, v67
	s_waitcnt vmcnt(0)
	v_cmp_eq_f32_e64 s5, 0, v68
	s_and_b32 s5, vcc_lo, s5
	s_and_saveexec_b32 s8, s5
	s_cbranch_execz .LBB96_10
; %bb.7:
	v_mov_b32_e32 v67, 0
	s_mov_b32 s9, 0
	ds_read_b32 v68, v67 offset:264
	s_waitcnt lgkmcnt(0)
	v_readfirstlane_b32 s5, v68
	v_add_nc_u32_e32 v68, 1, v0
	s_cmp_eq_u32 s5, 0
	v_cmp_gt_i32_e32 vcc_lo, s5, v68
	s_cselect_b32 s14, -1, 0
	s_or_b32 s14, s14, vcc_lo
	s_and_b32 exec_lo, exec_lo, s14
	s_cbranch_execz .LBB96_10
; %bb.8:
	v_mov_b32_e32 v70, s5
.LBB96_9:                               ; =>This Inner Loop Header: Depth=1
	ds_cmpst_rtn_b32 v70, v67, v70, v68 offset:264
	s_waitcnt lgkmcnt(0)
	v_cmp_ne_u32_e32 vcc_lo, 0, v70
	v_cmp_le_i32_e64 s5, v70, v68
	s_and_b32 s5, vcc_lo, s5
	s_and_b32 s5, exec_lo, s5
	s_or_b32 s9, s5, s9
	s_andn2_b32 exec_lo, exec_lo, s9
	s_cbranch_execnz .LBB96_9
.LBB96_10:
	s_or_b32 exec_lo, exec_lo, s8
	v_mov_b32_e32 v67, 0
	s_barrier
	buffer_gl0_inv
	ds_read_b32 v68, v67 offset:264
	s_and_saveexec_b32 s5, s4
	s_cbranch_execz .LBB96_12
; %bb.11:
	s_lshl_b64 s[8:9], s[6:7], 2
	s_add_u32 s8, s10, s8
	s_addc_u32 s9, s11, s9
	s_waitcnt lgkmcnt(0)
	global_store_dword v67, v68, s[8:9]
.LBB96_12:
	s_or_b32 exec_lo, exec_lo, s5
	s_waitcnt lgkmcnt(0)
	v_cmp_ne_u32_e32 vcc_lo, 0, v68
	s_mov_b32 s5, 0
	s_cbranch_vccnz .LBB96_144
; %bb.13:
	s_clause 0x1
	buffer_load_dword v68, v71, s[0:3], 0 offen
	buffer_load_dword v70, v71, s[0:3], 0 offen offset:4
                                        ; implicit-def: $vgpr73
                                        ; implicit-def: $vgpr72
                                        ; implicit-def: $vgpr67
	s_waitcnt vmcnt(0)
	v_cmp_ngt_f32_e64 s5, |v68|, |v70|
	s_and_saveexec_b32 s8, s5
	s_xor_b32 s5, exec_lo, s8
	s_cbranch_execz .LBB96_15
; %bb.14:
	v_div_scale_f32 v67, null, v70, v70, v68
	v_div_scale_f32 v74, vcc_lo, v68, v70, v68
	v_rcp_f32_e32 v72, v67
	v_fma_f32 v73, -v67, v72, 1.0
	v_fmac_f32_e32 v72, v73, v72
	v_mul_f32_e32 v73, v74, v72
	v_fma_f32 v75, -v67, v73, v74
	v_fmac_f32_e32 v73, v75, v72
	v_fma_f32 v67, -v67, v73, v74
	v_div_fmas_f32 v67, v67, v72, v73
	v_div_fixup_f32 v67, v67, v70, v68
	v_fmac_f32_e32 v70, v68, v67
	v_div_scale_f32 v68, null, v70, v70, 1.0
	v_rcp_f32_e32 v72, v68
	v_fma_f32 v73, -v68, v72, 1.0
	v_fmac_f32_e32 v72, v73, v72
	v_div_scale_f32 v73, vcc_lo, 1.0, v70, 1.0
	v_mul_f32_e32 v74, v73, v72
	v_fma_f32 v75, -v68, v74, v73
	v_fmac_f32_e32 v74, v75, v72
	v_fma_f32 v68, -v68, v74, v73
	v_div_fmas_f32 v68, v68, v72, v74
	v_div_fixup_f32 v68, v68, v70, 1.0
                                        ; implicit-def: $vgpr70
	v_mul_f32_e32 v73, v67, v68
	v_xor_b32_e32 v72, 0x80000000, v68
                                        ; implicit-def: $vgpr68
	v_xor_b32_e32 v67, 0x80000000, v73
.LBB96_15:
	s_andn2_saveexec_b32 s5, s5
	s_cbranch_execz .LBB96_17
; %bb.16:
	v_div_scale_f32 v67, null, v68, v68, v70
	v_div_scale_f32 v74, vcc_lo, v70, v68, v70
	v_rcp_f32_e32 v72, v67
	v_fma_f32 v73, -v67, v72, 1.0
	v_fmac_f32_e32 v72, v73, v72
	v_mul_f32_e32 v73, v74, v72
	v_fma_f32 v75, -v67, v73, v74
	v_fmac_f32_e32 v73, v75, v72
	v_fma_f32 v67, -v67, v73, v74
	v_div_fmas_f32 v67, v67, v72, v73
	v_div_fixup_f32 v72, v67, v68, v70
	v_fmac_f32_e32 v68, v70, v72
	v_div_scale_f32 v67, null, v68, v68, 1.0
	v_div_scale_f32 v74, vcc_lo, 1.0, v68, 1.0
	v_rcp_f32_e32 v70, v67
	v_fma_f32 v73, -v67, v70, 1.0
	v_fmac_f32_e32 v70, v73, v70
	v_mul_f32_e32 v73, v74, v70
	v_fma_f32 v75, -v67, v73, v74
	v_fmac_f32_e32 v73, v75, v70
	v_fma_f32 v67, -v67, v73, v74
	v_div_fmas_f32 v67, v67, v70, v73
	v_div_fixup_f32 v73, v67, v68, 1.0
	v_xor_b32_e32 v67, 0x80000000, v73
	v_mul_f32_e64 v72, v72, -v73
.LBB96_17:
	s_or_b32 exec_lo, exec_lo, s5
	buffer_store_dword v73, v71, s[0:3], 0 offen
	buffer_store_dword v72, v71, s[0:3], 0 offen offset:4
	s_clause 0x1
	buffer_load_dword v74, off, s[0:3], 0 offset:12
	buffer_load_dword v73, off, s[0:3], 0 offset:8
	v_xor_b32_e32 v68, 0x80000000, v72
	v_add_nc_u32_e32 v70, 0x110, v69
	s_waitcnt vmcnt(0)
	ds_write2_b64 v69, v[67:68], v[73:74] offset1:34
	s_waitcnt lgkmcnt(0)
	s_waitcnt_vscnt null, 0x0
	s_barrier
	buffer_gl0_inv
	s_and_saveexec_b32 s5, s4
	s_cbranch_execz .LBB96_19
; %bb.18:
	s_clause 0x1
	buffer_load_dword v74, v71, s[0:3], 0 offen offset:4
	buffer_load_dword v75, v71, s[0:3], 0 offen
	ds_read_b64 v[67:68], v70
	v_mov_b32_e32 v72, 0
	ds_read_b64 v[72:73], v72 offset:8
	s_waitcnt vmcnt(1) lgkmcnt(1)
	v_mul_f32_e32 v76, v67, v74
	v_mul_f32_e32 v74, v68, v74
	s_waitcnt vmcnt(0)
	v_fmac_f32_e32 v76, v68, v75
	v_fma_f32 v67, v67, v75, -v74
	v_add_f32_e32 v68, 0, v76
	v_add_f32_e32 v67, 0, v67
	s_waitcnt lgkmcnt(0)
	v_mul_f32_e32 v74, v68, v73
	v_mul_f32_e32 v73, v67, v73
	v_fma_f32 v67, v67, v72, -v74
	v_fmac_f32_e32 v73, v68, v72
	buffer_store_dword v67, off, s[0:3], 0 offset:8
	buffer_store_dword v73, off, s[0:3], 0 offset:12
.LBB96_19:
	s_or_b32 exec_lo, exec_lo, s5
	s_waitcnt_vscnt null, 0x0
	s_barrier
	buffer_gl0_inv
	s_clause 0x1
	buffer_load_dword v67, off, s[0:3], 0 offset:16
	buffer_load_dword v68, off, s[0:3], 0 offset:20
	s_mov_b32 s5, exec_lo
	s_waitcnt vmcnt(0)
	ds_write_b64 v70, v[67:68]
	s_waitcnt lgkmcnt(0)
	s_barrier
	buffer_gl0_inv
	v_cmpx_gt_u32_e32 2, v0
	s_cbranch_execz .LBB96_23
; %bb.20:
	s_clause 0x1
	buffer_load_dword v72, v71, s[0:3], 0 offen offset:4
	buffer_load_dword v71, v71, s[0:3], 0 offen
	ds_read_b64 v[67:68], v70
	s_waitcnt vmcnt(1) lgkmcnt(0)
	v_mul_f32_e32 v73, v68, v72
	v_mul_f32_e32 v72, v67, v72
	s_waitcnt vmcnt(0)
	v_fma_f32 v67, v67, v71, -v73
	v_fmac_f32_e32 v72, v68, v71
	v_add_f32_e32 v68, 0, v67
	v_add_f32_e32 v67, 0, v72
	s_and_saveexec_b32 s8, s4
	s_cbranch_execz .LBB96_22
; %bb.21:
	s_clause 0x1
	buffer_load_dword v73, off, s[0:3], 0 offset:12
	buffer_load_dword v74, off, s[0:3], 0 offset:8
	v_mov_b32_e32 v71, 0
	ds_read_b64 v[71:72], v71 offset:280
	s_waitcnt vmcnt(1) lgkmcnt(0)
	v_mul_f32_e32 v75, v71, v73
	v_mul_f32_e32 v73, v72, v73
	s_waitcnt vmcnt(0)
	v_fmac_f32_e32 v75, v72, v74
	v_fma_f32 v71, v71, v74, -v73
	v_add_f32_e32 v67, v67, v75
	v_add_f32_e32 v68, v68, v71
.LBB96_22:
	s_or_b32 exec_lo, exec_lo, s8
	v_mov_b32_e32 v71, 0
	ds_read_b64 v[71:72], v71 offset:16
	s_waitcnt lgkmcnt(0)
	v_mul_f32_e32 v73, v67, v72
	v_mul_f32_e32 v72, v68, v72
	v_fma_f32 v68, v68, v71, -v73
	v_fmac_f32_e32 v72, v67, v71
	buffer_store_dword v68, off, s[0:3], 0 offset:16
	buffer_store_dword v72, off, s[0:3], 0 offset:20
.LBB96_23:
	s_or_b32 exec_lo, exec_lo, s5
	s_waitcnt_vscnt null, 0x0
	s_barrier
	buffer_gl0_inv
	s_clause 0x1
	buffer_load_dword v71, off, s[0:3], 0 offset:24
	buffer_load_dword v72, off, s[0:3], 0 offset:28
	v_add_nc_u32_e32 v67, -1, v0
	s_mov_b32 s4, exec_lo
	s_waitcnt vmcnt(0)
	ds_write_b64 v70, v[71:72]
	s_waitcnt lgkmcnt(0)
	s_barrier
	buffer_gl0_inv
	v_cmpx_gt_u32_e32 3, v0
	s_cbranch_execz .LBB96_27
; %bb.24:
	v_add_nc_u32_e32 v71, -1, v0
	v_add_nc_u32_e32 v72, 0x110, v69
	v_mov_b32_e32 v73, v69
	v_mov_b32_e32 v68, 0
	;; [unrolled: 1-line block ×3, first 2 shown]
	s_mov_b32 s5, 0
	.p2align	6
.LBB96_25:                              ; =>This Inner Loop Header: Depth=1
	s_clause 0x1
	buffer_load_dword v77, v73, s[0:3], 0 offen offset:4
	buffer_load_dword v78, v73, s[0:3], 0 offen
	ds_read_b64 v[75:76], v72
	v_add_nc_u32_e32 v71, 1, v71
	v_add_nc_u32_e32 v72, 8, v72
	;; [unrolled: 1-line block ×3, first 2 shown]
	v_cmp_lt_u32_e32 vcc_lo, 1, v71
	s_or_b32 s5, vcc_lo, s5
	s_waitcnt vmcnt(1) lgkmcnt(0)
	v_mul_f32_e32 v79, v76, v77
	v_mul_f32_e32 v77, v75, v77
	s_waitcnt vmcnt(0)
	v_fma_f32 v75, v75, v78, -v79
	v_fmac_f32_e32 v77, v76, v78
	v_add_f32_e32 v74, v74, v75
	v_add_f32_e32 v68, v68, v77
	s_andn2_b32 exec_lo, exec_lo, s5
	s_cbranch_execnz .LBB96_25
; %bb.26:
	s_or_b32 exec_lo, exec_lo, s5
	v_mov_b32_e32 v71, 0
	ds_read_b64 v[71:72], v71 offset:24
	s_waitcnt lgkmcnt(0)
	v_mul_f32_e32 v73, v68, v72
	v_mul_f32_e32 v72, v74, v72
	v_fma_f32 v73, v74, v71, -v73
	v_fmac_f32_e32 v72, v68, v71
	buffer_store_dword v73, off, s[0:3], 0 offset:24
	buffer_store_dword v72, off, s[0:3], 0 offset:28
.LBB96_27:
	s_or_b32 exec_lo, exec_lo, s4
	s_waitcnt_vscnt null, 0x0
	s_barrier
	buffer_gl0_inv
	s_clause 0x1
	buffer_load_dword v71, off, s[0:3], 0 offset:32
	buffer_load_dword v72, off, s[0:3], 0 offset:36
	s_mov_b32 s4, exec_lo
	s_waitcnt vmcnt(0)
	ds_write_b64 v70, v[71:72]
	s_waitcnt lgkmcnt(0)
	s_barrier
	buffer_gl0_inv
	v_cmpx_gt_u32_e32 4, v0
	s_cbranch_execz .LBB96_31
; %bb.28:
	v_add_nc_u32_e32 v71, -1, v0
	v_add_nc_u32_e32 v72, 0x110, v69
	v_mov_b32_e32 v73, v69
	v_mov_b32_e32 v68, 0
	;; [unrolled: 1-line block ×3, first 2 shown]
	s_mov_b32 s5, 0
	.p2align	6
.LBB96_29:                              ; =>This Inner Loop Header: Depth=1
	s_clause 0x1
	buffer_load_dword v77, v73, s[0:3], 0 offen offset:4
	buffer_load_dword v78, v73, s[0:3], 0 offen
	ds_read_b64 v[75:76], v72
	v_add_nc_u32_e32 v71, 1, v71
	v_add_nc_u32_e32 v72, 8, v72
	;; [unrolled: 1-line block ×3, first 2 shown]
	v_cmp_lt_u32_e32 vcc_lo, 2, v71
	s_or_b32 s5, vcc_lo, s5
	s_waitcnt vmcnt(1) lgkmcnt(0)
	v_mul_f32_e32 v79, v76, v77
	v_mul_f32_e32 v77, v75, v77
	s_waitcnt vmcnt(0)
	v_fma_f32 v75, v75, v78, -v79
	v_fmac_f32_e32 v77, v76, v78
	v_add_f32_e32 v74, v74, v75
	v_add_f32_e32 v68, v68, v77
	s_andn2_b32 exec_lo, exec_lo, s5
	s_cbranch_execnz .LBB96_29
; %bb.30:
	s_or_b32 exec_lo, exec_lo, s5
	v_mov_b32_e32 v71, 0
	ds_read_b64 v[71:72], v71 offset:32
	s_waitcnt lgkmcnt(0)
	v_mul_f32_e32 v73, v68, v72
	v_mul_f32_e32 v72, v74, v72
	v_fma_f32 v73, v74, v71, -v73
	v_fmac_f32_e32 v72, v68, v71
	buffer_store_dword v73, off, s[0:3], 0 offset:32
	buffer_store_dword v72, off, s[0:3], 0 offset:36
.LBB96_31:
	s_or_b32 exec_lo, exec_lo, s4
	s_waitcnt_vscnt null, 0x0
	s_barrier
	buffer_gl0_inv
	s_clause 0x1
	buffer_load_dword v71, off, s[0:3], 0 offset:40
	buffer_load_dword v72, off, s[0:3], 0 offset:44
	s_mov_b32 s4, exec_lo
	s_waitcnt vmcnt(0)
	ds_write_b64 v70, v[71:72]
	s_waitcnt lgkmcnt(0)
	s_barrier
	buffer_gl0_inv
	v_cmpx_gt_u32_e32 5, v0
	s_cbranch_execz .LBB96_35
; %bb.32:
	v_add_nc_u32_e32 v71, -1, v0
	v_add_nc_u32_e32 v72, 0x110, v69
	v_mov_b32_e32 v73, v69
	v_mov_b32_e32 v68, 0
	;; [unrolled: 1-line block ×3, first 2 shown]
	s_mov_b32 s5, 0
	.p2align	6
.LBB96_33:                              ; =>This Inner Loop Header: Depth=1
	s_clause 0x1
	buffer_load_dword v77, v73, s[0:3], 0 offen offset:4
	buffer_load_dword v78, v73, s[0:3], 0 offen
	ds_read_b64 v[75:76], v72
	v_add_nc_u32_e32 v71, 1, v71
	v_add_nc_u32_e32 v72, 8, v72
	;; [unrolled: 1-line block ×3, first 2 shown]
	v_cmp_lt_u32_e32 vcc_lo, 3, v71
	s_or_b32 s5, vcc_lo, s5
	s_waitcnt vmcnt(1) lgkmcnt(0)
	v_mul_f32_e32 v79, v76, v77
	v_mul_f32_e32 v77, v75, v77
	s_waitcnt vmcnt(0)
	v_fma_f32 v75, v75, v78, -v79
	v_fmac_f32_e32 v77, v76, v78
	v_add_f32_e32 v74, v74, v75
	v_add_f32_e32 v68, v68, v77
	s_andn2_b32 exec_lo, exec_lo, s5
	s_cbranch_execnz .LBB96_33
; %bb.34:
	s_or_b32 exec_lo, exec_lo, s5
	v_mov_b32_e32 v71, 0
	ds_read_b64 v[71:72], v71 offset:40
	s_waitcnt lgkmcnt(0)
	v_mul_f32_e32 v73, v68, v72
	v_mul_f32_e32 v72, v74, v72
	v_fma_f32 v73, v74, v71, -v73
	v_fmac_f32_e32 v72, v68, v71
	buffer_store_dword v73, off, s[0:3], 0 offset:40
	buffer_store_dword v72, off, s[0:3], 0 offset:44
.LBB96_35:
	s_or_b32 exec_lo, exec_lo, s4
	s_waitcnt_vscnt null, 0x0
	s_barrier
	buffer_gl0_inv
	s_clause 0x1
	buffer_load_dword v71, off, s[0:3], 0 offset:48
	buffer_load_dword v72, off, s[0:3], 0 offset:52
	s_mov_b32 s4, exec_lo
	s_waitcnt vmcnt(0)
	ds_write_b64 v70, v[71:72]
	s_waitcnt lgkmcnt(0)
	s_barrier
	buffer_gl0_inv
	v_cmpx_gt_u32_e32 6, v0
	s_cbranch_execz .LBB96_39
; %bb.36:
	v_add_nc_u32_e32 v71, -1, v0
	v_add_nc_u32_e32 v72, 0x110, v69
	v_mov_b32_e32 v73, v69
	v_mov_b32_e32 v68, 0
	;; [unrolled: 1-line block ×3, first 2 shown]
	s_mov_b32 s5, 0
	.p2align	6
.LBB96_37:                              ; =>This Inner Loop Header: Depth=1
	s_clause 0x1
	buffer_load_dword v77, v73, s[0:3], 0 offen offset:4
	buffer_load_dword v78, v73, s[0:3], 0 offen
	ds_read_b64 v[75:76], v72
	v_add_nc_u32_e32 v71, 1, v71
	v_add_nc_u32_e32 v72, 8, v72
	;; [unrolled: 1-line block ×3, first 2 shown]
	v_cmp_lt_u32_e32 vcc_lo, 4, v71
	s_or_b32 s5, vcc_lo, s5
	s_waitcnt vmcnt(1) lgkmcnt(0)
	v_mul_f32_e32 v79, v76, v77
	v_mul_f32_e32 v77, v75, v77
	s_waitcnt vmcnt(0)
	v_fma_f32 v75, v75, v78, -v79
	v_fmac_f32_e32 v77, v76, v78
	v_add_f32_e32 v74, v74, v75
	v_add_f32_e32 v68, v68, v77
	s_andn2_b32 exec_lo, exec_lo, s5
	s_cbranch_execnz .LBB96_37
; %bb.38:
	s_or_b32 exec_lo, exec_lo, s5
	v_mov_b32_e32 v71, 0
	ds_read_b64 v[71:72], v71 offset:48
	s_waitcnt lgkmcnt(0)
	v_mul_f32_e32 v73, v68, v72
	v_mul_f32_e32 v72, v74, v72
	v_fma_f32 v73, v74, v71, -v73
	v_fmac_f32_e32 v72, v68, v71
	buffer_store_dword v73, off, s[0:3], 0 offset:48
	buffer_store_dword v72, off, s[0:3], 0 offset:52
.LBB96_39:
	s_or_b32 exec_lo, exec_lo, s4
	s_waitcnt_vscnt null, 0x0
	s_barrier
	buffer_gl0_inv
	s_clause 0x1
	buffer_load_dword v71, off, s[0:3], 0 offset:56
	buffer_load_dword v72, off, s[0:3], 0 offset:60
	s_mov_b32 s4, exec_lo
	s_waitcnt vmcnt(0)
	ds_write_b64 v70, v[71:72]
	s_waitcnt lgkmcnt(0)
	s_barrier
	buffer_gl0_inv
	v_cmpx_gt_u32_e32 7, v0
	s_cbranch_execz .LBB96_43
; %bb.40:
	v_add_nc_u32_e32 v71, -1, v0
	v_add_nc_u32_e32 v72, 0x110, v69
	v_mov_b32_e32 v73, v69
	v_mov_b32_e32 v68, 0
	;; [unrolled: 1-line block ×3, first 2 shown]
	s_mov_b32 s5, 0
	.p2align	6
.LBB96_41:                              ; =>This Inner Loop Header: Depth=1
	s_clause 0x1
	buffer_load_dword v77, v73, s[0:3], 0 offen offset:4
	buffer_load_dword v78, v73, s[0:3], 0 offen
	ds_read_b64 v[75:76], v72
	v_add_nc_u32_e32 v71, 1, v71
	v_add_nc_u32_e32 v72, 8, v72
	;; [unrolled: 1-line block ×3, first 2 shown]
	v_cmp_lt_u32_e32 vcc_lo, 5, v71
	s_or_b32 s5, vcc_lo, s5
	s_waitcnt vmcnt(1) lgkmcnt(0)
	v_mul_f32_e32 v79, v76, v77
	v_mul_f32_e32 v77, v75, v77
	s_waitcnt vmcnt(0)
	v_fma_f32 v75, v75, v78, -v79
	v_fmac_f32_e32 v77, v76, v78
	v_add_f32_e32 v74, v74, v75
	v_add_f32_e32 v68, v68, v77
	s_andn2_b32 exec_lo, exec_lo, s5
	s_cbranch_execnz .LBB96_41
; %bb.42:
	s_or_b32 exec_lo, exec_lo, s5
	v_mov_b32_e32 v71, 0
	ds_read_b64 v[71:72], v71 offset:56
	s_waitcnt lgkmcnt(0)
	v_mul_f32_e32 v73, v68, v72
	v_mul_f32_e32 v72, v74, v72
	v_fma_f32 v73, v74, v71, -v73
	v_fmac_f32_e32 v72, v68, v71
	buffer_store_dword v73, off, s[0:3], 0 offset:56
	buffer_store_dword v72, off, s[0:3], 0 offset:60
.LBB96_43:
	s_or_b32 exec_lo, exec_lo, s4
	s_waitcnt_vscnt null, 0x0
	s_barrier
	buffer_gl0_inv
	s_clause 0x1
	buffer_load_dword v71, off, s[0:3], 0 offset:64
	buffer_load_dword v72, off, s[0:3], 0 offset:68
	s_mov_b32 s4, exec_lo
	s_waitcnt vmcnt(0)
	ds_write_b64 v70, v[71:72]
	s_waitcnt lgkmcnt(0)
	s_barrier
	buffer_gl0_inv
	v_cmpx_gt_u32_e32 8, v0
	s_cbranch_execz .LBB96_47
; %bb.44:
	v_add_nc_u32_e32 v71, -1, v0
	v_add_nc_u32_e32 v72, 0x110, v69
	v_mov_b32_e32 v73, v69
	v_mov_b32_e32 v68, 0
	;; [unrolled: 1-line block ×3, first 2 shown]
	s_mov_b32 s5, 0
	.p2align	6
.LBB96_45:                              ; =>This Inner Loop Header: Depth=1
	s_clause 0x1
	buffer_load_dword v77, v73, s[0:3], 0 offen offset:4
	buffer_load_dword v78, v73, s[0:3], 0 offen
	ds_read_b64 v[75:76], v72
	v_add_nc_u32_e32 v71, 1, v71
	v_add_nc_u32_e32 v72, 8, v72
	;; [unrolled: 1-line block ×3, first 2 shown]
	v_cmp_lt_u32_e32 vcc_lo, 6, v71
	s_or_b32 s5, vcc_lo, s5
	s_waitcnt vmcnt(1) lgkmcnt(0)
	v_mul_f32_e32 v79, v76, v77
	v_mul_f32_e32 v77, v75, v77
	s_waitcnt vmcnt(0)
	v_fma_f32 v75, v75, v78, -v79
	v_fmac_f32_e32 v77, v76, v78
	v_add_f32_e32 v74, v74, v75
	v_add_f32_e32 v68, v68, v77
	s_andn2_b32 exec_lo, exec_lo, s5
	s_cbranch_execnz .LBB96_45
; %bb.46:
	s_or_b32 exec_lo, exec_lo, s5
	v_mov_b32_e32 v71, 0
	ds_read_b64 v[71:72], v71 offset:64
	s_waitcnt lgkmcnt(0)
	v_mul_f32_e32 v73, v68, v72
	v_mul_f32_e32 v72, v74, v72
	v_fma_f32 v73, v74, v71, -v73
	v_fmac_f32_e32 v72, v68, v71
	buffer_store_dword v73, off, s[0:3], 0 offset:64
	buffer_store_dword v72, off, s[0:3], 0 offset:68
.LBB96_47:
	s_or_b32 exec_lo, exec_lo, s4
	s_waitcnt_vscnt null, 0x0
	s_barrier
	buffer_gl0_inv
	s_clause 0x1
	buffer_load_dword v71, off, s[0:3], 0 offset:72
	buffer_load_dword v72, off, s[0:3], 0 offset:76
	s_mov_b32 s4, exec_lo
	s_waitcnt vmcnt(0)
	ds_write_b64 v70, v[71:72]
	s_waitcnt lgkmcnt(0)
	s_barrier
	buffer_gl0_inv
	v_cmpx_gt_u32_e32 9, v0
	s_cbranch_execz .LBB96_51
; %bb.48:
	v_add_nc_u32_e32 v71, -1, v0
	v_add_nc_u32_e32 v72, 0x110, v69
	v_mov_b32_e32 v73, v69
	v_mov_b32_e32 v68, 0
	;; [unrolled: 1-line block ×3, first 2 shown]
	s_mov_b32 s5, 0
	.p2align	6
.LBB96_49:                              ; =>This Inner Loop Header: Depth=1
	s_clause 0x1
	buffer_load_dword v77, v73, s[0:3], 0 offen offset:4
	buffer_load_dword v78, v73, s[0:3], 0 offen
	ds_read_b64 v[75:76], v72
	v_add_nc_u32_e32 v71, 1, v71
	v_add_nc_u32_e32 v72, 8, v72
	;; [unrolled: 1-line block ×3, first 2 shown]
	v_cmp_lt_u32_e32 vcc_lo, 7, v71
	s_or_b32 s5, vcc_lo, s5
	s_waitcnt vmcnt(1) lgkmcnt(0)
	v_mul_f32_e32 v79, v76, v77
	v_mul_f32_e32 v77, v75, v77
	s_waitcnt vmcnt(0)
	v_fma_f32 v75, v75, v78, -v79
	v_fmac_f32_e32 v77, v76, v78
	v_add_f32_e32 v74, v74, v75
	v_add_f32_e32 v68, v68, v77
	s_andn2_b32 exec_lo, exec_lo, s5
	s_cbranch_execnz .LBB96_49
; %bb.50:
	s_or_b32 exec_lo, exec_lo, s5
	v_mov_b32_e32 v71, 0
	ds_read_b64 v[71:72], v71 offset:72
	s_waitcnt lgkmcnt(0)
	v_mul_f32_e32 v73, v68, v72
	v_mul_f32_e32 v72, v74, v72
	v_fma_f32 v73, v74, v71, -v73
	v_fmac_f32_e32 v72, v68, v71
	buffer_store_dword v73, off, s[0:3], 0 offset:72
	buffer_store_dword v72, off, s[0:3], 0 offset:76
.LBB96_51:
	s_or_b32 exec_lo, exec_lo, s4
	s_waitcnt_vscnt null, 0x0
	s_barrier
	buffer_gl0_inv
	s_clause 0x1
	buffer_load_dword v71, off, s[0:3], 0 offset:80
	buffer_load_dword v72, off, s[0:3], 0 offset:84
	s_mov_b32 s4, exec_lo
	s_waitcnt vmcnt(0)
	ds_write_b64 v70, v[71:72]
	s_waitcnt lgkmcnt(0)
	s_barrier
	buffer_gl0_inv
	v_cmpx_gt_u32_e32 10, v0
	s_cbranch_execz .LBB96_55
; %bb.52:
	v_add_nc_u32_e32 v71, -1, v0
	v_add_nc_u32_e32 v72, 0x110, v69
	v_mov_b32_e32 v73, v69
	v_mov_b32_e32 v68, 0
	;; [unrolled: 1-line block ×3, first 2 shown]
	s_mov_b32 s5, 0
	.p2align	6
.LBB96_53:                              ; =>This Inner Loop Header: Depth=1
	s_clause 0x1
	buffer_load_dword v77, v73, s[0:3], 0 offen offset:4
	buffer_load_dword v78, v73, s[0:3], 0 offen
	ds_read_b64 v[75:76], v72
	v_add_nc_u32_e32 v71, 1, v71
	v_add_nc_u32_e32 v72, 8, v72
	;; [unrolled: 1-line block ×3, first 2 shown]
	v_cmp_lt_u32_e32 vcc_lo, 8, v71
	s_or_b32 s5, vcc_lo, s5
	s_waitcnt vmcnt(1) lgkmcnt(0)
	v_mul_f32_e32 v79, v76, v77
	v_mul_f32_e32 v77, v75, v77
	s_waitcnt vmcnt(0)
	v_fma_f32 v75, v75, v78, -v79
	v_fmac_f32_e32 v77, v76, v78
	v_add_f32_e32 v74, v74, v75
	v_add_f32_e32 v68, v68, v77
	s_andn2_b32 exec_lo, exec_lo, s5
	s_cbranch_execnz .LBB96_53
; %bb.54:
	s_or_b32 exec_lo, exec_lo, s5
	v_mov_b32_e32 v71, 0
	ds_read_b64 v[71:72], v71 offset:80
	s_waitcnt lgkmcnt(0)
	v_mul_f32_e32 v73, v68, v72
	v_mul_f32_e32 v72, v74, v72
	v_fma_f32 v73, v74, v71, -v73
	v_fmac_f32_e32 v72, v68, v71
	buffer_store_dword v73, off, s[0:3], 0 offset:80
	buffer_store_dword v72, off, s[0:3], 0 offset:84
.LBB96_55:
	s_or_b32 exec_lo, exec_lo, s4
	s_waitcnt_vscnt null, 0x0
	s_barrier
	buffer_gl0_inv
	s_clause 0x1
	buffer_load_dword v71, off, s[0:3], 0 offset:88
	buffer_load_dword v72, off, s[0:3], 0 offset:92
	s_mov_b32 s4, exec_lo
	s_waitcnt vmcnt(0)
	ds_write_b64 v70, v[71:72]
	s_waitcnt lgkmcnt(0)
	s_barrier
	buffer_gl0_inv
	v_cmpx_gt_u32_e32 11, v0
	s_cbranch_execz .LBB96_59
; %bb.56:
	v_add_nc_u32_e32 v71, -1, v0
	v_add_nc_u32_e32 v72, 0x110, v69
	v_mov_b32_e32 v73, v69
	v_mov_b32_e32 v68, 0
	;; [unrolled: 1-line block ×3, first 2 shown]
	s_mov_b32 s5, 0
	.p2align	6
.LBB96_57:                              ; =>This Inner Loop Header: Depth=1
	s_clause 0x1
	buffer_load_dword v77, v73, s[0:3], 0 offen offset:4
	buffer_load_dword v78, v73, s[0:3], 0 offen
	ds_read_b64 v[75:76], v72
	v_add_nc_u32_e32 v71, 1, v71
	v_add_nc_u32_e32 v72, 8, v72
	;; [unrolled: 1-line block ×3, first 2 shown]
	v_cmp_lt_u32_e32 vcc_lo, 9, v71
	s_or_b32 s5, vcc_lo, s5
	s_waitcnt vmcnt(1) lgkmcnt(0)
	v_mul_f32_e32 v79, v76, v77
	v_mul_f32_e32 v77, v75, v77
	s_waitcnt vmcnt(0)
	v_fma_f32 v75, v75, v78, -v79
	v_fmac_f32_e32 v77, v76, v78
	v_add_f32_e32 v74, v74, v75
	v_add_f32_e32 v68, v68, v77
	s_andn2_b32 exec_lo, exec_lo, s5
	s_cbranch_execnz .LBB96_57
; %bb.58:
	s_or_b32 exec_lo, exec_lo, s5
	v_mov_b32_e32 v71, 0
	ds_read_b64 v[71:72], v71 offset:88
	s_waitcnt lgkmcnt(0)
	v_mul_f32_e32 v73, v68, v72
	v_mul_f32_e32 v72, v74, v72
	v_fma_f32 v73, v74, v71, -v73
	v_fmac_f32_e32 v72, v68, v71
	buffer_store_dword v73, off, s[0:3], 0 offset:88
	buffer_store_dword v72, off, s[0:3], 0 offset:92
.LBB96_59:
	s_or_b32 exec_lo, exec_lo, s4
	s_waitcnt_vscnt null, 0x0
	s_barrier
	buffer_gl0_inv
	s_clause 0x1
	buffer_load_dword v71, off, s[0:3], 0 offset:96
	buffer_load_dword v72, off, s[0:3], 0 offset:100
	s_mov_b32 s4, exec_lo
	s_waitcnt vmcnt(0)
	ds_write_b64 v70, v[71:72]
	s_waitcnt lgkmcnt(0)
	s_barrier
	buffer_gl0_inv
	v_cmpx_gt_u32_e32 12, v0
	s_cbranch_execz .LBB96_63
; %bb.60:
	v_add_nc_u32_e32 v71, -1, v0
	v_add_nc_u32_e32 v72, 0x110, v69
	v_mov_b32_e32 v73, v69
	v_mov_b32_e32 v68, 0
	;; [unrolled: 1-line block ×3, first 2 shown]
	s_mov_b32 s5, 0
	.p2align	6
.LBB96_61:                              ; =>This Inner Loop Header: Depth=1
	s_clause 0x1
	buffer_load_dword v77, v73, s[0:3], 0 offen offset:4
	buffer_load_dword v78, v73, s[0:3], 0 offen
	ds_read_b64 v[75:76], v72
	v_add_nc_u32_e32 v71, 1, v71
	v_add_nc_u32_e32 v72, 8, v72
	;; [unrolled: 1-line block ×3, first 2 shown]
	v_cmp_lt_u32_e32 vcc_lo, 10, v71
	s_or_b32 s5, vcc_lo, s5
	s_waitcnt vmcnt(1) lgkmcnt(0)
	v_mul_f32_e32 v79, v76, v77
	v_mul_f32_e32 v77, v75, v77
	s_waitcnt vmcnt(0)
	v_fma_f32 v75, v75, v78, -v79
	v_fmac_f32_e32 v77, v76, v78
	v_add_f32_e32 v74, v74, v75
	v_add_f32_e32 v68, v68, v77
	s_andn2_b32 exec_lo, exec_lo, s5
	s_cbranch_execnz .LBB96_61
; %bb.62:
	s_or_b32 exec_lo, exec_lo, s5
	v_mov_b32_e32 v71, 0
	ds_read_b64 v[71:72], v71 offset:96
	s_waitcnt lgkmcnt(0)
	v_mul_f32_e32 v73, v68, v72
	v_mul_f32_e32 v72, v74, v72
	v_fma_f32 v73, v74, v71, -v73
	v_fmac_f32_e32 v72, v68, v71
	buffer_store_dword v73, off, s[0:3], 0 offset:96
	buffer_store_dword v72, off, s[0:3], 0 offset:100
.LBB96_63:
	s_or_b32 exec_lo, exec_lo, s4
	s_waitcnt_vscnt null, 0x0
	s_barrier
	buffer_gl0_inv
	s_clause 0x1
	buffer_load_dword v71, off, s[0:3], 0 offset:104
	buffer_load_dword v72, off, s[0:3], 0 offset:108
	s_mov_b32 s4, exec_lo
	s_waitcnt vmcnt(0)
	ds_write_b64 v70, v[71:72]
	s_waitcnt lgkmcnt(0)
	s_barrier
	buffer_gl0_inv
	v_cmpx_gt_u32_e32 13, v0
	s_cbranch_execz .LBB96_67
; %bb.64:
	v_add_nc_u32_e32 v71, -1, v0
	v_add_nc_u32_e32 v72, 0x110, v69
	v_mov_b32_e32 v73, v69
	v_mov_b32_e32 v68, 0
	;; [unrolled: 1-line block ×3, first 2 shown]
	s_mov_b32 s5, 0
	.p2align	6
.LBB96_65:                              ; =>This Inner Loop Header: Depth=1
	s_clause 0x1
	buffer_load_dword v77, v73, s[0:3], 0 offen offset:4
	buffer_load_dword v78, v73, s[0:3], 0 offen
	ds_read_b64 v[75:76], v72
	v_add_nc_u32_e32 v71, 1, v71
	v_add_nc_u32_e32 v72, 8, v72
	;; [unrolled: 1-line block ×3, first 2 shown]
	v_cmp_lt_u32_e32 vcc_lo, 11, v71
	s_or_b32 s5, vcc_lo, s5
	s_waitcnt vmcnt(1) lgkmcnt(0)
	v_mul_f32_e32 v79, v76, v77
	v_mul_f32_e32 v77, v75, v77
	s_waitcnt vmcnt(0)
	v_fma_f32 v75, v75, v78, -v79
	v_fmac_f32_e32 v77, v76, v78
	v_add_f32_e32 v74, v74, v75
	v_add_f32_e32 v68, v68, v77
	s_andn2_b32 exec_lo, exec_lo, s5
	s_cbranch_execnz .LBB96_65
; %bb.66:
	s_or_b32 exec_lo, exec_lo, s5
	v_mov_b32_e32 v71, 0
	ds_read_b64 v[71:72], v71 offset:104
	s_waitcnt lgkmcnt(0)
	v_mul_f32_e32 v73, v68, v72
	v_mul_f32_e32 v72, v74, v72
	v_fma_f32 v73, v74, v71, -v73
	v_fmac_f32_e32 v72, v68, v71
	buffer_store_dword v73, off, s[0:3], 0 offset:104
	buffer_store_dword v72, off, s[0:3], 0 offset:108
.LBB96_67:
	s_or_b32 exec_lo, exec_lo, s4
	s_waitcnt_vscnt null, 0x0
	s_barrier
	buffer_gl0_inv
	s_clause 0x1
	buffer_load_dword v71, off, s[0:3], 0 offset:112
	buffer_load_dword v72, off, s[0:3], 0 offset:116
	s_mov_b32 s4, exec_lo
	s_waitcnt vmcnt(0)
	ds_write_b64 v70, v[71:72]
	s_waitcnt lgkmcnt(0)
	s_barrier
	buffer_gl0_inv
	v_cmpx_gt_u32_e32 14, v0
	s_cbranch_execz .LBB96_71
; %bb.68:
	v_add_nc_u32_e32 v71, -1, v0
	v_add_nc_u32_e32 v72, 0x110, v69
	v_mov_b32_e32 v73, v69
	v_mov_b32_e32 v68, 0
	;; [unrolled: 1-line block ×3, first 2 shown]
	s_mov_b32 s5, 0
	.p2align	6
.LBB96_69:                              ; =>This Inner Loop Header: Depth=1
	s_clause 0x1
	buffer_load_dword v77, v73, s[0:3], 0 offen offset:4
	buffer_load_dword v78, v73, s[0:3], 0 offen
	ds_read_b64 v[75:76], v72
	v_add_nc_u32_e32 v71, 1, v71
	v_add_nc_u32_e32 v72, 8, v72
	;; [unrolled: 1-line block ×3, first 2 shown]
	v_cmp_lt_u32_e32 vcc_lo, 12, v71
	s_or_b32 s5, vcc_lo, s5
	s_waitcnt vmcnt(1) lgkmcnt(0)
	v_mul_f32_e32 v79, v76, v77
	v_mul_f32_e32 v77, v75, v77
	s_waitcnt vmcnt(0)
	v_fma_f32 v75, v75, v78, -v79
	v_fmac_f32_e32 v77, v76, v78
	v_add_f32_e32 v74, v74, v75
	v_add_f32_e32 v68, v68, v77
	s_andn2_b32 exec_lo, exec_lo, s5
	s_cbranch_execnz .LBB96_69
; %bb.70:
	s_or_b32 exec_lo, exec_lo, s5
	v_mov_b32_e32 v71, 0
	ds_read_b64 v[71:72], v71 offset:112
	s_waitcnt lgkmcnt(0)
	v_mul_f32_e32 v73, v68, v72
	v_mul_f32_e32 v72, v74, v72
	v_fma_f32 v73, v74, v71, -v73
	v_fmac_f32_e32 v72, v68, v71
	buffer_store_dword v73, off, s[0:3], 0 offset:112
	buffer_store_dword v72, off, s[0:3], 0 offset:116
.LBB96_71:
	s_or_b32 exec_lo, exec_lo, s4
	s_waitcnt_vscnt null, 0x0
	s_barrier
	buffer_gl0_inv
	s_clause 0x1
	buffer_load_dword v71, off, s[0:3], 0 offset:120
	buffer_load_dword v72, off, s[0:3], 0 offset:124
	s_mov_b32 s4, exec_lo
	s_waitcnt vmcnt(0)
	ds_write_b64 v70, v[71:72]
	s_waitcnt lgkmcnt(0)
	s_barrier
	buffer_gl0_inv
	v_cmpx_gt_u32_e32 15, v0
	s_cbranch_execz .LBB96_75
; %bb.72:
	v_add_nc_u32_e32 v71, -1, v0
	v_add_nc_u32_e32 v72, 0x110, v69
	v_mov_b32_e32 v73, v69
	v_mov_b32_e32 v68, 0
	;; [unrolled: 1-line block ×3, first 2 shown]
	s_mov_b32 s5, 0
	.p2align	6
.LBB96_73:                              ; =>This Inner Loop Header: Depth=1
	s_clause 0x1
	buffer_load_dword v77, v73, s[0:3], 0 offen offset:4
	buffer_load_dword v78, v73, s[0:3], 0 offen
	ds_read_b64 v[75:76], v72
	v_add_nc_u32_e32 v71, 1, v71
	v_add_nc_u32_e32 v72, 8, v72
	;; [unrolled: 1-line block ×3, first 2 shown]
	v_cmp_lt_u32_e32 vcc_lo, 13, v71
	s_or_b32 s5, vcc_lo, s5
	s_waitcnt vmcnt(1) lgkmcnt(0)
	v_mul_f32_e32 v79, v76, v77
	v_mul_f32_e32 v77, v75, v77
	s_waitcnt vmcnt(0)
	v_fma_f32 v75, v75, v78, -v79
	v_fmac_f32_e32 v77, v76, v78
	v_add_f32_e32 v74, v74, v75
	v_add_f32_e32 v68, v68, v77
	s_andn2_b32 exec_lo, exec_lo, s5
	s_cbranch_execnz .LBB96_73
; %bb.74:
	s_or_b32 exec_lo, exec_lo, s5
	v_mov_b32_e32 v71, 0
	ds_read_b64 v[71:72], v71 offset:120
	s_waitcnt lgkmcnt(0)
	v_mul_f32_e32 v73, v68, v72
	v_mul_f32_e32 v72, v74, v72
	v_fma_f32 v73, v74, v71, -v73
	v_fmac_f32_e32 v72, v68, v71
	buffer_store_dword v73, off, s[0:3], 0 offset:120
	buffer_store_dword v72, off, s[0:3], 0 offset:124
.LBB96_75:
	s_or_b32 exec_lo, exec_lo, s4
	s_waitcnt_vscnt null, 0x0
	s_barrier
	buffer_gl0_inv
	s_clause 0x1
	buffer_load_dword v71, off, s[0:3], 0 offset:128
	buffer_load_dword v72, off, s[0:3], 0 offset:132
	s_mov_b32 s4, exec_lo
	s_waitcnt vmcnt(0)
	ds_write_b64 v70, v[71:72]
	s_waitcnt lgkmcnt(0)
	s_barrier
	buffer_gl0_inv
	v_cmpx_gt_u32_e32 16, v0
	s_cbranch_execz .LBB96_79
; %bb.76:
	v_add_nc_u32_e32 v71, -1, v0
	v_add_nc_u32_e32 v72, 0x110, v69
	v_mov_b32_e32 v73, v69
	v_mov_b32_e32 v68, 0
	;; [unrolled: 1-line block ×3, first 2 shown]
	s_mov_b32 s5, 0
	.p2align	6
.LBB96_77:                              ; =>This Inner Loop Header: Depth=1
	s_clause 0x1
	buffer_load_dword v77, v73, s[0:3], 0 offen offset:4
	buffer_load_dword v78, v73, s[0:3], 0 offen
	ds_read_b64 v[75:76], v72
	v_add_nc_u32_e32 v71, 1, v71
	v_add_nc_u32_e32 v72, 8, v72
	v_add_nc_u32_e32 v73, 8, v73
	v_cmp_lt_u32_e32 vcc_lo, 14, v71
	s_or_b32 s5, vcc_lo, s5
	s_waitcnt vmcnt(1) lgkmcnt(0)
	v_mul_f32_e32 v79, v76, v77
	v_mul_f32_e32 v77, v75, v77
	s_waitcnt vmcnt(0)
	v_fma_f32 v75, v75, v78, -v79
	v_fmac_f32_e32 v77, v76, v78
	v_add_f32_e32 v74, v74, v75
	v_add_f32_e32 v68, v68, v77
	s_andn2_b32 exec_lo, exec_lo, s5
	s_cbranch_execnz .LBB96_77
; %bb.78:
	s_or_b32 exec_lo, exec_lo, s5
	v_mov_b32_e32 v71, 0
	ds_read_b64 v[71:72], v71 offset:128
	s_waitcnt lgkmcnt(0)
	v_mul_f32_e32 v73, v68, v72
	v_mul_f32_e32 v72, v74, v72
	v_fma_f32 v73, v74, v71, -v73
	v_fmac_f32_e32 v72, v68, v71
	buffer_store_dword v73, off, s[0:3], 0 offset:128
	buffer_store_dword v72, off, s[0:3], 0 offset:132
.LBB96_79:
	s_or_b32 exec_lo, exec_lo, s4
	s_waitcnt_vscnt null, 0x0
	s_barrier
	buffer_gl0_inv
	s_clause 0x1
	buffer_load_dword v71, off, s[0:3], 0 offset:136
	buffer_load_dword v72, off, s[0:3], 0 offset:140
	s_mov_b32 s4, exec_lo
	s_waitcnt vmcnt(0)
	ds_write_b64 v70, v[71:72]
	s_waitcnt lgkmcnt(0)
	s_barrier
	buffer_gl0_inv
	v_cmpx_gt_u32_e32 17, v0
	s_cbranch_execz .LBB96_83
; %bb.80:
	v_add_nc_u32_e32 v71, -1, v0
	v_add_nc_u32_e32 v72, 0x110, v69
	v_mov_b32_e32 v73, v69
	v_mov_b32_e32 v68, 0
	;; [unrolled: 1-line block ×3, first 2 shown]
	s_mov_b32 s5, 0
	.p2align	6
.LBB96_81:                              ; =>This Inner Loop Header: Depth=1
	s_clause 0x1
	buffer_load_dword v77, v73, s[0:3], 0 offen offset:4
	buffer_load_dword v78, v73, s[0:3], 0 offen
	ds_read_b64 v[75:76], v72
	v_add_nc_u32_e32 v71, 1, v71
	v_add_nc_u32_e32 v72, 8, v72
	;; [unrolled: 1-line block ×3, first 2 shown]
	v_cmp_lt_u32_e32 vcc_lo, 15, v71
	s_or_b32 s5, vcc_lo, s5
	s_waitcnt vmcnt(1) lgkmcnt(0)
	v_mul_f32_e32 v79, v76, v77
	v_mul_f32_e32 v77, v75, v77
	s_waitcnt vmcnt(0)
	v_fma_f32 v75, v75, v78, -v79
	v_fmac_f32_e32 v77, v76, v78
	v_add_f32_e32 v74, v74, v75
	v_add_f32_e32 v68, v68, v77
	s_andn2_b32 exec_lo, exec_lo, s5
	s_cbranch_execnz .LBB96_81
; %bb.82:
	s_or_b32 exec_lo, exec_lo, s5
	v_mov_b32_e32 v71, 0
	ds_read_b64 v[71:72], v71 offset:136
	s_waitcnt lgkmcnt(0)
	v_mul_f32_e32 v73, v68, v72
	v_mul_f32_e32 v72, v74, v72
	v_fma_f32 v73, v74, v71, -v73
	v_fmac_f32_e32 v72, v68, v71
	buffer_store_dword v73, off, s[0:3], 0 offset:136
	buffer_store_dword v72, off, s[0:3], 0 offset:140
.LBB96_83:
	s_or_b32 exec_lo, exec_lo, s4
	s_waitcnt_vscnt null, 0x0
	s_barrier
	buffer_gl0_inv
	s_clause 0x1
	buffer_load_dword v71, off, s[0:3], 0 offset:144
	buffer_load_dword v72, off, s[0:3], 0 offset:148
	s_mov_b32 s4, exec_lo
	s_waitcnt vmcnt(0)
	ds_write_b64 v70, v[71:72]
	s_waitcnt lgkmcnt(0)
	s_barrier
	buffer_gl0_inv
	v_cmpx_gt_u32_e32 18, v0
	s_cbranch_execz .LBB96_87
; %bb.84:
	v_add_nc_u32_e32 v71, -1, v0
	v_add_nc_u32_e32 v72, 0x110, v69
	v_mov_b32_e32 v73, v69
	v_mov_b32_e32 v68, 0
	;; [unrolled: 1-line block ×3, first 2 shown]
	s_mov_b32 s5, 0
	.p2align	6
.LBB96_85:                              ; =>This Inner Loop Header: Depth=1
	s_clause 0x1
	buffer_load_dword v77, v73, s[0:3], 0 offen offset:4
	buffer_load_dword v78, v73, s[0:3], 0 offen
	ds_read_b64 v[75:76], v72
	v_add_nc_u32_e32 v71, 1, v71
	v_add_nc_u32_e32 v72, 8, v72
	;; [unrolled: 1-line block ×3, first 2 shown]
	v_cmp_lt_u32_e32 vcc_lo, 16, v71
	s_or_b32 s5, vcc_lo, s5
	s_waitcnt vmcnt(1) lgkmcnt(0)
	v_mul_f32_e32 v79, v76, v77
	v_mul_f32_e32 v77, v75, v77
	s_waitcnt vmcnt(0)
	v_fma_f32 v75, v75, v78, -v79
	v_fmac_f32_e32 v77, v76, v78
	v_add_f32_e32 v74, v74, v75
	v_add_f32_e32 v68, v68, v77
	s_andn2_b32 exec_lo, exec_lo, s5
	s_cbranch_execnz .LBB96_85
; %bb.86:
	s_or_b32 exec_lo, exec_lo, s5
	v_mov_b32_e32 v71, 0
	ds_read_b64 v[71:72], v71 offset:144
	s_waitcnt lgkmcnt(0)
	v_mul_f32_e32 v73, v68, v72
	v_mul_f32_e32 v72, v74, v72
	v_fma_f32 v73, v74, v71, -v73
	v_fmac_f32_e32 v72, v68, v71
	buffer_store_dword v73, off, s[0:3], 0 offset:144
	buffer_store_dword v72, off, s[0:3], 0 offset:148
.LBB96_87:
	s_or_b32 exec_lo, exec_lo, s4
	s_waitcnt_vscnt null, 0x0
	s_barrier
	buffer_gl0_inv
	s_clause 0x1
	buffer_load_dword v71, off, s[0:3], 0 offset:152
	buffer_load_dword v72, off, s[0:3], 0 offset:156
	s_mov_b32 s4, exec_lo
	s_waitcnt vmcnt(0)
	ds_write_b64 v70, v[71:72]
	s_waitcnt lgkmcnt(0)
	s_barrier
	buffer_gl0_inv
	v_cmpx_gt_u32_e32 19, v0
	s_cbranch_execz .LBB96_91
; %bb.88:
	v_add_nc_u32_e32 v71, -1, v0
	v_add_nc_u32_e32 v72, 0x110, v69
	v_mov_b32_e32 v73, v69
	v_mov_b32_e32 v68, 0
	;; [unrolled: 1-line block ×3, first 2 shown]
	s_mov_b32 s5, 0
	.p2align	6
.LBB96_89:                              ; =>This Inner Loop Header: Depth=1
	s_clause 0x1
	buffer_load_dword v77, v73, s[0:3], 0 offen offset:4
	buffer_load_dword v78, v73, s[0:3], 0 offen
	ds_read_b64 v[75:76], v72
	v_add_nc_u32_e32 v71, 1, v71
	v_add_nc_u32_e32 v72, 8, v72
	v_add_nc_u32_e32 v73, 8, v73
	v_cmp_lt_u32_e32 vcc_lo, 17, v71
	s_or_b32 s5, vcc_lo, s5
	s_waitcnt vmcnt(1) lgkmcnt(0)
	v_mul_f32_e32 v79, v76, v77
	v_mul_f32_e32 v77, v75, v77
	s_waitcnt vmcnt(0)
	v_fma_f32 v75, v75, v78, -v79
	v_fmac_f32_e32 v77, v76, v78
	v_add_f32_e32 v74, v74, v75
	v_add_f32_e32 v68, v68, v77
	s_andn2_b32 exec_lo, exec_lo, s5
	s_cbranch_execnz .LBB96_89
; %bb.90:
	s_or_b32 exec_lo, exec_lo, s5
	v_mov_b32_e32 v71, 0
	ds_read_b64 v[71:72], v71 offset:152
	s_waitcnt lgkmcnt(0)
	v_mul_f32_e32 v73, v68, v72
	v_mul_f32_e32 v72, v74, v72
	v_fma_f32 v73, v74, v71, -v73
	v_fmac_f32_e32 v72, v68, v71
	buffer_store_dword v73, off, s[0:3], 0 offset:152
	buffer_store_dword v72, off, s[0:3], 0 offset:156
.LBB96_91:
	s_or_b32 exec_lo, exec_lo, s4
	s_waitcnt_vscnt null, 0x0
	s_barrier
	buffer_gl0_inv
	s_clause 0x1
	buffer_load_dword v71, off, s[0:3], 0 offset:160
	buffer_load_dword v72, off, s[0:3], 0 offset:164
	s_mov_b32 s4, exec_lo
	s_waitcnt vmcnt(0)
	ds_write_b64 v70, v[71:72]
	s_waitcnt lgkmcnt(0)
	s_barrier
	buffer_gl0_inv
	v_cmpx_gt_u32_e32 20, v0
	s_cbranch_execz .LBB96_95
; %bb.92:
	v_add_nc_u32_e32 v71, -1, v0
	v_add_nc_u32_e32 v72, 0x110, v69
	v_mov_b32_e32 v73, v69
	v_mov_b32_e32 v68, 0
	;; [unrolled: 1-line block ×3, first 2 shown]
	s_mov_b32 s5, 0
	.p2align	6
.LBB96_93:                              ; =>This Inner Loop Header: Depth=1
	s_clause 0x1
	buffer_load_dword v77, v73, s[0:3], 0 offen offset:4
	buffer_load_dword v78, v73, s[0:3], 0 offen
	ds_read_b64 v[75:76], v72
	v_add_nc_u32_e32 v71, 1, v71
	v_add_nc_u32_e32 v72, 8, v72
	;; [unrolled: 1-line block ×3, first 2 shown]
	v_cmp_lt_u32_e32 vcc_lo, 18, v71
	s_or_b32 s5, vcc_lo, s5
	s_waitcnt vmcnt(1) lgkmcnt(0)
	v_mul_f32_e32 v79, v76, v77
	v_mul_f32_e32 v77, v75, v77
	s_waitcnt vmcnt(0)
	v_fma_f32 v75, v75, v78, -v79
	v_fmac_f32_e32 v77, v76, v78
	v_add_f32_e32 v74, v74, v75
	v_add_f32_e32 v68, v68, v77
	s_andn2_b32 exec_lo, exec_lo, s5
	s_cbranch_execnz .LBB96_93
; %bb.94:
	s_or_b32 exec_lo, exec_lo, s5
	v_mov_b32_e32 v71, 0
	ds_read_b64 v[71:72], v71 offset:160
	s_waitcnt lgkmcnt(0)
	v_mul_f32_e32 v73, v68, v72
	v_mul_f32_e32 v72, v74, v72
	v_fma_f32 v73, v74, v71, -v73
	v_fmac_f32_e32 v72, v68, v71
	buffer_store_dword v73, off, s[0:3], 0 offset:160
	buffer_store_dword v72, off, s[0:3], 0 offset:164
.LBB96_95:
	s_or_b32 exec_lo, exec_lo, s4
	s_waitcnt_vscnt null, 0x0
	s_barrier
	buffer_gl0_inv
	s_clause 0x1
	buffer_load_dword v71, off, s[0:3], 0 offset:168
	buffer_load_dword v72, off, s[0:3], 0 offset:172
	s_mov_b32 s4, exec_lo
	s_waitcnt vmcnt(0)
	ds_write_b64 v70, v[71:72]
	s_waitcnt lgkmcnt(0)
	s_barrier
	buffer_gl0_inv
	v_cmpx_gt_u32_e32 21, v0
	s_cbranch_execz .LBB96_99
; %bb.96:
	v_add_nc_u32_e32 v71, -1, v0
	v_add_nc_u32_e32 v72, 0x110, v69
	v_mov_b32_e32 v73, v69
	v_mov_b32_e32 v68, 0
	;; [unrolled: 1-line block ×3, first 2 shown]
	s_mov_b32 s5, 0
	.p2align	6
.LBB96_97:                              ; =>This Inner Loop Header: Depth=1
	s_clause 0x1
	buffer_load_dword v77, v73, s[0:3], 0 offen offset:4
	buffer_load_dword v78, v73, s[0:3], 0 offen
	ds_read_b64 v[75:76], v72
	v_add_nc_u32_e32 v71, 1, v71
	v_add_nc_u32_e32 v72, 8, v72
	;; [unrolled: 1-line block ×3, first 2 shown]
	v_cmp_lt_u32_e32 vcc_lo, 19, v71
	s_or_b32 s5, vcc_lo, s5
	s_waitcnt vmcnt(1) lgkmcnt(0)
	v_mul_f32_e32 v79, v76, v77
	v_mul_f32_e32 v77, v75, v77
	s_waitcnt vmcnt(0)
	v_fma_f32 v75, v75, v78, -v79
	v_fmac_f32_e32 v77, v76, v78
	v_add_f32_e32 v74, v74, v75
	v_add_f32_e32 v68, v68, v77
	s_andn2_b32 exec_lo, exec_lo, s5
	s_cbranch_execnz .LBB96_97
; %bb.98:
	s_or_b32 exec_lo, exec_lo, s5
	v_mov_b32_e32 v71, 0
	ds_read_b64 v[71:72], v71 offset:168
	s_waitcnt lgkmcnt(0)
	v_mul_f32_e32 v73, v68, v72
	v_mul_f32_e32 v72, v74, v72
	v_fma_f32 v73, v74, v71, -v73
	v_fmac_f32_e32 v72, v68, v71
	buffer_store_dword v73, off, s[0:3], 0 offset:168
	buffer_store_dword v72, off, s[0:3], 0 offset:172
.LBB96_99:
	s_or_b32 exec_lo, exec_lo, s4
	s_waitcnt_vscnt null, 0x0
	s_barrier
	buffer_gl0_inv
	s_clause 0x1
	buffer_load_dword v71, off, s[0:3], 0 offset:176
	buffer_load_dword v72, off, s[0:3], 0 offset:180
	s_mov_b32 s4, exec_lo
	s_waitcnt vmcnt(0)
	ds_write_b64 v70, v[71:72]
	s_waitcnt lgkmcnt(0)
	s_barrier
	buffer_gl0_inv
	v_cmpx_gt_u32_e32 22, v0
	s_cbranch_execz .LBB96_103
; %bb.100:
	v_add_nc_u32_e32 v71, -1, v0
	v_add_nc_u32_e32 v72, 0x110, v69
	v_mov_b32_e32 v73, v69
	v_mov_b32_e32 v68, 0
	;; [unrolled: 1-line block ×3, first 2 shown]
	s_mov_b32 s5, 0
	.p2align	6
.LBB96_101:                             ; =>This Inner Loop Header: Depth=1
	s_clause 0x1
	buffer_load_dword v77, v73, s[0:3], 0 offen offset:4
	buffer_load_dword v78, v73, s[0:3], 0 offen
	ds_read_b64 v[75:76], v72
	v_add_nc_u32_e32 v71, 1, v71
	v_add_nc_u32_e32 v72, 8, v72
	v_add_nc_u32_e32 v73, 8, v73
	v_cmp_lt_u32_e32 vcc_lo, 20, v71
	s_or_b32 s5, vcc_lo, s5
	s_waitcnt vmcnt(1) lgkmcnt(0)
	v_mul_f32_e32 v79, v76, v77
	v_mul_f32_e32 v77, v75, v77
	s_waitcnt vmcnt(0)
	v_fma_f32 v75, v75, v78, -v79
	v_fmac_f32_e32 v77, v76, v78
	v_add_f32_e32 v74, v74, v75
	v_add_f32_e32 v68, v68, v77
	s_andn2_b32 exec_lo, exec_lo, s5
	s_cbranch_execnz .LBB96_101
; %bb.102:
	s_or_b32 exec_lo, exec_lo, s5
	v_mov_b32_e32 v71, 0
	ds_read_b64 v[71:72], v71 offset:176
	s_waitcnt lgkmcnt(0)
	v_mul_f32_e32 v73, v68, v72
	v_mul_f32_e32 v72, v74, v72
	v_fma_f32 v73, v74, v71, -v73
	v_fmac_f32_e32 v72, v68, v71
	buffer_store_dword v73, off, s[0:3], 0 offset:176
	buffer_store_dword v72, off, s[0:3], 0 offset:180
.LBB96_103:
	s_or_b32 exec_lo, exec_lo, s4
	s_waitcnt_vscnt null, 0x0
	s_barrier
	buffer_gl0_inv
	s_clause 0x1
	buffer_load_dword v71, off, s[0:3], 0 offset:184
	buffer_load_dword v72, off, s[0:3], 0 offset:188
	s_mov_b32 s4, exec_lo
	s_waitcnt vmcnt(0)
	ds_write_b64 v70, v[71:72]
	s_waitcnt lgkmcnt(0)
	s_barrier
	buffer_gl0_inv
	v_cmpx_gt_u32_e32 23, v0
	s_cbranch_execz .LBB96_107
; %bb.104:
	v_add_nc_u32_e32 v71, -1, v0
	v_add_nc_u32_e32 v72, 0x110, v69
	v_mov_b32_e32 v73, v69
	v_mov_b32_e32 v68, 0
	;; [unrolled: 1-line block ×3, first 2 shown]
	s_mov_b32 s5, 0
	.p2align	6
.LBB96_105:                             ; =>This Inner Loop Header: Depth=1
	s_clause 0x1
	buffer_load_dword v77, v73, s[0:3], 0 offen offset:4
	buffer_load_dword v78, v73, s[0:3], 0 offen
	ds_read_b64 v[75:76], v72
	v_add_nc_u32_e32 v71, 1, v71
	v_add_nc_u32_e32 v72, 8, v72
	;; [unrolled: 1-line block ×3, first 2 shown]
	v_cmp_lt_u32_e32 vcc_lo, 21, v71
	s_or_b32 s5, vcc_lo, s5
	s_waitcnt vmcnt(1) lgkmcnt(0)
	v_mul_f32_e32 v79, v76, v77
	v_mul_f32_e32 v77, v75, v77
	s_waitcnt vmcnt(0)
	v_fma_f32 v75, v75, v78, -v79
	v_fmac_f32_e32 v77, v76, v78
	v_add_f32_e32 v74, v74, v75
	v_add_f32_e32 v68, v68, v77
	s_andn2_b32 exec_lo, exec_lo, s5
	s_cbranch_execnz .LBB96_105
; %bb.106:
	s_or_b32 exec_lo, exec_lo, s5
	v_mov_b32_e32 v71, 0
	ds_read_b64 v[71:72], v71 offset:184
	s_waitcnt lgkmcnt(0)
	v_mul_f32_e32 v73, v68, v72
	v_mul_f32_e32 v72, v74, v72
	v_fma_f32 v73, v74, v71, -v73
	v_fmac_f32_e32 v72, v68, v71
	buffer_store_dword v73, off, s[0:3], 0 offset:184
	buffer_store_dword v72, off, s[0:3], 0 offset:188
.LBB96_107:
	s_or_b32 exec_lo, exec_lo, s4
	s_waitcnt_vscnt null, 0x0
	s_barrier
	buffer_gl0_inv
	s_clause 0x1
	buffer_load_dword v71, off, s[0:3], 0 offset:192
	buffer_load_dword v72, off, s[0:3], 0 offset:196
	s_mov_b32 s4, exec_lo
	s_waitcnt vmcnt(0)
	ds_write_b64 v70, v[71:72]
	s_waitcnt lgkmcnt(0)
	s_barrier
	buffer_gl0_inv
	v_cmpx_gt_u32_e32 24, v0
	s_cbranch_execz .LBB96_111
; %bb.108:
	v_add_nc_u32_e32 v71, -1, v0
	v_add_nc_u32_e32 v72, 0x110, v69
	v_mov_b32_e32 v73, v69
	v_mov_b32_e32 v68, 0
	;; [unrolled: 1-line block ×3, first 2 shown]
	s_mov_b32 s5, 0
	.p2align	6
.LBB96_109:                             ; =>This Inner Loop Header: Depth=1
	s_clause 0x1
	buffer_load_dword v77, v73, s[0:3], 0 offen offset:4
	buffer_load_dword v78, v73, s[0:3], 0 offen
	ds_read_b64 v[75:76], v72
	v_add_nc_u32_e32 v71, 1, v71
	v_add_nc_u32_e32 v72, 8, v72
	v_add_nc_u32_e32 v73, 8, v73
	v_cmp_lt_u32_e32 vcc_lo, 22, v71
	s_or_b32 s5, vcc_lo, s5
	s_waitcnt vmcnt(1) lgkmcnt(0)
	v_mul_f32_e32 v79, v76, v77
	v_mul_f32_e32 v77, v75, v77
	s_waitcnt vmcnt(0)
	v_fma_f32 v75, v75, v78, -v79
	v_fmac_f32_e32 v77, v76, v78
	v_add_f32_e32 v74, v74, v75
	v_add_f32_e32 v68, v68, v77
	s_andn2_b32 exec_lo, exec_lo, s5
	s_cbranch_execnz .LBB96_109
; %bb.110:
	s_or_b32 exec_lo, exec_lo, s5
	v_mov_b32_e32 v71, 0
	ds_read_b64 v[71:72], v71 offset:192
	s_waitcnt lgkmcnt(0)
	v_mul_f32_e32 v73, v68, v72
	v_mul_f32_e32 v72, v74, v72
	v_fma_f32 v73, v74, v71, -v73
	v_fmac_f32_e32 v72, v68, v71
	buffer_store_dword v73, off, s[0:3], 0 offset:192
	buffer_store_dword v72, off, s[0:3], 0 offset:196
.LBB96_111:
	s_or_b32 exec_lo, exec_lo, s4
	s_waitcnt_vscnt null, 0x0
	s_barrier
	buffer_gl0_inv
	s_clause 0x1
	buffer_load_dword v71, off, s[0:3], 0 offset:200
	buffer_load_dword v72, off, s[0:3], 0 offset:204
	s_mov_b32 s4, exec_lo
	s_waitcnt vmcnt(0)
	ds_write_b64 v70, v[71:72]
	s_waitcnt lgkmcnt(0)
	s_barrier
	buffer_gl0_inv
	v_cmpx_gt_u32_e32 25, v0
	s_cbranch_execz .LBB96_115
; %bb.112:
	v_add_nc_u32_e32 v71, -1, v0
	v_add_nc_u32_e32 v72, 0x110, v69
	v_mov_b32_e32 v73, v69
	v_mov_b32_e32 v68, 0
	;; [unrolled: 1-line block ×3, first 2 shown]
	s_mov_b32 s5, 0
	.p2align	6
.LBB96_113:                             ; =>This Inner Loop Header: Depth=1
	s_clause 0x1
	buffer_load_dword v77, v73, s[0:3], 0 offen offset:4
	buffer_load_dword v78, v73, s[0:3], 0 offen
	ds_read_b64 v[75:76], v72
	v_add_nc_u32_e32 v71, 1, v71
	v_add_nc_u32_e32 v72, 8, v72
	;; [unrolled: 1-line block ×3, first 2 shown]
	v_cmp_lt_u32_e32 vcc_lo, 23, v71
	s_or_b32 s5, vcc_lo, s5
	s_waitcnt vmcnt(1) lgkmcnt(0)
	v_mul_f32_e32 v79, v76, v77
	v_mul_f32_e32 v77, v75, v77
	s_waitcnt vmcnt(0)
	v_fma_f32 v75, v75, v78, -v79
	v_fmac_f32_e32 v77, v76, v78
	v_add_f32_e32 v74, v74, v75
	v_add_f32_e32 v68, v68, v77
	s_andn2_b32 exec_lo, exec_lo, s5
	s_cbranch_execnz .LBB96_113
; %bb.114:
	s_or_b32 exec_lo, exec_lo, s5
	v_mov_b32_e32 v71, 0
	ds_read_b64 v[71:72], v71 offset:200
	s_waitcnt lgkmcnt(0)
	v_mul_f32_e32 v73, v68, v72
	v_mul_f32_e32 v72, v74, v72
	v_fma_f32 v73, v74, v71, -v73
	v_fmac_f32_e32 v72, v68, v71
	buffer_store_dword v73, off, s[0:3], 0 offset:200
	buffer_store_dword v72, off, s[0:3], 0 offset:204
.LBB96_115:
	s_or_b32 exec_lo, exec_lo, s4
	s_waitcnt_vscnt null, 0x0
	s_barrier
	buffer_gl0_inv
	s_clause 0x1
	buffer_load_dword v71, off, s[0:3], 0 offset:208
	buffer_load_dword v72, off, s[0:3], 0 offset:212
	s_mov_b32 s4, exec_lo
	s_waitcnt vmcnt(0)
	ds_write_b64 v70, v[71:72]
	s_waitcnt lgkmcnt(0)
	s_barrier
	buffer_gl0_inv
	v_cmpx_gt_u32_e32 26, v0
	s_cbranch_execz .LBB96_119
; %bb.116:
	v_add_nc_u32_e32 v71, -1, v0
	v_add_nc_u32_e32 v72, 0x110, v69
	v_mov_b32_e32 v73, v69
	v_mov_b32_e32 v68, 0
	v_mov_b32_e32 v74, 0
	s_mov_b32 s5, 0
	.p2align	6
.LBB96_117:                             ; =>This Inner Loop Header: Depth=1
	s_clause 0x1
	buffer_load_dword v77, v73, s[0:3], 0 offen offset:4
	buffer_load_dword v78, v73, s[0:3], 0 offen
	ds_read_b64 v[75:76], v72
	v_add_nc_u32_e32 v71, 1, v71
	v_add_nc_u32_e32 v72, 8, v72
	v_add_nc_u32_e32 v73, 8, v73
	v_cmp_lt_u32_e32 vcc_lo, 24, v71
	s_or_b32 s5, vcc_lo, s5
	s_waitcnt vmcnt(1) lgkmcnt(0)
	v_mul_f32_e32 v79, v76, v77
	v_mul_f32_e32 v77, v75, v77
	s_waitcnt vmcnt(0)
	v_fma_f32 v75, v75, v78, -v79
	v_fmac_f32_e32 v77, v76, v78
	v_add_f32_e32 v74, v74, v75
	v_add_f32_e32 v68, v68, v77
	s_andn2_b32 exec_lo, exec_lo, s5
	s_cbranch_execnz .LBB96_117
; %bb.118:
	s_or_b32 exec_lo, exec_lo, s5
	v_mov_b32_e32 v71, 0
	ds_read_b64 v[71:72], v71 offset:208
	s_waitcnt lgkmcnt(0)
	v_mul_f32_e32 v73, v68, v72
	v_mul_f32_e32 v72, v74, v72
	v_fma_f32 v73, v74, v71, -v73
	v_fmac_f32_e32 v72, v68, v71
	buffer_store_dword v73, off, s[0:3], 0 offset:208
	buffer_store_dword v72, off, s[0:3], 0 offset:212
.LBB96_119:
	s_or_b32 exec_lo, exec_lo, s4
	s_waitcnt_vscnt null, 0x0
	s_barrier
	buffer_gl0_inv
	s_clause 0x1
	buffer_load_dword v71, off, s[0:3], 0 offset:216
	buffer_load_dword v72, off, s[0:3], 0 offset:220
	s_mov_b32 s4, exec_lo
	s_waitcnt vmcnt(0)
	ds_write_b64 v70, v[71:72]
	s_waitcnt lgkmcnt(0)
	s_barrier
	buffer_gl0_inv
	v_cmpx_gt_u32_e32 27, v0
	s_cbranch_execz .LBB96_123
; %bb.120:
	v_add_nc_u32_e32 v71, -1, v0
	v_add_nc_u32_e32 v72, 0x110, v69
	v_mov_b32_e32 v73, v69
	v_mov_b32_e32 v68, 0
	;; [unrolled: 1-line block ×3, first 2 shown]
	s_mov_b32 s5, 0
	.p2align	6
.LBB96_121:                             ; =>This Inner Loop Header: Depth=1
	s_clause 0x1
	buffer_load_dword v77, v73, s[0:3], 0 offen offset:4
	buffer_load_dword v78, v73, s[0:3], 0 offen
	ds_read_b64 v[75:76], v72
	v_add_nc_u32_e32 v71, 1, v71
	v_add_nc_u32_e32 v72, 8, v72
	;; [unrolled: 1-line block ×3, first 2 shown]
	v_cmp_lt_u32_e32 vcc_lo, 25, v71
	s_or_b32 s5, vcc_lo, s5
	s_waitcnt vmcnt(1) lgkmcnt(0)
	v_mul_f32_e32 v79, v76, v77
	v_mul_f32_e32 v77, v75, v77
	s_waitcnt vmcnt(0)
	v_fma_f32 v75, v75, v78, -v79
	v_fmac_f32_e32 v77, v76, v78
	v_add_f32_e32 v74, v74, v75
	v_add_f32_e32 v68, v68, v77
	s_andn2_b32 exec_lo, exec_lo, s5
	s_cbranch_execnz .LBB96_121
; %bb.122:
	s_or_b32 exec_lo, exec_lo, s5
	v_mov_b32_e32 v71, 0
	ds_read_b64 v[71:72], v71 offset:216
	s_waitcnt lgkmcnt(0)
	v_mul_f32_e32 v73, v68, v72
	v_mul_f32_e32 v72, v74, v72
	v_fma_f32 v73, v74, v71, -v73
	v_fmac_f32_e32 v72, v68, v71
	buffer_store_dword v73, off, s[0:3], 0 offset:216
	buffer_store_dword v72, off, s[0:3], 0 offset:220
.LBB96_123:
	s_or_b32 exec_lo, exec_lo, s4
	s_waitcnt_vscnt null, 0x0
	s_barrier
	buffer_gl0_inv
	s_clause 0x1
	buffer_load_dword v71, off, s[0:3], 0 offset:224
	buffer_load_dword v72, off, s[0:3], 0 offset:228
	s_mov_b32 s4, exec_lo
	s_waitcnt vmcnt(0)
	ds_write_b64 v70, v[71:72]
	s_waitcnt lgkmcnt(0)
	s_barrier
	buffer_gl0_inv
	v_cmpx_gt_u32_e32 28, v0
	s_cbranch_execz .LBB96_127
; %bb.124:
	v_add_nc_u32_e32 v71, -1, v0
	v_add_nc_u32_e32 v72, 0x110, v69
	v_mov_b32_e32 v73, v69
	v_mov_b32_e32 v68, 0
	v_mov_b32_e32 v74, 0
	s_mov_b32 s5, 0
	.p2align	6
.LBB96_125:                             ; =>This Inner Loop Header: Depth=1
	s_clause 0x1
	buffer_load_dword v77, v73, s[0:3], 0 offen offset:4
	buffer_load_dword v78, v73, s[0:3], 0 offen
	ds_read_b64 v[75:76], v72
	v_add_nc_u32_e32 v71, 1, v71
	v_add_nc_u32_e32 v72, 8, v72
	;; [unrolled: 1-line block ×3, first 2 shown]
	v_cmp_lt_u32_e32 vcc_lo, 26, v71
	s_or_b32 s5, vcc_lo, s5
	s_waitcnt vmcnt(1) lgkmcnt(0)
	v_mul_f32_e32 v79, v76, v77
	v_mul_f32_e32 v77, v75, v77
	s_waitcnt vmcnt(0)
	v_fma_f32 v75, v75, v78, -v79
	v_fmac_f32_e32 v77, v76, v78
	v_add_f32_e32 v74, v74, v75
	v_add_f32_e32 v68, v68, v77
	s_andn2_b32 exec_lo, exec_lo, s5
	s_cbranch_execnz .LBB96_125
; %bb.126:
	s_or_b32 exec_lo, exec_lo, s5
	v_mov_b32_e32 v71, 0
	ds_read_b64 v[71:72], v71 offset:224
	s_waitcnt lgkmcnt(0)
	v_mul_f32_e32 v73, v68, v72
	v_mul_f32_e32 v72, v74, v72
	v_fma_f32 v73, v74, v71, -v73
	v_fmac_f32_e32 v72, v68, v71
	buffer_store_dword v73, off, s[0:3], 0 offset:224
	buffer_store_dword v72, off, s[0:3], 0 offset:228
.LBB96_127:
	s_or_b32 exec_lo, exec_lo, s4
	s_waitcnt_vscnt null, 0x0
	s_barrier
	buffer_gl0_inv
	s_clause 0x1
	buffer_load_dword v71, off, s[0:3], 0 offset:232
	buffer_load_dword v72, off, s[0:3], 0 offset:236
	s_mov_b32 s4, exec_lo
	s_waitcnt vmcnt(0)
	ds_write_b64 v70, v[71:72]
	s_waitcnt lgkmcnt(0)
	s_barrier
	buffer_gl0_inv
	v_cmpx_gt_u32_e32 29, v0
	s_cbranch_execz .LBB96_131
; %bb.128:
	v_add_nc_u32_e32 v71, -1, v0
	v_add_nc_u32_e32 v72, 0x110, v69
	v_mov_b32_e32 v73, v69
	v_mov_b32_e32 v68, 0
	;; [unrolled: 1-line block ×3, first 2 shown]
	s_mov_b32 s5, 0
	.p2align	6
.LBB96_129:                             ; =>This Inner Loop Header: Depth=1
	s_clause 0x1
	buffer_load_dword v77, v73, s[0:3], 0 offen offset:4
	buffer_load_dword v78, v73, s[0:3], 0 offen
	ds_read_b64 v[75:76], v72
	v_add_nc_u32_e32 v71, 1, v71
	v_add_nc_u32_e32 v72, 8, v72
	;; [unrolled: 1-line block ×3, first 2 shown]
	v_cmp_lt_u32_e32 vcc_lo, 27, v71
	s_or_b32 s5, vcc_lo, s5
	s_waitcnt vmcnt(1) lgkmcnt(0)
	v_mul_f32_e32 v79, v76, v77
	v_mul_f32_e32 v77, v75, v77
	s_waitcnt vmcnt(0)
	v_fma_f32 v75, v75, v78, -v79
	v_fmac_f32_e32 v77, v76, v78
	v_add_f32_e32 v74, v74, v75
	v_add_f32_e32 v68, v68, v77
	s_andn2_b32 exec_lo, exec_lo, s5
	s_cbranch_execnz .LBB96_129
; %bb.130:
	s_or_b32 exec_lo, exec_lo, s5
	v_mov_b32_e32 v71, 0
	ds_read_b64 v[71:72], v71 offset:232
	s_waitcnt lgkmcnt(0)
	v_mul_f32_e32 v73, v68, v72
	v_mul_f32_e32 v72, v74, v72
	v_fma_f32 v73, v74, v71, -v73
	v_fmac_f32_e32 v72, v68, v71
	buffer_store_dword v73, off, s[0:3], 0 offset:232
	buffer_store_dword v72, off, s[0:3], 0 offset:236
.LBB96_131:
	s_or_b32 exec_lo, exec_lo, s4
	s_waitcnt_vscnt null, 0x0
	s_barrier
	buffer_gl0_inv
	s_clause 0x1
	buffer_load_dword v71, off, s[0:3], 0 offset:240
	buffer_load_dword v72, off, s[0:3], 0 offset:244
	s_mov_b32 s4, exec_lo
	s_waitcnt vmcnt(0)
	ds_write_b64 v70, v[71:72]
	s_waitcnt lgkmcnt(0)
	s_barrier
	buffer_gl0_inv
	v_cmpx_gt_u32_e32 30, v0
	s_cbranch_execz .LBB96_135
; %bb.132:
	v_add_nc_u32_e32 v71, -1, v0
	v_add_nc_u32_e32 v72, 0x110, v69
	v_mov_b32_e32 v73, v69
	v_mov_b32_e32 v68, 0
	v_mov_b32_e32 v74, 0
	s_mov_b32 s5, 0
	.p2align	6
.LBB96_133:                             ; =>This Inner Loop Header: Depth=1
	s_clause 0x1
	buffer_load_dword v77, v73, s[0:3], 0 offen offset:4
	buffer_load_dword v78, v73, s[0:3], 0 offen
	ds_read_b64 v[75:76], v72
	v_add_nc_u32_e32 v71, 1, v71
	v_add_nc_u32_e32 v72, 8, v72
	;; [unrolled: 1-line block ×3, first 2 shown]
	v_cmp_lt_u32_e32 vcc_lo, 28, v71
	s_or_b32 s5, vcc_lo, s5
	s_waitcnt vmcnt(1) lgkmcnt(0)
	v_mul_f32_e32 v79, v76, v77
	v_mul_f32_e32 v77, v75, v77
	s_waitcnt vmcnt(0)
	v_fma_f32 v75, v75, v78, -v79
	v_fmac_f32_e32 v77, v76, v78
	v_add_f32_e32 v74, v74, v75
	v_add_f32_e32 v68, v68, v77
	s_andn2_b32 exec_lo, exec_lo, s5
	s_cbranch_execnz .LBB96_133
; %bb.134:
	s_or_b32 exec_lo, exec_lo, s5
	v_mov_b32_e32 v71, 0
	ds_read_b64 v[71:72], v71 offset:240
	s_waitcnt lgkmcnt(0)
	v_mul_f32_e32 v73, v68, v72
	v_mul_f32_e32 v72, v74, v72
	v_fma_f32 v73, v74, v71, -v73
	v_fmac_f32_e32 v72, v68, v71
	buffer_store_dword v73, off, s[0:3], 0 offset:240
	buffer_store_dword v72, off, s[0:3], 0 offset:244
.LBB96_135:
	s_or_b32 exec_lo, exec_lo, s4
	s_waitcnt_vscnt null, 0x0
	s_barrier
	buffer_gl0_inv
	s_clause 0x1
	buffer_load_dword v71, off, s[0:3], 0 offset:248
	buffer_load_dword v72, off, s[0:3], 0 offset:252
	s_mov_b32 s4, exec_lo
	s_waitcnt vmcnt(0)
	ds_write_b64 v70, v[71:72]
	s_waitcnt lgkmcnt(0)
	s_barrier
	buffer_gl0_inv
	v_cmpx_gt_u32_e32 31, v0
	s_cbranch_execz .LBB96_139
; %bb.136:
	v_add_nc_u32_e32 v71, -1, v0
	v_add_nc_u32_e32 v72, 0x110, v69
	v_mov_b32_e32 v73, v69
	v_mov_b32_e32 v68, 0
	;; [unrolled: 1-line block ×3, first 2 shown]
	s_mov_b32 s5, 0
	.p2align	6
.LBB96_137:                             ; =>This Inner Loop Header: Depth=1
	s_clause 0x1
	buffer_load_dword v77, v73, s[0:3], 0 offen offset:4
	buffer_load_dword v78, v73, s[0:3], 0 offen
	ds_read_b64 v[75:76], v72
	v_add_nc_u32_e32 v71, 1, v71
	v_add_nc_u32_e32 v72, 8, v72
	v_add_nc_u32_e32 v73, 8, v73
	v_cmp_lt_u32_e32 vcc_lo, 29, v71
	s_or_b32 s5, vcc_lo, s5
	s_waitcnt vmcnt(1) lgkmcnt(0)
	v_mul_f32_e32 v79, v76, v77
	v_mul_f32_e32 v77, v75, v77
	s_waitcnt vmcnt(0)
	v_fma_f32 v75, v75, v78, -v79
	v_fmac_f32_e32 v77, v76, v78
	v_add_f32_e32 v74, v74, v75
	v_add_f32_e32 v68, v68, v77
	s_andn2_b32 exec_lo, exec_lo, s5
	s_cbranch_execnz .LBB96_137
; %bb.138:
	s_or_b32 exec_lo, exec_lo, s5
	v_mov_b32_e32 v71, 0
	ds_read_b64 v[71:72], v71 offset:248
	s_waitcnt lgkmcnt(0)
	v_mul_f32_e32 v73, v68, v72
	v_mul_f32_e32 v72, v74, v72
	v_fma_f32 v73, v74, v71, -v73
	v_fmac_f32_e32 v72, v68, v71
	buffer_store_dword v73, off, s[0:3], 0 offset:248
	buffer_store_dword v72, off, s[0:3], 0 offset:252
.LBB96_139:
	s_or_b32 exec_lo, exec_lo, s4
	s_waitcnt_vscnt null, 0x0
	s_barrier
	buffer_gl0_inv
	s_clause 0x1
	buffer_load_dword v71, off, s[0:3], 0 offset:256
	buffer_load_dword v72, off, s[0:3], 0 offset:260
	s_mov_b32 s4, exec_lo
	s_waitcnt vmcnt(0)
	ds_write_b64 v70, v[71:72]
	s_waitcnt lgkmcnt(0)
	s_barrier
	buffer_gl0_inv
	v_cmpx_ne_u32_e32 32, v0
	s_cbranch_execz .LBB96_143
; %bb.140:
	v_mov_b32_e32 v68, 0
	v_mov_b32_e32 v71, 0
	s_mov_b32 s5, 0
	.p2align	6
.LBB96_141:                             ; =>This Inner Loop Header: Depth=1
	s_clause 0x1
	buffer_load_dword v74, v69, s[0:3], 0 offen offset:4
	buffer_load_dword v75, v69, s[0:3], 0 offen
	ds_read_b64 v[72:73], v70
	v_add_nc_u32_e32 v67, 1, v67
	v_add_nc_u32_e32 v70, 8, v70
	;; [unrolled: 1-line block ×3, first 2 shown]
	v_cmp_lt_u32_e32 vcc_lo, 30, v67
	s_or_b32 s5, vcc_lo, s5
	s_waitcnt vmcnt(1) lgkmcnt(0)
	v_mul_f32_e32 v76, v73, v74
	v_mul_f32_e32 v74, v72, v74
	s_waitcnt vmcnt(0)
	v_fma_f32 v72, v72, v75, -v76
	v_fmac_f32_e32 v74, v73, v75
	v_add_f32_e32 v71, v71, v72
	v_add_f32_e32 v68, v68, v74
	s_andn2_b32 exec_lo, exec_lo, s5
	s_cbranch_execnz .LBB96_141
; %bb.142:
	s_or_b32 exec_lo, exec_lo, s5
	v_mov_b32_e32 v67, 0
	ds_read_b64 v[69:70], v67 offset:256
	s_waitcnt lgkmcnt(0)
	v_mul_f32_e32 v67, v68, v70
	v_mul_f32_e32 v70, v71, v70
	v_fma_f32 v67, v71, v69, -v67
	v_fmac_f32_e32 v70, v68, v69
	buffer_store_dword v67, off, s[0:3], 0 offset:256
	buffer_store_dword v70, off, s[0:3], 0 offset:260
.LBB96_143:
	s_or_b32 exec_lo, exec_lo, s4
	s_mov_b32 s5, -1
	s_waitcnt_vscnt null, 0x0
	s_barrier
	buffer_gl0_inv
.LBB96_144:
	s_and_b32 vcc_lo, exec_lo, s5
	s_cbranch_vccz .LBB96_146
; %bb.145:
	s_lshl_b64 s[4:5], s[6:7], 2
	v_mov_b32_e32 v67, 0
	s_add_u32 s4, s10, s4
	s_addc_u32 s5, s11, s5
	global_load_dword v67, v67, s[4:5]
	s_waitcnt vmcnt(0)
	v_cmp_ne_u32_e32 vcc_lo, 0, v67
	s_cbranch_vccz .LBB96_147
.LBB96_146:
	s_endpgm
.LBB96_147:
	v_lshl_add_u32 v67, v0, 3, 0x110
	s_mov_b32 s4, exec_lo
	v_cmpx_eq_u32_e32 32, v0
	s_cbranch_execz .LBB96_149
; %bb.148:
	s_clause 0x1
	buffer_load_dword v68, off, s[0:3], 0 offset:248
	buffer_load_dword v69, off, s[0:3], 0 offset:252
	v_mov_b32_e32 v70, 0
	buffer_store_dword v70, off, s[0:3], 0 offset:248
	buffer_store_dword v70, off, s[0:3], 0 offset:252
	s_waitcnt vmcnt(0)
	ds_write_b64 v67, v[68:69]
.LBB96_149:
	s_or_b32 exec_lo, exec_lo, s4
	s_waitcnt lgkmcnt(0)
	s_waitcnt_vscnt null, 0x0
	s_barrier
	buffer_gl0_inv
	s_clause 0x3
	buffer_load_dword v71, off, s[0:3], 0 offset:260
	buffer_load_dword v72, off, s[0:3], 0 offset:256
	;; [unrolled: 1-line block ×4, first 2 shown]
	v_mov_b32_e32 v68, 0
	s_mov_b32 s4, exec_lo
	ds_read_b64 v[69:70], v68 offset:528
	s_waitcnt vmcnt(3) lgkmcnt(0)
	v_mul_f32_e32 v75, v70, v71
	v_mul_f32_e32 v71, v69, v71
	s_waitcnt vmcnt(2)
	v_fma_f32 v69, v69, v72, -v75
	v_fmac_f32_e32 v71, v70, v72
	v_add_f32_e32 v69, 0, v69
	v_add_f32_e32 v70, 0, v71
	s_waitcnt vmcnt(1)
	v_sub_f32_e32 v69, v73, v69
	s_waitcnt vmcnt(0)
	v_sub_f32_e32 v70, v74, v70
	buffer_store_dword v69, off, s[0:3], 0 offset:248
	buffer_store_dword v70, off, s[0:3], 0 offset:252
	v_cmpx_lt_u32_e32 30, v0
	s_cbranch_execz .LBB96_151
; %bb.150:
	s_clause 0x1
	buffer_load_dword v69, off, s[0:3], 0 offset:240
	buffer_load_dword v70, off, s[0:3], 0 offset:244
	buffer_store_dword v68, off, s[0:3], 0 offset:240
	buffer_store_dword v68, off, s[0:3], 0 offset:244
	s_waitcnt vmcnt(0)
	ds_write_b64 v67, v[69:70]
.LBB96_151:
	s_or_b32 exec_lo, exec_lo, s4
	s_waitcnt lgkmcnt(0)
	s_waitcnt_vscnt null, 0x0
	s_barrier
	buffer_gl0_inv
	s_clause 0x5
	buffer_load_dword v72, off, s[0:3], 0 offset:252
	buffer_load_dword v73, off, s[0:3], 0 offset:260
	;; [unrolled: 1-line block ×6, first 2 shown]
	ds_read2_b64 v[68:71], v68 offset0:65 offset1:66
	s_mov_b32 s4, exec_lo
	s_waitcnt vmcnt(5) lgkmcnt(0)
	v_mul_f32_e32 v78, v69, v72
	v_mul_f32_e32 v72, v68, v72
	s_waitcnt vmcnt(4)
	v_mul_f32_e32 v79, v70, v73
	v_mul_f32_e32 v73, v71, v73
	s_waitcnt vmcnt(3)
	v_fma_f32 v68, v68, v74, -v78
	v_fmac_f32_e32 v72, v69, v74
	s_waitcnt vmcnt(2)
	v_fmac_f32_e32 v79, v71, v75
	v_fma_f32 v69, v70, v75, -v73
	v_add_f32_e32 v68, 0, v68
	v_add_f32_e32 v70, 0, v72
	;; [unrolled: 1-line block ×4, first 2 shown]
	s_waitcnt vmcnt(1)
	v_sub_f32_e32 v68, v76, v68
	s_waitcnt vmcnt(0)
	v_sub_f32_e32 v69, v77, v69
	buffer_store_dword v68, off, s[0:3], 0 offset:240
	buffer_store_dword v69, off, s[0:3], 0 offset:244
	v_cmpx_lt_u32_e32 29, v0
	s_cbranch_execz .LBB96_153
; %bb.152:
	s_clause 0x1
	buffer_load_dword v68, off, s[0:3], 0 offset:232
	buffer_load_dword v69, off, s[0:3], 0 offset:236
	v_mov_b32_e32 v70, 0
	buffer_store_dword v70, off, s[0:3], 0 offset:232
	buffer_store_dword v70, off, s[0:3], 0 offset:236
	s_waitcnt vmcnt(0)
	ds_write_b64 v67, v[68:69]
.LBB96_153:
	s_or_b32 exec_lo, exec_lo, s4
	s_waitcnt lgkmcnt(0)
	s_waitcnt_vscnt null, 0x0
	s_barrier
	buffer_gl0_inv
	s_clause 0x7
	buffer_load_dword v75, off, s[0:3], 0 offset:244
	buffer_load_dword v76, off, s[0:3], 0 offset:252
	;; [unrolled: 1-line block ×8, first 2 shown]
	v_mov_b32_e32 v68, 0
	ds_read_b128 v[69:72], v68 offset:512
	ds_read_b64 v[73:74], v68 offset:528
	s_mov_b32 s4, exec_lo
	s_waitcnt vmcnt(7) lgkmcnt(1)
	v_mul_f32_e32 v83, v70, v75
	v_mul_f32_e32 v75, v69, v75
	s_waitcnt vmcnt(6)
	v_mul_f32_e32 v84, v71, v76
	v_mul_f32_e32 v76, v72, v76
	s_waitcnt vmcnt(5) lgkmcnt(0)
	v_mul_f32_e32 v85, v73, v77
	s_waitcnt vmcnt(4)
	v_fma_f32 v69, v69, v78, -v83
	v_fmac_f32_e32 v75, v70, v78
	v_mul_f32_e32 v70, v74, v77
	s_waitcnt vmcnt(3)
	v_fma_f32 v71, v71, v79, -v76
	v_fmac_f32_e32 v84, v72, v79
	v_add_f32_e32 v69, 0, v69
	v_add_f32_e32 v72, 0, v75
	s_waitcnt vmcnt(2)
	v_fma_f32 v70, v73, v80, -v70
	v_fmac_f32_e32 v85, v74, v80
	v_add_f32_e32 v69, v69, v71
	v_add_f32_e32 v71, v72, v84
	;; [unrolled: 1-line block ×4, first 2 shown]
	s_waitcnt vmcnt(1)
	v_sub_f32_e32 v69, v81, v69
	s_waitcnt vmcnt(0)
	v_sub_f32_e32 v70, v82, v70
	buffer_store_dword v69, off, s[0:3], 0 offset:232
	buffer_store_dword v70, off, s[0:3], 0 offset:236
	v_cmpx_lt_u32_e32 28, v0
	s_cbranch_execz .LBB96_155
; %bb.154:
	s_clause 0x1
	buffer_load_dword v69, off, s[0:3], 0 offset:224
	buffer_load_dword v70, off, s[0:3], 0 offset:228
	buffer_store_dword v68, off, s[0:3], 0 offset:224
	buffer_store_dword v68, off, s[0:3], 0 offset:228
	s_waitcnt vmcnt(0)
	ds_write_b64 v67, v[69:70]
.LBB96_155:
	s_or_b32 exec_lo, exec_lo, s4
	s_waitcnt lgkmcnt(0)
	s_waitcnt_vscnt null, 0x0
	s_barrier
	buffer_gl0_inv
	s_clause 0x9
	buffer_load_dword v77, off, s[0:3], 0 offset:236
	buffer_load_dword v78, off, s[0:3], 0 offset:244
	;; [unrolled: 1-line block ×10, first 2 shown]
	ds_read2_b64 v[69:72], v68 offset0:63 offset1:64
	ds_read2_b64 v[73:76], v68 offset0:65 offset1:66
	s_mov_b32 s4, exec_lo
	s_waitcnt vmcnt(9) lgkmcnt(1)
	v_mul_f32_e32 v68, v69, v77
	v_mul_f32_e32 v77, v70, v77
	s_waitcnt vmcnt(8)
	v_mul_f32_e32 v87, v71, v78
	v_mul_f32_e32 v78, v72, v78
	s_waitcnt vmcnt(7) lgkmcnt(0)
	v_mul_f32_e32 v88, v73, v79
	s_waitcnt vmcnt(5)
	v_fmac_f32_e32 v68, v70, v81
	v_fma_f32 v69, v69, v81, -v77
	v_mul_f32_e32 v70, v74, v79
	s_waitcnt vmcnt(4)
	v_fma_f32 v71, v71, v82, -v78
	v_fmac_f32_e32 v87, v72, v82
	v_add_f32_e32 v68, 0, v68
	v_add_f32_e32 v69, 0, v69
	v_mul_f32_e32 v72, v76, v80
	s_waitcnt vmcnt(3)
	v_fma_f32 v70, v73, v83, -v70
	v_mul_f32_e32 v89, v75, v80
	v_fmac_f32_e32 v88, v74, v83
	v_add_f32_e32 v69, v69, v71
	v_add_f32_e32 v68, v68, v87
	s_waitcnt vmcnt(2)
	v_fma_f32 v71, v75, v84, -v72
	v_fmac_f32_e32 v89, v76, v84
	v_add_f32_e32 v69, v69, v70
	v_add_f32_e32 v68, v68, v88
	;; [unrolled: 1-line block ×4, first 2 shown]
	s_waitcnt vmcnt(1)
	v_sub_f32_e32 v69, v85, v69
	s_waitcnt vmcnt(0)
	v_sub_f32_e32 v68, v86, v68
	buffer_store_dword v69, off, s[0:3], 0 offset:224
	buffer_store_dword v68, off, s[0:3], 0 offset:228
	v_cmpx_lt_u32_e32 27, v0
	s_cbranch_execz .LBB96_157
; %bb.156:
	s_clause 0x1
	buffer_load_dword v68, off, s[0:3], 0 offset:216
	buffer_load_dword v69, off, s[0:3], 0 offset:220
	v_mov_b32_e32 v70, 0
	buffer_store_dword v70, off, s[0:3], 0 offset:216
	buffer_store_dword v70, off, s[0:3], 0 offset:220
	s_waitcnt vmcnt(0)
	ds_write_b64 v67, v[68:69]
.LBB96_157:
	s_or_b32 exec_lo, exec_lo, s4
	s_waitcnt lgkmcnt(0)
	s_waitcnt_vscnt null, 0x0
	s_barrier
	buffer_gl0_inv
	s_clause 0xb
	buffer_load_dword v79, off, s[0:3], 0 offset:228
	buffer_load_dword v80, off, s[0:3], 0 offset:236
	;; [unrolled: 1-line block ×12, first 2 shown]
	v_mov_b32_e32 v68, 0
	ds_read_b128 v[69:72], v68 offset:496
	ds_read_b128 v[73:76], v68 offset:512
	ds_read_b64 v[77:78], v68 offset:528
	s_mov_b32 s4, exec_lo
	s_waitcnt vmcnt(11) lgkmcnt(2)
	v_mul_f32_e32 v91, v69, v79
	v_mul_f32_e32 v79, v70, v79
	s_waitcnt vmcnt(10)
	v_mul_f32_e32 v92, v71, v80
	v_mul_f32_e32 v80, v72, v80
	s_waitcnt vmcnt(9) lgkmcnt(1)
	v_mul_f32_e32 v93, v73, v81
	s_waitcnt vmcnt(6)
	v_fmac_f32_e32 v91, v70, v84
	v_fma_f32 v69, v69, v84, -v79
	v_mul_f32_e32 v70, v74, v81
	s_waitcnt vmcnt(5)
	v_fma_f32 v71, v71, v85, -v80
	v_fmac_f32_e32 v92, v72, v85
	v_add_f32_e32 v72, 0, v91
	v_add_f32_e32 v69, 0, v69
	v_mul_f32_e32 v79, v76, v82
	s_waitcnt vmcnt(4)
	v_fma_f32 v70, v73, v86, -v70
	v_mul_f32_e32 v94, v75, v82
	v_fmac_f32_e32 v93, v74, v86
	v_add_f32_e32 v69, v69, v71
	v_add_f32_e32 v71, v72, v92
	s_waitcnt lgkmcnt(0)
	v_mul_f32_e32 v72, v78, v83
	s_waitcnt vmcnt(3)
	v_fma_f32 v73, v75, v87, -v79
	v_mul_f32_e32 v95, v77, v83
	v_add_f32_e32 v69, v69, v70
	v_fmac_f32_e32 v94, v76, v87
	v_add_f32_e32 v70, v71, v93
	s_waitcnt vmcnt(2)
	v_fma_f32 v71, v77, v88, -v72
	v_fmac_f32_e32 v95, v78, v88
	v_add_f32_e32 v69, v69, v73
	v_add_f32_e32 v70, v70, v94
	v_add_f32_e32 v69, v69, v71
	v_add_f32_e32 v70, v70, v95
	s_waitcnt vmcnt(1)
	v_sub_f32_e32 v69, v89, v69
	s_waitcnt vmcnt(0)
	v_sub_f32_e32 v70, v90, v70
	buffer_store_dword v69, off, s[0:3], 0 offset:216
	buffer_store_dword v70, off, s[0:3], 0 offset:220
	v_cmpx_lt_u32_e32 26, v0
	s_cbranch_execz .LBB96_159
; %bb.158:
	s_clause 0x1
	buffer_load_dword v69, off, s[0:3], 0 offset:208
	buffer_load_dword v70, off, s[0:3], 0 offset:212
	buffer_store_dword v68, off, s[0:3], 0 offset:208
	buffer_store_dword v68, off, s[0:3], 0 offset:212
	s_waitcnt vmcnt(0)
	ds_write_b64 v67, v[69:70]
.LBB96_159:
	s_or_b32 exec_lo, exec_lo, s4
	s_waitcnt lgkmcnt(0)
	s_waitcnt_vscnt null, 0x0
	s_barrier
	buffer_gl0_inv
	s_clause 0xd
	buffer_load_dword v81, off, s[0:3], 0 offset:220
	buffer_load_dword v82, off, s[0:3], 0 offset:228
	;; [unrolled: 1-line block ×14, first 2 shown]
	ds_read2_b64 v[69:72], v68 offset0:61 offset1:62
	ds_read2_b64 v[73:76], v68 offset0:63 offset1:64
	;; [unrolled: 1-line block ×3, first 2 shown]
	s_mov_b32 s4, exec_lo
	s_waitcnt vmcnt(13) lgkmcnt(2)
	v_mul_f32_e32 v68, v69, v81
	v_mul_f32_e32 v81, v70, v81
	s_waitcnt vmcnt(12)
	v_mul_f32_e32 v95, v71, v82
	v_mul_f32_e32 v82, v72, v82
	s_waitcnt vmcnt(11) lgkmcnt(1)
	v_mul_f32_e32 v96, v73, v83
	s_waitcnt vmcnt(10)
	v_mul_f32_e32 v97, v75, v84
	s_waitcnt vmcnt(7)
	v_fma_f32 v69, v69, v87, -v81
	v_fmac_f32_e32 v68, v70, v87
	v_mul_f32_e32 v70, v74, v83
	s_waitcnt vmcnt(6)
	v_fma_f32 v71, v71, v88, -v82
	v_fmac_f32_e32 v95, v72, v88
	v_add_f32_e32 v69, 0, v69
	v_add_f32_e32 v68, 0, v68
	v_mul_f32_e32 v72, v76, v84
	s_waitcnt vmcnt(5)
	v_fma_f32 v70, v73, v89, -v70
	v_fmac_f32_e32 v96, v74, v89
	v_add_f32_e32 v69, v69, v71
	v_add_f32_e32 v68, v68, v95
	s_waitcnt lgkmcnt(0)
	v_mul_f32_e32 v71, v78, v85
	s_waitcnt vmcnt(4)
	v_fma_f32 v72, v75, v90, -v72
	v_mul_f32_e32 v98, v77, v85
	v_add_f32_e32 v69, v69, v70
	v_fmac_f32_e32 v97, v76, v90
	v_add_f32_e32 v68, v68, v96
	v_mul_f32_e32 v70, v80, v86
	s_waitcnt vmcnt(3)
	v_fma_f32 v71, v77, v91, -v71
	v_add_f32_e32 v69, v69, v72
	v_mul_f32_e32 v99, v79, v86
	v_fmac_f32_e32 v98, v78, v91
	v_add_f32_e32 v68, v68, v97
	s_waitcnt vmcnt(2)
	v_fma_f32 v70, v79, v92, -v70
	v_add_f32_e32 v69, v69, v71
	v_fmac_f32_e32 v99, v80, v92
	v_add_f32_e32 v68, v68, v98
	v_add_f32_e32 v69, v69, v70
	;; [unrolled: 1-line block ×3, first 2 shown]
	s_waitcnt vmcnt(1)
	v_sub_f32_e32 v69, v93, v69
	s_waitcnt vmcnt(0)
	v_sub_f32_e32 v68, v94, v68
	buffer_store_dword v69, off, s[0:3], 0 offset:208
	buffer_store_dword v68, off, s[0:3], 0 offset:212
	v_cmpx_lt_u32_e32 25, v0
	s_cbranch_execz .LBB96_161
; %bb.160:
	s_clause 0x1
	buffer_load_dword v68, off, s[0:3], 0 offset:200
	buffer_load_dword v69, off, s[0:3], 0 offset:204
	v_mov_b32_e32 v70, 0
	buffer_store_dword v70, off, s[0:3], 0 offset:200
	buffer_store_dword v70, off, s[0:3], 0 offset:204
	s_waitcnt vmcnt(0)
	ds_write_b64 v67, v[68:69]
.LBB96_161:
	s_or_b32 exec_lo, exec_lo, s4
	s_waitcnt lgkmcnt(0)
	s_waitcnt_vscnt null, 0x0
	s_barrier
	buffer_gl0_inv
	s_clause 0xf
	buffer_load_dword v83, off, s[0:3], 0 offset:212
	buffer_load_dword v84, off, s[0:3], 0 offset:220
	;; [unrolled: 1-line block ×16, first 2 shown]
	v_mov_b32_e32 v68, 0
	ds_read_b128 v[69:72], v68 offset:480
	ds_read_b128 v[73:76], v68 offset:496
	;; [unrolled: 1-line block ×3, first 2 shown]
	ds_read_b64 v[81:82], v68 offset:528
	s_mov_b32 s4, exec_lo
	s_waitcnt vmcnt(15) lgkmcnt(3)
	v_mul_f32_e32 v99, v69, v83
	v_mul_f32_e32 v83, v70, v83
	s_waitcnt vmcnt(14)
	v_mul_f32_e32 v100, v71, v84
	v_mul_f32_e32 v84, v72, v84
	s_waitcnt vmcnt(13) lgkmcnt(2)
	v_mul_f32_e32 v101, v73, v85
	s_waitcnt vmcnt(12)
	v_mul_f32_e32 v102, v75, v86
	s_waitcnt vmcnt(11) lgkmcnt(1)
	v_mul_f32_e32 v103, v77, v87
	s_waitcnt vmcnt(8)
	v_fma_f32 v69, v69, v90, -v83
	v_fmac_f32_e32 v99, v70, v90
	v_mul_f32_e32 v70, v74, v85
	s_waitcnt vmcnt(7)
	v_fma_f32 v71, v71, v91, -v84
	v_fmac_f32_e32 v100, v72, v91
	v_add_f32_e32 v69, 0, v69
	v_add_f32_e32 v72, 0, v99
	v_mul_f32_e32 v83, v76, v86
	s_waitcnt vmcnt(6)
	v_fma_f32 v70, v73, v92, -v70
	v_fmac_f32_e32 v101, v74, v92
	v_add_f32_e32 v69, v69, v71
	v_add_f32_e32 v71, v72, v100
	v_mul_f32_e32 v72, v78, v87
	s_waitcnt vmcnt(5)
	v_fma_f32 v73, v75, v93, -v83
	v_fmac_f32_e32 v102, v76, v93
	v_add_f32_e32 v69, v69, v70
	v_add_f32_e32 v70, v71, v101
	v_mul_f32_e32 v71, v80, v88
	s_waitcnt vmcnt(4)
	v_fma_f32 v72, v77, v94, -v72
	v_mul_f32_e32 v104, v79, v88
	v_add_f32_e32 v69, v69, v73
	v_fmac_f32_e32 v103, v78, v94
	v_add_f32_e32 v70, v70, v102
	s_waitcnt lgkmcnt(0)
	v_mul_f32_e32 v73, v82, v89
	s_waitcnt vmcnt(3)
	v_fma_f32 v71, v79, v95, -v71
	v_add_f32_e32 v69, v69, v72
	v_mul_f32_e32 v105, v81, v89
	v_fmac_f32_e32 v104, v80, v95
	v_add_f32_e32 v70, v70, v103
	s_waitcnt vmcnt(2)
	v_fma_f32 v72, v81, v96, -v73
	v_add_f32_e32 v69, v69, v71
	v_fmac_f32_e32 v105, v82, v96
	v_add_f32_e32 v70, v70, v104
	v_add_f32_e32 v69, v69, v72
	;; [unrolled: 1-line block ×3, first 2 shown]
	s_waitcnt vmcnt(1)
	v_sub_f32_e32 v69, v97, v69
	s_waitcnt vmcnt(0)
	v_sub_f32_e32 v70, v98, v70
	buffer_store_dword v69, off, s[0:3], 0 offset:200
	buffer_store_dword v70, off, s[0:3], 0 offset:204
	v_cmpx_lt_u32_e32 24, v0
	s_cbranch_execz .LBB96_163
; %bb.162:
	s_clause 0x1
	buffer_load_dword v69, off, s[0:3], 0 offset:192
	buffer_load_dword v70, off, s[0:3], 0 offset:196
	buffer_store_dword v68, off, s[0:3], 0 offset:192
	buffer_store_dword v68, off, s[0:3], 0 offset:196
	s_waitcnt vmcnt(0)
	ds_write_b64 v67, v[69:70]
.LBB96_163:
	s_or_b32 exec_lo, exec_lo, s4
	s_waitcnt lgkmcnt(0)
	s_waitcnt_vscnt null, 0x0
	s_barrier
	buffer_gl0_inv
	s_clause 0x11
	buffer_load_dword v85, off, s[0:3], 0 offset:204
	buffer_load_dword v86, off, s[0:3], 0 offset:212
	;; [unrolled: 1-line block ×18, first 2 shown]
	ds_read2_b64 v[69:72], v68 offset0:59 offset1:60
	ds_read2_b64 v[73:76], v68 offset0:61 offset1:62
	;; [unrolled: 1-line block ×4, first 2 shown]
	s_mov_b32 s4, exec_lo
	s_waitcnt vmcnt(17) lgkmcnt(3)
	v_mul_f32_e32 v68, v69, v85
	v_mul_f32_e32 v85, v70, v85
	s_waitcnt vmcnt(16)
	v_mul_f32_e32 v103, v71, v86
	v_mul_f32_e32 v86, v72, v86
	s_waitcnt vmcnt(15) lgkmcnt(2)
	v_mul_f32_e32 v104, v73, v87
	s_waitcnt vmcnt(14)
	v_mul_f32_e32 v105, v75, v88
	s_waitcnt vmcnt(13) lgkmcnt(1)
	v_mul_f32_e32 v106, v77, v89
	s_waitcnt vmcnt(12)
	v_mul_f32_e32 v107, v79, v90
	s_waitcnt vmcnt(9)
	v_fma_f32 v69, v69, v93, -v85
	v_fmac_f32_e32 v68, v70, v93
	v_mul_f32_e32 v70, v74, v87
	s_waitcnt vmcnt(8)
	v_fma_f32 v71, v71, v94, -v86
	v_fmac_f32_e32 v103, v72, v94
	v_add_f32_e32 v69, 0, v69
	v_add_f32_e32 v68, 0, v68
	v_mul_f32_e32 v72, v76, v88
	s_waitcnt vmcnt(7)
	v_fma_f32 v70, v73, v95, -v70
	v_fmac_f32_e32 v104, v74, v95
	v_add_f32_e32 v69, v69, v71
	v_add_f32_e32 v68, v68, v103
	;; [unrolled: 6-line block ×4, first 2 shown]
	s_waitcnt lgkmcnt(0)
	v_mul_f32_e32 v72, v82, v91
	s_waitcnt vmcnt(4)
	v_fma_f32 v70, v79, v98, -v70
	v_mul_f32_e32 v108, v81, v91
	v_add_f32_e32 v69, v69, v71
	v_fmac_f32_e32 v107, v80, v98
	v_add_f32_e32 v68, v68, v106
	v_mul_f32_e32 v71, v84, v92
	s_waitcnt vmcnt(3)
	v_fma_f32 v72, v81, v99, -v72
	v_add_f32_e32 v69, v69, v70
	v_mul_f32_e32 v109, v83, v92
	v_fmac_f32_e32 v108, v82, v99
	v_add_f32_e32 v68, v68, v107
	s_waitcnt vmcnt(2)
	v_fma_f32 v70, v83, v100, -v71
	v_add_f32_e32 v69, v69, v72
	v_fmac_f32_e32 v109, v84, v100
	v_add_f32_e32 v68, v68, v108
	v_add_f32_e32 v69, v69, v70
	;; [unrolled: 1-line block ×3, first 2 shown]
	s_waitcnt vmcnt(1)
	v_sub_f32_e32 v69, v101, v69
	s_waitcnt vmcnt(0)
	v_sub_f32_e32 v68, v102, v68
	buffer_store_dword v69, off, s[0:3], 0 offset:192
	buffer_store_dword v68, off, s[0:3], 0 offset:196
	v_cmpx_lt_u32_e32 23, v0
	s_cbranch_execz .LBB96_165
; %bb.164:
	s_clause 0x1
	buffer_load_dword v68, off, s[0:3], 0 offset:184
	buffer_load_dword v69, off, s[0:3], 0 offset:188
	v_mov_b32_e32 v70, 0
	buffer_store_dword v70, off, s[0:3], 0 offset:184
	buffer_store_dword v70, off, s[0:3], 0 offset:188
	s_waitcnt vmcnt(0)
	ds_write_b64 v67, v[68:69]
.LBB96_165:
	s_or_b32 exec_lo, exec_lo, s4
	s_waitcnt lgkmcnt(0)
	s_waitcnt_vscnt null, 0x0
	s_barrier
	buffer_gl0_inv
	s_clause 0x13
	buffer_load_dword v87, off, s[0:3], 0 offset:196
	buffer_load_dword v88, off, s[0:3], 0 offset:204
	;; [unrolled: 1-line block ×20, first 2 shown]
	v_mov_b32_e32 v68, 0
	ds_read_b128 v[69:72], v68 offset:464
	ds_read_b128 v[73:76], v68 offset:480
	;; [unrolled: 1-line block ×4, first 2 shown]
	ds_read_b64 v[85:86], v68 offset:528
	s_mov_b32 s4, exec_lo
	s_waitcnt vmcnt(19) lgkmcnt(4)
	v_mul_f32_e32 v107, v69, v87
	v_mul_f32_e32 v87, v70, v87
	s_waitcnt vmcnt(18)
	v_mul_f32_e32 v108, v71, v88
	v_mul_f32_e32 v88, v72, v88
	s_waitcnt vmcnt(17) lgkmcnt(3)
	v_mul_f32_e32 v109, v73, v89
	s_waitcnt vmcnt(16)
	v_mul_f32_e32 v110, v75, v90
	s_waitcnt vmcnt(15) lgkmcnt(2)
	v_mul_f32_e32 v111, v77, v91
	s_waitcnt vmcnt(14)
	;; [unrolled: 4-line block ×3, first 2 shown]
	v_fma_f32 v69, v69, v96, -v87
	v_fmac_f32_e32 v107, v70, v96
	v_mul_f32_e32 v70, v74, v89
	s_waitcnt vmcnt(9)
	v_fma_f32 v71, v71, v97, -v88
	v_fmac_f32_e32 v108, v72, v97
	v_add_f32_e32 v69, 0, v69
	v_add_f32_e32 v72, 0, v107
	v_mul_f32_e32 v87, v76, v90
	s_waitcnt vmcnt(8)
	v_fma_f32 v70, v73, v98, -v70
	v_fmac_f32_e32 v109, v74, v98
	v_add_f32_e32 v69, v69, v71
	v_add_f32_e32 v71, v72, v108
	v_mul_f32_e32 v72, v78, v91
	s_waitcnt vmcnt(7)
	v_fma_f32 v73, v75, v99, -v87
	v_fmac_f32_e32 v110, v76, v99
	v_add_f32_e32 v69, v69, v70
	v_add_f32_e32 v70, v71, v109
	v_mul_f32_e32 v71, v80, v92
	s_waitcnt vmcnt(6)
	v_fma_f32 v72, v77, v100, -v72
	v_fmac_f32_e32 v111, v78, v100
	v_add_f32_e32 v69, v69, v73
	v_add_f32_e32 v70, v70, v110
	v_mul_f32_e32 v73, v82, v93
	s_waitcnt vmcnt(5)
	v_fma_f32 v71, v79, v101, -v71
	v_fmac_f32_e32 v112, v80, v101
	v_add_f32_e32 v69, v69, v72
	v_add_f32_e32 v70, v70, v111
	v_mul_f32_e32 v72, v84, v94
	s_waitcnt vmcnt(4)
	v_fma_f32 v73, v81, v102, -v73
	v_mul_f32_e32 v114, v83, v94
	v_add_f32_e32 v69, v69, v71
	v_fmac_f32_e32 v113, v82, v102
	v_add_f32_e32 v70, v70, v112
	s_waitcnt lgkmcnt(0)
	v_mul_f32_e32 v71, v86, v95
	s_waitcnt vmcnt(3)
	v_fma_f32 v72, v83, v103, -v72
	v_add_f32_e32 v69, v69, v73
	v_mul_f32_e32 v115, v85, v95
	v_fmac_f32_e32 v114, v84, v103
	v_add_f32_e32 v70, v70, v113
	s_waitcnt vmcnt(2)
	v_fma_f32 v71, v85, v104, -v71
	v_add_f32_e32 v69, v69, v72
	v_fmac_f32_e32 v115, v86, v104
	v_add_f32_e32 v70, v70, v114
	v_add_f32_e32 v69, v69, v71
	;; [unrolled: 1-line block ×3, first 2 shown]
	s_waitcnt vmcnt(1)
	v_sub_f32_e32 v69, v105, v69
	s_waitcnt vmcnt(0)
	v_sub_f32_e32 v70, v106, v70
	buffer_store_dword v69, off, s[0:3], 0 offset:184
	buffer_store_dword v70, off, s[0:3], 0 offset:188
	v_cmpx_lt_u32_e32 22, v0
	s_cbranch_execz .LBB96_167
; %bb.166:
	s_clause 0x1
	buffer_load_dword v69, off, s[0:3], 0 offset:176
	buffer_load_dword v70, off, s[0:3], 0 offset:180
	buffer_store_dword v68, off, s[0:3], 0 offset:176
	buffer_store_dword v68, off, s[0:3], 0 offset:180
	s_waitcnt vmcnt(0)
	ds_write_b64 v67, v[69:70]
.LBB96_167:
	s_or_b32 exec_lo, exec_lo, s4
	s_waitcnt lgkmcnt(0)
	s_waitcnt_vscnt null, 0x0
	s_barrier
	buffer_gl0_inv
	s_clause 0x15
	buffer_load_dword v89, off, s[0:3], 0 offset:188
	buffer_load_dword v90, off, s[0:3], 0 offset:196
	buffer_load_dword v91, off, s[0:3], 0 offset:204
	buffer_load_dword v92, off, s[0:3], 0 offset:212
	buffer_load_dword v93, off, s[0:3], 0 offset:220
	buffer_load_dword v94, off, s[0:3], 0 offset:228
	buffer_load_dword v95, off, s[0:3], 0 offset:236
	buffer_load_dword v96, off, s[0:3], 0 offset:244
	buffer_load_dword v97, off, s[0:3], 0 offset:252
	buffer_load_dword v98, off, s[0:3], 0 offset:260
	buffer_load_dword v99, off, s[0:3], 0 offset:184
	buffer_load_dword v100, off, s[0:3], 0 offset:192
	buffer_load_dword v101, off, s[0:3], 0 offset:200
	buffer_load_dword v102, off, s[0:3], 0 offset:208
	buffer_load_dword v103, off, s[0:3], 0 offset:216
	buffer_load_dword v104, off, s[0:3], 0 offset:224
	buffer_load_dword v105, off, s[0:3], 0 offset:232
	buffer_load_dword v106, off, s[0:3], 0 offset:240
	buffer_load_dword v107, off, s[0:3], 0 offset:248
	buffer_load_dword v108, off, s[0:3], 0 offset:256
	buffer_load_dword v109, off, s[0:3], 0 offset:176
	buffer_load_dword v110, off, s[0:3], 0 offset:180
	ds_read2_b64 v[69:72], v68 offset0:57 offset1:58
	ds_read2_b64 v[73:76], v68 offset0:59 offset1:60
	;; [unrolled: 1-line block ×5, first 2 shown]
	s_mov_b32 s4, exec_lo
	s_waitcnt vmcnt(21) lgkmcnt(4)
	v_mul_f32_e32 v68, v69, v89
	v_mul_f32_e32 v89, v70, v89
	s_waitcnt vmcnt(20)
	v_mul_f32_e32 v111, v71, v90
	v_mul_f32_e32 v90, v72, v90
	s_waitcnt vmcnt(19) lgkmcnt(3)
	v_mul_f32_e32 v112, v73, v91
	s_waitcnt vmcnt(18)
	v_mul_f32_e32 v113, v75, v92
	s_waitcnt vmcnt(17) lgkmcnt(2)
	v_mul_f32_e32 v114, v77, v93
	s_waitcnt vmcnt(16)
	;; [unrolled: 4-line block ×3, first 2 shown]
	v_mul_f32_e32 v117, v83, v96
	s_waitcnt vmcnt(11)
	v_fma_f32 v69, v69, v99, -v89
	v_fmac_f32_e32 v68, v70, v99
	v_mul_f32_e32 v70, v74, v91
	s_waitcnt vmcnt(10)
	v_fma_f32 v71, v71, v100, -v90
	v_fmac_f32_e32 v111, v72, v100
	v_add_f32_e32 v69, 0, v69
	v_add_f32_e32 v68, 0, v68
	v_mul_f32_e32 v72, v76, v92
	s_waitcnt vmcnt(9)
	v_fma_f32 v70, v73, v101, -v70
	v_fmac_f32_e32 v112, v74, v101
	v_add_f32_e32 v69, v69, v71
	v_add_f32_e32 v68, v68, v111
	;; [unrolled: 6-line block ×6, first 2 shown]
	s_waitcnt lgkmcnt(0)
	v_mul_f32_e32 v70, v86, v97
	s_waitcnt vmcnt(4)
	v_fma_f32 v71, v83, v106, -v71
	v_mul_f32_e32 v118, v85, v97
	v_add_f32_e32 v69, v69, v72
	v_fmac_f32_e32 v117, v84, v106
	v_add_f32_e32 v68, v68, v116
	v_mul_f32_e32 v72, v88, v98
	s_waitcnt vmcnt(3)
	v_fma_f32 v70, v85, v107, -v70
	v_add_f32_e32 v69, v69, v71
	v_mul_f32_e32 v119, v87, v98
	v_fmac_f32_e32 v118, v86, v107
	v_add_f32_e32 v68, v68, v117
	s_waitcnt vmcnt(2)
	v_fma_f32 v71, v87, v108, -v72
	v_add_f32_e32 v69, v69, v70
	v_fmac_f32_e32 v119, v88, v108
	v_add_f32_e32 v68, v68, v118
	v_add_f32_e32 v69, v69, v71
	;; [unrolled: 1-line block ×3, first 2 shown]
	s_waitcnt vmcnt(1)
	v_sub_f32_e32 v69, v109, v69
	s_waitcnt vmcnt(0)
	v_sub_f32_e32 v68, v110, v68
	buffer_store_dword v69, off, s[0:3], 0 offset:176
	buffer_store_dword v68, off, s[0:3], 0 offset:180
	v_cmpx_lt_u32_e32 21, v0
	s_cbranch_execz .LBB96_169
; %bb.168:
	s_clause 0x1
	buffer_load_dword v68, off, s[0:3], 0 offset:168
	buffer_load_dword v69, off, s[0:3], 0 offset:172
	v_mov_b32_e32 v70, 0
	buffer_store_dword v70, off, s[0:3], 0 offset:168
	buffer_store_dword v70, off, s[0:3], 0 offset:172
	s_waitcnt vmcnt(0)
	ds_write_b64 v67, v[68:69]
.LBB96_169:
	s_or_b32 exec_lo, exec_lo, s4
	s_waitcnt lgkmcnt(0)
	s_waitcnt_vscnt null, 0x0
	s_barrier
	buffer_gl0_inv
	s_clause 0x17
	buffer_load_dword v91, off, s[0:3], 0 offset:180
	buffer_load_dword v92, off, s[0:3], 0 offset:188
	;; [unrolled: 1-line block ×24, first 2 shown]
	v_mov_b32_e32 v68, 0
	ds_read_b128 v[69:72], v68 offset:448
	ds_read_b128 v[73:76], v68 offset:464
	;; [unrolled: 1-line block ×5, first 2 shown]
	ds_read_b64 v[89:90], v68 offset:528
	s_mov_b32 s4, exec_lo
	s_waitcnt vmcnt(23) lgkmcnt(5)
	v_mul_f32_e32 v115, v69, v91
	v_mul_f32_e32 v91, v70, v91
	s_waitcnt vmcnt(22)
	v_mul_f32_e32 v116, v71, v92
	v_mul_f32_e32 v92, v72, v92
	s_waitcnt vmcnt(21) lgkmcnt(4)
	v_mul_f32_e32 v117, v73, v93
	s_waitcnt vmcnt(20)
	v_mul_f32_e32 v118, v75, v94
	s_waitcnt vmcnt(19) lgkmcnt(3)
	v_mul_f32_e32 v119, v77, v95
	s_waitcnt vmcnt(18)
	;; [unrolled: 4-line block ×4, first 2 shown]
	v_fma_f32 v69, v69, v102, -v91
	v_fmac_f32_e32 v115, v70, v102
	v_mul_f32_e32 v70, v74, v93
	s_waitcnt vmcnt(11)
	v_fma_f32 v71, v71, v103, -v92
	v_fmac_f32_e32 v116, v72, v103
	v_add_f32_e32 v69, 0, v69
	v_add_f32_e32 v72, 0, v115
	v_mul_f32_e32 v91, v76, v94
	s_waitcnt vmcnt(10)
	v_fma_f32 v70, v73, v104, -v70
	v_fmac_f32_e32 v117, v74, v104
	v_add_f32_e32 v69, v69, v71
	v_add_f32_e32 v71, v72, v116
	;; [unrolled: 6-line block ×7, first 2 shown]
	v_mul_f32_e32 v73, v88, v100
	s_waitcnt vmcnt(4)
	v_fma_f32 v71, v85, v110, -v71
	v_mul_f32_e32 v124, v87, v100
	v_add_f32_e32 v69, v69, v72
	v_fmac_f32_e32 v123, v86, v110
	v_add_f32_e32 v70, v70, v122
	s_waitcnt lgkmcnt(0)
	v_mul_f32_e32 v72, v90, v101
	s_waitcnt vmcnt(3)
	v_fma_f32 v73, v87, v111, -v73
	v_add_f32_e32 v69, v69, v71
	v_mul_f32_e32 v125, v89, v101
	v_fmac_f32_e32 v124, v88, v111
	v_add_f32_e32 v70, v70, v123
	s_waitcnt vmcnt(2)
	v_fma_f32 v71, v89, v112, -v72
	v_add_f32_e32 v69, v69, v73
	v_fmac_f32_e32 v125, v90, v112
	v_add_f32_e32 v70, v70, v124
	v_add_f32_e32 v69, v69, v71
	v_add_f32_e32 v70, v70, v125
	s_waitcnt vmcnt(1)
	v_sub_f32_e32 v69, v113, v69
	s_waitcnt vmcnt(0)
	v_sub_f32_e32 v70, v114, v70
	buffer_store_dword v69, off, s[0:3], 0 offset:168
	buffer_store_dword v70, off, s[0:3], 0 offset:172
	v_cmpx_lt_u32_e32 20, v0
	s_cbranch_execz .LBB96_171
; %bb.170:
	s_clause 0x1
	buffer_load_dword v69, off, s[0:3], 0 offset:160
	buffer_load_dword v70, off, s[0:3], 0 offset:164
	buffer_store_dword v68, off, s[0:3], 0 offset:160
	buffer_store_dword v68, off, s[0:3], 0 offset:164
	s_waitcnt vmcnt(0)
	ds_write_b64 v67, v[69:70]
.LBB96_171:
	s_or_b32 exec_lo, exec_lo, s4
	s_waitcnt lgkmcnt(0)
	s_waitcnt_vscnt null, 0x0
	s_barrier
	buffer_gl0_inv
	s_clause 0x19
	buffer_load_dword v93, off, s[0:3], 0 offset:172
	buffer_load_dword v94, off, s[0:3], 0 offset:180
	;; [unrolled: 1-line block ×26, first 2 shown]
	ds_read2_b64 v[69:72], v68 offset0:55 offset1:56
	ds_read2_b64 v[73:76], v68 offset0:57 offset1:58
	;; [unrolled: 1-line block ×6, first 2 shown]
	s_mov_b32 s4, exec_lo
	s_waitcnt vmcnt(25) lgkmcnt(5)
	v_mul_f32_e32 v68, v69, v93
	v_mul_f32_e32 v93, v70, v93
	s_waitcnt vmcnt(24)
	v_mul_f32_e32 v119, v71, v94
	v_mul_f32_e32 v94, v72, v94
	s_waitcnt vmcnt(23) lgkmcnt(4)
	v_mul_f32_e32 v120, v73, v95
	s_waitcnt vmcnt(22)
	v_mul_f32_e32 v121, v75, v96
	s_waitcnt vmcnt(21) lgkmcnt(3)
	v_mul_f32_e32 v122, v77, v97
	s_waitcnt vmcnt(20)
	;; [unrolled: 4-line block ×4, first 2 shown]
	v_mul_f32_e32 v127, v87, v102
	s_waitcnt vmcnt(13)
	v_fma_f32 v69, v69, v105, -v93
	v_fmac_f32_e32 v68, v70, v105
	v_mul_f32_e32 v70, v74, v95
	s_waitcnt vmcnt(12)
	v_fma_f32 v71, v71, v106, -v94
	v_fmac_f32_e32 v119, v72, v106
	v_add_f32_e32 v69, 0, v69
	v_add_f32_e32 v68, 0, v68
	v_mul_f32_e32 v72, v76, v96
	s_waitcnt vmcnt(11)
	v_fma_f32 v70, v73, v107, -v70
	v_fmac_f32_e32 v120, v74, v107
	v_add_f32_e32 v69, v69, v71
	v_add_f32_e32 v68, v68, v119
	;; [unrolled: 6-line block ×8, first 2 shown]
	s_waitcnt lgkmcnt(0)
	v_mul_f32_e32 v71, v90, v103
	s_waitcnt vmcnt(4)
	v_fma_f32 v72, v87, v114, -v72
	v_mul_f32_e32 v128, v89, v103
	v_add_f32_e32 v69, v69, v70
	v_fmac_f32_e32 v127, v88, v114
	v_add_f32_e32 v68, v68, v126
	v_mul_f32_e32 v70, v92, v104
	s_waitcnt vmcnt(3)
	v_fma_f32 v71, v89, v115, -v71
	v_add_f32_e32 v69, v69, v72
	v_mul_f32_e32 v129, v91, v104
	v_fmac_f32_e32 v128, v90, v115
	v_add_f32_e32 v68, v68, v127
	s_waitcnt vmcnt(2)
	v_fma_f32 v70, v91, v116, -v70
	v_add_f32_e32 v69, v69, v71
	v_fmac_f32_e32 v129, v92, v116
	v_add_f32_e32 v68, v68, v128
	v_add_f32_e32 v69, v69, v70
	;; [unrolled: 1-line block ×3, first 2 shown]
	s_waitcnt vmcnt(1)
	v_sub_f32_e32 v69, v117, v69
	s_waitcnt vmcnt(0)
	v_sub_f32_e32 v68, v118, v68
	buffer_store_dword v69, off, s[0:3], 0 offset:160
	buffer_store_dword v68, off, s[0:3], 0 offset:164
	v_cmpx_lt_u32_e32 19, v0
	s_cbranch_execz .LBB96_173
; %bb.172:
	s_clause 0x1
	buffer_load_dword v68, off, s[0:3], 0 offset:152
	buffer_load_dword v69, off, s[0:3], 0 offset:156
	v_mov_b32_e32 v70, 0
	buffer_store_dword v70, off, s[0:3], 0 offset:152
	buffer_store_dword v70, off, s[0:3], 0 offset:156
	s_waitcnt vmcnt(0)
	ds_write_b64 v67, v[68:69]
.LBB96_173:
	s_or_b32 exec_lo, exec_lo, s4
	s_waitcnt lgkmcnt(0)
	s_waitcnt_vscnt null, 0x0
	s_barrier
	buffer_gl0_inv
	s_clause 0x1b
	buffer_load_dword v95, off, s[0:3], 0 offset:164
	buffer_load_dword v96, off, s[0:3], 0 offset:172
	;; [unrolled: 1-line block ×28, first 2 shown]
	v_mov_b32_e32 v68, 0
	ds_read_b128 v[69:72], v68 offset:432
	ds_read_b128 v[73:76], v68 offset:448
	;; [unrolled: 1-line block ×6, first 2 shown]
	ds_read_b64 v[93:94], v68 offset:528
	s_mov_b32 s4, exec_lo
	s_waitcnt vmcnt(27) lgkmcnt(6)
	v_mul_f32_e32 v123, v69, v95
	v_mul_f32_e32 v95, v70, v95
	s_waitcnt vmcnt(26)
	v_mul_f32_e32 v124, v71, v96
	v_mul_f32_e32 v96, v72, v96
	s_waitcnt vmcnt(25) lgkmcnt(5)
	v_mul_f32_e32 v125, v73, v97
	s_waitcnt vmcnt(24)
	v_mul_f32_e32 v126, v75, v98
	s_waitcnt vmcnt(23) lgkmcnt(4)
	v_mul_f32_e32 v127, v77, v99
	s_waitcnt vmcnt(22)
	v_mul_f32_e32 v128, v79, v100
	s_waitcnt vmcnt(21) lgkmcnt(3)
	v_mul_f32_e32 v129, v81, v101
	s_waitcnt vmcnt(20)
	v_mul_f32_e32 v130, v83, v102
	s_waitcnt vmcnt(19) lgkmcnt(2)
	v_mul_f32_e32 v131, v85, v103
	s_waitcnt vmcnt(18)
	v_mul_f32_e32 v132, v87, v104
	s_waitcnt vmcnt(17) lgkmcnt(1)
	v_mul_f32_e32 v133, v89, v105
	s_waitcnt vmcnt(14)
	v_fma_f32 v69, v69, v108, -v95
	v_fmac_f32_e32 v123, v70, v108
	v_mul_f32_e32 v70, v74, v97
	s_waitcnt vmcnt(13)
	v_fma_f32 v71, v71, v109, -v96
	v_fmac_f32_e32 v124, v72, v109
	v_add_f32_e32 v69, 0, v69
	v_add_f32_e32 v72, 0, v123
	v_mul_f32_e32 v95, v76, v98
	s_waitcnt vmcnt(12)
	v_fma_f32 v70, v73, v110, -v70
	v_fmac_f32_e32 v125, v74, v110
	v_add_f32_e32 v69, v69, v71
	v_add_f32_e32 v71, v72, v124
	;; [unrolled: 6-line block ×9, first 2 shown]
	v_mul_f32_e32 v71, v92, v106
	s_waitcnt vmcnt(4)
	v_fma_f32 v72, v89, v118, -v72
	v_mul_f32_e32 v134, v91, v106
	v_add_f32_e32 v69, v69, v73
	v_fmac_f32_e32 v133, v90, v118
	v_add_f32_e32 v70, v70, v132
	s_waitcnt lgkmcnt(0)
	v_mul_f32_e32 v73, v94, v107
	s_waitcnt vmcnt(3)
	v_fma_f32 v71, v91, v119, -v71
	v_add_f32_e32 v69, v69, v72
	v_mul_f32_e32 v135, v93, v107
	v_fmac_f32_e32 v134, v92, v119
	v_add_f32_e32 v70, v70, v133
	s_waitcnt vmcnt(2)
	v_fma_f32 v72, v93, v120, -v73
	v_add_f32_e32 v69, v69, v71
	v_fmac_f32_e32 v135, v94, v120
	v_add_f32_e32 v70, v70, v134
	v_add_f32_e32 v69, v69, v72
	;; [unrolled: 1-line block ×3, first 2 shown]
	s_waitcnt vmcnt(1)
	v_sub_f32_e32 v69, v121, v69
	s_waitcnt vmcnt(0)
	v_sub_f32_e32 v70, v122, v70
	buffer_store_dword v69, off, s[0:3], 0 offset:152
	buffer_store_dword v70, off, s[0:3], 0 offset:156
	v_cmpx_lt_u32_e32 18, v0
	s_cbranch_execz .LBB96_175
; %bb.174:
	s_clause 0x1
	buffer_load_dword v69, off, s[0:3], 0 offset:144
	buffer_load_dword v70, off, s[0:3], 0 offset:148
	buffer_store_dword v68, off, s[0:3], 0 offset:144
	buffer_store_dword v68, off, s[0:3], 0 offset:148
	s_waitcnt vmcnt(0)
	ds_write_b64 v67, v[69:70]
.LBB96_175:
	s_or_b32 exec_lo, exec_lo, s4
	s_waitcnt lgkmcnt(0)
	s_waitcnt_vscnt null, 0x0
	s_barrier
	buffer_gl0_inv
	s_clause 0x1d
	buffer_load_dword v97, off, s[0:3], 0 offset:156
	buffer_load_dword v98, off, s[0:3], 0 offset:164
	;; [unrolled: 1-line block ×30, first 2 shown]
	ds_read2_b64 v[69:72], v68 offset0:53 offset1:54
	ds_read2_b64 v[73:76], v68 offset0:55 offset1:56
	;; [unrolled: 1-line block ×7, first 2 shown]
	s_mov_b32 s4, exec_lo
	s_waitcnt vmcnt(29) lgkmcnt(6)
	v_mul_f32_e32 v68, v69, v97
	v_mul_f32_e32 v97, v70, v97
	s_waitcnt vmcnt(28)
	v_mul_f32_e32 v127, v71, v98
	v_mul_f32_e32 v98, v72, v98
	s_waitcnt vmcnt(27) lgkmcnt(5)
	v_mul_f32_e32 v128, v73, v99
	s_waitcnt vmcnt(26)
	v_mul_f32_e32 v129, v75, v100
	s_waitcnt vmcnt(25) lgkmcnt(4)
	v_mul_f32_e32 v130, v77, v101
	s_waitcnt vmcnt(24)
	;; [unrolled: 4-line block ×5, first 2 shown]
	v_mul_f32_e32 v137, v91, v108
	s_waitcnt vmcnt(15)
	v_fma_f32 v69, v69, v111, -v97
	v_fmac_f32_e32 v68, v70, v111
	v_mul_f32_e32 v70, v74, v99
	s_waitcnt vmcnt(14)
	v_fma_f32 v71, v71, v112, -v98
	v_fmac_f32_e32 v127, v72, v112
	v_add_f32_e32 v69, 0, v69
	v_add_f32_e32 v68, 0, v68
	v_mul_f32_e32 v72, v76, v100
	s_waitcnt vmcnt(13)
	v_fma_f32 v70, v73, v113, -v70
	v_fmac_f32_e32 v128, v74, v113
	v_add_f32_e32 v69, v69, v71
	v_add_f32_e32 v68, v68, v127
	;; [unrolled: 6-line block ×10, first 2 shown]
	s_waitcnt lgkmcnt(0)
	v_mul_f32_e32 v72, v94, v109
	s_waitcnt vmcnt(4)
	v_fma_f32 v70, v91, v122, -v70
	v_mul_f32_e32 v138, v93, v109
	v_add_f32_e32 v69, v69, v71
	v_fmac_f32_e32 v137, v92, v122
	v_add_f32_e32 v68, v68, v136
	v_mul_f32_e32 v71, v96, v110
	s_waitcnt vmcnt(3)
	v_fma_f32 v72, v93, v123, -v72
	v_add_f32_e32 v69, v69, v70
	v_mul_f32_e32 v139, v95, v110
	v_fmac_f32_e32 v138, v94, v123
	v_add_f32_e32 v68, v68, v137
	s_waitcnt vmcnt(2)
	v_fma_f32 v70, v95, v124, -v71
	v_add_f32_e32 v69, v69, v72
	v_fmac_f32_e32 v139, v96, v124
	v_add_f32_e32 v68, v68, v138
	v_add_f32_e32 v69, v69, v70
	;; [unrolled: 1-line block ×3, first 2 shown]
	s_waitcnt vmcnt(1)
	v_sub_f32_e32 v69, v125, v69
	s_waitcnt vmcnt(0)
	v_sub_f32_e32 v68, v126, v68
	buffer_store_dword v69, off, s[0:3], 0 offset:144
	buffer_store_dword v68, off, s[0:3], 0 offset:148
	v_cmpx_lt_u32_e32 17, v0
	s_cbranch_execz .LBB96_177
; %bb.176:
	s_clause 0x1
	buffer_load_dword v68, off, s[0:3], 0 offset:136
	buffer_load_dword v69, off, s[0:3], 0 offset:140
	v_mov_b32_e32 v70, 0
	buffer_store_dword v70, off, s[0:3], 0 offset:136
	buffer_store_dword v70, off, s[0:3], 0 offset:140
	s_waitcnt vmcnt(0)
	ds_write_b64 v67, v[68:69]
.LBB96_177:
	s_or_b32 exec_lo, exec_lo, s4
	s_waitcnt lgkmcnt(0)
	s_waitcnt_vscnt null, 0x0
	s_barrier
	buffer_gl0_inv
	s_clause 0x1f
	buffer_load_dword v99, off, s[0:3], 0 offset:148
	buffer_load_dword v100, off, s[0:3], 0 offset:156
	;; [unrolled: 1-line block ×32, first 2 shown]
	v_mov_b32_e32 v68, 0
	ds_read_b128 v[69:72], v68 offset:416
	ds_read_b128 v[73:76], v68 offset:432
	;; [unrolled: 1-line block ×7, first 2 shown]
	ds_read_b64 v[97:98], v68 offset:528
	s_mov_b32 s4, exec_lo
	s_waitcnt vmcnt(31) lgkmcnt(7)
	v_mul_f32_e32 v131, v69, v99
	v_mul_f32_e32 v99, v70, v99
	s_waitcnt vmcnt(30)
	v_mul_f32_e32 v132, v71, v100
	v_mul_f32_e32 v100, v72, v100
	s_waitcnt vmcnt(29) lgkmcnt(6)
	v_mul_f32_e32 v133, v73, v101
	s_waitcnt vmcnt(28)
	v_mul_f32_e32 v134, v75, v102
	s_waitcnt vmcnt(27) lgkmcnt(5)
	v_mul_f32_e32 v135, v77, v103
	s_waitcnt vmcnt(26)
	;; [unrolled: 4-line block ×6, first 2 shown]
	v_fma_f32 v69, v69, v114, -v99
	v_fmac_f32_e32 v131, v70, v114
	v_mul_f32_e32 v70, v74, v101
	s_waitcnt vmcnt(15)
	v_fma_f32 v71, v71, v115, -v100
	v_fmac_f32_e32 v132, v72, v115
	v_add_f32_e32 v69, 0, v69
	v_add_f32_e32 v72, 0, v131
	v_mul_f32_e32 v99, v76, v102
	s_waitcnt vmcnt(14)
	v_fma_f32 v70, v73, v116, -v70
	v_fmac_f32_e32 v133, v74, v116
	v_add_f32_e32 v69, v69, v71
	v_add_f32_e32 v71, v72, v132
	v_mul_f32_e32 v72, v78, v103
	s_waitcnt vmcnt(13)
	v_fma_f32 v73, v75, v117, -v99
	v_fmac_f32_e32 v134, v76, v117
	v_add_f32_e32 v69, v69, v70
	v_add_f32_e32 v70, v71, v133
	v_mul_f32_e32 v71, v80, v104
	s_waitcnt vmcnt(12)
	v_fma_f32 v72, v77, v118, -v72
	v_fmac_f32_e32 v135, v78, v118
	v_add_f32_e32 v69, v69, v73
	v_add_f32_e32 v70, v70, v134
	v_mul_f32_e32 v73, v82, v105
	s_waitcnt vmcnt(11)
	v_fma_f32 v71, v79, v119, -v71
	v_fmac_f32_e32 v136, v80, v119
	v_add_f32_e32 v69, v69, v72
	v_add_f32_e32 v70, v70, v135
	v_mul_f32_e32 v72, v84, v106
	s_waitcnt vmcnt(10)
	v_fma_f32 v73, v81, v120, -v73
	v_fmac_f32_e32 v137, v82, v120
	v_add_f32_e32 v69, v69, v71
	v_add_f32_e32 v70, v70, v136
	v_mul_f32_e32 v71, v86, v107
	s_waitcnt vmcnt(9)
	v_fma_f32 v72, v83, v121, -v72
	v_fmac_f32_e32 v138, v84, v121
	v_add_f32_e32 v69, v69, v73
	v_add_f32_e32 v70, v70, v137
	v_mul_f32_e32 v73, v88, v108
	s_waitcnt vmcnt(8)
	v_fma_f32 v71, v85, v122, -v71
	v_fmac_f32_e32 v139, v86, v122
	v_add_f32_e32 v69, v69, v72
	v_add_f32_e32 v70, v70, v138
	v_mul_f32_e32 v72, v90, v109
	s_waitcnt vmcnt(7)
	v_fma_f32 v73, v87, v123, -v73
	v_fmac_f32_e32 v140, v88, v123
	v_add_f32_e32 v69, v69, v71
	v_add_f32_e32 v70, v70, v139
	v_mul_f32_e32 v71, v92, v110
	s_waitcnt vmcnt(6)
	v_fma_f32 v72, v89, v124, -v72
	v_fmac_f32_e32 v141, v90, v124
	v_add_f32_e32 v69, v69, v73
	v_add_f32_e32 v70, v70, v140
	v_mul_f32_e32 v73, v94, v111
	s_waitcnt vmcnt(5)
	v_fma_f32 v71, v91, v125, -v71
	v_fmac_f32_e32 v142, v92, v125
	v_add_f32_e32 v69, v69, v72
	v_add_f32_e32 v70, v70, v141
	v_mul_f32_e32 v72, v96, v112
	s_waitcnt vmcnt(4)
	v_fma_f32 v73, v93, v126, -v73
	v_mul_f32_e32 v144, v95, v112
	v_add_f32_e32 v69, v69, v71
	v_fmac_f32_e32 v143, v94, v126
	v_add_f32_e32 v70, v70, v142
	s_waitcnt lgkmcnt(0)
	v_mul_f32_e32 v71, v98, v113
	s_waitcnt vmcnt(3)
	v_fma_f32 v72, v95, v127, -v72
	v_add_f32_e32 v69, v69, v73
	v_mul_f32_e32 v145, v97, v113
	v_fmac_f32_e32 v144, v96, v127
	v_add_f32_e32 v70, v70, v143
	s_waitcnt vmcnt(2)
	v_fma_f32 v71, v97, v128, -v71
	v_add_f32_e32 v69, v69, v72
	v_fmac_f32_e32 v145, v98, v128
	v_add_f32_e32 v70, v70, v144
	v_add_f32_e32 v69, v69, v71
	;; [unrolled: 1-line block ×3, first 2 shown]
	s_waitcnt vmcnt(1)
	v_sub_f32_e32 v69, v129, v69
	s_waitcnt vmcnt(0)
	v_sub_f32_e32 v70, v130, v70
	buffer_store_dword v69, off, s[0:3], 0 offset:136
	buffer_store_dword v70, off, s[0:3], 0 offset:140
	v_cmpx_lt_u32_e32 16, v0
	s_cbranch_execz .LBB96_179
; %bb.178:
	s_clause 0x1
	buffer_load_dword v69, off, s[0:3], 0 offset:128
	buffer_load_dword v70, off, s[0:3], 0 offset:132
	buffer_store_dword v68, off, s[0:3], 0 offset:128
	buffer_store_dword v68, off, s[0:3], 0 offset:132
	s_waitcnt vmcnt(0)
	ds_write_b64 v67, v[69:70]
.LBB96_179:
	s_or_b32 exec_lo, exec_lo, s4
	s_waitcnt lgkmcnt(0)
	s_waitcnt_vscnt null, 0x0
	s_barrier
	buffer_gl0_inv
	s_clause 0x21
	buffer_load_dword v101, off, s[0:3], 0 offset:140
	buffer_load_dword v102, off, s[0:3], 0 offset:148
	;; [unrolled: 1-line block ×34, first 2 shown]
	ds_read2_b64 v[69:72], v68 offset0:51 offset1:52
	ds_read2_b64 v[73:76], v68 offset0:53 offset1:54
	;; [unrolled: 1-line block ×8, first 2 shown]
	s_mov_b32 s4, exec_lo
	s_waitcnt vmcnt(33) lgkmcnt(7)
	v_mul_f32_e32 v68, v69, v101
	v_mul_f32_e32 v101, v70, v101
	s_waitcnt vmcnt(32)
	v_mul_f32_e32 v135, v71, v102
	v_mul_f32_e32 v102, v72, v102
	s_waitcnt vmcnt(31) lgkmcnt(6)
	v_mul_f32_e32 v136, v73, v103
	s_waitcnt vmcnt(30)
	v_mul_f32_e32 v137, v75, v104
	s_waitcnt vmcnt(29) lgkmcnt(5)
	v_mul_f32_e32 v138, v77, v105
	s_waitcnt vmcnt(28)
	;; [unrolled: 4-line block ×6, first 2 shown]
	v_mul_f32_e32 v147, v95, v114
	s_waitcnt vmcnt(17)
	v_fma_f32 v69, v69, v117, -v101
	v_fmac_f32_e32 v68, v70, v117
	v_mul_f32_e32 v70, v74, v103
	s_waitcnt vmcnt(16)
	v_fma_f32 v71, v71, v118, -v102
	v_fmac_f32_e32 v135, v72, v118
	v_add_f32_e32 v69, 0, v69
	v_add_f32_e32 v68, 0, v68
	v_mul_f32_e32 v72, v76, v104
	s_waitcnt vmcnt(15)
	v_fma_f32 v70, v73, v119, -v70
	v_fmac_f32_e32 v136, v74, v119
	v_add_f32_e32 v69, v69, v71
	v_add_f32_e32 v68, v68, v135
	;; [unrolled: 6-line block ×12, first 2 shown]
	s_waitcnt lgkmcnt(0)
	v_mul_f32_e32 v70, v98, v115
	s_waitcnt vmcnt(4)
	v_fma_f32 v71, v95, v130, -v71
	v_mul_f32_e32 v148, v97, v115
	v_add_f32_e32 v69, v69, v72
	v_fmac_f32_e32 v147, v96, v130
	v_add_f32_e32 v68, v68, v146
	v_mul_f32_e32 v72, v100, v116
	s_waitcnt vmcnt(3)
	v_fma_f32 v70, v97, v131, -v70
	v_add_f32_e32 v69, v69, v71
	v_mul_f32_e32 v149, v99, v116
	v_fmac_f32_e32 v148, v98, v131
	v_add_f32_e32 v68, v68, v147
	s_waitcnt vmcnt(2)
	v_fma_f32 v71, v99, v132, -v72
	v_add_f32_e32 v69, v69, v70
	v_fmac_f32_e32 v149, v100, v132
	v_add_f32_e32 v68, v68, v148
	v_add_f32_e32 v69, v69, v71
	;; [unrolled: 1-line block ×3, first 2 shown]
	s_waitcnt vmcnt(1)
	v_sub_f32_e32 v69, v133, v69
	s_waitcnt vmcnt(0)
	v_sub_f32_e32 v68, v134, v68
	buffer_store_dword v69, off, s[0:3], 0 offset:128
	buffer_store_dword v68, off, s[0:3], 0 offset:132
	v_cmpx_lt_u32_e32 15, v0
	s_cbranch_execz .LBB96_181
; %bb.180:
	s_clause 0x1
	buffer_load_dword v68, off, s[0:3], 0 offset:120
	buffer_load_dword v69, off, s[0:3], 0 offset:124
	v_mov_b32_e32 v70, 0
	buffer_store_dword v70, off, s[0:3], 0 offset:120
	buffer_store_dword v70, off, s[0:3], 0 offset:124
	s_waitcnt vmcnt(0)
	ds_write_b64 v67, v[68:69]
.LBB96_181:
	s_or_b32 exec_lo, exec_lo, s4
	s_waitcnt lgkmcnt(0)
	s_waitcnt_vscnt null, 0x0
	s_barrier
	buffer_gl0_inv
	s_clause 0x23
	buffer_load_dword v103, off, s[0:3], 0 offset:132
	buffer_load_dword v104, off, s[0:3], 0 offset:140
	;; [unrolled: 1-line block ×36, first 2 shown]
	v_mov_b32_e32 v68, 0
	ds_read_b128 v[69:72], v68 offset:400
	ds_read_b128 v[73:76], v68 offset:416
	;; [unrolled: 1-line block ×8, first 2 shown]
	ds_read_b64 v[101:102], v68 offset:528
	s_mov_b32 s4, exec_lo
	s_waitcnt vmcnt(35) lgkmcnt(8)
	v_mul_f32_e32 v139, v69, v103
	v_mul_f32_e32 v103, v70, v103
	s_waitcnt vmcnt(34)
	v_mul_f32_e32 v140, v71, v104
	v_mul_f32_e32 v104, v72, v104
	s_waitcnt vmcnt(33) lgkmcnt(7)
	v_mul_f32_e32 v141, v73, v105
	s_waitcnt vmcnt(32)
	v_mul_f32_e32 v142, v75, v106
	s_waitcnt vmcnt(31) lgkmcnt(6)
	v_mul_f32_e32 v143, v77, v107
	s_waitcnt vmcnt(30)
	;; [unrolled: 4-line block ×7, first 2 shown]
	v_fma_f32 v69, v69, v120, -v103
	v_fmac_f32_e32 v139, v70, v120
	v_mul_f32_e32 v70, v74, v105
	s_waitcnt vmcnt(17)
	v_fma_f32 v71, v71, v121, -v104
	v_fmac_f32_e32 v140, v72, v121
	v_add_f32_e32 v69, 0, v69
	v_add_f32_e32 v72, 0, v139
	v_mul_f32_e32 v103, v76, v106
	s_waitcnt vmcnt(16)
	v_fma_f32 v70, v73, v122, -v70
	v_fmac_f32_e32 v141, v74, v122
	v_add_f32_e32 v69, v69, v71
	v_add_f32_e32 v71, v72, v140
	;; [unrolled: 6-line block ×13, first 2 shown]
	v_mul_f32_e32 v73, v100, v118
	s_waitcnt vmcnt(4)
	v_fma_f32 v71, v97, v134, -v71
	v_mul_f32_e32 v154, v99, v118
	v_add_f32_e32 v69, v69, v72
	v_fmac_f32_e32 v153, v98, v134
	v_add_f32_e32 v70, v70, v152
	s_waitcnt lgkmcnt(0)
	v_mul_f32_e32 v72, v102, v119
	s_waitcnt vmcnt(3)
	v_fma_f32 v73, v99, v135, -v73
	v_add_f32_e32 v69, v69, v71
	v_mul_f32_e32 v155, v101, v119
	v_fmac_f32_e32 v154, v100, v135
	v_add_f32_e32 v70, v70, v153
	s_waitcnt vmcnt(2)
	v_fma_f32 v71, v101, v136, -v72
	v_add_f32_e32 v69, v69, v73
	v_fmac_f32_e32 v155, v102, v136
	v_add_f32_e32 v70, v70, v154
	v_add_f32_e32 v69, v69, v71
	;; [unrolled: 1-line block ×3, first 2 shown]
	s_waitcnt vmcnt(1)
	v_sub_f32_e32 v69, v137, v69
	s_waitcnt vmcnt(0)
	v_sub_f32_e32 v70, v138, v70
	buffer_store_dword v69, off, s[0:3], 0 offset:120
	buffer_store_dword v70, off, s[0:3], 0 offset:124
	v_cmpx_lt_u32_e32 14, v0
	s_cbranch_execz .LBB96_183
; %bb.182:
	s_clause 0x1
	buffer_load_dword v69, off, s[0:3], 0 offset:112
	buffer_load_dword v70, off, s[0:3], 0 offset:116
	buffer_store_dword v68, off, s[0:3], 0 offset:112
	buffer_store_dword v68, off, s[0:3], 0 offset:116
	s_waitcnt vmcnt(0)
	ds_write_b64 v67, v[69:70]
.LBB96_183:
	s_or_b32 exec_lo, exec_lo, s4
	s_waitcnt lgkmcnt(0)
	s_waitcnt_vscnt null, 0x0
	s_barrier
	buffer_gl0_inv
	s_clause 0x25
	buffer_load_dword v105, off, s[0:3], 0 offset:124
	buffer_load_dword v106, off, s[0:3], 0 offset:132
	;; [unrolled: 1-line block ×38, first 2 shown]
	ds_read2_b64 v[69:72], v68 offset0:49 offset1:50
	ds_read2_b64 v[73:76], v68 offset0:51 offset1:52
	;; [unrolled: 1-line block ×9, first 2 shown]
	s_mov_b32 s4, exec_lo
	s_waitcnt vmcnt(37) lgkmcnt(8)
	v_mul_f32_e32 v68, v69, v105
	v_mul_f32_e32 v105, v70, v105
	s_waitcnt vmcnt(36)
	v_mul_f32_e32 v143, v71, v106
	v_mul_f32_e32 v106, v72, v106
	s_waitcnt vmcnt(35) lgkmcnt(7)
	v_mul_f32_e32 v144, v73, v107
	s_waitcnt vmcnt(34)
	v_mul_f32_e32 v145, v75, v108
	s_waitcnt vmcnt(33) lgkmcnt(6)
	v_mul_f32_e32 v146, v77, v109
	s_waitcnt vmcnt(32)
	;; [unrolled: 4-line block ×7, first 2 shown]
	v_mul_f32_e32 v157, v99, v120
	s_waitcnt vmcnt(19)
	v_fma_f32 v69, v69, v123, -v105
	v_fmac_f32_e32 v68, v70, v123
	v_mul_f32_e32 v70, v74, v107
	s_waitcnt vmcnt(18)
	v_fma_f32 v71, v71, v124, -v106
	v_fmac_f32_e32 v143, v72, v124
	v_add_f32_e32 v69, 0, v69
	v_add_f32_e32 v68, 0, v68
	v_mul_f32_e32 v72, v76, v108
	s_waitcnt vmcnt(17)
	v_fma_f32 v70, v73, v125, -v70
	v_fmac_f32_e32 v144, v74, v125
	v_add_f32_e32 v69, v69, v71
	v_add_f32_e32 v68, v68, v143
	;; [unrolled: 6-line block ×14, first 2 shown]
	s_waitcnt lgkmcnt(0)
	v_mul_f32_e32 v71, v102, v121
	s_waitcnt vmcnt(4)
	v_fma_f32 v72, v99, v138, -v72
	v_mul_f32_e32 v158, v101, v121
	v_add_f32_e32 v69, v69, v70
	v_fmac_f32_e32 v157, v100, v138
	v_add_f32_e32 v68, v68, v156
	v_mul_f32_e32 v70, v104, v122
	s_waitcnt vmcnt(3)
	v_fma_f32 v71, v101, v139, -v71
	v_add_f32_e32 v69, v69, v72
	v_mul_f32_e32 v159, v103, v122
	v_fmac_f32_e32 v158, v102, v139
	v_add_f32_e32 v68, v68, v157
	s_waitcnt vmcnt(2)
	v_fma_f32 v70, v103, v140, -v70
	v_add_f32_e32 v69, v69, v71
	v_fmac_f32_e32 v159, v104, v140
	v_add_f32_e32 v68, v68, v158
	v_add_f32_e32 v69, v69, v70
	;; [unrolled: 1-line block ×3, first 2 shown]
	s_waitcnt vmcnt(1)
	v_sub_f32_e32 v69, v141, v69
	s_waitcnt vmcnt(0)
	v_sub_f32_e32 v68, v142, v68
	buffer_store_dword v69, off, s[0:3], 0 offset:112
	buffer_store_dword v68, off, s[0:3], 0 offset:116
	v_cmpx_lt_u32_e32 13, v0
	s_cbranch_execz .LBB96_185
; %bb.184:
	s_clause 0x1
	buffer_load_dword v68, off, s[0:3], 0 offset:104
	buffer_load_dword v69, off, s[0:3], 0 offset:108
	v_mov_b32_e32 v70, 0
	buffer_store_dword v70, off, s[0:3], 0 offset:104
	buffer_store_dword v70, off, s[0:3], 0 offset:108
	s_waitcnt vmcnt(0)
	ds_write_b64 v67, v[68:69]
.LBB96_185:
	s_or_b32 exec_lo, exec_lo, s4
	s_waitcnt lgkmcnt(0)
	s_waitcnt_vscnt null, 0x0
	s_barrier
	buffer_gl0_inv
	s_clause 0x27
	buffer_load_dword v107, off, s[0:3], 0 offset:116
	buffer_load_dword v108, off, s[0:3], 0 offset:124
	buffer_load_dword v109, off, s[0:3], 0 offset:132
	buffer_load_dword v110, off, s[0:3], 0 offset:140
	buffer_load_dword v111, off, s[0:3], 0 offset:148
	buffer_load_dword v112, off, s[0:3], 0 offset:156
	buffer_load_dword v113, off, s[0:3], 0 offset:164
	buffer_load_dword v114, off, s[0:3], 0 offset:172
	buffer_load_dword v115, off, s[0:3], 0 offset:180
	buffer_load_dword v116, off, s[0:3], 0 offset:188
	buffer_load_dword v117, off, s[0:3], 0 offset:196
	buffer_load_dword v118, off, s[0:3], 0 offset:204
	buffer_load_dword v119, off, s[0:3], 0 offset:212
	buffer_load_dword v120, off, s[0:3], 0 offset:220
	buffer_load_dword v121, off, s[0:3], 0 offset:228
	buffer_load_dword v122, off, s[0:3], 0 offset:236
	buffer_load_dword v123, off, s[0:3], 0 offset:244
	buffer_load_dword v124, off, s[0:3], 0 offset:252
	buffer_load_dword v125, off, s[0:3], 0 offset:260
	buffer_load_dword v126, off, s[0:3], 0 offset:112
	buffer_load_dword v127, off, s[0:3], 0 offset:120
	buffer_load_dword v128, off, s[0:3], 0 offset:128
	buffer_load_dword v129, off, s[0:3], 0 offset:136
	buffer_load_dword v130, off, s[0:3], 0 offset:144
	buffer_load_dword v131, off, s[0:3], 0 offset:152
	buffer_load_dword v132, off, s[0:3], 0 offset:160
	buffer_load_dword v133, off, s[0:3], 0 offset:168
	buffer_load_dword v134, off, s[0:3], 0 offset:176
	buffer_load_dword v135, off, s[0:3], 0 offset:184
	buffer_load_dword v136, off, s[0:3], 0 offset:192
	buffer_load_dword v137, off, s[0:3], 0 offset:200
	buffer_load_dword v138, off, s[0:3], 0 offset:208
	buffer_load_dword v139, off, s[0:3], 0 offset:216
	buffer_load_dword v140, off, s[0:3], 0 offset:224
	buffer_load_dword v141, off, s[0:3], 0 offset:232
	buffer_load_dword v142, off, s[0:3], 0 offset:240
	buffer_load_dword v143, off, s[0:3], 0 offset:248
	buffer_load_dword v144, off, s[0:3], 0 offset:256
	buffer_load_dword v145, off, s[0:3], 0 offset:104
	buffer_load_dword v146, off, s[0:3], 0 offset:108
	v_mov_b32_e32 v68, 0
	ds_read_b128 v[69:72], v68 offset:384
	ds_read_b128 v[73:76], v68 offset:400
	;; [unrolled: 1-line block ×9, first 2 shown]
	ds_read_b64 v[105:106], v68 offset:528
	s_mov_b32 s4, exec_lo
	s_waitcnt vmcnt(39) lgkmcnt(9)
	v_mul_f32_e32 v147, v69, v107
	v_mul_f32_e32 v107, v70, v107
	s_waitcnt vmcnt(38)
	v_mul_f32_e32 v148, v71, v108
	v_mul_f32_e32 v108, v72, v108
	s_waitcnt vmcnt(37) lgkmcnt(8)
	v_mul_f32_e32 v149, v73, v109
	s_waitcnt vmcnt(36)
	v_mul_f32_e32 v150, v75, v110
	s_waitcnt vmcnt(35) lgkmcnt(7)
	v_mul_f32_e32 v151, v77, v111
	s_waitcnt vmcnt(34)
	;; [unrolled: 4-line block ×8, first 2 shown]
	v_fma_f32 v69, v69, v126, -v107
	v_fmac_f32_e32 v147, v70, v126
	v_mul_f32_e32 v70, v74, v109
	s_waitcnt vmcnt(19)
	v_fma_f32 v71, v71, v127, -v108
	v_fmac_f32_e32 v148, v72, v127
	v_add_f32_e32 v69, 0, v69
	v_add_f32_e32 v72, 0, v147
	v_mul_f32_e32 v107, v76, v110
	s_waitcnt vmcnt(18)
	v_fma_f32 v70, v73, v128, -v70
	v_fmac_f32_e32 v149, v74, v128
	v_add_f32_e32 v69, v69, v71
	v_add_f32_e32 v71, v72, v148
	;; [unrolled: 6-line block ×15, first 2 shown]
	v_mul_f32_e32 v71, v104, v124
	s_waitcnt vmcnt(4)
	v_fma_f32 v72, v101, v142, -v72
	v_mul_f32_e32 v164, v103, v124
	v_add_f32_e32 v69, v69, v73
	v_fmac_f32_e32 v163, v102, v142
	v_add_f32_e32 v70, v70, v162
	s_waitcnt lgkmcnt(0)
	v_mul_f32_e32 v73, v106, v125
	s_waitcnt vmcnt(3)
	v_fma_f32 v71, v103, v143, -v71
	v_add_f32_e32 v69, v69, v72
	v_mul_f32_e32 v165, v105, v125
	v_fmac_f32_e32 v164, v104, v143
	v_add_f32_e32 v70, v70, v163
	s_waitcnt vmcnt(2)
	v_fma_f32 v72, v105, v144, -v73
	v_add_f32_e32 v69, v69, v71
	v_fmac_f32_e32 v165, v106, v144
	v_add_f32_e32 v70, v70, v164
	v_add_f32_e32 v69, v69, v72
	;; [unrolled: 1-line block ×3, first 2 shown]
	s_waitcnt vmcnt(1)
	v_sub_f32_e32 v69, v145, v69
	s_waitcnt vmcnt(0)
	v_sub_f32_e32 v70, v146, v70
	buffer_store_dword v69, off, s[0:3], 0 offset:104
	buffer_store_dword v70, off, s[0:3], 0 offset:108
	v_cmpx_lt_u32_e32 12, v0
	s_cbranch_execz .LBB96_187
; %bb.186:
	s_clause 0x1
	buffer_load_dword v69, off, s[0:3], 0 offset:96
	buffer_load_dword v70, off, s[0:3], 0 offset:100
	buffer_store_dword v68, off, s[0:3], 0 offset:96
	buffer_store_dword v68, off, s[0:3], 0 offset:100
	s_waitcnt vmcnt(0)
	ds_write_b64 v67, v[69:70]
.LBB96_187:
	s_or_b32 exec_lo, exec_lo, s4
	s_waitcnt lgkmcnt(0)
	s_waitcnt_vscnt null, 0x0
	s_barrier
	buffer_gl0_inv
	s_clause 0x29
	buffer_load_dword v109, off, s[0:3], 0 offset:108
	buffer_load_dword v110, off, s[0:3], 0 offset:116
	;; [unrolled: 1-line block ×42, first 2 shown]
	ds_read2_b64 v[69:72], v68 offset0:47 offset1:48
	ds_read2_b64 v[73:76], v68 offset0:49 offset1:50
	;; [unrolled: 1-line block ×10, first 2 shown]
	s_mov_b32 s4, exec_lo
	s_waitcnt vmcnt(41) lgkmcnt(9)
	v_mul_f32_e32 v68, v69, v109
	v_mul_f32_e32 v109, v70, v109
	s_waitcnt vmcnt(40)
	v_mul_f32_e32 v151, v71, v110
	v_mul_f32_e32 v110, v72, v110
	s_waitcnt vmcnt(39) lgkmcnt(8)
	v_mul_f32_e32 v152, v73, v111
	s_waitcnt vmcnt(38)
	v_mul_f32_e32 v153, v75, v112
	s_waitcnt vmcnt(37) lgkmcnt(7)
	v_mul_f32_e32 v154, v77, v113
	s_waitcnt vmcnt(36)
	;; [unrolled: 4-line block ×8, first 2 shown]
	v_mul_f32_e32 v167, v103, v126
	s_waitcnt vmcnt(21)
	v_fma_f32 v69, v69, v129, -v109
	v_fmac_f32_e32 v68, v70, v129
	v_mul_f32_e32 v70, v74, v111
	s_waitcnt vmcnt(20)
	v_fma_f32 v71, v71, v130, -v110
	v_fmac_f32_e32 v151, v72, v130
	v_add_f32_e32 v69, 0, v69
	v_add_f32_e32 v68, 0, v68
	v_mul_f32_e32 v72, v76, v112
	s_waitcnt vmcnt(19)
	v_fma_f32 v70, v73, v131, -v70
	v_fmac_f32_e32 v152, v74, v131
	v_add_f32_e32 v69, v69, v71
	v_add_f32_e32 v68, v68, v151
	;; [unrolled: 6-line block ×16, first 2 shown]
	s_waitcnt lgkmcnt(0)
	v_mul_f32_e32 v72, v106, v127
	s_waitcnt vmcnt(4)
	v_fma_f32 v70, v103, v146, -v70
	v_mul_f32_e32 v168, v105, v127
	v_add_f32_e32 v69, v69, v71
	v_fmac_f32_e32 v167, v104, v146
	v_add_f32_e32 v68, v68, v166
	v_mul_f32_e32 v71, v108, v128
	s_waitcnt vmcnt(3)
	v_fma_f32 v72, v105, v147, -v72
	v_add_f32_e32 v69, v69, v70
	v_mul_f32_e32 v169, v107, v128
	v_fmac_f32_e32 v168, v106, v147
	v_add_f32_e32 v68, v68, v167
	s_waitcnt vmcnt(2)
	v_fma_f32 v70, v107, v148, -v71
	v_add_f32_e32 v69, v69, v72
	v_fmac_f32_e32 v169, v108, v148
	v_add_f32_e32 v68, v68, v168
	v_add_f32_e32 v69, v69, v70
	;; [unrolled: 1-line block ×3, first 2 shown]
	s_waitcnt vmcnt(1)
	v_sub_f32_e32 v69, v149, v69
	s_waitcnt vmcnt(0)
	v_sub_f32_e32 v68, v150, v68
	buffer_store_dword v69, off, s[0:3], 0 offset:96
	buffer_store_dword v68, off, s[0:3], 0 offset:100
	v_cmpx_lt_u32_e32 11, v0
	s_cbranch_execz .LBB96_189
; %bb.188:
	s_clause 0x1
	buffer_load_dword v68, off, s[0:3], 0 offset:88
	buffer_load_dword v69, off, s[0:3], 0 offset:92
	v_mov_b32_e32 v70, 0
	buffer_store_dword v70, off, s[0:3], 0 offset:88
	buffer_store_dword v70, off, s[0:3], 0 offset:92
	s_waitcnt vmcnt(0)
	ds_write_b64 v67, v[68:69]
.LBB96_189:
	s_or_b32 exec_lo, exec_lo, s4
	s_waitcnt lgkmcnt(0)
	s_waitcnt_vscnt null, 0x0
	s_barrier
	buffer_gl0_inv
	s_clause 0x2b
	buffer_load_dword v111, off, s[0:3], 0 offset:100
	buffer_load_dword v112, off, s[0:3], 0 offset:108
	;; [unrolled: 1-line block ×44, first 2 shown]
	v_mov_b32_e32 v68, 0
	ds_read_b128 v[69:72], v68 offset:368
	ds_read_b128 v[73:76], v68 offset:384
	;; [unrolled: 1-line block ×10, first 2 shown]
	ds_read_b64 v[109:110], v68 offset:528
	s_mov_b32 s4, exec_lo
	s_waitcnt vmcnt(43) lgkmcnt(10)
	v_mul_f32_e32 v155, v69, v111
	v_mul_f32_e32 v111, v70, v111
	s_waitcnt vmcnt(42)
	v_mul_f32_e32 v156, v71, v112
	v_mul_f32_e32 v112, v72, v112
	s_waitcnt vmcnt(41) lgkmcnt(9)
	v_mul_f32_e32 v157, v73, v113
	s_waitcnt vmcnt(40)
	v_mul_f32_e32 v158, v75, v114
	s_waitcnt vmcnt(39) lgkmcnt(8)
	v_mul_f32_e32 v159, v77, v115
	s_waitcnt vmcnt(38)
	;; [unrolled: 4-line block ×9, first 2 shown]
	v_fma_f32 v69, v69, v132, -v111
	v_fmac_f32_e32 v155, v70, v132
	v_mul_f32_e32 v70, v74, v113
	s_waitcnt vmcnt(21)
	v_fma_f32 v71, v71, v133, -v112
	v_fmac_f32_e32 v156, v72, v133
	v_add_f32_e32 v69, 0, v69
	v_add_f32_e32 v72, 0, v155
	v_mul_f32_e32 v111, v76, v114
	s_waitcnt vmcnt(20)
	v_fma_f32 v70, v73, v134, -v70
	v_fmac_f32_e32 v157, v74, v134
	v_add_f32_e32 v69, v69, v71
	v_add_f32_e32 v71, v72, v156
	;; [unrolled: 6-line block ×17, first 2 shown]
	v_mul_f32_e32 v72, v108, v130
	s_waitcnt vmcnt(4)
	v_fma_f32 v73, v105, v150, -v73
	v_mul_f32_e32 v174, v107, v130
	v_add_f32_e32 v69, v69, v71
	v_fmac_f32_e32 v173, v106, v150
	v_add_f32_e32 v70, v70, v172
	s_waitcnt lgkmcnt(0)
	v_mul_f32_e32 v71, v110, v131
	s_waitcnt vmcnt(3)
	v_fma_f32 v72, v107, v151, -v72
	v_add_f32_e32 v69, v69, v73
	v_mul_f32_e32 v175, v109, v131
	v_fmac_f32_e32 v174, v108, v151
	v_add_f32_e32 v70, v70, v173
	s_waitcnt vmcnt(2)
	v_fma_f32 v71, v109, v152, -v71
	v_add_f32_e32 v69, v69, v72
	v_fmac_f32_e32 v175, v110, v152
	v_add_f32_e32 v70, v70, v174
	v_add_f32_e32 v69, v69, v71
	v_add_f32_e32 v70, v70, v175
	s_waitcnt vmcnt(1)
	v_sub_f32_e32 v69, v153, v69
	s_waitcnt vmcnt(0)
	v_sub_f32_e32 v70, v154, v70
	buffer_store_dword v69, off, s[0:3], 0 offset:88
	buffer_store_dword v70, off, s[0:3], 0 offset:92
	v_cmpx_lt_u32_e32 10, v0
	s_cbranch_execz .LBB96_191
; %bb.190:
	s_clause 0x1
	buffer_load_dword v69, off, s[0:3], 0 offset:80
	buffer_load_dword v70, off, s[0:3], 0 offset:84
	buffer_store_dword v68, off, s[0:3], 0 offset:80
	buffer_store_dword v68, off, s[0:3], 0 offset:84
	s_waitcnt vmcnt(0)
	ds_write_b64 v67, v[69:70]
.LBB96_191:
	s_or_b32 exec_lo, exec_lo, s4
	s_waitcnt lgkmcnt(0)
	s_waitcnt_vscnt null, 0x0
	s_barrier
	buffer_gl0_inv
	s_clause 0x2d
	buffer_load_dword v113, off, s[0:3], 0 offset:92
	buffer_load_dword v114, off, s[0:3], 0 offset:100
	;; [unrolled: 1-line block ×46, first 2 shown]
	ds_read2_b64 v[69:72], v68 offset0:45 offset1:46
	ds_read2_b64 v[73:76], v68 offset0:47 offset1:48
	;; [unrolled: 1-line block ×11, first 2 shown]
	s_mov_b32 s4, exec_lo
	s_waitcnt vmcnt(45) lgkmcnt(10)
	v_mul_f32_e32 v68, v69, v113
	v_mul_f32_e32 v113, v70, v113
	s_waitcnt vmcnt(44)
	v_mul_f32_e32 v159, v71, v114
	v_mul_f32_e32 v114, v72, v114
	s_waitcnt vmcnt(43) lgkmcnt(9)
	v_mul_f32_e32 v160, v73, v115
	s_waitcnt vmcnt(42)
	v_mul_f32_e32 v161, v75, v116
	s_waitcnt vmcnt(41) lgkmcnt(8)
	v_mul_f32_e32 v162, v77, v117
	s_waitcnt vmcnt(40)
	;; [unrolled: 4-line block ×9, first 2 shown]
	v_mul_f32_e32 v177, v107, v132
	s_waitcnt vmcnt(23)
	v_fma_f32 v69, v69, v135, -v113
	v_fmac_f32_e32 v68, v70, v135
	v_mul_f32_e32 v70, v74, v115
	s_waitcnt vmcnt(22)
	v_fma_f32 v71, v71, v136, -v114
	v_fmac_f32_e32 v159, v72, v136
	v_add_f32_e32 v69, 0, v69
	v_add_f32_e32 v68, 0, v68
	v_mul_f32_e32 v72, v76, v116
	s_waitcnt vmcnt(21)
	v_fma_f32 v70, v73, v137, -v70
	v_fmac_f32_e32 v160, v74, v137
	v_add_f32_e32 v69, v69, v71
	v_add_f32_e32 v68, v68, v159
	;; [unrolled: 6-line block ×18, first 2 shown]
	s_waitcnt lgkmcnt(0)
	v_mul_f32_e32 v70, v110, v133
	s_waitcnt vmcnt(4)
	v_fma_f32 v71, v107, v154, -v71
	v_mul_f32_e32 v178, v109, v133
	v_add_f32_e32 v69, v69, v72
	v_fmac_f32_e32 v177, v108, v154
	v_add_f32_e32 v68, v68, v176
	v_mul_f32_e32 v72, v112, v134
	s_waitcnt vmcnt(3)
	v_fma_f32 v70, v109, v155, -v70
	v_add_f32_e32 v69, v69, v71
	v_mul_f32_e32 v179, v111, v134
	v_fmac_f32_e32 v178, v110, v155
	v_add_f32_e32 v68, v68, v177
	s_waitcnt vmcnt(2)
	v_fma_f32 v71, v111, v156, -v72
	v_add_f32_e32 v69, v69, v70
	v_fmac_f32_e32 v179, v112, v156
	v_add_f32_e32 v68, v68, v178
	v_add_f32_e32 v69, v69, v71
	;; [unrolled: 1-line block ×3, first 2 shown]
	s_waitcnt vmcnt(1)
	v_sub_f32_e32 v69, v157, v69
	s_waitcnt vmcnt(0)
	v_sub_f32_e32 v68, v158, v68
	buffer_store_dword v69, off, s[0:3], 0 offset:80
	buffer_store_dword v68, off, s[0:3], 0 offset:84
	v_cmpx_lt_u32_e32 9, v0
	s_cbranch_execz .LBB96_193
; %bb.192:
	s_clause 0x1
	buffer_load_dword v68, off, s[0:3], 0 offset:72
	buffer_load_dword v69, off, s[0:3], 0 offset:76
	v_mov_b32_e32 v70, 0
	buffer_store_dword v70, off, s[0:3], 0 offset:72
	buffer_store_dword v70, off, s[0:3], 0 offset:76
	s_waitcnt vmcnt(0)
	ds_write_b64 v67, v[68:69]
.LBB96_193:
	s_or_b32 exec_lo, exec_lo, s4
	s_waitcnt lgkmcnt(0)
	s_waitcnt_vscnt null, 0x0
	s_barrier
	buffer_gl0_inv
	s_clause 0x2f
	buffer_load_dword v115, off, s[0:3], 0 offset:84
	buffer_load_dword v116, off, s[0:3], 0 offset:92
	;; [unrolled: 1-line block ×48, first 2 shown]
	v_mov_b32_e32 v68, 0
	ds_read_b128 v[69:72], v68 offset:352
	ds_read_b128 v[73:76], v68 offset:368
	;; [unrolled: 1-line block ×11, first 2 shown]
	ds_read_b64 v[113:114], v68 offset:528
	s_mov_b32 s4, exec_lo
	s_waitcnt vmcnt(47) lgkmcnt(11)
	v_mul_f32_e32 v163, v69, v115
	v_mul_f32_e32 v115, v70, v115
	s_waitcnt vmcnt(46)
	v_mul_f32_e32 v164, v71, v116
	v_mul_f32_e32 v116, v72, v116
	s_waitcnt vmcnt(45) lgkmcnt(10)
	v_mul_f32_e32 v165, v73, v117
	s_waitcnt vmcnt(44)
	v_mul_f32_e32 v166, v75, v118
	s_waitcnt vmcnt(43) lgkmcnt(9)
	v_mul_f32_e32 v167, v77, v119
	s_waitcnt vmcnt(42)
	;; [unrolled: 4-line block ×10, first 2 shown]
	v_fma_f32 v69, v69, v138, -v115
	v_fmac_f32_e32 v163, v70, v138
	v_mul_f32_e32 v70, v74, v117
	s_waitcnt vmcnt(23)
	v_fma_f32 v71, v71, v139, -v116
	v_fmac_f32_e32 v164, v72, v139
	v_add_f32_e32 v69, 0, v69
	v_add_f32_e32 v72, 0, v163
	v_mul_f32_e32 v115, v76, v118
	s_waitcnt vmcnt(22)
	v_fma_f32 v70, v73, v140, -v70
	v_fmac_f32_e32 v165, v74, v140
	v_add_f32_e32 v69, v69, v71
	v_add_f32_e32 v71, v72, v164
	v_mul_f32_e32 v72, v78, v119
	s_waitcnt vmcnt(21)
	v_fma_f32 v73, v75, v141, -v115
	v_fmac_f32_e32 v166, v76, v141
	v_add_f32_e32 v69, v69, v70
	v_add_f32_e32 v70, v71, v165
	v_mul_f32_e32 v71, v80, v120
	s_waitcnt vmcnt(20)
	v_fma_f32 v72, v77, v142, -v72
	v_fmac_f32_e32 v167, v78, v142
	v_add_f32_e32 v69, v69, v73
	v_add_f32_e32 v70, v70, v166
	v_mul_f32_e32 v73, v82, v121
	s_waitcnt vmcnt(19)
	v_fma_f32 v71, v79, v143, -v71
	v_fmac_f32_e32 v168, v80, v143
	v_add_f32_e32 v69, v69, v72
	v_add_f32_e32 v70, v70, v167
	v_mul_f32_e32 v72, v84, v122
	s_waitcnt vmcnt(18)
	v_fma_f32 v73, v81, v144, -v73
	v_fmac_f32_e32 v169, v82, v144
	v_add_f32_e32 v69, v69, v71
	v_add_f32_e32 v70, v70, v168
	v_mul_f32_e32 v71, v86, v123
	s_waitcnt vmcnt(17)
	v_fma_f32 v72, v83, v145, -v72
	v_fmac_f32_e32 v170, v84, v145
	v_add_f32_e32 v69, v69, v73
	v_add_f32_e32 v70, v70, v169
	v_mul_f32_e32 v73, v88, v124
	s_waitcnt vmcnt(16)
	v_fma_f32 v71, v85, v146, -v71
	v_fmac_f32_e32 v171, v86, v146
	v_add_f32_e32 v69, v69, v72
	v_add_f32_e32 v70, v70, v170
	v_mul_f32_e32 v72, v90, v125
	s_waitcnt vmcnt(15)
	v_fma_f32 v73, v87, v147, -v73
	v_fmac_f32_e32 v172, v88, v147
	v_add_f32_e32 v69, v69, v71
	v_add_f32_e32 v70, v70, v171
	v_mul_f32_e32 v71, v92, v126
	s_waitcnt vmcnt(14)
	v_fma_f32 v72, v89, v148, -v72
	v_fmac_f32_e32 v173, v90, v148
	v_add_f32_e32 v69, v69, v73
	v_add_f32_e32 v70, v70, v172
	v_mul_f32_e32 v73, v94, v127
	s_waitcnt vmcnt(13)
	v_fma_f32 v71, v91, v149, -v71
	v_fmac_f32_e32 v174, v92, v149
	v_add_f32_e32 v69, v69, v72
	v_add_f32_e32 v70, v70, v173
	v_mul_f32_e32 v72, v96, v128
	s_waitcnt vmcnt(12)
	v_fma_f32 v73, v93, v150, -v73
	v_fmac_f32_e32 v175, v94, v150
	v_add_f32_e32 v69, v69, v71
	v_add_f32_e32 v70, v70, v174
	v_mul_f32_e32 v71, v98, v129
	s_waitcnt vmcnt(11)
	v_fma_f32 v72, v95, v151, -v72
	v_fmac_f32_e32 v176, v96, v151
	v_add_f32_e32 v69, v69, v73
	v_add_f32_e32 v70, v70, v175
	v_mul_f32_e32 v73, v100, v130
	s_waitcnt vmcnt(10)
	v_fma_f32 v71, v97, v152, -v71
	v_fmac_f32_e32 v177, v98, v152
	v_add_f32_e32 v69, v69, v72
	v_add_f32_e32 v70, v70, v176
	v_mul_f32_e32 v72, v102, v131
	s_waitcnt vmcnt(9)
	v_fma_f32 v73, v99, v153, -v73
	v_fmac_f32_e32 v178, v100, v153
	v_add_f32_e32 v69, v69, v71
	v_add_f32_e32 v70, v70, v177
	v_mul_f32_e32 v71, v104, v132
	s_waitcnt vmcnt(8)
	v_fma_f32 v72, v101, v154, -v72
	v_fmac_f32_e32 v179, v102, v154
	v_add_f32_e32 v69, v69, v73
	v_add_f32_e32 v70, v70, v178
	v_mul_f32_e32 v73, v106, v133
	s_waitcnt vmcnt(7)
	v_fma_f32 v71, v103, v155, -v71
	v_fmac_f32_e32 v180, v104, v155
	v_add_f32_e32 v69, v69, v72
	v_add_f32_e32 v70, v70, v179
	v_mul_f32_e32 v72, v108, v134
	s_waitcnt vmcnt(6)
	v_fma_f32 v73, v105, v156, -v73
	v_fmac_f32_e32 v181, v106, v156
	v_add_f32_e32 v69, v69, v71
	v_add_f32_e32 v70, v70, v180
	v_mul_f32_e32 v71, v110, v135
	s_waitcnt vmcnt(5)
	v_fma_f32 v72, v107, v157, -v72
	v_fmac_f32_e32 v182, v108, v157
	v_add_f32_e32 v69, v69, v73
	v_add_f32_e32 v70, v70, v181
	v_mul_f32_e32 v73, v112, v136
	s_waitcnt vmcnt(4)
	v_fma_f32 v71, v109, v158, -v71
	v_mul_f32_e32 v184, v111, v136
	v_add_f32_e32 v69, v69, v72
	v_fmac_f32_e32 v183, v110, v158
	v_add_f32_e32 v70, v70, v182
	s_waitcnt lgkmcnt(0)
	v_mul_f32_e32 v72, v114, v137
	s_waitcnt vmcnt(3)
	v_fma_f32 v73, v111, v159, -v73
	v_add_f32_e32 v69, v69, v71
	v_mul_f32_e32 v185, v113, v137
	v_fmac_f32_e32 v184, v112, v159
	v_add_f32_e32 v70, v70, v183
	s_waitcnt vmcnt(2)
	v_fma_f32 v71, v113, v160, -v72
	v_add_f32_e32 v69, v69, v73
	v_fmac_f32_e32 v185, v114, v160
	v_add_f32_e32 v70, v70, v184
	v_add_f32_e32 v69, v69, v71
	;; [unrolled: 1-line block ×3, first 2 shown]
	s_waitcnt vmcnt(1)
	v_sub_f32_e32 v69, v161, v69
	s_waitcnt vmcnt(0)
	v_sub_f32_e32 v70, v162, v70
	buffer_store_dword v69, off, s[0:3], 0 offset:72
	buffer_store_dword v70, off, s[0:3], 0 offset:76
	v_cmpx_lt_u32_e32 8, v0
	s_cbranch_execz .LBB96_195
; %bb.194:
	s_clause 0x1
	buffer_load_dword v69, off, s[0:3], 0 offset:64
	buffer_load_dword v70, off, s[0:3], 0 offset:68
	buffer_store_dword v68, off, s[0:3], 0 offset:64
	buffer_store_dword v68, off, s[0:3], 0 offset:68
	s_waitcnt vmcnt(0)
	ds_write_b64 v67, v[69:70]
.LBB96_195:
	s_or_b32 exec_lo, exec_lo, s4
	s_waitcnt lgkmcnt(0)
	s_waitcnt_vscnt null, 0x0
	s_barrier
	buffer_gl0_inv
	s_clause 0x31
	buffer_load_dword v117, off, s[0:3], 0 offset:76
	buffer_load_dword v118, off, s[0:3], 0 offset:84
	;; [unrolled: 1-line block ×50, first 2 shown]
	ds_read2_b64 v[69:72], v68 offset0:43 offset1:44
	ds_read2_b64 v[73:76], v68 offset0:45 offset1:46
	;; [unrolled: 1-line block ×12, first 2 shown]
	s_mov_b32 s4, exec_lo
	s_waitcnt vmcnt(49) lgkmcnt(11)
	v_mul_f32_e32 v68, v69, v117
	v_mul_f32_e32 v117, v70, v117
	s_waitcnt vmcnt(48)
	v_mul_f32_e32 v167, v71, v118
	v_mul_f32_e32 v118, v72, v118
	s_waitcnt vmcnt(47) lgkmcnt(10)
	v_mul_f32_e32 v168, v73, v119
	s_waitcnt vmcnt(46)
	v_mul_f32_e32 v169, v75, v120
	s_waitcnt vmcnt(45) lgkmcnt(9)
	v_mul_f32_e32 v170, v77, v121
	s_waitcnt vmcnt(44)
	;; [unrolled: 4-line block ×10, first 2 shown]
	v_mul_f32_e32 v187, v111, v138
	s_waitcnt vmcnt(25)
	v_fma_f32 v69, v69, v141, -v117
	v_fmac_f32_e32 v68, v70, v141
	v_mul_f32_e32 v70, v74, v119
	s_waitcnt vmcnt(24)
	v_fma_f32 v71, v71, v142, -v118
	v_fmac_f32_e32 v167, v72, v142
	v_add_f32_e32 v69, 0, v69
	v_add_f32_e32 v68, 0, v68
	v_mul_f32_e32 v72, v76, v120
	s_waitcnt vmcnt(23)
	v_fma_f32 v70, v73, v143, -v70
	v_fmac_f32_e32 v168, v74, v143
	v_add_f32_e32 v69, v69, v71
	v_add_f32_e32 v68, v68, v167
	;; [unrolled: 6-line block ×20, first 2 shown]
	s_waitcnt lgkmcnt(0)
	v_mul_f32_e32 v71, v114, v139
	s_waitcnt vmcnt(4)
	v_fma_f32 v72, v111, v162, -v72
	v_mul_f32_e32 v188, v113, v139
	v_add_f32_e32 v69, v69, v70
	v_fmac_f32_e32 v187, v112, v162
	v_add_f32_e32 v68, v68, v186
	v_mul_f32_e32 v70, v116, v140
	s_waitcnt vmcnt(3)
	v_fma_f32 v71, v113, v163, -v71
	v_add_f32_e32 v69, v69, v72
	v_mul_f32_e32 v189, v115, v140
	v_fmac_f32_e32 v188, v114, v163
	v_add_f32_e32 v68, v68, v187
	s_waitcnt vmcnt(2)
	v_fma_f32 v70, v115, v164, -v70
	v_add_f32_e32 v69, v69, v71
	v_fmac_f32_e32 v189, v116, v164
	v_add_f32_e32 v68, v68, v188
	v_add_f32_e32 v69, v69, v70
	;; [unrolled: 1-line block ×3, first 2 shown]
	s_waitcnt vmcnt(1)
	v_sub_f32_e32 v69, v165, v69
	s_waitcnt vmcnt(0)
	v_sub_f32_e32 v68, v166, v68
	buffer_store_dword v69, off, s[0:3], 0 offset:64
	buffer_store_dword v68, off, s[0:3], 0 offset:68
	v_cmpx_lt_u32_e32 7, v0
	s_cbranch_execz .LBB96_197
; %bb.196:
	s_clause 0x1
	buffer_load_dword v68, off, s[0:3], 0 offset:56
	buffer_load_dword v69, off, s[0:3], 0 offset:60
	v_mov_b32_e32 v70, 0
	buffer_store_dword v70, off, s[0:3], 0 offset:56
	buffer_store_dword v70, off, s[0:3], 0 offset:60
	s_waitcnt vmcnt(0)
	ds_write_b64 v67, v[68:69]
.LBB96_197:
	s_or_b32 exec_lo, exec_lo, s4
	s_waitcnt lgkmcnt(0)
	s_waitcnt_vscnt null, 0x0
	s_barrier
	buffer_gl0_inv
	s_clause 0x33
	buffer_load_dword v119, off, s[0:3], 0 offset:68
	buffer_load_dword v120, off, s[0:3], 0 offset:76
	;; [unrolled: 1-line block ×52, first 2 shown]
	v_mov_b32_e32 v68, 0
	ds_read_b128 v[69:72], v68 offset:336
	ds_read_b128 v[73:76], v68 offset:352
	;; [unrolled: 1-line block ×12, first 2 shown]
	ds_read_b64 v[117:118], v68 offset:528
	s_mov_b32 s4, exec_lo
	s_waitcnt vmcnt(51) lgkmcnt(12)
	v_mul_f32_e32 v171, v69, v119
	v_mul_f32_e32 v119, v70, v119
	s_waitcnt vmcnt(50)
	v_mul_f32_e32 v172, v71, v120
	v_mul_f32_e32 v120, v72, v120
	s_waitcnt vmcnt(49) lgkmcnt(11)
	v_mul_f32_e32 v173, v73, v121
	s_waitcnt vmcnt(48)
	v_mul_f32_e32 v174, v75, v122
	s_waitcnt vmcnt(47) lgkmcnt(10)
	v_mul_f32_e32 v175, v77, v123
	s_waitcnt vmcnt(46)
	;; [unrolled: 4-line block ×11, first 2 shown]
	v_fma_f32 v69, v69, v144, -v119
	v_fmac_f32_e32 v171, v70, v144
	v_mul_f32_e32 v70, v74, v121
	s_waitcnt vmcnt(25)
	v_fma_f32 v71, v71, v145, -v120
	v_fmac_f32_e32 v172, v72, v145
	v_add_f32_e32 v69, 0, v69
	v_add_f32_e32 v72, 0, v171
	v_mul_f32_e32 v119, v76, v122
	s_waitcnt vmcnt(24)
	v_fma_f32 v70, v73, v146, -v70
	v_fmac_f32_e32 v173, v74, v146
	v_add_f32_e32 v69, v69, v71
	v_add_f32_e32 v71, v72, v172
	;; [unrolled: 6-line block ×21, first 2 shown]
	v_mul_f32_e32 v71, v116, v142
	s_waitcnt vmcnt(4)
	v_fma_f32 v72, v113, v166, -v72
	v_mul_f32_e32 v194, v115, v142
	v_add_f32_e32 v69, v69, v73
	v_fmac_f32_e32 v193, v114, v166
	v_add_f32_e32 v70, v70, v192
	s_waitcnt lgkmcnt(0)
	v_mul_f32_e32 v73, v118, v143
	s_waitcnt vmcnt(3)
	v_fma_f32 v71, v115, v167, -v71
	v_add_f32_e32 v69, v69, v72
	v_mul_f32_e32 v195, v117, v143
	v_fmac_f32_e32 v194, v116, v167
	v_add_f32_e32 v70, v70, v193
	s_waitcnt vmcnt(2)
	v_fma_f32 v72, v117, v168, -v73
	v_add_f32_e32 v69, v69, v71
	v_fmac_f32_e32 v195, v118, v168
	v_add_f32_e32 v70, v70, v194
	v_add_f32_e32 v69, v69, v72
	;; [unrolled: 1-line block ×3, first 2 shown]
	s_waitcnt vmcnt(1)
	v_sub_f32_e32 v69, v169, v69
	s_waitcnt vmcnt(0)
	v_sub_f32_e32 v70, v170, v70
	buffer_store_dword v69, off, s[0:3], 0 offset:56
	buffer_store_dword v70, off, s[0:3], 0 offset:60
	v_cmpx_lt_u32_e32 6, v0
	s_cbranch_execz .LBB96_199
; %bb.198:
	s_clause 0x1
	buffer_load_dword v69, off, s[0:3], 0 offset:48
	buffer_load_dword v70, off, s[0:3], 0 offset:52
	buffer_store_dword v68, off, s[0:3], 0 offset:48
	buffer_store_dword v68, off, s[0:3], 0 offset:52
	s_waitcnt vmcnt(0)
	ds_write_b64 v67, v[69:70]
.LBB96_199:
	s_or_b32 exec_lo, exec_lo, s4
	s_waitcnt lgkmcnt(0)
	s_waitcnt_vscnt null, 0x0
	s_barrier
	buffer_gl0_inv
	s_clause 0x35
	buffer_load_dword v121, off, s[0:3], 0 offset:60
	buffer_load_dword v122, off, s[0:3], 0 offset:68
	;; [unrolled: 1-line block ×54, first 2 shown]
	ds_read2_b64 v[69:72], v68 offset0:41 offset1:42
	ds_read2_b64 v[73:76], v68 offset0:43 offset1:44
	;; [unrolled: 1-line block ×13, first 2 shown]
	s_mov_b32 s4, exec_lo
	s_waitcnt vmcnt(53) lgkmcnt(12)
	v_mul_f32_e32 v68, v69, v121
	v_mul_f32_e32 v121, v70, v121
	s_waitcnt vmcnt(52)
	v_mul_f32_e32 v175, v71, v122
	v_mul_f32_e32 v122, v72, v122
	s_waitcnt vmcnt(51) lgkmcnt(11)
	v_mul_f32_e32 v176, v73, v123
	s_waitcnt vmcnt(50)
	v_mul_f32_e32 v177, v75, v124
	s_waitcnt vmcnt(49) lgkmcnt(10)
	v_mul_f32_e32 v178, v77, v125
	s_waitcnt vmcnt(48)
	v_mul_f32_e32 v179, v79, v126
	s_waitcnt vmcnt(47) lgkmcnt(9)
	v_mul_f32_e32 v180, v81, v127
	s_waitcnt vmcnt(46)
	v_mul_f32_e32 v181, v83, v128
	s_waitcnt vmcnt(45) lgkmcnt(8)
	v_mul_f32_e32 v182, v85, v129
	s_waitcnt vmcnt(44)
	v_mul_f32_e32 v183, v87, v130
	s_waitcnt vmcnt(43) lgkmcnt(7)
	v_mul_f32_e32 v184, v89, v131
	s_waitcnt vmcnt(42)
	v_mul_f32_e32 v185, v91, v132
	s_waitcnt vmcnt(41) lgkmcnt(6)
	v_mul_f32_e32 v186, v93, v133
	s_waitcnt vmcnt(40)
	v_mul_f32_e32 v187, v95, v134
	s_waitcnt vmcnt(39) lgkmcnt(5)
	v_mul_f32_e32 v188, v97, v135
	s_waitcnt vmcnt(38)
	v_mul_f32_e32 v189, v99, v136
	s_waitcnt vmcnt(37) lgkmcnt(4)
	v_mul_f32_e32 v190, v101, v137
	s_waitcnt vmcnt(36)
	v_mul_f32_e32 v191, v103, v138
	s_waitcnt vmcnt(35) lgkmcnt(3)
	v_mul_f32_e32 v192, v105, v139
	s_waitcnt vmcnt(34)
	v_mul_f32_e32 v193, v107, v140
	s_waitcnt vmcnt(33) lgkmcnt(2)
	v_mul_f32_e32 v194, v109, v141
	s_waitcnt vmcnt(32)
	v_mul_f32_e32 v195, v111, v142
	s_waitcnt vmcnt(31) lgkmcnt(1)
	v_mul_f32_e32 v196, v113, v143
	s_waitcnt vmcnt(30)
	v_mul_f32_e32 v197, v115, v144
	s_waitcnt vmcnt(27)
	v_fma_f32 v69, v69, v147, -v121
	v_fmac_f32_e32 v68, v70, v147
	v_mul_f32_e32 v70, v74, v123
	s_waitcnt vmcnt(26)
	v_fma_f32 v71, v71, v148, -v122
	v_fmac_f32_e32 v175, v72, v148
	v_add_f32_e32 v69, 0, v69
	v_add_f32_e32 v68, 0, v68
	v_mul_f32_e32 v72, v76, v124
	s_waitcnt vmcnt(25)
	v_fma_f32 v70, v73, v149, -v70
	v_fmac_f32_e32 v176, v74, v149
	v_add_f32_e32 v69, v69, v71
	v_add_f32_e32 v68, v68, v175
	;; [unrolled: 6-line block ×22, first 2 shown]
	s_waitcnt lgkmcnt(0)
	v_mul_f32_e32 v72, v118, v145
	s_waitcnt vmcnt(4)
	v_fma_f32 v70, v115, v170, -v70
	v_mul_f32_e32 v198, v117, v145
	v_add_f32_e32 v69, v69, v71
	v_fmac_f32_e32 v197, v116, v170
	v_add_f32_e32 v68, v68, v196
	v_mul_f32_e32 v71, v120, v146
	s_waitcnt vmcnt(3)
	v_fma_f32 v72, v117, v171, -v72
	v_add_f32_e32 v69, v69, v70
	v_mul_f32_e32 v199, v119, v146
	v_fmac_f32_e32 v198, v118, v171
	v_add_f32_e32 v68, v68, v197
	s_waitcnt vmcnt(2)
	v_fma_f32 v70, v119, v172, -v71
	v_add_f32_e32 v69, v69, v72
	v_fmac_f32_e32 v199, v120, v172
	v_add_f32_e32 v68, v68, v198
	v_add_f32_e32 v69, v69, v70
	v_add_f32_e32 v68, v68, v199
	s_waitcnt vmcnt(1)
	v_sub_f32_e32 v69, v173, v69
	s_waitcnt vmcnt(0)
	v_sub_f32_e32 v68, v174, v68
	buffer_store_dword v69, off, s[0:3], 0 offset:48
	buffer_store_dword v68, off, s[0:3], 0 offset:52
	v_cmpx_lt_u32_e32 5, v0
	s_cbranch_execz .LBB96_201
; %bb.200:
	s_clause 0x1
	buffer_load_dword v68, off, s[0:3], 0 offset:40
	buffer_load_dword v69, off, s[0:3], 0 offset:44
	v_mov_b32_e32 v70, 0
	buffer_store_dword v70, off, s[0:3], 0 offset:40
	buffer_store_dword v70, off, s[0:3], 0 offset:44
	s_waitcnt vmcnt(0)
	ds_write_b64 v67, v[68:69]
.LBB96_201:
	s_or_b32 exec_lo, exec_lo, s4
	s_waitcnt lgkmcnt(0)
	s_waitcnt_vscnt null, 0x0
	s_barrier
	buffer_gl0_inv
	s_clause 0x37
	buffer_load_dword v123, off, s[0:3], 0 offset:52
	buffer_load_dword v124, off, s[0:3], 0 offset:60
	;; [unrolled: 1-line block ×56, first 2 shown]
	v_mov_b32_e32 v68, 0
	ds_read_b128 v[69:72], v68 offset:320
	ds_read_b128 v[73:76], v68 offset:336
	;; [unrolled: 1-line block ×13, first 2 shown]
	ds_read_b64 v[121:122], v68 offset:528
	s_mov_b32 s4, exec_lo
	s_waitcnt vmcnt(55) lgkmcnt(13)
	v_mul_f32_e32 v179, v69, v123
	v_mul_f32_e32 v123, v70, v123
	s_waitcnt vmcnt(54)
	v_mul_f32_e32 v180, v71, v124
	v_mul_f32_e32 v124, v72, v124
	s_waitcnt vmcnt(53) lgkmcnt(12)
	v_mul_f32_e32 v181, v73, v125
	s_waitcnt vmcnt(52)
	v_mul_f32_e32 v182, v75, v126
	s_waitcnt vmcnt(51) lgkmcnt(11)
	v_mul_f32_e32 v183, v77, v127
	s_waitcnt vmcnt(50)
	;; [unrolled: 4-line block ×12, first 2 shown]
	v_fma_f32 v69, v69, v150, -v123
	v_fmac_f32_e32 v179, v70, v150
	v_mul_f32_e32 v70, v74, v125
	s_waitcnt vmcnt(27)
	v_fma_f32 v71, v71, v151, -v124
	v_fmac_f32_e32 v180, v72, v151
	v_add_f32_e32 v69, 0, v69
	v_add_f32_e32 v72, 0, v179
	v_mul_f32_e32 v123, v76, v126
	s_waitcnt vmcnt(26)
	v_fma_f32 v70, v73, v152, -v70
	v_fmac_f32_e32 v181, v74, v152
	v_add_f32_e32 v69, v69, v71
	v_add_f32_e32 v71, v72, v180
	;; [unrolled: 6-line block ×23, first 2 shown]
	v_mul_f32_e32 v72, v120, v148
	s_waitcnt vmcnt(4)
	v_fma_f32 v73, v117, v174, -v73
	v_mul_f32_e32 v204, v119, v148
	v_add_f32_e32 v69, v69, v71
	v_fmac_f32_e32 v203, v118, v174
	v_add_f32_e32 v70, v70, v202
	s_waitcnt lgkmcnt(0)
	v_mul_f32_e32 v71, v122, v149
	s_waitcnt vmcnt(3)
	v_fma_f32 v72, v119, v175, -v72
	v_add_f32_e32 v69, v69, v73
	v_mul_f32_e32 v205, v121, v149
	v_fmac_f32_e32 v204, v120, v175
	v_add_f32_e32 v70, v70, v203
	s_waitcnt vmcnt(2)
	v_fma_f32 v71, v121, v176, -v71
	v_add_f32_e32 v69, v69, v72
	v_fmac_f32_e32 v205, v122, v176
	v_add_f32_e32 v70, v70, v204
	v_add_f32_e32 v69, v69, v71
	;; [unrolled: 1-line block ×3, first 2 shown]
	s_waitcnt vmcnt(1)
	v_sub_f32_e32 v69, v177, v69
	s_waitcnt vmcnt(0)
	v_sub_f32_e32 v70, v178, v70
	buffer_store_dword v69, off, s[0:3], 0 offset:40
	buffer_store_dword v70, off, s[0:3], 0 offset:44
	v_cmpx_lt_u32_e32 4, v0
	s_cbranch_execz .LBB96_203
; %bb.202:
	s_clause 0x1
	buffer_load_dword v69, off, s[0:3], 0 offset:32
	buffer_load_dword v70, off, s[0:3], 0 offset:36
	buffer_store_dword v68, off, s[0:3], 0 offset:32
	buffer_store_dword v68, off, s[0:3], 0 offset:36
	s_waitcnt vmcnt(0)
	ds_write_b64 v67, v[69:70]
.LBB96_203:
	s_or_b32 exec_lo, exec_lo, s4
	s_waitcnt lgkmcnt(0)
	s_waitcnt_vscnt null, 0x0
	s_barrier
	buffer_gl0_inv
	s_clause 0x39
	buffer_load_dword v125, off, s[0:3], 0 offset:44
	buffer_load_dword v126, off, s[0:3], 0 offset:52
	;; [unrolled: 1-line block ×58, first 2 shown]
	ds_read2_b64 v[69:72], v68 offset0:39 offset1:40
	ds_read2_b64 v[73:76], v68 offset0:41 offset1:42
	;; [unrolled: 1-line block ×14, first 2 shown]
	s_mov_b32 s4, exec_lo
	s_waitcnt vmcnt(57) lgkmcnt(13)
	v_mul_f32_e32 v68, v69, v125
	v_mul_f32_e32 v125, v70, v125
	s_waitcnt vmcnt(56)
	v_mul_f32_e32 v183, v71, v126
	v_mul_f32_e32 v126, v72, v126
	s_waitcnt vmcnt(55) lgkmcnt(12)
	v_mul_f32_e32 v184, v73, v127
	s_waitcnt vmcnt(54)
	v_mul_f32_e32 v185, v75, v128
	s_waitcnt vmcnt(53) lgkmcnt(11)
	v_mul_f32_e32 v186, v77, v129
	s_waitcnt vmcnt(52)
	;; [unrolled: 4-line block ×12, first 2 shown]
	v_mul_f32_e32 v207, v119, v150
	s_waitcnt vmcnt(29)
	v_fma_f32 v69, v69, v153, -v125
	v_fmac_f32_e32 v68, v70, v153
	v_mul_f32_e32 v70, v74, v127
	s_waitcnt vmcnt(28)
	v_fma_f32 v71, v71, v154, -v126
	v_fmac_f32_e32 v183, v72, v154
	v_add_f32_e32 v69, 0, v69
	v_add_f32_e32 v68, 0, v68
	v_mul_f32_e32 v72, v76, v128
	s_waitcnt vmcnt(27)
	v_fma_f32 v70, v73, v155, -v70
	v_fmac_f32_e32 v184, v74, v155
	v_add_f32_e32 v69, v69, v71
	v_add_f32_e32 v68, v68, v183
	;; [unrolled: 6-line block ×24, first 2 shown]
	s_waitcnt lgkmcnt(0)
	v_mul_f32_e32 v70, v122, v151
	s_waitcnt vmcnt(4)
	v_fma_f32 v71, v119, v178, -v71
	v_mul_f32_e32 v208, v121, v151
	v_add_f32_e32 v69, v69, v72
	v_fmac_f32_e32 v207, v120, v178
	v_add_f32_e32 v68, v68, v206
	v_mul_f32_e32 v72, v124, v152
	s_waitcnt vmcnt(3)
	v_fma_f32 v70, v121, v179, -v70
	v_add_f32_e32 v69, v69, v71
	v_mul_f32_e32 v209, v123, v152
	v_fmac_f32_e32 v208, v122, v179
	v_add_f32_e32 v68, v68, v207
	s_waitcnt vmcnt(2)
	v_fma_f32 v71, v123, v180, -v72
	v_add_f32_e32 v69, v69, v70
	v_fmac_f32_e32 v209, v124, v180
	v_add_f32_e32 v68, v68, v208
	v_add_f32_e32 v69, v69, v71
	;; [unrolled: 1-line block ×3, first 2 shown]
	s_waitcnt vmcnt(1)
	v_sub_f32_e32 v69, v181, v69
	s_waitcnt vmcnt(0)
	v_sub_f32_e32 v68, v182, v68
	buffer_store_dword v69, off, s[0:3], 0 offset:32
	buffer_store_dword v68, off, s[0:3], 0 offset:36
	v_cmpx_lt_u32_e32 3, v0
	s_cbranch_execz .LBB96_205
; %bb.204:
	s_clause 0x1
	buffer_load_dword v68, off, s[0:3], 0 offset:24
	buffer_load_dword v69, off, s[0:3], 0 offset:28
	v_mov_b32_e32 v70, 0
	buffer_store_dword v70, off, s[0:3], 0 offset:24
	buffer_store_dword v70, off, s[0:3], 0 offset:28
	s_waitcnt vmcnt(0)
	ds_write_b64 v67, v[68:69]
.LBB96_205:
	s_or_b32 exec_lo, exec_lo, s4
	s_waitcnt lgkmcnt(0)
	s_waitcnt_vscnt null, 0x0
	s_barrier
	buffer_gl0_inv
	s_clause 0x3b
	buffer_load_dword v127, off, s[0:3], 0 offset:36
	buffer_load_dword v128, off, s[0:3], 0 offset:44
	;; [unrolled: 1-line block ×60, first 2 shown]
	v_mov_b32_e32 v68, 0
	ds_read_b128 v[69:72], v68 offset:304
	ds_read_b128 v[73:76], v68 offset:320
	;; [unrolled: 1-line block ×14, first 2 shown]
	ds_read_b64 v[125:126], v68 offset:528
	s_mov_b32 s4, exec_lo
	s_waitcnt vmcnt(59) lgkmcnt(14)
	v_mul_f32_e32 v187, v69, v127
	v_mul_f32_e32 v127, v70, v127
	s_waitcnt vmcnt(58)
	v_mul_f32_e32 v188, v71, v128
	v_mul_f32_e32 v128, v72, v128
	s_waitcnt vmcnt(57) lgkmcnt(13)
	v_mul_f32_e32 v189, v73, v129
	s_waitcnt vmcnt(56)
	v_mul_f32_e32 v190, v75, v130
	s_waitcnt vmcnt(55) lgkmcnt(12)
	v_mul_f32_e32 v191, v77, v131
	s_waitcnt vmcnt(54)
	v_mul_f32_e32 v192, v79, v132
	s_waitcnt vmcnt(53) lgkmcnt(11)
	v_mul_f32_e32 v193, v81, v133
	s_waitcnt vmcnt(52)
	v_mul_f32_e32 v194, v83, v134
	s_waitcnt vmcnt(51) lgkmcnt(10)
	v_mul_f32_e32 v195, v85, v135
	s_waitcnt vmcnt(50)
	v_mul_f32_e32 v196, v87, v136
	s_waitcnt vmcnt(49) lgkmcnt(9)
	v_mul_f32_e32 v197, v89, v137
	s_waitcnt vmcnt(48)
	v_mul_f32_e32 v198, v91, v138
	s_waitcnt vmcnt(47) lgkmcnt(8)
	v_mul_f32_e32 v199, v93, v139
	s_waitcnt vmcnt(46)
	v_mul_f32_e32 v200, v95, v140
	s_waitcnt vmcnt(45) lgkmcnt(7)
	v_mul_f32_e32 v201, v97, v141
	s_waitcnt vmcnt(44)
	v_mul_f32_e32 v202, v99, v142
	s_waitcnt vmcnt(43) lgkmcnt(6)
	v_mul_f32_e32 v203, v101, v143
	s_waitcnt vmcnt(42)
	v_mul_f32_e32 v204, v103, v144
	s_waitcnt vmcnt(41) lgkmcnt(5)
	v_mul_f32_e32 v205, v105, v145
	s_waitcnt vmcnt(40)
	v_mul_f32_e32 v206, v107, v146
	s_waitcnt vmcnt(39) lgkmcnt(4)
	v_mul_f32_e32 v207, v109, v147
	s_waitcnt vmcnt(38)
	v_mul_f32_e32 v208, v111, v148
	s_waitcnt vmcnt(37) lgkmcnt(3)
	v_mul_f32_e32 v209, v113, v149
	s_waitcnt vmcnt(36)
	v_mul_f32_e32 v210, v115, v150
	s_waitcnt vmcnt(35) lgkmcnt(2)
	v_mul_f32_e32 v211, v117, v151
	s_waitcnt vmcnt(34)
	v_mul_f32_e32 v212, v119, v152
	s_waitcnt vmcnt(33) lgkmcnt(1)
	v_mul_f32_e32 v213, v121, v153
	s_waitcnt vmcnt(30)
	v_fma_f32 v69, v69, v156, -v127
	v_fmac_f32_e32 v187, v70, v156
	v_mul_f32_e32 v70, v74, v129
	s_waitcnt vmcnt(29)
	v_fma_f32 v71, v71, v157, -v128
	v_fmac_f32_e32 v188, v72, v157
	v_add_f32_e32 v69, 0, v69
	v_add_f32_e32 v72, 0, v187
	v_mul_f32_e32 v127, v76, v130
	s_waitcnt vmcnt(28)
	v_fma_f32 v70, v73, v158, -v70
	v_fmac_f32_e32 v189, v74, v158
	v_add_f32_e32 v69, v69, v71
	v_add_f32_e32 v71, v72, v188
	;; [unrolled: 6-line block ×25, first 2 shown]
	v_mul_f32_e32 v73, v124, v154
	s_waitcnt vmcnt(4)
	v_fma_f32 v71, v121, v182, -v71
	v_mul_f32_e32 v214, v123, v154
	v_add_f32_e32 v69, v69, v72
	v_fmac_f32_e32 v213, v122, v182
	v_add_f32_e32 v70, v70, v212
	s_waitcnt lgkmcnt(0)
	v_mul_f32_e32 v72, v126, v155
	s_waitcnt vmcnt(3)
	v_fma_f32 v73, v123, v183, -v73
	v_add_f32_e32 v69, v69, v71
	v_mul_f32_e32 v215, v125, v155
	v_fmac_f32_e32 v214, v124, v183
	v_add_f32_e32 v70, v70, v213
	s_waitcnt vmcnt(2)
	v_fma_f32 v71, v125, v184, -v72
	v_add_f32_e32 v69, v69, v73
	v_fmac_f32_e32 v215, v126, v184
	v_add_f32_e32 v70, v70, v214
	v_add_f32_e32 v69, v69, v71
	;; [unrolled: 1-line block ×3, first 2 shown]
	s_waitcnt vmcnt(1)
	v_sub_f32_e32 v69, v185, v69
	s_waitcnt vmcnt(0)
	v_sub_f32_e32 v70, v186, v70
	buffer_store_dword v69, off, s[0:3], 0 offset:24
	buffer_store_dword v70, off, s[0:3], 0 offset:28
	v_cmpx_lt_u32_e32 2, v0
	s_cbranch_execz .LBB96_207
; %bb.206:
	s_clause 0x1
	buffer_load_dword v69, off, s[0:3], 0 offset:16
	buffer_load_dword v70, off, s[0:3], 0 offset:20
	buffer_store_dword v68, off, s[0:3], 0 offset:16
	buffer_store_dword v68, off, s[0:3], 0 offset:20
	s_waitcnt vmcnt(0)
	ds_write_b64 v67, v[69:70]
.LBB96_207:
	s_or_b32 exec_lo, exec_lo, s4
	s_waitcnt lgkmcnt(0)
	s_waitcnt_vscnt null, 0x0
	s_barrier
	buffer_gl0_inv
	s_clause 0x3d
	buffer_load_dword v129, off, s[0:3], 0 offset:28
	buffer_load_dword v130, off, s[0:3], 0 offset:36
	;; [unrolled: 1-line block ×62, first 2 shown]
	ds_read2_b64 v[69:72], v68 offset0:37 offset1:38
	ds_read2_b64 v[73:76], v68 offset0:39 offset1:40
	;; [unrolled: 1-line block ×15, first 2 shown]
	s_mov_b32 s4, exec_lo
	s_waitcnt vmcnt(61) lgkmcnt(14)
	v_mul_f32_e32 v68, v69, v129
	v_mul_f32_e32 v129, v70, v129
	s_waitcnt vmcnt(60)
	v_mul_f32_e32 v191, v71, v130
	v_mul_f32_e32 v130, v72, v130
	s_waitcnt vmcnt(59) lgkmcnt(13)
	v_mul_f32_e32 v192, v73, v131
	s_waitcnt vmcnt(58)
	v_mul_f32_e32 v193, v75, v132
	s_waitcnt vmcnt(57) lgkmcnt(12)
	v_mul_f32_e32 v194, v77, v133
	s_waitcnt vmcnt(56)
	;; [unrolled: 4-line block ×13, first 2 shown]
	v_mul_f32_e32 v217, v123, v156
	s_waitcnt vmcnt(31)
	v_fma_f32 v69, v69, v159, -v129
	v_fmac_f32_e32 v68, v70, v159
	v_mul_f32_e32 v70, v74, v131
	s_waitcnt vmcnt(30)
	v_fma_f32 v71, v71, v160, -v130
	v_fmac_f32_e32 v191, v72, v160
	v_add_f32_e32 v69, 0, v69
	v_add_f32_e32 v68, 0, v68
	v_mul_f32_e32 v72, v76, v132
	s_waitcnt vmcnt(29)
	v_fma_f32 v70, v73, v161, -v70
	v_fmac_f32_e32 v192, v74, v161
	v_add_f32_e32 v69, v69, v71
	v_add_f32_e32 v68, v68, v191
	;; [unrolled: 6-line block ×26, first 2 shown]
	s_waitcnt lgkmcnt(0)
	v_mul_f32_e32 v71, v126, v157
	s_waitcnt vmcnt(4)
	v_fma_f32 v72, v123, v186, -v72
	v_mul_f32_e32 v218, v125, v157
	v_add_f32_e32 v69, v69, v70
	v_fmac_f32_e32 v217, v124, v186
	v_add_f32_e32 v68, v68, v216
	v_mul_f32_e32 v70, v128, v158
	s_waitcnt vmcnt(3)
	v_fma_f32 v71, v125, v187, -v71
	v_add_f32_e32 v69, v69, v72
	v_mul_f32_e32 v219, v127, v158
	v_fmac_f32_e32 v218, v126, v187
	v_add_f32_e32 v68, v68, v217
	s_waitcnt vmcnt(2)
	v_fma_f32 v70, v127, v188, -v70
	v_add_f32_e32 v69, v69, v71
	v_fmac_f32_e32 v219, v128, v188
	v_add_f32_e32 v68, v68, v218
	v_add_f32_e32 v69, v69, v70
	;; [unrolled: 1-line block ×3, first 2 shown]
	s_waitcnt vmcnt(1)
	v_sub_f32_e32 v69, v189, v69
	s_waitcnt vmcnt(0)
	v_sub_f32_e32 v68, v190, v68
	buffer_store_dword v69, off, s[0:3], 0 offset:16
	buffer_store_dword v68, off, s[0:3], 0 offset:20
	v_cmpx_lt_u32_e32 1, v0
	s_cbranch_execz .LBB96_209
; %bb.208:
	s_clause 0x1
	buffer_load_dword v68, off, s[0:3], 0 offset:8
	buffer_load_dword v69, off, s[0:3], 0 offset:12
	v_mov_b32_e32 v70, 0
	buffer_store_dword v70, off, s[0:3], 0 offset:8
	buffer_store_dword v70, off, s[0:3], 0 offset:12
	s_waitcnt vmcnt(0)
	ds_write_b64 v67, v[68:69]
.LBB96_209:
	s_or_b32 exec_lo, exec_lo, s4
	s_waitcnt lgkmcnt(0)
	s_waitcnt_vscnt null, 0x0
	s_barrier
	buffer_gl0_inv
	s_clause 0x3e
	buffer_load_dword v131, off, s[0:3], 0 offset:20
	buffer_load_dword v132, off, s[0:3], 0 offset:28
	;; [unrolled: 1-line block ×64, first 2 shown]
	v_mov_b32_e32 v68, 0
	ds_read_b128 v[69:72], v68 offset:288
	ds_read_b128 v[73:76], v68 offset:304
	;; [unrolled: 1-line block ×15, first 2 shown]
	ds_read_b64 v[129:130], v68 offset:528
	s_mov_b32 s4, exec_lo
	s_waitcnt vmcnt(62) lgkmcnt(15)
	v_mul_f32_e32 v195, v69, v131
	v_mul_f32_e32 v131, v70, v131
	;; [unrolled: 1-line block ×4, first 2 shown]
	s_waitcnt vmcnt(61) lgkmcnt(14)
	v_mul_f32_e32 v197, v73, v133
	s_waitcnt vmcnt(60)
	v_mul_f32_e32 v198, v75, v134
	s_waitcnt vmcnt(59) lgkmcnt(13)
	v_mul_f32_e32 v199, v77, v135
	s_waitcnt vmcnt(58)
	v_mul_f32_e32 v200, v79, v136
	;; [unrolled: 4-line block ×13, first 2 shown]
	s_waitcnt vmcnt(35) lgkmcnt(1)
	v_mul_f32_e32 v223, v125, v159
	s_waitcnt vmcnt(32)
	v_fma_f32 v69, v69, v162, -v131
	v_fmac_f32_e32 v195, v70, v162
	v_mul_f32_e32 v70, v74, v133
	s_waitcnt vmcnt(31)
	v_fma_f32 v71, v71, v163, -v132
	v_fmac_f32_e32 v196, v72, v163
	v_add_f32_e32 v69, 0, v69
	v_add_f32_e32 v72, 0, v195
	v_mul_f32_e32 v131, v76, v134
	s_waitcnt vmcnt(30)
	v_fma_f32 v70, v73, v164, -v70
	v_fmac_f32_e32 v197, v74, v164
	v_add_f32_e32 v69, v69, v71
	v_add_f32_e32 v71, v72, v196
	;; [unrolled: 6-line block ×27, first 2 shown]
	v_mul_f32_e32 v71, v128, v160
	s_waitcnt vmcnt(4)
	v_fma_f32 v72, v125, v190, -v72
	v_mul_f32_e32 v224, v127, v160
	v_add_f32_e32 v69, v69, v73
	v_fmac_f32_e32 v223, v126, v190
	v_add_f32_e32 v70, v70, v222
	s_waitcnt lgkmcnt(0)
	v_mul_f32_e32 v73, v130, v161
	s_waitcnt vmcnt(3)
	v_fma_f32 v71, v127, v191, -v71
	v_add_f32_e32 v69, v69, v72
	v_mul_f32_e32 v225, v129, v161
	v_fmac_f32_e32 v224, v128, v191
	v_add_f32_e32 v70, v70, v223
	s_waitcnt vmcnt(2)
	v_fma_f32 v72, v129, v192, -v73
	v_add_f32_e32 v69, v69, v71
	v_fmac_f32_e32 v225, v130, v192
	v_add_f32_e32 v70, v70, v224
	v_add_f32_e32 v69, v69, v72
	;; [unrolled: 1-line block ×3, first 2 shown]
	s_waitcnt vmcnt(1)
	v_sub_f32_e32 v69, v193, v69
	s_waitcnt vmcnt(0)
	v_sub_f32_e32 v70, v194, v70
	buffer_store_dword v69, off, s[0:3], 0 offset:8
	buffer_store_dword v70, off, s[0:3], 0 offset:12
	v_cmpx_ne_u32_e32 0, v0
	s_cbranch_execz .LBB96_211
; %bb.210:
	s_clause 0x1
	buffer_load_dword v69, off, s[0:3], 0
	buffer_load_dword v70, off, s[0:3], 0 offset:4
	buffer_store_dword v68, off, s[0:3], 0
	buffer_store_dword v68, off, s[0:3], 0 offset:4
	s_waitcnt vmcnt(0)
	ds_write_b64 v67, v[69:70]
.LBB96_211:
	s_or_b32 exec_lo, exec_lo, s4
	s_waitcnt lgkmcnt(0)
	s_waitcnt_vscnt null, 0x0
	s_barrier
	buffer_gl0_inv
	s_clause 0x3e
	buffer_load_dword v0, off, s[0:3], 0 offset:12
	buffer_load_dword v67, off, s[0:3], 0 offset:20
	;; [unrolled: 1-line block ×63, first 2 shown]
	s_clause 0x2
	buffer_load_dword v194, off, s[0:3], 0 offset:256
	buffer_load_dword v195, off, s[0:3], 0
	buffer_load_dword v196, off, s[0:3], 0 offset:4
	ds_read2_b64 v[69:72], v68 offset0:35 offset1:36
	ds_read2_b64 v[73:76], v68 offset0:37 offset1:38
	;; [unrolled: 1-line block ×16, first 2 shown]
	s_and_b32 vcc_lo, exec_lo, s16
	s_waitcnt vmcnt(62) lgkmcnt(15)
	v_mul_f32_e32 v68, v69, v0
	v_mul_f32_e32 v0, v70, v0
	;; [unrolled: 1-line block ×4, first 2 shown]
	s_waitcnt lgkmcnt(14)
	v_mul_f32_e32 v198, v73, v133
	v_mul_f32_e32 v199, v75, v134
	s_waitcnt vmcnt(61) lgkmcnt(13)
	v_mul_f32_e32 v200, v77, v135
	s_waitcnt vmcnt(60)
	v_mul_f32_e32 v201, v79, v136
	s_waitcnt vmcnt(59) lgkmcnt(12)
	v_mul_f32_e32 v202, v81, v137
	s_waitcnt vmcnt(58)
	;; [unrolled: 4-line block ×13, first 2 shown]
	v_mul_f32_e32 v225, v127, v160
	s_waitcnt vmcnt(33)
	v_fma_f32 v0, v69, v163, -v0
	v_fmac_f32_e32 v68, v70, v163
	v_mul_f32_e32 v69, v74, v133
	s_waitcnt vmcnt(32)
	v_fma_f32 v67, v71, v164, -v67
	v_fmac_f32_e32 v197, v72, v164
	v_add_f32_e32 v0, 0, v0
	v_add_f32_e32 v68, 0, v68
	v_mul_f32_e32 v70, v76, v134
	s_waitcnt vmcnt(31)
	v_fma_f32 v69, v73, v165, -v69
	v_fmac_f32_e32 v198, v74, v165
	v_add_f32_e32 v0, v0, v67
	v_add_f32_e32 v67, v68, v197
	;; [unrolled: 6-line block ×28, first 2 shown]
	s_waitcnt lgkmcnt(0)
	v_mul_f32_e32 v70, v130, v161
	s_waitcnt vmcnt(4)
	v_fma_f32 v69, v127, v192, -v69
	v_mul_f32_e32 v226, v129, v161
	v_add_f32_e32 v0, v0, v68
	v_fmac_f32_e32 v225, v128, v192
	v_add_f32_e32 v67, v67, v224
	v_mul_f32_e32 v68, v132, v162
	s_waitcnt vmcnt(3)
	v_fma_f32 v70, v129, v193, -v70
	v_add_f32_e32 v0, v0, v69
	v_mul_f32_e32 v227, v131, v162
	v_fmac_f32_e32 v226, v130, v193
	v_add_f32_e32 v67, v67, v225
	s_waitcnt vmcnt(2)
	v_fma_f32 v68, v131, v194, -v68
	v_add_f32_e32 v0, v0, v70
	v_fmac_f32_e32 v227, v132, v194
	v_add_f32_e32 v67, v67, v226
	v_add_f32_e32 v0, v0, v68
	;; [unrolled: 1-line block ×3, first 2 shown]
	s_waitcnt vmcnt(1)
	v_sub_f32_e32 v0, v195, v0
	s_waitcnt vmcnt(0)
	v_sub_f32_e32 v67, v196, v67
	buffer_store_dword v0, off, s[0:3], 0
	buffer_store_dword v67, off, s[0:3], 0 offset:4
	s_cbranch_vccz .LBB96_276
; %bb.212:
	v_mov_b32_e32 v0, 0
	global_load_dword v67, v0, s[12:13] offset:124
	s_waitcnt vmcnt(0)
	v_add_nc_u32_e32 v67, -1, v67
	v_cmp_ne_u32_e32 vcc_lo, 31, v67
	s_cbranch_vccz .LBB96_214
; %bb.213:
	v_lshlrev_b32_e32 v67, 3, v67
	s_clause 0x3
	buffer_load_dword v68, v67, s[0:3], 0 offen
	buffer_load_dword v69, v67, s[0:3], 0 offen offset:4
	buffer_load_dword v70, off, s[0:3], 0 offset:248
	buffer_load_dword v71, off, s[0:3], 0 offset:252
	s_waitcnt vmcnt(3)
	buffer_store_dword v68, off, s[0:3], 0 offset:248
	s_waitcnt vmcnt(2)
	buffer_store_dword v69, off, s[0:3], 0 offset:252
	s_waitcnt vmcnt(1)
	buffer_store_dword v70, v67, s[0:3], 0 offen
	s_waitcnt vmcnt(0)
	buffer_store_dword v71, v67, s[0:3], 0 offen offset:4
.LBB96_214:
	global_load_dword v0, v0, s[12:13] offset:120
	s_waitcnt vmcnt(0)
	v_add_nc_u32_e32 v0, -1, v0
	v_cmp_eq_u32_e32 vcc_lo, 30, v0
	s_cbranch_vccnz .LBB96_216
; %bb.215:
	v_lshlrev_b32_e32 v0, 3, v0
	s_clause 0x3
	buffer_load_dword v67, v0, s[0:3], 0 offen
	buffer_load_dword v68, v0, s[0:3], 0 offen offset:4
	buffer_load_dword v69, off, s[0:3], 0 offset:244
	buffer_load_dword v70, off, s[0:3], 0 offset:240
	s_waitcnt vmcnt(3)
	buffer_store_dword v67, off, s[0:3], 0 offset:240
	s_waitcnt vmcnt(2)
	buffer_store_dword v68, off, s[0:3], 0 offset:244
	s_waitcnt vmcnt(1)
	buffer_store_dword v69, v0, s[0:3], 0 offen offset:4
	s_waitcnt vmcnt(0)
	buffer_store_dword v70, v0, s[0:3], 0 offen
.LBB96_216:
	v_mov_b32_e32 v0, 0
	global_load_dword v67, v0, s[12:13] offset:116
	s_waitcnt vmcnt(0)
	v_add_nc_u32_e32 v67, -1, v67
	v_cmp_eq_u32_e32 vcc_lo, 29, v67
	s_cbranch_vccnz .LBB96_218
; %bb.217:
	v_lshlrev_b32_e32 v67, 3, v67
	s_clause 0x3
	buffer_load_dword v68, v67, s[0:3], 0 offen
	buffer_load_dword v69, v67, s[0:3], 0 offen offset:4
	buffer_load_dword v70, off, s[0:3], 0 offset:232
	buffer_load_dword v71, off, s[0:3], 0 offset:236
	s_waitcnt vmcnt(3)
	buffer_store_dword v68, off, s[0:3], 0 offset:232
	s_waitcnt vmcnt(2)
	buffer_store_dword v69, off, s[0:3], 0 offset:236
	s_waitcnt vmcnt(1)
	buffer_store_dword v70, v67, s[0:3], 0 offen
	s_waitcnt vmcnt(0)
	buffer_store_dword v71, v67, s[0:3], 0 offen offset:4
.LBB96_218:
	global_load_dword v0, v0, s[12:13] offset:112
	s_waitcnt vmcnt(0)
	v_add_nc_u32_e32 v0, -1, v0
	v_cmp_eq_u32_e32 vcc_lo, 28, v0
	s_cbranch_vccnz .LBB96_220
; %bb.219:
	v_lshlrev_b32_e32 v0, 3, v0
	s_clause 0x3
	buffer_load_dword v67, v0, s[0:3], 0 offen
	buffer_load_dword v68, v0, s[0:3], 0 offen offset:4
	buffer_load_dword v69, off, s[0:3], 0 offset:228
	buffer_load_dword v70, off, s[0:3], 0 offset:224
	s_waitcnt vmcnt(3)
	buffer_store_dword v67, off, s[0:3], 0 offset:224
	s_waitcnt vmcnt(2)
	buffer_store_dword v68, off, s[0:3], 0 offset:228
	s_waitcnt vmcnt(1)
	buffer_store_dword v69, v0, s[0:3], 0 offen offset:4
	s_waitcnt vmcnt(0)
	buffer_store_dword v70, v0, s[0:3], 0 offen
.LBB96_220:
	v_mov_b32_e32 v0, 0
	global_load_dword v67, v0, s[12:13] offset:108
	s_waitcnt vmcnt(0)
	v_add_nc_u32_e32 v67, -1, v67
	v_cmp_eq_u32_e32 vcc_lo, 27, v67
	s_cbranch_vccnz .LBB96_222
; %bb.221:
	v_lshlrev_b32_e32 v67, 3, v67
	s_clause 0x3
	buffer_load_dword v68, v67, s[0:3], 0 offen
	buffer_load_dword v69, v67, s[0:3], 0 offen offset:4
	buffer_load_dword v70, off, s[0:3], 0 offset:216
	buffer_load_dword v71, off, s[0:3], 0 offset:220
	s_waitcnt vmcnt(3)
	buffer_store_dword v68, off, s[0:3], 0 offset:216
	s_waitcnt vmcnt(2)
	buffer_store_dword v69, off, s[0:3], 0 offset:220
	s_waitcnt vmcnt(1)
	buffer_store_dword v70, v67, s[0:3], 0 offen
	s_waitcnt vmcnt(0)
	buffer_store_dword v71, v67, s[0:3], 0 offen offset:4
.LBB96_222:
	;; [unrolled: 43-line block ×15, first 2 shown]
	global_load_dword v0, v0, s[12:13]
	s_waitcnt vmcnt(0)
	v_add_nc_u32_e32 v0, -1, v0
	v_cmp_eq_u32_e32 vcc_lo, 0, v0
	s_cbranch_vccnz .LBB96_276
; %bb.275:
	v_lshlrev_b32_e32 v0, 3, v0
	s_clause 0x3
	buffer_load_dword v67, v0, s[0:3], 0 offen
	buffer_load_dword v68, v0, s[0:3], 0 offen offset:4
	buffer_load_dword v69, off, s[0:3], 0 offset:4
	buffer_load_dword v70, off, s[0:3], 0
	s_waitcnt vmcnt(3)
	buffer_store_dword v67, off, s[0:3], 0
	s_waitcnt vmcnt(2)
	buffer_store_dword v68, off, s[0:3], 0 offset:4
	s_waitcnt vmcnt(1)
	buffer_store_dword v69, v0, s[0:3], 0 offen offset:4
	s_waitcnt vmcnt(0)
	buffer_store_dword v70, v0, s[0:3], 0 offen
.LBB96_276:
	s_clause 0x1
	buffer_load_dword v67, off, s[0:3], 0
	buffer_load_dword v68, off, s[0:3], 0 offset:4
	s_waitcnt vmcnt(0)
	flat_store_dwordx2 v[1:2], v[67:68]
	s_clause 0x1
	buffer_load_dword v0, off, s[0:3], 0 offset:8
	buffer_load_dword v1, off, s[0:3], 0 offset:12
	s_waitcnt vmcnt(0)
	flat_store_dwordx2 v[3:4], v[0:1]
	s_clause 0x1
	buffer_load_dword v0, off, s[0:3], 0 offset:16
	;; [unrolled: 5-line block ×32, first 2 shown]
	buffer_load_dword v1, off, s[0:3], 0 offset:260
	s_waitcnt vmcnt(0)
	flat_store_dwordx2 v[65:66], v[0:1]
	s_endpgm
	.section	.rodata,"a",@progbits
	.p2align	6, 0x0
	.amdhsa_kernel _ZN9rocsolver6v33100L18getri_kernel_smallILi33E19rocblas_complex_numIfEPKPS3_EEvT1_iilPiilS8_bb
		.amdhsa_group_segment_fixed_size 536
		.amdhsa_private_segment_fixed_size 272
		.amdhsa_kernarg_size 60
		.amdhsa_user_sgpr_count 6
		.amdhsa_user_sgpr_private_segment_buffer 1
		.amdhsa_user_sgpr_dispatch_ptr 0
		.amdhsa_user_sgpr_queue_ptr 0
		.amdhsa_user_sgpr_kernarg_segment_ptr 1
		.amdhsa_user_sgpr_dispatch_id 0
		.amdhsa_user_sgpr_flat_scratch_init 0
		.amdhsa_user_sgpr_private_segment_size 0
		.amdhsa_wavefront_size32 1
		.amdhsa_uses_dynamic_stack 0
		.amdhsa_system_sgpr_private_segment_wavefront_offset 1
		.amdhsa_system_sgpr_workgroup_id_x 1
		.amdhsa_system_sgpr_workgroup_id_y 0
		.amdhsa_system_sgpr_workgroup_id_z 0
		.amdhsa_system_sgpr_workgroup_info 0
		.amdhsa_system_vgpr_workitem_id 0
		.amdhsa_next_free_vgpr 228
		.amdhsa_next_free_sgpr 20
		.amdhsa_reserve_vcc 1
		.amdhsa_reserve_flat_scratch 0
		.amdhsa_float_round_mode_32 0
		.amdhsa_float_round_mode_16_64 0
		.amdhsa_float_denorm_mode_32 3
		.amdhsa_float_denorm_mode_16_64 3
		.amdhsa_dx10_clamp 1
		.amdhsa_ieee_mode 1
		.amdhsa_fp16_overflow 0
		.amdhsa_workgroup_processor_mode 1
		.amdhsa_memory_ordered 1
		.amdhsa_forward_progress 1
		.amdhsa_shared_vgpr_count 0
		.amdhsa_exception_fp_ieee_invalid_op 0
		.amdhsa_exception_fp_denorm_src 0
		.amdhsa_exception_fp_ieee_div_zero 0
		.amdhsa_exception_fp_ieee_overflow 0
		.amdhsa_exception_fp_ieee_underflow 0
		.amdhsa_exception_fp_ieee_inexact 0
		.amdhsa_exception_int_div_zero 0
	.end_amdhsa_kernel
	.section	.text._ZN9rocsolver6v33100L18getri_kernel_smallILi33E19rocblas_complex_numIfEPKPS3_EEvT1_iilPiilS8_bb,"axG",@progbits,_ZN9rocsolver6v33100L18getri_kernel_smallILi33E19rocblas_complex_numIfEPKPS3_EEvT1_iilPiilS8_bb,comdat
.Lfunc_end96:
	.size	_ZN9rocsolver6v33100L18getri_kernel_smallILi33E19rocblas_complex_numIfEPKPS3_EEvT1_iilPiilS8_bb, .Lfunc_end96-_ZN9rocsolver6v33100L18getri_kernel_smallILi33E19rocblas_complex_numIfEPKPS3_EEvT1_iilPiilS8_bb
                                        ; -- End function
	.set _ZN9rocsolver6v33100L18getri_kernel_smallILi33E19rocblas_complex_numIfEPKPS3_EEvT1_iilPiilS8_bb.num_vgpr, 228
	.set _ZN9rocsolver6v33100L18getri_kernel_smallILi33E19rocblas_complex_numIfEPKPS3_EEvT1_iilPiilS8_bb.num_agpr, 0
	.set _ZN9rocsolver6v33100L18getri_kernel_smallILi33E19rocblas_complex_numIfEPKPS3_EEvT1_iilPiilS8_bb.numbered_sgpr, 20
	.set _ZN9rocsolver6v33100L18getri_kernel_smallILi33E19rocblas_complex_numIfEPKPS3_EEvT1_iilPiilS8_bb.num_named_barrier, 0
	.set _ZN9rocsolver6v33100L18getri_kernel_smallILi33E19rocblas_complex_numIfEPKPS3_EEvT1_iilPiilS8_bb.private_seg_size, 272
	.set _ZN9rocsolver6v33100L18getri_kernel_smallILi33E19rocblas_complex_numIfEPKPS3_EEvT1_iilPiilS8_bb.uses_vcc, 1
	.set _ZN9rocsolver6v33100L18getri_kernel_smallILi33E19rocblas_complex_numIfEPKPS3_EEvT1_iilPiilS8_bb.uses_flat_scratch, 0
	.set _ZN9rocsolver6v33100L18getri_kernel_smallILi33E19rocblas_complex_numIfEPKPS3_EEvT1_iilPiilS8_bb.has_dyn_sized_stack, 0
	.set _ZN9rocsolver6v33100L18getri_kernel_smallILi33E19rocblas_complex_numIfEPKPS3_EEvT1_iilPiilS8_bb.has_recursion, 0
	.set _ZN9rocsolver6v33100L18getri_kernel_smallILi33E19rocblas_complex_numIfEPKPS3_EEvT1_iilPiilS8_bb.has_indirect_call, 0
	.section	.AMDGPU.csdata,"",@progbits
; Kernel info:
; codeLenInByte = 49880
; TotalNumSgprs: 22
; NumVgprs: 228
; ScratchSize: 272
; MemoryBound: 0
; FloatMode: 240
; IeeeMode: 1
; LDSByteSize: 536 bytes/workgroup (compile time only)
; SGPRBlocks: 0
; VGPRBlocks: 28
; NumSGPRsForWavesPerEU: 22
; NumVGPRsForWavesPerEU: 228
; Occupancy: 4
; WaveLimiterHint : 1
; COMPUTE_PGM_RSRC2:SCRATCH_EN: 1
; COMPUTE_PGM_RSRC2:USER_SGPR: 6
; COMPUTE_PGM_RSRC2:TRAP_HANDLER: 0
; COMPUTE_PGM_RSRC2:TGID_X_EN: 1
; COMPUTE_PGM_RSRC2:TGID_Y_EN: 0
; COMPUTE_PGM_RSRC2:TGID_Z_EN: 0
; COMPUTE_PGM_RSRC2:TIDIG_COMP_CNT: 0
	.section	.text._ZN9rocsolver6v33100L18getri_kernel_smallILi34E19rocblas_complex_numIfEPKPS3_EEvT1_iilPiilS8_bb,"axG",@progbits,_ZN9rocsolver6v33100L18getri_kernel_smallILi34E19rocblas_complex_numIfEPKPS3_EEvT1_iilPiilS8_bb,comdat
	.globl	_ZN9rocsolver6v33100L18getri_kernel_smallILi34E19rocblas_complex_numIfEPKPS3_EEvT1_iilPiilS8_bb ; -- Begin function _ZN9rocsolver6v33100L18getri_kernel_smallILi34E19rocblas_complex_numIfEPKPS3_EEvT1_iilPiilS8_bb
	.p2align	8
	.type	_ZN9rocsolver6v33100L18getri_kernel_smallILi34E19rocblas_complex_numIfEPKPS3_EEvT1_iilPiilS8_bb,@function
_ZN9rocsolver6v33100L18getri_kernel_smallILi34E19rocblas_complex_numIfEPKPS3_EEvT1_iilPiilS8_bb: ; @_ZN9rocsolver6v33100L18getri_kernel_smallILi34E19rocblas_complex_numIfEPKPS3_EEvT1_iilPiilS8_bb
; %bb.0:
	s_add_u32 s0, s0, s7
	s_addc_u32 s1, s1, 0
	s_mov_b32 s7, exec_lo
	v_cmpx_gt_u32_e32 34, v0
	s_cbranch_execz .LBB97_150
; %bb.1:
	s_clause 0x2
	s_load_dword s17, s[4:5], 0x38
	s_load_dwordx2 s[12:13], s[4:5], 0x0
	s_load_dwordx4 s[8:11], s[4:5], 0x28
	s_waitcnt lgkmcnt(0)
	s_bitcmp1_b32 s17, 8
	s_cselect_b32 s16, -1, 0
	s_ashr_i32 s7, s6, 31
	s_lshl_b64 s[14:15], s[6:7], 3
	s_add_u32 s12, s12, s14
	s_addc_u32 s13, s13, s15
	s_load_dwordx2 s[14:15], s[12:13], 0x0
	s_bfe_u32 s12, s17, 0x10008
	s_cmp_eq_u32 s12, 0
                                        ; implicit-def: $sgpr12_sgpr13
	s_cbranch_scc1 .LBB97_3
; %bb.2:
	s_clause 0x1
	s_load_dword s12, s[4:5], 0x20
	s_load_dwordx2 s[18:19], s[4:5], 0x18
	s_mul_i32 s13, s8, s7
	s_mul_hi_u32 s17, s8, s6
	s_mul_i32 s9, s9, s6
	s_add_i32 s13, s17, s13
	s_mul_i32 s8, s8, s6
	s_add_i32 s9, s13, s9
	s_lshl_b64 s[8:9], s[8:9], 2
	s_waitcnt lgkmcnt(0)
	s_ashr_i32 s13, s12, 31
	s_add_u32 s17, s18, s8
	s_addc_u32 s18, s19, s9
	s_lshl_b64 s[8:9], s[12:13], 2
	s_add_u32 s12, s17, s8
	s_addc_u32 s13, s18, s9
.LBB97_3:
	s_clause 0x1
	s_load_dwordx2 s[8:9], s[4:5], 0x8
	s_load_dword s17, s[4:5], 0x38
	v_lshlrev_b32_e32 v71, 3, v0
	s_waitcnt lgkmcnt(0)
	s_ashr_i32 s5, s8, 31
	s_mov_b32 s4, s8
	v_add3_u32 v9, s9, s9, v0
	s_lshl_b64 s[4:5], s[4:5], 3
	s_add_u32 s4, s14, s4
	s_addc_u32 s5, s15, s5
	v_add_co_u32 v1, s8, s4, v71
	v_add_co_ci_u32_e64 v2, null, s5, 0, s8
	s_mov_b32 s14, s9
	s_ashr_i32 s15, s9, 31
	v_ashrrev_i32_e32 v10, 31, v9
	flat_load_dwordx2 v[5:6], v[1:2]
	s_lshl_b64 s[14:15], s[14:15], 3
	v_add_nc_u32_e32 v12, s9, v9
	v_add_co_u32 v3, vcc_lo, v1, s14
	v_add_co_ci_u32_e64 v4, null, s15, v2, vcc_lo
	v_ashrrev_i32_e32 v13, 31, v12
	s_bitcmp0_b32 s17, 0
	s_waitcnt vmcnt(0) lgkmcnt(0)
	buffer_store_dword v6, off, s[0:3], 0 offset:4
	buffer_store_dword v5, off, s[0:3], 0
	flat_load_dwordx2 v[7:8], v[3:4]
	v_lshlrev_b64 v[5:6], 3, v[9:10]
	s_waitcnt vmcnt(0) lgkmcnt(0)
	buffer_store_dword v8, off, s[0:3], 0 offset:12
	buffer_store_dword v7, off, s[0:3], 0 offset:8
	v_add_co_u32 v5, vcc_lo, s4, v5
	v_add_co_ci_u32_e64 v6, null, s5, v6, vcc_lo
	v_lshlrev_b64 v[7:8], 3, v[12:13]
	flat_load_dwordx2 v[10:11], v[5:6]
	s_waitcnt vmcnt(0) lgkmcnt(0)
	buffer_store_dword v11, off, s[0:3], 0 offset:20
	buffer_store_dword v10, off, s[0:3], 0 offset:16
	v_add_co_u32 v7, vcc_lo, s4, v7
	v_add_co_ci_u32_e64 v8, null, s5, v8, vcc_lo
	v_add_nc_u32_e32 v11, s9, v12
	flat_load_dwordx2 v[13:14], v[7:8]
	s_waitcnt vmcnt(0) lgkmcnt(0)
	buffer_store_dword v14, off, s[0:3], 0 offset:28
	buffer_store_dword v13, off, s[0:3], 0 offset:24
	v_ashrrev_i32_e32 v12, 31, v11
	v_add_nc_u32_e32 v15, s9, v11
	v_lshlrev_b64 v[9:10], 3, v[11:12]
	v_ashrrev_i32_e32 v16, 31, v15
	v_add_nc_u32_e32 v18, s9, v15
	v_add_co_u32 v9, vcc_lo, s4, v9
	v_add_co_ci_u32_e64 v10, null, s5, v10, vcc_lo
	v_lshlrev_b64 v[11:12], 3, v[15:16]
	v_ashrrev_i32_e32 v19, 31, v18
	flat_load_dwordx2 v[13:14], v[9:10]
	s_waitcnt vmcnt(0) lgkmcnt(0)
	buffer_store_dword v14, off, s[0:3], 0 offset:36
	buffer_store_dword v13, off, s[0:3], 0 offset:32
	v_add_co_u32 v11, vcc_lo, s4, v11
	v_add_co_ci_u32_e64 v12, null, s5, v12, vcc_lo
	v_lshlrev_b64 v[13:14], 3, v[18:19]
	flat_load_dwordx2 v[16:17], v[11:12]
	s_waitcnt vmcnt(0) lgkmcnt(0)
	buffer_store_dword v17, off, s[0:3], 0 offset:44
	buffer_store_dword v16, off, s[0:3], 0 offset:40
	v_add_co_u32 v13, vcc_lo, s4, v13
	v_add_co_ci_u32_e64 v14, null, s5, v14, vcc_lo
	v_add_nc_u32_e32 v17, s9, v18
	flat_load_dwordx2 v[19:20], v[13:14]
	s_waitcnt vmcnt(0) lgkmcnt(0)
	buffer_store_dword v20, off, s[0:3], 0 offset:52
	buffer_store_dword v19, off, s[0:3], 0 offset:48
	v_ashrrev_i32_e32 v18, 31, v17
	v_add_nc_u32_e32 v21, s9, v17
	v_lshlrev_b64 v[15:16], 3, v[17:18]
	v_ashrrev_i32_e32 v22, 31, v21
	v_add_nc_u32_e32 v24, s9, v21
	v_add_co_u32 v15, vcc_lo, s4, v15
	v_add_co_ci_u32_e64 v16, null, s5, v16, vcc_lo
	v_lshlrev_b64 v[17:18], 3, v[21:22]
	v_ashrrev_i32_e32 v25, 31, v24
	flat_load_dwordx2 v[19:20], v[15:16]
	;; [unrolled: 27-line block ×9, first 2 shown]
	s_waitcnt vmcnt(0) lgkmcnt(0)
	buffer_store_dword v62, off, s[0:3], 0 offset:228
	buffer_store_dword v61, off, s[0:3], 0 offset:224
	v_add_co_u32 v59, vcc_lo, s4, v59
	v_add_co_ci_u32_e64 v60, null, s5, v60, vcc_lo
	v_lshlrev_b64 v[61:62], 3, v[66:67]
	flat_load_dwordx2 v[64:65], v[59:60]
	s_waitcnt vmcnt(0) lgkmcnt(0)
	buffer_store_dword v65, off, s[0:3], 0 offset:236
	buffer_store_dword v64, off, s[0:3], 0 offset:232
	v_add_co_u32 v61, vcc_lo, s4, v61
	v_add_co_ci_u32_e64 v62, null, s5, v62, vcc_lo
	v_add_nc_u32_e32 v65, s9, v66
	flat_load_dwordx2 v[67:68], v[61:62]
	s_waitcnt vmcnt(0) lgkmcnt(0)
	buffer_store_dword v68, off, s[0:3], 0 offset:244
	buffer_store_dword v67, off, s[0:3], 0 offset:240
	v_ashrrev_i32_e32 v66, 31, v65
	v_add_nc_u32_e32 v69, s9, v65
	v_lshlrev_b64 v[63:64], 3, v[65:66]
	v_ashrrev_i32_e32 v70, 31, v69
	v_add_co_u32 v63, vcc_lo, s4, v63
	v_add_co_ci_u32_e64 v64, null, s5, v64, vcc_lo
	v_lshlrev_b64 v[65:66], 3, v[69:70]
	flat_load_dwordx2 v[67:68], v[63:64]
	s_waitcnt vmcnt(0) lgkmcnt(0)
	buffer_store_dword v68, off, s[0:3], 0 offset:252
	buffer_store_dword v67, off, s[0:3], 0 offset:248
	v_add_co_u32 v65, vcc_lo, s4, v65
	v_add_co_ci_u32_e64 v66, null, s5, v66, vcc_lo
	v_add_nc_u32_e32 v67, s9, v69
	flat_load_dwordx2 v[72:73], v[65:66]
	s_waitcnt vmcnt(0) lgkmcnt(0)
	buffer_store_dword v73, off, s[0:3], 0 offset:260
	buffer_store_dword v72, off, s[0:3], 0 offset:256
	v_ashrrev_i32_e32 v68, 31, v67
	v_lshlrev_b64 v[67:68], 3, v[67:68]
	v_add_co_u32 v67, vcc_lo, s4, v67
	v_add_co_ci_u32_e64 v68, null, s5, v68, vcc_lo
	s_mov_b32 s5, -1
	flat_load_dwordx2 v[69:70], v[67:68]
	s_waitcnt vmcnt(0) lgkmcnt(0)
	buffer_store_dword v70, off, s[0:3], 0 offset:268
	buffer_store_dword v69, off, s[0:3], 0 offset:264
	s_cbranch_scc1 .LBB97_148
; %bb.4:
	v_cmp_eq_u32_e64 s4, 0, v0
	s_and_saveexec_b32 s5, s4
; %bb.5:
	v_mov_b32_e32 v69, 0
	ds_write_b32 v69, v69 offset:544
; %bb.6:
	s_or_b32 exec_lo, exec_lo, s5
	v_lshl_add_u32 v73, v0, 3, 0
	s_waitcnt lgkmcnt(0)
	s_waitcnt_vscnt null, 0x0
	s_barrier
	buffer_gl0_inv
	s_clause 0x1
	buffer_load_dword v69, v73, s[0:3], 0 offen
	buffer_load_dword v70, v73, s[0:3], 0 offen offset:4
	s_waitcnt vmcnt(1)
	v_cmp_eq_f32_e32 vcc_lo, 0, v69
	s_waitcnt vmcnt(0)
	v_cmp_eq_f32_e64 s5, 0, v70
	s_and_b32 s5, vcc_lo, s5
	s_and_saveexec_b32 s8, s5
	s_cbranch_execz .LBB97_10
; %bb.7:
	v_mov_b32_e32 v69, 0
	s_mov_b32 s9, 0
	ds_read_b32 v70, v69 offset:544
	s_waitcnt lgkmcnt(0)
	v_readfirstlane_b32 s5, v70
	v_add_nc_u32_e32 v70, 1, v0
	s_cmp_eq_u32 s5, 0
	v_cmp_gt_i32_e32 vcc_lo, s5, v70
	s_cselect_b32 s14, -1, 0
	s_or_b32 s14, s14, vcc_lo
	s_and_b32 exec_lo, exec_lo, s14
	s_cbranch_execz .LBB97_10
; %bb.8:
	v_mov_b32_e32 v72, s5
.LBB97_9:                               ; =>This Inner Loop Header: Depth=1
	ds_cmpst_rtn_b32 v72, v69, v72, v70 offset:544
	s_waitcnt lgkmcnt(0)
	v_cmp_ne_u32_e32 vcc_lo, 0, v72
	v_cmp_le_i32_e64 s5, v72, v70
	s_and_b32 s5, vcc_lo, s5
	s_and_b32 s5, exec_lo, s5
	s_or_b32 s9, s5, s9
	s_andn2_b32 exec_lo, exec_lo, s9
	s_cbranch_execnz .LBB97_9
.LBB97_10:
	s_or_b32 exec_lo, exec_lo, s8
	v_mov_b32_e32 v69, 0
	s_barrier
	buffer_gl0_inv
	ds_read_b32 v70, v69 offset:544
	s_and_saveexec_b32 s5, s4
	s_cbranch_execz .LBB97_12
; %bb.11:
	s_lshl_b64 s[8:9], s[6:7], 2
	s_add_u32 s8, s10, s8
	s_addc_u32 s9, s11, s9
	s_waitcnt lgkmcnt(0)
	global_store_dword v69, v70, s[8:9]
.LBB97_12:
	s_or_b32 exec_lo, exec_lo, s5
	s_waitcnt lgkmcnt(0)
	v_cmp_ne_u32_e32 vcc_lo, 0, v70
	s_mov_b32 s5, 0
	s_cbranch_vccnz .LBB97_148
; %bb.13:
	s_clause 0x1
	buffer_load_dword v70, v73, s[0:3], 0 offen
	buffer_load_dword v72, v73, s[0:3], 0 offen offset:4
                                        ; implicit-def: $vgpr75
                                        ; implicit-def: $vgpr74
                                        ; implicit-def: $vgpr69
	s_waitcnt vmcnt(0)
	v_cmp_ngt_f32_e64 s5, |v70|, |v72|
	s_and_saveexec_b32 s8, s5
	s_xor_b32 s5, exec_lo, s8
	s_cbranch_execz .LBB97_15
; %bb.14:
	v_div_scale_f32 v69, null, v72, v72, v70
	v_div_scale_f32 v76, vcc_lo, v70, v72, v70
	v_rcp_f32_e32 v74, v69
	v_fma_f32 v75, -v69, v74, 1.0
	v_fmac_f32_e32 v74, v75, v74
	v_mul_f32_e32 v75, v76, v74
	v_fma_f32 v77, -v69, v75, v76
	v_fmac_f32_e32 v75, v77, v74
	v_fma_f32 v69, -v69, v75, v76
	v_div_fmas_f32 v69, v69, v74, v75
	v_div_fixup_f32 v69, v69, v72, v70
	v_fmac_f32_e32 v72, v70, v69
	v_div_scale_f32 v70, null, v72, v72, 1.0
	v_rcp_f32_e32 v74, v70
	v_fma_f32 v75, -v70, v74, 1.0
	v_fmac_f32_e32 v74, v75, v74
	v_div_scale_f32 v75, vcc_lo, 1.0, v72, 1.0
	v_mul_f32_e32 v76, v75, v74
	v_fma_f32 v77, -v70, v76, v75
	v_fmac_f32_e32 v76, v77, v74
	v_fma_f32 v70, -v70, v76, v75
	v_div_fmas_f32 v70, v70, v74, v76
	v_div_fixup_f32 v70, v70, v72, 1.0
                                        ; implicit-def: $vgpr72
	v_mul_f32_e32 v75, v69, v70
	v_xor_b32_e32 v74, 0x80000000, v70
                                        ; implicit-def: $vgpr70
	v_xor_b32_e32 v69, 0x80000000, v75
.LBB97_15:
	s_andn2_saveexec_b32 s5, s5
	s_cbranch_execz .LBB97_17
; %bb.16:
	v_div_scale_f32 v69, null, v70, v70, v72
	v_div_scale_f32 v76, vcc_lo, v72, v70, v72
	v_rcp_f32_e32 v74, v69
	v_fma_f32 v75, -v69, v74, 1.0
	v_fmac_f32_e32 v74, v75, v74
	v_mul_f32_e32 v75, v76, v74
	v_fma_f32 v77, -v69, v75, v76
	v_fmac_f32_e32 v75, v77, v74
	v_fma_f32 v69, -v69, v75, v76
	v_div_fmas_f32 v69, v69, v74, v75
	v_div_fixup_f32 v74, v69, v70, v72
	v_fmac_f32_e32 v70, v72, v74
	v_div_scale_f32 v69, null, v70, v70, 1.0
	v_div_scale_f32 v76, vcc_lo, 1.0, v70, 1.0
	v_rcp_f32_e32 v72, v69
	v_fma_f32 v75, -v69, v72, 1.0
	v_fmac_f32_e32 v72, v75, v72
	v_mul_f32_e32 v75, v76, v72
	v_fma_f32 v77, -v69, v75, v76
	v_fmac_f32_e32 v75, v77, v72
	v_fma_f32 v69, -v69, v75, v76
	v_div_fmas_f32 v69, v69, v72, v75
	v_div_fixup_f32 v75, v69, v70, 1.0
	v_xor_b32_e32 v69, 0x80000000, v75
	v_mul_f32_e64 v74, v74, -v75
.LBB97_17:
	s_or_b32 exec_lo, exec_lo, s5
	buffer_store_dword v75, v73, s[0:3], 0 offen
	buffer_store_dword v74, v73, s[0:3], 0 offen offset:4
	s_clause 0x1
	buffer_load_dword v76, off, s[0:3], 0 offset:12
	buffer_load_dword v75, off, s[0:3], 0 offset:8
	v_xor_b32_e32 v70, 0x80000000, v74
	v_add_nc_u32_e32 v72, 0x110, v71
	s_waitcnt vmcnt(0)
	ds_write2_b64 v71, v[69:70], v[75:76] offset1:34
	s_waitcnt lgkmcnt(0)
	s_waitcnt_vscnt null, 0x0
	s_barrier
	buffer_gl0_inv
	s_and_saveexec_b32 s5, s4
	s_cbranch_execz .LBB97_19
; %bb.18:
	s_clause 0x1
	buffer_load_dword v76, v73, s[0:3], 0 offen offset:4
	buffer_load_dword v77, v73, s[0:3], 0 offen
	ds_read_b64 v[69:70], v72
	v_mov_b32_e32 v74, 0
	ds_read_b64 v[74:75], v74 offset:8
	s_waitcnt vmcnt(1) lgkmcnt(1)
	v_mul_f32_e32 v78, v69, v76
	v_mul_f32_e32 v76, v70, v76
	s_waitcnt vmcnt(0)
	v_fmac_f32_e32 v78, v70, v77
	v_fma_f32 v69, v69, v77, -v76
	v_add_f32_e32 v70, 0, v78
	v_add_f32_e32 v69, 0, v69
	s_waitcnt lgkmcnt(0)
	v_mul_f32_e32 v76, v70, v75
	v_mul_f32_e32 v75, v69, v75
	v_fma_f32 v69, v69, v74, -v76
	v_fmac_f32_e32 v75, v70, v74
	buffer_store_dword v69, off, s[0:3], 0 offset:8
	buffer_store_dword v75, off, s[0:3], 0 offset:12
.LBB97_19:
	s_or_b32 exec_lo, exec_lo, s5
	s_waitcnt_vscnt null, 0x0
	s_barrier
	buffer_gl0_inv
	s_clause 0x1
	buffer_load_dword v69, off, s[0:3], 0 offset:16
	buffer_load_dword v70, off, s[0:3], 0 offset:20
	s_mov_b32 s5, exec_lo
	s_waitcnt vmcnt(0)
	ds_write_b64 v72, v[69:70]
	s_waitcnt lgkmcnt(0)
	s_barrier
	buffer_gl0_inv
	v_cmpx_gt_u32_e32 2, v0
	s_cbranch_execz .LBB97_23
; %bb.20:
	s_clause 0x1
	buffer_load_dword v74, v73, s[0:3], 0 offen offset:4
	buffer_load_dword v73, v73, s[0:3], 0 offen
	ds_read_b64 v[69:70], v72
	s_waitcnt vmcnt(1) lgkmcnt(0)
	v_mul_f32_e32 v75, v70, v74
	v_mul_f32_e32 v74, v69, v74
	s_waitcnt vmcnt(0)
	v_fma_f32 v69, v69, v73, -v75
	v_fmac_f32_e32 v74, v70, v73
	v_add_f32_e32 v70, 0, v69
	v_add_f32_e32 v69, 0, v74
	s_and_saveexec_b32 s8, s4
	s_cbranch_execz .LBB97_22
; %bb.21:
	s_clause 0x1
	buffer_load_dword v75, off, s[0:3], 0 offset:12
	buffer_load_dword v76, off, s[0:3], 0 offset:8
	v_mov_b32_e32 v73, 0
	ds_read_b64 v[73:74], v73 offset:280
	s_waitcnt vmcnt(1) lgkmcnt(0)
	v_mul_f32_e32 v77, v73, v75
	v_mul_f32_e32 v75, v74, v75
	s_waitcnt vmcnt(0)
	v_fmac_f32_e32 v77, v74, v76
	v_fma_f32 v73, v73, v76, -v75
	v_add_f32_e32 v69, v69, v77
	v_add_f32_e32 v70, v70, v73
.LBB97_22:
	s_or_b32 exec_lo, exec_lo, s8
	v_mov_b32_e32 v73, 0
	ds_read_b64 v[73:74], v73 offset:16
	s_waitcnt lgkmcnt(0)
	v_mul_f32_e32 v75, v69, v74
	v_mul_f32_e32 v74, v70, v74
	v_fma_f32 v70, v70, v73, -v75
	v_fmac_f32_e32 v74, v69, v73
	buffer_store_dword v70, off, s[0:3], 0 offset:16
	buffer_store_dword v74, off, s[0:3], 0 offset:20
.LBB97_23:
	s_or_b32 exec_lo, exec_lo, s5
	s_waitcnt_vscnt null, 0x0
	s_barrier
	buffer_gl0_inv
	s_clause 0x1
	buffer_load_dword v73, off, s[0:3], 0 offset:24
	buffer_load_dword v74, off, s[0:3], 0 offset:28
	v_add_nc_u32_e32 v69, -1, v0
	s_mov_b32 s4, exec_lo
	s_waitcnt vmcnt(0)
	ds_write_b64 v72, v[73:74]
	s_waitcnt lgkmcnt(0)
	s_barrier
	buffer_gl0_inv
	v_cmpx_gt_u32_e32 3, v0
	s_cbranch_execz .LBB97_27
; %bb.24:
	v_add_nc_u32_e32 v73, -1, v0
	v_add_nc_u32_e32 v74, 0x110, v71
	v_mov_b32_e32 v75, v71
	v_mov_b32_e32 v70, 0
	;; [unrolled: 1-line block ×3, first 2 shown]
	s_mov_b32 s5, 0
	.p2align	6
.LBB97_25:                              ; =>This Inner Loop Header: Depth=1
	s_clause 0x1
	buffer_load_dword v79, v75, s[0:3], 0 offen offset:4
	buffer_load_dword v80, v75, s[0:3], 0 offen
	ds_read_b64 v[77:78], v74
	v_add_nc_u32_e32 v73, 1, v73
	v_add_nc_u32_e32 v74, 8, v74
	;; [unrolled: 1-line block ×3, first 2 shown]
	v_cmp_lt_u32_e32 vcc_lo, 1, v73
	s_or_b32 s5, vcc_lo, s5
	s_waitcnt vmcnt(1) lgkmcnt(0)
	v_mul_f32_e32 v81, v78, v79
	v_mul_f32_e32 v79, v77, v79
	s_waitcnt vmcnt(0)
	v_fma_f32 v77, v77, v80, -v81
	v_fmac_f32_e32 v79, v78, v80
	v_add_f32_e32 v76, v76, v77
	v_add_f32_e32 v70, v70, v79
	s_andn2_b32 exec_lo, exec_lo, s5
	s_cbranch_execnz .LBB97_25
; %bb.26:
	s_or_b32 exec_lo, exec_lo, s5
	v_mov_b32_e32 v73, 0
	ds_read_b64 v[73:74], v73 offset:24
	s_waitcnt lgkmcnt(0)
	v_mul_f32_e32 v75, v70, v74
	v_mul_f32_e32 v74, v76, v74
	v_fma_f32 v75, v76, v73, -v75
	v_fmac_f32_e32 v74, v70, v73
	buffer_store_dword v75, off, s[0:3], 0 offset:24
	buffer_store_dword v74, off, s[0:3], 0 offset:28
.LBB97_27:
	s_or_b32 exec_lo, exec_lo, s4
	s_waitcnt_vscnt null, 0x0
	s_barrier
	buffer_gl0_inv
	s_clause 0x1
	buffer_load_dword v73, off, s[0:3], 0 offset:32
	buffer_load_dword v74, off, s[0:3], 0 offset:36
	s_mov_b32 s4, exec_lo
	s_waitcnt vmcnt(0)
	ds_write_b64 v72, v[73:74]
	s_waitcnt lgkmcnt(0)
	s_barrier
	buffer_gl0_inv
	v_cmpx_gt_u32_e32 4, v0
	s_cbranch_execz .LBB97_31
; %bb.28:
	v_add_nc_u32_e32 v73, -1, v0
	v_add_nc_u32_e32 v74, 0x110, v71
	v_mov_b32_e32 v75, v71
	v_mov_b32_e32 v70, 0
	;; [unrolled: 1-line block ×3, first 2 shown]
	s_mov_b32 s5, 0
	.p2align	6
.LBB97_29:                              ; =>This Inner Loop Header: Depth=1
	s_clause 0x1
	buffer_load_dword v79, v75, s[0:3], 0 offen offset:4
	buffer_load_dword v80, v75, s[0:3], 0 offen
	ds_read_b64 v[77:78], v74
	v_add_nc_u32_e32 v73, 1, v73
	v_add_nc_u32_e32 v74, 8, v74
	;; [unrolled: 1-line block ×3, first 2 shown]
	v_cmp_lt_u32_e32 vcc_lo, 2, v73
	s_or_b32 s5, vcc_lo, s5
	s_waitcnt vmcnt(1) lgkmcnt(0)
	v_mul_f32_e32 v81, v78, v79
	v_mul_f32_e32 v79, v77, v79
	s_waitcnt vmcnt(0)
	v_fma_f32 v77, v77, v80, -v81
	v_fmac_f32_e32 v79, v78, v80
	v_add_f32_e32 v76, v76, v77
	v_add_f32_e32 v70, v70, v79
	s_andn2_b32 exec_lo, exec_lo, s5
	s_cbranch_execnz .LBB97_29
; %bb.30:
	s_or_b32 exec_lo, exec_lo, s5
	v_mov_b32_e32 v73, 0
	ds_read_b64 v[73:74], v73 offset:32
	s_waitcnt lgkmcnt(0)
	v_mul_f32_e32 v75, v70, v74
	v_mul_f32_e32 v74, v76, v74
	v_fma_f32 v75, v76, v73, -v75
	v_fmac_f32_e32 v74, v70, v73
	buffer_store_dword v75, off, s[0:3], 0 offset:32
	buffer_store_dword v74, off, s[0:3], 0 offset:36
.LBB97_31:
	s_or_b32 exec_lo, exec_lo, s4
	s_waitcnt_vscnt null, 0x0
	s_barrier
	buffer_gl0_inv
	s_clause 0x1
	buffer_load_dword v73, off, s[0:3], 0 offset:40
	buffer_load_dword v74, off, s[0:3], 0 offset:44
	s_mov_b32 s4, exec_lo
	s_waitcnt vmcnt(0)
	ds_write_b64 v72, v[73:74]
	s_waitcnt lgkmcnt(0)
	s_barrier
	buffer_gl0_inv
	v_cmpx_gt_u32_e32 5, v0
	s_cbranch_execz .LBB97_35
; %bb.32:
	v_add_nc_u32_e32 v73, -1, v0
	v_add_nc_u32_e32 v74, 0x110, v71
	v_mov_b32_e32 v75, v71
	v_mov_b32_e32 v70, 0
	;; [unrolled: 1-line block ×3, first 2 shown]
	s_mov_b32 s5, 0
	.p2align	6
.LBB97_33:                              ; =>This Inner Loop Header: Depth=1
	s_clause 0x1
	buffer_load_dword v79, v75, s[0:3], 0 offen offset:4
	buffer_load_dword v80, v75, s[0:3], 0 offen
	ds_read_b64 v[77:78], v74
	v_add_nc_u32_e32 v73, 1, v73
	v_add_nc_u32_e32 v74, 8, v74
	;; [unrolled: 1-line block ×3, first 2 shown]
	v_cmp_lt_u32_e32 vcc_lo, 3, v73
	s_or_b32 s5, vcc_lo, s5
	s_waitcnt vmcnt(1) lgkmcnt(0)
	v_mul_f32_e32 v81, v78, v79
	v_mul_f32_e32 v79, v77, v79
	s_waitcnt vmcnt(0)
	v_fma_f32 v77, v77, v80, -v81
	v_fmac_f32_e32 v79, v78, v80
	v_add_f32_e32 v76, v76, v77
	v_add_f32_e32 v70, v70, v79
	s_andn2_b32 exec_lo, exec_lo, s5
	s_cbranch_execnz .LBB97_33
; %bb.34:
	s_or_b32 exec_lo, exec_lo, s5
	v_mov_b32_e32 v73, 0
	ds_read_b64 v[73:74], v73 offset:40
	s_waitcnt lgkmcnt(0)
	v_mul_f32_e32 v75, v70, v74
	v_mul_f32_e32 v74, v76, v74
	v_fma_f32 v75, v76, v73, -v75
	v_fmac_f32_e32 v74, v70, v73
	buffer_store_dword v75, off, s[0:3], 0 offset:40
	buffer_store_dword v74, off, s[0:3], 0 offset:44
.LBB97_35:
	s_or_b32 exec_lo, exec_lo, s4
	s_waitcnt_vscnt null, 0x0
	s_barrier
	buffer_gl0_inv
	s_clause 0x1
	buffer_load_dword v73, off, s[0:3], 0 offset:48
	buffer_load_dword v74, off, s[0:3], 0 offset:52
	s_mov_b32 s4, exec_lo
	s_waitcnt vmcnt(0)
	ds_write_b64 v72, v[73:74]
	s_waitcnt lgkmcnt(0)
	s_barrier
	buffer_gl0_inv
	v_cmpx_gt_u32_e32 6, v0
	s_cbranch_execz .LBB97_39
; %bb.36:
	v_add_nc_u32_e32 v73, -1, v0
	v_add_nc_u32_e32 v74, 0x110, v71
	v_mov_b32_e32 v75, v71
	v_mov_b32_e32 v70, 0
	;; [unrolled: 1-line block ×3, first 2 shown]
	s_mov_b32 s5, 0
	.p2align	6
.LBB97_37:                              ; =>This Inner Loop Header: Depth=1
	s_clause 0x1
	buffer_load_dword v79, v75, s[0:3], 0 offen offset:4
	buffer_load_dword v80, v75, s[0:3], 0 offen
	ds_read_b64 v[77:78], v74
	v_add_nc_u32_e32 v73, 1, v73
	v_add_nc_u32_e32 v74, 8, v74
	v_add_nc_u32_e32 v75, 8, v75
	v_cmp_lt_u32_e32 vcc_lo, 4, v73
	s_or_b32 s5, vcc_lo, s5
	s_waitcnt vmcnt(1) lgkmcnt(0)
	v_mul_f32_e32 v81, v78, v79
	v_mul_f32_e32 v79, v77, v79
	s_waitcnt vmcnt(0)
	v_fma_f32 v77, v77, v80, -v81
	v_fmac_f32_e32 v79, v78, v80
	v_add_f32_e32 v76, v76, v77
	v_add_f32_e32 v70, v70, v79
	s_andn2_b32 exec_lo, exec_lo, s5
	s_cbranch_execnz .LBB97_37
; %bb.38:
	s_or_b32 exec_lo, exec_lo, s5
	v_mov_b32_e32 v73, 0
	ds_read_b64 v[73:74], v73 offset:48
	s_waitcnt lgkmcnt(0)
	v_mul_f32_e32 v75, v70, v74
	v_mul_f32_e32 v74, v76, v74
	v_fma_f32 v75, v76, v73, -v75
	v_fmac_f32_e32 v74, v70, v73
	buffer_store_dword v75, off, s[0:3], 0 offset:48
	buffer_store_dword v74, off, s[0:3], 0 offset:52
.LBB97_39:
	s_or_b32 exec_lo, exec_lo, s4
	s_waitcnt_vscnt null, 0x0
	s_barrier
	buffer_gl0_inv
	s_clause 0x1
	buffer_load_dword v73, off, s[0:3], 0 offset:56
	buffer_load_dword v74, off, s[0:3], 0 offset:60
	s_mov_b32 s4, exec_lo
	s_waitcnt vmcnt(0)
	ds_write_b64 v72, v[73:74]
	s_waitcnt lgkmcnt(0)
	s_barrier
	buffer_gl0_inv
	v_cmpx_gt_u32_e32 7, v0
	s_cbranch_execz .LBB97_43
; %bb.40:
	v_add_nc_u32_e32 v73, -1, v0
	v_add_nc_u32_e32 v74, 0x110, v71
	v_mov_b32_e32 v75, v71
	v_mov_b32_e32 v70, 0
	;; [unrolled: 1-line block ×3, first 2 shown]
	s_mov_b32 s5, 0
	.p2align	6
.LBB97_41:                              ; =>This Inner Loop Header: Depth=1
	s_clause 0x1
	buffer_load_dword v79, v75, s[0:3], 0 offen offset:4
	buffer_load_dword v80, v75, s[0:3], 0 offen
	ds_read_b64 v[77:78], v74
	v_add_nc_u32_e32 v73, 1, v73
	v_add_nc_u32_e32 v74, 8, v74
	;; [unrolled: 1-line block ×3, first 2 shown]
	v_cmp_lt_u32_e32 vcc_lo, 5, v73
	s_or_b32 s5, vcc_lo, s5
	s_waitcnt vmcnt(1) lgkmcnt(0)
	v_mul_f32_e32 v81, v78, v79
	v_mul_f32_e32 v79, v77, v79
	s_waitcnt vmcnt(0)
	v_fma_f32 v77, v77, v80, -v81
	v_fmac_f32_e32 v79, v78, v80
	v_add_f32_e32 v76, v76, v77
	v_add_f32_e32 v70, v70, v79
	s_andn2_b32 exec_lo, exec_lo, s5
	s_cbranch_execnz .LBB97_41
; %bb.42:
	s_or_b32 exec_lo, exec_lo, s5
	v_mov_b32_e32 v73, 0
	ds_read_b64 v[73:74], v73 offset:56
	s_waitcnt lgkmcnt(0)
	v_mul_f32_e32 v75, v70, v74
	v_mul_f32_e32 v74, v76, v74
	v_fma_f32 v75, v76, v73, -v75
	v_fmac_f32_e32 v74, v70, v73
	buffer_store_dword v75, off, s[0:3], 0 offset:56
	buffer_store_dword v74, off, s[0:3], 0 offset:60
.LBB97_43:
	s_or_b32 exec_lo, exec_lo, s4
	s_waitcnt_vscnt null, 0x0
	s_barrier
	buffer_gl0_inv
	s_clause 0x1
	buffer_load_dword v73, off, s[0:3], 0 offset:64
	buffer_load_dword v74, off, s[0:3], 0 offset:68
	s_mov_b32 s4, exec_lo
	s_waitcnt vmcnt(0)
	ds_write_b64 v72, v[73:74]
	s_waitcnt lgkmcnt(0)
	s_barrier
	buffer_gl0_inv
	v_cmpx_gt_u32_e32 8, v0
	s_cbranch_execz .LBB97_47
; %bb.44:
	v_add_nc_u32_e32 v73, -1, v0
	v_add_nc_u32_e32 v74, 0x110, v71
	v_mov_b32_e32 v75, v71
	v_mov_b32_e32 v70, 0
	;; [unrolled: 1-line block ×3, first 2 shown]
	s_mov_b32 s5, 0
	.p2align	6
.LBB97_45:                              ; =>This Inner Loop Header: Depth=1
	s_clause 0x1
	buffer_load_dword v79, v75, s[0:3], 0 offen offset:4
	buffer_load_dword v80, v75, s[0:3], 0 offen
	ds_read_b64 v[77:78], v74
	v_add_nc_u32_e32 v73, 1, v73
	v_add_nc_u32_e32 v74, 8, v74
	v_add_nc_u32_e32 v75, 8, v75
	v_cmp_lt_u32_e32 vcc_lo, 6, v73
	s_or_b32 s5, vcc_lo, s5
	s_waitcnt vmcnt(1) lgkmcnt(0)
	v_mul_f32_e32 v81, v78, v79
	v_mul_f32_e32 v79, v77, v79
	s_waitcnt vmcnt(0)
	v_fma_f32 v77, v77, v80, -v81
	v_fmac_f32_e32 v79, v78, v80
	v_add_f32_e32 v76, v76, v77
	v_add_f32_e32 v70, v70, v79
	s_andn2_b32 exec_lo, exec_lo, s5
	s_cbranch_execnz .LBB97_45
; %bb.46:
	s_or_b32 exec_lo, exec_lo, s5
	v_mov_b32_e32 v73, 0
	ds_read_b64 v[73:74], v73 offset:64
	s_waitcnt lgkmcnt(0)
	v_mul_f32_e32 v75, v70, v74
	v_mul_f32_e32 v74, v76, v74
	v_fma_f32 v75, v76, v73, -v75
	v_fmac_f32_e32 v74, v70, v73
	buffer_store_dword v75, off, s[0:3], 0 offset:64
	buffer_store_dword v74, off, s[0:3], 0 offset:68
.LBB97_47:
	s_or_b32 exec_lo, exec_lo, s4
	s_waitcnt_vscnt null, 0x0
	s_barrier
	buffer_gl0_inv
	s_clause 0x1
	buffer_load_dword v73, off, s[0:3], 0 offset:72
	buffer_load_dword v74, off, s[0:3], 0 offset:76
	s_mov_b32 s4, exec_lo
	s_waitcnt vmcnt(0)
	ds_write_b64 v72, v[73:74]
	s_waitcnt lgkmcnt(0)
	s_barrier
	buffer_gl0_inv
	v_cmpx_gt_u32_e32 9, v0
	s_cbranch_execz .LBB97_51
; %bb.48:
	v_add_nc_u32_e32 v73, -1, v0
	v_add_nc_u32_e32 v74, 0x110, v71
	v_mov_b32_e32 v75, v71
	v_mov_b32_e32 v70, 0
	;; [unrolled: 1-line block ×3, first 2 shown]
	s_mov_b32 s5, 0
	.p2align	6
.LBB97_49:                              ; =>This Inner Loop Header: Depth=1
	s_clause 0x1
	buffer_load_dword v79, v75, s[0:3], 0 offen offset:4
	buffer_load_dword v80, v75, s[0:3], 0 offen
	ds_read_b64 v[77:78], v74
	v_add_nc_u32_e32 v73, 1, v73
	v_add_nc_u32_e32 v74, 8, v74
	;; [unrolled: 1-line block ×3, first 2 shown]
	v_cmp_lt_u32_e32 vcc_lo, 7, v73
	s_or_b32 s5, vcc_lo, s5
	s_waitcnt vmcnt(1) lgkmcnt(0)
	v_mul_f32_e32 v81, v78, v79
	v_mul_f32_e32 v79, v77, v79
	s_waitcnt vmcnt(0)
	v_fma_f32 v77, v77, v80, -v81
	v_fmac_f32_e32 v79, v78, v80
	v_add_f32_e32 v76, v76, v77
	v_add_f32_e32 v70, v70, v79
	s_andn2_b32 exec_lo, exec_lo, s5
	s_cbranch_execnz .LBB97_49
; %bb.50:
	s_or_b32 exec_lo, exec_lo, s5
	v_mov_b32_e32 v73, 0
	ds_read_b64 v[73:74], v73 offset:72
	s_waitcnt lgkmcnt(0)
	v_mul_f32_e32 v75, v70, v74
	v_mul_f32_e32 v74, v76, v74
	v_fma_f32 v75, v76, v73, -v75
	v_fmac_f32_e32 v74, v70, v73
	buffer_store_dword v75, off, s[0:3], 0 offset:72
	buffer_store_dword v74, off, s[0:3], 0 offset:76
.LBB97_51:
	s_or_b32 exec_lo, exec_lo, s4
	s_waitcnt_vscnt null, 0x0
	s_barrier
	buffer_gl0_inv
	s_clause 0x1
	buffer_load_dword v73, off, s[0:3], 0 offset:80
	buffer_load_dword v74, off, s[0:3], 0 offset:84
	s_mov_b32 s4, exec_lo
	s_waitcnt vmcnt(0)
	ds_write_b64 v72, v[73:74]
	s_waitcnt lgkmcnt(0)
	s_barrier
	buffer_gl0_inv
	v_cmpx_gt_u32_e32 10, v0
	s_cbranch_execz .LBB97_55
; %bb.52:
	v_add_nc_u32_e32 v73, -1, v0
	v_add_nc_u32_e32 v74, 0x110, v71
	v_mov_b32_e32 v75, v71
	v_mov_b32_e32 v70, 0
	;; [unrolled: 1-line block ×3, first 2 shown]
	s_mov_b32 s5, 0
	.p2align	6
.LBB97_53:                              ; =>This Inner Loop Header: Depth=1
	s_clause 0x1
	buffer_load_dword v79, v75, s[0:3], 0 offen offset:4
	buffer_load_dword v80, v75, s[0:3], 0 offen
	ds_read_b64 v[77:78], v74
	v_add_nc_u32_e32 v73, 1, v73
	v_add_nc_u32_e32 v74, 8, v74
	;; [unrolled: 1-line block ×3, first 2 shown]
	v_cmp_lt_u32_e32 vcc_lo, 8, v73
	s_or_b32 s5, vcc_lo, s5
	s_waitcnt vmcnt(1) lgkmcnt(0)
	v_mul_f32_e32 v81, v78, v79
	v_mul_f32_e32 v79, v77, v79
	s_waitcnt vmcnt(0)
	v_fma_f32 v77, v77, v80, -v81
	v_fmac_f32_e32 v79, v78, v80
	v_add_f32_e32 v76, v76, v77
	v_add_f32_e32 v70, v70, v79
	s_andn2_b32 exec_lo, exec_lo, s5
	s_cbranch_execnz .LBB97_53
; %bb.54:
	s_or_b32 exec_lo, exec_lo, s5
	v_mov_b32_e32 v73, 0
	ds_read_b64 v[73:74], v73 offset:80
	s_waitcnt lgkmcnt(0)
	v_mul_f32_e32 v75, v70, v74
	v_mul_f32_e32 v74, v76, v74
	v_fma_f32 v75, v76, v73, -v75
	v_fmac_f32_e32 v74, v70, v73
	buffer_store_dword v75, off, s[0:3], 0 offset:80
	buffer_store_dword v74, off, s[0:3], 0 offset:84
.LBB97_55:
	s_or_b32 exec_lo, exec_lo, s4
	s_waitcnt_vscnt null, 0x0
	s_barrier
	buffer_gl0_inv
	s_clause 0x1
	buffer_load_dword v73, off, s[0:3], 0 offset:88
	buffer_load_dword v74, off, s[0:3], 0 offset:92
	s_mov_b32 s4, exec_lo
	s_waitcnt vmcnt(0)
	ds_write_b64 v72, v[73:74]
	s_waitcnt lgkmcnt(0)
	s_barrier
	buffer_gl0_inv
	v_cmpx_gt_u32_e32 11, v0
	s_cbranch_execz .LBB97_59
; %bb.56:
	v_add_nc_u32_e32 v73, -1, v0
	v_add_nc_u32_e32 v74, 0x110, v71
	v_mov_b32_e32 v75, v71
	v_mov_b32_e32 v70, 0
	v_mov_b32_e32 v76, 0
	s_mov_b32 s5, 0
	.p2align	6
.LBB97_57:                              ; =>This Inner Loop Header: Depth=1
	s_clause 0x1
	buffer_load_dword v79, v75, s[0:3], 0 offen offset:4
	buffer_load_dword v80, v75, s[0:3], 0 offen
	ds_read_b64 v[77:78], v74
	v_add_nc_u32_e32 v73, 1, v73
	v_add_nc_u32_e32 v74, 8, v74
	v_add_nc_u32_e32 v75, 8, v75
	v_cmp_lt_u32_e32 vcc_lo, 9, v73
	s_or_b32 s5, vcc_lo, s5
	s_waitcnt vmcnt(1) lgkmcnt(0)
	v_mul_f32_e32 v81, v78, v79
	v_mul_f32_e32 v79, v77, v79
	s_waitcnt vmcnt(0)
	v_fma_f32 v77, v77, v80, -v81
	v_fmac_f32_e32 v79, v78, v80
	v_add_f32_e32 v76, v76, v77
	v_add_f32_e32 v70, v70, v79
	s_andn2_b32 exec_lo, exec_lo, s5
	s_cbranch_execnz .LBB97_57
; %bb.58:
	s_or_b32 exec_lo, exec_lo, s5
	v_mov_b32_e32 v73, 0
	ds_read_b64 v[73:74], v73 offset:88
	s_waitcnt lgkmcnt(0)
	v_mul_f32_e32 v75, v70, v74
	v_mul_f32_e32 v74, v76, v74
	v_fma_f32 v75, v76, v73, -v75
	v_fmac_f32_e32 v74, v70, v73
	buffer_store_dword v75, off, s[0:3], 0 offset:88
	buffer_store_dword v74, off, s[0:3], 0 offset:92
.LBB97_59:
	s_or_b32 exec_lo, exec_lo, s4
	s_waitcnt_vscnt null, 0x0
	s_barrier
	buffer_gl0_inv
	s_clause 0x1
	buffer_load_dword v73, off, s[0:3], 0 offset:96
	buffer_load_dword v74, off, s[0:3], 0 offset:100
	s_mov_b32 s4, exec_lo
	s_waitcnt vmcnt(0)
	ds_write_b64 v72, v[73:74]
	s_waitcnt lgkmcnt(0)
	s_barrier
	buffer_gl0_inv
	v_cmpx_gt_u32_e32 12, v0
	s_cbranch_execz .LBB97_63
; %bb.60:
	v_add_nc_u32_e32 v73, -1, v0
	v_add_nc_u32_e32 v74, 0x110, v71
	v_mov_b32_e32 v75, v71
	v_mov_b32_e32 v70, 0
	;; [unrolled: 1-line block ×3, first 2 shown]
	s_mov_b32 s5, 0
	.p2align	6
.LBB97_61:                              ; =>This Inner Loop Header: Depth=1
	s_clause 0x1
	buffer_load_dword v79, v75, s[0:3], 0 offen offset:4
	buffer_load_dword v80, v75, s[0:3], 0 offen
	ds_read_b64 v[77:78], v74
	v_add_nc_u32_e32 v73, 1, v73
	v_add_nc_u32_e32 v74, 8, v74
	;; [unrolled: 1-line block ×3, first 2 shown]
	v_cmp_lt_u32_e32 vcc_lo, 10, v73
	s_or_b32 s5, vcc_lo, s5
	s_waitcnt vmcnt(1) lgkmcnt(0)
	v_mul_f32_e32 v81, v78, v79
	v_mul_f32_e32 v79, v77, v79
	s_waitcnt vmcnt(0)
	v_fma_f32 v77, v77, v80, -v81
	v_fmac_f32_e32 v79, v78, v80
	v_add_f32_e32 v76, v76, v77
	v_add_f32_e32 v70, v70, v79
	s_andn2_b32 exec_lo, exec_lo, s5
	s_cbranch_execnz .LBB97_61
; %bb.62:
	s_or_b32 exec_lo, exec_lo, s5
	v_mov_b32_e32 v73, 0
	ds_read_b64 v[73:74], v73 offset:96
	s_waitcnt lgkmcnt(0)
	v_mul_f32_e32 v75, v70, v74
	v_mul_f32_e32 v74, v76, v74
	v_fma_f32 v75, v76, v73, -v75
	v_fmac_f32_e32 v74, v70, v73
	buffer_store_dword v75, off, s[0:3], 0 offset:96
	buffer_store_dword v74, off, s[0:3], 0 offset:100
.LBB97_63:
	s_or_b32 exec_lo, exec_lo, s4
	s_waitcnt_vscnt null, 0x0
	s_barrier
	buffer_gl0_inv
	s_clause 0x1
	buffer_load_dword v73, off, s[0:3], 0 offset:104
	buffer_load_dword v74, off, s[0:3], 0 offset:108
	s_mov_b32 s4, exec_lo
	s_waitcnt vmcnt(0)
	ds_write_b64 v72, v[73:74]
	s_waitcnt lgkmcnt(0)
	s_barrier
	buffer_gl0_inv
	v_cmpx_gt_u32_e32 13, v0
	s_cbranch_execz .LBB97_67
; %bb.64:
	v_add_nc_u32_e32 v73, -1, v0
	v_add_nc_u32_e32 v74, 0x110, v71
	v_mov_b32_e32 v75, v71
	v_mov_b32_e32 v70, 0
	;; [unrolled: 1-line block ×3, first 2 shown]
	s_mov_b32 s5, 0
	.p2align	6
.LBB97_65:                              ; =>This Inner Loop Header: Depth=1
	s_clause 0x1
	buffer_load_dword v79, v75, s[0:3], 0 offen offset:4
	buffer_load_dword v80, v75, s[0:3], 0 offen
	ds_read_b64 v[77:78], v74
	v_add_nc_u32_e32 v73, 1, v73
	v_add_nc_u32_e32 v74, 8, v74
	;; [unrolled: 1-line block ×3, first 2 shown]
	v_cmp_lt_u32_e32 vcc_lo, 11, v73
	s_or_b32 s5, vcc_lo, s5
	s_waitcnt vmcnt(1) lgkmcnt(0)
	v_mul_f32_e32 v81, v78, v79
	v_mul_f32_e32 v79, v77, v79
	s_waitcnt vmcnt(0)
	v_fma_f32 v77, v77, v80, -v81
	v_fmac_f32_e32 v79, v78, v80
	v_add_f32_e32 v76, v76, v77
	v_add_f32_e32 v70, v70, v79
	s_andn2_b32 exec_lo, exec_lo, s5
	s_cbranch_execnz .LBB97_65
; %bb.66:
	s_or_b32 exec_lo, exec_lo, s5
	v_mov_b32_e32 v73, 0
	ds_read_b64 v[73:74], v73 offset:104
	s_waitcnt lgkmcnt(0)
	v_mul_f32_e32 v75, v70, v74
	v_mul_f32_e32 v74, v76, v74
	v_fma_f32 v75, v76, v73, -v75
	v_fmac_f32_e32 v74, v70, v73
	buffer_store_dword v75, off, s[0:3], 0 offset:104
	buffer_store_dword v74, off, s[0:3], 0 offset:108
.LBB97_67:
	s_or_b32 exec_lo, exec_lo, s4
	s_waitcnt_vscnt null, 0x0
	s_barrier
	buffer_gl0_inv
	s_clause 0x1
	buffer_load_dword v73, off, s[0:3], 0 offset:112
	buffer_load_dword v74, off, s[0:3], 0 offset:116
	s_mov_b32 s4, exec_lo
	s_waitcnt vmcnt(0)
	ds_write_b64 v72, v[73:74]
	s_waitcnt lgkmcnt(0)
	s_barrier
	buffer_gl0_inv
	v_cmpx_gt_u32_e32 14, v0
	s_cbranch_execz .LBB97_71
; %bb.68:
	v_add_nc_u32_e32 v73, -1, v0
	v_add_nc_u32_e32 v74, 0x110, v71
	v_mov_b32_e32 v75, v71
	v_mov_b32_e32 v70, 0
	;; [unrolled: 1-line block ×3, first 2 shown]
	s_mov_b32 s5, 0
	.p2align	6
.LBB97_69:                              ; =>This Inner Loop Header: Depth=1
	s_clause 0x1
	buffer_load_dword v79, v75, s[0:3], 0 offen offset:4
	buffer_load_dword v80, v75, s[0:3], 0 offen
	ds_read_b64 v[77:78], v74
	v_add_nc_u32_e32 v73, 1, v73
	v_add_nc_u32_e32 v74, 8, v74
	;; [unrolled: 1-line block ×3, first 2 shown]
	v_cmp_lt_u32_e32 vcc_lo, 12, v73
	s_or_b32 s5, vcc_lo, s5
	s_waitcnt vmcnt(1) lgkmcnt(0)
	v_mul_f32_e32 v81, v78, v79
	v_mul_f32_e32 v79, v77, v79
	s_waitcnt vmcnt(0)
	v_fma_f32 v77, v77, v80, -v81
	v_fmac_f32_e32 v79, v78, v80
	v_add_f32_e32 v76, v76, v77
	v_add_f32_e32 v70, v70, v79
	s_andn2_b32 exec_lo, exec_lo, s5
	s_cbranch_execnz .LBB97_69
; %bb.70:
	s_or_b32 exec_lo, exec_lo, s5
	v_mov_b32_e32 v73, 0
	ds_read_b64 v[73:74], v73 offset:112
	s_waitcnt lgkmcnt(0)
	v_mul_f32_e32 v75, v70, v74
	v_mul_f32_e32 v74, v76, v74
	v_fma_f32 v75, v76, v73, -v75
	v_fmac_f32_e32 v74, v70, v73
	buffer_store_dword v75, off, s[0:3], 0 offset:112
	buffer_store_dword v74, off, s[0:3], 0 offset:116
.LBB97_71:
	s_or_b32 exec_lo, exec_lo, s4
	s_waitcnt_vscnt null, 0x0
	s_barrier
	buffer_gl0_inv
	s_clause 0x1
	buffer_load_dword v73, off, s[0:3], 0 offset:120
	buffer_load_dword v74, off, s[0:3], 0 offset:124
	s_mov_b32 s4, exec_lo
	s_waitcnt vmcnt(0)
	ds_write_b64 v72, v[73:74]
	s_waitcnt lgkmcnt(0)
	s_barrier
	buffer_gl0_inv
	v_cmpx_gt_u32_e32 15, v0
	s_cbranch_execz .LBB97_75
; %bb.72:
	v_add_nc_u32_e32 v73, -1, v0
	v_add_nc_u32_e32 v74, 0x110, v71
	v_mov_b32_e32 v75, v71
	v_mov_b32_e32 v70, 0
	;; [unrolled: 1-line block ×3, first 2 shown]
	s_mov_b32 s5, 0
	.p2align	6
.LBB97_73:                              ; =>This Inner Loop Header: Depth=1
	s_clause 0x1
	buffer_load_dword v79, v75, s[0:3], 0 offen offset:4
	buffer_load_dword v80, v75, s[0:3], 0 offen
	ds_read_b64 v[77:78], v74
	v_add_nc_u32_e32 v73, 1, v73
	v_add_nc_u32_e32 v74, 8, v74
	;; [unrolled: 1-line block ×3, first 2 shown]
	v_cmp_lt_u32_e32 vcc_lo, 13, v73
	s_or_b32 s5, vcc_lo, s5
	s_waitcnt vmcnt(1) lgkmcnt(0)
	v_mul_f32_e32 v81, v78, v79
	v_mul_f32_e32 v79, v77, v79
	s_waitcnt vmcnt(0)
	v_fma_f32 v77, v77, v80, -v81
	v_fmac_f32_e32 v79, v78, v80
	v_add_f32_e32 v76, v76, v77
	v_add_f32_e32 v70, v70, v79
	s_andn2_b32 exec_lo, exec_lo, s5
	s_cbranch_execnz .LBB97_73
; %bb.74:
	s_or_b32 exec_lo, exec_lo, s5
	v_mov_b32_e32 v73, 0
	ds_read_b64 v[73:74], v73 offset:120
	s_waitcnt lgkmcnt(0)
	v_mul_f32_e32 v75, v70, v74
	v_mul_f32_e32 v74, v76, v74
	v_fma_f32 v75, v76, v73, -v75
	v_fmac_f32_e32 v74, v70, v73
	buffer_store_dword v75, off, s[0:3], 0 offset:120
	buffer_store_dword v74, off, s[0:3], 0 offset:124
.LBB97_75:
	s_or_b32 exec_lo, exec_lo, s4
	s_waitcnt_vscnt null, 0x0
	s_barrier
	buffer_gl0_inv
	s_clause 0x1
	buffer_load_dword v73, off, s[0:3], 0 offset:128
	buffer_load_dword v74, off, s[0:3], 0 offset:132
	s_mov_b32 s4, exec_lo
	s_waitcnt vmcnt(0)
	ds_write_b64 v72, v[73:74]
	s_waitcnt lgkmcnt(0)
	s_barrier
	buffer_gl0_inv
	v_cmpx_gt_u32_e32 16, v0
	s_cbranch_execz .LBB97_79
; %bb.76:
	v_add_nc_u32_e32 v73, -1, v0
	v_add_nc_u32_e32 v74, 0x110, v71
	v_mov_b32_e32 v75, v71
	v_mov_b32_e32 v70, 0
	;; [unrolled: 1-line block ×3, first 2 shown]
	s_mov_b32 s5, 0
	.p2align	6
.LBB97_77:                              ; =>This Inner Loop Header: Depth=1
	s_clause 0x1
	buffer_load_dword v79, v75, s[0:3], 0 offen offset:4
	buffer_load_dword v80, v75, s[0:3], 0 offen
	ds_read_b64 v[77:78], v74
	v_add_nc_u32_e32 v73, 1, v73
	v_add_nc_u32_e32 v74, 8, v74
	;; [unrolled: 1-line block ×3, first 2 shown]
	v_cmp_lt_u32_e32 vcc_lo, 14, v73
	s_or_b32 s5, vcc_lo, s5
	s_waitcnt vmcnt(1) lgkmcnt(0)
	v_mul_f32_e32 v81, v78, v79
	v_mul_f32_e32 v79, v77, v79
	s_waitcnt vmcnt(0)
	v_fma_f32 v77, v77, v80, -v81
	v_fmac_f32_e32 v79, v78, v80
	v_add_f32_e32 v76, v76, v77
	v_add_f32_e32 v70, v70, v79
	s_andn2_b32 exec_lo, exec_lo, s5
	s_cbranch_execnz .LBB97_77
; %bb.78:
	s_or_b32 exec_lo, exec_lo, s5
	v_mov_b32_e32 v73, 0
	ds_read_b64 v[73:74], v73 offset:128
	s_waitcnt lgkmcnt(0)
	v_mul_f32_e32 v75, v70, v74
	v_mul_f32_e32 v74, v76, v74
	v_fma_f32 v75, v76, v73, -v75
	v_fmac_f32_e32 v74, v70, v73
	buffer_store_dword v75, off, s[0:3], 0 offset:128
	buffer_store_dword v74, off, s[0:3], 0 offset:132
.LBB97_79:
	s_or_b32 exec_lo, exec_lo, s4
	s_waitcnt_vscnt null, 0x0
	s_barrier
	buffer_gl0_inv
	s_clause 0x1
	buffer_load_dword v73, off, s[0:3], 0 offset:136
	buffer_load_dword v74, off, s[0:3], 0 offset:140
	s_mov_b32 s4, exec_lo
	s_waitcnt vmcnt(0)
	ds_write_b64 v72, v[73:74]
	s_waitcnt lgkmcnt(0)
	s_barrier
	buffer_gl0_inv
	v_cmpx_gt_u32_e32 17, v0
	s_cbranch_execz .LBB97_83
; %bb.80:
	v_add_nc_u32_e32 v73, -1, v0
	v_add_nc_u32_e32 v74, 0x110, v71
	v_mov_b32_e32 v75, v71
	v_mov_b32_e32 v70, 0
	;; [unrolled: 1-line block ×3, first 2 shown]
	s_mov_b32 s5, 0
	.p2align	6
.LBB97_81:                              ; =>This Inner Loop Header: Depth=1
	s_clause 0x1
	buffer_load_dword v79, v75, s[0:3], 0 offen offset:4
	buffer_load_dword v80, v75, s[0:3], 0 offen
	ds_read_b64 v[77:78], v74
	v_add_nc_u32_e32 v73, 1, v73
	v_add_nc_u32_e32 v74, 8, v74
	;; [unrolled: 1-line block ×3, first 2 shown]
	v_cmp_lt_u32_e32 vcc_lo, 15, v73
	s_or_b32 s5, vcc_lo, s5
	s_waitcnt vmcnt(1) lgkmcnt(0)
	v_mul_f32_e32 v81, v78, v79
	v_mul_f32_e32 v79, v77, v79
	s_waitcnt vmcnt(0)
	v_fma_f32 v77, v77, v80, -v81
	v_fmac_f32_e32 v79, v78, v80
	v_add_f32_e32 v76, v76, v77
	v_add_f32_e32 v70, v70, v79
	s_andn2_b32 exec_lo, exec_lo, s5
	s_cbranch_execnz .LBB97_81
; %bb.82:
	s_or_b32 exec_lo, exec_lo, s5
	v_mov_b32_e32 v73, 0
	ds_read_b64 v[73:74], v73 offset:136
	s_waitcnt lgkmcnt(0)
	v_mul_f32_e32 v75, v70, v74
	v_mul_f32_e32 v74, v76, v74
	v_fma_f32 v75, v76, v73, -v75
	v_fmac_f32_e32 v74, v70, v73
	buffer_store_dword v75, off, s[0:3], 0 offset:136
	buffer_store_dword v74, off, s[0:3], 0 offset:140
.LBB97_83:
	s_or_b32 exec_lo, exec_lo, s4
	s_waitcnt_vscnt null, 0x0
	s_barrier
	buffer_gl0_inv
	s_clause 0x1
	buffer_load_dword v73, off, s[0:3], 0 offset:144
	buffer_load_dword v74, off, s[0:3], 0 offset:148
	s_mov_b32 s4, exec_lo
	s_waitcnt vmcnt(0)
	ds_write_b64 v72, v[73:74]
	s_waitcnt lgkmcnt(0)
	s_barrier
	buffer_gl0_inv
	v_cmpx_gt_u32_e32 18, v0
	s_cbranch_execz .LBB97_87
; %bb.84:
	v_add_nc_u32_e32 v73, -1, v0
	v_add_nc_u32_e32 v74, 0x110, v71
	v_mov_b32_e32 v75, v71
	v_mov_b32_e32 v70, 0
	;; [unrolled: 1-line block ×3, first 2 shown]
	s_mov_b32 s5, 0
	.p2align	6
.LBB97_85:                              ; =>This Inner Loop Header: Depth=1
	s_clause 0x1
	buffer_load_dword v79, v75, s[0:3], 0 offen offset:4
	buffer_load_dword v80, v75, s[0:3], 0 offen
	ds_read_b64 v[77:78], v74
	v_add_nc_u32_e32 v73, 1, v73
	v_add_nc_u32_e32 v74, 8, v74
	;; [unrolled: 1-line block ×3, first 2 shown]
	v_cmp_lt_u32_e32 vcc_lo, 16, v73
	s_or_b32 s5, vcc_lo, s5
	s_waitcnt vmcnt(1) lgkmcnt(0)
	v_mul_f32_e32 v81, v78, v79
	v_mul_f32_e32 v79, v77, v79
	s_waitcnt vmcnt(0)
	v_fma_f32 v77, v77, v80, -v81
	v_fmac_f32_e32 v79, v78, v80
	v_add_f32_e32 v76, v76, v77
	v_add_f32_e32 v70, v70, v79
	s_andn2_b32 exec_lo, exec_lo, s5
	s_cbranch_execnz .LBB97_85
; %bb.86:
	s_or_b32 exec_lo, exec_lo, s5
	v_mov_b32_e32 v73, 0
	ds_read_b64 v[73:74], v73 offset:144
	s_waitcnt lgkmcnt(0)
	v_mul_f32_e32 v75, v70, v74
	v_mul_f32_e32 v74, v76, v74
	v_fma_f32 v75, v76, v73, -v75
	v_fmac_f32_e32 v74, v70, v73
	buffer_store_dword v75, off, s[0:3], 0 offset:144
	buffer_store_dword v74, off, s[0:3], 0 offset:148
.LBB97_87:
	s_or_b32 exec_lo, exec_lo, s4
	s_waitcnt_vscnt null, 0x0
	s_barrier
	buffer_gl0_inv
	s_clause 0x1
	buffer_load_dword v73, off, s[0:3], 0 offset:152
	buffer_load_dword v74, off, s[0:3], 0 offset:156
	s_mov_b32 s4, exec_lo
	s_waitcnt vmcnt(0)
	ds_write_b64 v72, v[73:74]
	s_waitcnt lgkmcnt(0)
	s_barrier
	buffer_gl0_inv
	v_cmpx_gt_u32_e32 19, v0
	s_cbranch_execz .LBB97_91
; %bb.88:
	v_add_nc_u32_e32 v73, -1, v0
	v_add_nc_u32_e32 v74, 0x110, v71
	v_mov_b32_e32 v75, v71
	v_mov_b32_e32 v70, 0
	;; [unrolled: 1-line block ×3, first 2 shown]
	s_mov_b32 s5, 0
	.p2align	6
.LBB97_89:                              ; =>This Inner Loop Header: Depth=1
	s_clause 0x1
	buffer_load_dword v79, v75, s[0:3], 0 offen offset:4
	buffer_load_dword v80, v75, s[0:3], 0 offen
	ds_read_b64 v[77:78], v74
	v_add_nc_u32_e32 v73, 1, v73
	v_add_nc_u32_e32 v74, 8, v74
	;; [unrolled: 1-line block ×3, first 2 shown]
	v_cmp_lt_u32_e32 vcc_lo, 17, v73
	s_or_b32 s5, vcc_lo, s5
	s_waitcnt vmcnt(1) lgkmcnt(0)
	v_mul_f32_e32 v81, v78, v79
	v_mul_f32_e32 v79, v77, v79
	s_waitcnt vmcnt(0)
	v_fma_f32 v77, v77, v80, -v81
	v_fmac_f32_e32 v79, v78, v80
	v_add_f32_e32 v76, v76, v77
	v_add_f32_e32 v70, v70, v79
	s_andn2_b32 exec_lo, exec_lo, s5
	s_cbranch_execnz .LBB97_89
; %bb.90:
	s_or_b32 exec_lo, exec_lo, s5
	v_mov_b32_e32 v73, 0
	ds_read_b64 v[73:74], v73 offset:152
	s_waitcnt lgkmcnt(0)
	v_mul_f32_e32 v75, v70, v74
	v_mul_f32_e32 v74, v76, v74
	v_fma_f32 v75, v76, v73, -v75
	v_fmac_f32_e32 v74, v70, v73
	buffer_store_dword v75, off, s[0:3], 0 offset:152
	buffer_store_dword v74, off, s[0:3], 0 offset:156
.LBB97_91:
	s_or_b32 exec_lo, exec_lo, s4
	s_waitcnt_vscnt null, 0x0
	s_barrier
	buffer_gl0_inv
	s_clause 0x1
	buffer_load_dword v73, off, s[0:3], 0 offset:160
	buffer_load_dword v74, off, s[0:3], 0 offset:164
	s_mov_b32 s4, exec_lo
	s_waitcnt vmcnt(0)
	ds_write_b64 v72, v[73:74]
	s_waitcnt lgkmcnt(0)
	s_barrier
	buffer_gl0_inv
	v_cmpx_gt_u32_e32 20, v0
	s_cbranch_execz .LBB97_95
; %bb.92:
	v_add_nc_u32_e32 v73, -1, v0
	v_add_nc_u32_e32 v74, 0x110, v71
	v_mov_b32_e32 v75, v71
	v_mov_b32_e32 v70, 0
	;; [unrolled: 1-line block ×3, first 2 shown]
	s_mov_b32 s5, 0
	.p2align	6
.LBB97_93:                              ; =>This Inner Loop Header: Depth=1
	s_clause 0x1
	buffer_load_dword v79, v75, s[0:3], 0 offen offset:4
	buffer_load_dword v80, v75, s[0:3], 0 offen
	ds_read_b64 v[77:78], v74
	v_add_nc_u32_e32 v73, 1, v73
	v_add_nc_u32_e32 v74, 8, v74
	;; [unrolled: 1-line block ×3, first 2 shown]
	v_cmp_lt_u32_e32 vcc_lo, 18, v73
	s_or_b32 s5, vcc_lo, s5
	s_waitcnt vmcnt(1) lgkmcnt(0)
	v_mul_f32_e32 v81, v78, v79
	v_mul_f32_e32 v79, v77, v79
	s_waitcnt vmcnt(0)
	v_fma_f32 v77, v77, v80, -v81
	v_fmac_f32_e32 v79, v78, v80
	v_add_f32_e32 v76, v76, v77
	v_add_f32_e32 v70, v70, v79
	s_andn2_b32 exec_lo, exec_lo, s5
	s_cbranch_execnz .LBB97_93
; %bb.94:
	s_or_b32 exec_lo, exec_lo, s5
	v_mov_b32_e32 v73, 0
	ds_read_b64 v[73:74], v73 offset:160
	s_waitcnt lgkmcnt(0)
	v_mul_f32_e32 v75, v70, v74
	v_mul_f32_e32 v74, v76, v74
	v_fma_f32 v75, v76, v73, -v75
	v_fmac_f32_e32 v74, v70, v73
	buffer_store_dword v75, off, s[0:3], 0 offset:160
	buffer_store_dword v74, off, s[0:3], 0 offset:164
.LBB97_95:
	s_or_b32 exec_lo, exec_lo, s4
	s_waitcnt_vscnt null, 0x0
	s_barrier
	buffer_gl0_inv
	s_clause 0x1
	buffer_load_dword v73, off, s[0:3], 0 offset:168
	buffer_load_dword v74, off, s[0:3], 0 offset:172
	s_mov_b32 s4, exec_lo
	s_waitcnt vmcnt(0)
	ds_write_b64 v72, v[73:74]
	s_waitcnt lgkmcnt(0)
	s_barrier
	buffer_gl0_inv
	v_cmpx_gt_u32_e32 21, v0
	s_cbranch_execz .LBB97_99
; %bb.96:
	v_add_nc_u32_e32 v73, -1, v0
	v_add_nc_u32_e32 v74, 0x110, v71
	v_mov_b32_e32 v75, v71
	v_mov_b32_e32 v70, 0
	;; [unrolled: 1-line block ×3, first 2 shown]
	s_mov_b32 s5, 0
	.p2align	6
.LBB97_97:                              ; =>This Inner Loop Header: Depth=1
	s_clause 0x1
	buffer_load_dword v79, v75, s[0:3], 0 offen offset:4
	buffer_load_dword v80, v75, s[0:3], 0 offen
	ds_read_b64 v[77:78], v74
	v_add_nc_u32_e32 v73, 1, v73
	v_add_nc_u32_e32 v74, 8, v74
	;; [unrolled: 1-line block ×3, first 2 shown]
	v_cmp_lt_u32_e32 vcc_lo, 19, v73
	s_or_b32 s5, vcc_lo, s5
	s_waitcnt vmcnt(1) lgkmcnt(0)
	v_mul_f32_e32 v81, v78, v79
	v_mul_f32_e32 v79, v77, v79
	s_waitcnt vmcnt(0)
	v_fma_f32 v77, v77, v80, -v81
	v_fmac_f32_e32 v79, v78, v80
	v_add_f32_e32 v76, v76, v77
	v_add_f32_e32 v70, v70, v79
	s_andn2_b32 exec_lo, exec_lo, s5
	s_cbranch_execnz .LBB97_97
; %bb.98:
	s_or_b32 exec_lo, exec_lo, s5
	v_mov_b32_e32 v73, 0
	ds_read_b64 v[73:74], v73 offset:168
	s_waitcnt lgkmcnt(0)
	v_mul_f32_e32 v75, v70, v74
	v_mul_f32_e32 v74, v76, v74
	v_fma_f32 v75, v76, v73, -v75
	v_fmac_f32_e32 v74, v70, v73
	buffer_store_dword v75, off, s[0:3], 0 offset:168
	buffer_store_dword v74, off, s[0:3], 0 offset:172
.LBB97_99:
	s_or_b32 exec_lo, exec_lo, s4
	s_waitcnt_vscnt null, 0x0
	s_barrier
	buffer_gl0_inv
	s_clause 0x1
	buffer_load_dword v73, off, s[0:3], 0 offset:176
	buffer_load_dword v74, off, s[0:3], 0 offset:180
	s_mov_b32 s4, exec_lo
	s_waitcnt vmcnt(0)
	ds_write_b64 v72, v[73:74]
	s_waitcnt lgkmcnt(0)
	s_barrier
	buffer_gl0_inv
	v_cmpx_gt_u32_e32 22, v0
	s_cbranch_execz .LBB97_103
; %bb.100:
	v_add_nc_u32_e32 v73, -1, v0
	v_add_nc_u32_e32 v74, 0x110, v71
	v_mov_b32_e32 v75, v71
	v_mov_b32_e32 v70, 0
	;; [unrolled: 1-line block ×3, first 2 shown]
	s_mov_b32 s5, 0
	.p2align	6
.LBB97_101:                             ; =>This Inner Loop Header: Depth=1
	s_clause 0x1
	buffer_load_dword v79, v75, s[0:3], 0 offen offset:4
	buffer_load_dword v80, v75, s[0:3], 0 offen
	ds_read_b64 v[77:78], v74
	v_add_nc_u32_e32 v73, 1, v73
	v_add_nc_u32_e32 v74, 8, v74
	;; [unrolled: 1-line block ×3, first 2 shown]
	v_cmp_lt_u32_e32 vcc_lo, 20, v73
	s_or_b32 s5, vcc_lo, s5
	s_waitcnt vmcnt(1) lgkmcnt(0)
	v_mul_f32_e32 v81, v78, v79
	v_mul_f32_e32 v79, v77, v79
	s_waitcnt vmcnt(0)
	v_fma_f32 v77, v77, v80, -v81
	v_fmac_f32_e32 v79, v78, v80
	v_add_f32_e32 v76, v76, v77
	v_add_f32_e32 v70, v70, v79
	s_andn2_b32 exec_lo, exec_lo, s5
	s_cbranch_execnz .LBB97_101
; %bb.102:
	s_or_b32 exec_lo, exec_lo, s5
	v_mov_b32_e32 v73, 0
	ds_read_b64 v[73:74], v73 offset:176
	s_waitcnt lgkmcnt(0)
	v_mul_f32_e32 v75, v70, v74
	v_mul_f32_e32 v74, v76, v74
	v_fma_f32 v75, v76, v73, -v75
	v_fmac_f32_e32 v74, v70, v73
	buffer_store_dword v75, off, s[0:3], 0 offset:176
	buffer_store_dword v74, off, s[0:3], 0 offset:180
.LBB97_103:
	s_or_b32 exec_lo, exec_lo, s4
	s_waitcnt_vscnt null, 0x0
	s_barrier
	buffer_gl0_inv
	s_clause 0x1
	buffer_load_dword v73, off, s[0:3], 0 offset:184
	buffer_load_dword v74, off, s[0:3], 0 offset:188
	s_mov_b32 s4, exec_lo
	s_waitcnt vmcnt(0)
	ds_write_b64 v72, v[73:74]
	s_waitcnt lgkmcnt(0)
	s_barrier
	buffer_gl0_inv
	v_cmpx_gt_u32_e32 23, v0
	s_cbranch_execz .LBB97_107
; %bb.104:
	v_add_nc_u32_e32 v73, -1, v0
	v_add_nc_u32_e32 v74, 0x110, v71
	v_mov_b32_e32 v75, v71
	v_mov_b32_e32 v70, 0
	;; [unrolled: 1-line block ×3, first 2 shown]
	s_mov_b32 s5, 0
	.p2align	6
.LBB97_105:                             ; =>This Inner Loop Header: Depth=1
	s_clause 0x1
	buffer_load_dword v79, v75, s[0:3], 0 offen offset:4
	buffer_load_dword v80, v75, s[0:3], 0 offen
	ds_read_b64 v[77:78], v74
	v_add_nc_u32_e32 v73, 1, v73
	v_add_nc_u32_e32 v74, 8, v74
	;; [unrolled: 1-line block ×3, first 2 shown]
	v_cmp_lt_u32_e32 vcc_lo, 21, v73
	s_or_b32 s5, vcc_lo, s5
	s_waitcnt vmcnt(1) lgkmcnt(0)
	v_mul_f32_e32 v81, v78, v79
	v_mul_f32_e32 v79, v77, v79
	s_waitcnt vmcnt(0)
	v_fma_f32 v77, v77, v80, -v81
	v_fmac_f32_e32 v79, v78, v80
	v_add_f32_e32 v76, v76, v77
	v_add_f32_e32 v70, v70, v79
	s_andn2_b32 exec_lo, exec_lo, s5
	s_cbranch_execnz .LBB97_105
; %bb.106:
	s_or_b32 exec_lo, exec_lo, s5
	v_mov_b32_e32 v73, 0
	ds_read_b64 v[73:74], v73 offset:184
	s_waitcnt lgkmcnt(0)
	v_mul_f32_e32 v75, v70, v74
	v_mul_f32_e32 v74, v76, v74
	v_fma_f32 v75, v76, v73, -v75
	v_fmac_f32_e32 v74, v70, v73
	buffer_store_dword v75, off, s[0:3], 0 offset:184
	buffer_store_dword v74, off, s[0:3], 0 offset:188
.LBB97_107:
	s_or_b32 exec_lo, exec_lo, s4
	s_waitcnt_vscnt null, 0x0
	s_barrier
	buffer_gl0_inv
	s_clause 0x1
	buffer_load_dword v73, off, s[0:3], 0 offset:192
	buffer_load_dword v74, off, s[0:3], 0 offset:196
	s_mov_b32 s4, exec_lo
	s_waitcnt vmcnt(0)
	ds_write_b64 v72, v[73:74]
	s_waitcnt lgkmcnt(0)
	s_barrier
	buffer_gl0_inv
	v_cmpx_gt_u32_e32 24, v0
	s_cbranch_execz .LBB97_111
; %bb.108:
	v_add_nc_u32_e32 v73, -1, v0
	v_add_nc_u32_e32 v74, 0x110, v71
	v_mov_b32_e32 v75, v71
	v_mov_b32_e32 v70, 0
	;; [unrolled: 1-line block ×3, first 2 shown]
	s_mov_b32 s5, 0
	.p2align	6
.LBB97_109:                             ; =>This Inner Loop Header: Depth=1
	s_clause 0x1
	buffer_load_dword v79, v75, s[0:3], 0 offen offset:4
	buffer_load_dword v80, v75, s[0:3], 0 offen
	ds_read_b64 v[77:78], v74
	v_add_nc_u32_e32 v73, 1, v73
	v_add_nc_u32_e32 v74, 8, v74
	;; [unrolled: 1-line block ×3, first 2 shown]
	v_cmp_lt_u32_e32 vcc_lo, 22, v73
	s_or_b32 s5, vcc_lo, s5
	s_waitcnt vmcnt(1) lgkmcnt(0)
	v_mul_f32_e32 v81, v78, v79
	v_mul_f32_e32 v79, v77, v79
	s_waitcnt vmcnt(0)
	v_fma_f32 v77, v77, v80, -v81
	v_fmac_f32_e32 v79, v78, v80
	v_add_f32_e32 v76, v76, v77
	v_add_f32_e32 v70, v70, v79
	s_andn2_b32 exec_lo, exec_lo, s5
	s_cbranch_execnz .LBB97_109
; %bb.110:
	s_or_b32 exec_lo, exec_lo, s5
	v_mov_b32_e32 v73, 0
	ds_read_b64 v[73:74], v73 offset:192
	s_waitcnt lgkmcnt(0)
	v_mul_f32_e32 v75, v70, v74
	v_mul_f32_e32 v74, v76, v74
	v_fma_f32 v75, v76, v73, -v75
	v_fmac_f32_e32 v74, v70, v73
	buffer_store_dword v75, off, s[0:3], 0 offset:192
	buffer_store_dword v74, off, s[0:3], 0 offset:196
.LBB97_111:
	s_or_b32 exec_lo, exec_lo, s4
	s_waitcnt_vscnt null, 0x0
	s_barrier
	buffer_gl0_inv
	s_clause 0x1
	buffer_load_dword v73, off, s[0:3], 0 offset:200
	buffer_load_dword v74, off, s[0:3], 0 offset:204
	s_mov_b32 s4, exec_lo
	s_waitcnt vmcnt(0)
	ds_write_b64 v72, v[73:74]
	s_waitcnt lgkmcnt(0)
	s_barrier
	buffer_gl0_inv
	v_cmpx_gt_u32_e32 25, v0
	s_cbranch_execz .LBB97_115
; %bb.112:
	v_add_nc_u32_e32 v73, -1, v0
	v_add_nc_u32_e32 v74, 0x110, v71
	v_mov_b32_e32 v75, v71
	v_mov_b32_e32 v70, 0
	;; [unrolled: 1-line block ×3, first 2 shown]
	s_mov_b32 s5, 0
	.p2align	6
.LBB97_113:                             ; =>This Inner Loop Header: Depth=1
	s_clause 0x1
	buffer_load_dword v79, v75, s[0:3], 0 offen offset:4
	buffer_load_dword v80, v75, s[0:3], 0 offen
	ds_read_b64 v[77:78], v74
	v_add_nc_u32_e32 v73, 1, v73
	v_add_nc_u32_e32 v74, 8, v74
	;; [unrolled: 1-line block ×3, first 2 shown]
	v_cmp_lt_u32_e32 vcc_lo, 23, v73
	s_or_b32 s5, vcc_lo, s5
	s_waitcnt vmcnt(1) lgkmcnt(0)
	v_mul_f32_e32 v81, v78, v79
	v_mul_f32_e32 v79, v77, v79
	s_waitcnt vmcnt(0)
	v_fma_f32 v77, v77, v80, -v81
	v_fmac_f32_e32 v79, v78, v80
	v_add_f32_e32 v76, v76, v77
	v_add_f32_e32 v70, v70, v79
	s_andn2_b32 exec_lo, exec_lo, s5
	s_cbranch_execnz .LBB97_113
; %bb.114:
	s_or_b32 exec_lo, exec_lo, s5
	v_mov_b32_e32 v73, 0
	ds_read_b64 v[73:74], v73 offset:200
	s_waitcnt lgkmcnt(0)
	v_mul_f32_e32 v75, v70, v74
	v_mul_f32_e32 v74, v76, v74
	v_fma_f32 v75, v76, v73, -v75
	v_fmac_f32_e32 v74, v70, v73
	buffer_store_dword v75, off, s[0:3], 0 offset:200
	buffer_store_dword v74, off, s[0:3], 0 offset:204
.LBB97_115:
	s_or_b32 exec_lo, exec_lo, s4
	s_waitcnt_vscnt null, 0x0
	s_barrier
	buffer_gl0_inv
	s_clause 0x1
	buffer_load_dword v73, off, s[0:3], 0 offset:208
	buffer_load_dword v74, off, s[0:3], 0 offset:212
	s_mov_b32 s4, exec_lo
	s_waitcnt vmcnt(0)
	ds_write_b64 v72, v[73:74]
	s_waitcnt lgkmcnt(0)
	s_barrier
	buffer_gl0_inv
	v_cmpx_gt_u32_e32 26, v0
	s_cbranch_execz .LBB97_119
; %bb.116:
	v_add_nc_u32_e32 v73, -1, v0
	v_add_nc_u32_e32 v74, 0x110, v71
	v_mov_b32_e32 v75, v71
	v_mov_b32_e32 v70, 0
	;; [unrolled: 1-line block ×3, first 2 shown]
	s_mov_b32 s5, 0
	.p2align	6
.LBB97_117:                             ; =>This Inner Loop Header: Depth=1
	s_clause 0x1
	buffer_load_dword v79, v75, s[0:3], 0 offen offset:4
	buffer_load_dword v80, v75, s[0:3], 0 offen
	ds_read_b64 v[77:78], v74
	v_add_nc_u32_e32 v73, 1, v73
	v_add_nc_u32_e32 v74, 8, v74
	;; [unrolled: 1-line block ×3, first 2 shown]
	v_cmp_lt_u32_e32 vcc_lo, 24, v73
	s_or_b32 s5, vcc_lo, s5
	s_waitcnt vmcnt(1) lgkmcnt(0)
	v_mul_f32_e32 v81, v78, v79
	v_mul_f32_e32 v79, v77, v79
	s_waitcnt vmcnt(0)
	v_fma_f32 v77, v77, v80, -v81
	v_fmac_f32_e32 v79, v78, v80
	v_add_f32_e32 v76, v76, v77
	v_add_f32_e32 v70, v70, v79
	s_andn2_b32 exec_lo, exec_lo, s5
	s_cbranch_execnz .LBB97_117
; %bb.118:
	s_or_b32 exec_lo, exec_lo, s5
	v_mov_b32_e32 v73, 0
	ds_read_b64 v[73:74], v73 offset:208
	s_waitcnt lgkmcnt(0)
	v_mul_f32_e32 v75, v70, v74
	v_mul_f32_e32 v74, v76, v74
	v_fma_f32 v75, v76, v73, -v75
	v_fmac_f32_e32 v74, v70, v73
	buffer_store_dword v75, off, s[0:3], 0 offset:208
	buffer_store_dword v74, off, s[0:3], 0 offset:212
.LBB97_119:
	s_or_b32 exec_lo, exec_lo, s4
	s_waitcnt_vscnt null, 0x0
	s_barrier
	buffer_gl0_inv
	s_clause 0x1
	buffer_load_dword v73, off, s[0:3], 0 offset:216
	buffer_load_dword v74, off, s[0:3], 0 offset:220
	s_mov_b32 s4, exec_lo
	s_waitcnt vmcnt(0)
	ds_write_b64 v72, v[73:74]
	s_waitcnt lgkmcnt(0)
	s_barrier
	buffer_gl0_inv
	v_cmpx_gt_u32_e32 27, v0
	s_cbranch_execz .LBB97_123
; %bb.120:
	v_add_nc_u32_e32 v73, -1, v0
	v_add_nc_u32_e32 v74, 0x110, v71
	v_mov_b32_e32 v75, v71
	v_mov_b32_e32 v70, 0
	;; [unrolled: 1-line block ×3, first 2 shown]
	s_mov_b32 s5, 0
	.p2align	6
.LBB97_121:                             ; =>This Inner Loop Header: Depth=1
	s_clause 0x1
	buffer_load_dword v79, v75, s[0:3], 0 offen offset:4
	buffer_load_dword v80, v75, s[0:3], 0 offen
	ds_read_b64 v[77:78], v74
	v_add_nc_u32_e32 v73, 1, v73
	v_add_nc_u32_e32 v74, 8, v74
	;; [unrolled: 1-line block ×3, first 2 shown]
	v_cmp_lt_u32_e32 vcc_lo, 25, v73
	s_or_b32 s5, vcc_lo, s5
	s_waitcnt vmcnt(1) lgkmcnt(0)
	v_mul_f32_e32 v81, v78, v79
	v_mul_f32_e32 v79, v77, v79
	s_waitcnt vmcnt(0)
	v_fma_f32 v77, v77, v80, -v81
	v_fmac_f32_e32 v79, v78, v80
	v_add_f32_e32 v76, v76, v77
	v_add_f32_e32 v70, v70, v79
	s_andn2_b32 exec_lo, exec_lo, s5
	s_cbranch_execnz .LBB97_121
; %bb.122:
	s_or_b32 exec_lo, exec_lo, s5
	v_mov_b32_e32 v73, 0
	ds_read_b64 v[73:74], v73 offset:216
	s_waitcnt lgkmcnt(0)
	v_mul_f32_e32 v75, v70, v74
	v_mul_f32_e32 v74, v76, v74
	v_fma_f32 v75, v76, v73, -v75
	v_fmac_f32_e32 v74, v70, v73
	buffer_store_dword v75, off, s[0:3], 0 offset:216
	buffer_store_dword v74, off, s[0:3], 0 offset:220
.LBB97_123:
	s_or_b32 exec_lo, exec_lo, s4
	s_waitcnt_vscnt null, 0x0
	s_barrier
	buffer_gl0_inv
	s_clause 0x1
	buffer_load_dword v73, off, s[0:3], 0 offset:224
	buffer_load_dword v74, off, s[0:3], 0 offset:228
	s_mov_b32 s4, exec_lo
	s_waitcnt vmcnt(0)
	ds_write_b64 v72, v[73:74]
	s_waitcnt lgkmcnt(0)
	s_barrier
	buffer_gl0_inv
	v_cmpx_gt_u32_e32 28, v0
	s_cbranch_execz .LBB97_127
; %bb.124:
	v_add_nc_u32_e32 v73, -1, v0
	v_add_nc_u32_e32 v74, 0x110, v71
	v_mov_b32_e32 v75, v71
	v_mov_b32_e32 v70, 0
	;; [unrolled: 1-line block ×3, first 2 shown]
	s_mov_b32 s5, 0
	.p2align	6
.LBB97_125:                             ; =>This Inner Loop Header: Depth=1
	s_clause 0x1
	buffer_load_dword v79, v75, s[0:3], 0 offen offset:4
	buffer_load_dword v80, v75, s[0:3], 0 offen
	ds_read_b64 v[77:78], v74
	v_add_nc_u32_e32 v73, 1, v73
	v_add_nc_u32_e32 v74, 8, v74
	;; [unrolled: 1-line block ×3, first 2 shown]
	v_cmp_lt_u32_e32 vcc_lo, 26, v73
	s_or_b32 s5, vcc_lo, s5
	s_waitcnt vmcnt(1) lgkmcnt(0)
	v_mul_f32_e32 v81, v78, v79
	v_mul_f32_e32 v79, v77, v79
	s_waitcnt vmcnt(0)
	v_fma_f32 v77, v77, v80, -v81
	v_fmac_f32_e32 v79, v78, v80
	v_add_f32_e32 v76, v76, v77
	v_add_f32_e32 v70, v70, v79
	s_andn2_b32 exec_lo, exec_lo, s5
	s_cbranch_execnz .LBB97_125
; %bb.126:
	s_or_b32 exec_lo, exec_lo, s5
	v_mov_b32_e32 v73, 0
	ds_read_b64 v[73:74], v73 offset:224
	s_waitcnt lgkmcnt(0)
	v_mul_f32_e32 v75, v70, v74
	v_mul_f32_e32 v74, v76, v74
	v_fma_f32 v75, v76, v73, -v75
	v_fmac_f32_e32 v74, v70, v73
	buffer_store_dword v75, off, s[0:3], 0 offset:224
	buffer_store_dword v74, off, s[0:3], 0 offset:228
.LBB97_127:
	s_or_b32 exec_lo, exec_lo, s4
	s_waitcnt_vscnt null, 0x0
	s_barrier
	buffer_gl0_inv
	s_clause 0x1
	buffer_load_dword v73, off, s[0:3], 0 offset:232
	buffer_load_dword v74, off, s[0:3], 0 offset:236
	s_mov_b32 s4, exec_lo
	s_waitcnt vmcnt(0)
	ds_write_b64 v72, v[73:74]
	s_waitcnt lgkmcnt(0)
	s_barrier
	buffer_gl0_inv
	v_cmpx_gt_u32_e32 29, v0
	s_cbranch_execz .LBB97_131
; %bb.128:
	v_add_nc_u32_e32 v73, -1, v0
	v_add_nc_u32_e32 v74, 0x110, v71
	v_mov_b32_e32 v75, v71
	v_mov_b32_e32 v70, 0
	;; [unrolled: 1-line block ×3, first 2 shown]
	s_mov_b32 s5, 0
	.p2align	6
.LBB97_129:                             ; =>This Inner Loop Header: Depth=1
	s_clause 0x1
	buffer_load_dword v79, v75, s[0:3], 0 offen offset:4
	buffer_load_dword v80, v75, s[0:3], 0 offen
	ds_read_b64 v[77:78], v74
	v_add_nc_u32_e32 v73, 1, v73
	v_add_nc_u32_e32 v74, 8, v74
	;; [unrolled: 1-line block ×3, first 2 shown]
	v_cmp_lt_u32_e32 vcc_lo, 27, v73
	s_or_b32 s5, vcc_lo, s5
	s_waitcnt vmcnt(1) lgkmcnt(0)
	v_mul_f32_e32 v81, v78, v79
	v_mul_f32_e32 v79, v77, v79
	s_waitcnt vmcnt(0)
	v_fma_f32 v77, v77, v80, -v81
	v_fmac_f32_e32 v79, v78, v80
	v_add_f32_e32 v76, v76, v77
	v_add_f32_e32 v70, v70, v79
	s_andn2_b32 exec_lo, exec_lo, s5
	s_cbranch_execnz .LBB97_129
; %bb.130:
	s_or_b32 exec_lo, exec_lo, s5
	v_mov_b32_e32 v73, 0
	ds_read_b64 v[73:74], v73 offset:232
	s_waitcnt lgkmcnt(0)
	v_mul_f32_e32 v75, v70, v74
	v_mul_f32_e32 v74, v76, v74
	v_fma_f32 v75, v76, v73, -v75
	v_fmac_f32_e32 v74, v70, v73
	buffer_store_dword v75, off, s[0:3], 0 offset:232
	buffer_store_dword v74, off, s[0:3], 0 offset:236
.LBB97_131:
	s_or_b32 exec_lo, exec_lo, s4
	s_waitcnt_vscnt null, 0x0
	s_barrier
	buffer_gl0_inv
	s_clause 0x1
	buffer_load_dword v73, off, s[0:3], 0 offset:240
	buffer_load_dword v74, off, s[0:3], 0 offset:244
	s_mov_b32 s4, exec_lo
	s_waitcnt vmcnt(0)
	ds_write_b64 v72, v[73:74]
	s_waitcnt lgkmcnt(0)
	s_barrier
	buffer_gl0_inv
	v_cmpx_gt_u32_e32 30, v0
	s_cbranch_execz .LBB97_135
; %bb.132:
	v_add_nc_u32_e32 v73, -1, v0
	v_add_nc_u32_e32 v74, 0x110, v71
	v_mov_b32_e32 v75, v71
	v_mov_b32_e32 v70, 0
	;; [unrolled: 1-line block ×3, first 2 shown]
	s_mov_b32 s5, 0
	.p2align	6
.LBB97_133:                             ; =>This Inner Loop Header: Depth=1
	s_clause 0x1
	buffer_load_dword v79, v75, s[0:3], 0 offen offset:4
	buffer_load_dword v80, v75, s[0:3], 0 offen
	ds_read_b64 v[77:78], v74
	v_add_nc_u32_e32 v73, 1, v73
	v_add_nc_u32_e32 v74, 8, v74
	;; [unrolled: 1-line block ×3, first 2 shown]
	v_cmp_lt_u32_e32 vcc_lo, 28, v73
	s_or_b32 s5, vcc_lo, s5
	s_waitcnt vmcnt(1) lgkmcnt(0)
	v_mul_f32_e32 v81, v78, v79
	v_mul_f32_e32 v79, v77, v79
	s_waitcnt vmcnt(0)
	v_fma_f32 v77, v77, v80, -v81
	v_fmac_f32_e32 v79, v78, v80
	v_add_f32_e32 v76, v76, v77
	v_add_f32_e32 v70, v70, v79
	s_andn2_b32 exec_lo, exec_lo, s5
	s_cbranch_execnz .LBB97_133
; %bb.134:
	s_or_b32 exec_lo, exec_lo, s5
	v_mov_b32_e32 v73, 0
	ds_read_b64 v[73:74], v73 offset:240
	s_waitcnt lgkmcnt(0)
	v_mul_f32_e32 v75, v70, v74
	v_mul_f32_e32 v74, v76, v74
	v_fma_f32 v75, v76, v73, -v75
	v_fmac_f32_e32 v74, v70, v73
	buffer_store_dword v75, off, s[0:3], 0 offset:240
	buffer_store_dword v74, off, s[0:3], 0 offset:244
.LBB97_135:
	s_or_b32 exec_lo, exec_lo, s4
	s_waitcnt_vscnt null, 0x0
	s_barrier
	buffer_gl0_inv
	s_clause 0x1
	buffer_load_dword v73, off, s[0:3], 0 offset:248
	buffer_load_dword v74, off, s[0:3], 0 offset:252
	s_mov_b32 s4, exec_lo
	s_waitcnt vmcnt(0)
	ds_write_b64 v72, v[73:74]
	s_waitcnt lgkmcnt(0)
	s_barrier
	buffer_gl0_inv
	v_cmpx_gt_u32_e32 31, v0
	s_cbranch_execz .LBB97_139
; %bb.136:
	v_add_nc_u32_e32 v73, -1, v0
	v_add_nc_u32_e32 v74, 0x110, v71
	v_mov_b32_e32 v75, v71
	v_mov_b32_e32 v70, 0
	;; [unrolled: 1-line block ×3, first 2 shown]
	s_mov_b32 s5, 0
	.p2align	6
.LBB97_137:                             ; =>This Inner Loop Header: Depth=1
	s_clause 0x1
	buffer_load_dword v79, v75, s[0:3], 0 offen offset:4
	buffer_load_dword v80, v75, s[0:3], 0 offen
	ds_read_b64 v[77:78], v74
	v_add_nc_u32_e32 v73, 1, v73
	v_add_nc_u32_e32 v74, 8, v74
	;; [unrolled: 1-line block ×3, first 2 shown]
	v_cmp_lt_u32_e32 vcc_lo, 29, v73
	s_or_b32 s5, vcc_lo, s5
	s_waitcnt vmcnt(1) lgkmcnt(0)
	v_mul_f32_e32 v81, v78, v79
	v_mul_f32_e32 v79, v77, v79
	s_waitcnt vmcnt(0)
	v_fma_f32 v77, v77, v80, -v81
	v_fmac_f32_e32 v79, v78, v80
	v_add_f32_e32 v76, v76, v77
	v_add_f32_e32 v70, v70, v79
	s_andn2_b32 exec_lo, exec_lo, s5
	s_cbranch_execnz .LBB97_137
; %bb.138:
	s_or_b32 exec_lo, exec_lo, s5
	v_mov_b32_e32 v73, 0
	ds_read_b64 v[73:74], v73 offset:248
	s_waitcnt lgkmcnt(0)
	v_mul_f32_e32 v75, v70, v74
	v_mul_f32_e32 v74, v76, v74
	v_fma_f32 v75, v76, v73, -v75
	v_fmac_f32_e32 v74, v70, v73
	buffer_store_dword v75, off, s[0:3], 0 offset:248
	buffer_store_dword v74, off, s[0:3], 0 offset:252
.LBB97_139:
	s_or_b32 exec_lo, exec_lo, s4
	s_waitcnt_vscnt null, 0x0
	s_barrier
	buffer_gl0_inv
	s_clause 0x1
	buffer_load_dword v73, off, s[0:3], 0 offset:256
	buffer_load_dword v74, off, s[0:3], 0 offset:260
	s_mov_b32 s4, exec_lo
	s_waitcnt vmcnt(0)
	ds_write_b64 v72, v[73:74]
	s_waitcnt lgkmcnt(0)
	s_barrier
	buffer_gl0_inv
	v_cmpx_gt_u32_e32 32, v0
	s_cbranch_execz .LBB97_143
; %bb.140:
	v_add_nc_u32_e32 v73, -1, v0
	v_add_nc_u32_e32 v74, 0x110, v71
	v_mov_b32_e32 v75, v71
	v_mov_b32_e32 v70, 0
	;; [unrolled: 1-line block ×3, first 2 shown]
	s_mov_b32 s5, 0
	.p2align	6
.LBB97_141:                             ; =>This Inner Loop Header: Depth=1
	s_clause 0x1
	buffer_load_dword v79, v75, s[0:3], 0 offen offset:4
	buffer_load_dword v80, v75, s[0:3], 0 offen
	ds_read_b64 v[77:78], v74
	v_add_nc_u32_e32 v73, 1, v73
	v_add_nc_u32_e32 v74, 8, v74
	;; [unrolled: 1-line block ×3, first 2 shown]
	v_cmp_lt_u32_e32 vcc_lo, 30, v73
	s_or_b32 s5, vcc_lo, s5
	s_waitcnt vmcnt(1) lgkmcnt(0)
	v_mul_f32_e32 v81, v78, v79
	v_mul_f32_e32 v79, v77, v79
	s_waitcnt vmcnt(0)
	v_fma_f32 v77, v77, v80, -v81
	v_fmac_f32_e32 v79, v78, v80
	v_add_f32_e32 v76, v76, v77
	v_add_f32_e32 v70, v70, v79
	s_andn2_b32 exec_lo, exec_lo, s5
	s_cbranch_execnz .LBB97_141
; %bb.142:
	s_or_b32 exec_lo, exec_lo, s5
	v_mov_b32_e32 v73, 0
	ds_read_b64 v[73:74], v73 offset:256
	s_waitcnt lgkmcnt(0)
	v_mul_f32_e32 v75, v70, v74
	v_mul_f32_e32 v74, v76, v74
	v_fma_f32 v75, v76, v73, -v75
	v_fmac_f32_e32 v74, v70, v73
	buffer_store_dword v75, off, s[0:3], 0 offset:256
	buffer_store_dword v74, off, s[0:3], 0 offset:260
.LBB97_143:
	s_or_b32 exec_lo, exec_lo, s4
	s_waitcnt_vscnt null, 0x0
	s_barrier
	buffer_gl0_inv
	s_clause 0x1
	buffer_load_dword v73, off, s[0:3], 0 offset:264
	buffer_load_dword v74, off, s[0:3], 0 offset:268
	s_mov_b32 s4, exec_lo
	s_waitcnt vmcnt(0)
	ds_write_b64 v72, v[73:74]
	s_waitcnt lgkmcnt(0)
	s_barrier
	buffer_gl0_inv
	v_cmpx_ne_u32_e32 33, v0
	s_cbranch_execz .LBB97_147
; %bb.144:
	v_mov_b32_e32 v70, 0
	v_mov_b32_e32 v73, 0
	s_mov_b32 s5, 0
	.p2align	6
.LBB97_145:                             ; =>This Inner Loop Header: Depth=1
	s_clause 0x1
	buffer_load_dword v76, v71, s[0:3], 0 offen offset:4
	buffer_load_dword v77, v71, s[0:3], 0 offen
	ds_read_b64 v[74:75], v72
	v_add_nc_u32_e32 v69, 1, v69
	v_add_nc_u32_e32 v72, 8, v72
	;; [unrolled: 1-line block ×3, first 2 shown]
	v_cmp_lt_u32_e32 vcc_lo, 31, v69
	s_or_b32 s5, vcc_lo, s5
	s_waitcnt vmcnt(1) lgkmcnt(0)
	v_mul_f32_e32 v78, v75, v76
	v_mul_f32_e32 v76, v74, v76
	s_waitcnt vmcnt(0)
	v_fma_f32 v74, v74, v77, -v78
	v_fmac_f32_e32 v76, v75, v77
	v_add_f32_e32 v73, v73, v74
	v_add_f32_e32 v70, v70, v76
	s_andn2_b32 exec_lo, exec_lo, s5
	s_cbranch_execnz .LBB97_145
; %bb.146:
	s_or_b32 exec_lo, exec_lo, s5
	v_mov_b32_e32 v69, 0
	ds_read_b64 v[71:72], v69 offset:264
	s_waitcnt lgkmcnt(0)
	v_mul_f32_e32 v69, v70, v72
	v_mul_f32_e32 v72, v73, v72
	v_fma_f32 v69, v73, v71, -v69
	v_fmac_f32_e32 v72, v70, v71
	buffer_store_dword v69, off, s[0:3], 0 offset:264
	buffer_store_dword v72, off, s[0:3], 0 offset:268
.LBB97_147:
	s_or_b32 exec_lo, exec_lo, s4
	s_mov_b32 s5, -1
	s_waitcnt_vscnt null, 0x0
	s_barrier
	buffer_gl0_inv
.LBB97_148:
	s_and_b32 vcc_lo, exec_lo, s5
	s_cbranch_vccz .LBB97_150
; %bb.149:
	s_lshl_b64 s[4:5], s[6:7], 2
	v_mov_b32_e32 v69, 0
	s_add_u32 s4, s10, s4
	s_addc_u32 s5, s11, s5
	global_load_dword v69, v69, s[4:5]
	s_waitcnt vmcnt(0)
	v_cmp_ne_u32_e32 vcc_lo, 0, v69
	s_cbranch_vccz .LBB97_151
.LBB97_150:
	s_endpgm
.LBB97_151:
	v_lshl_add_u32 v69, v0, 3, 0x110
	s_mov_b32 s4, exec_lo
	v_cmpx_eq_u32_e32 33, v0
	s_cbranch_execz .LBB97_153
; %bb.152:
	s_clause 0x1
	buffer_load_dword v70, off, s[0:3], 0 offset:256
	buffer_load_dword v71, off, s[0:3], 0 offset:260
	v_mov_b32_e32 v72, 0
	buffer_store_dword v72, off, s[0:3], 0 offset:256
	buffer_store_dword v72, off, s[0:3], 0 offset:260
	s_waitcnt vmcnt(0)
	ds_write_b64 v69, v[70:71]
.LBB97_153:
	s_or_b32 exec_lo, exec_lo, s4
	s_waitcnt lgkmcnt(0)
	s_waitcnt_vscnt null, 0x0
	s_barrier
	buffer_gl0_inv
	s_clause 0x3
	buffer_load_dword v73, off, s[0:3], 0 offset:268
	buffer_load_dword v74, off, s[0:3], 0 offset:264
	;; [unrolled: 1-line block ×4, first 2 shown]
	v_mov_b32_e32 v70, 0
	s_mov_b32 s4, exec_lo
	ds_read_b64 v[71:72], v70 offset:536
	s_waitcnt vmcnt(3) lgkmcnt(0)
	v_mul_f32_e32 v77, v72, v73
	v_mul_f32_e32 v73, v71, v73
	s_waitcnt vmcnt(2)
	v_fma_f32 v71, v71, v74, -v77
	v_fmac_f32_e32 v73, v72, v74
	v_add_f32_e32 v71, 0, v71
	v_add_f32_e32 v72, 0, v73
	s_waitcnt vmcnt(1)
	v_sub_f32_e32 v71, v75, v71
	s_waitcnt vmcnt(0)
	v_sub_f32_e32 v72, v76, v72
	buffer_store_dword v71, off, s[0:3], 0 offset:256
	buffer_store_dword v72, off, s[0:3], 0 offset:260
	v_cmpx_lt_u32_e32 31, v0
	s_cbranch_execz .LBB97_155
; %bb.154:
	s_clause 0x1
	buffer_load_dword v71, off, s[0:3], 0 offset:248
	buffer_load_dword v72, off, s[0:3], 0 offset:252
	buffer_store_dword v70, off, s[0:3], 0 offset:248
	buffer_store_dword v70, off, s[0:3], 0 offset:252
	s_waitcnt vmcnt(0)
	ds_write_b64 v69, v[71:72]
.LBB97_155:
	s_or_b32 exec_lo, exec_lo, s4
	s_waitcnt lgkmcnt(0)
	s_waitcnt_vscnt null, 0x0
	s_barrier
	buffer_gl0_inv
	s_clause 0x5
	buffer_load_dword v74, off, s[0:3], 0 offset:260
	buffer_load_dword v75, off, s[0:3], 0 offset:268
	;; [unrolled: 1-line block ×6, first 2 shown]
	ds_read_b128 v[70:73], v70 offset:528
	s_mov_b32 s4, exec_lo
	s_waitcnt vmcnt(5) lgkmcnt(0)
	v_mul_f32_e32 v80, v71, v74
	v_mul_f32_e32 v74, v70, v74
	s_waitcnt vmcnt(4)
	v_mul_f32_e32 v81, v72, v75
	v_mul_f32_e32 v75, v73, v75
	s_waitcnt vmcnt(3)
	v_fma_f32 v70, v70, v76, -v80
	v_fmac_f32_e32 v74, v71, v76
	s_waitcnt vmcnt(2)
	v_fmac_f32_e32 v81, v73, v77
	v_fma_f32 v71, v72, v77, -v75
	v_add_f32_e32 v70, 0, v70
	v_add_f32_e32 v72, 0, v74
	;; [unrolled: 1-line block ×4, first 2 shown]
	s_waitcnt vmcnt(1)
	v_sub_f32_e32 v70, v78, v70
	s_waitcnt vmcnt(0)
	v_sub_f32_e32 v71, v79, v71
	buffer_store_dword v70, off, s[0:3], 0 offset:248
	buffer_store_dword v71, off, s[0:3], 0 offset:252
	v_cmpx_lt_u32_e32 30, v0
	s_cbranch_execz .LBB97_157
; %bb.156:
	s_clause 0x1
	buffer_load_dword v70, off, s[0:3], 0 offset:240
	buffer_load_dword v71, off, s[0:3], 0 offset:244
	v_mov_b32_e32 v72, 0
	buffer_store_dword v72, off, s[0:3], 0 offset:240
	buffer_store_dword v72, off, s[0:3], 0 offset:244
	s_waitcnt vmcnt(0)
	ds_write_b64 v69, v[70:71]
.LBB97_157:
	s_or_b32 exec_lo, exec_lo, s4
	s_waitcnt lgkmcnt(0)
	s_waitcnt_vscnt null, 0x0
	s_barrier
	buffer_gl0_inv
	s_clause 0x7
	buffer_load_dword v77, off, s[0:3], 0 offset:252
	buffer_load_dword v78, off, s[0:3], 0 offset:260
	;; [unrolled: 1-line block ×8, first 2 shown]
	v_mov_b32_e32 v70, 0
	ds_read2_b64 v[71:74], v70 offset0:65 offset1:66
	ds_read_b64 v[75:76], v70 offset:536
	s_mov_b32 s4, exec_lo
	s_waitcnt vmcnt(7) lgkmcnt(1)
	v_mul_f32_e32 v85, v72, v77
	v_mul_f32_e32 v77, v71, v77
	s_waitcnt vmcnt(6)
	v_mul_f32_e32 v86, v73, v78
	v_mul_f32_e32 v78, v74, v78
	s_waitcnt vmcnt(5) lgkmcnt(0)
	v_mul_f32_e32 v87, v75, v79
	s_waitcnt vmcnt(4)
	v_fma_f32 v71, v71, v80, -v85
	v_fmac_f32_e32 v77, v72, v80
	v_mul_f32_e32 v72, v76, v79
	s_waitcnt vmcnt(3)
	v_fma_f32 v73, v73, v81, -v78
	v_fmac_f32_e32 v86, v74, v81
	v_add_f32_e32 v71, 0, v71
	v_add_f32_e32 v74, 0, v77
	s_waitcnt vmcnt(2)
	v_fma_f32 v72, v75, v82, -v72
	v_fmac_f32_e32 v87, v76, v82
	v_add_f32_e32 v71, v71, v73
	v_add_f32_e32 v73, v74, v86
	;; [unrolled: 1-line block ×4, first 2 shown]
	s_waitcnt vmcnt(1)
	v_sub_f32_e32 v71, v83, v71
	s_waitcnt vmcnt(0)
	v_sub_f32_e32 v72, v84, v72
	buffer_store_dword v71, off, s[0:3], 0 offset:240
	buffer_store_dword v72, off, s[0:3], 0 offset:244
	v_cmpx_lt_u32_e32 29, v0
	s_cbranch_execz .LBB97_159
; %bb.158:
	s_clause 0x1
	buffer_load_dword v71, off, s[0:3], 0 offset:232
	buffer_load_dword v72, off, s[0:3], 0 offset:236
	buffer_store_dword v70, off, s[0:3], 0 offset:232
	buffer_store_dword v70, off, s[0:3], 0 offset:236
	s_waitcnt vmcnt(0)
	ds_write_b64 v69, v[71:72]
.LBB97_159:
	s_or_b32 exec_lo, exec_lo, s4
	s_waitcnt lgkmcnt(0)
	s_waitcnt_vscnt null, 0x0
	s_barrier
	buffer_gl0_inv
	s_clause 0x9
	buffer_load_dword v79, off, s[0:3], 0 offset:244
	buffer_load_dword v80, off, s[0:3], 0 offset:252
	;; [unrolled: 1-line block ×10, first 2 shown]
	ds_read_b128 v[71:74], v70 offset:512
	ds_read_b128 v[75:78], v70 offset:528
	s_mov_b32 s4, exec_lo
	s_waitcnt vmcnt(9) lgkmcnt(1)
	v_mul_f32_e32 v70, v71, v79
	v_mul_f32_e32 v79, v72, v79
	s_waitcnt vmcnt(8)
	v_mul_f32_e32 v89, v73, v80
	v_mul_f32_e32 v80, v74, v80
	s_waitcnt vmcnt(7) lgkmcnt(0)
	v_mul_f32_e32 v90, v75, v81
	s_waitcnt vmcnt(5)
	v_fmac_f32_e32 v70, v72, v83
	v_fma_f32 v71, v71, v83, -v79
	v_mul_f32_e32 v72, v76, v81
	s_waitcnt vmcnt(4)
	v_fma_f32 v73, v73, v84, -v80
	v_fmac_f32_e32 v89, v74, v84
	v_add_f32_e32 v70, 0, v70
	v_add_f32_e32 v71, 0, v71
	v_mul_f32_e32 v74, v78, v82
	s_waitcnt vmcnt(3)
	v_fma_f32 v72, v75, v85, -v72
	v_mul_f32_e32 v91, v77, v82
	v_fmac_f32_e32 v90, v76, v85
	v_add_f32_e32 v71, v71, v73
	v_add_f32_e32 v70, v70, v89
	s_waitcnt vmcnt(2)
	v_fma_f32 v73, v77, v86, -v74
	v_fmac_f32_e32 v91, v78, v86
	v_add_f32_e32 v71, v71, v72
	v_add_f32_e32 v70, v70, v90
	;; [unrolled: 1-line block ×4, first 2 shown]
	s_waitcnt vmcnt(1)
	v_sub_f32_e32 v71, v87, v71
	s_waitcnt vmcnt(0)
	v_sub_f32_e32 v70, v88, v70
	buffer_store_dword v71, off, s[0:3], 0 offset:232
	buffer_store_dword v70, off, s[0:3], 0 offset:236
	v_cmpx_lt_u32_e32 28, v0
	s_cbranch_execz .LBB97_161
; %bb.160:
	s_clause 0x1
	buffer_load_dword v70, off, s[0:3], 0 offset:224
	buffer_load_dword v71, off, s[0:3], 0 offset:228
	v_mov_b32_e32 v72, 0
	buffer_store_dword v72, off, s[0:3], 0 offset:224
	buffer_store_dword v72, off, s[0:3], 0 offset:228
	s_waitcnt vmcnt(0)
	ds_write_b64 v69, v[70:71]
.LBB97_161:
	s_or_b32 exec_lo, exec_lo, s4
	s_waitcnt lgkmcnt(0)
	s_waitcnt_vscnt null, 0x0
	s_barrier
	buffer_gl0_inv
	s_clause 0xb
	buffer_load_dword v81, off, s[0:3], 0 offset:236
	buffer_load_dword v82, off, s[0:3], 0 offset:244
	;; [unrolled: 1-line block ×12, first 2 shown]
	v_mov_b32_e32 v70, 0
	ds_read2_b64 v[71:74], v70 offset0:63 offset1:64
	ds_read2_b64 v[75:78], v70 offset0:65 offset1:66
	ds_read_b64 v[79:80], v70 offset:536
	s_mov_b32 s4, exec_lo
	s_waitcnt vmcnt(11) lgkmcnt(2)
	v_mul_f32_e32 v93, v71, v81
	v_mul_f32_e32 v81, v72, v81
	s_waitcnt vmcnt(10)
	v_mul_f32_e32 v94, v73, v82
	v_mul_f32_e32 v82, v74, v82
	s_waitcnt vmcnt(9) lgkmcnt(1)
	v_mul_f32_e32 v95, v75, v83
	s_waitcnt vmcnt(6)
	v_fmac_f32_e32 v93, v72, v86
	v_fma_f32 v71, v71, v86, -v81
	v_mul_f32_e32 v72, v76, v83
	s_waitcnt vmcnt(5)
	v_fma_f32 v73, v73, v87, -v82
	v_fmac_f32_e32 v94, v74, v87
	v_add_f32_e32 v74, 0, v93
	v_add_f32_e32 v71, 0, v71
	v_mul_f32_e32 v81, v78, v84
	s_waitcnt vmcnt(4)
	v_fma_f32 v72, v75, v88, -v72
	v_mul_f32_e32 v96, v77, v84
	v_fmac_f32_e32 v95, v76, v88
	v_add_f32_e32 v71, v71, v73
	v_add_f32_e32 v73, v74, v94
	s_waitcnt lgkmcnt(0)
	v_mul_f32_e32 v74, v80, v85
	s_waitcnt vmcnt(3)
	v_fma_f32 v75, v77, v89, -v81
	v_mul_f32_e32 v97, v79, v85
	v_add_f32_e32 v71, v71, v72
	v_fmac_f32_e32 v96, v78, v89
	v_add_f32_e32 v72, v73, v95
	s_waitcnt vmcnt(2)
	v_fma_f32 v73, v79, v90, -v74
	v_fmac_f32_e32 v97, v80, v90
	v_add_f32_e32 v71, v71, v75
	v_add_f32_e32 v72, v72, v96
	;; [unrolled: 1-line block ×4, first 2 shown]
	s_waitcnt vmcnt(1)
	v_sub_f32_e32 v71, v91, v71
	s_waitcnt vmcnt(0)
	v_sub_f32_e32 v72, v92, v72
	buffer_store_dword v71, off, s[0:3], 0 offset:224
	buffer_store_dword v72, off, s[0:3], 0 offset:228
	v_cmpx_lt_u32_e32 27, v0
	s_cbranch_execz .LBB97_163
; %bb.162:
	s_clause 0x1
	buffer_load_dword v71, off, s[0:3], 0 offset:216
	buffer_load_dword v72, off, s[0:3], 0 offset:220
	buffer_store_dword v70, off, s[0:3], 0 offset:216
	buffer_store_dword v70, off, s[0:3], 0 offset:220
	s_waitcnt vmcnt(0)
	ds_write_b64 v69, v[71:72]
.LBB97_163:
	s_or_b32 exec_lo, exec_lo, s4
	s_waitcnt lgkmcnt(0)
	s_waitcnt_vscnt null, 0x0
	s_barrier
	buffer_gl0_inv
	s_clause 0xd
	buffer_load_dword v83, off, s[0:3], 0 offset:228
	buffer_load_dword v84, off, s[0:3], 0 offset:236
	;; [unrolled: 1-line block ×14, first 2 shown]
	ds_read_b128 v[71:74], v70 offset:496
	ds_read_b128 v[75:78], v70 offset:512
	;; [unrolled: 1-line block ×3, first 2 shown]
	s_mov_b32 s4, exec_lo
	s_waitcnt vmcnt(13) lgkmcnt(2)
	v_mul_f32_e32 v70, v71, v83
	v_mul_f32_e32 v83, v72, v83
	s_waitcnt vmcnt(12)
	v_mul_f32_e32 v97, v73, v84
	v_mul_f32_e32 v84, v74, v84
	s_waitcnt vmcnt(11) lgkmcnt(1)
	v_mul_f32_e32 v98, v75, v85
	s_waitcnt vmcnt(10)
	v_mul_f32_e32 v99, v77, v86
	s_waitcnt vmcnt(7)
	v_fma_f32 v71, v71, v89, -v83
	v_fmac_f32_e32 v70, v72, v89
	v_mul_f32_e32 v72, v76, v85
	s_waitcnt vmcnt(6)
	v_fma_f32 v73, v73, v90, -v84
	v_fmac_f32_e32 v97, v74, v90
	v_add_f32_e32 v71, 0, v71
	v_add_f32_e32 v70, 0, v70
	v_mul_f32_e32 v74, v78, v86
	s_waitcnt vmcnt(5)
	v_fma_f32 v72, v75, v91, -v72
	v_fmac_f32_e32 v98, v76, v91
	v_add_f32_e32 v71, v71, v73
	v_add_f32_e32 v70, v70, v97
	s_waitcnt lgkmcnt(0)
	v_mul_f32_e32 v73, v80, v87
	s_waitcnt vmcnt(4)
	v_fma_f32 v74, v77, v92, -v74
	v_mul_f32_e32 v100, v79, v87
	v_add_f32_e32 v71, v71, v72
	v_fmac_f32_e32 v99, v78, v92
	v_add_f32_e32 v70, v70, v98
	v_mul_f32_e32 v72, v82, v88
	s_waitcnt vmcnt(3)
	v_fma_f32 v73, v79, v93, -v73
	v_add_f32_e32 v71, v71, v74
	v_mul_f32_e32 v101, v81, v88
	v_fmac_f32_e32 v100, v80, v93
	v_add_f32_e32 v70, v70, v99
	s_waitcnt vmcnt(2)
	v_fma_f32 v72, v81, v94, -v72
	v_add_f32_e32 v71, v71, v73
	v_fmac_f32_e32 v101, v82, v94
	v_add_f32_e32 v70, v70, v100
	v_add_f32_e32 v71, v71, v72
	;; [unrolled: 1-line block ×3, first 2 shown]
	s_waitcnt vmcnt(1)
	v_sub_f32_e32 v71, v95, v71
	s_waitcnt vmcnt(0)
	v_sub_f32_e32 v70, v96, v70
	buffer_store_dword v71, off, s[0:3], 0 offset:216
	buffer_store_dword v70, off, s[0:3], 0 offset:220
	v_cmpx_lt_u32_e32 26, v0
	s_cbranch_execz .LBB97_165
; %bb.164:
	s_clause 0x1
	buffer_load_dword v70, off, s[0:3], 0 offset:208
	buffer_load_dword v71, off, s[0:3], 0 offset:212
	v_mov_b32_e32 v72, 0
	buffer_store_dword v72, off, s[0:3], 0 offset:208
	buffer_store_dword v72, off, s[0:3], 0 offset:212
	s_waitcnt vmcnt(0)
	ds_write_b64 v69, v[70:71]
.LBB97_165:
	s_or_b32 exec_lo, exec_lo, s4
	s_waitcnt lgkmcnt(0)
	s_waitcnt_vscnt null, 0x0
	s_barrier
	buffer_gl0_inv
	s_clause 0xf
	buffer_load_dword v85, off, s[0:3], 0 offset:220
	buffer_load_dword v86, off, s[0:3], 0 offset:228
	;; [unrolled: 1-line block ×16, first 2 shown]
	v_mov_b32_e32 v70, 0
	ds_read2_b64 v[71:74], v70 offset0:61 offset1:62
	ds_read2_b64 v[75:78], v70 offset0:63 offset1:64
	ds_read2_b64 v[79:82], v70 offset0:65 offset1:66
	ds_read_b64 v[83:84], v70 offset:536
	s_mov_b32 s4, exec_lo
	s_waitcnt vmcnt(15) lgkmcnt(3)
	v_mul_f32_e32 v101, v71, v85
	v_mul_f32_e32 v85, v72, v85
	s_waitcnt vmcnt(14)
	v_mul_f32_e32 v102, v73, v86
	v_mul_f32_e32 v86, v74, v86
	s_waitcnt vmcnt(13) lgkmcnt(2)
	v_mul_f32_e32 v103, v75, v87
	s_waitcnt vmcnt(12)
	v_mul_f32_e32 v104, v77, v88
	s_waitcnt vmcnt(11) lgkmcnt(1)
	v_mul_f32_e32 v105, v79, v89
	s_waitcnt vmcnt(8)
	v_fma_f32 v71, v71, v92, -v85
	v_fmac_f32_e32 v101, v72, v92
	v_mul_f32_e32 v72, v76, v87
	s_waitcnt vmcnt(7)
	v_fma_f32 v73, v73, v93, -v86
	v_fmac_f32_e32 v102, v74, v93
	v_add_f32_e32 v71, 0, v71
	v_add_f32_e32 v74, 0, v101
	v_mul_f32_e32 v85, v78, v88
	s_waitcnt vmcnt(6)
	v_fma_f32 v72, v75, v94, -v72
	v_fmac_f32_e32 v103, v76, v94
	v_add_f32_e32 v71, v71, v73
	v_add_f32_e32 v73, v74, v102
	;; [unrolled: 6-line block ×3, first 2 shown]
	v_mul_f32_e32 v73, v82, v90
	s_waitcnt vmcnt(4)
	v_fma_f32 v74, v79, v96, -v74
	v_mul_f32_e32 v106, v81, v90
	v_add_f32_e32 v71, v71, v75
	v_fmac_f32_e32 v105, v80, v96
	v_add_f32_e32 v72, v72, v104
	s_waitcnt lgkmcnt(0)
	v_mul_f32_e32 v75, v84, v91
	s_waitcnt vmcnt(3)
	v_fma_f32 v73, v81, v97, -v73
	v_add_f32_e32 v71, v71, v74
	v_mul_f32_e32 v107, v83, v91
	v_fmac_f32_e32 v106, v82, v97
	v_add_f32_e32 v72, v72, v105
	s_waitcnt vmcnt(2)
	v_fma_f32 v74, v83, v98, -v75
	v_add_f32_e32 v71, v71, v73
	v_fmac_f32_e32 v107, v84, v98
	v_add_f32_e32 v72, v72, v106
	v_add_f32_e32 v71, v71, v74
	;; [unrolled: 1-line block ×3, first 2 shown]
	s_waitcnt vmcnt(1)
	v_sub_f32_e32 v71, v99, v71
	s_waitcnt vmcnt(0)
	v_sub_f32_e32 v72, v100, v72
	buffer_store_dword v71, off, s[0:3], 0 offset:208
	buffer_store_dword v72, off, s[0:3], 0 offset:212
	v_cmpx_lt_u32_e32 25, v0
	s_cbranch_execz .LBB97_167
; %bb.166:
	s_clause 0x1
	buffer_load_dword v71, off, s[0:3], 0 offset:200
	buffer_load_dword v72, off, s[0:3], 0 offset:204
	buffer_store_dword v70, off, s[0:3], 0 offset:200
	buffer_store_dword v70, off, s[0:3], 0 offset:204
	s_waitcnt vmcnt(0)
	ds_write_b64 v69, v[71:72]
.LBB97_167:
	s_or_b32 exec_lo, exec_lo, s4
	s_waitcnt lgkmcnt(0)
	s_waitcnt_vscnt null, 0x0
	s_barrier
	buffer_gl0_inv
	s_clause 0x11
	buffer_load_dword v87, off, s[0:3], 0 offset:212
	buffer_load_dword v88, off, s[0:3], 0 offset:220
	;; [unrolled: 1-line block ×18, first 2 shown]
	ds_read_b128 v[71:74], v70 offset:480
	ds_read_b128 v[75:78], v70 offset:496
	;; [unrolled: 1-line block ×4, first 2 shown]
	s_mov_b32 s4, exec_lo
	s_waitcnt vmcnt(17) lgkmcnt(3)
	v_mul_f32_e32 v70, v71, v87
	v_mul_f32_e32 v87, v72, v87
	s_waitcnt vmcnt(16)
	v_mul_f32_e32 v105, v73, v88
	v_mul_f32_e32 v88, v74, v88
	s_waitcnt vmcnt(15) lgkmcnt(2)
	v_mul_f32_e32 v106, v75, v89
	s_waitcnt vmcnt(14)
	v_mul_f32_e32 v107, v77, v90
	s_waitcnt vmcnt(13) lgkmcnt(1)
	v_mul_f32_e32 v108, v79, v91
	s_waitcnt vmcnt(12)
	v_mul_f32_e32 v109, v81, v92
	s_waitcnt vmcnt(9)
	v_fma_f32 v71, v71, v95, -v87
	v_fmac_f32_e32 v70, v72, v95
	v_mul_f32_e32 v72, v76, v89
	s_waitcnt vmcnt(8)
	v_fma_f32 v73, v73, v96, -v88
	v_fmac_f32_e32 v105, v74, v96
	v_add_f32_e32 v71, 0, v71
	v_add_f32_e32 v70, 0, v70
	v_mul_f32_e32 v74, v78, v90
	s_waitcnt vmcnt(7)
	v_fma_f32 v72, v75, v97, -v72
	v_fmac_f32_e32 v106, v76, v97
	v_add_f32_e32 v71, v71, v73
	v_add_f32_e32 v70, v70, v105
	;; [unrolled: 6-line block ×4, first 2 shown]
	s_waitcnt lgkmcnt(0)
	v_mul_f32_e32 v74, v84, v93
	s_waitcnt vmcnt(4)
	v_fma_f32 v72, v81, v100, -v72
	v_mul_f32_e32 v110, v83, v93
	v_add_f32_e32 v71, v71, v73
	v_fmac_f32_e32 v109, v82, v100
	v_add_f32_e32 v70, v70, v108
	v_mul_f32_e32 v73, v86, v94
	s_waitcnt vmcnt(3)
	v_fma_f32 v74, v83, v101, -v74
	v_add_f32_e32 v71, v71, v72
	v_mul_f32_e32 v111, v85, v94
	v_fmac_f32_e32 v110, v84, v101
	v_add_f32_e32 v70, v70, v109
	s_waitcnt vmcnt(2)
	v_fma_f32 v72, v85, v102, -v73
	v_add_f32_e32 v71, v71, v74
	v_fmac_f32_e32 v111, v86, v102
	v_add_f32_e32 v70, v70, v110
	v_add_f32_e32 v71, v71, v72
	;; [unrolled: 1-line block ×3, first 2 shown]
	s_waitcnt vmcnt(1)
	v_sub_f32_e32 v71, v103, v71
	s_waitcnt vmcnt(0)
	v_sub_f32_e32 v70, v104, v70
	buffer_store_dword v71, off, s[0:3], 0 offset:200
	buffer_store_dword v70, off, s[0:3], 0 offset:204
	v_cmpx_lt_u32_e32 24, v0
	s_cbranch_execz .LBB97_169
; %bb.168:
	s_clause 0x1
	buffer_load_dword v70, off, s[0:3], 0 offset:192
	buffer_load_dword v71, off, s[0:3], 0 offset:196
	v_mov_b32_e32 v72, 0
	buffer_store_dword v72, off, s[0:3], 0 offset:192
	buffer_store_dword v72, off, s[0:3], 0 offset:196
	s_waitcnt vmcnt(0)
	ds_write_b64 v69, v[70:71]
.LBB97_169:
	s_or_b32 exec_lo, exec_lo, s4
	s_waitcnt lgkmcnt(0)
	s_waitcnt_vscnt null, 0x0
	s_barrier
	buffer_gl0_inv
	s_clause 0x13
	buffer_load_dword v89, off, s[0:3], 0 offset:204
	buffer_load_dword v90, off, s[0:3], 0 offset:212
	;; [unrolled: 1-line block ×20, first 2 shown]
	v_mov_b32_e32 v70, 0
	ds_read2_b64 v[71:74], v70 offset0:59 offset1:60
	ds_read2_b64 v[75:78], v70 offset0:61 offset1:62
	ds_read2_b64 v[79:82], v70 offset0:63 offset1:64
	ds_read2_b64 v[83:86], v70 offset0:65 offset1:66
	ds_read_b64 v[87:88], v70 offset:536
	s_mov_b32 s4, exec_lo
	s_waitcnt vmcnt(19) lgkmcnt(4)
	v_mul_f32_e32 v109, v71, v89
	v_mul_f32_e32 v89, v72, v89
	s_waitcnt vmcnt(18)
	v_mul_f32_e32 v110, v73, v90
	v_mul_f32_e32 v90, v74, v90
	s_waitcnt vmcnt(17) lgkmcnt(3)
	v_mul_f32_e32 v111, v75, v91
	s_waitcnt vmcnt(16)
	v_mul_f32_e32 v112, v77, v92
	s_waitcnt vmcnt(15) lgkmcnt(2)
	v_mul_f32_e32 v113, v79, v93
	s_waitcnt vmcnt(14)
	;; [unrolled: 4-line block ×3, first 2 shown]
	v_fma_f32 v71, v71, v98, -v89
	v_fmac_f32_e32 v109, v72, v98
	v_mul_f32_e32 v72, v76, v91
	s_waitcnt vmcnt(9)
	v_fma_f32 v73, v73, v99, -v90
	v_fmac_f32_e32 v110, v74, v99
	v_add_f32_e32 v71, 0, v71
	v_add_f32_e32 v74, 0, v109
	v_mul_f32_e32 v89, v78, v92
	s_waitcnt vmcnt(8)
	v_fma_f32 v72, v75, v100, -v72
	v_fmac_f32_e32 v111, v76, v100
	v_add_f32_e32 v71, v71, v73
	v_add_f32_e32 v73, v74, v110
	;; [unrolled: 6-line block ×5, first 2 shown]
	v_mul_f32_e32 v74, v86, v96
	s_waitcnt vmcnt(4)
	v_fma_f32 v75, v83, v104, -v75
	v_mul_f32_e32 v116, v85, v96
	v_add_f32_e32 v71, v71, v73
	v_fmac_f32_e32 v115, v84, v104
	v_add_f32_e32 v72, v72, v114
	s_waitcnt lgkmcnt(0)
	v_mul_f32_e32 v73, v88, v97
	s_waitcnt vmcnt(3)
	v_fma_f32 v74, v85, v105, -v74
	v_add_f32_e32 v71, v71, v75
	v_mul_f32_e32 v117, v87, v97
	v_fmac_f32_e32 v116, v86, v105
	v_add_f32_e32 v72, v72, v115
	s_waitcnt vmcnt(2)
	v_fma_f32 v73, v87, v106, -v73
	v_add_f32_e32 v71, v71, v74
	v_fmac_f32_e32 v117, v88, v106
	v_add_f32_e32 v72, v72, v116
	v_add_f32_e32 v71, v71, v73
	;; [unrolled: 1-line block ×3, first 2 shown]
	s_waitcnt vmcnt(1)
	v_sub_f32_e32 v71, v107, v71
	s_waitcnt vmcnt(0)
	v_sub_f32_e32 v72, v108, v72
	buffer_store_dword v71, off, s[0:3], 0 offset:192
	buffer_store_dword v72, off, s[0:3], 0 offset:196
	v_cmpx_lt_u32_e32 23, v0
	s_cbranch_execz .LBB97_171
; %bb.170:
	s_clause 0x1
	buffer_load_dword v71, off, s[0:3], 0 offset:184
	buffer_load_dword v72, off, s[0:3], 0 offset:188
	buffer_store_dword v70, off, s[0:3], 0 offset:184
	buffer_store_dword v70, off, s[0:3], 0 offset:188
	s_waitcnt vmcnt(0)
	ds_write_b64 v69, v[71:72]
.LBB97_171:
	s_or_b32 exec_lo, exec_lo, s4
	s_waitcnt lgkmcnt(0)
	s_waitcnt_vscnt null, 0x0
	s_barrier
	buffer_gl0_inv
	s_clause 0x15
	buffer_load_dword v91, off, s[0:3], 0 offset:196
	buffer_load_dword v92, off, s[0:3], 0 offset:204
	buffer_load_dword v93, off, s[0:3], 0 offset:212
	buffer_load_dword v94, off, s[0:3], 0 offset:220
	buffer_load_dword v95, off, s[0:3], 0 offset:228
	buffer_load_dword v96, off, s[0:3], 0 offset:236
	buffer_load_dword v97, off, s[0:3], 0 offset:244
	buffer_load_dword v98, off, s[0:3], 0 offset:252
	buffer_load_dword v99, off, s[0:3], 0 offset:260
	buffer_load_dword v100, off, s[0:3], 0 offset:268
	buffer_load_dword v101, off, s[0:3], 0 offset:192
	buffer_load_dword v102, off, s[0:3], 0 offset:200
	buffer_load_dword v103, off, s[0:3], 0 offset:208
	buffer_load_dword v104, off, s[0:3], 0 offset:216
	buffer_load_dword v105, off, s[0:3], 0 offset:224
	buffer_load_dword v106, off, s[0:3], 0 offset:232
	buffer_load_dword v107, off, s[0:3], 0 offset:240
	buffer_load_dword v108, off, s[0:3], 0 offset:248
	buffer_load_dword v109, off, s[0:3], 0 offset:256
	buffer_load_dword v110, off, s[0:3], 0 offset:264
	buffer_load_dword v111, off, s[0:3], 0 offset:184
	buffer_load_dword v112, off, s[0:3], 0 offset:188
	ds_read_b128 v[71:74], v70 offset:464
	ds_read_b128 v[75:78], v70 offset:480
	;; [unrolled: 1-line block ×5, first 2 shown]
	s_mov_b32 s4, exec_lo
	s_waitcnt vmcnt(21) lgkmcnt(4)
	v_mul_f32_e32 v70, v71, v91
	v_mul_f32_e32 v91, v72, v91
	s_waitcnt vmcnt(20)
	v_mul_f32_e32 v113, v73, v92
	v_mul_f32_e32 v92, v74, v92
	s_waitcnt vmcnt(19) lgkmcnt(3)
	v_mul_f32_e32 v114, v75, v93
	s_waitcnt vmcnt(18)
	v_mul_f32_e32 v115, v77, v94
	s_waitcnt vmcnt(17) lgkmcnt(2)
	v_mul_f32_e32 v116, v79, v95
	s_waitcnt vmcnt(16)
	;; [unrolled: 4-line block ×3, first 2 shown]
	v_mul_f32_e32 v119, v85, v98
	s_waitcnt vmcnt(11)
	v_fma_f32 v71, v71, v101, -v91
	v_fmac_f32_e32 v70, v72, v101
	v_mul_f32_e32 v72, v76, v93
	s_waitcnt vmcnt(10)
	v_fma_f32 v73, v73, v102, -v92
	v_fmac_f32_e32 v113, v74, v102
	v_add_f32_e32 v71, 0, v71
	v_add_f32_e32 v70, 0, v70
	v_mul_f32_e32 v74, v78, v94
	s_waitcnt vmcnt(9)
	v_fma_f32 v72, v75, v103, -v72
	v_fmac_f32_e32 v114, v76, v103
	v_add_f32_e32 v71, v71, v73
	v_add_f32_e32 v70, v70, v113
	;; [unrolled: 6-line block ×6, first 2 shown]
	s_waitcnt lgkmcnt(0)
	v_mul_f32_e32 v72, v88, v99
	s_waitcnt vmcnt(4)
	v_fma_f32 v73, v85, v108, -v73
	v_mul_f32_e32 v120, v87, v99
	v_add_f32_e32 v71, v71, v74
	v_fmac_f32_e32 v119, v86, v108
	v_add_f32_e32 v70, v70, v118
	v_mul_f32_e32 v74, v90, v100
	s_waitcnt vmcnt(3)
	v_fma_f32 v72, v87, v109, -v72
	v_add_f32_e32 v71, v71, v73
	v_mul_f32_e32 v121, v89, v100
	v_fmac_f32_e32 v120, v88, v109
	v_add_f32_e32 v70, v70, v119
	s_waitcnt vmcnt(2)
	v_fma_f32 v73, v89, v110, -v74
	v_add_f32_e32 v71, v71, v72
	v_fmac_f32_e32 v121, v90, v110
	v_add_f32_e32 v70, v70, v120
	v_add_f32_e32 v71, v71, v73
	;; [unrolled: 1-line block ×3, first 2 shown]
	s_waitcnt vmcnt(1)
	v_sub_f32_e32 v71, v111, v71
	s_waitcnt vmcnt(0)
	v_sub_f32_e32 v70, v112, v70
	buffer_store_dword v71, off, s[0:3], 0 offset:184
	buffer_store_dword v70, off, s[0:3], 0 offset:188
	v_cmpx_lt_u32_e32 22, v0
	s_cbranch_execz .LBB97_173
; %bb.172:
	s_clause 0x1
	buffer_load_dword v70, off, s[0:3], 0 offset:176
	buffer_load_dword v71, off, s[0:3], 0 offset:180
	v_mov_b32_e32 v72, 0
	buffer_store_dword v72, off, s[0:3], 0 offset:176
	buffer_store_dword v72, off, s[0:3], 0 offset:180
	s_waitcnt vmcnt(0)
	ds_write_b64 v69, v[70:71]
.LBB97_173:
	s_or_b32 exec_lo, exec_lo, s4
	s_waitcnt lgkmcnt(0)
	s_waitcnt_vscnt null, 0x0
	s_barrier
	buffer_gl0_inv
	s_clause 0x17
	buffer_load_dword v93, off, s[0:3], 0 offset:188
	buffer_load_dword v94, off, s[0:3], 0 offset:196
	;; [unrolled: 1-line block ×24, first 2 shown]
	v_mov_b32_e32 v70, 0
	ds_read2_b64 v[71:74], v70 offset0:57 offset1:58
	ds_read2_b64 v[75:78], v70 offset0:59 offset1:60
	;; [unrolled: 1-line block ×5, first 2 shown]
	ds_read_b64 v[91:92], v70 offset:536
	s_mov_b32 s4, exec_lo
	s_waitcnt vmcnt(23) lgkmcnt(5)
	v_mul_f32_e32 v117, v71, v93
	v_mul_f32_e32 v93, v72, v93
	s_waitcnt vmcnt(22)
	v_mul_f32_e32 v118, v73, v94
	v_mul_f32_e32 v94, v74, v94
	s_waitcnt vmcnt(21) lgkmcnt(4)
	v_mul_f32_e32 v119, v75, v95
	s_waitcnt vmcnt(20)
	v_mul_f32_e32 v120, v77, v96
	s_waitcnt vmcnt(19) lgkmcnt(3)
	v_mul_f32_e32 v121, v79, v97
	s_waitcnt vmcnt(18)
	;; [unrolled: 4-line block ×4, first 2 shown]
	v_fma_f32 v71, v71, v104, -v93
	v_fmac_f32_e32 v117, v72, v104
	v_mul_f32_e32 v72, v76, v95
	s_waitcnt vmcnt(11)
	v_fma_f32 v73, v73, v105, -v94
	v_fmac_f32_e32 v118, v74, v105
	v_add_f32_e32 v71, 0, v71
	v_add_f32_e32 v74, 0, v117
	v_mul_f32_e32 v93, v78, v96
	s_waitcnt vmcnt(10)
	v_fma_f32 v72, v75, v106, -v72
	v_fmac_f32_e32 v119, v76, v106
	v_add_f32_e32 v71, v71, v73
	v_add_f32_e32 v73, v74, v118
	;; [unrolled: 6-line block ×7, first 2 shown]
	v_mul_f32_e32 v75, v90, v102
	s_waitcnt vmcnt(4)
	v_fma_f32 v73, v87, v112, -v73
	v_mul_f32_e32 v126, v89, v102
	v_add_f32_e32 v71, v71, v74
	v_fmac_f32_e32 v125, v88, v112
	v_add_f32_e32 v72, v72, v124
	s_waitcnt lgkmcnt(0)
	v_mul_f32_e32 v74, v92, v103
	s_waitcnt vmcnt(3)
	v_fma_f32 v75, v89, v113, -v75
	v_add_f32_e32 v71, v71, v73
	v_mul_f32_e32 v127, v91, v103
	v_fmac_f32_e32 v126, v90, v113
	v_add_f32_e32 v72, v72, v125
	s_waitcnt vmcnt(2)
	v_fma_f32 v73, v91, v114, -v74
	v_add_f32_e32 v71, v71, v75
	v_fmac_f32_e32 v127, v92, v114
	v_add_f32_e32 v72, v72, v126
	v_add_f32_e32 v71, v71, v73
	;; [unrolled: 1-line block ×3, first 2 shown]
	s_waitcnt vmcnt(1)
	v_sub_f32_e32 v71, v115, v71
	s_waitcnt vmcnt(0)
	v_sub_f32_e32 v72, v116, v72
	buffer_store_dword v71, off, s[0:3], 0 offset:176
	buffer_store_dword v72, off, s[0:3], 0 offset:180
	v_cmpx_lt_u32_e32 21, v0
	s_cbranch_execz .LBB97_175
; %bb.174:
	s_clause 0x1
	buffer_load_dword v71, off, s[0:3], 0 offset:168
	buffer_load_dword v72, off, s[0:3], 0 offset:172
	buffer_store_dword v70, off, s[0:3], 0 offset:168
	buffer_store_dword v70, off, s[0:3], 0 offset:172
	s_waitcnt vmcnt(0)
	ds_write_b64 v69, v[71:72]
.LBB97_175:
	s_or_b32 exec_lo, exec_lo, s4
	s_waitcnt lgkmcnt(0)
	s_waitcnt_vscnt null, 0x0
	s_barrier
	buffer_gl0_inv
	s_clause 0x19
	buffer_load_dword v95, off, s[0:3], 0 offset:180
	buffer_load_dword v96, off, s[0:3], 0 offset:188
	;; [unrolled: 1-line block ×26, first 2 shown]
	ds_read_b128 v[71:74], v70 offset:448
	ds_read_b128 v[75:78], v70 offset:464
	;; [unrolled: 1-line block ×6, first 2 shown]
	s_mov_b32 s4, exec_lo
	s_waitcnt vmcnt(25) lgkmcnt(5)
	v_mul_f32_e32 v70, v71, v95
	v_mul_f32_e32 v95, v72, v95
	s_waitcnt vmcnt(24)
	v_mul_f32_e32 v121, v73, v96
	v_mul_f32_e32 v96, v74, v96
	s_waitcnt vmcnt(23) lgkmcnt(4)
	v_mul_f32_e32 v122, v75, v97
	s_waitcnt vmcnt(22)
	v_mul_f32_e32 v123, v77, v98
	s_waitcnt vmcnt(21) lgkmcnt(3)
	v_mul_f32_e32 v124, v79, v99
	s_waitcnt vmcnt(20)
	;; [unrolled: 4-line block ×4, first 2 shown]
	v_mul_f32_e32 v129, v89, v104
	s_waitcnt vmcnt(13)
	v_fma_f32 v71, v71, v107, -v95
	v_fmac_f32_e32 v70, v72, v107
	v_mul_f32_e32 v72, v76, v97
	s_waitcnt vmcnt(12)
	v_fma_f32 v73, v73, v108, -v96
	v_fmac_f32_e32 v121, v74, v108
	v_add_f32_e32 v71, 0, v71
	v_add_f32_e32 v70, 0, v70
	v_mul_f32_e32 v74, v78, v98
	s_waitcnt vmcnt(11)
	v_fma_f32 v72, v75, v109, -v72
	v_fmac_f32_e32 v122, v76, v109
	v_add_f32_e32 v71, v71, v73
	v_add_f32_e32 v70, v70, v121
	v_mul_f32_e32 v73, v80, v99
	s_waitcnt vmcnt(10)
	v_fma_f32 v74, v77, v110, -v74
	v_fmac_f32_e32 v123, v78, v110
	v_add_f32_e32 v71, v71, v72
	v_add_f32_e32 v70, v70, v122
	v_mul_f32_e32 v72, v82, v100
	s_waitcnt vmcnt(9)
	v_fma_f32 v73, v79, v111, -v73
	v_fmac_f32_e32 v124, v80, v111
	v_add_f32_e32 v71, v71, v74
	v_add_f32_e32 v70, v70, v123
	v_mul_f32_e32 v74, v84, v101
	s_waitcnt vmcnt(8)
	v_fma_f32 v72, v81, v112, -v72
	v_fmac_f32_e32 v125, v82, v112
	v_add_f32_e32 v71, v71, v73
	v_add_f32_e32 v70, v70, v124
	v_mul_f32_e32 v73, v86, v102
	s_waitcnt vmcnt(7)
	v_fma_f32 v74, v83, v113, -v74
	v_fmac_f32_e32 v126, v84, v113
	v_add_f32_e32 v71, v71, v72
	v_add_f32_e32 v70, v70, v125
	v_mul_f32_e32 v72, v88, v103
	s_waitcnt vmcnt(6)
	v_fma_f32 v73, v85, v114, -v73
	v_fmac_f32_e32 v127, v86, v114
	v_add_f32_e32 v71, v71, v74
	v_add_f32_e32 v70, v70, v126
	v_mul_f32_e32 v74, v90, v104
	s_waitcnt vmcnt(5)
	v_fma_f32 v72, v87, v115, -v72
	v_fmac_f32_e32 v128, v88, v115
	v_add_f32_e32 v71, v71, v73
	v_add_f32_e32 v70, v70, v127
	s_waitcnt lgkmcnt(0)
	v_mul_f32_e32 v73, v92, v105
	s_waitcnt vmcnt(4)
	v_fma_f32 v74, v89, v116, -v74
	v_mul_f32_e32 v130, v91, v105
	v_add_f32_e32 v71, v71, v72
	v_fmac_f32_e32 v129, v90, v116
	v_add_f32_e32 v70, v70, v128
	v_mul_f32_e32 v72, v94, v106
	s_waitcnt vmcnt(3)
	v_fma_f32 v73, v91, v117, -v73
	v_add_f32_e32 v71, v71, v74
	v_mul_f32_e32 v131, v93, v106
	v_fmac_f32_e32 v130, v92, v117
	v_add_f32_e32 v70, v70, v129
	s_waitcnt vmcnt(2)
	v_fma_f32 v72, v93, v118, -v72
	v_add_f32_e32 v71, v71, v73
	v_fmac_f32_e32 v131, v94, v118
	v_add_f32_e32 v70, v70, v130
	v_add_f32_e32 v71, v71, v72
	;; [unrolled: 1-line block ×3, first 2 shown]
	s_waitcnt vmcnt(1)
	v_sub_f32_e32 v71, v119, v71
	s_waitcnt vmcnt(0)
	v_sub_f32_e32 v70, v120, v70
	buffer_store_dword v71, off, s[0:3], 0 offset:168
	buffer_store_dword v70, off, s[0:3], 0 offset:172
	v_cmpx_lt_u32_e32 20, v0
	s_cbranch_execz .LBB97_177
; %bb.176:
	s_clause 0x1
	buffer_load_dword v70, off, s[0:3], 0 offset:160
	buffer_load_dword v71, off, s[0:3], 0 offset:164
	v_mov_b32_e32 v72, 0
	buffer_store_dword v72, off, s[0:3], 0 offset:160
	buffer_store_dword v72, off, s[0:3], 0 offset:164
	s_waitcnt vmcnt(0)
	ds_write_b64 v69, v[70:71]
.LBB97_177:
	s_or_b32 exec_lo, exec_lo, s4
	s_waitcnt lgkmcnt(0)
	s_waitcnt_vscnt null, 0x0
	s_barrier
	buffer_gl0_inv
	s_clause 0x1b
	buffer_load_dword v97, off, s[0:3], 0 offset:172
	buffer_load_dword v98, off, s[0:3], 0 offset:180
	;; [unrolled: 1-line block ×28, first 2 shown]
	v_mov_b32_e32 v70, 0
	ds_read2_b64 v[71:74], v70 offset0:55 offset1:56
	ds_read2_b64 v[75:78], v70 offset0:57 offset1:58
	;; [unrolled: 1-line block ×6, first 2 shown]
	ds_read_b64 v[95:96], v70 offset:536
	s_mov_b32 s4, exec_lo
	s_waitcnt vmcnt(27) lgkmcnt(6)
	v_mul_f32_e32 v125, v71, v97
	v_mul_f32_e32 v97, v72, v97
	s_waitcnt vmcnt(26)
	v_mul_f32_e32 v126, v73, v98
	v_mul_f32_e32 v98, v74, v98
	s_waitcnt vmcnt(25) lgkmcnt(5)
	v_mul_f32_e32 v127, v75, v99
	s_waitcnt vmcnt(24)
	v_mul_f32_e32 v128, v77, v100
	s_waitcnt vmcnt(23) lgkmcnt(4)
	v_mul_f32_e32 v129, v79, v101
	s_waitcnt vmcnt(22)
	;; [unrolled: 4-line block ×5, first 2 shown]
	v_fma_f32 v71, v71, v110, -v97
	v_fmac_f32_e32 v125, v72, v110
	v_mul_f32_e32 v72, v76, v99
	s_waitcnt vmcnt(13)
	v_fma_f32 v73, v73, v111, -v98
	v_fmac_f32_e32 v126, v74, v111
	v_add_f32_e32 v71, 0, v71
	v_add_f32_e32 v74, 0, v125
	v_mul_f32_e32 v97, v78, v100
	s_waitcnt vmcnt(12)
	v_fma_f32 v72, v75, v112, -v72
	v_fmac_f32_e32 v127, v76, v112
	v_add_f32_e32 v71, v71, v73
	v_add_f32_e32 v73, v74, v126
	;; [unrolled: 6-line block ×9, first 2 shown]
	v_mul_f32_e32 v73, v94, v108
	s_waitcnt vmcnt(4)
	v_fma_f32 v74, v91, v120, -v74
	v_mul_f32_e32 v136, v93, v108
	v_add_f32_e32 v71, v71, v75
	v_fmac_f32_e32 v135, v92, v120
	v_add_f32_e32 v72, v72, v134
	s_waitcnt lgkmcnt(0)
	v_mul_f32_e32 v75, v96, v109
	s_waitcnt vmcnt(3)
	v_fma_f32 v73, v93, v121, -v73
	v_add_f32_e32 v71, v71, v74
	v_mul_f32_e32 v137, v95, v109
	v_fmac_f32_e32 v136, v94, v121
	v_add_f32_e32 v72, v72, v135
	s_waitcnt vmcnt(2)
	v_fma_f32 v74, v95, v122, -v75
	v_add_f32_e32 v71, v71, v73
	v_fmac_f32_e32 v137, v96, v122
	v_add_f32_e32 v72, v72, v136
	v_add_f32_e32 v71, v71, v74
	;; [unrolled: 1-line block ×3, first 2 shown]
	s_waitcnt vmcnt(1)
	v_sub_f32_e32 v71, v123, v71
	s_waitcnt vmcnt(0)
	v_sub_f32_e32 v72, v124, v72
	buffer_store_dword v71, off, s[0:3], 0 offset:160
	buffer_store_dword v72, off, s[0:3], 0 offset:164
	v_cmpx_lt_u32_e32 19, v0
	s_cbranch_execz .LBB97_179
; %bb.178:
	s_clause 0x1
	buffer_load_dword v71, off, s[0:3], 0 offset:152
	buffer_load_dword v72, off, s[0:3], 0 offset:156
	buffer_store_dword v70, off, s[0:3], 0 offset:152
	buffer_store_dword v70, off, s[0:3], 0 offset:156
	s_waitcnt vmcnt(0)
	ds_write_b64 v69, v[71:72]
.LBB97_179:
	s_or_b32 exec_lo, exec_lo, s4
	s_waitcnt lgkmcnt(0)
	s_waitcnt_vscnt null, 0x0
	s_barrier
	buffer_gl0_inv
	s_clause 0x1d
	buffer_load_dword v99, off, s[0:3], 0 offset:164
	buffer_load_dword v100, off, s[0:3], 0 offset:172
	;; [unrolled: 1-line block ×30, first 2 shown]
	ds_read_b128 v[71:74], v70 offset:432
	ds_read_b128 v[75:78], v70 offset:448
	;; [unrolled: 1-line block ×7, first 2 shown]
	s_mov_b32 s4, exec_lo
	s_waitcnt vmcnt(29) lgkmcnt(6)
	v_mul_f32_e32 v70, v71, v99
	v_mul_f32_e32 v99, v72, v99
	s_waitcnt vmcnt(28)
	v_mul_f32_e32 v129, v73, v100
	v_mul_f32_e32 v100, v74, v100
	s_waitcnt vmcnt(27) lgkmcnt(5)
	v_mul_f32_e32 v130, v75, v101
	s_waitcnt vmcnt(26)
	v_mul_f32_e32 v131, v77, v102
	s_waitcnt vmcnt(25) lgkmcnt(4)
	v_mul_f32_e32 v132, v79, v103
	s_waitcnt vmcnt(24)
	v_mul_f32_e32 v133, v81, v104
	s_waitcnt vmcnt(23) lgkmcnt(3)
	v_mul_f32_e32 v134, v83, v105
	s_waitcnt vmcnt(22)
	v_mul_f32_e32 v135, v85, v106
	s_waitcnt vmcnt(21) lgkmcnt(2)
	v_mul_f32_e32 v136, v87, v107
	s_waitcnt vmcnt(20)
	v_mul_f32_e32 v137, v89, v108
	s_waitcnt vmcnt(19) lgkmcnt(1)
	v_mul_f32_e32 v138, v91, v109
	s_waitcnt vmcnt(18)
	v_mul_f32_e32 v139, v93, v110
	s_waitcnt vmcnt(15)
	v_fma_f32 v71, v71, v113, -v99
	v_fmac_f32_e32 v70, v72, v113
	v_mul_f32_e32 v72, v76, v101
	s_waitcnt vmcnt(14)
	v_fma_f32 v73, v73, v114, -v100
	v_fmac_f32_e32 v129, v74, v114
	v_add_f32_e32 v71, 0, v71
	v_add_f32_e32 v70, 0, v70
	v_mul_f32_e32 v74, v78, v102
	s_waitcnt vmcnt(13)
	v_fma_f32 v72, v75, v115, -v72
	v_fmac_f32_e32 v130, v76, v115
	v_add_f32_e32 v71, v71, v73
	v_add_f32_e32 v70, v70, v129
	;; [unrolled: 6-line block ×10, first 2 shown]
	s_waitcnt lgkmcnt(0)
	v_mul_f32_e32 v74, v96, v111
	s_waitcnt vmcnt(4)
	v_fma_f32 v72, v93, v124, -v72
	v_mul_f32_e32 v140, v95, v111
	v_add_f32_e32 v71, v71, v73
	v_fmac_f32_e32 v139, v94, v124
	v_add_f32_e32 v70, v70, v138
	v_mul_f32_e32 v73, v98, v112
	s_waitcnt vmcnt(3)
	v_fma_f32 v74, v95, v125, -v74
	v_add_f32_e32 v71, v71, v72
	v_mul_f32_e32 v141, v97, v112
	v_fmac_f32_e32 v140, v96, v125
	v_add_f32_e32 v70, v70, v139
	s_waitcnt vmcnt(2)
	v_fma_f32 v72, v97, v126, -v73
	v_add_f32_e32 v71, v71, v74
	v_fmac_f32_e32 v141, v98, v126
	v_add_f32_e32 v70, v70, v140
	v_add_f32_e32 v71, v71, v72
	;; [unrolled: 1-line block ×3, first 2 shown]
	s_waitcnt vmcnt(1)
	v_sub_f32_e32 v71, v127, v71
	s_waitcnt vmcnt(0)
	v_sub_f32_e32 v70, v128, v70
	buffer_store_dword v71, off, s[0:3], 0 offset:152
	buffer_store_dword v70, off, s[0:3], 0 offset:156
	v_cmpx_lt_u32_e32 18, v0
	s_cbranch_execz .LBB97_181
; %bb.180:
	s_clause 0x1
	buffer_load_dword v70, off, s[0:3], 0 offset:144
	buffer_load_dword v71, off, s[0:3], 0 offset:148
	v_mov_b32_e32 v72, 0
	buffer_store_dword v72, off, s[0:3], 0 offset:144
	buffer_store_dword v72, off, s[0:3], 0 offset:148
	s_waitcnt vmcnt(0)
	ds_write_b64 v69, v[70:71]
.LBB97_181:
	s_or_b32 exec_lo, exec_lo, s4
	s_waitcnt lgkmcnt(0)
	s_waitcnt_vscnt null, 0x0
	s_barrier
	buffer_gl0_inv
	s_clause 0x1f
	buffer_load_dword v101, off, s[0:3], 0 offset:156
	buffer_load_dword v102, off, s[0:3], 0 offset:164
	;; [unrolled: 1-line block ×32, first 2 shown]
	v_mov_b32_e32 v70, 0
	ds_read2_b64 v[71:74], v70 offset0:53 offset1:54
	ds_read2_b64 v[75:78], v70 offset0:55 offset1:56
	;; [unrolled: 1-line block ×7, first 2 shown]
	ds_read_b64 v[99:100], v70 offset:536
	s_mov_b32 s4, exec_lo
	s_waitcnt vmcnt(31) lgkmcnt(7)
	v_mul_f32_e32 v133, v71, v101
	v_mul_f32_e32 v101, v72, v101
	s_waitcnt vmcnt(30)
	v_mul_f32_e32 v134, v73, v102
	v_mul_f32_e32 v102, v74, v102
	s_waitcnt vmcnt(29) lgkmcnt(6)
	v_mul_f32_e32 v135, v75, v103
	s_waitcnt vmcnt(28)
	v_mul_f32_e32 v136, v77, v104
	s_waitcnt vmcnt(27) lgkmcnt(5)
	v_mul_f32_e32 v137, v79, v105
	s_waitcnt vmcnt(26)
	;; [unrolled: 4-line block ×6, first 2 shown]
	v_fma_f32 v71, v71, v116, -v101
	v_fmac_f32_e32 v133, v72, v116
	v_mul_f32_e32 v72, v76, v103
	s_waitcnt vmcnt(15)
	v_fma_f32 v73, v73, v117, -v102
	v_fmac_f32_e32 v134, v74, v117
	v_add_f32_e32 v71, 0, v71
	v_add_f32_e32 v74, 0, v133
	v_mul_f32_e32 v101, v78, v104
	s_waitcnt vmcnt(14)
	v_fma_f32 v72, v75, v118, -v72
	v_fmac_f32_e32 v135, v76, v118
	v_add_f32_e32 v71, v71, v73
	v_add_f32_e32 v73, v74, v134
	;; [unrolled: 6-line block ×11, first 2 shown]
	v_mul_f32_e32 v74, v98, v114
	s_waitcnt vmcnt(4)
	v_fma_f32 v75, v95, v128, -v75
	v_mul_f32_e32 v146, v97, v114
	v_add_f32_e32 v71, v71, v73
	v_fmac_f32_e32 v145, v96, v128
	v_add_f32_e32 v72, v72, v144
	s_waitcnt lgkmcnt(0)
	v_mul_f32_e32 v73, v100, v115
	s_waitcnt vmcnt(3)
	v_fma_f32 v74, v97, v129, -v74
	v_add_f32_e32 v71, v71, v75
	v_mul_f32_e32 v147, v99, v115
	v_fmac_f32_e32 v146, v98, v129
	v_add_f32_e32 v72, v72, v145
	s_waitcnt vmcnt(2)
	v_fma_f32 v73, v99, v130, -v73
	v_add_f32_e32 v71, v71, v74
	v_fmac_f32_e32 v147, v100, v130
	v_add_f32_e32 v72, v72, v146
	v_add_f32_e32 v71, v71, v73
	v_add_f32_e32 v72, v72, v147
	s_waitcnt vmcnt(1)
	v_sub_f32_e32 v71, v131, v71
	s_waitcnt vmcnt(0)
	v_sub_f32_e32 v72, v132, v72
	buffer_store_dword v71, off, s[0:3], 0 offset:144
	buffer_store_dword v72, off, s[0:3], 0 offset:148
	v_cmpx_lt_u32_e32 17, v0
	s_cbranch_execz .LBB97_183
; %bb.182:
	s_clause 0x1
	buffer_load_dword v71, off, s[0:3], 0 offset:136
	buffer_load_dword v72, off, s[0:3], 0 offset:140
	buffer_store_dword v70, off, s[0:3], 0 offset:136
	buffer_store_dword v70, off, s[0:3], 0 offset:140
	s_waitcnt vmcnt(0)
	ds_write_b64 v69, v[71:72]
.LBB97_183:
	s_or_b32 exec_lo, exec_lo, s4
	s_waitcnt lgkmcnt(0)
	s_waitcnt_vscnt null, 0x0
	s_barrier
	buffer_gl0_inv
	s_clause 0x21
	buffer_load_dword v103, off, s[0:3], 0 offset:148
	buffer_load_dword v104, off, s[0:3], 0 offset:156
	;; [unrolled: 1-line block ×34, first 2 shown]
	ds_read_b128 v[71:74], v70 offset:416
	ds_read_b128 v[75:78], v70 offset:432
	;; [unrolled: 1-line block ×8, first 2 shown]
	s_mov_b32 s4, exec_lo
	s_waitcnt vmcnt(33) lgkmcnt(7)
	v_mul_f32_e32 v70, v71, v103
	v_mul_f32_e32 v103, v72, v103
	s_waitcnt vmcnt(32)
	v_mul_f32_e32 v137, v73, v104
	v_mul_f32_e32 v104, v74, v104
	s_waitcnt vmcnt(31) lgkmcnt(6)
	v_mul_f32_e32 v138, v75, v105
	s_waitcnt vmcnt(30)
	v_mul_f32_e32 v139, v77, v106
	s_waitcnt vmcnt(29) lgkmcnt(5)
	v_mul_f32_e32 v140, v79, v107
	s_waitcnt vmcnt(28)
	;; [unrolled: 4-line block ×6, first 2 shown]
	v_mul_f32_e32 v149, v97, v116
	s_waitcnt vmcnt(17)
	v_fma_f32 v71, v71, v119, -v103
	v_fmac_f32_e32 v70, v72, v119
	v_mul_f32_e32 v72, v76, v105
	s_waitcnt vmcnt(16)
	v_fma_f32 v73, v73, v120, -v104
	v_fmac_f32_e32 v137, v74, v120
	v_add_f32_e32 v71, 0, v71
	v_add_f32_e32 v70, 0, v70
	v_mul_f32_e32 v74, v78, v106
	s_waitcnt vmcnt(15)
	v_fma_f32 v72, v75, v121, -v72
	v_fmac_f32_e32 v138, v76, v121
	v_add_f32_e32 v71, v71, v73
	v_add_f32_e32 v70, v70, v137
	;; [unrolled: 6-line block ×12, first 2 shown]
	s_waitcnt lgkmcnt(0)
	v_mul_f32_e32 v72, v100, v117
	s_waitcnt vmcnt(4)
	v_fma_f32 v73, v97, v132, -v73
	v_mul_f32_e32 v150, v99, v117
	v_add_f32_e32 v71, v71, v74
	v_fmac_f32_e32 v149, v98, v132
	v_add_f32_e32 v70, v70, v148
	v_mul_f32_e32 v74, v102, v118
	s_waitcnt vmcnt(3)
	v_fma_f32 v72, v99, v133, -v72
	v_add_f32_e32 v71, v71, v73
	v_mul_f32_e32 v151, v101, v118
	v_fmac_f32_e32 v150, v100, v133
	v_add_f32_e32 v70, v70, v149
	s_waitcnt vmcnt(2)
	v_fma_f32 v73, v101, v134, -v74
	v_add_f32_e32 v71, v71, v72
	v_fmac_f32_e32 v151, v102, v134
	v_add_f32_e32 v70, v70, v150
	v_add_f32_e32 v71, v71, v73
	;; [unrolled: 1-line block ×3, first 2 shown]
	s_waitcnt vmcnt(1)
	v_sub_f32_e32 v71, v135, v71
	s_waitcnt vmcnt(0)
	v_sub_f32_e32 v70, v136, v70
	buffer_store_dword v71, off, s[0:3], 0 offset:136
	buffer_store_dword v70, off, s[0:3], 0 offset:140
	v_cmpx_lt_u32_e32 16, v0
	s_cbranch_execz .LBB97_185
; %bb.184:
	s_clause 0x1
	buffer_load_dword v70, off, s[0:3], 0 offset:128
	buffer_load_dword v71, off, s[0:3], 0 offset:132
	v_mov_b32_e32 v72, 0
	buffer_store_dword v72, off, s[0:3], 0 offset:128
	buffer_store_dword v72, off, s[0:3], 0 offset:132
	s_waitcnt vmcnt(0)
	ds_write_b64 v69, v[70:71]
.LBB97_185:
	s_or_b32 exec_lo, exec_lo, s4
	s_waitcnt lgkmcnt(0)
	s_waitcnt_vscnt null, 0x0
	s_barrier
	buffer_gl0_inv
	s_clause 0x23
	buffer_load_dword v105, off, s[0:3], 0 offset:140
	buffer_load_dword v106, off, s[0:3], 0 offset:148
	;; [unrolled: 1-line block ×36, first 2 shown]
	v_mov_b32_e32 v70, 0
	ds_read2_b64 v[71:74], v70 offset0:51 offset1:52
	ds_read2_b64 v[75:78], v70 offset0:53 offset1:54
	;; [unrolled: 1-line block ×8, first 2 shown]
	ds_read_b64 v[103:104], v70 offset:536
	s_mov_b32 s4, exec_lo
	s_waitcnt vmcnt(35) lgkmcnt(8)
	v_mul_f32_e32 v141, v71, v105
	v_mul_f32_e32 v105, v72, v105
	s_waitcnt vmcnt(34)
	v_mul_f32_e32 v142, v73, v106
	v_mul_f32_e32 v106, v74, v106
	s_waitcnt vmcnt(33) lgkmcnt(7)
	v_mul_f32_e32 v143, v75, v107
	s_waitcnt vmcnt(32)
	v_mul_f32_e32 v144, v77, v108
	s_waitcnt vmcnt(31) lgkmcnt(6)
	v_mul_f32_e32 v145, v79, v109
	s_waitcnt vmcnt(30)
	;; [unrolled: 4-line block ×7, first 2 shown]
	v_fma_f32 v71, v71, v122, -v105
	v_fmac_f32_e32 v141, v72, v122
	v_mul_f32_e32 v72, v76, v107
	s_waitcnt vmcnt(17)
	v_fma_f32 v73, v73, v123, -v106
	v_fmac_f32_e32 v142, v74, v123
	v_add_f32_e32 v71, 0, v71
	v_add_f32_e32 v74, 0, v141
	v_mul_f32_e32 v105, v78, v108
	s_waitcnt vmcnt(16)
	v_fma_f32 v72, v75, v124, -v72
	v_fmac_f32_e32 v143, v76, v124
	v_add_f32_e32 v71, v71, v73
	v_add_f32_e32 v73, v74, v142
	;; [unrolled: 6-line block ×13, first 2 shown]
	v_mul_f32_e32 v75, v102, v120
	s_waitcnt vmcnt(4)
	v_fma_f32 v73, v99, v136, -v73
	v_mul_f32_e32 v156, v101, v120
	v_add_f32_e32 v71, v71, v74
	v_fmac_f32_e32 v155, v100, v136
	v_add_f32_e32 v72, v72, v154
	s_waitcnt lgkmcnt(0)
	v_mul_f32_e32 v74, v104, v121
	s_waitcnt vmcnt(3)
	v_fma_f32 v75, v101, v137, -v75
	v_add_f32_e32 v71, v71, v73
	v_mul_f32_e32 v157, v103, v121
	v_fmac_f32_e32 v156, v102, v137
	v_add_f32_e32 v72, v72, v155
	s_waitcnt vmcnt(2)
	v_fma_f32 v73, v103, v138, -v74
	v_add_f32_e32 v71, v71, v75
	v_fmac_f32_e32 v157, v104, v138
	v_add_f32_e32 v72, v72, v156
	v_add_f32_e32 v71, v71, v73
	;; [unrolled: 1-line block ×3, first 2 shown]
	s_waitcnt vmcnt(1)
	v_sub_f32_e32 v71, v139, v71
	s_waitcnt vmcnt(0)
	v_sub_f32_e32 v72, v140, v72
	buffer_store_dword v71, off, s[0:3], 0 offset:128
	buffer_store_dword v72, off, s[0:3], 0 offset:132
	v_cmpx_lt_u32_e32 15, v0
	s_cbranch_execz .LBB97_187
; %bb.186:
	s_clause 0x1
	buffer_load_dword v71, off, s[0:3], 0 offset:120
	buffer_load_dword v72, off, s[0:3], 0 offset:124
	buffer_store_dword v70, off, s[0:3], 0 offset:120
	buffer_store_dword v70, off, s[0:3], 0 offset:124
	s_waitcnt vmcnt(0)
	ds_write_b64 v69, v[71:72]
.LBB97_187:
	s_or_b32 exec_lo, exec_lo, s4
	s_waitcnt lgkmcnt(0)
	s_waitcnt_vscnt null, 0x0
	s_barrier
	buffer_gl0_inv
	s_clause 0x25
	buffer_load_dword v107, off, s[0:3], 0 offset:132
	buffer_load_dword v108, off, s[0:3], 0 offset:140
	;; [unrolled: 1-line block ×38, first 2 shown]
	ds_read_b128 v[71:74], v70 offset:400
	ds_read_b128 v[75:78], v70 offset:416
	;; [unrolled: 1-line block ×9, first 2 shown]
	s_mov_b32 s4, exec_lo
	s_waitcnt vmcnt(37) lgkmcnt(8)
	v_mul_f32_e32 v70, v71, v107
	v_mul_f32_e32 v107, v72, v107
	s_waitcnt vmcnt(36)
	v_mul_f32_e32 v145, v73, v108
	v_mul_f32_e32 v108, v74, v108
	s_waitcnt vmcnt(35) lgkmcnt(7)
	v_mul_f32_e32 v146, v75, v109
	s_waitcnt vmcnt(34)
	v_mul_f32_e32 v147, v77, v110
	s_waitcnt vmcnt(33) lgkmcnt(6)
	v_mul_f32_e32 v148, v79, v111
	s_waitcnt vmcnt(32)
	;; [unrolled: 4-line block ×7, first 2 shown]
	v_mul_f32_e32 v159, v101, v122
	s_waitcnt vmcnt(19)
	v_fma_f32 v71, v71, v125, -v107
	v_fmac_f32_e32 v70, v72, v125
	v_mul_f32_e32 v72, v76, v109
	s_waitcnt vmcnt(18)
	v_fma_f32 v73, v73, v126, -v108
	v_fmac_f32_e32 v145, v74, v126
	v_add_f32_e32 v71, 0, v71
	v_add_f32_e32 v70, 0, v70
	v_mul_f32_e32 v74, v78, v110
	s_waitcnt vmcnt(17)
	v_fma_f32 v72, v75, v127, -v72
	v_fmac_f32_e32 v146, v76, v127
	v_add_f32_e32 v71, v71, v73
	v_add_f32_e32 v70, v70, v145
	v_mul_f32_e32 v73, v80, v111
	s_waitcnt vmcnt(16)
	v_fma_f32 v74, v77, v128, -v74
	v_fmac_f32_e32 v147, v78, v128
	v_add_f32_e32 v71, v71, v72
	v_add_f32_e32 v70, v70, v146
	v_mul_f32_e32 v72, v82, v112
	s_waitcnt vmcnt(15)
	v_fma_f32 v73, v79, v129, -v73
	v_fmac_f32_e32 v148, v80, v129
	v_add_f32_e32 v71, v71, v74
	v_add_f32_e32 v70, v70, v147
	v_mul_f32_e32 v74, v84, v113
	s_waitcnt vmcnt(14)
	v_fma_f32 v72, v81, v130, -v72
	v_fmac_f32_e32 v149, v82, v130
	v_add_f32_e32 v71, v71, v73
	v_add_f32_e32 v70, v70, v148
	v_mul_f32_e32 v73, v86, v114
	s_waitcnt vmcnt(13)
	v_fma_f32 v74, v83, v131, -v74
	v_fmac_f32_e32 v150, v84, v131
	v_add_f32_e32 v71, v71, v72
	v_add_f32_e32 v70, v70, v149
	v_mul_f32_e32 v72, v88, v115
	s_waitcnt vmcnt(12)
	v_fma_f32 v73, v85, v132, -v73
	v_fmac_f32_e32 v151, v86, v132
	v_add_f32_e32 v71, v71, v74
	v_add_f32_e32 v70, v70, v150
	v_mul_f32_e32 v74, v90, v116
	s_waitcnt vmcnt(11)
	v_fma_f32 v72, v87, v133, -v72
	v_fmac_f32_e32 v152, v88, v133
	v_add_f32_e32 v71, v71, v73
	v_add_f32_e32 v70, v70, v151
	v_mul_f32_e32 v73, v92, v117
	s_waitcnt vmcnt(10)
	v_fma_f32 v74, v89, v134, -v74
	v_fmac_f32_e32 v153, v90, v134
	v_add_f32_e32 v71, v71, v72
	v_add_f32_e32 v70, v70, v152
	v_mul_f32_e32 v72, v94, v118
	s_waitcnt vmcnt(9)
	v_fma_f32 v73, v91, v135, -v73
	v_fmac_f32_e32 v154, v92, v135
	v_add_f32_e32 v71, v71, v74
	v_add_f32_e32 v70, v70, v153
	v_mul_f32_e32 v74, v96, v119
	s_waitcnt vmcnt(8)
	v_fma_f32 v72, v93, v136, -v72
	v_fmac_f32_e32 v155, v94, v136
	v_add_f32_e32 v71, v71, v73
	v_add_f32_e32 v70, v70, v154
	v_mul_f32_e32 v73, v98, v120
	s_waitcnt vmcnt(7)
	v_fma_f32 v74, v95, v137, -v74
	v_fmac_f32_e32 v156, v96, v137
	v_add_f32_e32 v71, v71, v72
	v_add_f32_e32 v70, v70, v155
	v_mul_f32_e32 v72, v100, v121
	s_waitcnt vmcnt(6)
	v_fma_f32 v73, v97, v138, -v73
	v_fmac_f32_e32 v157, v98, v138
	v_add_f32_e32 v71, v71, v74
	v_add_f32_e32 v70, v70, v156
	v_mul_f32_e32 v74, v102, v122
	s_waitcnt vmcnt(5)
	v_fma_f32 v72, v99, v139, -v72
	v_fmac_f32_e32 v158, v100, v139
	v_add_f32_e32 v71, v71, v73
	v_add_f32_e32 v70, v70, v157
	s_waitcnt lgkmcnt(0)
	v_mul_f32_e32 v73, v104, v123
	s_waitcnt vmcnt(4)
	v_fma_f32 v74, v101, v140, -v74
	v_mul_f32_e32 v160, v103, v123
	v_add_f32_e32 v71, v71, v72
	v_fmac_f32_e32 v159, v102, v140
	v_add_f32_e32 v70, v70, v158
	v_mul_f32_e32 v72, v106, v124
	s_waitcnt vmcnt(3)
	v_fma_f32 v73, v103, v141, -v73
	v_add_f32_e32 v71, v71, v74
	v_mul_f32_e32 v161, v105, v124
	v_fmac_f32_e32 v160, v104, v141
	v_add_f32_e32 v70, v70, v159
	s_waitcnt vmcnt(2)
	v_fma_f32 v72, v105, v142, -v72
	v_add_f32_e32 v71, v71, v73
	v_fmac_f32_e32 v161, v106, v142
	v_add_f32_e32 v70, v70, v160
	v_add_f32_e32 v71, v71, v72
	;; [unrolled: 1-line block ×3, first 2 shown]
	s_waitcnt vmcnt(1)
	v_sub_f32_e32 v71, v143, v71
	s_waitcnt vmcnt(0)
	v_sub_f32_e32 v70, v144, v70
	buffer_store_dword v71, off, s[0:3], 0 offset:120
	buffer_store_dword v70, off, s[0:3], 0 offset:124
	v_cmpx_lt_u32_e32 14, v0
	s_cbranch_execz .LBB97_189
; %bb.188:
	s_clause 0x1
	buffer_load_dword v70, off, s[0:3], 0 offset:112
	buffer_load_dword v71, off, s[0:3], 0 offset:116
	v_mov_b32_e32 v72, 0
	buffer_store_dword v72, off, s[0:3], 0 offset:112
	buffer_store_dword v72, off, s[0:3], 0 offset:116
	s_waitcnt vmcnt(0)
	ds_write_b64 v69, v[70:71]
.LBB97_189:
	s_or_b32 exec_lo, exec_lo, s4
	s_waitcnt lgkmcnt(0)
	s_waitcnt_vscnt null, 0x0
	s_barrier
	buffer_gl0_inv
	s_clause 0x27
	buffer_load_dword v109, off, s[0:3], 0 offset:124
	buffer_load_dword v110, off, s[0:3], 0 offset:132
	;; [unrolled: 1-line block ×40, first 2 shown]
	v_mov_b32_e32 v70, 0
	ds_read2_b64 v[71:74], v70 offset0:49 offset1:50
	ds_read2_b64 v[75:78], v70 offset0:51 offset1:52
	;; [unrolled: 1-line block ×9, first 2 shown]
	ds_read_b64 v[107:108], v70 offset:536
	s_mov_b32 s4, exec_lo
	s_waitcnt vmcnt(39) lgkmcnt(9)
	v_mul_f32_e32 v149, v71, v109
	v_mul_f32_e32 v109, v72, v109
	s_waitcnt vmcnt(38)
	v_mul_f32_e32 v150, v73, v110
	v_mul_f32_e32 v110, v74, v110
	s_waitcnt vmcnt(37) lgkmcnt(8)
	v_mul_f32_e32 v151, v75, v111
	s_waitcnt vmcnt(36)
	v_mul_f32_e32 v152, v77, v112
	s_waitcnt vmcnt(35) lgkmcnt(7)
	v_mul_f32_e32 v153, v79, v113
	s_waitcnt vmcnt(34)
	;; [unrolled: 4-line block ×8, first 2 shown]
	v_fma_f32 v71, v71, v128, -v109
	v_fmac_f32_e32 v149, v72, v128
	v_mul_f32_e32 v72, v76, v111
	s_waitcnt vmcnt(19)
	v_fma_f32 v73, v73, v129, -v110
	v_fmac_f32_e32 v150, v74, v129
	v_add_f32_e32 v71, 0, v71
	v_add_f32_e32 v74, 0, v149
	v_mul_f32_e32 v109, v78, v112
	s_waitcnt vmcnt(18)
	v_fma_f32 v72, v75, v130, -v72
	v_fmac_f32_e32 v151, v76, v130
	v_add_f32_e32 v71, v71, v73
	v_add_f32_e32 v73, v74, v150
	;; [unrolled: 6-line block ×15, first 2 shown]
	v_mul_f32_e32 v73, v106, v126
	s_waitcnt vmcnt(4)
	v_fma_f32 v74, v103, v144, -v74
	v_mul_f32_e32 v166, v105, v126
	v_add_f32_e32 v71, v71, v75
	v_fmac_f32_e32 v165, v104, v144
	v_add_f32_e32 v72, v72, v164
	s_waitcnt lgkmcnt(0)
	v_mul_f32_e32 v75, v108, v127
	s_waitcnt vmcnt(3)
	v_fma_f32 v73, v105, v145, -v73
	v_add_f32_e32 v71, v71, v74
	v_mul_f32_e32 v167, v107, v127
	v_fmac_f32_e32 v166, v106, v145
	v_add_f32_e32 v72, v72, v165
	s_waitcnt vmcnt(2)
	v_fma_f32 v74, v107, v146, -v75
	v_add_f32_e32 v71, v71, v73
	v_fmac_f32_e32 v167, v108, v146
	v_add_f32_e32 v72, v72, v166
	v_add_f32_e32 v71, v71, v74
	;; [unrolled: 1-line block ×3, first 2 shown]
	s_waitcnt vmcnt(1)
	v_sub_f32_e32 v71, v147, v71
	s_waitcnt vmcnt(0)
	v_sub_f32_e32 v72, v148, v72
	buffer_store_dword v71, off, s[0:3], 0 offset:112
	buffer_store_dword v72, off, s[0:3], 0 offset:116
	v_cmpx_lt_u32_e32 13, v0
	s_cbranch_execz .LBB97_191
; %bb.190:
	s_clause 0x1
	buffer_load_dword v71, off, s[0:3], 0 offset:104
	buffer_load_dword v72, off, s[0:3], 0 offset:108
	buffer_store_dword v70, off, s[0:3], 0 offset:104
	buffer_store_dword v70, off, s[0:3], 0 offset:108
	s_waitcnt vmcnt(0)
	ds_write_b64 v69, v[71:72]
.LBB97_191:
	s_or_b32 exec_lo, exec_lo, s4
	s_waitcnt lgkmcnt(0)
	s_waitcnt_vscnt null, 0x0
	s_barrier
	buffer_gl0_inv
	s_clause 0x29
	buffer_load_dword v111, off, s[0:3], 0 offset:116
	buffer_load_dword v112, off, s[0:3], 0 offset:124
	;; [unrolled: 1-line block ×42, first 2 shown]
	ds_read_b128 v[71:74], v70 offset:384
	ds_read_b128 v[75:78], v70 offset:400
	;; [unrolled: 1-line block ×10, first 2 shown]
	s_mov_b32 s4, exec_lo
	s_waitcnt vmcnt(41) lgkmcnt(9)
	v_mul_f32_e32 v70, v71, v111
	v_mul_f32_e32 v111, v72, v111
	s_waitcnt vmcnt(40)
	v_mul_f32_e32 v153, v73, v112
	v_mul_f32_e32 v112, v74, v112
	s_waitcnt vmcnt(39) lgkmcnt(8)
	v_mul_f32_e32 v154, v75, v113
	s_waitcnt vmcnt(38)
	v_mul_f32_e32 v155, v77, v114
	s_waitcnt vmcnt(37) lgkmcnt(7)
	v_mul_f32_e32 v156, v79, v115
	s_waitcnt vmcnt(36)
	;; [unrolled: 4-line block ×8, first 2 shown]
	v_mul_f32_e32 v169, v105, v128
	s_waitcnt vmcnt(21)
	v_fma_f32 v71, v71, v131, -v111
	v_fmac_f32_e32 v70, v72, v131
	v_mul_f32_e32 v72, v76, v113
	s_waitcnt vmcnt(20)
	v_fma_f32 v73, v73, v132, -v112
	v_fmac_f32_e32 v153, v74, v132
	v_add_f32_e32 v71, 0, v71
	v_add_f32_e32 v70, 0, v70
	v_mul_f32_e32 v74, v78, v114
	s_waitcnt vmcnt(19)
	v_fma_f32 v72, v75, v133, -v72
	v_fmac_f32_e32 v154, v76, v133
	v_add_f32_e32 v71, v71, v73
	v_add_f32_e32 v70, v70, v153
	;; [unrolled: 6-line block ×16, first 2 shown]
	s_waitcnt lgkmcnt(0)
	v_mul_f32_e32 v74, v108, v129
	s_waitcnt vmcnt(4)
	v_fma_f32 v72, v105, v148, -v72
	v_mul_f32_e32 v170, v107, v129
	v_add_f32_e32 v71, v71, v73
	v_fmac_f32_e32 v169, v106, v148
	v_add_f32_e32 v70, v70, v168
	v_mul_f32_e32 v73, v110, v130
	s_waitcnt vmcnt(3)
	v_fma_f32 v74, v107, v149, -v74
	v_add_f32_e32 v71, v71, v72
	v_mul_f32_e32 v171, v109, v130
	v_fmac_f32_e32 v170, v108, v149
	v_add_f32_e32 v70, v70, v169
	s_waitcnt vmcnt(2)
	v_fma_f32 v72, v109, v150, -v73
	v_add_f32_e32 v71, v71, v74
	v_fmac_f32_e32 v171, v110, v150
	v_add_f32_e32 v70, v70, v170
	v_add_f32_e32 v71, v71, v72
	;; [unrolled: 1-line block ×3, first 2 shown]
	s_waitcnt vmcnt(1)
	v_sub_f32_e32 v71, v151, v71
	s_waitcnt vmcnt(0)
	v_sub_f32_e32 v70, v152, v70
	buffer_store_dword v71, off, s[0:3], 0 offset:104
	buffer_store_dword v70, off, s[0:3], 0 offset:108
	v_cmpx_lt_u32_e32 12, v0
	s_cbranch_execz .LBB97_193
; %bb.192:
	s_clause 0x1
	buffer_load_dword v70, off, s[0:3], 0 offset:96
	buffer_load_dword v71, off, s[0:3], 0 offset:100
	v_mov_b32_e32 v72, 0
	buffer_store_dword v72, off, s[0:3], 0 offset:96
	buffer_store_dword v72, off, s[0:3], 0 offset:100
	s_waitcnt vmcnt(0)
	ds_write_b64 v69, v[70:71]
.LBB97_193:
	s_or_b32 exec_lo, exec_lo, s4
	s_waitcnt lgkmcnt(0)
	s_waitcnt_vscnt null, 0x0
	s_barrier
	buffer_gl0_inv
	s_clause 0x2b
	buffer_load_dword v113, off, s[0:3], 0 offset:108
	buffer_load_dword v114, off, s[0:3], 0 offset:116
	;; [unrolled: 1-line block ×44, first 2 shown]
	v_mov_b32_e32 v70, 0
	ds_read2_b64 v[71:74], v70 offset0:47 offset1:48
	ds_read2_b64 v[75:78], v70 offset0:49 offset1:50
	;; [unrolled: 1-line block ×10, first 2 shown]
	ds_read_b64 v[111:112], v70 offset:536
	s_mov_b32 s4, exec_lo
	s_waitcnt vmcnt(43) lgkmcnt(10)
	v_mul_f32_e32 v157, v71, v113
	v_mul_f32_e32 v113, v72, v113
	s_waitcnt vmcnt(42)
	v_mul_f32_e32 v158, v73, v114
	v_mul_f32_e32 v114, v74, v114
	s_waitcnt vmcnt(41) lgkmcnt(9)
	v_mul_f32_e32 v159, v75, v115
	s_waitcnt vmcnt(40)
	v_mul_f32_e32 v160, v77, v116
	s_waitcnt vmcnt(39) lgkmcnt(8)
	v_mul_f32_e32 v161, v79, v117
	s_waitcnt vmcnt(38)
	;; [unrolled: 4-line block ×9, first 2 shown]
	v_fma_f32 v71, v71, v134, -v113
	v_fmac_f32_e32 v157, v72, v134
	v_mul_f32_e32 v72, v76, v115
	s_waitcnt vmcnt(21)
	v_fma_f32 v73, v73, v135, -v114
	v_fmac_f32_e32 v158, v74, v135
	v_add_f32_e32 v71, 0, v71
	v_add_f32_e32 v74, 0, v157
	v_mul_f32_e32 v113, v78, v116
	s_waitcnt vmcnt(20)
	v_fma_f32 v72, v75, v136, -v72
	v_fmac_f32_e32 v159, v76, v136
	v_add_f32_e32 v71, v71, v73
	v_add_f32_e32 v73, v74, v158
	;; [unrolled: 6-line block ×17, first 2 shown]
	v_mul_f32_e32 v74, v110, v132
	s_waitcnt vmcnt(4)
	v_fma_f32 v75, v107, v152, -v75
	v_mul_f32_e32 v176, v109, v132
	v_add_f32_e32 v71, v71, v73
	v_fmac_f32_e32 v175, v108, v152
	v_add_f32_e32 v72, v72, v174
	s_waitcnt lgkmcnt(0)
	v_mul_f32_e32 v73, v112, v133
	s_waitcnt vmcnt(3)
	v_fma_f32 v74, v109, v153, -v74
	v_add_f32_e32 v71, v71, v75
	v_mul_f32_e32 v177, v111, v133
	v_fmac_f32_e32 v176, v110, v153
	v_add_f32_e32 v72, v72, v175
	s_waitcnt vmcnt(2)
	v_fma_f32 v73, v111, v154, -v73
	v_add_f32_e32 v71, v71, v74
	v_fmac_f32_e32 v177, v112, v154
	v_add_f32_e32 v72, v72, v176
	v_add_f32_e32 v71, v71, v73
	;; [unrolled: 1-line block ×3, first 2 shown]
	s_waitcnt vmcnt(1)
	v_sub_f32_e32 v71, v155, v71
	s_waitcnt vmcnt(0)
	v_sub_f32_e32 v72, v156, v72
	buffer_store_dword v71, off, s[0:3], 0 offset:96
	buffer_store_dword v72, off, s[0:3], 0 offset:100
	v_cmpx_lt_u32_e32 11, v0
	s_cbranch_execz .LBB97_195
; %bb.194:
	s_clause 0x1
	buffer_load_dword v71, off, s[0:3], 0 offset:88
	buffer_load_dword v72, off, s[0:3], 0 offset:92
	buffer_store_dword v70, off, s[0:3], 0 offset:88
	buffer_store_dword v70, off, s[0:3], 0 offset:92
	s_waitcnt vmcnt(0)
	ds_write_b64 v69, v[71:72]
.LBB97_195:
	s_or_b32 exec_lo, exec_lo, s4
	s_waitcnt lgkmcnt(0)
	s_waitcnt_vscnt null, 0x0
	s_barrier
	buffer_gl0_inv
	s_clause 0x2d
	buffer_load_dword v115, off, s[0:3], 0 offset:100
	buffer_load_dword v116, off, s[0:3], 0 offset:108
	;; [unrolled: 1-line block ×46, first 2 shown]
	ds_read_b128 v[71:74], v70 offset:368
	ds_read_b128 v[75:78], v70 offset:384
	;; [unrolled: 1-line block ×11, first 2 shown]
	s_mov_b32 s4, exec_lo
	s_waitcnt vmcnt(45) lgkmcnt(10)
	v_mul_f32_e32 v70, v71, v115
	v_mul_f32_e32 v115, v72, v115
	s_waitcnt vmcnt(44)
	v_mul_f32_e32 v161, v73, v116
	v_mul_f32_e32 v116, v74, v116
	s_waitcnt vmcnt(43) lgkmcnt(9)
	v_mul_f32_e32 v162, v75, v117
	s_waitcnt vmcnt(42)
	v_mul_f32_e32 v163, v77, v118
	s_waitcnt vmcnt(41) lgkmcnt(8)
	v_mul_f32_e32 v164, v79, v119
	s_waitcnt vmcnt(40)
	;; [unrolled: 4-line block ×9, first 2 shown]
	v_mul_f32_e32 v179, v109, v134
	s_waitcnt vmcnt(23)
	v_fma_f32 v71, v71, v137, -v115
	v_fmac_f32_e32 v70, v72, v137
	v_mul_f32_e32 v72, v76, v117
	s_waitcnt vmcnt(22)
	v_fma_f32 v73, v73, v138, -v116
	v_fmac_f32_e32 v161, v74, v138
	v_add_f32_e32 v71, 0, v71
	v_add_f32_e32 v70, 0, v70
	v_mul_f32_e32 v74, v78, v118
	s_waitcnt vmcnt(21)
	v_fma_f32 v72, v75, v139, -v72
	v_fmac_f32_e32 v162, v76, v139
	v_add_f32_e32 v71, v71, v73
	v_add_f32_e32 v70, v70, v161
	;; [unrolled: 6-line block ×18, first 2 shown]
	s_waitcnt lgkmcnt(0)
	v_mul_f32_e32 v72, v112, v135
	s_waitcnt vmcnt(4)
	v_fma_f32 v73, v109, v156, -v73
	v_mul_f32_e32 v180, v111, v135
	v_add_f32_e32 v71, v71, v74
	v_fmac_f32_e32 v179, v110, v156
	v_add_f32_e32 v70, v70, v178
	v_mul_f32_e32 v74, v114, v136
	s_waitcnt vmcnt(3)
	v_fma_f32 v72, v111, v157, -v72
	v_add_f32_e32 v71, v71, v73
	v_mul_f32_e32 v181, v113, v136
	v_fmac_f32_e32 v180, v112, v157
	v_add_f32_e32 v70, v70, v179
	s_waitcnt vmcnt(2)
	v_fma_f32 v73, v113, v158, -v74
	v_add_f32_e32 v71, v71, v72
	v_fmac_f32_e32 v181, v114, v158
	v_add_f32_e32 v70, v70, v180
	v_add_f32_e32 v71, v71, v73
	;; [unrolled: 1-line block ×3, first 2 shown]
	s_waitcnt vmcnt(1)
	v_sub_f32_e32 v71, v159, v71
	s_waitcnt vmcnt(0)
	v_sub_f32_e32 v70, v160, v70
	buffer_store_dword v71, off, s[0:3], 0 offset:88
	buffer_store_dword v70, off, s[0:3], 0 offset:92
	v_cmpx_lt_u32_e32 10, v0
	s_cbranch_execz .LBB97_197
; %bb.196:
	s_clause 0x1
	buffer_load_dword v70, off, s[0:3], 0 offset:80
	buffer_load_dword v71, off, s[0:3], 0 offset:84
	v_mov_b32_e32 v72, 0
	buffer_store_dword v72, off, s[0:3], 0 offset:80
	buffer_store_dword v72, off, s[0:3], 0 offset:84
	s_waitcnt vmcnt(0)
	ds_write_b64 v69, v[70:71]
.LBB97_197:
	s_or_b32 exec_lo, exec_lo, s4
	s_waitcnt lgkmcnt(0)
	s_waitcnt_vscnt null, 0x0
	s_barrier
	buffer_gl0_inv
	s_clause 0x2f
	buffer_load_dword v117, off, s[0:3], 0 offset:92
	buffer_load_dword v118, off, s[0:3], 0 offset:100
	;; [unrolled: 1-line block ×48, first 2 shown]
	v_mov_b32_e32 v70, 0
	ds_read2_b64 v[71:74], v70 offset0:45 offset1:46
	ds_read2_b64 v[75:78], v70 offset0:47 offset1:48
	;; [unrolled: 1-line block ×11, first 2 shown]
	ds_read_b64 v[115:116], v70 offset:536
	s_mov_b32 s4, exec_lo
	s_waitcnt vmcnt(47) lgkmcnt(11)
	v_mul_f32_e32 v165, v71, v117
	v_mul_f32_e32 v117, v72, v117
	s_waitcnt vmcnt(46)
	v_mul_f32_e32 v166, v73, v118
	v_mul_f32_e32 v118, v74, v118
	s_waitcnt vmcnt(45) lgkmcnt(10)
	v_mul_f32_e32 v167, v75, v119
	s_waitcnt vmcnt(44)
	v_mul_f32_e32 v168, v77, v120
	s_waitcnt vmcnt(43) lgkmcnt(9)
	v_mul_f32_e32 v169, v79, v121
	s_waitcnt vmcnt(42)
	;; [unrolled: 4-line block ×10, first 2 shown]
	v_fma_f32 v71, v71, v140, -v117
	v_fmac_f32_e32 v165, v72, v140
	v_mul_f32_e32 v72, v76, v119
	s_waitcnt vmcnt(23)
	v_fma_f32 v73, v73, v141, -v118
	v_fmac_f32_e32 v166, v74, v141
	v_add_f32_e32 v71, 0, v71
	v_add_f32_e32 v74, 0, v165
	v_mul_f32_e32 v117, v78, v120
	s_waitcnt vmcnt(22)
	v_fma_f32 v72, v75, v142, -v72
	v_fmac_f32_e32 v167, v76, v142
	v_add_f32_e32 v71, v71, v73
	v_add_f32_e32 v73, v74, v166
	;; [unrolled: 6-line block ×19, first 2 shown]
	v_mul_f32_e32 v75, v114, v138
	s_waitcnt vmcnt(4)
	v_fma_f32 v73, v111, v160, -v73
	v_mul_f32_e32 v186, v113, v138
	v_add_f32_e32 v71, v71, v74
	v_fmac_f32_e32 v185, v112, v160
	v_add_f32_e32 v72, v72, v184
	s_waitcnt lgkmcnt(0)
	v_mul_f32_e32 v74, v116, v139
	s_waitcnt vmcnt(3)
	v_fma_f32 v75, v113, v161, -v75
	v_add_f32_e32 v71, v71, v73
	v_mul_f32_e32 v187, v115, v139
	v_fmac_f32_e32 v186, v114, v161
	v_add_f32_e32 v72, v72, v185
	s_waitcnt vmcnt(2)
	v_fma_f32 v73, v115, v162, -v74
	v_add_f32_e32 v71, v71, v75
	v_fmac_f32_e32 v187, v116, v162
	v_add_f32_e32 v72, v72, v186
	v_add_f32_e32 v71, v71, v73
	v_add_f32_e32 v72, v72, v187
	s_waitcnt vmcnt(1)
	v_sub_f32_e32 v71, v163, v71
	s_waitcnt vmcnt(0)
	v_sub_f32_e32 v72, v164, v72
	buffer_store_dword v71, off, s[0:3], 0 offset:80
	buffer_store_dword v72, off, s[0:3], 0 offset:84
	v_cmpx_lt_u32_e32 9, v0
	s_cbranch_execz .LBB97_199
; %bb.198:
	s_clause 0x1
	buffer_load_dword v71, off, s[0:3], 0 offset:72
	buffer_load_dword v72, off, s[0:3], 0 offset:76
	buffer_store_dword v70, off, s[0:3], 0 offset:72
	buffer_store_dword v70, off, s[0:3], 0 offset:76
	s_waitcnt vmcnt(0)
	ds_write_b64 v69, v[71:72]
.LBB97_199:
	s_or_b32 exec_lo, exec_lo, s4
	s_waitcnt lgkmcnt(0)
	s_waitcnt_vscnt null, 0x0
	s_barrier
	buffer_gl0_inv
	s_clause 0x31
	buffer_load_dword v119, off, s[0:3], 0 offset:84
	buffer_load_dword v120, off, s[0:3], 0 offset:92
	;; [unrolled: 1-line block ×50, first 2 shown]
	ds_read_b128 v[71:74], v70 offset:352
	ds_read_b128 v[75:78], v70 offset:368
	;; [unrolled: 1-line block ×12, first 2 shown]
	s_mov_b32 s4, exec_lo
	s_waitcnt vmcnt(49) lgkmcnt(11)
	v_mul_f32_e32 v70, v71, v119
	v_mul_f32_e32 v119, v72, v119
	s_waitcnt vmcnt(48)
	v_mul_f32_e32 v169, v73, v120
	v_mul_f32_e32 v120, v74, v120
	s_waitcnt vmcnt(47) lgkmcnt(10)
	v_mul_f32_e32 v170, v75, v121
	s_waitcnt vmcnt(46)
	v_mul_f32_e32 v171, v77, v122
	s_waitcnt vmcnt(45) lgkmcnt(9)
	v_mul_f32_e32 v172, v79, v123
	s_waitcnt vmcnt(44)
	;; [unrolled: 4-line block ×10, first 2 shown]
	v_mul_f32_e32 v189, v113, v140
	s_waitcnt vmcnt(25)
	v_fma_f32 v71, v71, v143, -v119
	v_fmac_f32_e32 v70, v72, v143
	v_mul_f32_e32 v72, v76, v121
	s_waitcnt vmcnt(24)
	v_fma_f32 v73, v73, v144, -v120
	v_fmac_f32_e32 v169, v74, v144
	v_add_f32_e32 v71, 0, v71
	v_add_f32_e32 v70, 0, v70
	v_mul_f32_e32 v74, v78, v122
	s_waitcnt vmcnt(23)
	v_fma_f32 v72, v75, v145, -v72
	v_fmac_f32_e32 v170, v76, v145
	v_add_f32_e32 v71, v71, v73
	v_add_f32_e32 v70, v70, v169
	;; [unrolled: 6-line block ×20, first 2 shown]
	s_waitcnt lgkmcnt(0)
	v_mul_f32_e32 v73, v116, v141
	s_waitcnt vmcnt(4)
	v_fma_f32 v74, v113, v164, -v74
	v_mul_f32_e32 v190, v115, v141
	v_add_f32_e32 v71, v71, v72
	v_fmac_f32_e32 v189, v114, v164
	v_add_f32_e32 v70, v70, v188
	v_mul_f32_e32 v72, v118, v142
	s_waitcnt vmcnt(3)
	v_fma_f32 v73, v115, v165, -v73
	v_add_f32_e32 v71, v71, v74
	v_mul_f32_e32 v191, v117, v142
	v_fmac_f32_e32 v190, v116, v165
	v_add_f32_e32 v70, v70, v189
	s_waitcnt vmcnt(2)
	v_fma_f32 v72, v117, v166, -v72
	v_add_f32_e32 v71, v71, v73
	v_fmac_f32_e32 v191, v118, v166
	v_add_f32_e32 v70, v70, v190
	v_add_f32_e32 v71, v71, v72
	;; [unrolled: 1-line block ×3, first 2 shown]
	s_waitcnt vmcnt(1)
	v_sub_f32_e32 v71, v167, v71
	s_waitcnt vmcnt(0)
	v_sub_f32_e32 v70, v168, v70
	buffer_store_dword v71, off, s[0:3], 0 offset:72
	buffer_store_dword v70, off, s[0:3], 0 offset:76
	v_cmpx_lt_u32_e32 8, v0
	s_cbranch_execz .LBB97_201
; %bb.200:
	s_clause 0x1
	buffer_load_dword v70, off, s[0:3], 0 offset:64
	buffer_load_dword v71, off, s[0:3], 0 offset:68
	v_mov_b32_e32 v72, 0
	buffer_store_dword v72, off, s[0:3], 0 offset:64
	buffer_store_dword v72, off, s[0:3], 0 offset:68
	s_waitcnt vmcnt(0)
	ds_write_b64 v69, v[70:71]
.LBB97_201:
	s_or_b32 exec_lo, exec_lo, s4
	s_waitcnt lgkmcnt(0)
	s_waitcnt_vscnt null, 0x0
	s_barrier
	buffer_gl0_inv
	s_clause 0x33
	buffer_load_dword v121, off, s[0:3], 0 offset:76
	buffer_load_dword v122, off, s[0:3], 0 offset:84
	;; [unrolled: 1-line block ×52, first 2 shown]
	v_mov_b32_e32 v70, 0
	ds_read2_b64 v[71:74], v70 offset0:43 offset1:44
	ds_read2_b64 v[75:78], v70 offset0:45 offset1:46
	ds_read2_b64 v[79:82], v70 offset0:47 offset1:48
	ds_read2_b64 v[83:86], v70 offset0:49 offset1:50
	ds_read2_b64 v[87:90], v70 offset0:51 offset1:52
	ds_read2_b64 v[91:94], v70 offset0:53 offset1:54
	ds_read2_b64 v[95:98], v70 offset0:55 offset1:56
	ds_read2_b64 v[99:102], v70 offset0:57 offset1:58
	ds_read2_b64 v[103:106], v70 offset0:59 offset1:60
	ds_read2_b64 v[107:110], v70 offset0:61 offset1:62
	ds_read2_b64 v[111:114], v70 offset0:63 offset1:64
	ds_read2_b64 v[115:118], v70 offset0:65 offset1:66
	ds_read_b64 v[119:120], v70 offset:536
	s_mov_b32 s4, exec_lo
	s_waitcnt vmcnt(51) lgkmcnt(12)
	v_mul_f32_e32 v173, v71, v121
	v_mul_f32_e32 v121, v72, v121
	s_waitcnt vmcnt(50)
	v_mul_f32_e32 v174, v73, v122
	v_mul_f32_e32 v122, v74, v122
	s_waitcnt vmcnt(49) lgkmcnt(11)
	v_mul_f32_e32 v175, v75, v123
	s_waitcnt vmcnt(48)
	v_mul_f32_e32 v176, v77, v124
	s_waitcnt vmcnt(47) lgkmcnt(10)
	v_mul_f32_e32 v177, v79, v125
	s_waitcnt vmcnt(46)
	;; [unrolled: 4-line block ×11, first 2 shown]
	v_fma_f32 v71, v71, v146, -v121
	v_fmac_f32_e32 v173, v72, v146
	v_mul_f32_e32 v72, v76, v123
	s_waitcnt vmcnt(25)
	v_fma_f32 v73, v73, v147, -v122
	v_fmac_f32_e32 v174, v74, v147
	v_add_f32_e32 v71, 0, v71
	v_add_f32_e32 v74, 0, v173
	v_mul_f32_e32 v121, v78, v124
	s_waitcnt vmcnt(24)
	v_fma_f32 v72, v75, v148, -v72
	v_fmac_f32_e32 v175, v76, v148
	v_add_f32_e32 v71, v71, v73
	v_add_f32_e32 v73, v74, v174
	;; [unrolled: 6-line block ×21, first 2 shown]
	v_mul_f32_e32 v73, v118, v144
	s_waitcnt vmcnt(4)
	v_fma_f32 v74, v115, v168, -v74
	v_mul_f32_e32 v196, v117, v144
	v_add_f32_e32 v71, v71, v75
	v_fmac_f32_e32 v195, v116, v168
	v_add_f32_e32 v72, v72, v194
	s_waitcnt lgkmcnt(0)
	v_mul_f32_e32 v75, v120, v145
	s_waitcnt vmcnt(3)
	v_fma_f32 v73, v117, v169, -v73
	v_add_f32_e32 v71, v71, v74
	v_mul_f32_e32 v197, v119, v145
	v_fmac_f32_e32 v196, v118, v169
	v_add_f32_e32 v72, v72, v195
	s_waitcnt vmcnt(2)
	v_fma_f32 v74, v119, v170, -v75
	v_add_f32_e32 v71, v71, v73
	v_fmac_f32_e32 v197, v120, v170
	v_add_f32_e32 v72, v72, v196
	v_add_f32_e32 v71, v71, v74
	;; [unrolled: 1-line block ×3, first 2 shown]
	s_waitcnt vmcnt(1)
	v_sub_f32_e32 v71, v171, v71
	s_waitcnt vmcnt(0)
	v_sub_f32_e32 v72, v172, v72
	buffer_store_dword v71, off, s[0:3], 0 offset:64
	buffer_store_dword v72, off, s[0:3], 0 offset:68
	v_cmpx_lt_u32_e32 7, v0
	s_cbranch_execz .LBB97_203
; %bb.202:
	s_clause 0x1
	buffer_load_dword v71, off, s[0:3], 0 offset:56
	buffer_load_dword v72, off, s[0:3], 0 offset:60
	buffer_store_dword v70, off, s[0:3], 0 offset:56
	buffer_store_dword v70, off, s[0:3], 0 offset:60
	s_waitcnt vmcnt(0)
	ds_write_b64 v69, v[71:72]
.LBB97_203:
	s_or_b32 exec_lo, exec_lo, s4
	s_waitcnt lgkmcnt(0)
	s_waitcnt_vscnt null, 0x0
	s_barrier
	buffer_gl0_inv
	s_clause 0x35
	buffer_load_dword v123, off, s[0:3], 0 offset:68
	buffer_load_dword v124, off, s[0:3], 0 offset:76
	;; [unrolled: 1-line block ×54, first 2 shown]
	ds_read_b128 v[71:74], v70 offset:336
	ds_read_b128 v[75:78], v70 offset:352
	;; [unrolled: 1-line block ×13, first 2 shown]
	s_mov_b32 s4, exec_lo
	s_waitcnt vmcnt(53) lgkmcnt(12)
	v_mul_f32_e32 v70, v71, v123
	v_mul_f32_e32 v123, v72, v123
	s_waitcnt vmcnt(52)
	v_mul_f32_e32 v177, v73, v124
	v_mul_f32_e32 v124, v74, v124
	s_waitcnt vmcnt(51) lgkmcnt(11)
	v_mul_f32_e32 v178, v75, v125
	s_waitcnt vmcnt(50)
	v_mul_f32_e32 v179, v77, v126
	s_waitcnt vmcnt(49) lgkmcnt(10)
	v_mul_f32_e32 v180, v79, v127
	s_waitcnt vmcnt(48)
	;; [unrolled: 4-line block ×11, first 2 shown]
	v_mul_f32_e32 v199, v117, v146
	s_waitcnt vmcnt(27)
	v_fma_f32 v71, v71, v149, -v123
	v_fmac_f32_e32 v70, v72, v149
	v_mul_f32_e32 v72, v76, v125
	s_waitcnt vmcnt(26)
	v_fma_f32 v73, v73, v150, -v124
	v_fmac_f32_e32 v177, v74, v150
	v_add_f32_e32 v71, 0, v71
	v_add_f32_e32 v70, 0, v70
	v_mul_f32_e32 v74, v78, v126
	s_waitcnt vmcnt(25)
	v_fma_f32 v72, v75, v151, -v72
	v_fmac_f32_e32 v178, v76, v151
	v_add_f32_e32 v71, v71, v73
	v_add_f32_e32 v70, v70, v177
	;; [unrolled: 6-line block ×22, first 2 shown]
	s_waitcnt lgkmcnt(0)
	v_mul_f32_e32 v74, v120, v147
	s_waitcnt vmcnt(4)
	v_fma_f32 v72, v117, v172, -v72
	v_mul_f32_e32 v200, v119, v147
	v_add_f32_e32 v71, v71, v73
	v_fmac_f32_e32 v199, v118, v172
	v_add_f32_e32 v70, v70, v198
	v_mul_f32_e32 v73, v122, v148
	s_waitcnt vmcnt(3)
	v_fma_f32 v74, v119, v173, -v74
	v_add_f32_e32 v71, v71, v72
	v_mul_f32_e32 v201, v121, v148
	v_fmac_f32_e32 v200, v120, v173
	v_add_f32_e32 v70, v70, v199
	s_waitcnt vmcnt(2)
	v_fma_f32 v72, v121, v174, -v73
	v_add_f32_e32 v71, v71, v74
	v_fmac_f32_e32 v201, v122, v174
	v_add_f32_e32 v70, v70, v200
	v_add_f32_e32 v71, v71, v72
	;; [unrolled: 1-line block ×3, first 2 shown]
	s_waitcnt vmcnt(1)
	v_sub_f32_e32 v71, v175, v71
	s_waitcnt vmcnt(0)
	v_sub_f32_e32 v70, v176, v70
	buffer_store_dword v71, off, s[0:3], 0 offset:56
	buffer_store_dword v70, off, s[0:3], 0 offset:60
	v_cmpx_lt_u32_e32 6, v0
	s_cbranch_execz .LBB97_205
; %bb.204:
	s_clause 0x1
	buffer_load_dword v70, off, s[0:3], 0 offset:48
	buffer_load_dword v71, off, s[0:3], 0 offset:52
	v_mov_b32_e32 v72, 0
	buffer_store_dword v72, off, s[0:3], 0 offset:48
	buffer_store_dword v72, off, s[0:3], 0 offset:52
	s_waitcnt vmcnt(0)
	ds_write_b64 v69, v[70:71]
.LBB97_205:
	s_or_b32 exec_lo, exec_lo, s4
	s_waitcnt lgkmcnt(0)
	s_waitcnt_vscnt null, 0x0
	s_barrier
	buffer_gl0_inv
	s_clause 0x37
	buffer_load_dword v125, off, s[0:3], 0 offset:60
	buffer_load_dword v126, off, s[0:3], 0 offset:68
	;; [unrolled: 1-line block ×56, first 2 shown]
	v_mov_b32_e32 v70, 0
	ds_read2_b64 v[71:74], v70 offset0:41 offset1:42
	ds_read2_b64 v[75:78], v70 offset0:43 offset1:44
	;; [unrolled: 1-line block ×13, first 2 shown]
	ds_read_b64 v[123:124], v70 offset:536
	s_mov_b32 s4, exec_lo
	s_waitcnt vmcnt(55) lgkmcnt(13)
	v_mul_f32_e32 v181, v71, v125
	v_mul_f32_e32 v125, v72, v125
	s_waitcnt vmcnt(54)
	v_mul_f32_e32 v182, v73, v126
	v_mul_f32_e32 v126, v74, v126
	s_waitcnt vmcnt(53) lgkmcnt(12)
	v_mul_f32_e32 v183, v75, v127
	s_waitcnt vmcnt(52)
	v_mul_f32_e32 v184, v77, v128
	s_waitcnt vmcnt(51) lgkmcnt(11)
	v_mul_f32_e32 v185, v79, v129
	s_waitcnt vmcnt(50)
	;; [unrolled: 4-line block ×12, first 2 shown]
	v_fma_f32 v71, v71, v152, -v125
	v_fmac_f32_e32 v181, v72, v152
	v_mul_f32_e32 v72, v76, v127
	s_waitcnt vmcnt(27)
	v_fma_f32 v73, v73, v153, -v126
	v_fmac_f32_e32 v182, v74, v153
	v_add_f32_e32 v71, 0, v71
	v_add_f32_e32 v74, 0, v181
	v_mul_f32_e32 v125, v78, v128
	s_waitcnt vmcnt(26)
	v_fma_f32 v72, v75, v154, -v72
	v_fmac_f32_e32 v183, v76, v154
	v_add_f32_e32 v71, v71, v73
	v_add_f32_e32 v73, v74, v182
	;; [unrolled: 6-line block ×23, first 2 shown]
	v_mul_f32_e32 v74, v122, v150
	s_waitcnt vmcnt(4)
	v_fma_f32 v75, v119, v176, -v75
	v_mul_f32_e32 v206, v121, v150
	v_add_f32_e32 v71, v71, v73
	v_fmac_f32_e32 v205, v120, v176
	v_add_f32_e32 v72, v72, v204
	s_waitcnt lgkmcnt(0)
	v_mul_f32_e32 v73, v124, v151
	s_waitcnt vmcnt(3)
	v_fma_f32 v74, v121, v177, -v74
	v_add_f32_e32 v71, v71, v75
	v_mul_f32_e32 v207, v123, v151
	v_fmac_f32_e32 v206, v122, v177
	v_add_f32_e32 v72, v72, v205
	s_waitcnt vmcnt(2)
	v_fma_f32 v73, v123, v178, -v73
	v_add_f32_e32 v71, v71, v74
	v_fmac_f32_e32 v207, v124, v178
	v_add_f32_e32 v72, v72, v206
	v_add_f32_e32 v71, v71, v73
	v_add_f32_e32 v72, v72, v207
	s_waitcnt vmcnt(1)
	v_sub_f32_e32 v71, v179, v71
	s_waitcnt vmcnt(0)
	v_sub_f32_e32 v72, v180, v72
	buffer_store_dword v71, off, s[0:3], 0 offset:48
	buffer_store_dword v72, off, s[0:3], 0 offset:52
	v_cmpx_lt_u32_e32 5, v0
	s_cbranch_execz .LBB97_207
; %bb.206:
	s_clause 0x1
	buffer_load_dword v71, off, s[0:3], 0 offset:40
	buffer_load_dword v72, off, s[0:3], 0 offset:44
	buffer_store_dword v70, off, s[0:3], 0 offset:40
	buffer_store_dword v70, off, s[0:3], 0 offset:44
	s_waitcnt vmcnt(0)
	ds_write_b64 v69, v[71:72]
.LBB97_207:
	s_or_b32 exec_lo, exec_lo, s4
	s_waitcnt lgkmcnt(0)
	s_waitcnt_vscnt null, 0x0
	s_barrier
	buffer_gl0_inv
	s_clause 0x39
	buffer_load_dword v127, off, s[0:3], 0 offset:52
	buffer_load_dword v128, off, s[0:3], 0 offset:60
	;; [unrolled: 1-line block ×58, first 2 shown]
	ds_read_b128 v[71:74], v70 offset:320
	ds_read_b128 v[75:78], v70 offset:336
	;; [unrolled: 1-line block ×14, first 2 shown]
	s_mov_b32 s4, exec_lo
	s_waitcnt vmcnt(57) lgkmcnt(13)
	v_mul_f32_e32 v70, v71, v127
	v_mul_f32_e32 v127, v72, v127
	s_waitcnt vmcnt(56)
	v_mul_f32_e32 v185, v73, v128
	v_mul_f32_e32 v128, v74, v128
	s_waitcnt vmcnt(55) lgkmcnt(12)
	v_mul_f32_e32 v186, v75, v129
	s_waitcnt vmcnt(54)
	v_mul_f32_e32 v187, v77, v130
	s_waitcnt vmcnt(53) lgkmcnt(11)
	v_mul_f32_e32 v188, v79, v131
	s_waitcnt vmcnt(52)
	;; [unrolled: 4-line block ×12, first 2 shown]
	v_mul_f32_e32 v209, v121, v152
	s_waitcnt vmcnt(29)
	v_fma_f32 v71, v71, v155, -v127
	v_fmac_f32_e32 v70, v72, v155
	v_mul_f32_e32 v72, v76, v129
	s_waitcnt vmcnt(28)
	v_fma_f32 v73, v73, v156, -v128
	v_fmac_f32_e32 v185, v74, v156
	v_add_f32_e32 v71, 0, v71
	v_add_f32_e32 v70, 0, v70
	v_mul_f32_e32 v74, v78, v130
	s_waitcnt vmcnt(27)
	v_fma_f32 v72, v75, v157, -v72
	v_fmac_f32_e32 v186, v76, v157
	v_add_f32_e32 v71, v71, v73
	v_add_f32_e32 v70, v70, v185
	;; [unrolled: 6-line block ×24, first 2 shown]
	s_waitcnt lgkmcnt(0)
	v_mul_f32_e32 v72, v124, v153
	s_waitcnt vmcnt(4)
	v_fma_f32 v73, v121, v180, -v73
	v_mul_f32_e32 v210, v123, v153
	v_add_f32_e32 v71, v71, v74
	v_fmac_f32_e32 v209, v122, v180
	v_add_f32_e32 v70, v70, v208
	v_mul_f32_e32 v74, v126, v154
	s_waitcnt vmcnt(3)
	v_fma_f32 v72, v123, v181, -v72
	v_add_f32_e32 v71, v71, v73
	v_mul_f32_e32 v211, v125, v154
	v_fmac_f32_e32 v210, v124, v181
	v_add_f32_e32 v70, v70, v209
	s_waitcnt vmcnt(2)
	v_fma_f32 v73, v125, v182, -v74
	v_add_f32_e32 v71, v71, v72
	v_fmac_f32_e32 v211, v126, v182
	v_add_f32_e32 v70, v70, v210
	v_add_f32_e32 v71, v71, v73
	;; [unrolled: 1-line block ×3, first 2 shown]
	s_waitcnt vmcnt(1)
	v_sub_f32_e32 v71, v183, v71
	s_waitcnt vmcnt(0)
	v_sub_f32_e32 v70, v184, v70
	buffer_store_dword v71, off, s[0:3], 0 offset:40
	buffer_store_dword v70, off, s[0:3], 0 offset:44
	v_cmpx_lt_u32_e32 4, v0
	s_cbranch_execz .LBB97_209
; %bb.208:
	s_clause 0x1
	buffer_load_dword v70, off, s[0:3], 0 offset:32
	buffer_load_dword v71, off, s[0:3], 0 offset:36
	v_mov_b32_e32 v72, 0
	buffer_store_dword v72, off, s[0:3], 0 offset:32
	buffer_store_dword v72, off, s[0:3], 0 offset:36
	s_waitcnt vmcnt(0)
	ds_write_b64 v69, v[70:71]
.LBB97_209:
	s_or_b32 exec_lo, exec_lo, s4
	s_waitcnt lgkmcnt(0)
	s_waitcnt_vscnt null, 0x0
	s_barrier
	buffer_gl0_inv
	s_clause 0x3b
	buffer_load_dword v129, off, s[0:3], 0 offset:44
	buffer_load_dword v130, off, s[0:3], 0 offset:52
	;; [unrolled: 1-line block ×60, first 2 shown]
	v_mov_b32_e32 v70, 0
	ds_read2_b64 v[71:74], v70 offset0:39 offset1:40
	ds_read2_b64 v[75:78], v70 offset0:41 offset1:42
	;; [unrolled: 1-line block ×14, first 2 shown]
	ds_read_b64 v[127:128], v70 offset:536
	s_mov_b32 s4, exec_lo
	s_waitcnt vmcnt(59) lgkmcnt(14)
	v_mul_f32_e32 v189, v71, v129
	v_mul_f32_e32 v129, v72, v129
	s_waitcnt vmcnt(58)
	v_mul_f32_e32 v190, v73, v130
	v_mul_f32_e32 v130, v74, v130
	s_waitcnt vmcnt(57) lgkmcnt(13)
	v_mul_f32_e32 v191, v75, v131
	s_waitcnt vmcnt(56)
	v_mul_f32_e32 v192, v77, v132
	s_waitcnt vmcnt(55) lgkmcnt(12)
	v_mul_f32_e32 v193, v79, v133
	s_waitcnt vmcnt(54)
	;; [unrolled: 4-line block ×13, first 2 shown]
	v_fma_f32 v71, v71, v158, -v129
	v_fmac_f32_e32 v189, v72, v158
	v_mul_f32_e32 v72, v76, v131
	s_waitcnt vmcnt(29)
	v_fma_f32 v73, v73, v159, -v130
	v_fmac_f32_e32 v190, v74, v159
	v_add_f32_e32 v71, 0, v71
	v_add_f32_e32 v74, 0, v189
	v_mul_f32_e32 v129, v78, v132
	s_waitcnt vmcnt(28)
	v_fma_f32 v72, v75, v160, -v72
	v_fmac_f32_e32 v191, v76, v160
	v_add_f32_e32 v71, v71, v73
	v_add_f32_e32 v73, v74, v190
	;; [unrolled: 6-line block ×25, first 2 shown]
	v_mul_f32_e32 v75, v126, v156
	s_waitcnt vmcnt(4)
	v_fma_f32 v73, v123, v184, -v73
	v_mul_f32_e32 v216, v125, v156
	v_add_f32_e32 v71, v71, v74
	v_fmac_f32_e32 v215, v124, v184
	v_add_f32_e32 v72, v72, v214
	s_waitcnt lgkmcnt(0)
	v_mul_f32_e32 v74, v128, v157
	s_waitcnt vmcnt(3)
	v_fma_f32 v75, v125, v185, -v75
	v_add_f32_e32 v71, v71, v73
	v_mul_f32_e32 v217, v127, v157
	v_fmac_f32_e32 v216, v126, v185
	v_add_f32_e32 v72, v72, v215
	s_waitcnt vmcnt(2)
	v_fma_f32 v73, v127, v186, -v74
	v_add_f32_e32 v71, v71, v75
	v_fmac_f32_e32 v217, v128, v186
	v_add_f32_e32 v72, v72, v216
	v_add_f32_e32 v71, v71, v73
	;; [unrolled: 1-line block ×3, first 2 shown]
	s_waitcnt vmcnt(1)
	v_sub_f32_e32 v71, v187, v71
	s_waitcnt vmcnt(0)
	v_sub_f32_e32 v72, v188, v72
	buffer_store_dword v71, off, s[0:3], 0 offset:32
	buffer_store_dword v72, off, s[0:3], 0 offset:36
	v_cmpx_lt_u32_e32 3, v0
	s_cbranch_execz .LBB97_211
; %bb.210:
	s_clause 0x1
	buffer_load_dword v71, off, s[0:3], 0 offset:24
	buffer_load_dword v72, off, s[0:3], 0 offset:28
	buffer_store_dword v70, off, s[0:3], 0 offset:24
	buffer_store_dword v70, off, s[0:3], 0 offset:28
	s_waitcnt vmcnt(0)
	ds_write_b64 v69, v[71:72]
.LBB97_211:
	s_or_b32 exec_lo, exec_lo, s4
	s_waitcnt lgkmcnt(0)
	s_waitcnt_vscnt null, 0x0
	s_barrier
	buffer_gl0_inv
	s_clause 0x3d
	buffer_load_dword v131, off, s[0:3], 0 offset:36
	buffer_load_dword v132, off, s[0:3], 0 offset:44
	;; [unrolled: 1-line block ×62, first 2 shown]
	ds_read_b128 v[71:74], v70 offset:304
	ds_read_b128 v[75:78], v70 offset:320
	;; [unrolled: 1-line block ×15, first 2 shown]
	s_mov_b32 s4, exec_lo
	s_waitcnt vmcnt(61) lgkmcnt(14)
	v_mul_f32_e32 v70, v71, v131
	v_mul_f32_e32 v131, v72, v131
	s_waitcnt vmcnt(60)
	v_mul_f32_e32 v193, v73, v132
	v_mul_f32_e32 v132, v74, v132
	s_waitcnt vmcnt(59) lgkmcnt(13)
	v_mul_f32_e32 v194, v75, v133
	s_waitcnt vmcnt(58)
	v_mul_f32_e32 v195, v77, v134
	s_waitcnt vmcnt(57) lgkmcnt(12)
	v_mul_f32_e32 v196, v79, v135
	s_waitcnt vmcnt(56)
	;; [unrolled: 4-line block ×13, first 2 shown]
	v_mul_f32_e32 v219, v125, v158
	s_waitcnt vmcnt(31)
	v_fma_f32 v71, v71, v161, -v131
	v_fmac_f32_e32 v70, v72, v161
	v_mul_f32_e32 v72, v76, v133
	s_waitcnt vmcnt(30)
	v_fma_f32 v73, v73, v162, -v132
	v_fmac_f32_e32 v193, v74, v162
	v_add_f32_e32 v71, 0, v71
	v_add_f32_e32 v70, 0, v70
	v_mul_f32_e32 v74, v78, v134
	s_waitcnt vmcnt(29)
	v_fma_f32 v72, v75, v163, -v72
	v_fmac_f32_e32 v194, v76, v163
	v_add_f32_e32 v71, v71, v73
	v_add_f32_e32 v70, v70, v193
	;; [unrolled: 6-line block ×26, first 2 shown]
	s_waitcnt lgkmcnt(0)
	v_mul_f32_e32 v73, v128, v159
	s_waitcnt vmcnt(4)
	v_fma_f32 v74, v125, v188, -v74
	v_mul_f32_e32 v220, v127, v159
	v_add_f32_e32 v71, v71, v72
	v_fmac_f32_e32 v219, v126, v188
	v_add_f32_e32 v70, v70, v218
	v_mul_f32_e32 v72, v130, v160
	s_waitcnt vmcnt(3)
	v_fma_f32 v73, v127, v189, -v73
	v_add_f32_e32 v71, v71, v74
	v_mul_f32_e32 v221, v129, v160
	v_fmac_f32_e32 v220, v128, v189
	v_add_f32_e32 v70, v70, v219
	s_waitcnt vmcnt(2)
	v_fma_f32 v72, v129, v190, -v72
	v_add_f32_e32 v71, v71, v73
	v_fmac_f32_e32 v221, v130, v190
	v_add_f32_e32 v70, v70, v220
	v_add_f32_e32 v71, v71, v72
	;; [unrolled: 1-line block ×3, first 2 shown]
	s_waitcnt vmcnt(1)
	v_sub_f32_e32 v71, v191, v71
	s_waitcnt vmcnt(0)
	v_sub_f32_e32 v70, v192, v70
	buffer_store_dword v71, off, s[0:3], 0 offset:24
	buffer_store_dword v70, off, s[0:3], 0 offset:28
	v_cmpx_lt_u32_e32 2, v0
	s_cbranch_execz .LBB97_213
; %bb.212:
	s_clause 0x1
	buffer_load_dword v70, off, s[0:3], 0 offset:16
	buffer_load_dword v71, off, s[0:3], 0 offset:20
	v_mov_b32_e32 v72, 0
	buffer_store_dword v72, off, s[0:3], 0 offset:16
	buffer_store_dword v72, off, s[0:3], 0 offset:20
	s_waitcnt vmcnt(0)
	ds_write_b64 v69, v[70:71]
.LBB97_213:
	s_or_b32 exec_lo, exec_lo, s4
	s_waitcnt lgkmcnt(0)
	s_waitcnt_vscnt null, 0x0
	s_barrier
	buffer_gl0_inv
	s_clause 0x3e
	buffer_load_dword v133, off, s[0:3], 0 offset:28
	buffer_load_dword v134, off, s[0:3], 0 offset:36
	;; [unrolled: 1-line block ×64, first 2 shown]
	v_mov_b32_e32 v70, 0
	ds_read2_b64 v[71:74], v70 offset0:37 offset1:38
	ds_read2_b64 v[75:78], v70 offset0:39 offset1:40
	;; [unrolled: 1-line block ×15, first 2 shown]
	ds_read_b64 v[131:132], v70 offset:536
	s_mov_b32 s4, exec_lo
	s_waitcnt vmcnt(62) lgkmcnt(15)
	v_mul_f32_e32 v197, v71, v133
	v_mul_f32_e32 v133, v72, v133
	;; [unrolled: 1-line block ×4, first 2 shown]
	s_waitcnt vmcnt(61) lgkmcnt(14)
	v_mul_f32_e32 v199, v75, v135
	s_waitcnt vmcnt(60)
	v_mul_f32_e32 v200, v77, v136
	s_waitcnt vmcnt(59) lgkmcnt(13)
	v_mul_f32_e32 v201, v79, v137
	s_waitcnt vmcnt(58)
	v_mul_f32_e32 v202, v81, v138
	;; [unrolled: 4-line block ×13, first 2 shown]
	s_waitcnt vmcnt(35) lgkmcnt(1)
	v_mul_f32_e32 v225, v127, v161
	s_waitcnt vmcnt(32)
	v_fma_f32 v71, v71, v164, -v133
	v_fmac_f32_e32 v197, v72, v164
	v_mul_f32_e32 v72, v76, v135
	s_waitcnt vmcnt(31)
	v_fma_f32 v73, v73, v165, -v134
	v_fmac_f32_e32 v198, v74, v165
	v_add_f32_e32 v71, 0, v71
	v_add_f32_e32 v74, 0, v197
	v_mul_f32_e32 v133, v78, v136
	s_waitcnt vmcnt(30)
	v_fma_f32 v72, v75, v166, -v72
	v_fmac_f32_e32 v199, v76, v166
	v_add_f32_e32 v71, v71, v73
	v_add_f32_e32 v73, v74, v198
	v_mul_f32_e32 v74, v80, v137
	s_waitcnt vmcnt(29)
	v_fma_f32 v75, v77, v167, -v133
	v_fmac_f32_e32 v200, v78, v167
	v_add_f32_e32 v71, v71, v72
	v_add_f32_e32 v72, v73, v199
	v_mul_f32_e32 v73, v82, v138
	s_waitcnt vmcnt(28)
	v_fma_f32 v74, v79, v168, -v74
	v_fmac_f32_e32 v201, v80, v168
	v_add_f32_e32 v71, v71, v75
	v_add_f32_e32 v72, v72, v200
	v_mul_f32_e32 v75, v84, v139
	s_waitcnt vmcnt(27)
	v_fma_f32 v73, v81, v169, -v73
	v_fmac_f32_e32 v202, v82, v169
	v_add_f32_e32 v71, v71, v74
	v_add_f32_e32 v72, v72, v201
	v_mul_f32_e32 v74, v86, v140
	s_waitcnt vmcnt(26)
	v_fma_f32 v75, v83, v170, -v75
	v_fmac_f32_e32 v203, v84, v170
	v_add_f32_e32 v71, v71, v73
	v_add_f32_e32 v72, v72, v202
	v_mul_f32_e32 v73, v88, v141
	s_waitcnt vmcnt(25)
	v_fma_f32 v74, v85, v171, -v74
	v_fmac_f32_e32 v204, v86, v171
	v_add_f32_e32 v71, v71, v75
	v_add_f32_e32 v72, v72, v203
	v_mul_f32_e32 v75, v90, v142
	s_waitcnt vmcnt(24)
	v_fma_f32 v73, v87, v172, -v73
	v_fmac_f32_e32 v205, v88, v172
	v_add_f32_e32 v71, v71, v74
	v_add_f32_e32 v72, v72, v204
	v_mul_f32_e32 v74, v92, v143
	s_waitcnt vmcnt(23)
	v_fma_f32 v75, v89, v173, -v75
	v_fmac_f32_e32 v206, v90, v173
	v_add_f32_e32 v71, v71, v73
	v_add_f32_e32 v72, v72, v205
	v_mul_f32_e32 v73, v94, v144
	s_waitcnt vmcnt(22)
	v_fma_f32 v74, v91, v174, -v74
	v_fmac_f32_e32 v207, v92, v174
	v_add_f32_e32 v71, v71, v75
	v_add_f32_e32 v72, v72, v206
	v_mul_f32_e32 v75, v96, v145
	s_waitcnt vmcnt(21)
	v_fma_f32 v73, v93, v175, -v73
	v_fmac_f32_e32 v208, v94, v175
	v_add_f32_e32 v71, v71, v74
	v_add_f32_e32 v72, v72, v207
	v_mul_f32_e32 v74, v98, v146
	s_waitcnt vmcnt(20)
	v_fma_f32 v75, v95, v176, -v75
	v_fmac_f32_e32 v209, v96, v176
	v_add_f32_e32 v71, v71, v73
	v_add_f32_e32 v72, v72, v208
	v_mul_f32_e32 v73, v100, v147
	s_waitcnt vmcnt(19)
	v_fma_f32 v74, v97, v177, -v74
	v_fmac_f32_e32 v210, v98, v177
	v_add_f32_e32 v71, v71, v75
	v_add_f32_e32 v72, v72, v209
	v_mul_f32_e32 v75, v102, v148
	s_waitcnt vmcnt(18)
	v_fma_f32 v73, v99, v178, -v73
	v_fmac_f32_e32 v211, v100, v178
	v_add_f32_e32 v71, v71, v74
	v_add_f32_e32 v72, v72, v210
	v_mul_f32_e32 v74, v104, v149
	s_waitcnt vmcnt(17)
	v_fma_f32 v75, v101, v179, -v75
	v_fmac_f32_e32 v212, v102, v179
	v_add_f32_e32 v71, v71, v73
	v_add_f32_e32 v72, v72, v211
	v_mul_f32_e32 v73, v106, v150
	s_waitcnt vmcnt(16)
	v_fma_f32 v74, v103, v180, -v74
	v_fmac_f32_e32 v213, v104, v180
	v_add_f32_e32 v71, v71, v75
	v_add_f32_e32 v72, v72, v212
	v_mul_f32_e32 v75, v108, v151
	s_waitcnt vmcnt(15)
	v_fma_f32 v73, v105, v181, -v73
	v_fmac_f32_e32 v214, v106, v181
	v_add_f32_e32 v71, v71, v74
	v_add_f32_e32 v72, v72, v213
	v_mul_f32_e32 v74, v110, v152
	s_waitcnt vmcnt(14)
	v_fma_f32 v75, v107, v182, -v75
	v_fmac_f32_e32 v215, v108, v182
	v_add_f32_e32 v71, v71, v73
	v_add_f32_e32 v72, v72, v214
	v_mul_f32_e32 v73, v112, v153
	s_waitcnt vmcnt(13)
	v_fma_f32 v74, v109, v183, -v74
	v_fmac_f32_e32 v216, v110, v183
	v_add_f32_e32 v71, v71, v75
	v_add_f32_e32 v72, v72, v215
	v_mul_f32_e32 v75, v114, v154
	s_waitcnt vmcnt(12)
	v_fma_f32 v73, v111, v184, -v73
	v_fmac_f32_e32 v217, v112, v184
	v_add_f32_e32 v71, v71, v74
	v_add_f32_e32 v72, v72, v216
	v_mul_f32_e32 v74, v116, v155
	s_waitcnt vmcnt(11)
	v_fma_f32 v75, v113, v185, -v75
	v_fmac_f32_e32 v218, v114, v185
	v_add_f32_e32 v71, v71, v73
	v_add_f32_e32 v72, v72, v217
	v_mul_f32_e32 v73, v118, v156
	s_waitcnt vmcnt(10)
	v_fma_f32 v74, v115, v186, -v74
	v_fmac_f32_e32 v219, v116, v186
	v_add_f32_e32 v71, v71, v75
	v_add_f32_e32 v72, v72, v218
	v_mul_f32_e32 v75, v120, v157
	s_waitcnt vmcnt(9)
	v_fma_f32 v73, v117, v187, -v73
	v_fmac_f32_e32 v220, v118, v187
	v_add_f32_e32 v71, v71, v74
	v_add_f32_e32 v72, v72, v219
	v_mul_f32_e32 v74, v122, v158
	s_waitcnt vmcnt(8)
	v_fma_f32 v75, v119, v188, -v75
	v_fmac_f32_e32 v221, v120, v188
	v_add_f32_e32 v71, v71, v73
	v_add_f32_e32 v72, v72, v220
	v_mul_f32_e32 v73, v124, v159
	s_waitcnt vmcnt(7)
	v_fma_f32 v74, v121, v189, -v74
	v_fmac_f32_e32 v222, v122, v189
	v_add_f32_e32 v71, v71, v75
	v_add_f32_e32 v72, v72, v221
	v_mul_f32_e32 v75, v126, v160
	s_waitcnt vmcnt(6)
	v_fma_f32 v73, v123, v190, -v73
	v_fmac_f32_e32 v223, v124, v190
	v_add_f32_e32 v71, v71, v74
	v_add_f32_e32 v72, v72, v222
	v_mul_f32_e32 v74, v128, v161
	s_waitcnt vmcnt(5)
	v_fma_f32 v75, v125, v191, -v75
	v_fmac_f32_e32 v224, v126, v191
	v_add_f32_e32 v71, v71, v73
	v_add_f32_e32 v72, v72, v223
	v_mul_f32_e32 v73, v130, v162
	s_waitcnt vmcnt(4)
	v_fma_f32 v74, v127, v192, -v74
	v_mul_f32_e32 v226, v129, v162
	v_add_f32_e32 v71, v71, v75
	v_fmac_f32_e32 v225, v128, v192
	v_add_f32_e32 v72, v72, v224
	s_waitcnt lgkmcnt(0)
	v_mul_f32_e32 v75, v132, v163
	s_waitcnt vmcnt(3)
	v_fma_f32 v73, v129, v193, -v73
	v_add_f32_e32 v71, v71, v74
	v_mul_f32_e32 v227, v131, v163
	v_fmac_f32_e32 v226, v130, v193
	v_add_f32_e32 v72, v72, v225
	s_waitcnt vmcnt(2)
	v_fma_f32 v74, v131, v194, -v75
	v_add_f32_e32 v71, v71, v73
	v_fmac_f32_e32 v227, v132, v194
	v_add_f32_e32 v72, v72, v226
	v_add_f32_e32 v71, v71, v74
	;; [unrolled: 1-line block ×3, first 2 shown]
	s_waitcnt vmcnt(1)
	v_sub_f32_e32 v71, v195, v71
	s_waitcnt vmcnt(0)
	v_sub_f32_e32 v72, v196, v72
	buffer_store_dword v71, off, s[0:3], 0 offset:16
	buffer_store_dword v72, off, s[0:3], 0 offset:20
	v_cmpx_lt_u32_e32 1, v0
	s_cbranch_execz .LBB97_215
; %bb.214:
	s_clause 0x1
	buffer_load_dword v71, off, s[0:3], 0 offset:8
	buffer_load_dword v72, off, s[0:3], 0 offset:12
	buffer_store_dword v70, off, s[0:3], 0 offset:8
	buffer_store_dword v70, off, s[0:3], 0 offset:12
	s_waitcnt vmcnt(0)
	ds_write_b64 v69, v[71:72]
.LBB97_215:
	s_or_b32 exec_lo, exec_lo, s4
	s_waitcnt lgkmcnt(0)
	s_waitcnt_vscnt null, 0x0
	s_barrier
	buffer_gl0_inv
	s_clause 0x3e
	buffer_load_dword v135, off, s[0:3], 0 offset:20
	buffer_load_dword v136, off, s[0:3], 0 offset:28
	;; [unrolled: 1-line block ×63, first 2 shown]
	s_clause 0x2
	buffer_load_dword v198, off, s[0:3], 0 offset:264
	buffer_load_dword v199, off, s[0:3], 0 offset:8
	;; [unrolled: 1-line block ×3, first 2 shown]
	ds_read_b128 v[71:74], v70 offset:288
	ds_read_b128 v[75:78], v70 offset:304
	;; [unrolled: 1-line block ×16, first 2 shown]
	s_mov_b32 s4, exec_lo
	s_waitcnt vmcnt(62) lgkmcnt(15)
	v_mul_f32_e32 v70, v71, v135
	v_mul_f32_e32 v135, v72, v135
	;; [unrolled: 1-line block ×4, first 2 shown]
	s_waitcnt lgkmcnt(14)
	v_mul_f32_e32 v202, v75, v137
	v_mul_f32_e32 v203, v77, v138
	s_waitcnt vmcnt(61) lgkmcnt(13)
	v_mul_f32_e32 v204, v79, v139
	s_waitcnt vmcnt(60)
	v_mul_f32_e32 v205, v81, v140
	s_waitcnt vmcnt(59) lgkmcnt(12)
	v_mul_f32_e32 v206, v83, v141
	s_waitcnt vmcnt(58)
	;; [unrolled: 4-line block ×13, first 2 shown]
	v_mul_f32_e32 v229, v129, v164
	s_waitcnt vmcnt(33)
	v_fma_f32 v71, v71, v167, -v135
	v_fmac_f32_e32 v70, v72, v167
	v_mul_f32_e32 v72, v76, v137
	s_waitcnt vmcnt(32)
	v_fma_f32 v73, v73, v168, -v136
	v_fmac_f32_e32 v201, v74, v168
	v_add_f32_e32 v71, 0, v71
	v_add_f32_e32 v70, 0, v70
	v_mul_f32_e32 v74, v78, v138
	s_waitcnt vmcnt(31)
	v_fma_f32 v72, v75, v169, -v72
	v_fmac_f32_e32 v202, v76, v169
	v_add_f32_e32 v71, v71, v73
	v_add_f32_e32 v70, v70, v201
	;; [unrolled: 6-line block ×28, first 2 shown]
	s_waitcnt lgkmcnt(0)
	v_mul_f32_e32 v74, v132, v165
	s_waitcnt vmcnt(4)
	v_fma_f32 v72, v129, v196, -v72
	v_mul_f32_e32 v230, v131, v165
	v_add_f32_e32 v71, v71, v73
	v_fmac_f32_e32 v229, v130, v196
	v_add_f32_e32 v70, v70, v228
	v_mul_f32_e32 v73, v134, v166
	s_waitcnt vmcnt(3)
	v_fma_f32 v74, v131, v197, -v74
	v_add_f32_e32 v71, v71, v72
	v_mul_f32_e32 v231, v133, v166
	v_fmac_f32_e32 v230, v132, v197
	v_add_f32_e32 v70, v70, v229
	s_waitcnt vmcnt(2)
	v_fma_f32 v72, v133, v198, -v73
	v_add_f32_e32 v71, v71, v74
	v_fmac_f32_e32 v231, v134, v198
	v_add_f32_e32 v70, v70, v230
	v_add_f32_e32 v71, v71, v72
	;; [unrolled: 1-line block ×3, first 2 shown]
	s_waitcnt vmcnt(1)
	v_sub_f32_e32 v71, v199, v71
	s_waitcnt vmcnt(0)
	v_sub_f32_e32 v70, v200, v70
	buffer_store_dword v71, off, s[0:3], 0 offset:8
	buffer_store_dword v70, off, s[0:3], 0 offset:12
	v_cmpx_ne_u32_e32 0, v0
	s_cbranch_execz .LBB97_217
; %bb.216:
	s_clause 0x1
	buffer_load_dword v70, off, s[0:3], 0
	buffer_load_dword v71, off, s[0:3], 0 offset:4
	v_mov_b32_e32 v0, 0
	buffer_store_dword v0, off, s[0:3], 0
	buffer_store_dword v0, off, s[0:3], 0 offset:4
	s_waitcnt vmcnt(0)
	ds_write_b64 v69, v[70:71]
.LBB97_217:
	s_or_b32 exec_lo, exec_lo, s4
	s_waitcnt lgkmcnt(0)
	s_waitcnt_vscnt null, 0x0
	s_barrier
	buffer_gl0_inv
	s_clause 0x3e
	buffer_load_dword v135, off, s[0:3], 0 offset:12
	buffer_load_dword v136, off, s[0:3], 0 offset:20
	;; [unrolled: 1-line block ×63, first 2 shown]
	s_clause 0x4
	buffer_load_dword v198, off, s[0:3], 0 offset:248
	buffer_load_dword v199, off, s[0:3], 0 offset:256
	;; [unrolled: 1-line block ×3, first 2 shown]
	buffer_load_dword v201, off, s[0:3], 0
	buffer_load_dword v202, off, s[0:3], 0 offset:4
	v_mov_b32_e32 v0, 0
	ds_read2_b64 v[69:72], v0 offset0:35 offset1:36
	ds_read2_b64 v[73:76], v0 offset0:37 offset1:38
	;; [unrolled: 1-line block ×16, first 2 shown]
	ds_read_b64 v[133:134], v0 offset:536
	s_and_b32 vcc_lo, exec_lo, s16
	s_waitcnt vmcnt(62) lgkmcnt(16)
	v_mul_f32_e32 v203, v69, v135
	v_mul_f32_e32 v135, v70, v135
	;; [unrolled: 1-line block ×4, first 2 shown]
	s_waitcnt lgkmcnt(15)
	v_mul_f32_e32 v205, v73, v137
	v_mul_f32_e32 v206, v75, v138
	s_waitcnt lgkmcnt(14)
	v_mul_f32_e32 v207, v77, v139
	v_mul_f32_e32 v208, v79, v140
	s_waitcnt vmcnt(61) lgkmcnt(13)
	v_mul_f32_e32 v209, v81, v141
	s_waitcnt vmcnt(60)
	v_mul_f32_e32 v210, v83, v142
	s_waitcnt vmcnt(59) lgkmcnt(12)
	v_mul_f32_e32 v211, v85, v143
	s_waitcnt vmcnt(58)
	;; [unrolled: 4-line block ×13, first 2 shown]
	v_fma_f32 v69, v69, v168, -v135
	v_fmac_f32_e32 v203, v70, v168
	v_mul_f32_e32 v70, v74, v137
	s_waitcnt vmcnt(33)
	v_fma_f32 v71, v71, v169, -v136
	v_fmac_f32_e32 v204, v72, v169
	v_add_f32_e32 v69, 0, v69
	v_add_f32_e32 v72, 0, v203
	v_mul_f32_e32 v135, v76, v138
	s_waitcnt vmcnt(32)
	v_fma_f32 v70, v73, v170, -v70
	v_fmac_f32_e32 v205, v74, v170
	v_add_f32_e32 v69, v69, v71
	v_add_f32_e32 v71, v72, v204
	;; [unrolled: 6-line block ×29, first 2 shown]
	v_mul_f32_e32 v72, v132, v166
	s_waitcnt vmcnt(4)
	v_fma_f32 v73, v129, v198, -v73
	v_mul_f32_e32 v234, v131, v166
	v_add_f32_e32 v69, v69, v71
	v_fmac_f32_e32 v233, v130, v198
	v_add_f32_e32 v70, v70, v232
	s_waitcnt lgkmcnt(0)
	v_mul_f32_e32 v71, v134, v167
	s_waitcnt vmcnt(3)
	v_fma_f32 v72, v131, v199, -v72
	v_add_f32_e32 v69, v69, v73
	v_mul_f32_e32 v235, v133, v167
	v_fmac_f32_e32 v234, v132, v199
	v_add_f32_e32 v70, v70, v233
	s_waitcnt vmcnt(2)
	v_fma_f32 v71, v133, v200, -v71
	v_add_f32_e32 v69, v69, v72
	v_fmac_f32_e32 v235, v134, v200
	v_add_f32_e32 v70, v70, v234
	v_add_f32_e32 v69, v69, v71
	;; [unrolled: 1-line block ×3, first 2 shown]
	s_waitcnt vmcnt(1)
	v_sub_f32_e32 v69, v201, v69
	s_waitcnt vmcnt(0)
	v_sub_f32_e32 v70, v202, v70
	buffer_store_dword v69, off, s[0:3], 0
	buffer_store_dword v70, off, s[0:3], 0 offset:4
	s_cbranch_vccz .LBB97_284
; %bb.218:
	global_load_dword v0, v0, s[12:13] offset:128
	s_waitcnt vmcnt(0)
	v_add_nc_u32_e32 v0, -1, v0
	v_cmp_ne_u32_e32 vcc_lo, 32, v0
	s_cbranch_vccz .LBB97_220
; %bb.219:
	v_lshlrev_b32_e32 v0, 3, v0
	s_clause 0x3
	buffer_load_dword v69, v0, s[0:3], 0 offen
	buffer_load_dword v70, v0, s[0:3], 0 offen offset:4
	buffer_load_dword v71, off, s[0:3], 0 offset:260
	buffer_load_dword v72, off, s[0:3], 0 offset:256
	s_waitcnt vmcnt(3)
	buffer_store_dword v69, off, s[0:3], 0 offset:256
	s_waitcnt vmcnt(2)
	buffer_store_dword v70, off, s[0:3], 0 offset:260
	s_waitcnt vmcnt(1)
	buffer_store_dword v71, v0, s[0:3], 0 offen offset:4
	s_waitcnt vmcnt(0)
	buffer_store_dword v72, v0, s[0:3], 0 offen
.LBB97_220:
	v_mov_b32_e32 v0, 0
	global_load_dword v69, v0, s[12:13] offset:124
	s_waitcnt vmcnt(0)
	v_add_nc_u32_e32 v69, -1, v69
	v_cmp_eq_u32_e32 vcc_lo, 31, v69
	s_cbranch_vccnz .LBB97_222
; %bb.221:
	v_lshlrev_b32_e32 v69, 3, v69
	s_clause 0x3
	buffer_load_dword v70, v69, s[0:3], 0 offen
	buffer_load_dword v71, v69, s[0:3], 0 offen offset:4
	buffer_load_dword v72, off, s[0:3], 0 offset:248
	buffer_load_dword v73, off, s[0:3], 0 offset:252
	s_waitcnt vmcnt(3)
	buffer_store_dword v70, off, s[0:3], 0 offset:248
	s_waitcnt vmcnt(2)
	buffer_store_dword v71, off, s[0:3], 0 offset:252
	s_waitcnt vmcnt(1)
	buffer_store_dword v72, v69, s[0:3], 0 offen
	s_waitcnt vmcnt(0)
	buffer_store_dword v73, v69, s[0:3], 0 offen offset:4
.LBB97_222:
	global_load_dword v0, v0, s[12:13] offset:120
	s_waitcnt vmcnt(0)
	v_add_nc_u32_e32 v0, -1, v0
	v_cmp_eq_u32_e32 vcc_lo, 30, v0
	s_cbranch_vccnz .LBB97_224
; %bb.223:
	v_lshlrev_b32_e32 v0, 3, v0
	s_clause 0x3
	buffer_load_dword v69, v0, s[0:3], 0 offen
	buffer_load_dword v70, v0, s[0:3], 0 offen offset:4
	buffer_load_dword v71, off, s[0:3], 0 offset:244
	buffer_load_dword v72, off, s[0:3], 0 offset:240
	s_waitcnt vmcnt(3)
	buffer_store_dword v69, off, s[0:3], 0 offset:240
	s_waitcnt vmcnt(2)
	buffer_store_dword v70, off, s[0:3], 0 offset:244
	s_waitcnt vmcnt(1)
	buffer_store_dword v71, v0, s[0:3], 0 offen offset:4
	s_waitcnt vmcnt(0)
	buffer_store_dword v72, v0, s[0:3], 0 offen
.LBB97_224:
	v_mov_b32_e32 v0, 0
	global_load_dword v69, v0, s[12:13] offset:116
	s_waitcnt vmcnt(0)
	v_add_nc_u32_e32 v69, -1, v69
	v_cmp_eq_u32_e32 vcc_lo, 29, v69
	s_cbranch_vccnz .LBB97_226
; %bb.225:
	v_lshlrev_b32_e32 v69, 3, v69
	s_clause 0x3
	buffer_load_dword v70, v69, s[0:3], 0 offen
	buffer_load_dword v71, v69, s[0:3], 0 offen offset:4
	buffer_load_dword v72, off, s[0:3], 0 offset:232
	buffer_load_dword v73, off, s[0:3], 0 offset:236
	s_waitcnt vmcnt(3)
	buffer_store_dword v70, off, s[0:3], 0 offset:232
	s_waitcnt vmcnt(2)
	buffer_store_dword v71, off, s[0:3], 0 offset:236
	s_waitcnt vmcnt(1)
	buffer_store_dword v72, v69, s[0:3], 0 offen
	s_waitcnt vmcnt(0)
	buffer_store_dword v73, v69, s[0:3], 0 offen offset:4
.LBB97_226:
	global_load_dword v0, v0, s[12:13] offset:112
	s_waitcnt vmcnt(0)
	v_add_nc_u32_e32 v0, -1, v0
	v_cmp_eq_u32_e32 vcc_lo, 28, v0
	s_cbranch_vccnz .LBB97_228
; %bb.227:
	v_lshlrev_b32_e32 v0, 3, v0
	s_clause 0x3
	buffer_load_dword v69, v0, s[0:3], 0 offen
	buffer_load_dword v70, v0, s[0:3], 0 offen offset:4
	buffer_load_dword v71, off, s[0:3], 0 offset:228
	buffer_load_dword v72, off, s[0:3], 0 offset:224
	s_waitcnt vmcnt(3)
	buffer_store_dword v69, off, s[0:3], 0 offset:224
	s_waitcnt vmcnt(2)
	buffer_store_dword v70, off, s[0:3], 0 offset:228
	s_waitcnt vmcnt(1)
	buffer_store_dword v71, v0, s[0:3], 0 offen offset:4
	s_waitcnt vmcnt(0)
	buffer_store_dword v72, v0, s[0:3], 0 offen
.LBB97_228:
	;; [unrolled: 43-line block ×15, first 2 shown]
	v_mov_b32_e32 v0, 0
	global_load_dword v69, v0, s[12:13] offset:4
	s_waitcnt vmcnt(0)
	v_add_nc_u32_e32 v69, -1, v69
	v_cmp_eq_u32_e32 vcc_lo, 1, v69
	s_cbranch_vccnz .LBB97_282
; %bb.281:
	v_lshlrev_b32_e32 v69, 3, v69
	s_clause 0x3
	buffer_load_dword v70, v69, s[0:3], 0 offen
	buffer_load_dword v71, v69, s[0:3], 0 offen offset:4
	buffer_load_dword v72, off, s[0:3], 0 offset:8
	buffer_load_dword v73, off, s[0:3], 0 offset:12
	s_waitcnt vmcnt(3)
	buffer_store_dword v70, off, s[0:3], 0 offset:8
	s_waitcnt vmcnt(2)
	buffer_store_dword v71, off, s[0:3], 0 offset:12
	s_waitcnt vmcnt(1)
	buffer_store_dword v72, v69, s[0:3], 0 offen
	s_waitcnt vmcnt(0)
	buffer_store_dword v73, v69, s[0:3], 0 offen offset:4
.LBB97_282:
	global_load_dword v0, v0, s[12:13]
	s_waitcnt vmcnt(0)
	v_add_nc_u32_e32 v0, -1, v0
	v_cmp_eq_u32_e32 vcc_lo, 0, v0
	s_cbranch_vccnz .LBB97_284
; %bb.283:
	v_lshlrev_b32_e32 v0, 3, v0
	s_clause 0x3
	buffer_load_dword v69, v0, s[0:3], 0 offen
	buffer_load_dword v70, v0, s[0:3], 0 offen offset:4
	buffer_load_dword v71, off, s[0:3], 0 offset:4
	buffer_load_dword v72, off, s[0:3], 0
	s_waitcnt vmcnt(3)
	buffer_store_dword v69, off, s[0:3], 0
	s_waitcnt vmcnt(2)
	buffer_store_dword v70, off, s[0:3], 0 offset:4
	s_waitcnt vmcnt(1)
	buffer_store_dword v71, v0, s[0:3], 0 offen offset:4
	s_waitcnt vmcnt(0)
	buffer_store_dword v72, v0, s[0:3], 0 offen
.LBB97_284:
	s_clause 0x1
	buffer_load_dword v69, off, s[0:3], 0
	buffer_load_dword v70, off, s[0:3], 0 offset:4
	s_waitcnt vmcnt(0)
	flat_store_dwordx2 v[1:2], v[69:70]
	s_clause 0x1
	buffer_load_dword v0, off, s[0:3], 0 offset:8
	buffer_load_dword v1, off, s[0:3], 0 offset:12
	s_waitcnt vmcnt(0)
	flat_store_dwordx2 v[3:4], v[0:1]
	s_clause 0x1
	buffer_load_dword v0, off, s[0:3], 0 offset:16
	;; [unrolled: 5-line block ×33, first 2 shown]
	buffer_load_dword v1, off, s[0:3], 0 offset:268
	s_waitcnt vmcnt(0)
	flat_store_dwordx2 v[67:68], v[0:1]
	s_endpgm
	.section	.rodata,"a",@progbits
	.p2align	6, 0x0
	.amdhsa_kernel _ZN9rocsolver6v33100L18getri_kernel_smallILi34E19rocblas_complex_numIfEPKPS3_EEvT1_iilPiilS8_bb
		.amdhsa_group_segment_fixed_size 548
		.amdhsa_private_segment_fixed_size 288
		.amdhsa_kernarg_size 60
		.amdhsa_user_sgpr_count 6
		.amdhsa_user_sgpr_private_segment_buffer 1
		.amdhsa_user_sgpr_dispatch_ptr 0
		.amdhsa_user_sgpr_queue_ptr 0
		.amdhsa_user_sgpr_kernarg_segment_ptr 1
		.amdhsa_user_sgpr_dispatch_id 0
		.amdhsa_user_sgpr_flat_scratch_init 0
		.amdhsa_user_sgpr_private_segment_size 0
		.amdhsa_wavefront_size32 1
		.amdhsa_uses_dynamic_stack 0
		.amdhsa_system_sgpr_private_segment_wavefront_offset 1
		.amdhsa_system_sgpr_workgroup_id_x 1
		.amdhsa_system_sgpr_workgroup_id_y 0
		.amdhsa_system_sgpr_workgroup_id_z 0
		.amdhsa_system_sgpr_workgroup_info 0
		.amdhsa_system_vgpr_workitem_id 0
		.amdhsa_next_free_vgpr 236
		.amdhsa_next_free_sgpr 20
		.amdhsa_reserve_vcc 1
		.amdhsa_reserve_flat_scratch 0
		.amdhsa_float_round_mode_32 0
		.amdhsa_float_round_mode_16_64 0
		.amdhsa_float_denorm_mode_32 3
		.amdhsa_float_denorm_mode_16_64 3
		.amdhsa_dx10_clamp 1
		.amdhsa_ieee_mode 1
		.amdhsa_fp16_overflow 0
		.amdhsa_workgroup_processor_mode 1
		.amdhsa_memory_ordered 1
		.amdhsa_forward_progress 1
		.amdhsa_shared_vgpr_count 0
		.amdhsa_exception_fp_ieee_invalid_op 0
		.amdhsa_exception_fp_denorm_src 0
		.amdhsa_exception_fp_ieee_div_zero 0
		.amdhsa_exception_fp_ieee_overflow 0
		.amdhsa_exception_fp_ieee_underflow 0
		.amdhsa_exception_fp_ieee_inexact 0
		.amdhsa_exception_int_div_zero 0
	.end_amdhsa_kernel
	.section	.text._ZN9rocsolver6v33100L18getri_kernel_smallILi34E19rocblas_complex_numIfEPKPS3_EEvT1_iilPiilS8_bb,"axG",@progbits,_ZN9rocsolver6v33100L18getri_kernel_smallILi34E19rocblas_complex_numIfEPKPS3_EEvT1_iilPiilS8_bb,comdat
.Lfunc_end97:
	.size	_ZN9rocsolver6v33100L18getri_kernel_smallILi34E19rocblas_complex_numIfEPKPS3_EEvT1_iilPiilS8_bb, .Lfunc_end97-_ZN9rocsolver6v33100L18getri_kernel_smallILi34E19rocblas_complex_numIfEPKPS3_EEvT1_iilPiilS8_bb
                                        ; -- End function
	.set _ZN9rocsolver6v33100L18getri_kernel_smallILi34E19rocblas_complex_numIfEPKPS3_EEvT1_iilPiilS8_bb.num_vgpr, 236
	.set _ZN9rocsolver6v33100L18getri_kernel_smallILi34E19rocblas_complex_numIfEPKPS3_EEvT1_iilPiilS8_bb.num_agpr, 0
	.set _ZN9rocsolver6v33100L18getri_kernel_smallILi34E19rocblas_complex_numIfEPKPS3_EEvT1_iilPiilS8_bb.numbered_sgpr, 20
	.set _ZN9rocsolver6v33100L18getri_kernel_smallILi34E19rocblas_complex_numIfEPKPS3_EEvT1_iilPiilS8_bb.num_named_barrier, 0
	.set _ZN9rocsolver6v33100L18getri_kernel_smallILi34E19rocblas_complex_numIfEPKPS3_EEvT1_iilPiilS8_bb.private_seg_size, 288
	.set _ZN9rocsolver6v33100L18getri_kernel_smallILi34E19rocblas_complex_numIfEPKPS3_EEvT1_iilPiilS8_bb.uses_vcc, 1
	.set _ZN9rocsolver6v33100L18getri_kernel_smallILi34E19rocblas_complex_numIfEPKPS3_EEvT1_iilPiilS8_bb.uses_flat_scratch, 0
	.set _ZN9rocsolver6v33100L18getri_kernel_smallILi34E19rocblas_complex_numIfEPKPS3_EEvT1_iilPiilS8_bb.has_dyn_sized_stack, 0
	.set _ZN9rocsolver6v33100L18getri_kernel_smallILi34E19rocblas_complex_numIfEPKPS3_EEvT1_iilPiilS8_bb.has_recursion, 0
	.set _ZN9rocsolver6v33100L18getri_kernel_smallILi34E19rocblas_complex_numIfEPKPS3_EEvT1_iilPiilS8_bb.has_indirect_call, 0
	.section	.AMDGPU.csdata,"",@progbits
; Kernel info:
; codeLenInByte = 52328
; TotalNumSgprs: 22
; NumVgprs: 236
; ScratchSize: 288
; MemoryBound: 0
; FloatMode: 240
; IeeeMode: 1
; LDSByteSize: 548 bytes/workgroup (compile time only)
; SGPRBlocks: 0
; VGPRBlocks: 29
; NumSGPRsForWavesPerEU: 22
; NumVGPRsForWavesPerEU: 236
; Occupancy: 4
; WaveLimiterHint : 1
; COMPUTE_PGM_RSRC2:SCRATCH_EN: 1
; COMPUTE_PGM_RSRC2:USER_SGPR: 6
; COMPUTE_PGM_RSRC2:TRAP_HANDLER: 0
; COMPUTE_PGM_RSRC2:TGID_X_EN: 1
; COMPUTE_PGM_RSRC2:TGID_Y_EN: 0
; COMPUTE_PGM_RSRC2:TGID_Z_EN: 0
; COMPUTE_PGM_RSRC2:TIDIG_COMP_CNT: 0
	.section	.text._ZN9rocsolver6v33100L18getri_kernel_smallILi35E19rocblas_complex_numIfEPKPS3_EEvT1_iilPiilS8_bb,"axG",@progbits,_ZN9rocsolver6v33100L18getri_kernel_smallILi35E19rocblas_complex_numIfEPKPS3_EEvT1_iilPiilS8_bb,comdat
	.globl	_ZN9rocsolver6v33100L18getri_kernel_smallILi35E19rocblas_complex_numIfEPKPS3_EEvT1_iilPiilS8_bb ; -- Begin function _ZN9rocsolver6v33100L18getri_kernel_smallILi35E19rocblas_complex_numIfEPKPS3_EEvT1_iilPiilS8_bb
	.p2align	8
	.type	_ZN9rocsolver6v33100L18getri_kernel_smallILi35E19rocblas_complex_numIfEPKPS3_EEvT1_iilPiilS8_bb,@function
_ZN9rocsolver6v33100L18getri_kernel_smallILi35E19rocblas_complex_numIfEPKPS3_EEvT1_iilPiilS8_bb: ; @_ZN9rocsolver6v33100L18getri_kernel_smallILi35E19rocblas_complex_numIfEPKPS3_EEvT1_iilPiilS8_bb
; %bb.0:
	s_add_u32 s0, s0, s7
	s_addc_u32 s1, s1, 0
	s_mov_b32 s7, exec_lo
	v_cmpx_gt_u32_e32 35, v0
	s_cbranch_execz .LBB98_154
; %bb.1:
	s_clause 0x2
	s_load_dword s17, s[4:5], 0x38
	s_load_dwordx2 s[12:13], s[4:5], 0x0
	s_load_dwordx4 s[8:11], s[4:5], 0x28
	s_waitcnt lgkmcnt(0)
	s_bitcmp1_b32 s17, 8
	s_cselect_b32 s16, -1, 0
	s_ashr_i32 s7, s6, 31
	s_lshl_b64 s[14:15], s[6:7], 3
	s_add_u32 s12, s12, s14
	s_addc_u32 s13, s13, s15
	s_load_dwordx2 s[14:15], s[12:13], 0x0
	s_bfe_u32 s12, s17, 0x10008
	s_cmp_eq_u32 s12, 0
                                        ; implicit-def: $sgpr12_sgpr13
	s_cbranch_scc1 .LBB98_3
; %bb.2:
	s_clause 0x1
	s_load_dword s12, s[4:5], 0x20
	s_load_dwordx2 s[18:19], s[4:5], 0x18
	s_mul_i32 s13, s8, s7
	s_mul_hi_u32 s17, s8, s6
	s_mul_i32 s9, s9, s6
	s_add_i32 s13, s17, s13
	s_mul_i32 s8, s8, s6
	s_add_i32 s9, s13, s9
	s_lshl_b64 s[8:9], s[8:9], 2
	s_waitcnt lgkmcnt(0)
	s_ashr_i32 s13, s12, 31
	s_add_u32 s17, s18, s8
	s_addc_u32 s18, s19, s9
	s_lshl_b64 s[8:9], s[12:13], 2
	s_add_u32 s12, s17, s8
	s_addc_u32 s13, s18, s9
.LBB98_3:
	s_clause 0x1
	s_load_dwordx2 s[8:9], s[4:5], 0x8
	s_load_dword s17, s[4:5], 0x38
	v_lshlrev_b32_e32 v73, 3, v0
	s_waitcnt lgkmcnt(0)
	s_ashr_i32 s5, s8, 31
	s_mov_b32 s4, s8
	v_add3_u32 v9, s9, s9, v0
	s_lshl_b64 s[4:5], s[4:5], 3
	s_add_u32 s4, s14, s4
	s_addc_u32 s5, s15, s5
	v_add_co_u32 v1, s8, s4, v73
	v_add_co_ci_u32_e64 v2, null, s5, 0, s8
	s_mov_b32 s14, s9
	s_ashr_i32 s15, s9, 31
	v_ashrrev_i32_e32 v10, 31, v9
	flat_load_dwordx2 v[5:6], v[1:2]
	s_lshl_b64 s[14:15], s[14:15], 3
	v_add_nc_u32_e32 v12, s9, v9
	v_add_co_u32 v3, vcc_lo, v1, s14
	v_add_co_ci_u32_e64 v4, null, s15, v2, vcc_lo
	v_ashrrev_i32_e32 v13, 31, v12
	s_bitcmp0_b32 s17, 0
	s_waitcnt vmcnt(0) lgkmcnt(0)
	buffer_store_dword v6, off, s[0:3], 0 offset:4
	buffer_store_dword v5, off, s[0:3], 0
	flat_load_dwordx2 v[7:8], v[3:4]
	v_lshlrev_b64 v[5:6], 3, v[9:10]
	s_waitcnt vmcnt(0) lgkmcnt(0)
	buffer_store_dword v8, off, s[0:3], 0 offset:12
	buffer_store_dword v7, off, s[0:3], 0 offset:8
	v_add_co_u32 v5, vcc_lo, s4, v5
	v_add_co_ci_u32_e64 v6, null, s5, v6, vcc_lo
	v_lshlrev_b64 v[7:8], 3, v[12:13]
	flat_load_dwordx2 v[10:11], v[5:6]
	s_waitcnt vmcnt(0) lgkmcnt(0)
	buffer_store_dword v11, off, s[0:3], 0 offset:20
	buffer_store_dword v10, off, s[0:3], 0 offset:16
	v_add_co_u32 v7, vcc_lo, s4, v7
	v_add_co_ci_u32_e64 v8, null, s5, v8, vcc_lo
	v_add_nc_u32_e32 v11, s9, v12
	flat_load_dwordx2 v[13:14], v[7:8]
	s_waitcnt vmcnt(0) lgkmcnt(0)
	buffer_store_dword v14, off, s[0:3], 0 offset:28
	buffer_store_dword v13, off, s[0:3], 0 offset:24
	v_ashrrev_i32_e32 v12, 31, v11
	v_add_nc_u32_e32 v15, s9, v11
	v_lshlrev_b64 v[9:10], 3, v[11:12]
	v_ashrrev_i32_e32 v16, 31, v15
	v_add_nc_u32_e32 v18, s9, v15
	v_add_co_u32 v9, vcc_lo, s4, v9
	v_add_co_ci_u32_e64 v10, null, s5, v10, vcc_lo
	v_lshlrev_b64 v[11:12], 3, v[15:16]
	v_ashrrev_i32_e32 v19, 31, v18
	flat_load_dwordx2 v[13:14], v[9:10]
	s_waitcnt vmcnt(0) lgkmcnt(0)
	buffer_store_dword v14, off, s[0:3], 0 offset:36
	buffer_store_dword v13, off, s[0:3], 0 offset:32
	v_add_co_u32 v11, vcc_lo, s4, v11
	v_add_co_ci_u32_e64 v12, null, s5, v12, vcc_lo
	v_lshlrev_b64 v[13:14], 3, v[18:19]
	flat_load_dwordx2 v[16:17], v[11:12]
	s_waitcnt vmcnt(0) lgkmcnt(0)
	buffer_store_dword v17, off, s[0:3], 0 offset:44
	buffer_store_dword v16, off, s[0:3], 0 offset:40
	v_add_co_u32 v13, vcc_lo, s4, v13
	v_add_co_ci_u32_e64 v14, null, s5, v14, vcc_lo
	v_add_nc_u32_e32 v17, s9, v18
	flat_load_dwordx2 v[19:20], v[13:14]
	s_waitcnt vmcnt(0) lgkmcnt(0)
	buffer_store_dword v20, off, s[0:3], 0 offset:52
	buffer_store_dword v19, off, s[0:3], 0 offset:48
	v_ashrrev_i32_e32 v18, 31, v17
	v_add_nc_u32_e32 v21, s9, v17
	v_lshlrev_b64 v[15:16], 3, v[17:18]
	v_ashrrev_i32_e32 v22, 31, v21
	v_add_nc_u32_e32 v24, s9, v21
	v_add_co_u32 v15, vcc_lo, s4, v15
	v_add_co_ci_u32_e64 v16, null, s5, v16, vcc_lo
	v_lshlrev_b64 v[17:18], 3, v[21:22]
	v_ashrrev_i32_e32 v25, 31, v24
	flat_load_dwordx2 v[19:20], v[15:16]
	;; [unrolled: 27-line block ×9, first 2 shown]
	s_waitcnt vmcnt(0) lgkmcnt(0)
	buffer_store_dword v62, off, s[0:3], 0 offset:228
	buffer_store_dword v61, off, s[0:3], 0 offset:224
	v_add_co_u32 v59, vcc_lo, s4, v59
	v_add_co_ci_u32_e64 v60, null, s5, v60, vcc_lo
	v_lshlrev_b64 v[61:62], 3, v[66:67]
	flat_load_dwordx2 v[64:65], v[59:60]
	s_waitcnt vmcnt(0) lgkmcnt(0)
	buffer_store_dword v65, off, s[0:3], 0 offset:236
	buffer_store_dword v64, off, s[0:3], 0 offset:232
	v_add_co_u32 v61, vcc_lo, s4, v61
	v_add_co_ci_u32_e64 v62, null, s5, v62, vcc_lo
	v_add_nc_u32_e32 v65, s9, v66
	flat_load_dwordx2 v[67:68], v[61:62]
	s_waitcnt vmcnt(0) lgkmcnt(0)
	buffer_store_dword v68, off, s[0:3], 0 offset:244
	buffer_store_dword v67, off, s[0:3], 0 offset:240
	v_ashrrev_i32_e32 v66, 31, v65
	v_add_nc_u32_e32 v69, s9, v65
	v_lshlrev_b64 v[63:64], 3, v[65:66]
	v_ashrrev_i32_e32 v70, 31, v69
	v_add_nc_u32_e32 v74, s9, v69
	v_add_co_u32 v63, vcc_lo, s4, v63
	v_add_co_ci_u32_e64 v64, null, s5, v64, vcc_lo
	v_lshlrev_b64 v[65:66], 3, v[69:70]
	v_ashrrev_i32_e32 v75, 31, v74
	v_add_nc_u32_e32 v69, s9, v74
	flat_load_dwordx2 v[67:68], v[63:64]
	s_waitcnt vmcnt(0) lgkmcnt(0)
	buffer_store_dword v68, off, s[0:3], 0 offset:252
	buffer_store_dword v67, off, s[0:3], 0 offset:248
	v_add_co_u32 v65, vcc_lo, s4, v65
	v_add_co_ci_u32_e64 v66, null, s5, v66, vcc_lo
	v_lshlrev_b64 v[67:68], 3, v[74:75]
	flat_load_dwordx2 v[70:71], v[65:66]
	s_waitcnt vmcnt(0) lgkmcnt(0)
	buffer_store_dword v71, off, s[0:3], 0 offset:260
	buffer_store_dword v70, off, s[0:3], 0 offset:256
	v_add_co_u32 v67, vcc_lo, s4, v67
	v_add_co_ci_u32_e64 v68, null, s5, v68, vcc_lo
	v_ashrrev_i32_e32 v70, 31, v69
	flat_load_dwordx2 v[71:72], v[67:68]
	s_waitcnt vmcnt(0) lgkmcnt(0)
	buffer_store_dword v72, off, s[0:3], 0 offset:268
	buffer_store_dword v71, off, s[0:3], 0 offset:264
	v_lshlrev_b64 v[69:70], 3, v[69:70]
	v_add_co_u32 v69, vcc_lo, s4, v69
	v_add_co_ci_u32_e64 v70, null, s5, v70, vcc_lo
	s_mov_b32 s5, -1
	flat_load_dwordx2 v[71:72], v[69:70]
	s_waitcnt vmcnt(0) lgkmcnt(0)
	buffer_store_dword v72, off, s[0:3], 0 offset:276
	buffer_store_dword v71, off, s[0:3], 0 offset:272
	s_cbranch_scc1 .LBB98_152
; %bb.4:
	v_cmp_eq_u32_e64 s4, 0, v0
	s_and_saveexec_b32 s5, s4
; %bb.5:
	v_mov_b32_e32 v71, 0
	ds_write_b32 v71, v71 offset:280
; %bb.6:
	s_or_b32 exec_lo, exec_lo, s5
	v_lshl_add_u32 v75, v0, 3, 0
	s_waitcnt lgkmcnt(0)
	s_waitcnt_vscnt null, 0x0
	s_barrier
	buffer_gl0_inv
	s_clause 0x1
	buffer_load_dword v71, v75, s[0:3], 0 offen
	buffer_load_dword v72, v75, s[0:3], 0 offen offset:4
	s_waitcnt vmcnt(1)
	v_cmp_eq_f32_e32 vcc_lo, 0, v71
	s_waitcnt vmcnt(0)
	v_cmp_eq_f32_e64 s5, 0, v72
	s_and_b32 s5, vcc_lo, s5
	s_and_saveexec_b32 s8, s5
	s_cbranch_execz .LBB98_10
; %bb.7:
	v_mov_b32_e32 v71, 0
	s_mov_b32 s9, 0
	ds_read_b32 v72, v71 offset:280
	s_waitcnt lgkmcnt(0)
	v_readfirstlane_b32 s5, v72
	v_add_nc_u32_e32 v72, 1, v0
	s_cmp_eq_u32 s5, 0
	v_cmp_gt_i32_e32 vcc_lo, s5, v72
	s_cselect_b32 s14, -1, 0
	s_or_b32 s14, s14, vcc_lo
	s_and_b32 exec_lo, exec_lo, s14
	s_cbranch_execz .LBB98_10
; %bb.8:
	v_mov_b32_e32 v74, s5
.LBB98_9:                               ; =>This Inner Loop Header: Depth=1
	ds_cmpst_rtn_b32 v74, v71, v74, v72 offset:280
	s_waitcnt lgkmcnt(0)
	v_cmp_ne_u32_e32 vcc_lo, 0, v74
	v_cmp_le_i32_e64 s5, v74, v72
	s_and_b32 s5, vcc_lo, s5
	s_and_b32 s5, exec_lo, s5
	s_or_b32 s9, s5, s9
	s_andn2_b32 exec_lo, exec_lo, s9
	s_cbranch_execnz .LBB98_9
.LBB98_10:
	s_or_b32 exec_lo, exec_lo, s8
	v_mov_b32_e32 v71, 0
	s_barrier
	buffer_gl0_inv
	ds_read_b32 v72, v71 offset:280
	s_and_saveexec_b32 s5, s4
	s_cbranch_execz .LBB98_12
; %bb.11:
	s_lshl_b64 s[8:9], s[6:7], 2
	s_add_u32 s8, s10, s8
	s_addc_u32 s9, s11, s9
	s_waitcnt lgkmcnt(0)
	global_store_dword v71, v72, s[8:9]
.LBB98_12:
	s_or_b32 exec_lo, exec_lo, s5
	s_waitcnt lgkmcnt(0)
	v_cmp_ne_u32_e32 vcc_lo, 0, v72
	s_mov_b32 s5, 0
	s_cbranch_vccnz .LBB98_152
; %bb.13:
	s_clause 0x1
	buffer_load_dword v72, v75, s[0:3], 0 offen
	buffer_load_dword v74, v75, s[0:3], 0 offen offset:4
                                        ; implicit-def: $vgpr77
                                        ; implicit-def: $vgpr76
                                        ; implicit-def: $vgpr71
	s_waitcnt vmcnt(0)
	v_cmp_ngt_f32_e64 s5, |v72|, |v74|
	s_and_saveexec_b32 s8, s5
	s_xor_b32 s5, exec_lo, s8
	s_cbranch_execz .LBB98_15
; %bb.14:
	v_div_scale_f32 v71, null, v74, v74, v72
	v_div_scale_f32 v78, vcc_lo, v72, v74, v72
	v_rcp_f32_e32 v76, v71
	v_fma_f32 v77, -v71, v76, 1.0
	v_fmac_f32_e32 v76, v77, v76
	v_mul_f32_e32 v77, v78, v76
	v_fma_f32 v79, -v71, v77, v78
	v_fmac_f32_e32 v77, v79, v76
	v_fma_f32 v71, -v71, v77, v78
	v_div_fmas_f32 v71, v71, v76, v77
	v_div_fixup_f32 v71, v71, v74, v72
	v_fmac_f32_e32 v74, v72, v71
	v_div_scale_f32 v72, null, v74, v74, 1.0
	v_rcp_f32_e32 v76, v72
	v_fma_f32 v77, -v72, v76, 1.0
	v_fmac_f32_e32 v76, v77, v76
	v_div_scale_f32 v77, vcc_lo, 1.0, v74, 1.0
	v_mul_f32_e32 v78, v77, v76
	v_fma_f32 v79, -v72, v78, v77
	v_fmac_f32_e32 v78, v79, v76
	v_fma_f32 v72, -v72, v78, v77
	v_div_fmas_f32 v72, v72, v76, v78
	v_div_fixup_f32 v72, v72, v74, 1.0
                                        ; implicit-def: $vgpr74
	v_mul_f32_e32 v77, v71, v72
	v_xor_b32_e32 v76, 0x80000000, v72
                                        ; implicit-def: $vgpr72
	v_xor_b32_e32 v71, 0x80000000, v77
.LBB98_15:
	s_andn2_saveexec_b32 s5, s5
	s_cbranch_execz .LBB98_17
; %bb.16:
	v_div_scale_f32 v71, null, v72, v72, v74
	v_div_scale_f32 v78, vcc_lo, v74, v72, v74
	v_rcp_f32_e32 v76, v71
	v_fma_f32 v77, -v71, v76, 1.0
	v_fmac_f32_e32 v76, v77, v76
	v_mul_f32_e32 v77, v78, v76
	v_fma_f32 v79, -v71, v77, v78
	v_fmac_f32_e32 v77, v79, v76
	v_fma_f32 v71, -v71, v77, v78
	v_div_fmas_f32 v71, v71, v76, v77
	v_div_fixup_f32 v76, v71, v72, v74
	v_fmac_f32_e32 v72, v74, v76
	v_div_scale_f32 v71, null, v72, v72, 1.0
	v_div_scale_f32 v78, vcc_lo, 1.0, v72, 1.0
	v_rcp_f32_e32 v74, v71
	v_fma_f32 v77, -v71, v74, 1.0
	v_fmac_f32_e32 v74, v77, v74
	v_mul_f32_e32 v77, v78, v74
	v_fma_f32 v79, -v71, v77, v78
	v_fmac_f32_e32 v77, v79, v74
	v_fma_f32 v71, -v71, v77, v78
	v_div_fmas_f32 v71, v71, v74, v77
	v_div_fixup_f32 v77, v71, v72, 1.0
	v_xor_b32_e32 v71, 0x80000000, v77
	v_mul_f32_e64 v76, v76, -v77
.LBB98_17:
	s_or_b32 exec_lo, exec_lo, s5
	buffer_store_dword v77, v75, s[0:3], 0 offen
	buffer_store_dword v76, v75, s[0:3], 0 offen offset:4
	s_clause 0x1
	buffer_load_dword v78, off, s[0:3], 0 offset:12
	buffer_load_dword v77, off, s[0:3], 0 offset:8
	v_xor_b32_e32 v72, 0x80000000, v76
	v_add_nc_u32_e32 v74, 0x120, v73
	s_waitcnt vmcnt(0)
	ds_write2_b64 v73, v[71:72], v[77:78] offset1:36
	s_waitcnt lgkmcnt(0)
	s_waitcnt_vscnt null, 0x0
	s_barrier
	buffer_gl0_inv
	s_and_saveexec_b32 s5, s4
	s_cbranch_execz .LBB98_19
; %bb.18:
	s_clause 0x1
	buffer_load_dword v78, v75, s[0:3], 0 offen offset:4
	buffer_load_dword v79, v75, s[0:3], 0 offen
	ds_read_b64 v[71:72], v74
	v_mov_b32_e32 v76, 0
	ds_read_b64 v[76:77], v76 offset:8
	s_waitcnt vmcnt(1) lgkmcnt(1)
	v_mul_f32_e32 v80, v71, v78
	v_mul_f32_e32 v78, v72, v78
	s_waitcnt vmcnt(0)
	v_fmac_f32_e32 v80, v72, v79
	v_fma_f32 v71, v71, v79, -v78
	v_add_f32_e32 v72, 0, v80
	v_add_f32_e32 v71, 0, v71
	s_waitcnt lgkmcnt(0)
	v_mul_f32_e32 v78, v72, v77
	v_mul_f32_e32 v77, v71, v77
	v_fma_f32 v71, v71, v76, -v78
	v_fmac_f32_e32 v77, v72, v76
	buffer_store_dword v71, off, s[0:3], 0 offset:8
	buffer_store_dword v77, off, s[0:3], 0 offset:12
.LBB98_19:
	s_or_b32 exec_lo, exec_lo, s5
	s_waitcnt_vscnt null, 0x0
	s_barrier
	buffer_gl0_inv
	s_clause 0x1
	buffer_load_dword v71, off, s[0:3], 0 offset:16
	buffer_load_dword v72, off, s[0:3], 0 offset:20
	s_mov_b32 s5, exec_lo
	s_waitcnt vmcnt(0)
	ds_write_b64 v74, v[71:72]
	s_waitcnt lgkmcnt(0)
	s_barrier
	buffer_gl0_inv
	v_cmpx_gt_u32_e32 2, v0
	s_cbranch_execz .LBB98_23
; %bb.20:
	s_clause 0x1
	buffer_load_dword v76, v75, s[0:3], 0 offen offset:4
	buffer_load_dword v75, v75, s[0:3], 0 offen
	ds_read_b64 v[71:72], v74
	s_waitcnt vmcnt(1) lgkmcnt(0)
	v_mul_f32_e32 v77, v72, v76
	v_mul_f32_e32 v76, v71, v76
	s_waitcnt vmcnt(0)
	v_fma_f32 v71, v71, v75, -v77
	v_fmac_f32_e32 v76, v72, v75
	v_add_f32_e32 v72, 0, v71
	v_add_f32_e32 v71, 0, v76
	s_and_saveexec_b32 s8, s4
	s_cbranch_execz .LBB98_22
; %bb.21:
	s_clause 0x1
	buffer_load_dword v77, off, s[0:3], 0 offset:12
	buffer_load_dword v78, off, s[0:3], 0 offset:8
	v_mov_b32_e32 v75, 0
	ds_read_b64 v[75:76], v75 offset:296
	s_waitcnt vmcnt(1) lgkmcnt(0)
	v_mul_f32_e32 v79, v75, v77
	v_mul_f32_e32 v77, v76, v77
	s_waitcnt vmcnt(0)
	v_fmac_f32_e32 v79, v76, v78
	v_fma_f32 v75, v75, v78, -v77
	v_add_f32_e32 v71, v71, v79
	v_add_f32_e32 v72, v72, v75
.LBB98_22:
	s_or_b32 exec_lo, exec_lo, s8
	v_mov_b32_e32 v75, 0
	ds_read_b64 v[75:76], v75 offset:16
	s_waitcnt lgkmcnt(0)
	v_mul_f32_e32 v77, v71, v76
	v_mul_f32_e32 v76, v72, v76
	v_fma_f32 v72, v72, v75, -v77
	v_fmac_f32_e32 v76, v71, v75
	buffer_store_dword v72, off, s[0:3], 0 offset:16
	buffer_store_dword v76, off, s[0:3], 0 offset:20
.LBB98_23:
	s_or_b32 exec_lo, exec_lo, s5
	s_waitcnt_vscnt null, 0x0
	s_barrier
	buffer_gl0_inv
	s_clause 0x1
	buffer_load_dword v75, off, s[0:3], 0 offset:24
	buffer_load_dword v76, off, s[0:3], 0 offset:28
	v_add_nc_u32_e32 v71, -1, v0
	s_mov_b32 s4, exec_lo
	s_waitcnt vmcnt(0)
	ds_write_b64 v74, v[75:76]
	s_waitcnt lgkmcnt(0)
	s_barrier
	buffer_gl0_inv
	v_cmpx_gt_u32_e32 3, v0
	s_cbranch_execz .LBB98_27
; %bb.24:
	v_add_nc_u32_e32 v75, -1, v0
	v_add_nc_u32_e32 v76, 0x120, v73
	v_mov_b32_e32 v77, v73
	v_mov_b32_e32 v72, 0
	;; [unrolled: 1-line block ×3, first 2 shown]
	s_mov_b32 s5, 0
	.p2align	6
.LBB98_25:                              ; =>This Inner Loop Header: Depth=1
	s_clause 0x1
	buffer_load_dword v81, v77, s[0:3], 0 offen offset:4
	buffer_load_dword v82, v77, s[0:3], 0 offen
	ds_read_b64 v[79:80], v76
	v_add_nc_u32_e32 v75, 1, v75
	v_add_nc_u32_e32 v76, 8, v76
	;; [unrolled: 1-line block ×3, first 2 shown]
	v_cmp_lt_u32_e32 vcc_lo, 1, v75
	s_or_b32 s5, vcc_lo, s5
	s_waitcnt vmcnt(1) lgkmcnt(0)
	v_mul_f32_e32 v83, v80, v81
	v_mul_f32_e32 v81, v79, v81
	s_waitcnt vmcnt(0)
	v_fma_f32 v79, v79, v82, -v83
	v_fmac_f32_e32 v81, v80, v82
	v_add_f32_e32 v78, v78, v79
	v_add_f32_e32 v72, v72, v81
	s_andn2_b32 exec_lo, exec_lo, s5
	s_cbranch_execnz .LBB98_25
; %bb.26:
	s_or_b32 exec_lo, exec_lo, s5
	v_mov_b32_e32 v75, 0
	ds_read_b64 v[75:76], v75 offset:24
	s_waitcnt lgkmcnt(0)
	v_mul_f32_e32 v77, v72, v76
	v_mul_f32_e32 v76, v78, v76
	v_fma_f32 v77, v78, v75, -v77
	v_fmac_f32_e32 v76, v72, v75
	buffer_store_dword v77, off, s[0:3], 0 offset:24
	buffer_store_dword v76, off, s[0:3], 0 offset:28
.LBB98_27:
	s_or_b32 exec_lo, exec_lo, s4
	s_waitcnt_vscnt null, 0x0
	s_barrier
	buffer_gl0_inv
	s_clause 0x1
	buffer_load_dword v75, off, s[0:3], 0 offset:32
	buffer_load_dword v76, off, s[0:3], 0 offset:36
	s_mov_b32 s4, exec_lo
	s_waitcnt vmcnt(0)
	ds_write_b64 v74, v[75:76]
	s_waitcnt lgkmcnt(0)
	s_barrier
	buffer_gl0_inv
	v_cmpx_gt_u32_e32 4, v0
	s_cbranch_execz .LBB98_31
; %bb.28:
	v_add_nc_u32_e32 v75, -1, v0
	v_add_nc_u32_e32 v76, 0x120, v73
	v_mov_b32_e32 v77, v73
	v_mov_b32_e32 v72, 0
	;; [unrolled: 1-line block ×3, first 2 shown]
	s_mov_b32 s5, 0
	.p2align	6
.LBB98_29:                              ; =>This Inner Loop Header: Depth=1
	s_clause 0x1
	buffer_load_dword v81, v77, s[0:3], 0 offen offset:4
	buffer_load_dword v82, v77, s[0:3], 0 offen
	ds_read_b64 v[79:80], v76
	v_add_nc_u32_e32 v75, 1, v75
	v_add_nc_u32_e32 v76, 8, v76
	;; [unrolled: 1-line block ×3, first 2 shown]
	v_cmp_lt_u32_e32 vcc_lo, 2, v75
	s_or_b32 s5, vcc_lo, s5
	s_waitcnt vmcnt(1) lgkmcnt(0)
	v_mul_f32_e32 v83, v80, v81
	v_mul_f32_e32 v81, v79, v81
	s_waitcnt vmcnt(0)
	v_fma_f32 v79, v79, v82, -v83
	v_fmac_f32_e32 v81, v80, v82
	v_add_f32_e32 v78, v78, v79
	v_add_f32_e32 v72, v72, v81
	s_andn2_b32 exec_lo, exec_lo, s5
	s_cbranch_execnz .LBB98_29
; %bb.30:
	s_or_b32 exec_lo, exec_lo, s5
	v_mov_b32_e32 v75, 0
	ds_read_b64 v[75:76], v75 offset:32
	s_waitcnt lgkmcnt(0)
	v_mul_f32_e32 v77, v72, v76
	v_mul_f32_e32 v76, v78, v76
	v_fma_f32 v77, v78, v75, -v77
	v_fmac_f32_e32 v76, v72, v75
	buffer_store_dword v77, off, s[0:3], 0 offset:32
	buffer_store_dword v76, off, s[0:3], 0 offset:36
.LBB98_31:
	s_or_b32 exec_lo, exec_lo, s4
	s_waitcnt_vscnt null, 0x0
	s_barrier
	buffer_gl0_inv
	s_clause 0x1
	buffer_load_dword v75, off, s[0:3], 0 offset:40
	buffer_load_dword v76, off, s[0:3], 0 offset:44
	s_mov_b32 s4, exec_lo
	s_waitcnt vmcnt(0)
	ds_write_b64 v74, v[75:76]
	s_waitcnt lgkmcnt(0)
	s_barrier
	buffer_gl0_inv
	v_cmpx_gt_u32_e32 5, v0
	s_cbranch_execz .LBB98_35
; %bb.32:
	v_add_nc_u32_e32 v75, -1, v0
	v_add_nc_u32_e32 v76, 0x120, v73
	v_mov_b32_e32 v77, v73
	v_mov_b32_e32 v72, 0
	;; [unrolled: 1-line block ×3, first 2 shown]
	s_mov_b32 s5, 0
	.p2align	6
.LBB98_33:                              ; =>This Inner Loop Header: Depth=1
	s_clause 0x1
	buffer_load_dword v81, v77, s[0:3], 0 offen offset:4
	buffer_load_dword v82, v77, s[0:3], 0 offen
	ds_read_b64 v[79:80], v76
	v_add_nc_u32_e32 v75, 1, v75
	v_add_nc_u32_e32 v76, 8, v76
	;; [unrolled: 1-line block ×3, first 2 shown]
	v_cmp_lt_u32_e32 vcc_lo, 3, v75
	s_or_b32 s5, vcc_lo, s5
	s_waitcnt vmcnt(1) lgkmcnt(0)
	v_mul_f32_e32 v83, v80, v81
	v_mul_f32_e32 v81, v79, v81
	s_waitcnt vmcnt(0)
	v_fma_f32 v79, v79, v82, -v83
	v_fmac_f32_e32 v81, v80, v82
	v_add_f32_e32 v78, v78, v79
	v_add_f32_e32 v72, v72, v81
	s_andn2_b32 exec_lo, exec_lo, s5
	s_cbranch_execnz .LBB98_33
; %bb.34:
	s_or_b32 exec_lo, exec_lo, s5
	v_mov_b32_e32 v75, 0
	ds_read_b64 v[75:76], v75 offset:40
	s_waitcnt lgkmcnt(0)
	v_mul_f32_e32 v77, v72, v76
	v_mul_f32_e32 v76, v78, v76
	v_fma_f32 v77, v78, v75, -v77
	v_fmac_f32_e32 v76, v72, v75
	buffer_store_dword v77, off, s[0:3], 0 offset:40
	buffer_store_dword v76, off, s[0:3], 0 offset:44
.LBB98_35:
	s_or_b32 exec_lo, exec_lo, s4
	s_waitcnt_vscnt null, 0x0
	s_barrier
	buffer_gl0_inv
	s_clause 0x1
	buffer_load_dword v75, off, s[0:3], 0 offset:48
	buffer_load_dword v76, off, s[0:3], 0 offset:52
	s_mov_b32 s4, exec_lo
	s_waitcnt vmcnt(0)
	ds_write_b64 v74, v[75:76]
	s_waitcnt lgkmcnt(0)
	s_barrier
	buffer_gl0_inv
	v_cmpx_gt_u32_e32 6, v0
	s_cbranch_execz .LBB98_39
; %bb.36:
	v_add_nc_u32_e32 v75, -1, v0
	v_add_nc_u32_e32 v76, 0x120, v73
	v_mov_b32_e32 v77, v73
	v_mov_b32_e32 v72, 0
	;; [unrolled: 1-line block ×3, first 2 shown]
	s_mov_b32 s5, 0
	.p2align	6
.LBB98_37:                              ; =>This Inner Loop Header: Depth=1
	s_clause 0x1
	buffer_load_dword v81, v77, s[0:3], 0 offen offset:4
	buffer_load_dword v82, v77, s[0:3], 0 offen
	ds_read_b64 v[79:80], v76
	v_add_nc_u32_e32 v75, 1, v75
	v_add_nc_u32_e32 v76, 8, v76
	;; [unrolled: 1-line block ×3, first 2 shown]
	v_cmp_lt_u32_e32 vcc_lo, 4, v75
	s_or_b32 s5, vcc_lo, s5
	s_waitcnt vmcnt(1) lgkmcnt(0)
	v_mul_f32_e32 v83, v80, v81
	v_mul_f32_e32 v81, v79, v81
	s_waitcnt vmcnt(0)
	v_fma_f32 v79, v79, v82, -v83
	v_fmac_f32_e32 v81, v80, v82
	v_add_f32_e32 v78, v78, v79
	v_add_f32_e32 v72, v72, v81
	s_andn2_b32 exec_lo, exec_lo, s5
	s_cbranch_execnz .LBB98_37
; %bb.38:
	s_or_b32 exec_lo, exec_lo, s5
	v_mov_b32_e32 v75, 0
	ds_read_b64 v[75:76], v75 offset:48
	s_waitcnt lgkmcnt(0)
	v_mul_f32_e32 v77, v72, v76
	v_mul_f32_e32 v76, v78, v76
	v_fma_f32 v77, v78, v75, -v77
	v_fmac_f32_e32 v76, v72, v75
	buffer_store_dword v77, off, s[0:3], 0 offset:48
	buffer_store_dword v76, off, s[0:3], 0 offset:52
.LBB98_39:
	s_or_b32 exec_lo, exec_lo, s4
	s_waitcnt_vscnt null, 0x0
	s_barrier
	buffer_gl0_inv
	s_clause 0x1
	buffer_load_dword v75, off, s[0:3], 0 offset:56
	buffer_load_dword v76, off, s[0:3], 0 offset:60
	s_mov_b32 s4, exec_lo
	s_waitcnt vmcnt(0)
	ds_write_b64 v74, v[75:76]
	s_waitcnt lgkmcnt(0)
	s_barrier
	buffer_gl0_inv
	v_cmpx_gt_u32_e32 7, v0
	s_cbranch_execz .LBB98_43
; %bb.40:
	v_add_nc_u32_e32 v75, -1, v0
	v_add_nc_u32_e32 v76, 0x120, v73
	v_mov_b32_e32 v77, v73
	v_mov_b32_e32 v72, 0
	;; [unrolled: 1-line block ×3, first 2 shown]
	s_mov_b32 s5, 0
	.p2align	6
.LBB98_41:                              ; =>This Inner Loop Header: Depth=1
	s_clause 0x1
	buffer_load_dword v81, v77, s[0:3], 0 offen offset:4
	buffer_load_dword v82, v77, s[0:3], 0 offen
	ds_read_b64 v[79:80], v76
	v_add_nc_u32_e32 v75, 1, v75
	v_add_nc_u32_e32 v76, 8, v76
	;; [unrolled: 1-line block ×3, first 2 shown]
	v_cmp_lt_u32_e32 vcc_lo, 5, v75
	s_or_b32 s5, vcc_lo, s5
	s_waitcnt vmcnt(1) lgkmcnt(0)
	v_mul_f32_e32 v83, v80, v81
	v_mul_f32_e32 v81, v79, v81
	s_waitcnt vmcnt(0)
	v_fma_f32 v79, v79, v82, -v83
	v_fmac_f32_e32 v81, v80, v82
	v_add_f32_e32 v78, v78, v79
	v_add_f32_e32 v72, v72, v81
	s_andn2_b32 exec_lo, exec_lo, s5
	s_cbranch_execnz .LBB98_41
; %bb.42:
	s_or_b32 exec_lo, exec_lo, s5
	v_mov_b32_e32 v75, 0
	ds_read_b64 v[75:76], v75 offset:56
	s_waitcnt lgkmcnt(0)
	v_mul_f32_e32 v77, v72, v76
	v_mul_f32_e32 v76, v78, v76
	v_fma_f32 v77, v78, v75, -v77
	v_fmac_f32_e32 v76, v72, v75
	buffer_store_dword v77, off, s[0:3], 0 offset:56
	buffer_store_dword v76, off, s[0:3], 0 offset:60
.LBB98_43:
	s_or_b32 exec_lo, exec_lo, s4
	s_waitcnt_vscnt null, 0x0
	s_barrier
	buffer_gl0_inv
	s_clause 0x1
	buffer_load_dword v75, off, s[0:3], 0 offset:64
	buffer_load_dword v76, off, s[0:3], 0 offset:68
	s_mov_b32 s4, exec_lo
	s_waitcnt vmcnt(0)
	ds_write_b64 v74, v[75:76]
	s_waitcnt lgkmcnt(0)
	s_barrier
	buffer_gl0_inv
	v_cmpx_gt_u32_e32 8, v0
	s_cbranch_execz .LBB98_47
; %bb.44:
	v_add_nc_u32_e32 v75, -1, v0
	v_add_nc_u32_e32 v76, 0x120, v73
	v_mov_b32_e32 v77, v73
	v_mov_b32_e32 v72, 0
	;; [unrolled: 1-line block ×3, first 2 shown]
	s_mov_b32 s5, 0
	.p2align	6
.LBB98_45:                              ; =>This Inner Loop Header: Depth=1
	s_clause 0x1
	buffer_load_dword v81, v77, s[0:3], 0 offen offset:4
	buffer_load_dword v82, v77, s[0:3], 0 offen
	ds_read_b64 v[79:80], v76
	v_add_nc_u32_e32 v75, 1, v75
	v_add_nc_u32_e32 v76, 8, v76
	;; [unrolled: 1-line block ×3, first 2 shown]
	v_cmp_lt_u32_e32 vcc_lo, 6, v75
	s_or_b32 s5, vcc_lo, s5
	s_waitcnt vmcnt(1) lgkmcnt(0)
	v_mul_f32_e32 v83, v80, v81
	v_mul_f32_e32 v81, v79, v81
	s_waitcnt vmcnt(0)
	v_fma_f32 v79, v79, v82, -v83
	v_fmac_f32_e32 v81, v80, v82
	v_add_f32_e32 v78, v78, v79
	v_add_f32_e32 v72, v72, v81
	s_andn2_b32 exec_lo, exec_lo, s5
	s_cbranch_execnz .LBB98_45
; %bb.46:
	s_or_b32 exec_lo, exec_lo, s5
	v_mov_b32_e32 v75, 0
	ds_read_b64 v[75:76], v75 offset:64
	s_waitcnt lgkmcnt(0)
	v_mul_f32_e32 v77, v72, v76
	v_mul_f32_e32 v76, v78, v76
	v_fma_f32 v77, v78, v75, -v77
	v_fmac_f32_e32 v76, v72, v75
	buffer_store_dword v77, off, s[0:3], 0 offset:64
	buffer_store_dword v76, off, s[0:3], 0 offset:68
.LBB98_47:
	s_or_b32 exec_lo, exec_lo, s4
	s_waitcnt_vscnt null, 0x0
	s_barrier
	buffer_gl0_inv
	s_clause 0x1
	buffer_load_dword v75, off, s[0:3], 0 offset:72
	buffer_load_dword v76, off, s[0:3], 0 offset:76
	s_mov_b32 s4, exec_lo
	s_waitcnt vmcnt(0)
	ds_write_b64 v74, v[75:76]
	s_waitcnt lgkmcnt(0)
	s_barrier
	buffer_gl0_inv
	v_cmpx_gt_u32_e32 9, v0
	s_cbranch_execz .LBB98_51
; %bb.48:
	v_add_nc_u32_e32 v75, -1, v0
	v_add_nc_u32_e32 v76, 0x120, v73
	v_mov_b32_e32 v77, v73
	v_mov_b32_e32 v72, 0
	;; [unrolled: 1-line block ×3, first 2 shown]
	s_mov_b32 s5, 0
	.p2align	6
.LBB98_49:                              ; =>This Inner Loop Header: Depth=1
	s_clause 0x1
	buffer_load_dword v81, v77, s[0:3], 0 offen offset:4
	buffer_load_dword v82, v77, s[0:3], 0 offen
	ds_read_b64 v[79:80], v76
	v_add_nc_u32_e32 v75, 1, v75
	v_add_nc_u32_e32 v76, 8, v76
	;; [unrolled: 1-line block ×3, first 2 shown]
	v_cmp_lt_u32_e32 vcc_lo, 7, v75
	s_or_b32 s5, vcc_lo, s5
	s_waitcnt vmcnt(1) lgkmcnt(0)
	v_mul_f32_e32 v83, v80, v81
	v_mul_f32_e32 v81, v79, v81
	s_waitcnt vmcnt(0)
	v_fma_f32 v79, v79, v82, -v83
	v_fmac_f32_e32 v81, v80, v82
	v_add_f32_e32 v78, v78, v79
	v_add_f32_e32 v72, v72, v81
	s_andn2_b32 exec_lo, exec_lo, s5
	s_cbranch_execnz .LBB98_49
; %bb.50:
	s_or_b32 exec_lo, exec_lo, s5
	v_mov_b32_e32 v75, 0
	ds_read_b64 v[75:76], v75 offset:72
	s_waitcnt lgkmcnt(0)
	v_mul_f32_e32 v77, v72, v76
	v_mul_f32_e32 v76, v78, v76
	v_fma_f32 v77, v78, v75, -v77
	v_fmac_f32_e32 v76, v72, v75
	buffer_store_dword v77, off, s[0:3], 0 offset:72
	buffer_store_dword v76, off, s[0:3], 0 offset:76
.LBB98_51:
	s_or_b32 exec_lo, exec_lo, s4
	s_waitcnt_vscnt null, 0x0
	s_barrier
	buffer_gl0_inv
	s_clause 0x1
	buffer_load_dword v75, off, s[0:3], 0 offset:80
	buffer_load_dword v76, off, s[0:3], 0 offset:84
	s_mov_b32 s4, exec_lo
	s_waitcnt vmcnt(0)
	ds_write_b64 v74, v[75:76]
	s_waitcnt lgkmcnt(0)
	s_barrier
	buffer_gl0_inv
	v_cmpx_gt_u32_e32 10, v0
	s_cbranch_execz .LBB98_55
; %bb.52:
	v_add_nc_u32_e32 v75, -1, v0
	v_add_nc_u32_e32 v76, 0x120, v73
	v_mov_b32_e32 v77, v73
	v_mov_b32_e32 v72, 0
	;; [unrolled: 1-line block ×3, first 2 shown]
	s_mov_b32 s5, 0
	.p2align	6
.LBB98_53:                              ; =>This Inner Loop Header: Depth=1
	s_clause 0x1
	buffer_load_dword v81, v77, s[0:3], 0 offen offset:4
	buffer_load_dword v82, v77, s[0:3], 0 offen
	ds_read_b64 v[79:80], v76
	v_add_nc_u32_e32 v75, 1, v75
	v_add_nc_u32_e32 v76, 8, v76
	;; [unrolled: 1-line block ×3, first 2 shown]
	v_cmp_lt_u32_e32 vcc_lo, 8, v75
	s_or_b32 s5, vcc_lo, s5
	s_waitcnt vmcnt(1) lgkmcnt(0)
	v_mul_f32_e32 v83, v80, v81
	v_mul_f32_e32 v81, v79, v81
	s_waitcnt vmcnt(0)
	v_fma_f32 v79, v79, v82, -v83
	v_fmac_f32_e32 v81, v80, v82
	v_add_f32_e32 v78, v78, v79
	v_add_f32_e32 v72, v72, v81
	s_andn2_b32 exec_lo, exec_lo, s5
	s_cbranch_execnz .LBB98_53
; %bb.54:
	s_or_b32 exec_lo, exec_lo, s5
	v_mov_b32_e32 v75, 0
	ds_read_b64 v[75:76], v75 offset:80
	s_waitcnt lgkmcnt(0)
	v_mul_f32_e32 v77, v72, v76
	v_mul_f32_e32 v76, v78, v76
	v_fma_f32 v77, v78, v75, -v77
	v_fmac_f32_e32 v76, v72, v75
	buffer_store_dword v77, off, s[0:3], 0 offset:80
	buffer_store_dword v76, off, s[0:3], 0 offset:84
.LBB98_55:
	s_or_b32 exec_lo, exec_lo, s4
	s_waitcnt_vscnt null, 0x0
	s_barrier
	buffer_gl0_inv
	s_clause 0x1
	buffer_load_dword v75, off, s[0:3], 0 offset:88
	buffer_load_dword v76, off, s[0:3], 0 offset:92
	s_mov_b32 s4, exec_lo
	s_waitcnt vmcnt(0)
	ds_write_b64 v74, v[75:76]
	s_waitcnt lgkmcnt(0)
	s_barrier
	buffer_gl0_inv
	v_cmpx_gt_u32_e32 11, v0
	s_cbranch_execz .LBB98_59
; %bb.56:
	v_add_nc_u32_e32 v75, -1, v0
	v_add_nc_u32_e32 v76, 0x120, v73
	v_mov_b32_e32 v77, v73
	v_mov_b32_e32 v72, 0
	;; [unrolled: 1-line block ×3, first 2 shown]
	s_mov_b32 s5, 0
	.p2align	6
.LBB98_57:                              ; =>This Inner Loop Header: Depth=1
	s_clause 0x1
	buffer_load_dword v81, v77, s[0:3], 0 offen offset:4
	buffer_load_dword v82, v77, s[0:3], 0 offen
	ds_read_b64 v[79:80], v76
	v_add_nc_u32_e32 v75, 1, v75
	v_add_nc_u32_e32 v76, 8, v76
	v_add_nc_u32_e32 v77, 8, v77
	v_cmp_lt_u32_e32 vcc_lo, 9, v75
	s_or_b32 s5, vcc_lo, s5
	s_waitcnt vmcnt(1) lgkmcnt(0)
	v_mul_f32_e32 v83, v80, v81
	v_mul_f32_e32 v81, v79, v81
	s_waitcnt vmcnt(0)
	v_fma_f32 v79, v79, v82, -v83
	v_fmac_f32_e32 v81, v80, v82
	v_add_f32_e32 v78, v78, v79
	v_add_f32_e32 v72, v72, v81
	s_andn2_b32 exec_lo, exec_lo, s5
	s_cbranch_execnz .LBB98_57
; %bb.58:
	s_or_b32 exec_lo, exec_lo, s5
	v_mov_b32_e32 v75, 0
	ds_read_b64 v[75:76], v75 offset:88
	s_waitcnt lgkmcnt(0)
	v_mul_f32_e32 v77, v72, v76
	v_mul_f32_e32 v76, v78, v76
	v_fma_f32 v77, v78, v75, -v77
	v_fmac_f32_e32 v76, v72, v75
	buffer_store_dword v77, off, s[0:3], 0 offset:88
	buffer_store_dword v76, off, s[0:3], 0 offset:92
.LBB98_59:
	s_or_b32 exec_lo, exec_lo, s4
	s_waitcnt_vscnt null, 0x0
	s_barrier
	buffer_gl0_inv
	s_clause 0x1
	buffer_load_dword v75, off, s[0:3], 0 offset:96
	buffer_load_dword v76, off, s[0:3], 0 offset:100
	s_mov_b32 s4, exec_lo
	s_waitcnt vmcnt(0)
	ds_write_b64 v74, v[75:76]
	s_waitcnt lgkmcnt(0)
	s_barrier
	buffer_gl0_inv
	v_cmpx_gt_u32_e32 12, v0
	s_cbranch_execz .LBB98_63
; %bb.60:
	v_add_nc_u32_e32 v75, -1, v0
	v_add_nc_u32_e32 v76, 0x120, v73
	v_mov_b32_e32 v77, v73
	v_mov_b32_e32 v72, 0
	;; [unrolled: 1-line block ×3, first 2 shown]
	s_mov_b32 s5, 0
	.p2align	6
.LBB98_61:                              ; =>This Inner Loop Header: Depth=1
	s_clause 0x1
	buffer_load_dword v81, v77, s[0:3], 0 offen offset:4
	buffer_load_dword v82, v77, s[0:3], 0 offen
	ds_read_b64 v[79:80], v76
	v_add_nc_u32_e32 v75, 1, v75
	v_add_nc_u32_e32 v76, 8, v76
	;; [unrolled: 1-line block ×3, first 2 shown]
	v_cmp_lt_u32_e32 vcc_lo, 10, v75
	s_or_b32 s5, vcc_lo, s5
	s_waitcnt vmcnt(1) lgkmcnt(0)
	v_mul_f32_e32 v83, v80, v81
	v_mul_f32_e32 v81, v79, v81
	s_waitcnt vmcnt(0)
	v_fma_f32 v79, v79, v82, -v83
	v_fmac_f32_e32 v81, v80, v82
	v_add_f32_e32 v78, v78, v79
	v_add_f32_e32 v72, v72, v81
	s_andn2_b32 exec_lo, exec_lo, s5
	s_cbranch_execnz .LBB98_61
; %bb.62:
	s_or_b32 exec_lo, exec_lo, s5
	v_mov_b32_e32 v75, 0
	ds_read_b64 v[75:76], v75 offset:96
	s_waitcnt lgkmcnt(0)
	v_mul_f32_e32 v77, v72, v76
	v_mul_f32_e32 v76, v78, v76
	v_fma_f32 v77, v78, v75, -v77
	v_fmac_f32_e32 v76, v72, v75
	buffer_store_dword v77, off, s[0:3], 0 offset:96
	buffer_store_dword v76, off, s[0:3], 0 offset:100
.LBB98_63:
	s_or_b32 exec_lo, exec_lo, s4
	s_waitcnt_vscnt null, 0x0
	s_barrier
	buffer_gl0_inv
	s_clause 0x1
	buffer_load_dword v75, off, s[0:3], 0 offset:104
	buffer_load_dword v76, off, s[0:3], 0 offset:108
	s_mov_b32 s4, exec_lo
	s_waitcnt vmcnt(0)
	ds_write_b64 v74, v[75:76]
	s_waitcnt lgkmcnt(0)
	s_barrier
	buffer_gl0_inv
	v_cmpx_gt_u32_e32 13, v0
	s_cbranch_execz .LBB98_67
; %bb.64:
	v_add_nc_u32_e32 v75, -1, v0
	v_add_nc_u32_e32 v76, 0x120, v73
	v_mov_b32_e32 v77, v73
	v_mov_b32_e32 v72, 0
	;; [unrolled: 1-line block ×3, first 2 shown]
	s_mov_b32 s5, 0
	.p2align	6
.LBB98_65:                              ; =>This Inner Loop Header: Depth=1
	s_clause 0x1
	buffer_load_dword v81, v77, s[0:3], 0 offen offset:4
	buffer_load_dword v82, v77, s[0:3], 0 offen
	ds_read_b64 v[79:80], v76
	v_add_nc_u32_e32 v75, 1, v75
	v_add_nc_u32_e32 v76, 8, v76
	;; [unrolled: 1-line block ×3, first 2 shown]
	v_cmp_lt_u32_e32 vcc_lo, 11, v75
	s_or_b32 s5, vcc_lo, s5
	s_waitcnt vmcnt(1) lgkmcnt(0)
	v_mul_f32_e32 v83, v80, v81
	v_mul_f32_e32 v81, v79, v81
	s_waitcnt vmcnt(0)
	v_fma_f32 v79, v79, v82, -v83
	v_fmac_f32_e32 v81, v80, v82
	v_add_f32_e32 v78, v78, v79
	v_add_f32_e32 v72, v72, v81
	s_andn2_b32 exec_lo, exec_lo, s5
	s_cbranch_execnz .LBB98_65
; %bb.66:
	s_or_b32 exec_lo, exec_lo, s5
	v_mov_b32_e32 v75, 0
	ds_read_b64 v[75:76], v75 offset:104
	s_waitcnt lgkmcnt(0)
	v_mul_f32_e32 v77, v72, v76
	v_mul_f32_e32 v76, v78, v76
	v_fma_f32 v77, v78, v75, -v77
	v_fmac_f32_e32 v76, v72, v75
	buffer_store_dword v77, off, s[0:3], 0 offset:104
	buffer_store_dword v76, off, s[0:3], 0 offset:108
.LBB98_67:
	s_or_b32 exec_lo, exec_lo, s4
	s_waitcnt_vscnt null, 0x0
	s_barrier
	buffer_gl0_inv
	s_clause 0x1
	buffer_load_dword v75, off, s[0:3], 0 offset:112
	buffer_load_dword v76, off, s[0:3], 0 offset:116
	s_mov_b32 s4, exec_lo
	s_waitcnt vmcnt(0)
	ds_write_b64 v74, v[75:76]
	s_waitcnt lgkmcnt(0)
	s_barrier
	buffer_gl0_inv
	v_cmpx_gt_u32_e32 14, v0
	s_cbranch_execz .LBB98_71
; %bb.68:
	v_add_nc_u32_e32 v75, -1, v0
	v_add_nc_u32_e32 v76, 0x120, v73
	v_mov_b32_e32 v77, v73
	v_mov_b32_e32 v72, 0
	v_mov_b32_e32 v78, 0
	s_mov_b32 s5, 0
	.p2align	6
.LBB98_69:                              ; =>This Inner Loop Header: Depth=1
	s_clause 0x1
	buffer_load_dword v81, v77, s[0:3], 0 offen offset:4
	buffer_load_dword v82, v77, s[0:3], 0 offen
	ds_read_b64 v[79:80], v76
	v_add_nc_u32_e32 v75, 1, v75
	v_add_nc_u32_e32 v76, 8, v76
	;; [unrolled: 1-line block ×3, first 2 shown]
	v_cmp_lt_u32_e32 vcc_lo, 12, v75
	s_or_b32 s5, vcc_lo, s5
	s_waitcnt vmcnt(1) lgkmcnt(0)
	v_mul_f32_e32 v83, v80, v81
	v_mul_f32_e32 v81, v79, v81
	s_waitcnt vmcnt(0)
	v_fma_f32 v79, v79, v82, -v83
	v_fmac_f32_e32 v81, v80, v82
	v_add_f32_e32 v78, v78, v79
	v_add_f32_e32 v72, v72, v81
	s_andn2_b32 exec_lo, exec_lo, s5
	s_cbranch_execnz .LBB98_69
; %bb.70:
	s_or_b32 exec_lo, exec_lo, s5
	v_mov_b32_e32 v75, 0
	ds_read_b64 v[75:76], v75 offset:112
	s_waitcnt lgkmcnt(0)
	v_mul_f32_e32 v77, v72, v76
	v_mul_f32_e32 v76, v78, v76
	v_fma_f32 v77, v78, v75, -v77
	v_fmac_f32_e32 v76, v72, v75
	buffer_store_dword v77, off, s[0:3], 0 offset:112
	buffer_store_dword v76, off, s[0:3], 0 offset:116
.LBB98_71:
	s_or_b32 exec_lo, exec_lo, s4
	s_waitcnt_vscnt null, 0x0
	s_barrier
	buffer_gl0_inv
	s_clause 0x1
	buffer_load_dword v75, off, s[0:3], 0 offset:120
	buffer_load_dword v76, off, s[0:3], 0 offset:124
	s_mov_b32 s4, exec_lo
	s_waitcnt vmcnt(0)
	ds_write_b64 v74, v[75:76]
	s_waitcnt lgkmcnt(0)
	s_barrier
	buffer_gl0_inv
	v_cmpx_gt_u32_e32 15, v0
	s_cbranch_execz .LBB98_75
; %bb.72:
	v_add_nc_u32_e32 v75, -1, v0
	v_add_nc_u32_e32 v76, 0x120, v73
	v_mov_b32_e32 v77, v73
	v_mov_b32_e32 v72, 0
	;; [unrolled: 1-line block ×3, first 2 shown]
	s_mov_b32 s5, 0
	.p2align	6
.LBB98_73:                              ; =>This Inner Loop Header: Depth=1
	s_clause 0x1
	buffer_load_dword v81, v77, s[0:3], 0 offen offset:4
	buffer_load_dword v82, v77, s[0:3], 0 offen
	ds_read_b64 v[79:80], v76
	v_add_nc_u32_e32 v75, 1, v75
	v_add_nc_u32_e32 v76, 8, v76
	;; [unrolled: 1-line block ×3, first 2 shown]
	v_cmp_lt_u32_e32 vcc_lo, 13, v75
	s_or_b32 s5, vcc_lo, s5
	s_waitcnt vmcnt(1) lgkmcnt(0)
	v_mul_f32_e32 v83, v80, v81
	v_mul_f32_e32 v81, v79, v81
	s_waitcnt vmcnt(0)
	v_fma_f32 v79, v79, v82, -v83
	v_fmac_f32_e32 v81, v80, v82
	v_add_f32_e32 v78, v78, v79
	v_add_f32_e32 v72, v72, v81
	s_andn2_b32 exec_lo, exec_lo, s5
	s_cbranch_execnz .LBB98_73
; %bb.74:
	s_or_b32 exec_lo, exec_lo, s5
	v_mov_b32_e32 v75, 0
	ds_read_b64 v[75:76], v75 offset:120
	s_waitcnt lgkmcnt(0)
	v_mul_f32_e32 v77, v72, v76
	v_mul_f32_e32 v76, v78, v76
	v_fma_f32 v77, v78, v75, -v77
	v_fmac_f32_e32 v76, v72, v75
	buffer_store_dword v77, off, s[0:3], 0 offset:120
	buffer_store_dword v76, off, s[0:3], 0 offset:124
.LBB98_75:
	s_or_b32 exec_lo, exec_lo, s4
	s_waitcnt_vscnt null, 0x0
	s_barrier
	buffer_gl0_inv
	s_clause 0x1
	buffer_load_dword v75, off, s[0:3], 0 offset:128
	buffer_load_dword v76, off, s[0:3], 0 offset:132
	s_mov_b32 s4, exec_lo
	s_waitcnt vmcnt(0)
	ds_write_b64 v74, v[75:76]
	s_waitcnt lgkmcnt(0)
	s_barrier
	buffer_gl0_inv
	v_cmpx_gt_u32_e32 16, v0
	s_cbranch_execz .LBB98_79
; %bb.76:
	v_add_nc_u32_e32 v75, -1, v0
	v_add_nc_u32_e32 v76, 0x120, v73
	v_mov_b32_e32 v77, v73
	v_mov_b32_e32 v72, 0
	;; [unrolled: 1-line block ×3, first 2 shown]
	s_mov_b32 s5, 0
	.p2align	6
.LBB98_77:                              ; =>This Inner Loop Header: Depth=1
	s_clause 0x1
	buffer_load_dword v81, v77, s[0:3], 0 offen offset:4
	buffer_load_dword v82, v77, s[0:3], 0 offen
	ds_read_b64 v[79:80], v76
	v_add_nc_u32_e32 v75, 1, v75
	v_add_nc_u32_e32 v76, 8, v76
	;; [unrolled: 1-line block ×3, first 2 shown]
	v_cmp_lt_u32_e32 vcc_lo, 14, v75
	s_or_b32 s5, vcc_lo, s5
	s_waitcnt vmcnt(1) lgkmcnt(0)
	v_mul_f32_e32 v83, v80, v81
	v_mul_f32_e32 v81, v79, v81
	s_waitcnt vmcnt(0)
	v_fma_f32 v79, v79, v82, -v83
	v_fmac_f32_e32 v81, v80, v82
	v_add_f32_e32 v78, v78, v79
	v_add_f32_e32 v72, v72, v81
	s_andn2_b32 exec_lo, exec_lo, s5
	s_cbranch_execnz .LBB98_77
; %bb.78:
	s_or_b32 exec_lo, exec_lo, s5
	v_mov_b32_e32 v75, 0
	ds_read_b64 v[75:76], v75 offset:128
	s_waitcnt lgkmcnt(0)
	v_mul_f32_e32 v77, v72, v76
	v_mul_f32_e32 v76, v78, v76
	v_fma_f32 v77, v78, v75, -v77
	v_fmac_f32_e32 v76, v72, v75
	buffer_store_dword v77, off, s[0:3], 0 offset:128
	buffer_store_dword v76, off, s[0:3], 0 offset:132
.LBB98_79:
	s_or_b32 exec_lo, exec_lo, s4
	s_waitcnt_vscnt null, 0x0
	s_barrier
	buffer_gl0_inv
	s_clause 0x1
	buffer_load_dword v75, off, s[0:3], 0 offset:136
	buffer_load_dword v76, off, s[0:3], 0 offset:140
	s_mov_b32 s4, exec_lo
	s_waitcnt vmcnt(0)
	ds_write_b64 v74, v[75:76]
	s_waitcnt lgkmcnt(0)
	s_barrier
	buffer_gl0_inv
	v_cmpx_gt_u32_e32 17, v0
	s_cbranch_execz .LBB98_83
; %bb.80:
	v_add_nc_u32_e32 v75, -1, v0
	v_add_nc_u32_e32 v76, 0x120, v73
	v_mov_b32_e32 v77, v73
	v_mov_b32_e32 v72, 0
	;; [unrolled: 1-line block ×3, first 2 shown]
	s_mov_b32 s5, 0
	.p2align	6
.LBB98_81:                              ; =>This Inner Loop Header: Depth=1
	s_clause 0x1
	buffer_load_dword v81, v77, s[0:3], 0 offen offset:4
	buffer_load_dword v82, v77, s[0:3], 0 offen
	ds_read_b64 v[79:80], v76
	v_add_nc_u32_e32 v75, 1, v75
	v_add_nc_u32_e32 v76, 8, v76
	;; [unrolled: 1-line block ×3, first 2 shown]
	v_cmp_lt_u32_e32 vcc_lo, 15, v75
	s_or_b32 s5, vcc_lo, s5
	s_waitcnt vmcnt(1) lgkmcnt(0)
	v_mul_f32_e32 v83, v80, v81
	v_mul_f32_e32 v81, v79, v81
	s_waitcnt vmcnt(0)
	v_fma_f32 v79, v79, v82, -v83
	v_fmac_f32_e32 v81, v80, v82
	v_add_f32_e32 v78, v78, v79
	v_add_f32_e32 v72, v72, v81
	s_andn2_b32 exec_lo, exec_lo, s5
	s_cbranch_execnz .LBB98_81
; %bb.82:
	s_or_b32 exec_lo, exec_lo, s5
	v_mov_b32_e32 v75, 0
	ds_read_b64 v[75:76], v75 offset:136
	s_waitcnt lgkmcnt(0)
	v_mul_f32_e32 v77, v72, v76
	v_mul_f32_e32 v76, v78, v76
	v_fma_f32 v77, v78, v75, -v77
	v_fmac_f32_e32 v76, v72, v75
	buffer_store_dword v77, off, s[0:3], 0 offset:136
	buffer_store_dword v76, off, s[0:3], 0 offset:140
.LBB98_83:
	s_or_b32 exec_lo, exec_lo, s4
	s_waitcnt_vscnt null, 0x0
	s_barrier
	buffer_gl0_inv
	s_clause 0x1
	buffer_load_dword v75, off, s[0:3], 0 offset:144
	buffer_load_dword v76, off, s[0:3], 0 offset:148
	s_mov_b32 s4, exec_lo
	s_waitcnt vmcnt(0)
	ds_write_b64 v74, v[75:76]
	s_waitcnt lgkmcnt(0)
	s_barrier
	buffer_gl0_inv
	v_cmpx_gt_u32_e32 18, v0
	s_cbranch_execz .LBB98_87
; %bb.84:
	v_add_nc_u32_e32 v75, -1, v0
	v_add_nc_u32_e32 v76, 0x120, v73
	v_mov_b32_e32 v77, v73
	v_mov_b32_e32 v72, 0
	;; [unrolled: 1-line block ×3, first 2 shown]
	s_mov_b32 s5, 0
	.p2align	6
.LBB98_85:                              ; =>This Inner Loop Header: Depth=1
	s_clause 0x1
	buffer_load_dword v81, v77, s[0:3], 0 offen offset:4
	buffer_load_dword v82, v77, s[0:3], 0 offen
	ds_read_b64 v[79:80], v76
	v_add_nc_u32_e32 v75, 1, v75
	v_add_nc_u32_e32 v76, 8, v76
	;; [unrolled: 1-line block ×3, first 2 shown]
	v_cmp_lt_u32_e32 vcc_lo, 16, v75
	s_or_b32 s5, vcc_lo, s5
	s_waitcnt vmcnt(1) lgkmcnt(0)
	v_mul_f32_e32 v83, v80, v81
	v_mul_f32_e32 v81, v79, v81
	s_waitcnt vmcnt(0)
	v_fma_f32 v79, v79, v82, -v83
	v_fmac_f32_e32 v81, v80, v82
	v_add_f32_e32 v78, v78, v79
	v_add_f32_e32 v72, v72, v81
	s_andn2_b32 exec_lo, exec_lo, s5
	s_cbranch_execnz .LBB98_85
; %bb.86:
	s_or_b32 exec_lo, exec_lo, s5
	v_mov_b32_e32 v75, 0
	ds_read_b64 v[75:76], v75 offset:144
	s_waitcnt lgkmcnt(0)
	v_mul_f32_e32 v77, v72, v76
	v_mul_f32_e32 v76, v78, v76
	v_fma_f32 v77, v78, v75, -v77
	v_fmac_f32_e32 v76, v72, v75
	buffer_store_dword v77, off, s[0:3], 0 offset:144
	buffer_store_dword v76, off, s[0:3], 0 offset:148
.LBB98_87:
	s_or_b32 exec_lo, exec_lo, s4
	s_waitcnt_vscnt null, 0x0
	s_barrier
	buffer_gl0_inv
	s_clause 0x1
	buffer_load_dword v75, off, s[0:3], 0 offset:152
	buffer_load_dword v76, off, s[0:3], 0 offset:156
	s_mov_b32 s4, exec_lo
	s_waitcnt vmcnt(0)
	ds_write_b64 v74, v[75:76]
	s_waitcnt lgkmcnt(0)
	s_barrier
	buffer_gl0_inv
	v_cmpx_gt_u32_e32 19, v0
	s_cbranch_execz .LBB98_91
; %bb.88:
	v_add_nc_u32_e32 v75, -1, v0
	v_add_nc_u32_e32 v76, 0x120, v73
	v_mov_b32_e32 v77, v73
	v_mov_b32_e32 v72, 0
	;; [unrolled: 1-line block ×3, first 2 shown]
	s_mov_b32 s5, 0
	.p2align	6
.LBB98_89:                              ; =>This Inner Loop Header: Depth=1
	s_clause 0x1
	buffer_load_dword v81, v77, s[0:3], 0 offen offset:4
	buffer_load_dword v82, v77, s[0:3], 0 offen
	ds_read_b64 v[79:80], v76
	v_add_nc_u32_e32 v75, 1, v75
	v_add_nc_u32_e32 v76, 8, v76
	;; [unrolled: 1-line block ×3, first 2 shown]
	v_cmp_lt_u32_e32 vcc_lo, 17, v75
	s_or_b32 s5, vcc_lo, s5
	s_waitcnt vmcnt(1) lgkmcnt(0)
	v_mul_f32_e32 v83, v80, v81
	v_mul_f32_e32 v81, v79, v81
	s_waitcnt vmcnt(0)
	v_fma_f32 v79, v79, v82, -v83
	v_fmac_f32_e32 v81, v80, v82
	v_add_f32_e32 v78, v78, v79
	v_add_f32_e32 v72, v72, v81
	s_andn2_b32 exec_lo, exec_lo, s5
	s_cbranch_execnz .LBB98_89
; %bb.90:
	s_or_b32 exec_lo, exec_lo, s5
	v_mov_b32_e32 v75, 0
	ds_read_b64 v[75:76], v75 offset:152
	s_waitcnt lgkmcnt(0)
	v_mul_f32_e32 v77, v72, v76
	v_mul_f32_e32 v76, v78, v76
	v_fma_f32 v77, v78, v75, -v77
	v_fmac_f32_e32 v76, v72, v75
	buffer_store_dword v77, off, s[0:3], 0 offset:152
	buffer_store_dword v76, off, s[0:3], 0 offset:156
.LBB98_91:
	s_or_b32 exec_lo, exec_lo, s4
	s_waitcnt_vscnt null, 0x0
	s_barrier
	buffer_gl0_inv
	s_clause 0x1
	buffer_load_dword v75, off, s[0:3], 0 offset:160
	buffer_load_dword v76, off, s[0:3], 0 offset:164
	s_mov_b32 s4, exec_lo
	s_waitcnt vmcnt(0)
	ds_write_b64 v74, v[75:76]
	s_waitcnt lgkmcnt(0)
	s_barrier
	buffer_gl0_inv
	v_cmpx_gt_u32_e32 20, v0
	s_cbranch_execz .LBB98_95
; %bb.92:
	v_add_nc_u32_e32 v75, -1, v0
	v_add_nc_u32_e32 v76, 0x120, v73
	v_mov_b32_e32 v77, v73
	v_mov_b32_e32 v72, 0
	;; [unrolled: 1-line block ×3, first 2 shown]
	s_mov_b32 s5, 0
	.p2align	6
.LBB98_93:                              ; =>This Inner Loop Header: Depth=1
	s_clause 0x1
	buffer_load_dword v81, v77, s[0:3], 0 offen offset:4
	buffer_load_dword v82, v77, s[0:3], 0 offen
	ds_read_b64 v[79:80], v76
	v_add_nc_u32_e32 v75, 1, v75
	v_add_nc_u32_e32 v76, 8, v76
	;; [unrolled: 1-line block ×3, first 2 shown]
	v_cmp_lt_u32_e32 vcc_lo, 18, v75
	s_or_b32 s5, vcc_lo, s5
	s_waitcnt vmcnt(1) lgkmcnt(0)
	v_mul_f32_e32 v83, v80, v81
	v_mul_f32_e32 v81, v79, v81
	s_waitcnt vmcnt(0)
	v_fma_f32 v79, v79, v82, -v83
	v_fmac_f32_e32 v81, v80, v82
	v_add_f32_e32 v78, v78, v79
	v_add_f32_e32 v72, v72, v81
	s_andn2_b32 exec_lo, exec_lo, s5
	s_cbranch_execnz .LBB98_93
; %bb.94:
	s_or_b32 exec_lo, exec_lo, s5
	v_mov_b32_e32 v75, 0
	ds_read_b64 v[75:76], v75 offset:160
	s_waitcnt lgkmcnt(0)
	v_mul_f32_e32 v77, v72, v76
	v_mul_f32_e32 v76, v78, v76
	v_fma_f32 v77, v78, v75, -v77
	v_fmac_f32_e32 v76, v72, v75
	buffer_store_dword v77, off, s[0:3], 0 offset:160
	buffer_store_dword v76, off, s[0:3], 0 offset:164
.LBB98_95:
	s_or_b32 exec_lo, exec_lo, s4
	s_waitcnt_vscnt null, 0x0
	s_barrier
	buffer_gl0_inv
	s_clause 0x1
	buffer_load_dword v75, off, s[0:3], 0 offset:168
	buffer_load_dword v76, off, s[0:3], 0 offset:172
	s_mov_b32 s4, exec_lo
	s_waitcnt vmcnt(0)
	ds_write_b64 v74, v[75:76]
	s_waitcnt lgkmcnt(0)
	s_barrier
	buffer_gl0_inv
	v_cmpx_gt_u32_e32 21, v0
	s_cbranch_execz .LBB98_99
; %bb.96:
	v_add_nc_u32_e32 v75, -1, v0
	v_add_nc_u32_e32 v76, 0x120, v73
	v_mov_b32_e32 v77, v73
	v_mov_b32_e32 v72, 0
	;; [unrolled: 1-line block ×3, first 2 shown]
	s_mov_b32 s5, 0
	.p2align	6
.LBB98_97:                              ; =>This Inner Loop Header: Depth=1
	s_clause 0x1
	buffer_load_dword v81, v77, s[0:3], 0 offen offset:4
	buffer_load_dword v82, v77, s[0:3], 0 offen
	ds_read_b64 v[79:80], v76
	v_add_nc_u32_e32 v75, 1, v75
	v_add_nc_u32_e32 v76, 8, v76
	;; [unrolled: 1-line block ×3, first 2 shown]
	v_cmp_lt_u32_e32 vcc_lo, 19, v75
	s_or_b32 s5, vcc_lo, s5
	s_waitcnt vmcnt(1) lgkmcnt(0)
	v_mul_f32_e32 v83, v80, v81
	v_mul_f32_e32 v81, v79, v81
	s_waitcnt vmcnt(0)
	v_fma_f32 v79, v79, v82, -v83
	v_fmac_f32_e32 v81, v80, v82
	v_add_f32_e32 v78, v78, v79
	v_add_f32_e32 v72, v72, v81
	s_andn2_b32 exec_lo, exec_lo, s5
	s_cbranch_execnz .LBB98_97
; %bb.98:
	s_or_b32 exec_lo, exec_lo, s5
	v_mov_b32_e32 v75, 0
	ds_read_b64 v[75:76], v75 offset:168
	s_waitcnt lgkmcnt(0)
	v_mul_f32_e32 v77, v72, v76
	v_mul_f32_e32 v76, v78, v76
	v_fma_f32 v77, v78, v75, -v77
	v_fmac_f32_e32 v76, v72, v75
	buffer_store_dword v77, off, s[0:3], 0 offset:168
	buffer_store_dword v76, off, s[0:3], 0 offset:172
.LBB98_99:
	s_or_b32 exec_lo, exec_lo, s4
	s_waitcnt_vscnt null, 0x0
	s_barrier
	buffer_gl0_inv
	s_clause 0x1
	buffer_load_dword v75, off, s[0:3], 0 offset:176
	buffer_load_dword v76, off, s[0:3], 0 offset:180
	s_mov_b32 s4, exec_lo
	s_waitcnt vmcnt(0)
	ds_write_b64 v74, v[75:76]
	s_waitcnt lgkmcnt(0)
	s_barrier
	buffer_gl0_inv
	v_cmpx_gt_u32_e32 22, v0
	s_cbranch_execz .LBB98_103
; %bb.100:
	v_add_nc_u32_e32 v75, -1, v0
	v_add_nc_u32_e32 v76, 0x120, v73
	v_mov_b32_e32 v77, v73
	v_mov_b32_e32 v72, 0
	;; [unrolled: 1-line block ×3, first 2 shown]
	s_mov_b32 s5, 0
	.p2align	6
.LBB98_101:                             ; =>This Inner Loop Header: Depth=1
	s_clause 0x1
	buffer_load_dword v81, v77, s[0:3], 0 offen offset:4
	buffer_load_dword v82, v77, s[0:3], 0 offen
	ds_read_b64 v[79:80], v76
	v_add_nc_u32_e32 v75, 1, v75
	v_add_nc_u32_e32 v76, 8, v76
	;; [unrolled: 1-line block ×3, first 2 shown]
	v_cmp_lt_u32_e32 vcc_lo, 20, v75
	s_or_b32 s5, vcc_lo, s5
	s_waitcnt vmcnt(1) lgkmcnt(0)
	v_mul_f32_e32 v83, v80, v81
	v_mul_f32_e32 v81, v79, v81
	s_waitcnt vmcnt(0)
	v_fma_f32 v79, v79, v82, -v83
	v_fmac_f32_e32 v81, v80, v82
	v_add_f32_e32 v78, v78, v79
	v_add_f32_e32 v72, v72, v81
	s_andn2_b32 exec_lo, exec_lo, s5
	s_cbranch_execnz .LBB98_101
; %bb.102:
	s_or_b32 exec_lo, exec_lo, s5
	v_mov_b32_e32 v75, 0
	ds_read_b64 v[75:76], v75 offset:176
	s_waitcnt lgkmcnt(0)
	v_mul_f32_e32 v77, v72, v76
	v_mul_f32_e32 v76, v78, v76
	v_fma_f32 v77, v78, v75, -v77
	v_fmac_f32_e32 v76, v72, v75
	buffer_store_dword v77, off, s[0:3], 0 offset:176
	buffer_store_dword v76, off, s[0:3], 0 offset:180
.LBB98_103:
	s_or_b32 exec_lo, exec_lo, s4
	s_waitcnt_vscnt null, 0x0
	s_barrier
	buffer_gl0_inv
	s_clause 0x1
	buffer_load_dword v75, off, s[0:3], 0 offset:184
	buffer_load_dword v76, off, s[0:3], 0 offset:188
	s_mov_b32 s4, exec_lo
	s_waitcnt vmcnt(0)
	ds_write_b64 v74, v[75:76]
	s_waitcnt lgkmcnt(0)
	s_barrier
	buffer_gl0_inv
	v_cmpx_gt_u32_e32 23, v0
	s_cbranch_execz .LBB98_107
; %bb.104:
	v_add_nc_u32_e32 v75, -1, v0
	v_add_nc_u32_e32 v76, 0x120, v73
	v_mov_b32_e32 v77, v73
	v_mov_b32_e32 v72, 0
	;; [unrolled: 1-line block ×3, first 2 shown]
	s_mov_b32 s5, 0
	.p2align	6
.LBB98_105:                             ; =>This Inner Loop Header: Depth=1
	s_clause 0x1
	buffer_load_dword v81, v77, s[0:3], 0 offen offset:4
	buffer_load_dword v82, v77, s[0:3], 0 offen
	ds_read_b64 v[79:80], v76
	v_add_nc_u32_e32 v75, 1, v75
	v_add_nc_u32_e32 v76, 8, v76
	v_add_nc_u32_e32 v77, 8, v77
	v_cmp_lt_u32_e32 vcc_lo, 21, v75
	s_or_b32 s5, vcc_lo, s5
	s_waitcnt vmcnt(1) lgkmcnt(0)
	v_mul_f32_e32 v83, v80, v81
	v_mul_f32_e32 v81, v79, v81
	s_waitcnt vmcnt(0)
	v_fma_f32 v79, v79, v82, -v83
	v_fmac_f32_e32 v81, v80, v82
	v_add_f32_e32 v78, v78, v79
	v_add_f32_e32 v72, v72, v81
	s_andn2_b32 exec_lo, exec_lo, s5
	s_cbranch_execnz .LBB98_105
; %bb.106:
	s_or_b32 exec_lo, exec_lo, s5
	v_mov_b32_e32 v75, 0
	ds_read_b64 v[75:76], v75 offset:184
	s_waitcnt lgkmcnt(0)
	v_mul_f32_e32 v77, v72, v76
	v_mul_f32_e32 v76, v78, v76
	v_fma_f32 v77, v78, v75, -v77
	v_fmac_f32_e32 v76, v72, v75
	buffer_store_dword v77, off, s[0:3], 0 offset:184
	buffer_store_dword v76, off, s[0:3], 0 offset:188
.LBB98_107:
	s_or_b32 exec_lo, exec_lo, s4
	s_waitcnt_vscnt null, 0x0
	s_barrier
	buffer_gl0_inv
	s_clause 0x1
	buffer_load_dword v75, off, s[0:3], 0 offset:192
	buffer_load_dword v76, off, s[0:3], 0 offset:196
	s_mov_b32 s4, exec_lo
	s_waitcnt vmcnt(0)
	ds_write_b64 v74, v[75:76]
	s_waitcnt lgkmcnt(0)
	s_barrier
	buffer_gl0_inv
	v_cmpx_gt_u32_e32 24, v0
	s_cbranch_execz .LBB98_111
; %bb.108:
	v_add_nc_u32_e32 v75, -1, v0
	v_add_nc_u32_e32 v76, 0x120, v73
	v_mov_b32_e32 v77, v73
	v_mov_b32_e32 v72, 0
	;; [unrolled: 1-line block ×3, first 2 shown]
	s_mov_b32 s5, 0
	.p2align	6
.LBB98_109:                             ; =>This Inner Loop Header: Depth=1
	s_clause 0x1
	buffer_load_dword v81, v77, s[0:3], 0 offen offset:4
	buffer_load_dword v82, v77, s[0:3], 0 offen
	ds_read_b64 v[79:80], v76
	v_add_nc_u32_e32 v75, 1, v75
	v_add_nc_u32_e32 v76, 8, v76
	;; [unrolled: 1-line block ×3, first 2 shown]
	v_cmp_lt_u32_e32 vcc_lo, 22, v75
	s_or_b32 s5, vcc_lo, s5
	s_waitcnt vmcnt(1) lgkmcnt(0)
	v_mul_f32_e32 v83, v80, v81
	v_mul_f32_e32 v81, v79, v81
	s_waitcnt vmcnt(0)
	v_fma_f32 v79, v79, v82, -v83
	v_fmac_f32_e32 v81, v80, v82
	v_add_f32_e32 v78, v78, v79
	v_add_f32_e32 v72, v72, v81
	s_andn2_b32 exec_lo, exec_lo, s5
	s_cbranch_execnz .LBB98_109
; %bb.110:
	s_or_b32 exec_lo, exec_lo, s5
	v_mov_b32_e32 v75, 0
	ds_read_b64 v[75:76], v75 offset:192
	s_waitcnt lgkmcnt(0)
	v_mul_f32_e32 v77, v72, v76
	v_mul_f32_e32 v76, v78, v76
	v_fma_f32 v77, v78, v75, -v77
	v_fmac_f32_e32 v76, v72, v75
	buffer_store_dword v77, off, s[0:3], 0 offset:192
	buffer_store_dword v76, off, s[0:3], 0 offset:196
.LBB98_111:
	s_or_b32 exec_lo, exec_lo, s4
	s_waitcnt_vscnt null, 0x0
	s_barrier
	buffer_gl0_inv
	s_clause 0x1
	buffer_load_dword v75, off, s[0:3], 0 offset:200
	buffer_load_dword v76, off, s[0:3], 0 offset:204
	s_mov_b32 s4, exec_lo
	s_waitcnt vmcnt(0)
	ds_write_b64 v74, v[75:76]
	s_waitcnt lgkmcnt(0)
	s_barrier
	buffer_gl0_inv
	v_cmpx_gt_u32_e32 25, v0
	s_cbranch_execz .LBB98_115
; %bb.112:
	v_add_nc_u32_e32 v75, -1, v0
	v_add_nc_u32_e32 v76, 0x120, v73
	v_mov_b32_e32 v77, v73
	v_mov_b32_e32 v72, 0
	;; [unrolled: 1-line block ×3, first 2 shown]
	s_mov_b32 s5, 0
	.p2align	6
.LBB98_113:                             ; =>This Inner Loop Header: Depth=1
	s_clause 0x1
	buffer_load_dword v81, v77, s[0:3], 0 offen offset:4
	buffer_load_dword v82, v77, s[0:3], 0 offen
	ds_read_b64 v[79:80], v76
	v_add_nc_u32_e32 v75, 1, v75
	v_add_nc_u32_e32 v76, 8, v76
	v_add_nc_u32_e32 v77, 8, v77
	v_cmp_lt_u32_e32 vcc_lo, 23, v75
	s_or_b32 s5, vcc_lo, s5
	s_waitcnt vmcnt(1) lgkmcnt(0)
	v_mul_f32_e32 v83, v80, v81
	v_mul_f32_e32 v81, v79, v81
	s_waitcnt vmcnt(0)
	v_fma_f32 v79, v79, v82, -v83
	v_fmac_f32_e32 v81, v80, v82
	v_add_f32_e32 v78, v78, v79
	v_add_f32_e32 v72, v72, v81
	s_andn2_b32 exec_lo, exec_lo, s5
	s_cbranch_execnz .LBB98_113
; %bb.114:
	s_or_b32 exec_lo, exec_lo, s5
	v_mov_b32_e32 v75, 0
	ds_read_b64 v[75:76], v75 offset:200
	s_waitcnt lgkmcnt(0)
	v_mul_f32_e32 v77, v72, v76
	v_mul_f32_e32 v76, v78, v76
	v_fma_f32 v77, v78, v75, -v77
	v_fmac_f32_e32 v76, v72, v75
	buffer_store_dword v77, off, s[0:3], 0 offset:200
	buffer_store_dword v76, off, s[0:3], 0 offset:204
.LBB98_115:
	s_or_b32 exec_lo, exec_lo, s4
	s_waitcnt_vscnt null, 0x0
	s_barrier
	buffer_gl0_inv
	s_clause 0x1
	buffer_load_dword v75, off, s[0:3], 0 offset:208
	buffer_load_dword v76, off, s[0:3], 0 offset:212
	s_mov_b32 s4, exec_lo
	s_waitcnt vmcnt(0)
	ds_write_b64 v74, v[75:76]
	s_waitcnt lgkmcnt(0)
	s_barrier
	buffer_gl0_inv
	v_cmpx_gt_u32_e32 26, v0
	s_cbranch_execz .LBB98_119
; %bb.116:
	v_add_nc_u32_e32 v75, -1, v0
	v_add_nc_u32_e32 v76, 0x120, v73
	v_mov_b32_e32 v77, v73
	v_mov_b32_e32 v72, 0
	;; [unrolled: 1-line block ×3, first 2 shown]
	s_mov_b32 s5, 0
	.p2align	6
.LBB98_117:                             ; =>This Inner Loop Header: Depth=1
	s_clause 0x1
	buffer_load_dword v81, v77, s[0:3], 0 offen offset:4
	buffer_load_dword v82, v77, s[0:3], 0 offen
	ds_read_b64 v[79:80], v76
	v_add_nc_u32_e32 v75, 1, v75
	v_add_nc_u32_e32 v76, 8, v76
	;; [unrolled: 1-line block ×3, first 2 shown]
	v_cmp_lt_u32_e32 vcc_lo, 24, v75
	s_or_b32 s5, vcc_lo, s5
	s_waitcnt vmcnt(1) lgkmcnt(0)
	v_mul_f32_e32 v83, v80, v81
	v_mul_f32_e32 v81, v79, v81
	s_waitcnt vmcnt(0)
	v_fma_f32 v79, v79, v82, -v83
	v_fmac_f32_e32 v81, v80, v82
	v_add_f32_e32 v78, v78, v79
	v_add_f32_e32 v72, v72, v81
	s_andn2_b32 exec_lo, exec_lo, s5
	s_cbranch_execnz .LBB98_117
; %bb.118:
	s_or_b32 exec_lo, exec_lo, s5
	v_mov_b32_e32 v75, 0
	ds_read_b64 v[75:76], v75 offset:208
	s_waitcnt lgkmcnt(0)
	v_mul_f32_e32 v77, v72, v76
	v_mul_f32_e32 v76, v78, v76
	v_fma_f32 v77, v78, v75, -v77
	v_fmac_f32_e32 v76, v72, v75
	buffer_store_dword v77, off, s[0:3], 0 offset:208
	buffer_store_dword v76, off, s[0:3], 0 offset:212
.LBB98_119:
	s_or_b32 exec_lo, exec_lo, s4
	s_waitcnt_vscnt null, 0x0
	s_barrier
	buffer_gl0_inv
	s_clause 0x1
	buffer_load_dword v75, off, s[0:3], 0 offset:216
	buffer_load_dword v76, off, s[0:3], 0 offset:220
	s_mov_b32 s4, exec_lo
	s_waitcnt vmcnt(0)
	ds_write_b64 v74, v[75:76]
	s_waitcnt lgkmcnt(0)
	s_barrier
	buffer_gl0_inv
	v_cmpx_gt_u32_e32 27, v0
	s_cbranch_execz .LBB98_123
; %bb.120:
	v_add_nc_u32_e32 v75, -1, v0
	v_add_nc_u32_e32 v76, 0x120, v73
	v_mov_b32_e32 v77, v73
	v_mov_b32_e32 v72, 0
	;; [unrolled: 1-line block ×3, first 2 shown]
	s_mov_b32 s5, 0
	.p2align	6
.LBB98_121:                             ; =>This Inner Loop Header: Depth=1
	s_clause 0x1
	buffer_load_dword v81, v77, s[0:3], 0 offen offset:4
	buffer_load_dword v82, v77, s[0:3], 0 offen
	ds_read_b64 v[79:80], v76
	v_add_nc_u32_e32 v75, 1, v75
	v_add_nc_u32_e32 v76, 8, v76
	;; [unrolled: 1-line block ×3, first 2 shown]
	v_cmp_lt_u32_e32 vcc_lo, 25, v75
	s_or_b32 s5, vcc_lo, s5
	s_waitcnt vmcnt(1) lgkmcnt(0)
	v_mul_f32_e32 v83, v80, v81
	v_mul_f32_e32 v81, v79, v81
	s_waitcnt vmcnt(0)
	v_fma_f32 v79, v79, v82, -v83
	v_fmac_f32_e32 v81, v80, v82
	v_add_f32_e32 v78, v78, v79
	v_add_f32_e32 v72, v72, v81
	s_andn2_b32 exec_lo, exec_lo, s5
	s_cbranch_execnz .LBB98_121
; %bb.122:
	s_or_b32 exec_lo, exec_lo, s5
	v_mov_b32_e32 v75, 0
	ds_read_b64 v[75:76], v75 offset:216
	s_waitcnt lgkmcnt(0)
	v_mul_f32_e32 v77, v72, v76
	v_mul_f32_e32 v76, v78, v76
	v_fma_f32 v77, v78, v75, -v77
	v_fmac_f32_e32 v76, v72, v75
	buffer_store_dword v77, off, s[0:3], 0 offset:216
	buffer_store_dword v76, off, s[0:3], 0 offset:220
.LBB98_123:
	s_or_b32 exec_lo, exec_lo, s4
	s_waitcnt_vscnt null, 0x0
	s_barrier
	buffer_gl0_inv
	s_clause 0x1
	buffer_load_dword v75, off, s[0:3], 0 offset:224
	buffer_load_dword v76, off, s[0:3], 0 offset:228
	s_mov_b32 s4, exec_lo
	s_waitcnt vmcnt(0)
	ds_write_b64 v74, v[75:76]
	s_waitcnt lgkmcnt(0)
	s_barrier
	buffer_gl0_inv
	v_cmpx_gt_u32_e32 28, v0
	s_cbranch_execz .LBB98_127
; %bb.124:
	v_add_nc_u32_e32 v75, -1, v0
	v_add_nc_u32_e32 v76, 0x120, v73
	v_mov_b32_e32 v77, v73
	v_mov_b32_e32 v72, 0
	;; [unrolled: 1-line block ×3, first 2 shown]
	s_mov_b32 s5, 0
	.p2align	6
.LBB98_125:                             ; =>This Inner Loop Header: Depth=1
	s_clause 0x1
	buffer_load_dword v81, v77, s[0:3], 0 offen offset:4
	buffer_load_dword v82, v77, s[0:3], 0 offen
	ds_read_b64 v[79:80], v76
	v_add_nc_u32_e32 v75, 1, v75
	v_add_nc_u32_e32 v76, 8, v76
	v_add_nc_u32_e32 v77, 8, v77
	v_cmp_lt_u32_e32 vcc_lo, 26, v75
	s_or_b32 s5, vcc_lo, s5
	s_waitcnt vmcnt(1) lgkmcnt(0)
	v_mul_f32_e32 v83, v80, v81
	v_mul_f32_e32 v81, v79, v81
	s_waitcnt vmcnt(0)
	v_fma_f32 v79, v79, v82, -v83
	v_fmac_f32_e32 v81, v80, v82
	v_add_f32_e32 v78, v78, v79
	v_add_f32_e32 v72, v72, v81
	s_andn2_b32 exec_lo, exec_lo, s5
	s_cbranch_execnz .LBB98_125
; %bb.126:
	s_or_b32 exec_lo, exec_lo, s5
	v_mov_b32_e32 v75, 0
	ds_read_b64 v[75:76], v75 offset:224
	s_waitcnt lgkmcnt(0)
	v_mul_f32_e32 v77, v72, v76
	v_mul_f32_e32 v76, v78, v76
	v_fma_f32 v77, v78, v75, -v77
	v_fmac_f32_e32 v76, v72, v75
	buffer_store_dword v77, off, s[0:3], 0 offset:224
	buffer_store_dword v76, off, s[0:3], 0 offset:228
.LBB98_127:
	s_or_b32 exec_lo, exec_lo, s4
	s_waitcnt_vscnt null, 0x0
	s_barrier
	buffer_gl0_inv
	s_clause 0x1
	buffer_load_dword v75, off, s[0:3], 0 offset:232
	buffer_load_dword v76, off, s[0:3], 0 offset:236
	s_mov_b32 s4, exec_lo
	s_waitcnt vmcnt(0)
	ds_write_b64 v74, v[75:76]
	s_waitcnt lgkmcnt(0)
	s_barrier
	buffer_gl0_inv
	v_cmpx_gt_u32_e32 29, v0
	s_cbranch_execz .LBB98_131
; %bb.128:
	v_add_nc_u32_e32 v75, -1, v0
	v_add_nc_u32_e32 v76, 0x120, v73
	v_mov_b32_e32 v77, v73
	v_mov_b32_e32 v72, 0
	;; [unrolled: 1-line block ×3, first 2 shown]
	s_mov_b32 s5, 0
	.p2align	6
.LBB98_129:                             ; =>This Inner Loop Header: Depth=1
	s_clause 0x1
	buffer_load_dword v81, v77, s[0:3], 0 offen offset:4
	buffer_load_dword v82, v77, s[0:3], 0 offen
	ds_read_b64 v[79:80], v76
	v_add_nc_u32_e32 v75, 1, v75
	v_add_nc_u32_e32 v76, 8, v76
	;; [unrolled: 1-line block ×3, first 2 shown]
	v_cmp_lt_u32_e32 vcc_lo, 27, v75
	s_or_b32 s5, vcc_lo, s5
	s_waitcnt vmcnt(1) lgkmcnt(0)
	v_mul_f32_e32 v83, v80, v81
	v_mul_f32_e32 v81, v79, v81
	s_waitcnt vmcnt(0)
	v_fma_f32 v79, v79, v82, -v83
	v_fmac_f32_e32 v81, v80, v82
	v_add_f32_e32 v78, v78, v79
	v_add_f32_e32 v72, v72, v81
	s_andn2_b32 exec_lo, exec_lo, s5
	s_cbranch_execnz .LBB98_129
; %bb.130:
	s_or_b32 exec_lo, exec_lo, s5
	v_mov_b32_e32 v75, 0
	ds_read_b64 v[75:76], v75 offset:232
	s_waitcnt lgkmcnt(0)
	v_mul_f32_e32 v77, v72, v76
	v_mul_f32_e32 v76, v78, v76
	v_fma_f32 v77, v78, v75, -v77
	v_fmac_f32_e32 v76, v72, v75
	buffer_store_dword v77, off, s[0:3], 0 offset:232
	buffer_store_dword v76, off, s[0:3], 0 offset:236
.LBB98_131:
	s_or_b32 exec_lo, exec_lo, s4
	s_waitcnt_vscnt null, 0x0
	s_barrier
	buffer_gl0_inv
	s_clause 0x1
	buffer_load_dword v75, off, s[0:3], 0 offset:240
	buffer_load_dword v76, off, s[0:3], 0 offset:244
	s_mov_b32 s4, exec_lo
	s_waitcnt vmcnt(0)
	ds_write_b64 v74, v[75:76]
	s_waitcnt lgkmcnt(0)
	s_barrier
	buffer_gl0_inv
	v_cmpx_gt_u32_e32 30, v0
	s_cbranch_execz .LBB98_135
; %bb.132:
	v_add_nc_u32_e32 v75, -1, v0
	v_add_nc_u32_e32 v76, 0x120, v73
	v_mov_b32_e32 v77, v73
	v_mov_b32_e32 v72, 0
	v_mov_b32_e32 v78, 0
	s_mov_b32 s5, 0
	.p2align	6
.LBB98_133:                             ; =>This Inner Loop Header: Depth=1
	s_clause 0x1
	buffer_load_dword v81, v77, s[0:3], 0 offen offset:4
	buffer_load_dword v82, v77, s[0:3], 0 offen
	ds_read_b64 v[79:80], v76
	v_add_nc_u32_e32 v75, 1, v75
	v_add_nc_u32_e32 v76, 8, v76
	v_add_nc_u32_e32 v77, 8, v77
	v_cmp_lt_u32_e32 vcc_lo, 28, v75
	s_or_b32 s5, vcc_lo, s5
	s_waitcnt vmcnt(1) lgkmcnt(0)
	v_mul_f32_e32 v83, v80, v81
	v_mul_f32_e32 v81, v79, v81
	s_waitcnt vmcnt(0)
	v_fma_f32 v79, v79, v82, -v83
	v_fmac_f32_e32 v81, v80, v82
	v_add_f32_e32 v78, v78, v79
	v_add_f32_e32 v72, v72, v81
	s_andn2_b32 exec_lo, exec_lo, s5
	s_cbranch_execnz .LBB98_133
; %bb.134:
	s_or_b32 exec_lo, exec_lo, s5
	v_mov_b32_e32 v75, 0
	ds_read_b64 v[75:76], v75 offset:240
	s_waitcnt lgkmcnt(0)
	v_mul_f32_e32 v77, v72, v76
	v_mul_f32_e32 v76, v78, v76
	v_fma_f32 v77, v78, v75, -v77
	v_fmac_f32_e32 v76, v72, v75
	buffer_store_dword v77, off, s[0:3], 0 offset:240
	buffer_store_dword v76, off, s[0:3], 0 offset:244
.LBB98_135:
	s_or_b32 exec_lo, exec_lo, s4
	s_waitcnt_vscnt null, 0x0
	s_barrier
	buffer_gl0_inv
	s_clause 0x1
	buffer_load_dword v75, off, s[0:3], 0 offset:248
	buffer_load_dword v76, off, s[0:3], 0 offset:252
	s_mov_b32 s4, exec_lo
	s_waitcnt vmcnt(0)
	ds_write_b64 v74, v[75:76]
	s_waitcnt lgkmcnt(0)
	s_barrier
	buffer_gl0_inv
	v_cmpx_gt_u32_e32 31, v0
	s_cbranch_execz .LBB98_139
; %bb.136:
	v_add_nc_u32_e32 v75, -1, v0
	v_add_nc_u32_e32 v76, 0x120, v73
	v_mov_b32_e32 v77, v73
	v_mov_b32_e32 v72, 0
	v_mov_b32_e32 v78, 0
	s_mov_b32 s5, 0
	.p2align	6
.LBB98_137:                             ; =>This Inner Loop Header: Depth=1
	s_clause 0x1
	buffer_load_dword v81, v77, s[0:3], 0 offen offset:4
	buffer_load_dword v82, v77, s[0:3], 0 offen
	ds_read_b64 v[79:80], v76
	v_add_nc_u32_e32 v75, 1, v75
	v_add_nc_u32_e32 v76, 8, v76
	;; [unrolled: 1-line block ×3, first 2 shown]
	v_cmp_lt_u32_e32 vcc_lo, 29, v75
	s_or_b32 s5, vcc_lo, s5
	s_waitcnt vmcnt(1) lgkmcnt(0)
	v_mul_f32_e32 v83, v80, v81
	v_mul_f32_e32 v81, v79, v81
	s_waitcnt vmcnt(0)
	v_fma_f32 v79, v79, v82, -v83
	v_fmac_f32_e32 v81, v80, v82
	v_add_f32_e32 v78, v78, v79
	v_add_f32_e32 v72, v72, v81
	s_andn2_b32 exec_lo, exec_lo, s5
	s_cbranch_execnz .LBB98_137
; %bb.138:
	s_or_b32 exec_lo, exec_lo, s5
	v_mov_b32_e32 v75, 0
	ds_read_b64 v[75:76], v75 offset:248
	s_waitcnt lgkmcnt(0)
	v_mul_f32_e32 v77, v72, v76
	v_mul_f32_e32 v76, v78, v76
	v_fma_f32 v77, v78, v75, -v77
	v_fmac_f32_e32 v76, v72, v75
	buffer_store_dword v77, off, s[0:3], 0 offset:248
	buffer_store_dword v76, off, s[0:3], 0 offset:252
.LBB98_139:
	s_or_b32 exec_lo, exec_lo, s4
	s_waitcnt_vscnt null, 0x0
	s_barrier
	buffer_gl0_inv
	s_clause 0x1
	buffer_load_dword v75, off, s[0:3], 0 offset:256
	buffer_load_dword v76, off, s[0:3], 0 offset:260
	s_mov_b32 s4, exec_lo
	s_waitcnt vmcnt(0)
	ds_write_b64 v74, v[75:76]
	s_waitcnt lgkmcnt(0)
	s_barrier
	buffer_gl0_inv
	v_cmpx_gt_u32_e32 32, v0
	s_cbranch_execz .LBB98_143
; %bb.140:
	v_add_nc_u32_e32 v75, -1, v0
	v_add_nc_u32_e32 v76, 0x120, v73
	v_mov_b32_e32 v77, v73
	v_mov_b32_e32 v72, 0
	v_mov_b32_e32 v78, 0
	s_mov_b32 s5, 0
	.p2align	6
.LBB98_141:                             ; =>This Inner Loop Header: Depth=1
	s_clause 0x1
	buffer_load_dword v81, v77, s[0:3], 0 offen offset:4
	buffer_load_dword v82, v77, s[0:3], 0 offen
	ds_read_b64 v[79:80], v76
	v_add_nc_u32_e32 v75, 1, v75
	v_add_nc_u32_e32 v76, 8, v76
	;; [unrolled: 1-line block ×3, first 2 shown]
	v_cmp_lt_u32_e32 vcc_lo, 30, v75
	s_or_b32 s5, vcc_lo, s5
	s_waitcnt vmcnt(1) lgkmcnt(0)
	v_mul_f32_e32 v83, v80, v81
	v_mul_f32_e32 v81, v79, v81
	s_waitcnt vmcnt(0)
	v_fma_f32 v79, v79, v82, -v83
	v_fmac_f32_e32 v81, v80, v82
	v_add_f32_e32 v78, v78, v79
	v_add_f32_e32 v72, v72, v81
	s_andn2_b32 exec_lo, exec_lo, s5
	s_cbranch_execnz .LBB98_141
; %bb.142:
	s_or_b32 exec_lo, exec_lo, s5
	v_mov_b32_e32 v75, 0
	ds_read_b64 v[75:76], v75 offset:256
	s_waitcnt lgkmcnt(0)
	v_mul_f32_e32 v77, v72, v76
	v_mul_f32_e32 v76, v78, v76
	v_fma_f32 v77, v78, v75, -v77
	v_fmac_f32_e32 v76, v72, v75
	buffer_store_dword v77, off, s[0:3], 0 offset:256
	buffer_store_dword v76, off, s[0:3], 0 offset:260
.LBB98_143:
	s_or_b32 exec_lo, exec_lo, s4
	s_waitcnt_vscnt null, 0x0
	s_barrier
	buffer_gl0_inv
	s_clause 0x1
	buffer_load_dword v75, off, s[0:3], 0 offset:264
	buffer_load_dword v76, off, s[0:3], 0 offset:268
	s_mov_b32 s4, exec_lo
	s_waitcnt vmcnt(0)
	ds_write_b64 v74, v[75:76]
	s_waitcnt lgkmcnt(0)
	s_barrier
	buffer_gl0_inv
	v_cmpx_gt_u32_e32 33, v0
	s_cbranch_execz .LBB98_147
; %bb.144:
	v_add_nc_u32_e32 v75, -1, v0
	v_add_nc_u32_e32 v76, 0x120, v73
	v_mov_b32_e32 v77, v73
	v_mov_b32_e32 v72, 0
	v_mov_b32_e32 v78, 0
	s_mov_b32 s5, 0
	.p2align	6
.LBB98_145:                             ; =>This Inner Loop Header: Depth=1
	s_clause 0x1
	buffer_load_dword v81, v77, s[0:3], 0 offen offset:4
	buffer_load_dword v82, v77, s[0:3], 0 offen
	ds_read_b64 v[79:80], v76
	v_add_nc_u32_e32 v75, 1, v75
	v_add_nc_u32_e32 v76, 8, v76
	;; [unrolled: 1-line block ×3, first 2 shown]
	v_cmp_lt_u32_e32 vcc_lo, 31, v75
	s_or_b32 s5, vcc_lo, s5
	s_waitcnt vmcnt(1) lgkmcnt(0)
	v_mul_f32_e32 v83, v80, v81
	v_mul_f32_e32 v81, v79, v81
	s_waitcnt vmcnt(0)
	v_fma_f32 v79, v79, v82, -v83
	v_fmac_f32_e32 v81, v80, v82
	v_add_f32_e32 v78, v78, v79
	v_add_f32_e32 v72, v72, v81
	s_andn2_b32 exec_lo, exec_lo, s5
	s_cbranch_execnz .LBB98_145
; %bb.146:
	s_or_b32 exec_lo, exec_lo, s5
	v_mov_b32_e32 v75, 0
	ds_read_b64 v[75:76], v75 offset:264
	s_waitcnt lgkmcnt(0)
	v_mul_f32_e32 v77, v72, v76
	v_mul_f32_e32 v76, v78, v76
	v_fma_f32 v77, v78, v75, -v77
	v_fmac_f32_e32 v76, v72, v75
	buffer_store_dword v77, off, s[0:3], 0 offset:264
	buffer_store_dword v76, off, s[0:3], 0 offset:268
.LBB98_147:
	s_or_b32 exec_lo, exec_lo, s4
	s_waitcnt_vscnt null, 0x0
	s_barrier
	buffer_gl0_inv
	s_clause 0x1
	buffer_load_dword v75, off, s[0:3], 0 offset:272
	buffer_load_dword v76, off, s[0:3], 0 offset:276
	s_mov_b32 s4, exec_lo
	s_waitcnt vmcnt(0)
	ds_write_b64 v74, v[75:76]
	s_waitcnt lgkmcnt(0)
	s_barrier
	buffer_gl0_inv
	v_cmpx_ne_u32_e32 34, v0
	s_cbranch_execz .LBB98_151
; %bb.148:
	v_mov_b32_e32 v72, 0
	v_mov_b32_e32 v75, 0
	s_mov_b32 s5, 0
	.p2align	6
.LBB98_149:                             ; =>This Inner Loop Header: Depth=1
	s_clause 0x1
	buffer_load_dword v78, v73, s[0:3], 0 offen offset:4
	buffer_load_dword v79, v73, s[0:3], 0 offen
	ds_read_b64 v[76:77], v74
	v_add_nc_u32_e32 v71, 1, v71
	v_add_nc_u32_e32 v74, 8, v74
	v_add_nc_u32_e32 v73, 8, v73
	v_cmp_lt_u32_e32 vcc_lo, 32, v71
	s_or_b32 s5, vcc_lo, s5
	s_waitcnt vmcnt(1) lgkmcnt(0)
	v_mul_f32_e32 v80, v77, v78
	v_mul_f32_e32 v78, v76, v78
	s_waitcnt vmcnt(0)
	v_fma_f32 v76, v76, v79, -v80
	v_fmac_f32_e32 v78, v77, v79
	v_add_f32_e32 v75, v75, v76
	v_add_f32_e32 v72, v72, v78
	s_andn2_b32 exec_lo, exec_lo, s5
	s_cbranch_execnz .LBB98_149
; %bb.150:
	s_or_b32 exec_lo, exec_lo, s5
	v_mov_b32_e32 v71, 0
	ds_read_b64 v[73:74], v71 offset:272
	s_waitcnt lgkmcnt(0)
	v_mul_f32_e32 v71, v72, v74
	v_mul_f32_e32 v74, v75, v74
	v_fma_f32 v71, v75, v73, -v71
	v_fmac_f32_e32 v74, v72, v73
	buffer_store_dword v71, off, s[0:3], 0 offset:272
	buffer_store_dword v74, off, s[0:3], 0 offset:276
.LBB98_151:
	s_or_b32 exec_lo, exec_lo, s4
	s_mov_b32 s5, -1
	s_waitcnt_vscnt null, 0x0
	s_barrier
	buffer_gl0_inv
.LBB98_152:
	s_and_b32 vcc_lo, exec_lo, s5
	s_cbranch_vccz .LBB98_154
; %bb.153:
	s_lshl_b64 s[4:5], s[6:7], 2
	v_mov_b32_e32 v71, 0
	s_add_u32 s4, s10, s4
	s_addc_u32 s5, s11, s5
	global_load_dword v71, v71, s[4:5]
	s_waitcnt vmcnt(0)
	v_cmp_ne_u32_e32 vcc_lo, 0, v71
	s_cbranch_vccz .LBB98_155
.LBB98_154:
	s_endpgm
.LBB98_155:
	v_lshl_add_u32 v71, v0, 3, 0x120
	s_mov_b32 s4, exec_lo
	v_cmpx_eq_u32_e32 34, v0
	s_cbranch_execz .LBB98_157
; %bb.156:
	s_clause 0x1
	buffer_load_dword v72, off, s[0:3], 0 offset:264
	buffer_load_dword v73, off, s[0:3], 0 offset:268
	v_mov_b32_e32 v74, 0
	buffer_store_dword v74, off, s[0:3], 0 offset:264
	buffer_store_dword v74, off, s[0:3], 0 offset:268
	s_waitcnt vmcnt(0)
	ds_write_b64 v71, v[72:73]
.LBB98_157:
	s_or_b32 exec_lo, exec_lo, s4
	s_waitcnt lgkmcnt(0)
	s_waitcnt_vscnt null, 0x0
	s_barrier
	buffer_gl0_inv
	s_clause 0x3
	buffer_load_dword v75, off, s[0:3], 0 offset:276
	buffer_load_dword v76, off, s[0:3], 0 offset:272
	;; [unrolled: 1-line block ×4, first 2 shown]
	v_mov_b32_e32 v72, 0
	s_mov_b32 s4, exec_lo
	ds_read_b64 v[73:74], v72 offset:560
	s_waitcnt vmcnt(3) lgkmcnt(0)
	v_mul_f32_e32 v79, v74, v75
	v_mul_f32_e32 v75, v73, v75
	s_waitcnt vmcnt(2)
	v_fma_f32 v73, v73, v76, -v79
	v_fmac_f32_e32 v75, v74, v76
	v_add_f32_e32 v73, 0, v73
	v_add_f32_e32 v74, 0, v75
	s_waitcnt vmcnt(1)
	v_sub_f32_e32 v73, v77, v73
	s_waitcnt vmcnt(0)
	v_sub_f32_e32 v74, v78, v74
	buffer_store_dword v73, off, s[0:3], 0 offset:264
	buffer_store_dword v74, off, s[0:3], 0 offset:268
	v_cmpx_lt_u32_e32 32, v0
	s_cbranch_execz .LBB98_159
; %bb.158:
	s_clause 0x1
	buffer_load_dword v73, off, s[0:3], 0 offset:256
	buffer_load_dword v74, off, s[0:3], 0 offset:260
	buffer_store_dword v72, off, s[0:3], 0 offset:256
	buffer_store_dword v72, off, s[0:3], 0 offset:260
	s_waitcnt vmcnt(0)
	ds_write_b64 v71, v[73:74]
.LBB98_159:
	s_or_b32 exec_lo, exec_lo, s4
	s_waitcnt lgkmcnt(0)
	s_waitcnt_vscnt null, 0x0
	s_barrier
	buffer_gl0_inv
	s_clause 0x5
	buffer_load_dword v76, off, s[0:3], 0 offset:268
	buffer_load_dword v77, off, s[0:3], 0 offset:276
	;; [unrolled: 1-line block ×6, first 2 shown]
	ds_read2_b64 v[72:75], v72 offset0:69 offset1:70
	s_mov_b32 s4, exec_lo
	s_waitcnt vmcnt(5) lgkmcnt(0)
	v_mul_f32_e32 v82, v73, v76
	v_mul_f32_e32 v76, v72, v76
	s_waitcnt vmcnt(4)
	v_mul_f32_e32 v83, v74, v77
	v_mul_f32_e32 v77, v75, v77
	s_waitcnt vmcnt(3)
	v_fma_f32 v72, v72, v78, -v82
	v_fmac_f32_e32 v76, v73, v78
	s_waitcnt vmcnt(2)
	v_fmac_f32_e32 v83, v75, v79
	v_fma_f32 v73, v74, v79, -v77
	v_add_f32_e32 v72, 0, v72
	v_add_f32_e32 v74, 0, v76
	;; [unrolled: 1-line block ×4, first 2 shown]
	s_waitcnt vmcnt(1)
	v_sub_f32_e32 v72, v80, v72
	s_waitcnt vmcnt(0)
	v_sub_f32_e32 v73, v81, v73
	buffer_store_dword v72, off, s[0:3], 0 offset:256
	buffer_store_dword v73, off, s[0:3], 0 offset:260
	v_cmpx_lt_u32_e32 31, v0
	s_cbranch_execz .LBB98_161
; %bb.160:
	s_clause 0x1
	buffer_load_dword v72, off, s[0:3], 0 offset:248
	buffer_load_dword v73, off, s[0:3], 0 offset:252
	v_mov_b32_e32 v74, 0
	buffer_store_dword v74, off, s[0:3], 0 offset:248
	buffer_store_dword v74, off, s[0:3], 0 offset:252
	s_waitcnt vmcnt(0)
	ds_write_b64 v71, v[72:73]
.LBB98_161:
	s_or_b32 exec_lo, exec_lo, s4
	s_waitcnt lgkmcnt(0)
	s_waitcnt_vscnt null, 0x0
	s_barrier
	buffer_gl0_inv
	s_clause 0x7
	buffer_load_dword v79, off, s[0:3], 0 offset:260
	buffer_load_dword v80, off, s[0:3], 0 offset:268
	;; [unrolled: 1-line block ×8, first 2 shown]
	v_mov_b32_e32 v72, 0
	ds_read_b128 v[73:76], v72 offset:544
	ds_read_b64 v[77:78], v72 offset:560
	s_mov_b32 s4, exec_lo
	s_waitcnt vmcnt(7) lgkmcnt(1)
	v_mul_f32_e32 v87, v74, v79
	v_mul_f32_e32 v79, v73, v79
	s_waitcnt vmcnt(6)
	v_mul_f32_e32 v88, v75, v80
	v_mul_f32_e32 v80, v76, v80
	s_waitcnt vmcnt(5) lgkmcnt(0)
	v_mul_f32_e32 v89, v77, v81
	s_waitcnt vmcnt(4)
	v_fma_f32 v73, v73, v82, -v87
	v_fmac_f32_e32 v79, v74, v82
	v_mul_f32_e32 v74, v78, v81
	s_waitcnt vmcnt(3)
	v_fma_f32 v75, v75, v83, -v80
	v_fmac_f32_e32 v88, v76, v83
	v_add_f32_e32 v73, 0, v73
	v_add_f32_e32 v76, 0, v79
	s_waitcnt vmcnt(2)
	v_fma_f32 v74, v77, v84, -v74
	v_fmac_f32_e32 v89, v78, v84
	v_add_f32_e32 v73, v73, v75
	v_add_f32_e32 v75, v76, v88
	;; [unrolled: 1-line block ×4, first 2 shown]
	s_waitcnt vmcnt(1)
	v_sub_f32_e32 v73, v85, v73
	s_waitcnt vmcnt(0)
	v_sub_f32_e32 v74, v86, v74
	buffer_store_dword v73, off, s[0:3], 0 offset:248
	buffer_store_dword v74, off, s[0:3], 0 offset:252
	v_cmpx_lt_u32_e32 30, v0
	s_cbranch_execz .LBB98_163
; %bb.162:
	s_clause 0x1
	buffer_load_dword v73, off, s[0:3], 0 offset:240
	buffer_load_dword v74, off, s[0:3], 0 offset:244
	buffer_store_dword v72, off, s[0:3], 0 offset:240
	buffer_store_dword v72, off, s[0:3], 0 offset:244
	s_waitcnt vmcnt(0)
	ds_write_b64 v71, v[73:74]
.LBB98_163:
	s_or_b32 exec_lo, exec_lo, s4
	s_waitcnt lgkmcnt(0)
	s_waitcnt_vscnt null, 0x0
	s_barrier
	buffer_gl0_inv
	s_clause 0x9
	buffer_load_dword v81, off, s[0:3], 0 offset:252
	buffer_load_dword v82, off, s[0:3], 0 offset:260
	;; [unrolled: 1-line block ×10, first 2 shown]
	ds_read2_b64 v[73:76], v72 offset0:67 offset1:68
	ds_read2_b64 v[77:80], v72 offset0:69 offset1:70
	s_mov_b32 s4, exec_lo
	s_waitcnt vmcnt(9) lgkmcnt(1)
	v_mul_f32_e32 v72, v73, v81
	v_mul_f32_e32 v81, v74, v81
	s_waitcnt vmcnt(8)
	v_mul_f32_e32 v91, v75, v82
	v_mul_f32_e32 v82, v76, v82
	s_waitcnt vmcnt(7) lgkmcnt(0)
	v_mul_f32_e32 v92, v77, v83
	s_waitcnt vmcnt(5)
	v_fmac_f32_e32 v72, v74, v85
	v_fma_f32 v73, v73, v85, -v81
	v_mul_f32_e32 v74, v78, v83
	s_waitcnt vmcnt(4)
	v_fma_f32 v75, v75, v86, -v82
	v_fmac_f32_e32 v91, v76, v86
	v_add_f32_e32 v72, 0, v72
	v_add_f32_e32 v73, 0, v73
	v_mul_f32_e32 v76, v80, v84
	s_waitcnt vmcnt(3)
	v_fma_f32 v74, v77, v87, -v74
	v_mul_f32_e32 v93, v79, v84
	v_fmac_f32_e32 v92, v78, v87
	v_add_f32_e32 v73, v73, v75
	v_add_f32_e32 v72, v72, v91
	s_waitcnt vmcnt(2)
	v_fma_f32 v75, v79, v88, -v76
	v_fmac_f32_e32 v93, v80, v88
	v_add_f32_e32 v73, v73, v74
	v_add_f32_e32 v72, v72, v92
	;; [unrolled: 1-line block ×4, first 2 shown]
	s_waitcnt vmcnt(1)
	v_sub_f32_e32 v73, v89, v73
	s_waitcnt vmcnt(0)
	v_sub_f32_e32 v72, v90, v72
	buffer_store_dword v73, off, s[0:3], 0 offset:240
	buffer_store_dword v72, off, s[0:3], 0 offset:244
	v_cmpx_lt_u32_e32 29, v0
	s_cbranch_execz .LBB98_165
; %bb.164:
	s_clause 0x1
	buffer_load_dword v72, off, s[0:3], 0 offset:232
	buffer_load_dword v73, off, s[0:3], 0 offset:236
	v_mov_b32_e32 v74, 0
	buffer_store_dword v74, off, s[0:3], 0 offset:232
	buffer_store_dword v74, off, s[0:3], 0 offset:236
	s_waitcnt vmcnt(0)
	ds_write_b64 v71, v[72:73]
.LBB98_165:
	s_or_b32 exec_lo, exec_lo, s4
	s_waitcnt lgkmcnt(0)
	s_waitcnt_vscnt null, 0x0
	s_barrier
	buffer_gl0_inv
	s_clause 0xb
	buffer_load_dword v83, off, s[0:3], 0 offset:244
	buffer_load_dword v84, off, s[0:3], 0 offset:252
	;; [unrolled: 1-line block ×12, first 2 shown]
	v_mov_b32_e32 v72, 0
	ds_read_b128 v[73:76], v72 offset:528
	ds_read_b128 v[77:80], v72 offset:544
	ds_read_b64 v[81:82], v72 offset:560
	s_mov_b32 s4, exec_lo
	s_waitcnt vmcnt(11) lgkmcnt(2)
	v_mul_f32_e32 v95, v73, v83
	v_mul_f32_e32 v83, v74, v83
	s_waitcnt vmcnt(10)
	v_mul_f32_e32 v96, v75, v84
	v_mul_f32_e32 v84, v76, v84
	s_waitcnt vmcnt(9) lgkmcnt(1)
	v_mul_f32_e32 v97, v77, v85
	s_waitcnt vmcnt(6)
	v_fmac_f32_e32 v95, v74, v88
	v_fma_f32 v73, v73, v88, -v83
	v_mul_f32_e32 v74, v78, v85
	s_waitcnt vmcnt(5)
	v_fma_f32 v75, v75, v89, -v84
	v_fmac_f32_e32 v96, v76, v89
	v_add_f32_e32 v76, 0, v95
	v_add_f32_e32 v73, 0, v73
	v_mul_f32_e32 v83, v80, v86
	s_waitcnt vmcnt(4)
	v_fma_f32 v74, v77, v90, -v74
	v_mul_f32_e32 v98, v79, v86
	v_fmac_f32_e32 v97, v78, v90
	v_add_f32_e32 v73, v73, v75
	v_add_f32_e32 v75, v76, v96
	s_waitcnt lgkmcnt(0)
	v_mul_f32_e32 v76, v82, v87
	s_waitcnt vmcnt(3)
	v_fma_f32 v77, v79, v91, -v83
	v_mul_f32_e32 v99, v81, v87
	v_add_f32_e32 v73, v73, v74
	v_fmac_f32_e32 v98, v80, v91
	v_add_f32_e32 v74, v75, v97
	s_waitcnt vmcnt(2)
	v_fma_f32 v75, v81, v92, -v76
	v_fmac_f32_e32 v99, v82, v92
	v_add_f32_e32 v73, v73, v77
	v_add_f32_e32 v74, v74, v98
	;; [unrolled: 1-line block ×4, first 2 shown]
	s_waitcnt vmcnt(1)
	v_sub_f32_e32 v73, v93, v73
	s_waitcnt vmcnt(0)
	v_sub_f32_e32 v74, v94, v74
	buffer_store_dword v73, off, s[0:3], 0 offset:232
	buffer_store_dword v74, off, s[0:3], 0 offset:236
	v_cmpx_lt_u32_e32 28, v0
	s_cbranch_execz .LBB98_167
; %bb.166:
	s_clause 0x1
	buffer_load_dword v73, off, s[0:3], 0 offset:224
	buffer_load_dword v74, off, s[0:3], 0 offset:228
	buffer_store_dword v72, off, s[0:3], 0 offset:224
	buffer_store_dword v72, off, s[0:3], 0 offset:228
	s_waitcnt vmcnt(0)
	ds_write_b64 v71, v[73:74]
.LBB98_167:
	s_or_b32 exec_lo, exec_lo, s4
	s_waitcnt lgkmcnt(0)
	s_waitcnt_vscnt null, 0x0
	s_barrier
	buffer_gl0_inv
	s_clause 0xd
	buffer_load_dword v85, off, s[0:3], 0 offset:236
	buffer_load_dword v86, off, s[0:3], 0 offset:244
	;; [unrolled: 1-line block ×14, first 2 shown]
	ds_read2_b64 v[73:76], v72 offset0:65 offset1:66
	ds_read2_b64 v[77:80], v72 offset0:67 offset1:68
	;; [unrolled: 1-line block ×3, first 2 shown]
	s_mov_b32 s4, exec_lo
	s_waitcnt vmcnt(13) lgkmcnt(2)
	v_mul_f32_e32 v72, v73, v85
	v_mul_f32_e32 v85, v74, v85
	s_waitcnt vmcnt(12)
	v_mul_f32_e32 v99, v75, v86
	v_mul_f32_e32 v86, v76, v86
	s_waitcnt vmcnt(11) lgkmcnt(1)
	v_mul_f32_e32 v100, v77, v87
	s_waitcnt vmcnt(10)
	v_mul_f32_e32 v101, v79, v88
	s_waitcnt vmcnt(7)
	v_fma_f32 v73, v73, v91, -v85
	v_fmac_f32_e32 v72, v74, v91
	v_mul_f32_e32 v74, v78, v87
	s_waitcnt vmcnt(6)
	v_fma_f32 v75, v75, v92, -v86
	v_fmac_f32_e32 v99, v76, v92
	v_add_f32_e32 v73, 0, v73
	v_add_f32_e32 v72, 0, v72
	v_mul_f32_e32 v76, v80, v88
	s_waitcnt vmcnt(5)
	v_fma_f32 v74, v77, v93, -v74
	v_fmac_f32_e32 v100, v78, v93
	v_add_f32_e32 v73, v73, v75
	v_add_f32_e32 v72, v72, v99
	s_waitcnt lgkmcnt(0)
	v_mul_f32_e32 v75, v82, v89
	s_waitcnt vmcnt(4)
	v_fma_f32 v76, v79, v94, -v76
	v_mul_f32_e32 v102, v81, v89
	v_add_f32_e32 v73, v73, v74
	v_fmac_f32_e32 v101, v80, v94
	v_add_f32_e32 v72, v72, v100
	v_mul_f32_e32 v74, v84, v90
	s_waitcnt vmcnt(3)
	v_fma_f32 v75, v81, v95, -v75
	v_add_f32_e32 v73, v73, v76
	v_mul_f32_e32 v103, v83, v90
	v_fmac_f32_e32 v102, v82, v95
	v_add_f32_e32 v72, v72, v101
	s_waitcnt vmcnt(2)
	v_fma_f32 v74, v83, v96, -v74
	v_add_f32_e32 v73, v73, v75
	v_fmac_f32_e32 v103, v84, v96
	v_add_f32_e32 v72, v72, v102
	v_add_f32_e32 v73, v73, v74
	;; [unrolled: 1-line block ×3, first 2 shown]
	s_waitcnt vmcnt(1)
	v_sub_f32_e32 v73, v97, v73
	s_waitcnt vmcnt(0)
	v_sub_f32_e32 v72, v98, v72
	buffer_store_dword v73, off, s[0:3], 0 offset:224
	buffer_store_dword v72, off, s[0:3], 0 offset:228
	v_cmpx_lt_u32_e32 27, v0
	s_cbranch_execz .LBB98_169
; %bb.168:
	s_clause 0x1
	buffer_load_dword v72, off, s[0:3], 0 offset:216
	buffer_load_dword v73, off, s[0:3], 0 offset:220
	v_mov_b32_e32 v74, 0
	buffer_store_dword v74, off, s[0:3], 0 offset:216
	buffer_store_dword v74, off, s[0:3], 0 offset:220
	s_waitcnt vmcnt(0)
	ds_write_b64 v71, v[72:73]
.LBB98_169:
	s_or_b32 exec_lo, exec_lo, s4
	s_waitcnt lgkmcnt(0)
	s_waitcnt_vscnt null, 0x0
	s_barrier
	buffer_gl0_inv
	s_clause 0xf
	buffer_load_dword v87, off, s[0:3], 0 offset:228
	buffer_load_dword v88, off, s[0:3], 0 offset:236
	;; [unrolled: 1-line block ×16, first 2 shown]
	v_mov_b32_e32 v72, 0
	ds_read_b128 v[73:76], v72 offset:512
	ds_read_b128 v[77:80], v72 offset:528
	;; [unrolled: 1-line block ×3, first 2 shown]
	ds_read_b64 v[85:86], v72 offset:560
	s_mov_b32 s4, exec_lo
	s_waitcnt vmcnt(15) lgkmcnt(3)
	v_mul_f32_e32 v103, v73, v87
	v_mul_f32_e32 v87, v74, v87
	s_waitcnt vmcnt(14)
	v_mul_f32_e32 v104, v75, v88
	v_mul_f32_e32 v88, v76, v88
	s_waitcnt vmcnt(13) lgkmcnt(2)
	v_mul_f32_e32 v105, v77, v89
	s_waitcnt vmcnt(12)
	v_mul_f32_e32 v106, v79, v90
	s_waitcnt vmcnt(11) lgkmcnt(1)
	v_mul_f32_e32 v107, v81, v91
	s_waitcnt vmcnt(8)
	v_fma_f32 v73, v73, v94, -v87
	v_fmac_f32_e32 v103, v74, v94
	v_mul_f32_e32 v74, v78, v89
	s_waitcnt vmcnt(7)
	v_fma_f32 v75, v75, v95, -v88
	v_fmac_f32_e32 v104, v76, v95
	v_add_f32_e32 v73, 0, v73
	v_add_f32_e32 v76, 0, v103
	v_mul_f32_e32 v87, v80, v90
	s_waitcnt vmcnt(6)
	v_fma_f32 v74, v77, v96, -v74
	v_fmac_f32_e32 v105, v78, v96
	v_add_f32_e32 v73, v73, v75
	v_add_f32_e32 v75, v76, v104
	;; [unrolled: 6-line block ×3, first 2 shown]
	v_mul_f32_e32 v75, v84, v92
	s_waitcnt vmcnt(4)
	v_fma_f32 v76, v81, v98, -v76
	v_mul_f32_e32 v108, v83, v92
	v_add_f32_e32 v73, v73, v77
	v_fmac_f32_e32 v107, v82, v98
	v_add_f32_e32 v74, v74, v106
	s_waitcnt lgkmcnt(0)
	v_mul_f32_e32 v77, v86, v93
	s_waitcnt vmcnt(3)
	v_fma_f32 v75, v83, v99, -v75
	v_add_f32_e32 v73, v73, v76
	v_mul_f32_e32 v109, v85, v93
	v_fmac_f32_e32 v108, v84, v99
	v_add_f32_e32 v74, v74, v107
	s_waitcnt vmcnt(2)
	v_fma_f32 v76, v85, v100, -v77
	v_add_f32_e32 v73, v73, v75
	v_fmac_f32_e32 v109, v86, v100
	v_add_f32_e32 v74, v74, v108
	v_add_f32_e32 v73, v73, v76
	;; [unrolled: 1-line block ×3, first 2 shown]
	s_waitcnt vmcnt(1)
	v_sub_f32_e32 v73, v101, v73
	s_waitcnt vmcnt(0)
	v_sub_f32_e32 v74, v102, v74
	buffer_store_dword v73, off, s[0:3], 0 offset:216
	buffer_store_dword v74, off, s[0:3], 0 offset:220
	v_cmpx_lt_u32_e32 26, v0
	s_cbranch_execz .LBB98_171
; %bb.170:
	s_clause 0x1
	buffer_load_dword v73, off, s[0:3], 0 offset:208
	buffer_load_dword v74, off, s[0:3], 0 offset:212
	buffer_store_dword v72, off, s[0:3], 0 offset:208
	buffer_store_dword v72, off, s[0:3], 0 offset:212
	s_waitcnt vmcnt(0)
	ds_write_b64 v71, v[73:74]
.LBB98_171:
	s_or_b32 exec_lo, exec_lo, s4
	s_waitcnt lgkmcnt(0)
	s_waitcnt_vscnt null, 0x0
	s_barrier
	buffer_gl0_inv
	s_clause 0x11
	buffer_load_dword v89, off, s[0:3], 0 offset:220
	buffer_load_dword v90, off, s[0:3], 0 offset:228
	;; [unrolled: 1-line block ×18, first 2 shown]
	ds_read2_b64 v[73:76], v72 offset0:63 offset1:64
	ds_read2_b64 v[77:80], v72 offset0:65 offset1:66
	;; [unrolled: 1-line block ×4, first 2 shown]
	s_mov_b32 s4, exec_lo
	s_waitcnt vmcnt(17) lgkmcnt(3)
	v_mul_f32_e32 v72, v73, v89
	v_mul_f32_e32 v89, v74, v89
	s_waitcnt vmcnt(16)
	v_mul_f32_e32 v107, v75, v90
	v_mul_f32_e32 v90, v76, v90
	s_waitcnt vmcnt(15) lgkmcnt(2)
	v_mul_f32_e32 v108, v77, v91
	s_waitcnt vmcnt(14)
	v_mul_f32_e32 v109, v79, v92
	s_waitcnt vmcnt(13) lgkmcnt(1)
	v_mul_f32_e32 v110, v81, v93
	s_waitcnt vmcnt(12)
	v_mul_f32_e32 v111, v83, v94
	s_waitcnt vmcnt(9)
	v_fma_f32 v73, v73, v97, -v89
	v_fmac_f32_e32 v72, v74, v97
	v_mul_f32_e32 v74, v78, v91
	s_waitcnt vmcnt(8)
	v_fma_f32 v75, v75, v98, -v90
	v_fmac_f32_e32 v107, v76, v98
	v_add_f32_e32 v73, 0, v73
	v_add_f32_e32 v72, 0, v72
	v_mul_f32_e32 v76, v80, v92
	s_waitcnt vmcnt(7)
	v_fma_f32 v74, v77, v99, -v74
	v_fmac_f32_e32 v108, v78, v99
	v_add_f32_e32 v73, v73, v75
	v_add_f32_e32 v72, v72, v107
	;; [unrolled: 6-line block ×4, first 2 shown]
	s_waitcnt lgkmcnt(0)
	v_mul_f32_e32 v76, v86, v95
	s_waitcnt vmcnt(4)
	v_fma_f32 v74, v83, v102, -v74
	v_mul_f32_e32 v112, v85, v95
	v_add_f32_e32 v73, v73, v75
	v_fmac_f32_e32 v111, v84, v102
	v_add_f32_e32 v72, v72, v110
	v_mul_f32_e32 v75, v88, v96
	s_waitcnt vmcnt(3)
	v_fma_f32 v76, v85, v103, -v76
	v_add_f32_e32 v73, v73, v74
	v_mul_f32_e32 v113, v87, v96
	v_fmac_f32_e32 v112, v86, v103
	v_add_f32_e32 v72, v72, v111
	s_waitcnt vmcnt(2)
	v_fma_f32 v74, v87, v104, -v75
	v_add_f32_e32 v73, v73, v76
	v_fmac_f32_e32 v113, v88, v104
	v_add_f32_e32 v72, v72, v112
	v_add_f32_e32 v73, v73, v74
	;; [unrolled: 1-line block ×3, first 2 shown]
	s_waitcnt vmcnt(1)
	v_sub_f32_e32 v73, v105, v73
	s_waitcnt vmcnt(0)
	v_sub_f32_e32 v72, v106, v72
	buffer_store_dword v73, off, s[0:3], 0 offset:208
	buffer_store_dword v72, off, s[0:3], 0 offset:212
	v_cmpx_lt_u32_e32 25, v0
	s_cbranch_execz .LBB98_173
; %bb.172:
	s_clause 0x1
	buffer_load_dword v72, off, s[0:3], 0 offset:200
	buffer_load_dword v73, off, s[0:3], 0 offset:204
	v_mov_b32_e32 v74, 0
	buffer_store_dword v74, off, s[0:3], 0 offset:200
	buffer_store_dword v74, off, s[0:3], 0 offset:204
	s_waitcnt vmcnt(0)
	ds_write_b64 v71, v[72:73]
.LBB98_173:
	s_or_b32 exec_lo, exec_lo, s4
	s_waitcnt lgkmcnt(0)
	s_waitcnt_vscnt null, 0x0
	s_barrier
	buffer_gl0_inv
	s_clause 0x13
	buffer_load_dword v91, off, s[0:3], 0 offset:212
	buffer_load_dword v92, off, s[0:3], 0 offset:220
	;; [unrolled: 1-line block ×20, first 2 shown]
	v_mov_b32_e32 v72, 0
	ds_read_b128 v[73:76], v72 offset:496
	ds_read_b128 v[77:80], v72 offset:512
	;; [unrolled: 1-line block ×4, first 2 shown]
	ds_read_b64 v[89:90], v72 offset:560
	s_mov_b32 s4, exec_lo
	s_waitcnt vmcnt(19) lgkmcnt(4)
	v_mul_f32_e32 v111, v73, v91
	v_mul_f32_e32 v91, v74, v91
	s_waitcnt vmcnt(18)
	v_mul_f32_e32 v112, v75, v92
	v_mul_f32_e32 v92, v76, v92
	s_waitcnt vmcnt(17) lgkmcnt(3)
	v_mul_f32_e32 v113, v77, v93
	s_waitcnt vmcnt(16)
	v_mul_f32_e32 v114, v79, v94
	s_waitcnt vmcnt(15) lgkmcnt(2)
	v_mul_f32_e32 v115, v81, v95
	s_waitcnt vmcnt(14)
	;; [unrolled: 4-line block ×3, first 2 shown]
	v_fma_f32 v73, v73, v100, -v91
	v_fmac_f32_e32 v111, v74, v100
	v_mul_f32_e32 v74, v78, v93
	s_waitcnt vmcnt(9)
	v_fma_f32 v75, v75, v101, -v92
	v_fmac_f32_e32 v112, v76, v101
	v_add_f32_e32 v73, 0, v73
	v_add_f32_e32 v76, 0, v111
	v_mul_f32_e32 v91, v80, v94
	s_waitcnt vmcnt(8)
	v_fma_f32 v74, v77, v102, -v74
	v_fmac_f32_e32 v113, v78, v102
	v_add_f32_e32 v73, v73, v75
	v_add_f32_e32 v75, v76, v112
	;; [unrolled: 6-line block ×5, first 2 shown]
	v_mul_f32_e32 v76, v88, v98
	s_waitcnt vmcnt(4)
	v_fma_f32 v77, v85, v106, -v77
	v_mul_f32_e32 v118, v87, v98
	v_add_f32_e32 v73, v73, v75
	v_fmac_f32_e32 v117, v86, v106
	v_add_f32_e32 v74, v74, v116
	s_waitcnt lgkmcnt(0)
	v_mul_f32_e32 v75, v90, v99
	s_waitcnt vmcnt(3)
	v_fma_f32 v76, v87, v107, -v76
	v_add_f32_e32 v73, v73, v77
	v_mul_f32_e32 v119, v89, v99
	v_fmac_f32_e32 v118, v88, v107
	v_add_f32_e32 v74, v74, v117
	s_waitcnt vmcnt(2)
	v_fma_f32 v75, v89, v108, -v75
	v_add_f32_e32 v73, v73, v76
	v_fmac_f32_e32 v119, v90, v108
	v_add_f32_e32 v74, v74, v118
	v_add_f32_e32 v73, v73, v75
	;; [unrolled: 1-line block ×3, first 2 shown]
	s_waitcnt vmcnt(1)
	v_sub_f32_e32 v73, v109, v73
	s_waitcnt vmcnt(0)
	v_sub_f32_e32 v74, v110, v74
	buffer_store_dword v73, off, s[0:3], 0 offset:200
	buffer_store_dword v74, off, s[0:3], 0 offset:204
	v_cmpx_lt_u32_e32 24, v0
	s_cbranch_execz .LBB98_175
; %bb.174:
	s_clause 0x1
	buffer_load_dword v73, off, s[0:3], 0 offset:192
	buffer_load_dword v74, off, s[0:3], 0 offset:196
	buffer_store_dword v72, off, s[0:3], 0 offset:192
	buffer_store_dword v72, off, s[0:3], 0 offset:196
	s_waitcnt vmcnt(0)
	ds_write_b64 v71, v[73:74]
.LBB98_175:
	s_or_b32 exec_lo, exec_lo, s4
	s_waitcnt lgkmcnt(0)
	s_waitcnt_vscnt null, 0x0
	s_barrier
	buffer_gl0_inv
	s_clause 0x15
	buffer_load_dword v93, off, s[0:3], 0 offset:204
	buffer_load_dword v94, off, s[0:3], 0 offset:212
	;; [unrolled: 1-line block ×22, first 2 shown]
	ds_read2_b64 v[73:76], v72 offset0:61 offset1:62
	ds_read2_b64 v[77:80], v72 offset0:63 offset1:64
	;; [unrolled: 1-line block ×5, first 2 shown]
	s_mov_b32 s4, exec_lo
	s_waitcnt vmcnt(21) lgkmcnt(4)
	v_mul_f32_e32 v72, v73, v93
	v_mul_f32_e32 v93, v74, v93
	s_waitcnt vmcnt(20)
	v_mul_f32_e32 v115, v75, v94
	v_mul_f32_e32 v94, v76, v94
	s_waitcnt vmcnt(19) lgkmcnt(3)
	v_mul_f32_e32 v116, v77, v95
	s_waitcnt vmcnt(18)
	v_mul_f32_e32 v117, v79, v96
	s_waitcnt vmcnt(17) lgkmcnt(2)
	v_mul_f32_e32 v118, v81, v97
	s_waitcnt vmcnt(16)
	;; [unrolled: 4-line block ×3, first 2 shown]
	v_mul_f32_e32 v121, v87, v100
	s_waitcnt vmcnt(11)
	v_fma_f32 v73, v73, v103, -v93
	v_fmac_f32_e32 v72, v74, v103
	v_mul_f32_e32 v74, v78, v95
	s_waitcnt vmcnt(10)
	v_fma_f32 v75, v75, v104, -v94
	v_fmac_f32_e32 v115, v76, v104
	v_add_f32_e32 v73, 0, v73
	v_add_f32_e32 v72, 0, v72
	v_mul_f32_e32 v76, v80, v96
	s_waitcnt vmcnt(9)
	v_fma_f32 v74, v77, v105, -v74
	v_fmac_f32_e32 v116, v78, v105
	v_add_f32_e32 v73, v73, v75
	v_add_f32_e32 v72, v72, v115
	;; [unrolled: 6-line block ×6, first 2 shown]
	s_waitcnt lgkmcnt(0)
	v_mul_f32_e32 v74, v90, v101
	s_waitcnt vmcnt(4)
	v_fma_f32 v75, v87, v110, -v75
	v_mul_f32_e32 v122, v89, v101
	v_add_f32_e32 v73, v73, v76
	v_fmac_f32_e32 v121, v88, v110
	v_add_f32_e32 v72, v72, v120
	v_mul_f32_e32 v76, v92, v102
	s_waitcnt vmcnt(3)
	v_fma_f32 v74, v89, v111, -v74
	v_add_f32_e32 v73, v73, v75
	v_mul_f32_e32 v123, v91, v102
	v_fmac_f32_e32 v122, v90, v111
	v_add_f32_e32 v72, v72, v121
	s_waitcnt vmcnt(2)
	v_fma_f32 v75, v91, v112, -v76
	v_add_f32_e32 v73, v73, v74
	v_fmac_f32_e32 v123, v92, v112
	v_add_f32_e32 v72, v72, v122
	v_add_f32_e32 v73, v73, v75
	;; [unrolled: 1-line block ×3, first 2 shown]
	s_waitcnt vmcnt(1)
	v_sub_f32_e32 v73, v113, v73
	s_waitcnt vmcnt(0)
	v_sub_f32_e32 v72, v114, v72
	buffer_store_dword v73, off, s[0:3], 0 offset:192
	buffer_store_dword v72, off, s[0:3], 0 offset:196
	v_cmpx_lt_u32_e32 23, v0
	s_cbranch_execz .LBB98_177
; %bb.176:
	s_clause 0x1
	buffer_load_dword v72, off, s[0:3], 0 offset:184
	buffer_load_dword v73, off, s[0:3], 0 offset:188
	v_mov_b32_e32 v74, 0
	buffer_store_dword v74, off, s[0:3], 0 offset:184
	buffer_store_dword v74, off, s[0:3], 0 offset:188
	s_waitcnt vmcnt(0)
	ds_write_b64 v71, v[72:73]
.LBB98_177:
	s_or_b32 exec_lo, exec_lo, s4
	s_waitcnt lgkmcnt(0)
	s_waitcnt_vscnt null, 0x0
	s_barrier
	buffer_gl0_inv
	s_clause 0x17
	buffer_load_dword v95, off, s[0:3], 0 offset:196
	buffer_load_dword v96, off, s[0:3], 0 offset:204
	;; [unrolled: 1-line block ×24, first 2 shown]
	v_mov_b32_e32 v72, 0
	ds_read_b128 v[73:76], v72 offset:480
	ds_read_b128 v[77:80], v72 offset:496
	;; [unrolled: 1-line block ×5, first 2 shown]
	ds_read_b64 v[93:94], v72 offset:560
	s_mov_b32 s4, exec_lo
	s_waitcnt vmcnt(23) lgkmcnt(5)
	v_mul_f32_e32 v119, v73, v95
	v_mul_f32_e32 v95, v74, v95
	s_waitcnt vmcnt(22)
	v_mul_f32_e32 v120, v75, v96
	v_mul_f32_e32 v96, v76, v96
	s_waitcnt vmcnt(21) lgkmcnt(4)
	v_mul_f32_e32 v121, v77, v97
	s_waitcnt vmcnt(20)
	v_mul_f32_e32 v122, v79, v98
	s_waitcnt vmcnt(19) lgkmcnt(3)
	v_mul_f32_e32 v123, v81, v99
	s_waitcnt vmcnt(18)
	;; [unrolled: 4-line block ×4, first 2 shown]
	v_fma_f32 v73, v73, v106, -v95
	v_fmac_f32_e32 v119, v74, v106
	v_mul_f32_e32 v74, v78, v97
	s_waitcnt vmcnt(11)
	v_fma_f32 v75, v75, v107, -v96
	v_fmac_f32_e32 v120, v76, v107
	v_add_f32_e32 v73, 0, v73
	v_add_f32_e32 v76, 0, v119
	v_mul_f32_e32 v95, v80, v98
	s_waitcnt vmcnt(10)
	v_fma_f32 v74, v77, v108, -v74
	v_fmac_f32_e32 v121, v78, v108
	v_add_f32_e32 v73, v73, v75
	v_add_f32_e32 v75, v76, v120
	;; [unrolled: 6-line block ×7, first 2 shown]
	v_mul_f32_e32 v77, v92, v104
	s_waitcnt vmcnt(4)
	v_fma_f32 v75, v89, v114, -v75
	v_mul_f32_e32 v128, v91, v104
	v_add_f32_e32 v73, v73, v76
	v_fmac_f32_e32 v127, v90, v114
	v_add_f32_e32 v74, v74, v126
	s_waitcnt lgkmcnt(0)
	v_mul_f32_e32 v76, v94, v105
	s_waitcnt vmcnt(3)
	v_fma_f32 v77, v91, v115, -v77
	v_add_f32_e32 v73, v73, v75
	v_mul_f32_e32 v129, v93, v105
	v_fmac_f32_e32 v128, v92, v115
	v_add_f32_e32 v74, v74, v127
	s_waitcnt vmcnt(2)
	v_fma_f32 v75, v93, v116, -v76
	v_add_f32_e32 v73, v73, v77
	v_fmac_f32_e32 v129, v94, v116
	v_add_f32_e32 v74, v74, v128
	v_add_f32_e32 v73, v73, v75
	;; [unrolled: 1-line block ×3, first 2 shown]
	s_waitcnt vmcnt(1)
	v_sub_f32_e32 v73, v117, v73
	s_waitcnt vmcnt(0)
	v_sub_f32_e32 v74, v118, v74
	buffer_store_dword v73, off, s[0:3], 0 offset:184
	buffer_store_dword v74, off, s[0:3], 0 offset:188
	v_cmpx_lt_u32_e32 22, v0
	s_cbranch_execz .LBB98_179
; %bb.178:
	s_clause 0x1
	buffer_load_dword v73, off, s[0:3], 0 offset:176
	buffer_load_dword v74, off, s[0:3], 0 offset:180
	buffer_store_dword v72, off, s[0:3], 0 offset:176
	buffer_store_dword v72, off, s[0:3], 0 offset:180
	s_waitcnt vmcnt(0)
	ds_write_b64 v71, v[73:74]
.LBB98_179:
	s_or_b32 exec_lo, exec_lo, s4
	s_waitcnt lgkmcnt(0)
	s_waitcnt_vscnt null, 0x0
	s_barrier
	buffer_gl0_inv
	s_clause 0x19
	buffer_load_dword v97, off, s[0:3], 0 offset:188
	buffer_load_dword v98, off, s[0:3], 0 offset:196
	;; [unrolled: 1-line block ×26, first 2 shown]
	ds_read2_b64 v[73:76], v72 offset0:59 offset1:60
	ds_read2_b64 v[77:80], v72 offset0:61 offset1:62
	ds_read2_b64 v[81:84], v72 offset0:63 offset1:64
	ds_read2_b64 v[85:88], v72 offset0:65 offset1:66
	ds_read2_b64 v[89:92], v72 offset0:67 offset1:68
	ds_read2_b64 v[93:96], v72 offset0:69 offset1:70
	s_mov_b32 s4, exec_lo
	s_waitcnt vmcnt(25) lgkmcnt(5)
	v_mul_f32_e32 v72, v73, v97
	v_mul_f32_e32 v97, v74, v97
	s_waitcnt vmcnt(24)
	v_mul_f32_e32 v123, v75, v98
	v_mul_f32_e32 v98, v76, v98
	s_waitcnt vmcnt(23) lgkmcnt(4)
	v_mul_f32_e32 v124, v77, v99
	s_waitcnt vmcnt(22)
	v_mul_f32_e32 v125, v79, v100
	s_waitcnt vmcnt(21) lgkmcnt(3)
	v_mul_f32_e32 v126, v81, v101
	s_waitcnt vmcnt(20)
	;; [unrolled: 4-line block ×4, first 2 shown]
	v_mul_f32_e32 v131, v91, v106
	s_waitcnt vmcnt(13)
	v_fma_f32 v73, v73, v109, -v97
	v_fmac_f32_e32 v72, v74, v109
	v_mul_f32_e32 v74, v78, v99
	s_waitcnt vmcnt(12)
	v_fma_f32 v75, v75, v110, -v98
	v_fmac_f32_e32 v123, v76, v110
	v_add_f32_e32 v73, 0, v73
	v_add_f32_e32 v72, 0, v72
	v_mul_f32_e32 v76, v80, v100
	s_waitcnt vmcnt(11)
	v_fma_f32 v74, v77, v111, -v74
	v_fmac_f32_e32 v124, v78, v111
	v_add_f32_e32 v73, v73, v75
	v_add_f32_e32 v72, v72, v123
	;; [unrolled: 6-line block ×8, first 2 shown]
	s_waitcnt lgkmcnt(0)
	v_mul_f32_e32 v75, v94, v107
	s_waitcnt vmcnt(4)
	v_fma_f32 v76, v91, v118, -v76
	v_mul_f32_e32 v132, v93, v107
	v_add_f32_e32 v73, v73, v74
	v_fmac_f32_e32 v131, v92, v118
	v_add_f32_e32 v72, v72, v130
	v_mul_f32_e32 v74, v96, v108
	s_waitcnt vmcnt(3)
	v_fma_f32 v75, v93, v119, -v75
	v_add_f32_e32 v73, v73, v76
	v_mul_f32_e32 v133, v95, v108
	v_fmac_f32_e32 v132, v94, v119
	v_add_f32_e32 v72, v72, v131
	s_waitcnt vmcnt(2)
	v_fma_f32 v74, v95, v120, -v74
	v_add_f32_e32 v73, v73, v75
	v_fmac_f32_e32 v133, v96, v120
	v_add_f32_e32 v72, v72, v132
	v_add_f32_e32 v73, v73, v74
	v_add_f32_e32 v72, v72, v133
	s_waitcnt vmcnt(1)
	v_sub_f32_e32 v73, v121, v73
	s_waitcnt vmcnt(0)
	v_sub_f32_e32 v72, v122, v72
	buffer_store_dword v73, off, s[0:3], 0 offset:176
	buffer_store_dword v72, off, s[0:3], 0 offset:180
	v_cmpx_lt_u32_e32 21, v0
	s_cbranch_execz .LBB98_181
; %bb.180:
	s_clause 0x1
	buffer_load_dword v72, off, s[0:3], 0 offset:168
	buffer_load_dword v73, off, s[0:3], 0 offset:172
	v_mov_b32_e32 v74, 0
	buffer_store_dword v74, off, s[0:3], 0 offset:168
	buffer_store_dword v74, off, s[0:3], 0 offset:172
	s_waitcnt vmcnt(0)
	ds_write_b64 v71, v[72:73]
.LBB98_181:
	s_or_b32 exec_lo, exec_lo, s4
	s_waitcnt lgkmcnt(0)
	s_waitcnt_vscnt null, 0x0
	s_barrier
	buffer_gl0_inv
	s_clause 0x1b
	buffer_load_dword v99, off, s[0:3], 0 offset:180
	buffer_load_dword v100, off, s[0:3], 0 offset:188
	;; [unrolled: 1-line block ×28, first 2 shown]
	v_mov_b32_e32 v72, 0
	ds_read_b128 v[73:76], v72 offset:464
	ds_read_b128 v[77:80], v72 offset:480
	;; [unrolled: 1-line block ×6, first 2 shown]
	ds_read_b64 v[97:98], v72 offset:560
	s_mov_b32 s4, exec_lo
	s_waitcnt vmcnt(27) lgkmcnt(6)
	v_mul_f32_e32 v127, v73, v99
	v_mul_f32_e32 v99, v74, v99
	s_waitcnt vmcnt(26)
	v_mul_f32_e32 v128, v75, v100
	v_mul_f32_e32 v100, v76, v100
	s_waitcnt vmcnt(25) lgkmcnt(5)
	v_mul_f32_e32 v129, v77, v101
	s_waitcnt vmcnt(24)
	v_mul_f32_e32 v130, v79, v102
	s_waitcnt vmcnt(23) lgkmcnt(4)
	v_mul_f32_e32 v131, v81, v103
	s_waitcnt vmcnt(22)
	;; [unrolled: 4-line block ×5, first 2 shown]
	v_fma_f32 v73, v73, v112, -v99
	v_fmac_f32_e32 v127, v74, v112
	v_mul_f32_e32 v74, v78, v101
	s_waitcnt vmcnt(13)
	v_fma_f32 v75, v75, v113, -v100
	v_fmac_f32_e32 v128, v76, v113
	v_add_f32_e32 v73, 0, v73
	v_add_f32_e32 v76, 0, v127
	v_mul_f32_e32 v99, v80, v102
	s_waitcnt vmcnt(12)
	v_fma_f32 v74, v77, v114, -v74
	v_fmac_f32_e32 v129, v78, v114
	v_add_f32_e32 v73, v73, v75
	v_add_f32_e32 v75, v76, v128
	;; [unrolled: 6-line block ×9, first 2 shown]
	v_mul_f32_e32 v75, v96, v110
	s_waitcnt vmcnt(4)
	v_fma_f32 v76, v93, v122, -v76
	v_mul_f32_e32 v138, v95, v110
	v_add_f32_e32 v73, v73, v77
	v_fmac_f32_e32 v137, v94, v122
	v_add_f32_e32 v74, v74, v136
	s_waitcnt lgkmcnt(0)
	v_mul_f32_e32 v77, v98, v111
	s_waitcnt vmcnt(3)
	v_fma_f32 v75, v95, v123, -v75
	v_add_f32_e32 v73, v73, v76
	v_mul_f32_e32 v139, v97, v111
	v_fmac_f32_e32 v138, v96, v123
	v_add_f32_e32 v74, v74, v137
	s_waitcnt vmcnt(2)
	v_fma_f32 v76, v97, v124, -v77
	v_add_f32_e32 v73, v73, v75
	v_fmac_f32_e32 v139, v98, v124
	v_add_f32_e32 v74, v74, v138
	v_add_f32_e32 v73, v73, v76
	;; [unrolled: 1-line block ×3, first 2 shown]
	s_waitcnt vmcnt(1)
	v_sub_f32_e32 v73, v125, v73
	s_waitcnt vmcnt(0)
	v_sub_f32_e32 v74, v126, v74
	buffer_store_dword v73, off, s[0:3], 0 offset:168
	buffer_store_dword v74, off, s[0:3], 0 offset:172
	v_cmpx_lt_u32_e32 20, v0
	s_cbranch_execz .LBB98_183
; %bb.182:
	s_clause 0x1
	buffer_load_dword v73, off, s[0:3], 0 offset:160
	buffer_load_dword v74, off, s[0:3], 0 offset:164
	buffer_store_dword v72, off, s[0:3], 0 offset:160
	buffer_store_dword v72, off, s[0:3], 0 offset:164
	s_waitcnt vmcnt(0)
	ds_write_b64 v71, v[73:74]
.LBB98_183:
	s_or_b32 exec_lo, exec_lo, s4
	s_waitcnt lgkmcnt(0)
	s_waitcnt_vscnt null, 0x0
	s_barrier
	buffer_gl0_inv
	s_clause 0x1d
	buffer_load_dword v101, off, s[0:3], 0 offset:172
	buffer_load_dword v102, off, s[0:3], 0 offset:180
	;; [unrolled: 1-line block ×30, first 2 shown]
	ds_read2_b64 v[73:76], v72 offset0:57 offset1:58
	ds_read2_b64 v[77:80], v72 offset0:59 offset1:60
	;; [unrolled: 1-line block ×7, first 2 shown]
	s_mov_b32 s4, exec_lo
	s_waitcnt vmcnt(29) lgkmcnt(6)
	v_mul_f32_e32 v72, v73, v101
	v_mul_f32_e32 v101, v74, v101
	s_waitcnt vmcnt(28)
	v_mul_f32_e32 v131, v75, v102
	v_mul_f32_e32 v102, v76, v102
	s_waitcnt vmcnt(27) lgkmcnt(5)
	v_mul_f32_e32 v132, v77, v103
	s_waitcnt vmcnt(26)
	v_mul_f32_e32 v133, v79, v104
	s_waitcnt vmcnt(25) lgkmcnt(4)
	v_mul_f32_e32 v134, v81, v105
	s_waitcnt vmcnt(24)
	;; [unrolled: 4-line block ×5, first 2 shown]
	v_mul_f32_e32 v141, v95, v112
	s_waitcnt vmcnt(15)
	v_fma_f32 v73, v73, v115, -v101
	v_fmac_f32_e32 v72, v74, v115
	v_mul_f32_e32 v74, v78, v103
	s_waitcnt vmcnt(14)
	v_fma_f32 v75, v75, v116, -v102
	v_fmac_f32_e32 v131, v76, v116
	v_add_f32_e32 v73, 0, v73
	v_add_f32_e32 v72, 0, v72
	v_mul_f32_e32 v76, v80, v104
	s_waitcnt vmcnt(13)
	v_fma_f32 v74, v77, v117, -v74
	v_fmac_f32_e32 v132, v78, v117
	v_add_f32_e32 v73, v73, v75
	v_add_f32_e32 v72, v72, v131
	;; [unrolled: 6-line block ×10, first 2 shown]
	s_waitcnt lgkmcnt(0)
	v_mul_f32_e32 v76, v98, v113
	s_waitcnt vmcnt(4)
	v_fma_f32 v74, v95, v126, -v74
	v_mul_f32_e32 v142, v97, v113
	v_add_f32_e32 v73, v73, v75
	v_fmac_f32_e32 v141, v96, v126
	v_add_f32_e32 v72, v72, v140
	v_mul_f32_e32 v75, v100, v114
	s_waitcnt vmcnt(3)
	v_fma_f32 v76, v97, v127, -v76
	v_add_f32_e32 v73, v73, v74
	v_mul_f32_e32 v143, v99, v114
	v_fmac_f32_e32 v142, v98, v127
	v_add_f32_e32 v72, v72, v141
	s_waitcnt vmcnt(2)
	v_fma_f32 v74, v99, v128, -v75
	v_add_f32_e32 v73, v73, v76
	v_fmac_f32_e32 v143, v100, v128
	v_add_f32_e32 v72, v72, v142
	v_add_f32_e32 v73, v73, v74
	;; [unrolled: 1-line block ×3, first 2 shown]
	s_waitcnt vmcnt(1)
	v_sub_f32_e32 v73, v129, v73
	s_waitcnt vmcnt(0)
	v_sub_f32_e32 v72, v130, v72
	buffer_store_dword v73, off, s[0:3], 0 offset:160
	buffer_store_dword v72, off, s[0:3], 0 offset:164
	v_cmpx_lt_u32_e32 19, v0
	s_cbranch_execz .LBB98_185
; %bb.184:
	s_clause 0x1
	buffer_load_dword v72, off, s[0:3], 0 offset:152
	buffer_load_dword v73, off, s[0:3], 0 offset:156
	v_mov_b32_e32 v74, 0
	buffer_store_dword v74, off, s[0:3], 0 offset:152
	buffer_store_dword v74, off, s[0:3], 0 offset:156
	s_waitcnt vmcnt(0)
	ds_write_b64 v71, v[72:73]
.LBB98_185:
	s_or_b32 exec_lo, exec_lo, s4
	s_waitcnt lgkmcnt(0)
	s_waitcnt_vscnt null, 0x0
	s_barrier
	buffer_gl0_inv
	s_clause 0x1f
	buffer_load_dword v103, off, s[0:3], 0 offset:164
	buffer_load_dword v104, off, s[0:3], 0 offset:172
	;; [unrolled: 1-line block ×32, first 2 shown]
	v_mov_b32_e32 v72, 0
	ds_read_b128 v[73:76], v72 offset:448
	ds_read_b128 v[77:80], v72 offset:464
	;; [unrolled: 1-line block ×7, first 2 shown]
	ds_read_b64 v[101:102], v72 offset:560
	s_mov_b32 s4, exec_lo
	s_waitcnt vmcnt(31) lgkmcnt(7)
	v_mul_f32_e32 v135, v73, v103
	v_mul_f32_e32 v103, v74, v103
	s_waitcnt vmcnt(30)
	v_mul_f32_e32 v136, v75, v104
	v_mul_f32_e32 v104, v76, v104
	s_waitcnt vmcnt(29) lgkmcnt(6)
	v_mul_f32_e32 v137, v77, v105
	s_waitcnt vmcnt(28)
	v_mul_f32_e32 v138, v79, v106
	s_waitcnt vmcnt(27) lgkmcnt(5)
	v_mul_f32_e32 v139, v81, v107
	s_waitcnt vmcnt(26)
	v_mul_f32_e32 v140, v83, v108
	s_waitcnt vmcnt(25) lgkmcnt(4)
	v_mul_f32_e32 v141, v85, v109
	s_waitcnt vmcnt(24)
	v_mul_f32_e32 v142, v87, v110
	s_waitcnt vmcnt(23) lgkmcnt(3)
	v_mul_f32_e32 v143, v89, v111
	s_waitcnt vmcnt(22)
	v_mul_f32_e32 v144, v91, v112
	s_waitcnt vmcnt(21) lgkmcnt(2)
	v_mul_f32_e32 v145, v93, v113
	s_waitcnt vmcnt(20)
	v_mul_f32_e32 v146, v95, v114
	s_waitcnt vmcnt(19) lgkmcnt(1)
	v_mul_f32_e32 v147, v97, v115
	s_waitcnt vmcnt(16)
	v_fma_f32 v73, v73, v118, -v103
	v_fmac_f32_e32 v135, v74, v118
	v_mul_f32_e32 v74, v78, v105
	s_waitcnt vmcnt(15)
	v_fma_f32 v75, v75, v119, -v104
	v_fmac_f32_e32 v136, v76, v119
	v_add_f32_e32 v73, 0, v73
	v_add_f32_e32 v76, 0, v135
	v_mul_f32_e32 v103, v80, v106
	s_waitcnt vmcnt(14)
	v_fma_f32 v74, v77, v120, -v74
	v_fmac_f32_e32 v137, v78, v120
	v_add_f32_e32 v73, v73, v75
	v_add_f32_e32 v75, v76, v136
	;; [unrolled: 6-line block ×11, first 2 shown]
	v_mul_f32_e32 v76, v100, v116
	s_waitcnt vmcnt(4)
	v_fma_f32 v77, v97, v130, -v77
	v_mul_f32_e32 v148, v99, v116
	v_add_f32_e32 v73, v73, v75
	v_fmac_f32_e32 v147, v98, v130
	v_add_f32_e32 v74, v74, v146
	s_waitcnt lgkmcnt(0)
	v_mul_f32_e32 v75, v102, v117
	s_waitcnt vmcnt(3)
	v_fma_f32 v76, v99, v131, -v76
	v_add_f32_e32 v73, v73, v77
	v_mul_f32_e32 v149, v101, v117
	v_fmac_f32_e32 v148, v100, v131
	v_add_f32_e32 v74, v74, v147
	s_waitcnt vmcnt(2)
	v_fma_f32 v75, v101, v132, -v75
	v_add_f32_e32 v73, v73, v76
	v_fmac_f32_e32 v149, v102, v132
	v_add_f32_e32 v74, v74, v148
	v_add_f32_e32 v73, v73, v75
	;; [unrolled: 1-line block ×3, first 2 shown]
	s_waitcnt vmcnt(1)
	v_sub_f32_e32 v73, v133, v73
	s_waitcnt vmcnt(0)
	v_sub_f32_e32 v74, v134, v74
	buffer_store_dword v73, off, s[0:3], 0 offset:152
	buffer_store_dword v74, off, s[0:3], 0 offset:156
	v_cmpx_lt_u32_e32 18, v0
	s_cbranch_execz .LBB98_187
; %bb.186:
	s_clause 0x1
	buffer_load_dword v73, off, s[0:3], 0 offset:144
	buffer_load_dword v74, off, s[0:3], 0 offset:148
	buffer_store_dword v72, off, s[0:3], 0 offset:144
	buffer_store_dword v72, off, s[0:3], 0 offset:148
	s_waitcnt vmcnt(0)
	ds_write_b64 v71, v[73:74]
.LBB98_187:
	s_or_b32 exec_lo, exec_lo, s4
	s_waitcnt lgkmcnt(0)
	s_waitcnt_vscnt null, 0x0
	s_barrier
	buffer_gl0_inv
	s_clause 0x21
	buffer_load_dword v105, off, s[0:3], 0 offset:156
	buffer_load_dword v106, off, s[0:3], 0 offset:164
	;; [unrolled: 1-line block ×34, first 2 shown]
	ds_read2_b64 v[73:76], v72 offset0:55 offset1:56
	ds_read2_b64 v[77:80], v72 offset0:57 offset1:58
	;; [unrolled: 1-line block ×8, first 2 shown]
	s_mov_b32 s4, exec_lo
	s_waitcnt vmcnt(33) lgkmcnt(7)
	v_mul_f32_e32 v72, v73, v105
	v_mul_f32_e32 v105, v74, v105
	s_waitcnt vmcnt(32)
	v_mul_f32_e32 v139, v75, v106
	v_mul_f32_e32 v106, v76, v106
	s_waitcnt vmcnt(31) lgkmcnt(6)
	v_mul_f32_e32 v140, v77, v107
	s_waitcnt vmcnt(30)
	v_mul_f32_e32 v141, v79, v108
	s_waitcnt vmcnt(29) lgkmcnt(5)
	v_mul_f32_e32 v142, v81, v109
	s_waitcnt vmcnt(28)
	;; [unrolled: 4-line block ×6, first 2 shown]
	v_mul_f32_e32 v151, v99, v118
	s_waitcnt vmcnt(17)
	v_fma_f32 v73, v73, v121, -v105
	v_fmac_f32_e32 v72, v74, v121
	v_mul_f32_e32 v74, v78, v107
	s_waitcnt vmcnt(16)
	v_fma_f32 v75, v75, v122, -v106
	v_fmac_f32_e32 v139, v76, v122
	v_add_f32_e32 v73, 0, v73
	v_add_f32_e32 v72, 0, v72
	v_mul_f32_e32 v76, v80, v108
	s_waitcnt vmcnt(15)
	v_fma_f32 v74, v77, v123, -v74
	v_fmac_f32_e32 v140, v78, v123
	v_add_f32_e32 v73, v73, v75
	v_add_f32_e32 v72, v72, v139
	;; [unrolled: 6-line block ×12, first 2 shown]
	s_waitcnt lgkmcnt(0)
	v_mul_f32_e32 v74, v102, v119
	s_waitcnt vmcnt(4)
	v_fma_f32 v75, v99, v134, -v75
	v_mul_f32_e32 v152, v101, v119
	v_add_f32_e32 v73, v73, v76
	v_fmac_f32_e32 v151, v100, v134
	v_add_f32_e32 v72, v72, v150
	v_mul_f32_e32 v76, v104, v120
	s_waitcnt vmcnt(3)
	v_fma_f32 v74, v101, v135, -v74
	v_add_f32_e32 v73, v73, v75
	v_mul_f32_e32 v153, v103, v120
	v_fmac_f32_e32 v152, v102, v135
	v_add_f32_e32 v72, v72, v151
	s_waitcnt vmcnt(2)
	v_fma_f32 v75, v103, v136, -v76
	v_add_f32_e32 v73, v73, v74
	v_fmac_f32_e32 v153, v104, v136
	v_add_f32_e32 v72, v72, v152
	v_add_f32_e32 v73, v73, v75
	;; [unrolled: 1-line block ×3, first 2 shown]
	s_waitcnt vmcnt(1)
	v_sub_f32_e32 v73, v137, v73
	s_waitcnt vmcnt(0)
	v_sub_f32_e32 v72, v138, v72
	buffer_store_dword v73, off, s[0:3], 0 offset:144
	buffer_store_dword v72, off, s[0:3], 0 offset:148
	v_cmpx_lt_u32_e32 17, v0
	s_cbranch_execz .LBB98_189
; %bb.188:
	s_clause 0x1
	buffer_load_dword v72, off, s[0:3], 0 offset:136
	buffer_load_dword v73, off, s[0:3], 0 offset:140
	v_mov_b32_e32 v74, 0
	buffer_store_dword v74, off, s[0:3], 0 offset:136
	buffer_store_dword v74, off, s[0:3], 0 offset:140
	s_waitcnt vmcnt(0)
	ds_write_b64 v71, v[72:73]
.LBB98_189:
	s_or_b32 exec_lo, exec_lo, s4
	s_waitcnt lgkmcnt(0)
	s_waitcnt_vscnt null, 0x0
	s_barrier
	buffer_gl0_inv
	s_clause 0x23
	buffer_load_dword v107, off, s[0:3], 0 offset:148
	buffer_load_dword v108, off, s[0:3], 0 offset:156
	;; [unrolled: 1-line block ×36, first 2 shown]
	v_mov_b32_e32 v72, 0
	ds_read_b128 v[73:76], v72 offset:432
	ds_read_b128 v[77:80], v72 offset:448
	;; [unrolled: 1-line block ×8, first 2 shown]
	ds_read_b64 v[105:106], v72 offset:560
	s_mov_b32 s4, exec_lo
	s_waitcnt vmcnt(35) lgkmcnt(8)
	v_mul_f32_e32 v143, v73, v107
	v_mul_f32_e32 v107, v74, v107
	s_waitcnt vmcnt(34)
	v_mul_f32_e32 v144, v75, v108
	v_mul_f32_e32 v108, v76, v108
	s_waitcnt vmcnt(33) lgkmcnt(7)
	v_mul_f32_e32 v145, v77, v109
	s_waitcnt vmcnt(32)
	v_mul_f32_e32 v146, v79, v110
	s_waitcnt vmcnt(31) lgkmcnt(6)
	v_mul_f32_e32 v147, v81, v111
	s_waitcnt vmcnt(30)
	;; [unrolled: 4-line block ×7, first 2 shown]
	v_fma_f32 v73, v73, v124, -v107
	v_fmac_f32_e32 v143, v74, v124
	v_mul_f32_e32 v74, v78, v109
	s_waitcnt vmcnt(17)
	v_fma_f32 v75, v75, v125, -v108
	v_fmac_f32_e32 v144, v76, v125
	v_add_f32_e32 v73, 0, v73
	v_add_f32_e32 v76, 0, v143
	v_mul_f32_e32 v107, v80, v110
	s_waitcnt vmcnt(16)
	v_fma_f32 v74, v77, v126, -v74
	v_fmac_f32_e32 v145, v78, v126
	v_add_f32_e32 v73, v73, v75
	v_add_f32_e32 v75, v76, v144
	;; [unrolled: 6-line block ×13, first 2 shown]
	v_mul_f32_e32 v77, v104, v122
	s_waitcnt vmcnt(4)
	v_fma_f32 v75, v101, v138, -v75
	v_mul_f32_e32 v158, v103, v122
	v_add_f32_e32 v73, v73, v76
	v_fmac_f32_e32 v157, v102, v138
	v_add_f32_e32 v74, v74, v156
	s_waitcnt lgkmcnt(0)
	v_mul_f32_e32 v76, v106, v123
	s_waitcnt vmcnt(3)
	v_fma_f32 v77, v103, v139, -v77
	v_add_f32_e32 v73, v73, v75
	v_mul_f32_e32 v159, v105, v123
	v_fmac_f32_e32 v158, v104, v139
	v_add_f32_e32 v74, v74, v157
	s_waitcnt vmcnt(2)
	v_fma_f32 v75, v105, v140, -v76
	v_add_f32_e32 v73, v73, v77
	v_fmac_f32_e32 v159, v106, v140
	v_add_f32_e32 v74, v74, v158
	v_add_f32_e32 v73, v73, v75
	;; [unrolled: 1-line block ×3, first 2 shown]
	s_waitcnt vmcnt(1)
	v_sub_f32_e32 v73, v141, v73
	s_waitcnt vmcnt(0)
	v_sub_f32_e32 v74, v142, v74
	buffer_store_dword v73, off, s[0:3], 0 offset:136
	buffer_store_dword v74, off, s[0:3], 0 offset:140
	v_cmpx_lt_u32_e32 16, v0
	s_cbranch_execz .LBB98_191
; %bb.190:
	s_clause 0x1
	buffer_load_dword v73, off, s[0:3], 0 offset:128
	buffer_load_dword v74, off, s[0:3], 0 offset:132
	buffer_store_dword v72, off, s[0:3], 0 offset:128
	buffer_store_dword v72, off, s[0:3], 0 offset:132
	s_waitcnt vmcnt(0)
	ds_write_b64 v71, v[73:74]
.LBB98_191:
	s_or_b32 exec_lo, exec_lo, s4
	s_waitcnt lgkmcnt(0)
	s_waitcnt_vscnt null, 0x0
	s_barrier
	buffer_gl0_inv
	s_clause 0x25
	buffer_load_dword v109, off, s[0:3], 0 offset:140
	buffer_load_dword v110, off, s[0:3], 0 offset:148
	buffer_load_dword v111, off, s[0:3], 0 offset:156
	buffer_load_dword v112, off, s[0:3], 0 offset:164
	buffer_load_dword v113, off, s[0:3], 0 offset:172
	buffer_load_dword v114, off, s[0:3], 0 offset:180
	buffer_load_dword v115, off, s[0:3], 0 offset:188
	buffer_load_dword v116, off, s[0:3], 0 offset:196
	buffer_load_dword v117, off, s[0:3], 0 offset:204
	buffer_load_dword v118, off, s[0:3], 0 offset:212
	buffer_load_dword v119, off, s[0:3], 0 offset:220
	buffer_load_dword v120, off, s[0:3], 0 offset:228
	buffer_load_dword v121, off, s[0:3], 0 offset:236
	buffer_load_dword v122, off, s[0:3], 0 offset:244
	buffer_load_dword v123, off, s[0:3], 0 offset:252
	buffer_load_dword v124, off, s[0:3], 0 offset:260
	buffer_load_dword v125, off, s[0:3], 0 offset:268
	buffer_load_dword v126, off, s[0:3], 0 offset:276
	buffer_load_dword v127, off, s[0:3], 0 offset:136
	buffer_load_dword v128, off, s[0:3], 0 offset:144
	buffer_load_dword v129, off, s[0:3], 0 offset:152
	buffer_load_dword v130, off, s[0:3], 0 offset:160
	buffer_load_dword v131, off, s[0:3], 0 offset:168
	buffer_load_dword v132, off, s[0:3], 0 offset:176
	buffer_load_dword v133, off, s[0:3], 0 offset:184
	buffer_load_dword v134, off, s[0:3], 0 offset:192
	buffer_load_dword v135, off, s[0:3], 0 offset:200
	buffer_load_dword v136, off, s[0:3], 0 offset:208
	buffer_load_dword v137, off, s[0:3], 0 offset:216
	buffer_load_dword v138, off, s[0:3], 0 offset:224
	buffer_load_dword v139, off, s[0:3], 0 offset:232
	buffer_load_dword v140, off, s[0:3], 0 offset:240
	buffer_load_dword v141, off, s[0:3], 0 offset:248
	buffer_load_dword v142, off, s[0:3], 0 offset:256
	buffer_load_dword v143, off, s[0:3], 0 offset:264
	buffer_load_dword v144, off, s[0:3], 0 offset:272
	buffer_load_dword v145, off, s[0:3], 0 offset:128
	buffer_load_dword v146, off, s[0:3], 0 offset:132
	ds_read2_b64 v[73:76], v72 offset0:53 offset1:54
	ds_read2_b64 v[77:80], v72 offset0:55 offset1:56
	;; [unrolled: 1-line block ×9, first 2 shown]
	s_mov_b32 s4, exec_lo
	s_waitcnt vmcnt(37) lgkmcnt(8)
	v_mul_f32_e32 v72, v73, v109
	v_mul_f32_e32 v109, v74, v109
	s_waitcnt vmcnt(36)
	v_mul_f32_e32 v147, v75, v110
	v_mul_f32_e32 v110, v76, v110
	s_waitcnt vmcnt(35) lgkmcnt(7)
	v_mul_f32_e32 v148, v77, v111
	s_waitcnt vmcnt(34)
	v_mul_f32_e32 v149, v79, v112
	s_waitcnt vmcnt(33) lgkmcnt(6)
	v_mul_f32_e32 v150, v81, v113
	s_waitcnt vmcnt(32)
	;; [unrolled: 4-line block ×7, first 2 shown]
	v_mul_f32_e32 v161, v103, v124
	s_waitcnt vmcnt(19)
	v_fma_f32 v73, v73, v127, -v109
	v_fmac_f32_e32 v72, v74, v127
	v_mul_f32_e32 v74, v78, v111
	s_waitcnt vmcnt(18)
	v_fma_f32 v75, v75, v128, -v110
	v_fmac_f32_e32 v147, v76, v128
	v_add_f32_e32 v73, 0, v73
	v_add_f32_e32 v72, 0, v72
	v_mul_f32_e32 v76, v80, v112
	s_waitcnt vmcnt(17)
	v_fma_f32 v74, v77, v129, -v74
	v_fmac_f32_e32 v148, v78, v129
	v_add_f32_e32 v73, v73, v75
	v_add_f32_e32 v72, v72, v147
	;; [unrolled: 6-line block ×14, first 2 shown]
	s_waitcnt lgkmcnt(0)
	v_mul_f32_e32 v75, v106, v125
	s_waitcnt vmcnt(4)
	v_fma_f32 v76, v103, v142, -v76
	v_mul_f32_e32 v162, v105, v125
	v_add_f32_e32 v73, v73, v74
	v_fmac_f32_e32 v161, v104, v142
	v_add_f32_e32 v72, v72, v160
	v_mul_f32_e32 v74, v108, v126
	s_waitcnt vmcnt(3)
	v_fma_f32 v75, v105, v143, -v75
	v_add_f32_e32 v73, v73, v76
	v_mul_f32_e32 v163, v107, v126
	v_fmac_f32_e32 v162, v106, v143
	v_add_f32_e32 v72, v72, v161
	s_waitcnt vmcnt(2)
	v_fma_f32 v74, v107, v144, -v74
	v_add_f32_e32 v73, v73, v75
	v_fmac_f32_e32 v163, v108, v144
	v_add_f32_e32 v72, v72, v162
	v_add_f32_e32 v73, v73, v74
	;; [unrolled: 1-line block ×3, first 2 shown]
	s_waitcnt vmcnt(1)
	v_sub_f32_e32 v73, v145, v73
	s_waitcnt vmcnt(0)
	v_sub_f32_e32 v72, v146, v72
	buffer_store_dword v73, off, s[0:3], 0 offset:128
	buffer_store_dword v72, off, s[0:3], 0 offset:132
	v_cmpx_lt_u32_e32 15, v0
	s_cbranch_execz .LBB98_193
; %bb.192:
	s_clause 0x1
	buffer_load_dword v72, off, s[0:3], 0 offset:120
	buffer_load_dword v73, off, s[0:3], 0 offset:124
	v_mov_b32_e32 v74, 0
	buffer_store_dword v74, off, s[0:3], 0 offset:120
	buffer_store_dword v74, off, s[0:3], 0 offset:124
	s_waitcnt vmcnt(0)
	ds_write_b64 v71, v[72:73]
.LBB98_193:
	s_or_b32 exec_lo, exec_lo, s4
	s_waitcnt lgkmcnt(0)
	s_waitcnt_vscnt null, 0x0
	s_barrier
	buffer_gl0_inv
	s_clause 0x27
	buffer_load_dword v111, off, s[0:3], 0 offset:132
	buffer_load_dword v112, off, s[0:3], 0 offset:140
	;; [unrolled: 1-line block ×40, first 2 shown]
	v_mov_b32_e32 v72, 0
	ds_read_b128 v[73:76], v72 offset:416
	ds_read_b128 v[77:80], v72 offset:432
	ds_read_b128 v[81:84], v72 offset:448
	ds_read_b128 v[85:88], v72 offset:464
	ds_read_b128 v[89:92], v72 offset:480
	ds_read_b128 v[93:96], v72 offset:496
	ds_read_b128 v[97:100], v72 offset:512
	ds_read_b128 v[101:104], v72 offset:528
	ds_read_b128 v[105:108], v72 offset:544
	ds_read_b64 v[109:110], v72 offset:560
	s_mov_b32 s4, exec_lo
	s_waitcnt vmcnt(39) lgkmcnt(9)
	v_mul_f32_e32 v151, v73, v111
	v_mul_f32_e32 v111, v74, v111
	s_waitcnt vmcnt(38)
	v_mul_f32_e32 v152, v75, v112
	v_mul_f32_e32 v112, v76, v112
	s_waitcnt vmcnt(37) lgkmcnt(8)
	v_mul_f32_e32 v153, v77, v113
	s_waitcnt vmcnt(36)
	v_mul_f32_e32 v154, v79, v114
	s_waitcnt vmcnt(35) lgkmcnt(7)
	v_mul_f32_e32 v155, v81, v115
	s_waitcnt vmcnt(34)
	;; [unrolled: 4-line block ×8, first 2 shown]
	v_fma_f32 v73, v73, v130, -v111
	v_fmac_f32_e32 v151, v74, v130
	v_mul_f32_e32 v74, v78, v113
	s_waitcnt vmcnt(19)
	v_fma_f32 v75, v75, v131, -v112
	v_fmac_f32_e32 v152, v76, v131
	v_add_f32_e32 v73, 0, v73
	v_add_f32_e32 v76, 0, v151
	v_mul_f32_e32 v111, v80, v114
	s_waitcnt vmcnt(18)
	v_fma_f32 v74, v77, v132, -v74
	v_fmac_f32_e32 v153, v78, v132
	v_add_f32_e32 v73, v73, v75
	v_add_f32_e32 v75, v76, v152
	;; [unrolled: 6-line block ×15, first 2 shown]
	v_mul_f32_e32 v75, v108, v128
	s_waitcnt vmcnt(4)
	v_fma_f32 v76, v105, v146, -v76
	v_mul_f32_e32 v168, v107, v128
	v_add_f32_e32 v73, v73, v77
	v_fmac_f32_e32 v167, v106, v146
	v_add_f32_e32 v74, v74, v166
	s_waitcnt lgkmcnt(0)
	v_mul_f32_e32 v77, v110, v129
	s_waitcnt vmcnt(3)
	v_fma_f32 v75, v107, v147, -v75
	v_add_f32_e32 v73, v73, v76
	v_mul_f32_e32 v169, v109, v129
	v_fmac_f32_e32 v168, v108, v147
	v_add_f32_e32 v74, v74, v167
	s_waitcnt vmcnt(2)
	v_fma_f32 v76, v109, v148, -v77
	v_add_f32_e32 v73, v73, v75
	v_fmac_f32_e32 v169, v110, v148
	v_add_f32_e32 v74, v74, v168
	v_add_f32_e32 v73, v73, v76
	;; [unrolled: 1-line block ×3, first 2 shown]
	s_waitcnt vmcnt(1)
	v_sub_f32_e32 v73, v149, v73
	s_waitcnt vmcnt(0)
	v_sub_f32_e32 v74, v150, v74
	buffer_store_dword v73, off, s[0:3], 0 offset:120
	buffer_store_dword v74, off, s[0:3], 0 offset:124
	v_cmpx_lt_u32_e32 14, v0
	s_cbranch_execz .LBB98_195
; %bb.194:
	s_clause 0x1
	buffer_load_dword v73, off, s[0:3], 0 offset:112
	buffer_load_dword v74, off, s[0:3], 0 offset:116
	buffer_store_dword v72, off, s[0:3], 0 offset:112
	buffer_store_dword v72, off, s[0:3], 0 offset:116
	s_waitcnt vmcnt(0)
	ds_write_b64 v71, v[73:74]
.LBB98_195:
	s_or_b32 exec_lo, exec_lo, s4
	s_waitcnt lgkmcnt(0)
	s_waitcnt_vscnt null, 0x0
	s_barrier
	buffer_gl0_inv
	s_clause 0x29
	buffer_load_dword v113, off, s[0:3], 0 offset:124
	buffer_load_dword v114, off, s[0:3], 0 offset:132
	;; [unrolled: 1-line block ×42, first 2 shown]
	ds_read2_b64 v[73:76], v72 offset0:51 offset1:52
	ds_read2_b64 v[77:80], v72 offset0:53 offset1:54
	;; [unrolled: 1-line block ×10, first 2 shown]
	s_mov_b32 s4, exec_lo
	s_waitcnt vmcnt(41) lgkmcnt(9)
	v_mul_f32_e32 v72, v73, v113
	v_mul_f32_e32 v113, v74, v113
	s_waitcnt vmcnt(40)
	v_mul_f32_e32 v155, v75, v114
	v_mul_f32_e32 v114, v76, v114
	s_waitcnt vmcnt(39) lgkmcnt(8)
	v_mul_f32_e32 v156, v77, v115
	s_waitcnt vmcnt(38)
	v_mul_f32_e32 v157, v79, v116
	s_waitcnt vmcnt(37) lgkmcnt(7)
	v_mul_f32_e32 v158, v81, v117
	s_waitcnt vmcnt(36)
	v_mul_f32_e32 v159, v83, v118
	s_waitcnt vmcnt(35) lgkmcnt(6)
	v_mul_f32_e32 v160, v85, v119
	s_waitcnt vmcnt(34)
	v_mul_f32_e32 v161, v87, v120
	s_waitcnt vmcnt(33) lgkmcnt(5)
	v_mul_f32_e32 v162, v89, v121
	s_waitcnt vmcnt(32)
	v_mul_f32_e32 v163, v91, v122
	s_waitcnt vmcnt(31) lgkmcnt(4)
	v_mul_f32_e32 v164, v93, v123
	s_waitcnt vmcnt(30)
	v_mul_f32_e32 v165, v95, v124
	s_waitcnt vmcnt(29) lgkmcnt(3)
	v_mul_f32_e32 v166, v97, v125
	s_waitcnt vmcnt(28)
	v_mul_f32_e32 v167, v99, v126
	s_waitcnt vmcnt(27) lgkmcnt(2)
	v_mul_f32_e32 v168, v101, v127
	s_waitcnt vmcnt(26)
	v_mul_f32_e32 v169, v103, v128
	s_waitcnt vmcnt(25) lgkmcnt(1)
	v_mul_f32_e32 v170, v105, v129
	s_waitcnt vmcnt(24)
	v_mul_f32_e32 v171, v107, v130
	s_waitcnt vmcnt(21)
	v_fma_f32 v73, v73, v133, -v113
	v_fmac_f32_e32 v72, v74, v133
	v_mul_f32_e32 v74, v78, v115
	s_waitcnt vmcnt(20)
	v_fma_f32 v75, v75, v134, -v114
	v_fmac_f32_e32 v155, v76, v134
	v_add_f32_e32 v73, 0, v73
	v_add_f32_e32 v72, 0, v72
	v_mul_f32_e32 v76, v80, v116
	s_waitcnt vmcnt(19)
	v_fma_f32 v74, v77, v135, -v74
	v_fmac_f32_e32 v156, v78, v135
	v_add_f32_e32 v73, v73, v75
	v_add_f32_e32 v72, v72, v155
	;; [unrolled: 6-line block ×16, first 2 shown]
	s_waitcnt lgkmcnt(0)
	v_mul_f32_e32 v76, v110, v131
	s_waitcnt vmcnt(4)
	v_fma_f32 v74, v107, v150, -v74
	v_mul_f32_e32 v172, v109, v131
	v_add_f32_e32 v73, v73, v75
	v_fmac_f32_e32 v171, v108, v150
	v_add_f32_e32 v72, v72, v170
	v_mul_f32_e32 v75, v112, v132
	s_waitcnt vmcnt(3)
	v_fma_f32 v76, v109, v151, -v76
	v_add_f32_e32 v73, v73, v74
	v_mul_f32_e32 v173, v111, v132
	v_fmac_f32_e32 v172, v110, v151
	v_add_f32_e32 v72, v72, v171
	s_waitcnt vmcnt(2)
	v_fma_f32 v74, v111, v152, -v75
	v_add_f32_e32 v73, v73, v76
	v_fmac_f32_e32 v173, v112, v152
	v_add_f32_e32 v72, v72, v172
	v_add_f32_e32 v73, v73, v74
	;; [unrolled: 1-line block ×3, first 2 shown]
	s_waitcnt vmcnt(1)
	v_sub_f32_e32 v73, v153, v73
	s_waitcnt vmcnt(0)
	v_sub_f32_e32 v72, v154, v72
	buffer_store_dword v73, off, s[0:3], 0 offset:112
	buffer_store_dword v72, off, s[0:3], 0 offset:116
	v_cmpx_lt_u32_e32 13, v0
	s_cbranch_execz .LBB98_197
; %bb.196:
	s_clause 0x1
	buffer_load_dword v72, off, s[0:3], 0 offset:104
	buffer_load_dword v73, off, s[0:3], 0 offset:108
	v_mov_b32_e32 v74, 0
	buffer_store_dword v74, off, s[0:3], 0 offset:104
	buffer_store_dword v74, off, s[0:3], 0 offset:108
	s_waitcnt vmcnt(0)
	ds_write_b64 v71, v[72:73]
.LBB98_197:
	s_or_b32 exec_lo, exec_lo, s4
	s_waitcnt lgkmcnt(0)
	s_waitcnt_vscnt null, 0x0
	s_barrier
	buffer_gl0_inv
	s_clause 0x2b
	buffer_load_dword v115, off, s[0:3], 0 offset:116
	buffer_load_dword v116, off, s[0:3], 0 offset:124
	;; [unrolled: 1-line block ×44, first 2 shown]
	v_mov_b32_e32 v72, 0
	ds_read_b128 v[73:76], v72 offset:400
	ds_read_b128 v[77:80], v72 offset:416
	;; [unrolled: 1-line block ×10, first 2 shown]
	ds_read_b64 v[113:114], v72 offset:560
	s_mov_b32 s4, exec_lo
	s_waitcnt vmcnt(43) lgkmcnt(10)
	v_mul_f32_e32 v159, v73, v115
	v_mul_f32_e32 v115, v74, v115
	s_waitcnt vmcnt(42)
	v_mul_f32_e32 v160, v75, v116
	v_mul_f32_e32 v116, v76, v116
	s_waitcnt vmcnt(41) lgkmcnt(9)
	v_mul_f32_e32 v161, v77, v117
	s_waitcnt vmcnt(40)
	v_mul_f32_e32 v162, v79, v118
	s_waitcnt vmcnt(39) lgkmcnt(8)
	v_mul_f32_e32 v163, v81, v119
	s_waitcnt vmcnt(38)
	;; [unrolled: 4-line block ×9, first 2 shown]
	v_fma_f32 v73, v73, v136, -v115
	v_fmac_f32_e32 v159, v74, v136
	v_mul_f32_e32 v74, v78, v117
	s_waitcnt vmcnt(21)
	v_fma_f32 v75, v75, v137, -v116
	v_fmac_f32_e32 v160, v76, v137
	v_add_f32_e32 v73, 0, v73
	v_add_f32_e32 v76, 0, v159
	v_mul_f32_e32 v115, v80, v118
	s_waitcnt vmcnt(20)
	v_fma_f32 v74, v77, v138, -v74
	v_fmac_f32_e32 v161, v78, v138
	v_add_f32_e32 v73, v73, v75
	v_add_f32_e32 v75, v76, v160
	;; [unrolled: 6-line block ×17, first 2 shown]
	v_mul_f32_e32 v76, v112, v134
	s_waitcnt vmcnt(4)
	v_fma_f32 v77, v109, v154, -v77
	v_mul_f32_e32 v178, v111, v134
	v_add_f32_e32 v73, v73, v75
	v_fmac_f32_e32 v177, v110, v154
	v_add_f32_e32 v74, v74, v176
	s_waitcnt lgkmcnt(0)
	v_mul_f32_e32 v75, v114, v135
	s_waitcnt vmcnt(3)
	v_fma_f32 v76, v111, v155, -v76
	v_add_f32_e32 v73, v73, v77
	v_mul_f32_e32 v179, v113, v135
	v_fmac_f32_e32 v178, v112, v155
	v_add_f32_e32 v74, v74, v177
	s_waitcnt vmcnt(2)
	v_fma_f32 v75, v113, v156, -v75
	v_add_f32_e32 v73, v73, v76
	v_fmac_f32_e32 v179, v114, v156
	v_add_f32_e32 v74, v74, v178
	v_add_f32_e32 v73, v73, v75
	;; [unrolled: 1-line block ×3, first 2 shown]
	s_waitcnt vmcnt(1)
	v_sub_f32_e32 v73, v157, v73
	s_waitcnt vmcnt(0)
	v_sub_f32_e32 v74, v158, v74
	buffer_store_dword v73, off, s[0:3], 0 offset:104
	buffer_store_dword v74, off, s[0:3], 0 offset:108
	v_cmpx_lt_u32_e32 12, v0
	s_cbranch_execz .LBB98_199
; %bb.198:
	s_clause 0x1
	buffer_load_dword v73, off, s[0:3], 0 offset:96
	buffer_load_dword v74, off, s[0:3], 0 offset:100
	buffer_store_dword v72, off, s[0:3], 0 offset:96
	buffer_store_dword v72, off, s[0:3], 0 offset:100
	s_waitcnt vmcnt(0)
	ds_write_b64 v71, v[73:74]
.LBB98_199:
	s_or_b32 exec_lo, exec_lo, s4
	s_waitcnt lgkmcnt(0)
	s_waitcnt_vscnt null, 0x0
	s_barrier
	buffer_gl0_inv
	s_clause 0x2d
	buffer_load_dword v117, off, s[0:3], 0 offset:108
	buffer_load_dword v118, off, s[0:3], 0 offset:116
	;; [unrolled: 1-line block ×46, first 2 shown]
	ds_read2_b64 v[73:76], v72 offset0:49 offset1:50
	ds_read2_b64 v[77:80], v72 offset0:51 offset1:52
	;; [unrolled: 1-line block ×11, first 2 shown]
	s_mov_b32 s4, exec_lo
	s_waitcnt vmcnt(45) lgkmcnt(10)
	v_mul_f32_e32 v72, v73, v117
	v_mul_f32_e32 v117, v74, v117
	s_waitcnt vmcnt(44)
	v_mul_f32_e32 v163, v75, v118
	v_mul_f32_e32 v118, v76, v118
	s_waitcnt vmcnt(43) lgkmcnt(9)
	v_mul_f32_e32 v164, v77, v119
	s_waitcnt vmcnt(42)
	v_mul_f32_e32 v165, v79, v120
	s_waitcnt vmcnt(41) lgkmcnt(8)
	v_mul_f32_e32 v166, v81, v121
	s_waitcnt vmcnt(40)
	;; [unrolled: 4-line block ×9, first 2 shown]
	v_mul_f32_e32 v181, v111, v136
	s_waitcnt vmcnt(23)
	v_fma_f32 v73, v73, v139, -v117
	v_fmac_f32_e32 v72, v74, v139
	v_mul_f32_e32 v74, v78, v119
	s_waitcnt vmcnt(22)
	v_fma_f32 v75, v75, v140, -v118
	v_fmac_f32_e32 v163, v76, v140
	v_add_f32_e32 v73, 0, v73
	v_add_f32_e32 v72, 0, v72
	v_mul_f32_e32 v76, v80, v120
	s_waitcnt vmcnt(21)
	v_fma_f32 v74, v77, v141, -v74
	v_fmac_f32_e32 v164, v78, v141
	v_add_f32_e32 v73, v73, v75
	v_add_f32_e32 v72, v72, v163
	;; [unrolled: 6-line block ×18, first 2 shown]
	s_waitcnt lgkmcnt(0)
	v_mul_f32_e32 v74, v114, v137
	s_waitcnt vmcnt(4)
	v_fma_f32 v75, v111, v158, -v75
	v_mul_f32_e32 v182, v113, v137
	v_add_f32_e32 v73, v73, v76
	v_fmac_f32_e32 v181, v112, v158
	v_add_f32_e32 v72, v72, v180
	v_mul_f32_e32 v76, v116, v138
	s_waitcnt vmcnt(3)
	v_fma_f32 v74, v113, v159, -v74
	v_add_f32_e32 v73, v73, v75
	v_mul_f32_e32 v183, v115, v138
	v_fmac_f32_e32 v182, v114, v159
	v_add_f32_e32 v72, v72, v181
	s_waitcnt vmcnt(2)
	v_fma_f32 v75, v115, v160, -v76
	v_add_f32_e32 v73, v73, v74
	v_fmac_f32_e32 v183, v116, v160
	v_add_f32_e32 v72, v72, v182
	v_add_f32_e32 v73, v73, v75
	;; [unrolled: 1-line block ×3, first 2 shown]
	s_waitcnt vmcnt(1)
	v_sub_f32_e32 v73, v161, v73
	s_waitcnt vmcnt(0)
	v_sub_f32_e32 v72, v162, v72
	buffer_store_dword v73, off, s[0:3], 0 offset:96
	buffer_store_dword v72, off, s[0:3], 0 offset:100
	v_cmpx_lt_u32_e32 11, v0
	s_cbranch_execz .LBB98_201
; %bb.200:
	s_clause 0x1
	buffer_load_dword v72, off, s[0:3], 0 offset:88
	buffer_load_dword v73, off, s[0:3], 0 offset:92
	v_mov_b32_e32 v74, 0
	buffer_store_dword v74, off, s[0:3], 0 offset:88
	buffer_store_dword v74, off, s[0:3], 0 offset:92
	s_waitcnt vmcnt(0)
	ds_write_b64 v71, v[72:73]
.LBB98_201:
	s_or_b32 exec_lo, exec_lo, s4
	s_waitcnt lgkmcnt(0)
	s_waitcnt_vscnt null, 0x0
	s_barrier
	buffer_gl0_inv
	s_clause 0x2f
	buffer_load_dword v119, off, s[0:3], 0 offset:100
	buffer_load_dword v120, off, s[0:3], 0 offset:108
	;; [unrolled: 1-line block ×48, first 2 shown]
	v_mov_b32_e32 v72, 0
	ds_read_b128 v[73:76], v72 offset:384
	ds_read_b128 v[77:80], v72 offset:400
	;; [unrolled: 1-line block ×11, first 2 shown]
	ds_read_b64 v[117:118], v72 offset:560
	s_mov_b32 s4, exec_lo
	s_waitcnt vmcnt(47) lgkmcnt(11)
	v_mul_f32_e32 v167, v73, v119
	v_mul_f32_e32 v119, v74, v119
	s_waitcnt vmcnt(46)
	v_mul_f32_e32 v168, v75, v120
	v_mul_f32_e32 v120, v76, v120
	s_waitcnt vmcnt(45) lgkmcnt(10)
	v_mul_f32_e32 v169, v77, v121
	s_waitcnt vmcnt(44)
	v_mul_f32_e32 v170, v79, v122
	s_waitcnt vmcnt(43) lgkmcnt(9)
	v_mul_f32_e32 v171, v81, v123
	s_waitcnt vmcnt(42)
	;; [unrolled: 4-line block ×10, first 2 shown]
	v_fma_f32 v73, v73, v142, -v119
	v_fmac_f32_e32 v167, v74, v142
	v_mul_f32_e32 v74, v78, v121
	s_waitcnt vmcnt(23)
	v_fma_f32 v75, v75, v143, -v120
	v_fmac_f32_e32 v168, v76, v143
	v_add_f32_e32 v73, 0, v73
	v_add_f32_e32 v76, 0, v167
	v_mul_f32_e32 v119, v80, v122
	s_waitcnt vmcnt(22)
	v_fma_f32 v74, v77, v144, -v74
	v_fmac_f32_e32 v169, v78, v144
	v_add_f32_e32 v73, v73, v75
	v_add_f32_e32 v75, v76, v168
	;; [unrolled: 6-line block ×19, first 2 shown]
	v_mul_f32_e32 v77, v116, v140
	s_waitcnt vmcnt(4)
	v_fma_f32 v75, v113, v162, -v75
	v_mul_f32_e32 v188, v115, v140
	v_add_f32_e32 v73, v73, v76
	v_fmac_f32_e32 v187, v114, v162
	v_add_f32_e32 v74, v74, v186
	s_waitcnt lgkmcnt(0)
	v_mul_f32_e32 v76, v118, v141
	s_waitcnt vmcnt(3)
	v_fma_f32 v77, v115, v163, -v77
	v_add_f32_e32 v73, v73, v75
	v_mul_f32_e32 v189, v117, v141
	v_fmac_f32_e32 v188, v116, v163
	v_add_f32_e32 v74, v74, v187
	s_waitcnt vmcnt(2)
	v_fma_f32 v75, v117, v164, -v76
	v_add_f32_e32 v73, v73, v77
	v_fmac_f32_e32 v189, v118, v164
	v_add_f32_e32 v74, v74, v188
	v_add_f32_e32 v73, v73, v75
	;; [unrolled: 1-line block ×3, first 2 shown]
	s_waitcnt vmcnt(1)
	v_sub_f32_e32 v73, v165, v73
	s_waitcnt vmcnt(0)
	v_sub_f32_e32 v74, v166, v74
	buffer_store_dword v73, off, s[0:3], 0 offset:88
	buffer_store_dword v74, off, s[0:3], 0 offset:92
	v_cmpx_lt_u32_e32 10, v0
	s_cbranch_execz .LBB98_203
; %bb.202:
	s_clause 0x1
	buffer_load_dword v73, off, s[0:3], 0 offset:80
	buffer_load_dword v74, off, s[0:3], 0 offset:84
	buffer_store_dword v72, off, s[0:3], 0 offset:80
	buffer_store_dword v72, off, s[0:3], 0 offset:84
	s_waitcnt vmcnt(0)
	ds_write_b64 v71, v[73:74]
.LBB98_203:
	s_or_b32 exec_lo, exec_lo, s4
	s_waitcnt lgkmcnt(0)
	s_waitcnt_vscnt null, 0x0
	s_barrier
	buffer_gl0_inv
	s_clause 0x31
	buffer_load_dword v121, off, s[0:3], 0 offset:92
	buffer_load_dword v122, off, s[0:3], 0 offset:100
	;; [unrolled: 1-line block ×50, first 2 shown]
	ds_read2_b64 v[73:76], v72 offset0:47 offset1:48
	ds_read2_b64 v[77:80], v72 offset0:49 offset1:50
	;; [unrolled: 1-line block ×12, first 2 shown]
	s_mov_b32 s4, exec_lo
	s_waitcnt vmcnt(49) lgkmcnt(11)
	v_mul_f32_e32 v72, v73, v121
	v_mul_f32_e32 v121, v74, v121
	s_waitcnt vmcnt(48)
	v_mul_f32_e32 v171, v75, v122
	v_mul_f32_e32 v122, v76, v122
	s_waitcnt vmcnt(47) lgkmcnt(10)
	v_mul_f32_e32 v172, v77, v123
	s_waitcnt vmcnt(46)
	v_mul_f32_e32 v173, v79, v124
	s_waitcnt vmcnt(45) lgkmcnt(9)
	v_mul_f32_e32 v174, v81, v125
	s_waitcnt vmcnt(44)
	;; [unrolled: 4-line block ×10, first 2 shown]
	v_mul_f32_e32 v191, v115, v142
	s_waitcnt vmcnt(25)
	v_fma_f32 v73, v73, v145, -v121
	v_fmac_f32_e32 v72, v74, v145
	v_mul_f32_e32 v74, v78, v123
	s_waitcnt vmcnt(24)
	v_fma_f32 v75, v75, v146, -v122
	v_fmac_f32_e32 v171, v76, v146
	v_add_f32_e32 v73, 0, v73
	v_add_f32_e32 v72, 0, v72
	v_mul_f32_e32 v76, v80, v124
	s_waitcnt vmcnt(23)
	v_fma_f32 v74, v77, v147, -v74
	v_fmac_f32_e32 v172, v78, v147
	v_add_f32_e32 v73, v73, v75
	v_add_f32_e32 v72, v72, v171
	v_mul_f32_e32 v75, v82, v125
	s_waitcnt vmcnt(22)
	v_fma_f32 v76, v79, v148, -v76
	v_fmac_f32_e32 v173, v80, v148
	v_add_f32_e32 v73, v73, v74
	v_add_f32_e32 v72, v72, v172
	v_mul_f32_e32 v74, v84, v126
	s_waitcnt vmcnt(21)
	v_fma_f32 v75, v81, v149, -v75
	v_fmac_f32_e32 v174, v82, v149
	v_add_f32_e32 v73, v73, v76
	v_add_f32_e32 v72, v72, v173
	v_mul_f32_e32 v76, v86, v127
	s_waitcnt vmcnt(20)
	v_fma_f32 v74, v83, v150, -v74
	v_fmac_f32_e32 v175, v84, v150
	v_add_f32_e32 v73, v73, v75
	v_add_f32_e32 v72, v72, v174
	v_mul_f32_e32 v75, v88, v128
	s_waitcnt vmcnt(19)
	v_fma_f32 v76, v85, v151, -v76
	v_fmac_f32_e32 v176, v86, v151
	v_add_f32_e32 v73, v73, v74
	v_add_f32_e32 v72, v72, v175
	v_mul_f32_e32 v74, v90, v129
	s_waitcnt vmcnt(18)
	v_fma_f32 v75, v87, v152, -v75
	v_fmac_f32_e32 v177, v88, v152
	v_add_f32_e32 v73, v73, v76
	v_add_f32_e32 v72, v72, v176
	v_mul_f32_e32 v76, v92, v130
	s_waitcnt vmcnt(17)
	v_fma_f32 v74, v89, v153, -v74
	v_fmac_f32_e32 v178, v90, v153
	v_add_f32_e32 v73, v73, v75
	v_add_f32_e32 v72, v72, v177
	v_mul_f32_e32 v75, v94, v131
	s_waitcnt vmcnt(16)
	v_fma_f32 v76, v91, v154, -v76
	v_fmac_f32_e32 v179, v92, v154
	v_add_f32_e32 v73, v73, v74
	v_add_f32_e32 v72, v72, v178
	v_mul_f32_e32 v74, v96, v132
	s_waitcnt vmcnt(15)
	v_fma_f32 v75, v93, v155, -v75
	v_fmac_f32_e32 v180, v94, v155
	v_add_f32_e32 v73, v73, v76
	v_add_f32_e32 v72, v72, v179
	v_mul_f32_e32 v76, v98, v133
	s_waitcnt vmcnt(14)
	v_fma_f32 v74, v95, v156, -v74
	v_fmac_f32_e32 v181, v96, v156
	v_add_f32_e32 v73, v73, v75
	v_add_f32_e32 v72, v72, v180
	v_mul_f32_e32 v75, v100, v134
	s_waitcnt vmcnt(13)
	v_fma_f32 v76, v97, v157, -v76
	v_fmac_f32_e32 v182, v98, v157
	v_add_f32_e32 v73, v73, v74
	v_add_f32_e32 v72, v72, v181
	v_mul_f32_e32 v74, v102, v135
	s_waitcnt vmcnt(12)
	v_fma_f32 v75, v99, v158, -v75
	v_fmac_f32_e32 v183, v100, v158
	v_add_f32_e32 v73, v73, v76
	v_add_f32_e32 v72, v72, v182
	v_mul_f32_e32 v76, v104, v136
	s_waitcnt vmcnt(11)
	v_fma_f32 v74, v101, v159, -v74
	v_fmac_f32_e32 v184, v102, v159
	v_add_f32_e32 v73, v73, v75
	v_add_f32_e32 v72, v72, v183
	v_mul_f32_e32 v75, v106, v137
	s_waitcnt vmcnt(10)
	v_fma_f32 v76, v103, v160, -v76
	v_fmac_f32_e32 v185, v104, v160
	v_add_f32_e32 v73, v73, v74
	v_add_f32_e32 v72, v72, v184
	v_mul_f32_e32 v74, v108, v138
	s_waitcnt vmcnt(9)
	v_fma_f32 v75, v105, v161, -v75
	v_fmac_f32_e32 v186, v106, v161
	v_add_f32_e32 v73, v73, v76
	v_add_f32_e32 v72, v72, v185
	v_mul_f32_e32 v76, v110, v139
	s_waitcnt vmcnt(8)
	v_fma_f32 v74, v107, v162, -v74
	v_fmac_f32_e32 v187, v108, v162
	v_add_f32_e32 v73, v73, v75
	v_add_f32_e32 v72, v72, v186
	v_mul_f32_e32 v75, v112, v140
	s_waitcnt vmcnt(7)
	v_fma_f32 v76, v109, v163, -v76
	v_fmac_f32_e32 v188, v110, v163
	v_add_f32_e32 v73, v73, v74
	v_add_f32_e32 v72, v72, v187
	v_mul_f32_e32 v74, v114, v141
	s_waitcnt vmcnt(6)
	v_fma_f32 v75, v111, v164, -v75
	v_fmac_f32_e32 v189, v112, v164
	v_add_f32_e32 v73, v73, v76
	v_add_f32_e32 v72, v72, v188
	v_mul_f32_e32 v76, v116, v142
	s_waitcnt vmcnt(5)
	v_fma_f32 v74, v113, v165, -v74
	v_fmac_f32_e32 v190, v114, v165
	v_add_f32_e32 v73, v73, v75
	v_add_f32_e32 v72, v72, v189
	s_waitcnt lgkmcnt(0)
	v_mul_f32_e32 v75, v118, v143
	s_waitcnt vmcnt(4)
	v_fma_f32 v76, v115, v166, -v76
	v_mul_f32_e32 v192, v117, v143
	v_add_f32_e32 v73, v73, v74
	v_fmac_f32_e32 v191, v116, v166
	v_add_f32_e32 v72, v72, v190
	v_mul_f32_e32 v74, v120, v144
	s_waitcnt vmcnt(3)
	v_fma_f32 v75, v117, v167, -v75
	v_add_f32_e32 v73, v73, v76
	v_mul_f32_e32 v193, v119, v144
	v_fmac_f32_e32 v192, v118, v167
	v_add_f32_e32 v72, v72, v191
	s_waitcnt vmcnt(2)
	v_fma_f32 v74, v119, v168, -v74
	v_add_f32_e32 v73, v73, v75
	v_fmac_f32_e32 v193, v120, v168
	v_add_f32_e32 v72, v72, v192
	v_add_f32_e32 v73, v73, v74
	;; [unrolled: 1-line block ×3, first 2 shown]
	s_waitcnt vmcnt(1)
	v_sub_f32_e32 v73, v169, v73
	s_waitcnt vmcnt(0)
	v_sub_f32_e32 v72, v170, v72
	buffer_store_dword v73, off, s[0:3], 0 offset:80
	buffer_store_dword v72, off, s[0:3], 0 offset:84
	v_cmpx_lt_u32_e32 9, v0
	s_cbranch_execz .LBB98_205
; %bb.204:
	s_clause 0x1
	buffer_load_dword v72, off, s[0:3], 0 offset:72
	buffer_load_dword v73, off, s[0:3], 0 offset:76
	v_mov_b32_e32 v74, 0
	buffer_store_dword v74, off, s[0:3], 0 offset:72
	buffer_store_dword v74, off, s[0:3], 0 offset:76
	s_waitcnt vmcnt(0)
	ds_write_b64 v71, v[72:73]
.LBB98_205:
	s_or_b32 exec_lo, exec_lo, s4
	s_waitcnt lgkmcnt(0)
	s_waitcnt_vscnt null, 0x0
	s_barrier
	buffer_gl0_inv
	s_clause 0x33
	buffer_load_dword v123, off, s[0:3], 0 offset:84
	buffer_load_dword v124, off, s[0:3], 0 offset:92
	buffer_load_dword v125, off, s[0:3], 0 offset:100
	buffer_load_dword v126, off, s[0:3], 0 offset:108
	buffer_load_dword v127, off, s[0:3], 0 offset:116
	buffer_load_dword v128, off, s[0:3], 0 offset:124
	buffer_load_dword v129, off, s[0:3], 0 offset:132
	buffer_load_dword v130, off, s[0:3], 0 offset:140
	buffer_load_dword v131, off, s[0:3], 0 offset:148
	buffer_load_dword v132, off, s[0:3], 0 offset:156
	buffer_load_dword v133, off, s[0:3], 0 offset:164
	buffer_load_dword v134, off, s[0:3], 0 offset:172
	buffer_load_dword v135, off, s[0:3], 0 offset:180
	buffer_load_dword v136, off, s[0:3], 0 offset:188
	buffer_load_dword v137, off, s[0:3], 0 offset:196
	buffer_load_dword v138, off, s[0:3], 0 offset:204
	buffer_load_dword v139, off, s[0:3], 0 offset:212
	buffer_load_dword v140, off, s[0:3], 0 offset:220
	buffer_load_dword v141, off, s[0:3], 0 offset:228
	buffer_load_dword v142, off, s[0:3], 0 offset:236
	buffer_load_dword v143, off, s[0:3], 0 offset:244
	buffer_load_dword v144, off, s[0:3], 0 offset:252
	buffer_load_dword v145, off, s[0:3], 0 offset:260
	buffer_load_dword v146, off, s[0:3], 0 offset:268
	buffer_load_dword v147, off, s[0:3], 0 offset:276
	buffer_load_dword v148, off, s[0:3], 0 offset:80
	buffer_load_dword v149, off, s[0:3], 0 offset:88
	buffer_load_dword v150, off, s[0:3], 0 offset:96
	buffer_load_dword v151, off, s[0:3], 0 offset:104
	buffer_load_dword v152, off, s[0:3], 0 offset:112
	buffer_load_dword v153, off, s[0:3], 0 offset:120
	buffer_load_dword v154, off, s[0:3], 0 offset:128
	buffer_load_dword v155, off, s[0:3], 0 offset:136
	buffer_load_dword v156, off, s[0:3], 0 offset:144
	buffer_load_dword v157, off, s[0:3], 0 offset:152
	buffer_load_dword v158, off, s[0:3], 0 offset:160
	buffer_load_dword v159, off, s[0:3], 0 offset:168
	buffer_load_dword v160, off, s[0:3], 0 offset:176
	buffer_load_dword v161, off, s[0:3], 0 offset:184
	buffer_load_dword v162, off, s[0:3], 0 offset:192
	buffer_load_dword v163, off, s[0:3], 0 offset:200
	buffer_load_dword v164, off, s[0:3], 0 offset:208
	buffer_load_dword v165, off, s[0:3], 0 offset:216
	buffer_load_dword v166, off, s[0:3], 0 offset:224
	buffer_load_dword v167, off, s[0:3], 0 offset:232
	buffer_load_dword v168, off, s[0:3], 0 offset:240
	buffer_load_dword v169, off, s[0:3], 0 offset:248
	buffer_load_dword v170, off, s[0:3], 0 offset:256
	buffer_load_dword v171, off, s[0:3], 0 offset:264
	buffer_load_dword v172, off, s[0:3], 0 offset:272
	buffer_load_dword v173, off, s[0:3], 0 offset:72
	buffer_load_dword v174, off, s[0:3], 0 offset:76
	v_mov_b32_e32 v72, 0
	ds_read_b128 v[73:76], v72 offset:368
	ds_read_b128 v[77:80], v72 offset:384
	;; [unrolled: 1-line block ×12, first 2 shown]
	ds_read_b64 v[121:122], v72 offset:560
	s_mov_b32 s4, exec_lo
	s_waitcnt vmcnt(51) lgkmcnt(12)
	v_mul_f32_e32 v175, v73, v123
	v_mul_f32_e32 v123, v74, v123
	s_waitcnt vmcnt(50)
	v_mul_f32_e32 v176, v75, v124
	v_mul_f32_e32 v124, v76, v124
	s_waitcnt vmcnt(49) lgkmcnt(11)
	v_mul_f32_e32 v177, v77, v125
	s_waitcnt vmcnt(48)
	v_mul_f32_e32 v178, v79, v126
	s_waitcnt vmcnt(47) lgkmcnt(10)
	v_mul_f32_e32 v179, v81, v127
	s_waitcnt vmcnt(46)
	;; [unrolled: 4-line block ×11, first 2 shown]
	v_fma_f32 v73, v73, v148, -v123
	v_fmac_f32_e32 v175, v74, v148
	v_mul_f32_e32 v74, v78, v125
	s_waitcnt vmcnt(25)
	v_fma_f32 v75, v75, v149, -v124
	v_fmac_f32_e32 v176, v76, v149
	v_add_f32_e32 v73, 0, v73
	v_add_f32_e32 v76, 0, v175
	v_mul_f32_e32 v123, v80, v126
	s_waitcnt vmcnt(24)
	v_fma_f32 v74, v77, v150, -v74
	v_fmac_f32_e32 v177, v78, v150
	v_add_f32_e32 v73, v73, v75
	v_add_f32_e32 v75, v76, v176
	;; [unrolled: 6-line block ×21, first 2 shown]
	v_mul_f32_e32 v75, v120, v146
	s_waitcnt vmcnt(4)
	v_fma_f32 v76, v117, v170, -v76
	v_mul_f32_e32 v198, v119, v146
	v_add_f32_e32 v73, v73, v77
	v_fmac_f32_e32 v197, v118, v170
	v_add_f32_e32 v74, v74, v196
	s_waitcnt lgkmcnt(0)
	v_mul_f32_e32 v77, v122, v147
	s_waitcnt vmcnt(3)
	v_fma_f32 v75, v119, v171, -v75
	v_add_f32_e32 v73, v73, v76
	v_mul_f32_e32 v199, v121, v147
	v_fmac_f32_e32 v198, v120, v171
	v_add_f32_e32 v74, v74, v197
	s_waitcnt vmcnt(2)
	v_fma_f32 v76, v121, v172, -v77
	v_add_f32_e32 v73, v73, v75
	v_fmac_f32_e32 v199, v122, v172
	v_add_f32_e32 v74, v74, v198
	v_add_f32_e32 v73, v73, v76
	;; [unrolled: 1-line block ×3, first 2 shown]
	s_waitcnt vmcnt(1)
	v_sub_f32_e32 v73, v173, v73
	s_waitcnt vmcnt(0)
	v_sub_f32_e32 v74, v174, v74
	buffer_store_dword v73, off, s[0:3], 0 offset:72
	buffer_store_dword v74, off, s[0:3], 0 offset:76
	v_cmpx_lt_u32_e32 8, v0
	s_cbranch_execz .LBB98_207
; %bb.206:
	s_clause 0x1
	buffer_load_dword v73, off, s[0:3], 0 offset:64
	buffer_load_dword v74, off, s[0:3], 0 offset:68
	buffer_store_dword v72, off, s[0:3], 0 offset:64
	buffer_store_dword v72, off, s[0:3], 0 offset:68
	s_waitcnt vmcnt(0)
	ds_write_b64 v71, v[73:74]
.LBB98_207:
	s_or_b32 exec_lo, exec_lo, s4
	s_waitcnt lgkmcnt(0)
	s_waitcnt_vscnt null, 0x0
	s_barrier
	buffer_gl0_inv
	s_clause 0x35
	buffer_load_dword v125, off, s[0:3], 0 offset:76
	buffer_load_dword v126, off, s[0:3], 0 offset:84
	;; [unrolled: 1-line block ×54, first 2 shown]
	ds_read2_b64 v[73:76], v72 offset0:45 offset1:46
	ds_read2_b64 v[77:80], v72 offset0:47 offset1:48
	;; [unrolled: 1-line block ×13, first 2 shown]
	s_mov_b32 s4, exec_lo
	s_waitcnt vmcnt(53) lgkmcnt(12)
	v_mul_f32_e32 v72, v73, v125
	v_mul_f32_e32 v125, v74, v125
	s_waitcnt vmcnt(52)
	v_mul_f32_e32 v179, v75, v126
	v_mul_f32_e32 v126, v76, v126
	s_waitcnt vmcnt(51) lgkmcnt(11)
	v_mul_f32_e32 v180, v77, v127
	s_waitcnt vmcnt(50)
	v_mul_f32_e32 v181, v79, v128
	s_waitcnt vmcnt(49) lgkmcnt(10)
	v_mul_f32_e32 v182, v81, v129
	s_waitcnt vmcnt(48)
	v_mul_f32_e32 v183, v83, v130
	s_waitcnt vmcnt(47) lgkmcnt(9)
	v_mul_f32_e32 v184, v85, v131
	s_waitcnt vmcnt(46)
	v_mul_f32_e32 v185, v87, v132
	s_waitcnt vmcnt(45) lgkmcnt(8)
	v_mul_f32_e32 v186, v89, v133
	s_waitcnt vmcnt(44)
	v_mul_f32_e32 v187, v91, v134
	s_waitcnt vmcnt(43) lgkmcnt(7)
	v_mul_f32_e32 v188, v93, v135
	s_waitcnt vmcnt(42)
	v_mul_f32_e32 v189, v95, v136
	s_waitcnt vmcnt(41) lgkmcnt(6)
	v_mul_f32_e32 v190, v97, v137
	s_waitcnt vmcnt(40)
	v_mul_f32_e32 v191, v99, v138
	s_waitcnt vmcnt(39) lgkmcnt(5)
	v_mul_f32_e32 v192, v101, v139
	s_waitcnt vmcnt(38)
	v_mul_f32_e32 v193, v103, v140
	s_waitcnt vmcnt(37) lgkmcnt(4)
	v_mul_f32_e32 v194, v105, v141
	s_waitcnt vmcnt(36)
	v_mul_f32_e32 v195, v107, v142
	s_waitcnt vmcnt(35) lgkmcnt(3)
	v_mul_f32_e32 v196, v109, v143
	s_waitcnt vmcnt(34)
	v_mul_f32_e32 v197, v111, v144
	s_waitcnt vmcnt(33) lgkmcnt(2)
	v_mul_f32_e32 v198, v113, v145
	s_waitcnt vmcnt(32)
	v_mul_f32_e32 v199, v115, v146
	s_waitcnt vmcnt(31) lgkmcnt(1)
	v_mul_f32_e32 v200, v117, v147
	s_waitcnt vmcnt(30)
	v_mul_f32_e32 v201, v119, v148
	s_waitcnt vmcnt(27)
	v_fma_f32 v73, v73, v151, -v125
	v_fmac_f32_e32 v72, v74, v151
	v_mul_f32_e32 v74, v78, v127
	s_waitcnt vmcnt(26)
	v_fma_f32 v75, v75, v152, -v126
	v_fmac_f32_e32 v179, v76, v152
	v_add_f32_e32 v73, 0, v73
	v_add_f32_e32 v72, 0, v72
	v_mul_f32_e32 v76, v80, v128
	s_waitcnt vmcnt(25)
	v_fma_f32 v74, v77, v153, -v74
	v_fmac_f32_e32 v180, v78, v153
	v_add_f32_e32 v73, v73, v75
	v_add_f32_e32 v72, v72, v179
	v_mul_f32_e32 v75, v82, v129
	s_waitcnt vmcnt(24)
	v_fma_f32 v76, v79, v154, -v76
	v_fmac_f32_e32 v181, v80, v154
	v_add_f32_e32 v73, v73, v74
	v_add_f32_e32 v72, v72, v180
	v_mul_f32_e32 v74, v84, v130
	s_waitcnt vmcnt(23)
	v_fma_f32 v75, v81, v155, -v75
	v_fmac_f32_e32 v182, v82, v155
	v_add_f32_e32 v73, v73, v76
	v_add_f32_e32 v72, v72, v181
	v_mul_f32_e32 v76, v86, v131
	s_waitcnt vmcnt(22)
	v_fma_f32 v74, v83, v156, -v74
	v_fmac_f32_e32 v183, v84, v156
	v_add_f32_e32 v73, v73, v75
	v_add_f32_e32 v72, v72, v182
	v_mul_f32_e32 v75, v88, v132
	s_waitcnt vmcnt(21)
	v_fma_f32 v76, v85, v157, -v76
	v_fmac_f32_e32 v184, v86, v157
	v_add_f32_e32 v73, v73, v74
	v_add_f32_e32 v72, v72, v183
	v_mul_f32_e32 v74, v90, v133
	s_waitcnt vmcnt(20)
	v_fma_f32 v75, v87, v158, -v75
	v_fmac_f32_e32 v185, v88, v158
	v_add_f32_e32 v73, v73, v76
	v_add_f32_e32 v72, v72, v184
	v_mul_f32_e32 v76, v92, v134
	s_waitcnt vmcnt(19)
	v_fma_f32 v74, v89, v159, -v74
	v_fmac_f32_e32 v186, v90, v159
	v_add_f32_e32 v73, v73, v75
	v_add_f32_e32 v72, v72, v185
	v_mul_f32_e32 v75, v94, v135
	s_waitcnt vmcnt(18)
	v_fma_f32 v76, v91, v160, -v76
	v_fmac_f32_e32 v187, v92, v160
	v_add_f32_e32 v73, v73, v74
	v_add_f32_e32 v72, v72, v186
	v_mul_f32_e32 v74, v96, v136
	s_waitcnt vmcnt(17)
	v_fma_f32 v75, v93, v161, -v75
	v_fmac_f32_e32 v188, v94, v161
	v_add_f32_e32 v73, v73, v76
	v_add_f32_e32 v72, v72, v187
	v_mul_f32_e32 v76, v98, v137
	s_waitcnt vmcnt(16)
	v_fma_f32 v74, v95, v162, -v74
	v_fmac_f32_e32 v189, v96, v162
	v_add_f32_e32 v73, v73, v75
	v_add_f32_e32 v72, v72, v188
	v_mul_f32_e32 v75, v100, v138
	s_waitcnt vmcnt(15)
	v_fma_f32 v76, v97, v163, -v76
	v_fmac_f32_e32 v190, v98, v163
	v_add_f32_e32 v73, v73, v74
	v_add_f32_e32 v72, v72, v189
	v_mul_f32_e32 v74, v102, v139
	s_waitcnt vmcnt(14)
	v_fma_f32 v75, v99, v164, -v75
	v_fmac_f32_e32 v191, v100, v164
	v_add_f32_e32 v73, v73, v76
	v_add_f32_e32 v72, v72, v190
	v_mul_f32_e32 v76, v104, v140
	s_waitcnt vmcnt(13)
	v_fma_f32 v74, v101, v165, -v74
	v_fmac_f32_e32 v192, v102, v165
	v_add_f32_e32 v73, v73, v75
	v_add_f32_e32 v72, v72, v191
	v_mul_f32_e32 v75, v106, v141
	s_waitcnt vmcnt(12)
	v_fma_f32 v76, v103, v166, -v76
	v_fmac_f32_e32 v193, v104, v166
	v_add_f32_e32 v73, v73, v74
	v_add_f32_e32 v72, v72, v192
	v_mul_f32_e32 v74, v108, v142
	s_waitcnt vmcnt(11)
	v_fma_f32 v75, v105, v167, -v75
	v_fmac_f32_e32 v194, v106, v167
	v_add_f32_e32 v73, v73, v76
	v_add_f32_e32 v72, v72, v193
	v_mul_f32_e32 v76, v110, v143
	s_waitcnt vmcnt(10)
	v_fma_f32 v74, v107, v168, -v74
	v_fmac_f32_e32 v195, v108, v168
	v_add_f32_e32 v73, v73, v75
	v_add_f32_e32 v72, v72, v194
	v_mul_f32_e32 v75, v112, v144
	s_waitcnt vmcnt(9)
	v_fma_f32 v76, v109, v169, -v76
	v_fmac_f32_e32 v196, v110, v169
	v_add_f32_e32 v73, v73, v74
	v_add_f32_e32 v72, v72, v195
	v_mul_f32_e32 v74, v114, v145
	s_waitcnt vmcnt(8)
	v_fma_f32 v75, v111, v170, -v75
	v_fmac_f32_e32 v197, v112, v170
	v_add_f32_e32 v73, v73, v76
	v_add_f32_e32 v72, v72, v196
	v_mul_f32_e32 v76, v116, v146
	s_waitcnt vmcnt(7)
	v_fma_f32 v74, v113, v171, -v74
	v_fmac_f32_e32 v198, v114, v171
	v_add_f32_e32 v73, v73, v75
	v_add_f32_e32 v72, v72, v197
	v_mul_f32_e32 v75, v118, v147
	s_waitcnt vmcnt(6)
	v_fma_f32 v76, v115, v172, -v76
	v_fmac_f32_e32 v199, v116, v172
	v_add_f32_e32 v73, v73, v74
	v_add_f32_e32 v72, v72, v198
	v_mul_f32_e32 v74, v120, v148
	s_waitcnt vmcnt(5)
	v_fma_f32 v75, v117, v173, -v75
	v_fmac_f32_e32 v200, v118, v173
	v_add_f32_e32 v73, v73, v76
	v_add_f32_e32 v72, v72, v199
	s_waitcnt lgkmcnt(0)
	v_mul_f32_e32 v76, v122, v149
	s_waitcnt vmcnt(4)
	v_fma_f32 v74, v119, v174, -v74
	v_mul_f32_e32 v202, v121, v149
	v_add_f32_e32 v73, v73, v75
	v_fmac_f32_e32 v201, v120, v174
	v_add_f32_e32 v72, v72, v200
	v_mul_f32_e32 v75, v124, v150
	s_waitcnt vmcnt(3)
	v_fma_f32 v76, v121, v175, -v76
	v_add_f32_e32 v73, v73, v74
	v_mul_f32_e32 v203, v123, v150
	v_fmac_f32_e32 v202, v122, v175
	v_add_f32_e32 v72, v72, v201
	s_waitcnt vmcnt(2)
	v_fma_f32 v74, v123, v176, -v75
	v_add_f32_e32 v73, v73, v76
	v_fmac_f32_e32 v203, v124, v176
	v_add_f32_e32 v72, v72, v202
	v_add_f32_e32 v73, v73, v74
	;; [unrolled: 1-line block ×3, first 2 shown]
	s_waitcnt vmcnt(1)
	v_sub_f32_e32 v73, v177, v73
	s_waitcnt vmcnt(0)
	v_sub_f32_e32 v72, v178, v72
	buffer_store_dword v73, off, s[0:3], 0 offset:64
	buffer_store_dword v72, off, s[0:3], 0 offset:68
	v_cmpx_lt_u32_e32 7, v0
	s_cbranch_execz .LBB98_209
; %bb.208:
	s_clause 0x1
	buffer_load_dword v72, off, s[0:3], 0 offset:56
	buffer_load_dword v73, off, s[0:3], 0 offset:60
	v_mov_b32_e32 v74, 0
	buffer_store_dword v74, off, s[0:3], 0 offset:56
	buffer_store_dword v74, off, s[0:3], 0 offset:60
	s_waitcnt vmcnt(0)
	ds_write_b64 v71, v[72:73]
.LBB98_209:
	s_or_b32 exec_lo, exec_lo, s4
	s_waitcnt lgkmcnt(0)
	s_waitcnt_vscnt null, 0x0
	s_barrier
	buffer_gl0_inv
	s_clause 0x37
	buffer_load_dword v127, off, s[0:3], 0 offset:68
	buffer_load_dword v128, off, s[0:3], 0 offset:76
	;; [unrolled: 1-line block ×56, first 2 shown]
	v_mov_b32_e32 v72, 0
	ds_read_b128 v[73:76], v72 offset:352
	ds_read_b128 v[77:80], v72 offset:368
	;; [unrolled: 1-line block ×13, first 2 shown]
	ds_read_b64 v[125:126], v72 offset:560
	s_mov_b32 s4, exec_lo
	s_waitcnt vmcnt(55) lgkmcnt(13)
	v_mul_f32_e32 v183, v73, v127
	v_mul_f32_e32 v127, v74, v127
	s_waitcnt vmcnt(54)
	v_mul_f32_e32 v184, v75, v128
	v_mul_f32_e32 v128, v76, v128
	s_waitcnt vmcnt(53) lgkmcnt(12)
	v_mul_f32_e32 v185, v77, v129
	s_waitcnt vmcnt(52)
	v_mul_f32_e32 v186, v79, v130
	s_waitcnt vmcnt(51) lgkmcnt(11)
	v_mul_f32_e32 v187, v81, v131
	s_waitcnt vmcnt(50)
	;; [unrolled: 4-line block ×12, first 2 shown]
	v_fma_f32 v73, v73, v154, -v127
	v_fmac_f32_e32 v183, v74, v154
	v_mul_f32_e32 v74, v78, v129
	s_waitcnt vmcnt(27)
	v_fma_f32 v75, v75, v155, -v128
	v_fmac_f32_e32 v184, v76, v155
	v_add_f32_e32 v73, 0, v73
	v_add_f32_e32 v76, 0, v183
	v_mul_f32_e32 v127, v80, v130
	s_waitcnt vmcnt(26)
	v_fma_f32 v74, v77, v156, -v74
	v_fmac_f32_e32 v185, v78, v156
	v_add_f32_e32 v73, v73, v75
	v_add_f32_e32 v75, v76, v184
	;; [unrolled: 6-line block ×23, first 2 shown]
	v_mul_f32_e32 v76, v124, v152
	s_waitcnt vmcnt(4)
	v_fma_f32 v77, v121, v178, -v77
	v_mul_f32_e32 v208, v123, v152
	v_add_f32_e32 v73, v73, v75
	v_fmac_f32_e32 v207, v122, v178
	v_add_f32_e32 v74, v74, v206
	s_waitcnt lgkmcnt(0)
	v_mul_f32_e32 v75, v126, v153
	s_waitcnt vmcnt(3)
	v_fma_f32 v76, v123, v179, -v76
	v_add_f32_e32 v73, v73, v77
	v_mul_f32_e32 v209, v125, v153
	v_fmac_f32_e32 v208, v124, v179
	v_add_f32_e32 v74, v74, v207
	s_waitcnt vmcnt(2)
	v_fma_f32 v75, v125, v180, -v75
	v_add_f32_e32 v73, v73, v76
	v_fmac_f32_e32 v209, v126, v180
	v_add_f32_e32 v74, v74, v208
	v_add_f32_e32 v73, v73, v75
	v_add_f32_e32 v74, v74, v209
	s_waitcnt vmcnt(1)
	v_sub_f32_e32 v73, v181, v73
	s_waitcnt vmcnt(0)
	v_sub_f32_e32 v74, v182, v74
	buffer_store_dword v73, off, s[0:3], 0 offset:56
	buffer_store_dword v74, off, s[0:3], 0 offset:60
	v_cmpx_lt_u32_e32 6, v0
	s_cbranch_execz .LBB98_211
; %bb.210:
	s_clause 0x1
	buffer_load_dword v73, off, s[0:3], 0 offset:48
	buffer_load_dword v74, off, s[0:3], 0 offset:52
	buffer_store_dword v72, off, s[0:3], 0 offset:48
	buffer_store_dword v72, off, s[0:3], 0 offset:52
	s_waitcnt vmcnt(0)
	ds_write_b64 v71, v[73:74]
.LBB98_211:
	s_or_b32 exec_lo, exec_lo, s4
	s_waitcnt lgkmcnt(0)
	s_waitcnt_vscnt null, 0x0
	s_barrier
	buffer_gl0_inv
	s_clause 0x39
	buffer_load_dword v129, off, s[0:3], 0 offset:60
	buffer_load_dword v130, off, s[0:3], 0 offset:68
	;; [unrolled: 1-line block ×58, first 2 shown]
	ds_read2_b64 v[73:76], v72 offset0:43 offset1:44
	ds_read2_b64 v[77:80], v72 offset0:45 offset1:46
	;; [unrolled: 1-line block ×14, first 2 shown]
	s_mov_b32 s4, exec_lo
	s_waitcnt vmcnt(57) lgkmcnt(13)
	v_mul_f32_e32 v72, v73, v129
	v_mul_f32_e32 v129, v74, v129
	s_waitcnt vmcnt(56)
	v_mul_f32_e32 v187, v75, v130
	v_mul_f32_e32 v130, v76, v130
	s_waitcnt vmcnt(55) lgkmcnt(12)
	v_mul_f32_e32 v188, v77, v131
	s_waitcnt vmcnt(54)
	v_mul_f32_e32 v189, v79, v132
	s_waitcnt vmcnt(53) lgkmcnt(11)
	v_mul_f32_e32 v190, v81, v133
	s_waitcnt vmcnt(52)
	v_mul_f32_e32 v191, v83, v134
	s_waitcnt vmcnt(51) lgkmcnt(10)
	v_mul_f32_e32 v192, v85, v135
	s_waitcnt vmcnt(50)
	v_mul_f32_e32 v193, v87, v136
	s_waitcnt vmcnt(49) lgkmcnt(9)
	v_mul_f32_e32 v194, v89, v137
	s_waitcnt vmcnt(48)
	v_mul_f32_e32 v195, v91, v138
	s_waitcnt vmcnt(47) lgkmcnt(8)
	v_mul_f32_e32 v196, v93, v139
	s_waitcnt vmcnt(46)
	v_mul_f32_e32 v197, v95, v140
	s_waitcnt vmcnt(45) lgkmcnt(7)
	v_mul_f32_e32 v198, v97, v141
	s_waitcnt vmcnt(44)
	v_mul_f32_e32 v199, v99, v142
	s_waitcnt vmcnt(43) lgkmcnt(6)
	v_mul_f32_e32 v200, v101, v143
	s_waitcnt vmcnt(42)
	v_mul_f32_e32 v201, v103, v144
	s_waitcnt vmcnt(41) lgkmcnt(5)
	v_mul_f32_e32 v202, v105, v145
	s_waitcnt vmcnt(40)
	v_mul_f32_e32 v203, v107, v146
	s_waitcnt vmcnt(39) lgkmcnt(4)
	v_mul_f32_e32 v204, v109, v147
	s_waitcnt vmcnt(38)
	v_mul_f32_e32 v205, v111, v148
	s_waitcnt vmcnt(37) lgkmcnt(3)
	v_mul_f32_e32 v206, v113, v149
	s_waitcnt vmcnt(36)
	v_mul_f32_e32 v207, v115, v150
	s_waitcnt vmcnt(35) lgkmcnt(2)
	v_mul_f32_e32 v208, v117, v151
	s_waitcnt vmcnt(34)
	v_mul_f32_e32 v209, v119, v152
	s_waitcnt vmcnt(33) lgkmcnt(1)
	v_mul_f32_e32 v210, v121, v153
	s_waitcnt vmcnt(32)
	v_mul_f32_e32 v211, v123, v154
	s_waitcnt vmcnt(29)
	v_fma_f32 v73, v73, v157, -v129
	v_fmac_f32_e32 v72, v74, v157
	v_mul_f32_e32 v74, v78, v131
	s_waitcnt vmcnt(28)
	v_fma_f32 v75, v75, v158, -v130
	v_fmac_f32_e32 v187, v76, v158
	v_add_f32_e32 v73, 0, v73
	v_add_f32_e32 v72, 0, v72
	v_mul_f32_e32 v76, v80, v132
	s_waitcnt vmcnt(27)
	v_fma_f32 v74, v77, v159, -v74
	v_fmac_f32_e32 v188, v78, v159
	v_add_f32_e32 v73, v73, v75
	v_add_f32_e32 v72, v72, v187
	;; [unrolled: 6-line block ×24, first 2 shown]
	s_waitcnt lgkmcnt(0)
	v_mul_f32_e32 v74, v126, v155
	s_waitcnt vmcnt(4)
	v_fma_f32 v75, v123, v182, -v75
	v_mul_f32_e32 v212, v125, v155
	v_add_f32_e32 v73, v73, v76
	v_fmac_f32_e32 v211, v124, v182
	v_add_f32_e32 v72, v72, v210
	v_mul_f32_e32 v76, v128, v156
	s_waitcnt vmcnt(3)
	v_fma_f32 v74, v125, v183, -v74
	v_add_f32_e32 v73, v73, v75
	v_mul_f32_e32 v213, v127, v156
	v_fmac_f32_e32 v212, v126, v183
	v_add_f32_e32 v72, v72, v211
	s_waitcnt vmcnt(2)
	v_fma_f32 v75, v127, v184, -v76
	v_add_f32_e32 v73, v73, v74
	v_fmac_f32_e32 v213, v128, v184
	v_add_f32_e32 v72, v72, v212
	v_add_f32_e32 v73, v73, v75
	;; [unrolled: 1-line block ×3, first 2 shown]
	s_waitcnt vmcnt(1)
	v_sub_f32_e32 v73, v185, v73
	s_waitcnt vmcnt(0)
	v_sub_f32_e32 v72, v186, v72
	buffer_store_dword v73, off, s[0:3], 0 offset:48
	buffer_store_dword v72, off, s[0:3], 0 offset:52
	v_cmpx_lt_u32_e32 5, v0
	s_cbranch_execz .LBB98_213
; %bb.212:
	s_clause 0x1
	buffer_load_dword v72, off, s[0:3], 0 offset:40
	buffer_load_dword v73, off, s[0:3], 0 offset:44
	v_mov_b32_e32 v74, 0
	buffer_store_dword v74, off, s[0:3], 0 offset:40
	buffer_store_dword v74, off, s[0:3], 0 offset:44
	s_waitcnt vmcnt(0)
	ds_write_b64 v71, v[72:73]
.LBB98_213:
	s_or_b32 exec_lo, exec_lo, s4
	s_waitcnt lgkmcnt(0)
	s_waitcnt_vscnt null, 0x0
	s_barrier
	buffer_gl0_inv
	s_clause 0x3b
	buffer_load_dword v131, off, s[0:3], 0 offset:52
	buffer_load_dword v132, off, s[0:3], 0 offset:60
	;; [unrolled: 1-line block ×60, first 2 shown]
	v_mov_b32_e32 v72, 0
	ds_read_b128 v[73:76], v72 offset:336
	ds_read_b128 v[77:80], v72 offset:352
	ds_read_b128 v[81:84], v72 offset:368
	ds_read_b128 v[85:88], v72 offset:384
	ds_read_b128 v[89:92], v72 offset:400
	ds_read_b128 v[93:96], v72 offset:416
	ds_read_b128 v[97:100], v72 offset:432
	ds_read_b128 v[101:104], v72 offset:448
	ds_read_b128 v[105:108], v72 offset:464
	ds_read_b128 v[109:112], v72 offset:480
	ds_read_b128 v[113:116], v72 offset:496
	ds_read_b128 v[117:120], v72 offset:512
	ds_read_b128 v[121:124], v72 offset:528
	ds_read_b128 v[125:128], v72 offset:544
	ds_read_b64 v[129:130], v72 offset:560
	s_mov_b32 s4, exec_lo
	s_waitcnt vmcnt(59) lgkmcnt(14)
	v_mul_f32_e32 v191, v73, v131
	v_mul_f32_e32 v131, v74, v131
	s_waitcnt vmcnt(58)
	v_mul_f32_e32 v192, v75, v132
	v_mul_f32_e32 v132, v76, v132
	s_waitcnt vmcnt(57) lgkmcnt(13)
	v_mul_f32_e32 v193, v77, v133
	s_waitcnt vmcnt(56)
	v_mul_f32_e32 v194, v79, v134
	s_waitcnt vmcnt(55) lgkmcnt(12)
	v_mul_f32_e32 v195, v81, v135
	s_waitcnt vmcnt(54)
	;; [unrolled: 4-line block ×13, first 2 shown]
	v_fma_f32 v73, v73, v160, -v131
	v_fmac_f32_e32 v191, v74, v160
	v_mul_f32_e32 v74, v78, v133
	s_waitcnt vmcnt(29)
	v_fma_f32 v75, v75, v161, -v132
	v_fmac_f32_e32 v192, v76, v161
	v_add_f32_e32 v73, 0, v73
	v_add_f32_e32 v76, 0, v191
	v_mul_f32_e32 v131, v80, v134
	s_waitcnt vmcnt(28)
	v_fma_f32 v74, v77, v162, -v74
	v_fmac_f32_e32 v193, v78, v162
	v_add_f32_e32 v73, v73, v75
	v_add_f32_e32 v75, v76, v192
	v_mul_f32_e32 v76, v82, v135
	s_waitcnt vmcnt(27)
	v_fma_f32 v77, v79, v163, -v131
	v_fmac_f32_e32 v194, v80, v163
	v_add_f32_e32 v73, v73, v74
	v_add_f32_e32 v74, v75, v193
	v_mul_f32_e32 v75, v84, v136
	s_waitcnt vmcnt(26)
	v_fma_f32 v76, v81, v164, -v76
	v_fmac_f32_e32 v195, v82, v164
	v_add_f32_e32 v73, v73, v77
	v_add_f32_e32 v74, v74, v194
	v_mul_f32_e32 v77, v86, v137
	s_waitcnt vmcnt(25)
	v_fma_f32 v75, v83, v165, -v75
	v_fmac_f32_e32 v196, v84, v165
	v_add_f32_e32 v73, v73, v76
	v_add_f32_e32 v74, v74, v195
	v_mul_f32_e32 v76, v88, v138
	s_waitcnt vmcnt(24)
	v_fma_f32 v77, v85, v166, -v77
	v_fmac_f32_e32 v197, v86, v166
	v_add_f32_e32 v73, v73, v75
	v_add_f32_e32 v74, v74, v196
	v_mul_f32_e32 v75, v90, v139
	s_waitcnt vmcnt(23)
	v_fma_f32 v76, v87, v167, -v76
	v_fmac_f32_e32 v198, v88, v167
	v_add_f32_e32 v73, v73, v77
	v_add_f32_e32 v74, v74, v197
	v_mul_f32_e32 v77, v92, v140
	s_waitcnt vmcnt(22)
	v_fma_f32 v75, v89, v168, -v75
	v_fmac_f32_e32 v199, v90, v168
	v_add_f32_e32 v73, v73, v76
	v_add_f32_e32 v74, v74, v198
	v_mul_f32_e32 v76, v94, v141
	s_waitcnt vmcnt(21)
	v_fma_f32 v77, v91, v169, -v77
	v_fmac_f32_e32 v200, v92, v169
	v_add_f32_e32 v73, v73, v75
	v_add_f32_e32 v74, v74, v199
	v_mul_f32_e32 v75, v96, v142
	s_waitcnt vmcnt(20)
	v_fma_f32 v76, v93, v170, -v76
	v_fmac_f32_e32 v201, v94, v170
	v_add_f32_e32 v73, v73, v77
	v_add_f32_e32 v74, v74, v200
	v_mul_f32_e32 v77, v98, v143
	s_waitcnt vmcnt(19)
	v_fma_f32 v75, v95, v171, -v75
	v_fmac_f32_e32 v202, v96, v171
	v_add_f32_e32 v73, v73, v76
	v_add_f32_e32 v74, v74, v201
	v_mul_f32_e32 v76, v100, v144
	s_waitcnt vmcnt(18)
	v_fma_f32 v77, v97, v172, -v77
	v_fmac_f32_e32 v203, v98, v172
	v_add_f32_e32 v73, v73, v75
	v_add_f32_e32 v74, v74, v202
	v_mul_f32_e32 v75, v102, v145
	s_waitcnt vmcnt(17)
	v_fma_f32 v76, v99, v173, -v76
	v_fmac_f32_e32 v204, v100, v173
	v_add_f32_e32 v73, v73, v77
	v_add_f32_e32 v74, v74, v203
	v_mul_f32_e32 v77, v104, v146
	s_waitcnt vmcnt(16)
	v_fma_f32 v75, v101, v174, -v75
	v_fmac_f32_e32 v205, v102, v174
	v_add_f32_e32 v73, v73, v76
	v_add_f32_e32 v74, v74, v204
	v_mul_f32_e32 v76, v106, v147
	s_waitcnt vmcnt(15)
	v_fma_f32 v77, v103, v175, -v77
	v_fmac_f32_e32 v206, v104, v175
	v_add_f32_e32 v73, v73, v75
	v_add_f32_e32 v74, v74, v205
	v_mul_f32_e32 v75, v108, v148
	s_waitcnt vmcnt(14)
	v_fma_f32 v76, v105, v176, -v76
	v_fmac_f32_e32 v207, v106, v176
	v_add_f32_e32 v73, v73, v77
	v_add_f32_e32 v74, v74, v206
	v_mul_f32_e32 v77, v110, v149
	s_waitcnt vmcnt(13)
	v_fma_f32 v75, v107, v177, -v75
	v_fmac_f32_e32 v208, v108, v177
	v_add_f32_e32 v73, v73, v76
	v_add_f32_e32 v74, v74, v207
	v_mul_f32_e32 v76, v112, v150
	s_waitcnt vmcnt(12)
	v_fma_f32 v77, v109, v178, -v77
	v_fmac_f32_e32 v209, v110, v178
	v_add_f32_e32 v73, v73, v75
	v_add_f32_e32 v74, v74, v208
	v_mul_f32_e32 v75, v114, v151
	s_waitcnt vmcnt(11)
	v_fma_f32 v76, v111, v179, -v76
	v_fmac_f32_e32 v210, v112, v179
	v_add_f32_e32 v73, v73, v77
	v_add_f32_e32 v74, v74, v209
	v_mul_f32_e32 v77, v116, v152
	s_waitcnt vmcnt(10)
	v_fma_f32 v75, v113, v180, -v75
	v_fmac_f32_e32 v211, v114, v180
	v_add_f32_e32 v73, v73, v76
	v_add_f32_e32 v74, v74, v210
	v_mul_f32_e32 v76, v118, v153
	s_waitcnt vmcnt(9)
	v_fma_f32 v77, v115, v181, -v77
	v_fmac_f32_e32 v212, v116, v181
	v_add_f32_e32 v73, v73, v75
	v_add_f32_e32 v74, v74, v211
	v_mul_f32_e32 v75, v120, v154
	s_waitcnt vmcnt(8)
	v_fma_f32 v76, v117, v182, -v76
	v_fmac_f32_e32 v213, v118, v182
	v_add_f32_e32 v73, v73, v77
	v_add_f32_e32 v74, v74, v212
	v_mul_f32_e32 v77, v122, v155
	s_waitcnt vmcnt(7)
	v_fma_f32 v75, v119, v183, -v75
	v_fmac_f32_e32 v214, v120, v183
	v_add_f32_e32 v73, v73, v76
	v_add_f32_e32 v74, v74, v213
	v_mul_f32_e32 v76, v124, v156
	s_waitcnt vmcnt(6)
	v_fma_f32 v77, v121, v184, -v77
	v_fmac_f32_e32 v215, v122, v184
	v_add_f32_e32 v73, v73, v75
	v_add_f32_e32 v74, v74, v214
	v_mul_f32_e32 v75, v126, v157
	s_waitcnt vmcnt(5)
	v_fma_f32 v76, v123, v185, -v76
	v_fmac_f32_e32 v216, v124, v185
	v_add_f32_e32 v73, v73, v77
	v_add_f32_e32 v74, v74, v215
	v_mul_f32_e32 v77, v128, v158
	s_waitcnt vmcnt(4)
	v_fma_f32 v75, v125, v186, -v75
	v_mul_f32_e32 v218, v127, v158
	v_add_f32_e32 v73, v73, v76
	v_fmac_f32_e32 v217, v126, v186
	v_add_f32_e32 v74, v74, v216
	s_waitcnt lgkmcnt(0)
	v_mul_f32_e32 v76, v130, v159
	s_waitcnt vmcnt(3)
	v_fma_f32 v77, v127, v187, -v77
	v_add_f32_e32 v73, v73, v75
	v_mul_f32_e32 v219, v129, v159
	v_fmac_f32_e32 v218, v128, v187
	v_add_f32_e32 v74, v74, v217
	s_waitcnt vmcnt(2)
	v_fma_f32 v75, v129, v188, -v76
	v_add_f32_e32 v73, v73, v77
	v_fmac_f32_e32 v219, v130, v188
	v_add_f32_e32 v74, v74, v218
	v_add_f32_e32 v73, v73, v75
	;; [unrolled: 1-line block ×3, first 2 shown]
	s_waitcnt vmcnt(1)
	v_sub_f32_e32 v73, v189, v73
	s_waitcnt vmcnt(0)
	v_sub_f32_e32 v74, v190, v74
	buffer_store_dword v73, off, s[0:3], 0 offset:40
	buffer_store_dword v74, off, s[0:3], 0 offset:44
	v_cmpx_lt_u32_e32 4, v0
	s_cbranch_execz .LBB98_215
; %bb.214:
	s_clause 0x1
	buffer_load_dword v73, off, s[0:3], 0 offset:32
	buffer_load_dword v74, off, s[0:3], 0 offset:36
	buffer_store_dword v72, off, s[0:3], 0 offset:32
	buffer_store_dword v72, off, s[0:3], 0 offset:36
	s_waitcnt vmcnt(0)
	ds_write_b64 v71, v[73:74]
.LBB98_215:
	s_or_b32 exec_lo, exec_lo, s4
	s_waitcnt lgkmcnt(0)
	s_waitcnt_vscnt null, 0x0
	s_barrier
	buffer_gl0_inv
	s_clause 0x3d
	buffer_load_dword v133, off, s[0:3], 0 offset:44
	buffer_load_dword v134, off, s[0:3], 0 offset:52
	;; [unrolled: 1-line block ×62, first 2 shown]
	ds_read2_b64 v[73:76], v72 offset0:41 offset1:42
	ds_read2_b64 v[77:80], v72 offset0:43 offset1:44
	;; [unrolled: 1-line block ×15, first 2 shown]
	s_mov_b32 s4, exec_lo
	s_waitcnt vmcnt(61) lgkmcnt(14)
	v_mul_f32_e32 v72, v73, v133
	v_mul_f32_e32 v133, v74, v133
	s_waitcnt vmcnt(60)
	v_mul_f32_e32 v195, v75, v134
	v_mul_f32_e32 v134, v76, v134
	s_waitcnt vmcnt(59) lgkmcnt(13)
	v_mul_f32_e32 v196, v77, v135
	s_waitcnt vmcnt(58)
	v_mul_f32_e32 v197, v79, v136
	s_waitcnt vmcnt(57) lgkmcnt(12)
	v_mul_f32_e32 v198, v81, v137
	s_waitcnt vmcnt(56)
	;; [unrolled: 4-line block ×13, first 2 shown]
	v_mul_f32_e32 v221, v127, v160
	s_waitcnt vmcnt(31)
	v_fma_f32 v73, v73, v163, -v133
	v_fmac_f32_e32 v72, v74, v163
	v_mul_f32_e32 v74, v78, v135
	s_waitcnt vmcnt(30)
	v_fma_f32 v75, v75, v164, -v134
	v_fmac_f32_e32 v195, v76, v164
	v_add_f32_e32 v73, 0, v73
	v_add_f32_e32 v72, 0, v72
	v_mul_f32_e32 v76, v80, v136
	s_waitcnt vmcnt(29)
	v_fma_f32 v74, v77, v165, -v74
	v_fmac_f32_e32 v196, v78, v165
	v_add_f32_e32 v73, v73, v75
	v_add_f32_e32 v72, v72, v195
	;; [unrolled: 6-line block ×26, first 2 shown]
	s_waitcnt lgkmcnt(0)
	v_mul_f32_e32 v75, v130, v161
	s_waitcnt vmcnt(4)
	v_fma_f32 v76, v127, v190, -v76
	v_mul_f32_e32 v222, v129, v161
	v_add_f32_e32 v73, v73, v74
	v_fmac_f32_e32 v221, v128, v190
	v_add_f32_e32 v72, v72, v220
	v_mul_f32_e32 v74, v132, v162
	s_waitcnt vmcnt(3)
	v_fma_f32 v75, v129, v191, -v75
	v_add_f32_e32 v73, v73, v76
	v_mul_f32_e32 v223, v131, v162
	v_fmac_f32_e32 v222, v130, v191
	v_add_f32_e32 v72, v72, v221
	s_waitcnt vmcnt(2)
	v_fma_f32 v74, v131, v192, -v74
	v_add_f32_e32 v73, v73, v75
	v_fmac_f32_e32 v223, v132, v192
	v_add_f32_e32 v72, v72, v222
	v_add_f32_e32 v73, v73, v74
	;; [unrolled: 1-line block ×3, first 2 shown]
	s_waitcnt vmcnt(1)
	v_sub_f32_e32 v73, v193, v73
	s_waitcnt vmcnt(0)
	v_sub_f32_e32 v72, v194, v72
	buffer_store_dword v73, off, s[0:3], 0 offset:32
	buffer_store_dword v72, off, s[0:3], 0 offset:36
	v_cmpx_lt_u32_e32 3, v0
	s_cbranch_execz .LBB98_217
; %bb.216:
	s_clause 0x1
	buffer_load_dword v72, off, s[0:3], 0 offset:24
	buffer_load_dword v73, off, s[0:3], 0 offset:28
	v_mov_b32_e32 v74, 0
	buffer_store_dword v74, off, s[0:3], 0 offset:24
	buffer_store_dword v74, off, s[0:3], 0 offset:28
	s_waitcnt vmcnt(0)
	ds_write_b64 v71, v[72:73]
.LBB98_217:
	s_or_b32 exec_lo, exec_lo, s4
	s_waitcnt lgkmcnt(0)
	s_waitcnt_vscnt null, 0x0
	s_barrier
	buffer_gl0_inv
	s_clause 0x3e
	buffer_load_dword v135, off, s[0:3], 0 offset:36
	buffer_load_dword v136, off, s[0:3], 0 offset:44
	;; [unrolled: 1-line block ×64, first 2 shown]
	v_mov_b32_e32 v72, 0
	ds_read_b128 v[73:76], v72 offset:320
	ds_read_b128 v[77:80], v72 offset:336
	ds_read_b128 v[81:84], v72 offset:352
	ds_read_b128 v[85:88], v72 offset:368
	ds_read_b128 v[89:92], v72 offset:384
	ds_read_b128 v[93:96], v72 offset:400
	ds_read_b128 v[97:100], v72 offset:416
	ds_read_b128 v[101:104], v72 offset:432
	ds_read_b128 v[105:108], v72 offset:448
	ds_read_b128 v[109:112], v72 offset:464
	ds_read_b128 v[113:116], v72 offset:480
	ds_read_b128 v[117:120], v72 offset:496
	ds_read_b128 v[121:124], v72 offset:512
	ds_read_b128 v[125:128], v72 offset:528
	ds_read_b128 v[129:132], v72 offset:544
	ds_read_b64 v[133:134], v72 offset:560
	s_mov_b32 s4, exec_lo
	s_waitcnt vmcnt(62) lgkmcnt(15)
	v_mul_f32_e32 v199, v73, v135
	v_mul_f32_e32 v135, v74, v135
	;; [unrolled: 1-line block ×4, first 2 shown]
	s_waitcnt vmcnt(61) lgkmcnt(14)
	v_mul_f32_e32 v201, v77, v137
	s_waitcnt vmcnt(60)
	v_mul_f32_e32 v202, v79, v138
	s_waitcnt vmcnt(59) lgkmcnt(13)
	v_mul_f32_e32 v203, v81, v139
	s_waitcnt vmcnt(58)
	v_mul_f32_e32 v204, v83, v140
	;; [unrolled: 4-line block ×13, first 2 shown]
	s_waitcnt vmcnt(35) lgkmcnt(1)
	v_mul_f32_e32 v227, v129, v163
	s_waitcnt vmcnt(32)
	v_fma_f32 v73, v73, v166, -v135
	v_fmac_f32_e32 v199, v74, v166
	v_mul_f32_e32 v74, v78, v137
	s_waitcnt vmcnt(31)
	v_fma_f32 v75, v75, v167, -v136
	v_fmac_f32_e32 v200, v76, v167
	v_add_f32_e32 v73, 0, v73
	v_add_f32_e32 v76, 0, v199
	v_mul_f32_e32 v135, v80, v138
	s_waitcnt vmcnt(30)
	v_fma_f32 v74, v77, v168, -v74
	v_fmac_f32_e32 v201, v78, v168
	v_add_f32_e32 v73, v73, v75
	v_add_f32_e32 v75, v76, v200
	v_mul_f32_e32 v76, v82, v139
	s_waitcnt vmcnt(29)
	v_fma_f32 v77, v79, v169, -v135
	v_fmac_f32_e32 v202, v80, v169
	v_add_f32_e32 v73, v73, v74
	v_add_f32_e32 v74, v75, v201
	v_mul_f32_e32 v75, v84, v140
	s_waitcnt vmcnt(28)
	v_fma_f32 v76, v81, v170, -v76
	v_fmac_f32_e32 v203, v82, v170
	v_add_f32_e32 v73, v73, v77
	v_add_f32_e32 v74, v74, v202
	v_mul_f32_e32 v77, v86, v141
	s_waitcnt vmcnt(27)
	v_fma_f32 v75, v83, v171, -v75
	v_fmac_f32_e32 v204, v84, v171
	v_add_f32_e32 v73, v73, v76
	v_add_f32_e32 v74, v74, v203
	v_mul_f32_e32 v76, v88, v142
	s_waitcnt vmcnt(26)
	v_fma_f32 v77, v85, v172, -v77
	v_fmac_f32_e32 v205, v86, v172
	v_add_f32_e32 v73, v73, v75
	v_add_f32_e32 v74, v74, v204
	v_mul_f32_e32 v75, v90, v143
	s_waitcnt vmcnt(25)
	v_fma_f32 v76, v87, v173, -v76
	v_fmac_f32_e32 v206, v88, v173
	v_add_f32_e32 v73, v73, v77
	v_add_f32_e32 v74, v74, v205
	v_mul_f32_e32 v77, v92, v144
	s_waitcnt vmcnt(24)
	v_fma_f32 v75, v89, v174, -v75
	v_fmac_f32_e32 v207, v90, v174
	v_add_f32_e32 v73, v73, v76
	v_add_f32_e32 v74, v74, v206
	v_mul_f32_e32 v76, v94, v145
	s_waitcnt vmcnt(23)
	v_fma_f32 v77, v91, v175, -v77
	v_fmac_f32_e32 v208, v92, v175
	v_add_f32_e32 v73, v73, v75
	v_add_f32_e32 v74, v74, v207
	v_mul_f32_e32 v75, v96, v146
	s_waitcnt vmcnt(22)
	v_fma_f32 v76, v93, v176, -v76
	v_fmac_f32_e32 v209, v94, v176
	v_add_f32_e32 v73, v73, v77
	v_add_f32_e32 v74, v74, v208
	v_mul_f32_e32 v77, v98, v147
	s_waitcnt vmcnt(21)
	v_fma_f32 v75, v95, v177, -v75
	v_fmac_f32_e32 v210, v96, v177
	v_add_f32_e32 v73, v73, v76
	v_add_f32_e32 v74, v74, v209
	v_mul_f32_e32 v76, v100, v148
	s_waitcnt vmcnt(20)
	v_fma_f32 v77, v97, v178, -v77
	v_fmac_f32_e32 v211, v98, v178
	v_add_f32_e32 v73, v73, v75
	v_add_f32_e32 v74, v74, v210
	v_mul_f32_e32 v75, v102, v149
	s_waitcnt vmcnt(19)
	v_fma_f32 v76, v99, v179, -v76
	v_fmac_f32_e32 v212, v100, v179
	v_add_f32_e32 v73, v73, v77
	v_add_f32_e32 v74, v74, v211
	v_mul_f32_e32 v77, v104, v150
	s_waitcnt vmcnt(18)
	v_fma_f32 v75, v101, v180, -v75
	v_fmac_f32_e32 v213, v102, v180
	v_add_f32_e32 v73, v73, v76
	v_add_f32_e32 v74, v74, v212
	v_mul_f32_e32 v76, v106, v151
	s_waitcnt vmcnt(17)
	v_fma_f32 v77, v103, v181, -v77
	v_fmac_f32_e32 v214, v104, v181
	v_add_f32_e32 v73, v73, v75
	v_add_f32_e32 v74, v74, v213
	v_mul_f32_e32 v75, v108, v152
	s_waitcnt vmcnt(16)
	v_fma_f32 v76, v105, v182, -v76
	v_fmac_f32_e32 v215, v106, v182
	v_add_f32_e32 v73, v73, v77
	v_add_f32_e32 v74, v74, v214
	v_mul_f32_e32 v77, v110, v153
	s_waitcnt vmcnt(15)
	v_fma_f32 v75, v107, v183, -v75
	v_fmac_f32_e32 v216, v108, v183
	v_add_f32_e32 v73, v73, v76
	v_add_f32_e32 v74, v74, v215
	v_mul_f32_e32 v76, v112, v154
	s_waitcnt vmcnt(14)
	v_fma_f32 v77, v109, v184, -v77
	v_fmac_f32_e32 v217, v110, v184
	v_add_f32_e32 v73, v73, v75
	v_add_f32_e32 v74, v74, v216
	v_mul_f32_e32 v75, v114, v155
	s_waitcnt vmcnt(13)
	v_fma_f32 v76, v111, v185, -v76
	v_fmac_f32_e32 v218, v112, v185
	v_add_f32_e32 v73, v73, v77
	v_add_f32_e32 v74, v74, v217
	v_mul_f32_e32 v77, v116, v156
	s_waitcnt vmcnt(12)
	v_fma_f32 v75, v113, v186, -v75
	v_fmac_f32_e32 v219, v114, v186
	v_add_f32_e32 v73, v73, v76
	v_add_f32_e32 v74, v74, v218
	v_mul_f32_e32 v76, v118, v157
	s_waitcnt vmcnt(11)
	v_fma_f32 v77, v115, v187, -v77
	v_fmac_f32_e32 v220, v116, v187
	v_add_f32_e32 v73, v73, v75
	v_add_f32_e32 v74, v74, v219
	v_mul_f32_e32 v75, v120, v158
	s_waitcnt vmcnt(10)
	v_fma_f32 v76, v117, v188, -v76
	v_fmac_f32_e32 v221, v118, v188
	v_add_f32_e32 v73, v73, v77
	v_add_f32_e32 v74, v74, v220
	v_mul_f32_e32 v77, v122, v159
	s_waitcnt vmcnt(9)
	v_fma_f32 v75, v119, v189, -v75
	v_fmac_f32_e32 v222, v120, v189
	v_add_f32_e32 v73, v73, v76
	v_add_f32_e32 v74, v74, v221
	v_mul_f32_e32 v76, v124, v160
	s_waitcnt vmcnt(8)
	v_fma_f32 v77, v121, v190, -v77
	v_fmac_f32_e32 v223, v122, v190
	v_add_f32_e32 v73, v73, v75
	v_add_f32_e32 v74, v74, v222
	v_mul_f32_e32 v75, v126, v161
	s_waitcnt vmcnt(7)
	v_fma_f32 v76, v123, v191, -v76
	v_fmac_f32_e32 v224, v124, v191
	v_add_f32_e32 v73, v73, v77
	v_add_f32_e32 v74, v74, v223
	v_mul_f32_e32 v77, v128, v162
	s_waitcnt vmcnt(6)
	v_fma_f32 v75, v125, v192, -v75
	v_fmac_f32_e32 v225, v126, v192
	v_add_f32_e32 v73, v73, v76
	v_add_f32_e32 v74, v74, v224
	v_mul_f32_e32 v76, v130, v163
	s_waitcnt vmcnt(5)
	v_fma_f32 v77, v127, v193, -v77
	v_fmac_f32_e32 v226, v128, v193
	v_add_f32_e32 v73, v73, v75
	v_add_f32_e32 v74, v74, v225
	v_mul_f32_e32 v75, v132, v164
	s_waitcnt vmcnt(4)
	v_fma_f32 v76, v129, v194, -v76
	v_mul_f32_e32 v228, v131, v164
	v_add_f32_e32 v73, v73, v77
	v_fmac_f32_e32 v227, v130, v194
	v_add_f32_e32 v74, v74, v226
	s_waitcnt lgkmcnt(0)
	v_mul_f32_e32 v77, v134, v165
	s_waitcnt vmcnt(3)
	v_fma_f32 v75, v131, v195, -v75
	v_add_f32_e32 v73, v73, v76
	v_mul_f32_e32 v229, v133, v165
	v_fmac_f32_e32 v228, v132, v195
	v_add_f32_e32 v74, v74, v227
	s_waitcnt vmcnt(2)
	v_fma_f32 v76, v133, v196, -v77
	v_add_f32_e32 v73, v73, v75
	v_fmac_f32_e32 v229, v134, v196
	v_add_f32_e32 v74, v74, v228
	v_add_f32_e32 v73, v73, v76
	;; [unrolled: 1-line block ×3, first 2 shown]
	s_waitcnt vmcnt(1)
	v_sub_f32_e32 v73, v197, v73
	s_waitcnt vmcnt(0)
	v_sub_f32_e32 v74, v198, v74
	buffer_store_dword v73, off, s[0:3], 0 offset:24
	buffer_store_dword v74, off, s[0:3], 0 offset:28
	v_cmpx_lt_u32_e32 2, v0
	s_cbranch_execz .LBB98_219
; %bb.218:
	s_clause 0x1
	buffer_load_dword v73, off, s[0:3], 0 offset:16
	buffer_load_dword v74, off, s[0:3], 0 offset:20
	buffer_store_dword v72, off, s[0:3], 0 offset:16
	buffer_store_dword v72, off, s[0:3], 0 offset:20
	s_waitcnt vmcnt(0)
	ds_write_b64 v71, v[73:74]
.LBB98_219:
	s_or_b32 exec_lo, exec_lo, s4
	s_waitcnt lgkmcnt(0)
	s_waitcnt_vscnt null, 0x0
	s_barrier
	buffer_gl0_inv
	s_clause 0x3e
	buffer_load_dword v137, off, s[0:3], 0 offset:28
	buffer_load_dword v138, off, s[0:3], 0 offset:36
	;; [unrolled: 1-line block ×63, first 2 shown]
	s_clause 0x2
	buffer_load_dword v200, off, s[0:3], 0 offset:272
	buffer_load_dword v201, off, s[0:3], 0 offset:16
	;; [unrolled: 1-line block ×3, first 2 shown]
	ds_read2_b64 v[73:76], v72 offset0:39 offset1:40
	ds_read2_b64 v[77:80], v72 offset0:41 offset1:42
	;; [unrolled: 1-line block ×16, first 2 shown]
	s_mov_b32 s4, exec_lo
	s_waitcnt vmcnt(62) lgkmcnt(15)
	v_mul_f32_e32 v72, v73, v137
	v_mul_f32_e32 v137, v74, v137
	;; [unrolled: 1-line block ×4, first 2 shown]
	s_waitcnt lgkmcnt(14)
	v_mul_f32_e32 v204, v77, v139
	v_mul_f32_e32 v205, v79, v140
	s_waitcnt vmcnt(61) lgkmcnt(13)
	v_mul_f32_e32 v206, v81, v141
	s_waitcnt vmcnt(60)
	v_mul_f32_e32 v207, v83, v142
	s_waitcnt vmcnt(59) lgkmcnt(12)
	v_mul_f32_e32 v208, v85, v143
	s_waitcnt vmcnt(58)
	;; [unrolled: 4-line block ×13, first 2 shown]
	v_mul_f32_e32 v231, v131, v166
	s_waitcnt vmcnt(33)
	v_fma_f32 v73, v73, v169, -v137
	v_fmac_f32_e32 v72, v74, v169
	v_mul_f32_e32 v74, v78, v139
	s_waitcnt vmcnt(32)
	v_fma_f32 v75, v75, v170, -v138
	v_fmac_f32_e32 v203, v76, v170
	v_add_f32_e32 v73, 0, v73
	v_add_f32_e32 v72, 0, v72
	v_mul_f32_e32 v76, v80, v140
	s_waitcnt vmcnt(31)
	v_fma_f32 v74, v77, v171, -v74
	v_fmac_f32_e32 v204, v78, v171
	v_add_f32_e32 v73, v73, v75
	v_add_f32_e32 v72, v72, v203
	;; [unrolled: 6-line block ×28, first 2 shown]
	s_waitcnt lgkmcnt(0)
	v_mul_f32_e32 v76, v134, v167
	s_waitcnt vmcnt(4)
	v_fma_f32 v74, v131, v198, -v74
	v_mul_f32_e32 v232, v133, v167
	v_add_f32_e32 v73, v73, v75
	v_fmac_f32_e32 v231, v132, v198
	v_add_f32_e32 v72, v72, v230
	v_mul_f32_e32 v75, v136, v168
	s_waitcnt vmcnt(3)
	v_fma_f32 v76, v133, v199, -v76
	v_add_f32_e32 v73, v73, v74
	v_mul_f32_e32 v233, v135, v168
	v_fmac_f32_e32 v232, v134, v199
	v_add_f32_e32 v72, v72, v231
	s_waitcnt vmcnt(2)
	v_fma_f32 v74, v135, v200, -v75
	v_add_f32_e32 v73, v73, v76
	v_fmac_f32_e32 v233, v136, v200
	v_add_f32_e32 v72, v72, v232
	v_add_f32_e32 v73, v73, v74
	;; [unrolled: 1-line block ×3, first 2 shown]
	s_waitcnt vmcnt(1)
	v_sub_f32_e32 v73, v201, v73
	s_waitcnt vmcnt(0)
	v_sub_f32_e32 v72, v202, v72
	buffer_store_dword v73, off, s[0:3], 0 offset:16
	buffer_store_dword v72, off, s[0:3], 0 offset:20
	v_cmpx_lt_u32_e32 1, v0
	s_cbranch_execz .LBB98_221
; %bb.220:
	s_clause 0x1
	buffer_load_dword v72, off, s[0:3], 0 offset:8
	buffer_load_dword v73, off, s[0:3], 0 offset:12
	v_mov_b32_e32 v74, 0
	buffer_store_dword v74, off, s[0:3], 0 offset:8
	buffer_store_dword v74, off, s[0:3], 0 offset:12
	s_waitcnt vmcnt(0)
	ds_write_b64 v71, v[72:73]
.LBB98_221:
	s_or_b32 exec_lo, exec_lo, s4
	s_waitcnt lgkmcnt(0)
	s_waitcnt_vscnt null, 0x0
	s_barrier
	buffer_gl0_inv
	s_clause 0x3e
	buffer_load_dword v139, off, s[0:3], 0 offset:20
	buffer_load_dword v140, off, s[0:3], 0 offset:28
	;; [unrolled: 1-line block ×63, first 2 shown]
	s_clause 0x4
	buffer_load_dword v202, off, s[0:3], 0 offset:256
	buffer_load_dword v203, off, s[0:3], 0 offset:264
	buffer_load_dword v204, off, s[0:3], 0 offset:272
	buffer_load_dword v205, off, s[0:3], 0 offset:8
	buffer_load_dword v206, off, s[0:3], 0 offset:12
	v_mov_b32_e32 v72, 0
	ds_read_b128 v[73:76], v72 offset:304
	ds_read_b128 v[77:80], v72 offset:320
	;; [unrolled: 1-line block ×16, first 2 shown]
	ds_read_b64 v[137:138], v72 offset:560
	s_mov_b32 s4, exec_lo
	s_waitcnt vmcnt(62) lgkmcnt(16)
	v_mul_f32_e32 v207, v73, v139
	v_mul_f32_e32 v139, v74, v139
	;; [unrolled: 1-line block ×4, first 2 shown]
	s_waitcnt lgkmcnt(15)
	v_mul_f32_e32 v209, v77, v141
	v_mul_f32_e32 v210, v79, v142
	s_waitcnt lgkmcnt(14)
	v_mul_f32_e32 v211, v81, v143
	v_mul_f32_e32 v212, v83, v144
	s_waitcnt vmcnt(61) lgkmcnt(13)
	v_mul_f32_e32 v213, v85, v145
	s_waitcnt vmcnt(60)
	v_mul_f32_e32 v214, v87, v146
	s_waitcnt vmcnt(59) lgkmcnt(12)
	v_mul_f32_e32 v215, v89, v147
	s_waitcnt vmcnt(58)
	;; [unrolled: 4-line block ×13, first 2 shown]
	v_fma_f32 v73, v73, v172, -v139
	v_fmac_f32_e32 v207, v74, v172
	v_mul_f32_e32 v74, v78, v141
	s_waitcnt vmcnt(33)
	v_fma_f32 v75, v75, v173, -v140
	v_fmac_f32_e32 v208, v76, v173
	v_add_f32_e32 v73, 0, v73
	v_add_f32_e32 v76, 0, v207
	v_mul_f32_e32 v139, v80, v142
	s_waitcnt vmcnt(32)
	v_fma_f32 v74, v77, v174, -v74
	v_fmac_f32_e32 v209, v78, v174
	v_add_f32_e32 v73, v73, v75
	v_add_f32_e32 v75, v76, v208
	;; [unrolled: 6-line block ×29, first 2 shown]
	v_mul_f32_e32 v76, v136, v170
	s_waitcnt vmcnt(4)
	v_fma_f32 v77, v133, v202, -v77
	v_mul_f32_e32 v238, v135, v170
	v_add_f32_e32 v73, v73, v75
	v_fmac_f32_e32 v237, v134, v202
	v_add_f32_e32 v74, v74, v236
	s_waitcnt lgkmcnt(0)
	v_mul_f32_e32 v75, v138, v171
	s_waitcnt vmcnt(3)
	v_fma_f32 v76, v135, v203, -v76
	v_add_f32_e32 v73, v73, v77
	v_mul_f32_e32 v239, v137, v171
	v_fmac_f32_e32 v238, v136, v203
	v_add_f32_e32 v74, v74, v237
	s_waitcnt vmcnt(2)
	v_fma_f32 v75, v137, v204, -v75
	v_add_f32_e32 v73, v73, v76
	v_fmac_f32_e32 v239, v138, v204
	v_add_f32_e32 v74, v74, v238
	v_add_f32_e32 v73, v73, v75
	;; [unrolled: 1-line block ×3, first 2 shown]
	s_waitcnt vmcnt(1)
	v_sub_f32_e32 v73, v205, v73
	s_waitcnt vmcnt(0)
	v_sub_f32_e32 v74, v206, v74
	buffer_store_dword v73, off, s[0:3], 0 offset:8
	buffer_store_dword v74, off, s[0:3], 0 offset:12
	v_cmpx_ne_u32_e32 0, v0
	s_cbranch_execz .LBB98_223
; %bb.222:
	s_clause 0x1
	buffer_load_dword v73, off, s[0:3], 0
	buffer_load_dword v74, off, s[0:3], 0 offset:4
	buffer_store_dword v72, off, s[0:3], 0
	buffer_store_dword v72, off, s[0:3], 0 offset:4
	s_waitcnt vmcnt(0)
	ds_write_b64 v71, v[73:74]
.LBB98_223:
	s_or_b32 exec_lo, exec_lo, s4
	s_waitcnt lgkmcnt(0)
	s_waitcnt_vscnt null, 0x0
	s_barrier
	buffer_gl0_inv
	s_clause 0x3e
	buffer_load_dword v0, off, s[0:3], 0 offset:12
	buffer_load_dword v71, off, s[0:3], 0 offset:20
	buffer_load_dword v141, off, s[0:3], 0 offset:28
	buffer_load_dword v142, off, s[0:3], 0 offset:36
	buffer_load_dword v143, off, s[0:3], 0 offset:44
	buffer_load_dword v144, off, s[0:3], 0 offset:52
	buffer_load_dword v145, off, s[0:3], 0 offset:60
	buffer_load_dword v146, off, s[0:3], 0 offset:68
	buffer_load_dword v147, off, s[0:3], 0 offset:76
	buffer_load_dword v148, off, s[0:3], 0 offset:84
	buffer_load_dword v149, off, s[0:3], 0 offset:92
	buffer_load_dword v150, off, s[0:3], 0 offset:100
	buffer_load_dword v151, off, s[0:3], 0 offset:108
	buffer_load_dword v152, off, s[0:3], 0 offset:116
	buffer_load_dword v153, off, s[0:3], 0 offset:124
	buffer_load_dword v154, off, s[0:3], 0 offset:132
	buffer_load_dword v155, off, s[0:3], 0 offset:140
	buffer_load_dword v156, off, s[0:3], 0 offset:148
	buffer_load_dword v157, off, s[0:3], 0 offset:156
	buffer_load_dword v158, off, s[0:3], 0 offset:164
	buffer_load_dword v159, off, s[0:3], 0 offset:172
	buffer_load_dword v160, off, s[0:3], 0 offset:180
	buffer_load_dword v161, off, s[0:3], 0 offset:188
	buffer_load_dword v162, off, s[0:3], 0 offset:196
	buffer_load_dword v163, off, s[0:3], 0 offset:204
	buffer_load_dword v164, off, s[0:3], 0 offset:212
	buffer_load_dword v165, off, s[0:3], 0 offset:220
	buffer_load_dword v166, off, s[0:3], 0 offset:228
	buffer_load_dword v167, off, s[0:3], 0 offset:236
	buffer_load_dword v168, off, s[0:3], 0 offset:244
	buffer_load_dword v169, off, s[0:3], 0 offset:252
	buffer_load_dword v170, off, s[0:3], 0 offset:260
	buffer_load_dword v171, off, s[0:3], 0 offset:268
	buffer_load_dword v172, off, s[0:3], 0 offset:276
	buffer_load_dword v173, off, s[0:3], 0 offset:8
	buffer_load_dword v174, off, s[0:3], 0 offset:16
	buffer_load_dword v175, off, s[0:3], 0 offset:24
	buffer_load_dword v176, off, s[0:3], 0 offset:32
	buffer_load_dword v177, off, s[0:3], 0 offset:40
	buffer_load_dword v178, off, s[0:3], 0 offset:48
	buffer_load_dword v179, off, s[0:3], 0 offset:56
	buffer_load_dword v180, off, s[0:3], 0 offset:64
	buffer_load_dword v181, off, s[0:3], 0 offset:72
	buffer_load_dword v182, off, s[0:3], 0 offset:80
	buffer_load_dword v183, off, s[0:3], 0 offset:88
	buffer_load_dword v184, off, s[0:3], 0 offset:96
	buffer_load_dword v185, off, s[0:3], 0 offset:104
	buffer_load_dword v186, off, s[0:3], 0 offset:112
	buffer_load_dword v187, off, s[0:3], 0 offset:120
	buffer_load_dword v188, off, s[0:3], 0 offset:128
	buffer_load_dword v189, off, s[0:3], 0 offset:136
	buffer_load_dword v190, off, s[0:3], 0 offset:144
	buffer_load_dword v191, off, s[0:3], 0 offset:152
	buffer_load_dword v192, off, s[0:3], 0 offset:160
	buffer_load_dword v193, off, s[0:3], 0 offset:168
	buffer_load_dword v194, off, s[0:3], 0 offset:176
	buffer_load_dword v195, off, s[0:3], 0 offset:184
	buffer_load_dword v196, off, s[0:3], 0 offset:192
	buffer_load_dword v197, off, s[0:3], 0 offset:200
	buffer_load_dword v198, off, s[0:3], 0 offset:208
	buffer_load_dword v199, off, s[0:3], 0 offset:216
	buffer_load_dword v200, off, s[0:3], 0 offset:224
	buffer_load_dword v201, off, s[0:3], 0 offset:232
	s_clause 0x6
	buffer_load_dword v202, off, s[0:3], 0 offset:240
	buffer_load_dword v203, off, s[0:3], 0 offset:248
	;; [unrolled: 1-line block ×5, first 2 shown]
	buffer_load_dword v207, off, s[0:3], 0
	buffer_load_dword v208, off, s[0:3], 0 offset:4
	ds_read2_b64 v[73:76], v72 offset0:37 offset1:38
	ds_read2_b64 v[77:80], v72 offset0:39 offset1:40
	;; [unrolled: 1-line block ×17, first 2 shown]
	s_and_b32 vcc_lo, exec_lo, s16
	s_waitcnt vmcnt(62) lgkmcnt(16)
	v_mul_f32_e32 v72, v73, v0
	v_mul_f32_e32 v0, v74, v0
	;; [unrolled: 1-line block ×4, first 2 shown]
	s_waitcnt lgkmcnt(15)
	v_mul_f32_e32 v210, v77, v141
	v_mul_f32_e32 v211, v79, v142
	s_waitcnt lgkmcnt(14)
	v_mul_f32_e32 v212, v81, v143
	v_mul_f32_e32 v213, v83, v144
	;; [unrolled: 3-line block ×3, first 2 shown]
	s_waitcnt vmcnt(61) lgkmcnt(12)
	v_mul_f32_e32 v216, v89, v147
	s_waitcnt vmcnt(60)
	v_mul_f32_e32 v217, v91, v148
	s_waitcnt vmcnt(59) lgkmcnt(11)
	v_mul_f32_e32 v218, v93, v149
	s_waitcnt vmcnt(58)
	v_mul_f32_e32 v219, v95, v150
	;; [unrolled: 4-line block ×12, first 2 shown]
	s_waitcnt vmcnt(35)
	v_fma_f32 v0, v73, v173, -v0
	v_fmac_f32_e32 v72, v74, v173
	v_mul_f32_e32 v73, v78, v141
	s_waitcnt vmcnt(34)
	v_fma_f32 v71, v75, v174, -v71
	v_fmac_f32_e32 v209, v76, v174
	v_add_f32_e32 v0, 0, v0
	v_add_f32_e32 v72, 0, v72
	v_mul_f32_e32 v74, v80, v142
	s_waitcnt vmcnt(33)
	v_fma_f32 v73, v77, v175, -v73
	v_fmac_f32_e32 v210, v78, v175
	v_add_f32_e32 v0, v0, v71
	v_add_f32_e32 v71, v72, v209
	;; [unrolled: 6-line block ×30, first 2 shown]
	s_waitcnt lgkmcnt(0)
	v_mul_f32_e32 v73, v138, v171
	s_waitcnt vmcnt(4)
	v_fma_f32 v72, v135, v204, -v72
	v_mul_f32_e32 v240, v137, v171
	v_add_f32_e32 v0, v0, v74
	v_fmac_f32_e32 v239, v136, v204
	v_add_f32_e32 v71, v71, v238
	v_mul_f32_e32 v74, v140, v172
	s_waitcnt vmcnt(3)
	v_fma_f32 v73, v137, v205, -v73
	v_add_f32_e32 v0, v0, v72
	v_mul_f32_e32 v241, v139, v172
	v_fmac_f32_e32 v240, v138, v205
	v_add_f32_e32 v71, v71, v239
	s_waitcnt vmcnt(2)
	v_fma_f32 v72, v139, v206, -v74
	v_add_f32_e32 v0, v0, v73
	v_fmac_f32_e32 v241, v140, v206
	v_add_f32_e32 v71, v71, v240
	v_add_f32_e32 v0, v0, v72
	;; [unrolled: 1-line block ×3, first 2 shown]
	s_waitcnt vmcnt(1)
	v_sub_f32_e32 v0, v207, v0
	s_waitcnt vmcnt(0)
	v_sub_f32_e32 v71, v208, v71
	buffer_store_dword v0, off, s[0:3], 0
	buffer_store_dword v71, off, s[0:3], 0 offset:4
	s_cbranch_vccz .LBB98_292
; %bb.224:
	v_mov_b32_e32 v0, 0
	global_load_dword v71, v0, s[12:13] offset:132
	s_waitcnt vmcnt(0)
	v_add_nc_u32_e32 v71, -1, v71
	v_cmp_ne_u32_e32 vcc_lo, 33, v71
	s_cbranch_vccz .LBB98_226
; %bb.225:
	v_lshlrev_b32_e32 v71, 3, v71
	s_clause 0x3
	buffer_load_dword v72, v71, s[0:3], 0 offen
	buffer_load_dword v73, v71, s[0:3], 0 offen offset:4
	buffer_load_dword v74, off, s[0:3], 0 offset:264
	buffer_load_dword v75, off, s[0:3], 0 offset:268
	s_waitcnt vmcnt(3)
	buffer_store_dword v72, off, s[0:3], 0 offset:264
	s_waitcnt vmcnt(2)
	buffer_store_dword v73, off, s[0:3], 0 offset:268
	s_waitcnt vmcnt(1)
	buffer_store_dword v74, v71, s[0:3], 0 offen
	s_waitcnt vmcnt(0)
	buffer_store_dword v75, v71, s[0:3], 0 offen offset:4
.LBB98_226:
	global_load_dword v0, v0, s[12:13] offset:128
	s_waitcnt vmcnt(0)
	v_add_nc_u32_e32 v0, -1, v0
	v_cmp_eq_u32_e32 vcc_lo, 32, v0
	s_cbranch_vccnz .LBB98_228
; %bb.227:
	v_lshlrev_b32_e32 v0, 3, v0
	s_clause 0x3
	buffer_load_dword v71, v0, s[0:3], 0 offen
	buffer_load_dword v72, v0, s[0:3], 0 offen offset:4
	buffer_load_dword v73, off, s[0:3], 0 offset:260
	buffer_load_dword v74, off, s[0:3], 0 offset:256
	s_waitcnt vmcnt(3)
	buffer_store_dword v71, off, s[0:3], 0 offset:256
	s_waitcnt vmcnt(2)
	buffer_store_dword v72, off, s[0:3], 0 offset:260
	s_waitcnt vmcnt(1)
	buffer_store_dword v73, v0, s[0:3], 0 offen offset:4
	s_waitcnt vmcnt(0)
	buffer_store_dword v74, v0, s[0:3], 0 offen
.LBB98_228:
	v_mov_b32_e32 v0, 0
	global_load_dword v71, v0, s[12:13] offset:124
	s_waitcnt vmcnt(0)
	v_add_nc_u32_e32 v71, -1, v71
	v_cmp_eq_u32_e32 vcc_lo, 31, v71
	s_cbranch_vccnz .LBB98_230
; %bb.229:
	v_lshlrev_b32_e32 v71, 3, v71
	s_clause 0x3
	buffer_load_dword v72, v71, s[0:3], 0 offen
	buffer_load_dword v73, v71, s[0:3], 0 offen offset:4
	buffer_load_dword v74, off, s[0:3], 0 offset:248
	buffer_load_dword v75, off, s[0:3], 0 offset:252
	s_waitcnt vmcnt(3)
	buffer_store_dword v72, off, s[0:3], 0 offset:248
	s_waitcnt vmcnt(2)
	buffer_store_dword v73, off, s[0:3], 0 offset:252
	s_waitcnt vmcnt(1)
	buffer_store_dword v74, v71, s[0:3], 0 offen
	s_waitcnt vmcnt(0)
	buffer_store_dword v75, v71, s[0:3], 0 offen offset:4
.LBB98_230:
	global_load_dword v0, v0, s[12:13] offset:120
	s_waitcnt vmcnt(0)
	v_add_nc_u32_e32 v0, -1, v0
	v_cmp_eq_u32_e32 vcc_lo, 30, v0
	s_cbranch_vccnz .LBB98_232
; %bb.231:
	v_lshlrev_b32_e32 v0, 3, v0
	s_clause 0x3
	buffer_load_dword v71, v0, s[0:3], 0 offen
	buffer_load_dword v72, v0, s[0:3], 0 offen offset:4
	buffer_load_dword v73, off, s[0:3], 0 offset:244
	buffer_load_dword v74, off, s[0:3], 0 offset:240
	s_waitcnt vmcnt(3)
	buffer_store_dword v71, off, s[0:3], 0 offset:240
	s_waitcnt vmcnt(2)
	buffer_store_dword v72, off, s[0:3], 0 offset:244
	s_waitcnt vmcnt(1)
	buffer_store_dword v73, v0, s[0:3], 0 offen offset:4
	s_waitcnt vmcnt(0)
	buffer_store_dword v74, v0, s[0:3], 0 offen
.LBB98_232:
	v_mov_b32_e32 v0, 0
	global_load_dword v71, v0, s[12:13] offset:116
	s_waitcnt vmcnt(0)
	v_add_nc_u32_e32 v71, -1, v71
	v_cmp_eq_u32_e32 vcc_lo, 29, v71
	s_cbranch_vccnz .LBB98_234
; %bb.233:
	v_lshlrev_b32_e32 v71, 3, v71
	s_clause 0x3
	buffer_load_dword v72, v71, s[0:3], 0 offen
	buffer_load_dword v73, v71, s[0:3], 0 offen offset:4
	buffer_load_dword v74, off, s[0:3], 0 offset:232
	buffer_load_dword v75, off, s[0:3], 0 offset:236
	s_waitcnt vmcnt(3)
	buffer_store_dword v72, off, s[0:3], 0 offset:232
	s_waitcnt vmcnt(2)
	buffer_store_dword v73, off, s[0:3], 0 offset:236
	s_waitcnt vmcnt(1)
	buffer_store_dword v74, v71, s[0:3], 0 offen
	s_waitcnt vmcnt(0)
	buffer_store_dword v75, v71, s[0:3], 0 offen offset:4
.LBB98_234:
	;; [unrolled: 43-line block ×16, first 2 shown]
	global_load_dword v0, v0, s[12:13]
	s_waitcnt vmcnt(0)
	v_add_nc_u32_e32 v0, -1, v0
	v_cmp_eq_u32_e32 vcc_lo, 0, v0
	s_cbranch_vccnz .LBB98_292
; %bb.291:
	v_lshlrev_b32_e32 v0, 3, v0
	s_clause 0x3
	buffer_load_dword v71, v0, s[0:3], 0 offen
	buffer_load_dword v72, v0, s[0:3], 0 offen offset:4
	buffer_load_dword v73, off, s[0:3], 0 offset:4
	buffer_load_dword v74, off, s[0:3], 0
	s_waitcnt vmcnt(3)
	buffer_store_dword v71, off, s[0:3], 0
	s_waitcnt vmcnt(2)
	buffer_store_dword v72, off, s[0:3], 0 offset:4
	s_waitcnt vmcnt(1)
	buffer_store_dword v73, v0, s[0:3], 0 offen offset:4
	s_waitcnt vmcnt(0)
	buffer_store_dword v74, v0, s[0:3], 0 offen
.LBB98_292:
	s_clause 0x1
	buffer_load_dword v71, off, s[0:3], 0
	buffer_load_dword v72, off, s[0:3], 0 offset:4
	s_waitcnt vmcnt(0)
	flat_store_dwordx2 v[1:2], v[71:72]
	s_clause 0x1
	buffer_load_dword v0, off, s[0:3], 0 offset:8
	buffer_load_dword v1, off, s[0:3], 0 offset:12
	s_waitcnt vmcnt(0)
	flat_store_dwordx2 v[3:4], v[0:1]
	s_clause 0x1
	buffer_load_dword v0, off, s[0:3], 0 offset:16
	;; [unrolled: 5-line block ×34, first 2 shown]
	buffer_load_dword v1, off, s[0:3], 0 offset:276
	s_waitcnt vmcnt(0)
	flat_store_dwordx2 v[69:70], v[0:1]
	s_endpgm
	.section	.rodata,"a",@progbits
	.p2align	6, 0x0
	.amdhsa_kernel _ZN9rocsolver6v33100L18getri_kernel_smallILi35E19rocblas_complex_numIfEPKPS3_EEvT1_iilPiilS8_bb
		.amdhsa_group_segment_fixed_size 568
		.amdhsa_private_segment_fixed_size 288
		.amdhsa_kernarg_size 60
		.amdhsa_user_sgpr_count 6
		.amdhsa_user_sgpr_private_segment_buffer 1
		.amdhsa_user_sgpr_dispatch_ptr 0
		.amdhsa_user_sgpr_queue_ptr 0
		.amdhsa_user_sgpr_kernarg_segment_ptr 1
		.amdhsa_user_sgpr_dispatch_id 0
		.amdhsa_user_sgpr_flat_scratch_init 0
		.amdhsa_user_sgpr_private_segment_size 0
		.amdhsa_wavefront_size32 1
		.amdhsa_uses_dynamic_stack 0
		.amdhsa_system_sgpr_private_segment_wavefront_offset 1
		.amdhsa_system_sgpr_workgroup_id_x 1
		.amdhsa_system_sgpr_workgroup_id_y 0
		.amdhsa_system_sgpr_workgroup_id_z 0
		.amdhsa_system_sgpr_workgroup_info 0
		.amdhsa_system_vgpr_workitem_id 0
		.amdhsa_next_free_vgpr 242
		.amdhsa_next_free_sgpr 20
		.amdhsa_reserve_vcc 1
		.amdhsa_reserve_flat_scratch 0
		.amdhsa_float_round_mode_32 0
		.amdhsa_float_round_mode_16_64 0
		.amdhsa_float_denorm_mode_32 3
		.amdhsa_float_denorm_mode_16_64 3
		.amdhsa_dx10_clamp 1
		.amdhsa_ieee_mode 1
		.amdhsa_fp16_overflow 0
		.amdhsa_workgroup_processor_mode 1
		.amdhsa_memory_ordered 1
		.amdhsa_forward_progress 1
		.amdhsa_shared_vgpr_count 0
		.amdhsa_exception_fp_ieee_invalid_op 0
		.amdhsa_exception_fp_denorm_src 0
		.amdhsa_exception_fp_ieee_div_zero 0
		.amdhsa_exception_fp_ieee_overflow 0
		.amdhsa_exception_fp_ieee_underflow 0
		.amdhsa_exception_fp_ieee_inexact 0
		.amdhsa_exception_int_div_zero 0
	.end_amdhsa_kernel
	.section	.text._ZN9rocsolver6v33100L18getri_kernel_smallILi35E19rocblas_complex_numIfEPKPS3_EEvT1_iilPiilS8_bb,"axG",@progbits,_ZN9rocsolver6v33100L18getri_kernel_smallILi35E19rocblas_complex_numIfEPKPS3_EEvT1_iilPiilS8_bb,comdat
.Lfunc_end98:
	.size	_ZN9rocsolver6v33100L18getri_kernel_smallILi35E19rocblas_complex_numIfEPKPS3_EEvT1_iilPiilS8_bb, .Lfunc_end98-_ZN9rocsolver6v33100L18getri_kernel_smallILi35E19rocblas_complex_numIfEPKPS3_EEvT1_iilPiilS8_bb
                                        ; -- End function
	.set _ZN9rocsolver6v33100L18getri_kernel_smallILi35E19rocblas_complex_numIfEPKPS3_EEvT1_iilPiilS8_bb.num_vgpr, 242
	.set _ZN9rocsolver6v33100L18getri_kernel_smallILi35E19rocblas_complex_numIfEPKPS3_EEvT1_iilPiilS8_bb.num_agpr, 0
	.set _ZN9rocsolver6v33100L18getri_kernel_smallILi35E19rocblas_complex_numIfEPKPS3_EEvT1_iilPiilS8_bb.numbered_sgpr, 20
	.set _ZN9rocsolver6v33100L18getri_kernel_smallILi35E19rocblas_complex_numIfEPKPS3_EEvT1_iilPiilS8_bb.num_named_barrier, 0
	.set _ZN9rocsolver6v33100L18getri_kernel_smallILi35E19rocblas_complex_numIfEPKPS3_EEvT1_iilPiilS8_bb.private_seg_size, 288
	.set _ZN9rocsolver6v33100L18getri_kernel_smallILi35E19rocblas_complex_numIfEPKPS3_EEvT1_iilPiilS8_bb.uses_vcc, 1
	.set _ZN9rocsolver6v33100L18getri_kernel_smallILi35E19rocblas_complex_numIfEPKPS3_EEvT1_iilPiilS8_bb.uses_flat_scratch, 0
	.set _ZN9rocsolver6v33100L18getri_kernel_smallILi35E19rocblas_complex_numIfEPKPS3_EEvT1_iilPiilS8_bb.has_dyn_sized_stack, 0
	.set _ZN9rocsolver6v33100L18getri_kernel_smallILi35E19rocblas_complex_numIfEPKPS3_EEvT1_iilPiilS8_bb.has_recursion, 0
	.set _ZN9rocsolver6v33100L18getri_kernel_smallILi35E19rocblas_complex_numIfEPKPS3_EEvT1_iilPiilS8_bb.has_indirect_call, 0
	.section	.AMDGPU.csdata,"",@progbits
; Kernel info:
; codeLenInByte = 54820
; TotalNumSgprs: 22
; NumVgprs: 242
; ScratchSize: 288
; MemoryBound: 0
; FloatMode: 240
; IeeeMode: 1
; LDSByteSize: 568 bytes/workgroup (compile time only)
; SGPRBlocks: 0
; VGPRBlocks: 30
; NumSGPRsForWavesPerEU: 22
; NumVGPRsForWavesPerEU: 242
; Occupancy: 4
; WaveLimiterHint : 1
; COMPUTE_PGM_RSRC2:SCRATCH_EN: 1
; COMPUTE_PGM_RSRC2:USER_SGPR: 6
; COMPUTE_PGM_RSRC2:TRAP_HANDLER: 0
; COMPUTE_PGM_RSRC2:TGID_X_EN: 1
; COMPUTE_PGM_RSRC2:TGID_Y_EN: 0
; COMPUTE_PGM_RSRC2:TGID_Z_EN: 0
; COMPUTE_PGM_RSRC2:TIDIG_COMP_CNT: 0
	.section	.text._ZN9rocsolver6v33100L18getri_kernel_smallILi36E19rocblas_complex_numIfEPKPS3_EEvT1_iilPiilS8_bb,"axG",@progbits,_ZN9rocsolver6v33100L18getri_kernel_smallILi36E19rocblas_complex_numIfEPKPS3_EEvT1_iilPiilS8_bb,comdat
	.globl	_ZN9rocsolver6v33100L18getri_kernel_smallILi36E19rocblas_complex_numIfEPKPS3_EEvT1_iilPiilS8_bb ; -- Begin function _ZN9rocsolver6v33100L18getri_kernel_smallILi36E19rocblas_complex_numIfEPKPS3_EEvT1_iilPiilS8_bb
	.p2align	8
	.type	_ZN9rocsolver6v33100L18getri_kernel_smallILi36E19rocblas_complex_numIfEPKPS3_EEvT1_iilPiilS8_bb,@function
_ZN9rocsolver6v33100L18getri_kernel_smallILi36E19rocblas_complex_numIfEPKPS3_EEvT1_iilPiilS8_bb: ; @_ZN9rocsolver6v33100L18getri_kernel_smallILi36E19rocblas_complex_numIfEPKPS3_EEvT1_iilPiilS8_bb
; %bb.0:
	s_add_u32 s0, s0, s7
	s_addc_u32 s1, s1, 0
	s_mov_b32 s7, exec_lo
	v_cmpx_gt_u32_e32 36, v0
	s_cbranch_execz .LBB99_158
; %bb.1:
	s_clause 0x2
	s_load_dword s17, s[4:5], 0x38
	s_load_dwordx2 s[12:13], s[4:5], 0x0
	s_load_dwordx4 s[8:11], s[4:5], 0x28
	s_waitcnt lgkmcnt(0)
	s_bitcmp1_b32 s17, 8
	s_cselect_b32 s16, -1, 0
	s_ashr_i32 s7, s6, 31
	s_lshl_b64 s[14:15], s[6:7], 3
	s_add_u32 s12, s12, s14
	s_addc_u32 s13, s13, s15
	s_load_dwordx2 s[14:15], s[12:13], 0x0
	s_bfe_u32 s12, s17, 0x10008
	s_cmp_eq_u32 s12, 0
                                        ; implicit-def: $sgpr12_sgpr13
	s_cbranch_scc1 .LBB99_3
; %bb.2:
	s_clause 0x1
	s_load_dword s12, s[4:5], 0x20
	s_load_dwordx2 s[18:19], s[4:5], 0x18
	s_mul_i32 s13, s8, s7
	s_mul_hi_u32 s17, s8, s6
	s_mul_i32 s9, s9, s6
	s_add_i32 s13, s17, s13
	s_mul_i32 s8, s8, s6
	s_add_i32 s9, s13, s9
	s_lshl_b64 s[8:9], s[8:9], 2
	s_waitcnt lgkmcnt(0)
	s_ashr_i32 s13, s12, 31
	s_add_u32 s17, s18, s8
	s_addc_u32 s18, s19, s9
	s_lshl_b64 s[8:9], s[12:13], 2
	s_add_u32 s12, s17, s8
	s_addc_u32 s13, s18, s9
.LBB99_3:
	s_clause 0x1
	s_load_dwordx2 s[8:9], s[4:5], 0x8
	s_load_dword s17, s[4:5], 0x38
	v_lshlrev_b32_e32 v75, 3, v0
	s_waitcnt lgkmcnt(0)
	s_ashr_i32 s5, s8, 31
	s_mov_b32 s4, s8
	v_add3_u32 v9, s9, s9, v0
	s_lshl_b64 s[4:5], s[4:5], 3
	s_add_u32 s4, s14, s4
	s_addc_u32 s5, s15, s5
	v_add_co_u32 v1, s8, s4, v75
	v_add_co_ci_u32_e64 v2, null, s5, 0, s8
	s_mov_b32 s14, s9
	s_ashr_i32 s15, s9, 31
	v_ashrrev_i32_e32 v10, 31, v9
	flat_load_dwordx2 v[5:6], v[1:2]
	s_lshl_b64 s[14:15], s[14:15], 3
	v_add_nc_u32_e32 v12, s9, v9
	v_add_co_u32 v3, vcc_lo, v1, s14
	v_add_co_ci_u32_e64 v4, null, s15, v2, vcc_lo
	v_ashrrev_i32_e32 v13, 31, v12
	s_bitcmp0_b32 s17, 0
	s_waitcnt vmcnt(0) lgkmcnt(0)
	buffer_store_dword v6, off, s[0:3], 0 offset:4
	buffer_store_dword v5, off, s[0:3], 0
	flat_load_dwordx2 v[7:8], v[3:4]
	v_lshlrev_b64 v[5:6], 3, v[9:10]
	s_waitcnt vmcnt(0) lgkmcnt(0)
	buffer_store_dword v8, off, s[0:3], 0 offset:12
	buffer_store_dword v7, off, s[0:3], 0 offset:8
	v_add_co_u32 v5, vcc_lo, s4, v5
	v_add_co_ci_u32_e64 v6, null, s5, v6, vcc_lo
	v_lshlrev_b64 v[7:8], 3, v[12:13]
	flat_load_dwordx2 v[10:11], v[5:6]
	s_waitcnt vmcnt(0) lgkmcnt(0)
	buffer_store_dword v11, off, s[0:3], 0 offset:20
	buffer_store_dword v10, off, s[0:3], 0 offset:16
	v_add_co_u32 v7, vcc_lo, s4, v7
	v_add_co_ci_u32_e64 v8, null, s5, v8, vcc_lo
	v_add_nc_u32_e32 v11, s9, v12
	flat_load_dwordx2 v[13:14], v[7:8]
	s_waitcnt vmcnt(0) lgkmcnt(0)
	buffer_store_dword v14, off, s[0:3], 0 offset:28
	buffer_store_dword v13, off, s[0:3], 0 offset:24
	v_ashrrev_i32_e32 v12, 31, v11
	v_add_nc_u32_e32 v15, s9, v11
	v_lshlrev_b64 v[9:10], 3, v[11:12]
	v_ashrrev_i32_e32 v16, 31, v15
	v_add_nc_u32_e32 v18, s9, v15
	v_add_co_u32 v9, vcc_lo, s4, v9
	v_add_co_ci_u32_e64 v10, null, s5, v10, vcc_lo
	v_lshlrev_b64 v[11:12], 3, v[15:16]
	v_ashrrev_i32_e32 v19, 31, v18
	flat_load_dwordx2 v[13:14], v[9:10]
	s_waitcnt vmcnt(0) lgkmcnt(0)
	buffer_store_dword v14, off, s[0:3], 0 offset:36
	buffer_store_dword v13, off, s[0:3], 0 offset:32
	v_add_co_u32 v11, vcc_lo, s4, v11
	v_add_co_ci_u32_e64 v12, null, s5, v12, vcc_lo
	v_lshlrev_b64 v[13:14], 3, v[18:19]
	flat_load_dwordx2 v[16:17], v[11:12]
	s_waitcnt vmcnt(0) lgkmcnt(0)
	buffer_store_dword v17, off, s[0:3], 0 offset:44
	buffer_store_dword v16, off, s[0:3], 0 offset:40
	v_add_co_u32 v13, vcc_lo, s4, v13
	v_add_co_ci_u32_e64 v14, null, s5, v14, vcc_lo
	v_add_nc_u32_e32 v17, s9, v18
	flat_load_dwordx2 v[19:20], v[13:14]
	s_waitcnt vmcnt(0) lgkmcnt(0)
	buffer_store_dword v20, off, s[0:3], 0 offset:52
	buffer_store_dword v19, off, s[0:3], 0 offset:48
	v_ashrrev_i32_e32 v18, 31, v17
	v_add_nc_u32_e32 v21, s9, v17
	v_lshlrev_b64 v[15:16], 3, v[17:18]
	v_ashrrev_i32_e32 v22, 31, v21
	v_add_nc_u32_e32 v24, s9, v21
	v_add_co_u32 v15, vcc_lo, s4, v15
	v_add_co_ci_u32_e64 v16, null, s5, v16, vcc_lo
	v_lshlrev_b64 v[17:18], 3, v[21:22]
	v_ashrrev_i32_e32 v25, 31, v24
	flat_load_dwordx2 v[19:20], v[15:16]
	;; [unrolled: 27-line block ×10, first 2 shown]
	s_waitcnt vmcnt(0) lgkmcnt(0)
	buffer_store_dword v68, off, s[0:3], 0 offset:252
	buffer_store_dword v67, off, s[0:3], 0 offset:248
	v_add_co_u32 v65, vcc_lo, s4, v65
	v_add_co_ci_u32_e64 v66, null, s5, v66, vcc_lo
	v_lshlrev_b64 v[67:68], 3, v[72:73]
	flat_load_dwordx2 v[70:71], v[65:66]
	s_waitcnt vmcnt(0) lgkmcnt(0)
	buffer_store_dword v71, off, s[0:3], 0 offset:260
	buffer_store_dword v70, off, s[0:3], 0 offset:256
	v_add_co_u32 v67, vcc_lo, s4, v67
	v_add_co_ci_u32_e64 v68, null, s5, v68, vcc_lo
	v_add_nc_u32_e32 v71, s9, v72
	flat_load_dwordx2 v[73:74], v[67:68]
	s_waitcnt vmcnt(0) lgkmcnt(0)
	buffer_store_dword v74, off, s[0:3], 0 offset:268
	buffer_store_dword v73, off, s[0:3], 0 offset:264
	v_ashrrev_i32_e32 v72, 31, v71
	v_lshlrev_b64 v[69:70], 3, v[71:72]
	v_add_nc_u32_e32 v71, s9, v71
	v_add_co_u32 v69, vcc_lo, s4, v69
	v_add_co_ci_u32_e64 v70, null, s5, v70, vcc_lo
	v_ashrrev_i32_e32 v72, 31, v71
	flat_load_dwordx2 v[73:74], v[69:70]
	s_waitcnt vmcnt(0) lgkmcnt(0)
	buffer_store_dword v74, off, s[0:3], 0 offset:276
	buffer_store_dword v73, off, s[0:3], 0 offset:272
	v_lshlrev_b64 v[71:72], 3, v[71:72]
	v_add_co_u32 v71, vcc_lo, s4, v71
	v_add_co_ci_u32_e64 v72, null, s5, v72, vcc_lo
	s_mov_b32 s5, -1
	flat_load_dwordx2 v[73:74], v[71:72]
	s_waitcnt vmcnt(0) lgkmcnt(0)
	buffer_store_dword v74, off, s[0:3], 0 offset:284
	buffer_store_dword v73, off, s[0:3], 0 offset:280
	s_cbranch_scc1 .LBB99_156
; %bb.4:
	v_cmp_eq_u32_e64 s4, 0, v0
	s_and_saveexec_b32 s5, s4
; %bb.5:
	v_mov_b32_e32 v73, 0
	ds_write_b32 v73, v73 offset:576
; %bb.6:
	s_or_b32 exec_lo, exec_lo, s5
	v_lshl_add_u32 v77, v0, 3, 0
	s_waitcnt lgkmcnt(0)
	s_waitcnt_vscnt null, 0x0
	s_barrier
	buffer_gl0_inv
	s_clause 0x1
	buffer_load_dword v73, v77, s[0:3], 0 offen
	buffer_load_dword v74, v77, s[0:3], 0 offen offset:4
	s_waitcnt vmcnt(1)
	v_cmp_eq_f32_e32 vcc_lo, 0, v73
	s_waitcnt vmcnt(0)
	v_cmp_eq_f32_e64 s5, 0, v74
	s_and_b32 s5, vcc_lo, s5
	s_and_saveexec_b32 s8, s5
	s_cbranch_execz .LBB99_10
; %bb.7:
	v_mov_b32_e32 v73, 0
	s_mov_b32 s9, 0
	ds_read_b32 v74, v73 offset:576
	s_waitcnt lgkmcnt(0)
	v_readfirstlane_b32 s5, v74
	v_add_nc_u32_e32 v74, 1, v0
	s_cmp_eq_u32 s5, 0
	v_cmp_gt_i32_e32 vcc_lo, s5, v74
	s_cselect_b32 s14, -1, 0
	s_or_b32 s14, s14, vcc_lo
	s_and_b32 exec_lo, exec_lo, s14
	s_cbranch_execz .LBB99_10
; %bb.8:
	v_mov_b32_e32 v76, s5
.LBB99_9:                               ; =>This Inner Loop Header: Depth=1
	ds_cmpst_rtn_b32 v76, v73, v76, v74 offset:576
	s_waitcnt lgkmcnt(0)
	v_cmp_ne_u32_e32 vcc_lo, 0, v76
	v_cmp_le_i32_e64 s5, v76, v74
	s_and_b32 s5, vcc_lo, s5
	s_and_b32 s5, exec_lo, s5
	s_or_b32 s9, s5, s9
	s_andn2_b32 exec_lo, exec_lo, s9
	s_cbranch_execnz .LBB99_9
.LBB99_10:
	s_or_b32 exec_lo, exec_lo, s8
	v_mov_b32_e32 v73, 0
	s_barrier
	buffer_gl0_inv
	ds_read_b32 v74, v73 offset:576
	s_and_saveexec_b32 s5, s4
	s_cbranch_execz .LBB99_12
; %bb.11:
	s_lshl_b64 s[8:9], s[6:7], 2
	s_add_u32 s8, s10, s8
	s_addc_u32 s9, s11, s9
	s_waitcnt lgkmcnt(0)
	global_store_dword v73, v74, s[8:9]
.LBB99_12:
	s_or_b32 exec_lo, exec_lo, s5
	s_waitcnt lgkmcnt(0)
	v_cmp_ne_u32_e32 vcc_lo, 0, v74
	s_mov_b32 s5, 0
	s_cbranch_vccnz .LBB99_156
; %bb.13:
	s_clause 0x1
	buffer_load_dword v74, v77, s[0:3], 0 offen
	buffer_load_dword v76, v77, s[0:3], 0 offen offset:4
                                        ; implicit-def: $vgpr79
                                        ; implicit-def: $vgpr78
                                        ; implicit-def: $vgpr73
	s_waitcnt vmcnt(0)
	v_cmp_ngt_f32_e64 s5, |v74|, |v76|
	s_and_saveexec_b32 s8, s5
	s_xor_b32 s5, exec_lo, s8
	s_cbranch_execz .LBB99_15
; %bb.14:
	v_div_scale_f32 v73, null, v76, v76, v74
	v_div_scale_f32 v80, vcc_lo, v74, v76, v74
	v_rcp_f32_e32 v78, v73
	v_fma_f32 v79, -v73, v78, 1.0
	v_fmac_f32_e32 v78, v79, v78
	v_mul_f32_e32 v79, v80, v78
	v_fma_f32 v81, -v73, v79, v80
	v_fmac_f32_e32 v79, v81, v78
	v_fma_f32 v73, -v73, v79, v80
	v_div_fmas_f32 v73, v73, v78, v79
	v_div_fixup_f32 v73, v73, v76, v74
	v_fmac_f32_e32 v76, v74, v73
	v_div_scale_f32 v74, null, v76, v76, 1.0
	v_rcp_f32_e32 v78, v74
	v_fma_f32 v79, -v74, v78, 1.0
	v_fmac_f32_e32 v78, v79, v78
	v_div_scale_f32 v79, vcc_lo, 1.0, v76, 1.0
	v_mul_f32_e32 v80, v79, v78
	v_fma_f32 v81, -v74, v80, v79
	v_fmac_f32_e32 v80, v81, v78
	v_fma_f32 v74, -v74, v80, v79
	v_div_fmas_f32 v74, v74, v78, v80
	v_div_fixup_f32 v74, v74, v76, 1.0
                                        ; implicit-def: $vgpr76
	v_mul_f32_e32 v79, v73, v74
	v_xor_b32_e32 v78, 0x80000000, v74
                                        ; implicit-def: $vgpr74
	v_xor_b32_e32 v73, 0x80000000, v79
.LBB99_15:
	s_andn2_saveexec_b32 s5, s5
	s_cbranch_execz .LBB99_17
; %bb.16:
	v_div_scale_f32 v73, null, v74, v74, v76
	v_div_scale_f32 v80, vcc_lo, v76, v74, v76
	v_rcp_f32_e32 v78, v73
	v_fma_f32 v79, -v73, v78, 1.0
	v_fmac_f32_e32 v78, v79, v78
	v_mul_f32_e32 v79, v80, v78
	v_fma_f32 v81, -v73, v79, v80
	v_fmac_f32_e32 v79, v81, v78
	v_fma_f32 v73, -v73, v79, v80
	v_div_fmas_f32 v73, v73, v78, v79
	v_div_fixup_f32 v78, v73, v74, v76
	v_fmac_f32_e32 v74, v76, v78
	v_div_scale_f32 v73, null, v74, v74, 1.0
	v_div_scale_f32 v80, vcc_lo, 1.0, v74, 1.0
	v_rcp_f32_e32 v76, v73
	v_fma_f32 v79, -v73, v76, 1.0
	v_fmac_f32_e32 v76, v79, v76
	v_mul_f32_e32 v79, v80, v76
	v_fma_f32 v81, -v73, v79, v80
	v_fmac_f32_e32 v79, v81, v76
	v_fma_f32 v73, -v73, v79, v80
	v_div_fmas_f32 v73, v73, v76, v79
	v_div_fixup_f32 v79, v73, v74, 1.0
	v_xor_b32_e32 v73, 0x80000000, v79
	v_mul_f32_e64 v78, v78, -v79
.LBB99_17:
	s_or_b32 exec_lo, exec_lo, s5
	buffer_store_dword v79, v77, s[0:3], 0 offen
	buffer_store_dword v78, v77, s[0:3], 0 offen offset:4
	s_clause 0x1
	buffer_load_dword v80, off, s[0:3], 0 offset:12
	buffer_load_dword v79, off, s[0:3], 0 offset:8
	v_xor_b32_e32 v74, 0x80000000, v78
	v_add_nc_u32_e32 v76, 0x120, v75
	s_waitcnt vmcnt(0)
	ds_write2_b64 v75, v[73:74], v[79:80] offset1:36
	s_waitcnt lgkmcnt(0)
	s_waitcnt_vscnt null, 0x0
	s_barrier
	buffer_gl0_inv
	s_and_saveexec_b32 s5, s4
	s_cbranch_execz .LBB99_19
; %bb.18:
	s_clause 0x1
	buffer_load_dword v80, v77, s[0:3], 0 offen offset:4
	buffer_load_dword v81, v77, s[0:3], 0 offen
	ds_read_b64 v[73:74], v76
	v_mov_b32_e32 v78, 0
	ds_read_b64 v[78:79], v78 offset:8
	s_waitcnt vmcnt(1) lgkmcnt(1)
	v_mul_f32_e32 v82, v73, v80
	v_mul_f32_e32 v80, v74, v80
	s_waitcnt vmcnt(0)
	v_fmac_f32_e32 v82, v74, v81
	v_fma_f32 v73, v73, v81, -v80
	v_add_f32_e32 v74, 0, v82
	v_add_f32_e32 v73, 0, v73
	s_waitcnt lgkmcnt(0)
	v_mul_f32_e32 v80, v74, v79
	v_mul_f32_e32 v79, v73, v79
	v_fma_f32 v73, v73, v78, -v80
	v_fmac_f32_e32 v79, v74, v78
	buffer_store_dword v73, off, s[0:3], 0 offset:8
	buffer_store_dword v79, off, s[0:3], 0 offset:12
.LBB99_19:
	s_or_b32 exec_lo, exec_lo, s5
	s_waitcnt_vscnt null, 0x0
	s_barrier
	buffer_gl0_inv
	s_clause 0x1
	buffer_load_dword v73, off, s[0:3], 0 offset:16
	buffer_load_dword v74, off, s[0:3], 0 offset:20
	s_mov_b32 s5, exec_lo
	s_waitcnt vmcnt(0)
	ds_write_b64 v76, v[73:74]
	s_waitcnt lgkmcnt(0)
	s_barrier
	buffer_gl0_inv
	v_cmpx_gt_u32_e32 2, v0
	s_cbranch_execz .LBB99_23
; %bb.20:
	s_clause 0x1
	buffer_load_dword v78, v77, s[0:3], 0 offen offset:4
	buffer_load_dword v77, v77, s[0:3], 0 offen
	ds_read_b64 v[73:74], v76
	s_waitcnt vmcnt(1) lgkmcnt(0)
	v_mul_f32_e32 v79, v74, v78
	v_mul_f32_e32 v78, v73, v78
	s_waitcnt vmcnt(0)
	v_fma_f32 v73, v73, v77, -v79
	v_fmac_f32_e32 v78, v74, v77
	v_add_f32_e32 v74, 0, v73
	v_add_f32_e32 v73, 0, v78
	s_and_saveexec_b32 s8, s4
	s_cbranch_execz .LBB99_22
; %bb.21:
	s_clause 0x1
	buffer_load_dword v79, off, s[0:3], 0 offset:12
	buffer_load_dword v80, off, s[0:3], 0 offset:8
	v_mov_b32_e32 v77, 0
	ds_read_b64 v[77:78], v77 offset:296
	s_waitcnt vmcnt(1) lgkmcnt(0)
	v_mul_f32_e32 v81, v77, v79
	v_mul_f32_e32 v79, v78, v79
	s_waitcnt vmcnt(0)
	v_fmac_f32_e32 v81, v78, v80
	v_fma_f32 v77, v77, v80, -v79
	v_add_f32_e32 v73, v73, v81
	v_add_f32_e32 v74, v74, v77
.LBB99_22:
	s_or_b32 exec_lo, exec_lo, s8
	v_mov_b32_e32 v77, 0
	ds_read_b64 v[77:78], v77 offset:16
	s_waitcnt lgkmcnt(0)
	v_mul_f32_e32 v79, v73, v78
	v_mul_f32_e32 v78, v74, v78
	v_fma_f32 v74, v74, v77, -v79
	v_fmac_f32_e32 v78, v73, v77
	buffer_store_dword v74, off, s[0:3], 0 offset:16
	buffer_store_dword v78, off, s[0:3], 0 offset:20
.LBB99_23:
	s_or_b32 exec_lo, exec_lo, s5
	s_waitcnt_vscnt null, 0x0
	s_barrier
	buffer_gl0_inv
	s_clause 0x1
	buffer_load_dword v77, off, s[0:3], 0 offset:24
	buffer_load_dword v78, off, s[0:3], 0 offset:28
	v_add_nc_u32_e32 v73, -1, v0
	s_mov_b32 s4, exec_lo
	s_waitcnt vmcnt(0)
	ds_write_b64 v76, v[77:78]
	s_waitcnt lgkmcnt(0)
	s_barrier
	buffer_gl0_inv
	v_cmpx_gt_u32_e32 3, v0
	s_cbranch_execz .LBB99_27
; %bb.24:
	v_add_nc_u32_e32 v77, -1, v0
	v_add_nc_u32_e32 v78, 0x120, v75
	v_mov_b32_e32 v79, v75
	v_mov_b32_e32 v74, 0
	;; [unrolled: 1-line block ×3, first 2 shown]
	s_mov_b32 s5, 0
	.p2align	6
.LBB99_25:                              ; =>This Inner Loop Header: Depth=1
	s_clause 0x1
	buffer_load_dword v83, v79, s[0:3], 0 offen offset:4
	buffer_load_dword v84, v79, s[0:3], 0 offen
	ds_read_b64 v[81:82], v78
	v_add_nc_u32_e32 v77, 1, v77
	v_add_nc_u32_e32 v78, 8, v78
	;; [unrolled: 1-line block ×3, first 2 shown]
	v_cmp_lt_u32_e32 vcc_lo, 1, v77
	s_or_b32 s5, vcc_lo, s5
	s_waitcnt vmcnt(1) lgkmcnt(0)
	v_mul_f32_e32 v85, v82, v83
	v_mul_f32_e32 v83, v81, v83
	s_waitcnt vmcnt(0)
	v_fma_f32 v81, v81, v84, -v85
	v_fmac_f32_e32 v83, v82, v84
	v_add_f32_e32 v80, v80, v81
	v_add_f32_e32 v74, v74, v83
	s_andn2_b32 exec_lo, exec_lo, s5
	s_cbranch_execnz .LBB99_25
; %bb.26:
	s_or_b32 exec_lo, exec_lo, s5
	v_mov_b32_e32 v77, 0
	ds_read_b64 v[77:78], v77 offset:24
	s_waitcnt lgkmcnt(0)
	v_mul_f32_e32 v79, v74, v78
	v_mul_f32_e32 v78, v80, v78
	v_fma_f32 v79, v80, v77, -v79
	v_fmac_f32_e32 v78, v74, v77
	buffer_store_dword v79, off, s[0:3], 0 offset:24
	buffer_store_dword v78, off, s[0:3], 0 offset:28
.LBB99_27:
	s_or_b32 exec_lo, exec_lo, s4
	s_waitcnt_vscnt null, 0x0
	s_barrier
	buffer_gl0_inv
	s_clause 0x1
	buffer_load_dword v77, off, s[0:3], 0 offset:32
	buffer_load_dword v78, off, s[0:3], 0 offset:36
	s_mov_b32 s4, exec_lo
	s_waitcnt vmcnt(0)
	ds_write_b64 v76, v[77:78]
	s_waitcnt lgkmcnt(0)
	s_barrier
	buffer_gl0_inv
	v_cmpx_gt_u32_e32 4, v0
	s_cbranch_execz .LBB99_31
; %bb.28:
	v_add_nc_u32_e32 v77, -1, v0
	v_add_nc_u32_e32 v78, 0x120, v75
	v_mov_b32_e32 v79, v75
	v_mov_b32_e32 v74, 0
	;; [unrolled: 1-line block ×3, first 2 shown]
	s_mov_b32 s5, 0
	.p2align	6
.LBB99_29:                              ; =>This Inner Loop Header: Depth=1
	s_clause 0x1
	buffer_load_dword v83, v79, s[0:3], 0 offen offset:4
	buffer_load_dword v84, v79, s[0:3], 0 offen
	ds_read_b64 v[81:82], v78
	v_add_nc_u32_e32 v77, 1, v77
	v_add_nc_u32_e32 v78, 8, v78
	;; [unrolled: 1-line block ×3, first 2 shown]
	v_cmp_lt_u32_e32 vcc_lo, 2, v77
	s_or_b32 s5, vcc_lo, s5
	s_waitcnt vmcnt(1) lgkmcnt(0)
	v_mul_f32_e32 v85, v82, v83
	v_mul_f32_e32 v83, v81, v83
	s_waitcnt vmcnt(0)
	v_fma_f32 v81, v81, v84, -v85
	v_fmac_f32_e32 v83, v82, v84
	v_add_f32_e32 v80, v80, v81
	v_add_f32_e32 v74, v74, v83
	s_andn2_b32 exec_lo, exec_lo, s5
	s_cbranch_execnz .LBB99_29
; %bb.30:
	s_or_b32 exec_lo, exec_lo, s5
	v_mov_b32_e32 v77, 0
	ds_read_b64 v[77:78], v77 offset:32
	s_waitcnt lgkmcnt(0)
	v_mul_f32_e32 v79, v74, v78
	v_mul_f32_e32 v78, v80, v78
	v_fma_f32 v79, v80, v77, -v79
	v_fmac_f32_e32 v78, v74, v77
	buffer_store_dword v79, off, s[0:3], 0 offset:32
	buffer_store_dword v78, off, s[0:3], 0 offset:36
.LBB99_31:
	s_or_b32 exec_lo, exec_lo, s4
	s_waitcnt_vscnt null, 0x0
	s_barrier
	buffer_gl0_inv
	s_clause 0x1
	buffer_load_dword v77, off, s[0:3], 0 offset:40
	buffer_load_dword v78, off, s[0:3], 0 offset:44
	s_mov_b32 s4, exec_lo
	s_waitcnt vmcnt(0)
	ds_write_b64 v76, v[77:78]
	s_waitcnt lgkmcnt(0)
	s_barrier
	buffer_gl0_inv
	v_cmpx_gt_u32_e32 5, v0
	s_cbranch_execz .LBB99_35
; %bb.32:
	v_add_nc_u32_e32 v77, -1, v0
	v_add_nc_u32_e32 v78, 0x120, v75
	v_mov_b32_e32 v79, v75
	v_mov_b32_e32 v74, 0
	v_mov_b32_e32 v80, 0
	s_mov_b32 s5, 0
	.p2align	6
.LBB99_33:                              ; =>This Inner Loop Header: Depth=1
	s_clause 0x1
	buffer_load_dword v83, v79, s[0:3], 0 offen offset:4
	buffer_load_dword v84, v79, s[0:3], 0 offen
	ds_read_b64 v[81:82], v78
	v_add_nc_u32_e32 v77, 1, v77
	v_add_nc_u32_e32 v78, 8, v78
	;; [unrolled: 1-line block ×3, first 2 shown]
	v_cmp_lt_u32_e32 vcc_lo, 3, v77
	s_or_b32 s5, vcc_lo, s5
	s_waitcnt vmcnt(1) lgkmcnt(0)
	v_mul_f32_e32 v85, v82, v83
	v_mul_f32_e32 v83, v81, v83
	s_waitcnt vmcnt(0)
	v_fma_f32 v81, v81, v84, -v85
	v_fmac_f32_e32 v83, v82, v84
	v_add_f32_e32 v80, v80, v81
	v_add_f32_e32 v74, v74, v83
	s_andn2_b32 exec_lo, exec_lo, s5
	s_cbranch_execnz .LBB99_33
; %bb.34:
	s_or_b32 exec_lo, exec_lo, s5
	v_mov_b32_e32 v77, 0
	ds_read_b64 v[77:78], v77 offset:40
	s_waitcnt lgkmcnt(0)
	v_mul_f32_e32 v79, v74, v78
	v_mul_f32_e32 v78, v80, v78
	v_fma_f32 v79, v80, v77, -v79
	v_fmac_f32_e32 v78, v74, v77
	buffer_store_dword v79, off, s[0:3], 0 offset:40
	buffer_store_dword v78, off, s[0:3], 0 offset:44
.LBB99_35:
	s_or_b32 exec_lo, exec_lo, s4
	s_waitcnt_vscnt null, 0x0
	s_barrier
	buffer_gl0_inv
	s_clause 0x1
	buffer_load_dword v77, off, s[0:3], 0 offset:48
	buffer_load_dword v78, off, s[0:3], 0 offset:52
	s_mov_b32 s4, exec_lo
	s_waitcnt vmcnt(0)
	ds_write_b64 v76, v[77:78]
	s_waitcnt lgkmcnt(0)
	s_barrier
	buffer_gl0_inv
	v_cmpx_gt_u32_e32 6, v0
	s_cbranch_execz .LBB99_39
; %bb.36:
	v_add_nc_u32_e32 v77, -1, v0
	v_add_nc_u32_e32 v78, 0x120, v75
	v_mov_b32_e32 v79, v75
	v_mov_b32_e32 v74, 0
	;; [unrolled: 1-line block ×3, first 2 shown]
	s_mov_b32 s5, 0
	.p2align	6
.LBB99_37:                              ; =>This Inner Loop Header: Depth=1
	s_clause 0x1
	buffer_load_dword v83, v79, s[0:3], 0 offen offset:4
	buffer_load_dword v84, v79, s[0:3], 0 offen
	ds_read_b64 v[81:82], v78
	v_add_nc_u32_e32 v77, 1, v77
	v_add_nc_u32_e32 v78, 8, v78
	;; [unrolled: 1-line block ×3, first 2 shown]
	v_cmp_lt_u32_e32 vcc_lo, 4, v77
	s_or_b32 s5, vcc_lo, s5
	s_waitcnt vmcnt(1) lgkmcnt(0)
	v_mul_f32_e32 v85, v82, v83
	v_mul_f32_e32 v83, v81, v83
	s_waitcnt vmcnt(0)
	v_fma_f32 v81, v81, v84, -v85
	v_fmac_f32_e32 v83, v82, v84
	v_add_f32_e32 v80, v80, v81
	v_add_f32_e32 v74, v74, v83
	s_andn2_b32 exec_lo, exec_lo, s5
	s_cbranch_execnz .LBB99_37
; %bb.38:
	s_or_b32 exec_lo, exec_lo, s5
	v_mov_b32_e32 v77, 0
	ds_read_b64 v[77:78], v77 offset:48
	s_waitcnt lgkmcnt(0)
	v_mul_f32_e32 v79, v74, v78
	v_mul_f32_e32 v78, v80, v78
	v_fma_f32 v79, v80, v77, -v79
	v_fmac_f32_e32 v78, v74, v77
	buffer_store_dword v79, off, s[0:3], 0 offset:48
	buffer_store_dword v78, off, s[0:3], 0 offset:52
.LBB99_39:
	s_or_b32 exec_lo, exec_lo, s4
	s_waitcnt_vscnt null, 0x0
	s_barrier
	buffer_gl0_inv
	s_clause 0x1
	buffer_load_dword v77, off, s[0:3], 0 offset:56
	buffer_load_dword v78, off, s[0:3], 0 offset:60
	s_mov_b32 s4, exec_lo
	s_waitcnt vmcnt(0)
	ds_write_b64 v76, v[77:78]
	s_waitcnt lgkmcnt(0)
	s_barrier
	buffer_gl0_inv
	v_cmpx_gt_u32_e32 7, v0
	s_cbranch_execz .LBB99_43
; %bb.40:
	v_add_nc_u32_e32 v77, -1, v0
	v_add_nc_u32_e32 v78, 0x120, v75
	v_mov_b32_e32 v79, v75
	v_mov_b32_e32 v74, 0
	;; [unrolled: 1-line block ×3, first 2 shown]
	s_mov_b32 s5, 0
	.p2align	6
.LBB99_41:                              ; =>This Inner Loop Header: Depth=1
	s_clause 0x1
	buffer_load_dword v83, v79, s[0:3], 0 offen offset:4
	buffer_load_dword v84, v79, s[0:3], 0 offen
	ds_read_b64 v[81:82], v78
	v_add_nc_u32_e32 v77, 1, v77
	v_add_nc_u32_e32 v78, 8, v78
	;; [unrolled: 1-line block ×3, first 2 shown]
	v_cmp_lt_u32_e32 vcc_lo, 5, v77
	s_or_b32 s5, vcc_lo, s5
	s_waitcnt vmcnt(1) lgkmcnt(0)
	v_mul_f32_e32 v85, v82, v83
	v_mul_f32_e32 v83, v81, v83
	s_waitcnt vmcnt(0)
	v_fma_f32 v81, v81, v84, -v85
	v_fmac_f32_e32 v83, v82, v84
	v_add_f32_e32 v80, v80, v81
	v_add_f32_e32 v74, v74, v83
	s_andn2_b32 exec_lo, exec_lo, s5
	s_cbranch_execnz .LBB99_41
; %bb.42:
	s_or_b32 exec_lo, exec_lo, s5
	v_mov_b32_e32 v77, 0
	ds_read_b64 v[77:78], v77 offset:56
	s_waitcnt lgkmcnt(0)
	v_mul_f32_e32 v79, v74, v78
	v_mul_f32_e32 v78, v80, v78
	v_fma_f32 v79, v80, v77, -v79
	v_fmac_f32_e32 v78, v74, v77
	buffer_store_dword v79, off, s[0:3], 0 offset:56
	buffer_store_dword v78, off, s[0:3], 0 offset:60
.LBB99_43:
	s_or_b32 exec_lo, exec_lo, s4
	s_waitcnt_vscnt null, 0x0
	s_barrier
	buffer_gl0_inv
	s_clause 0x1
	buffer_load_dword v77, off, s[0:3], 0 offset:64
	buffer_load_dword v78, off, s[0:3], 0 offset:68
	s_mov_b32 s4, exec_lo
	s_waitcnt vmcnt(0)
	ds_write_b64 v76, v[77:78]
	s_waitcnt lgkmcnt(0)
	s_barrier
	buffer_gl0_inv
	v_cmpx_gt_u32_e32 8, v0
	s_cbranch_execz .LBB99_47
; %bb.44:
	v_add_nc_u32_e32 v77, -1, v0
	v_add_nc_u32_e32 v78, 0x120, v75
	v_mov_b32_e32 v79, v75
	v_mov_b32_e32 v74, 0
	;; [unrolled: 1-line block ×3, first 2 shown]
	s_mov_b32 s5, 0
	.p2align	6
.LBB99_45:                              ; =>This Inner Loop Header: Depth=1
	s_clause 0x1
	buffer_load_dword v83, v79, s[0:3], 0 offen offset:4
	buffer_load_dword v84, v79, s[0:3], 0 offen
	ds_read_b64 v[81:82], v78
	v_add_nc_u32_e32 v77, 1, v77
	v_add_nc_u32_e32 v78, 8, v78
	;; [unrolled: 1-line block ×3, first 2 shown]
	v_cmp_lt_u32_e32 vcc_lo, 6, v77
	s_or_b32 s5, vcc_lo, s5
	s_waitcnt vmcnt(1) lgkmcnt(0)
	v_mul_f32_e32 v85, v82, v83
	v_mul_f32_e32 v83, v81, v83
	s_waitcnt vmcnt(0)
	v_fma_f32 v81, v81, v84, -v85
	v_fmac_f32_e32 v83, v82, v84
	v_add_f32_e32 v80, v80, v81
	v_add_f32_e32 v74, v74, v83
	s_andn2_b32 exec_lo, exec_lo, s5
	s_cbranch_execnz .LBB99_45
; %bb.46:
	s_or_b32 exec_lo, exec_lo, s5
	v_mov_b32_e32 v77, 0
	ds_read_b64 v[77:78], v77 offset:64
	s_waitcnt lgkmcnt(0)
	v_mul_f32_e32 v79, v74, v78
	v_mul_f32_e32 v78, v80, v78
	v_fma_f32 v79, v80, v77, -v79
	v_fmac_f32_e32 v78, v74, v77
	buffer_store_dword v79, off, s[0:3], 0 offset:64
	buffer_store_dword v78, off, s[0:3], 0 offset:68
.LBB99_47:
	s_or_b32 exec_lo, exec_lo, s4
	s_waitcnt_vscnt null, 0x0
	s_barrier
	buffer_gl0_inv
	s_clause 0x1
	buffer_load_dword v77, off, s[0:3], 0 offset:72
	buffer_load_dword v78, off, s[0:3], 0 offset:76
	s_mov_b32 s4, exec_lo
	s_waitcnt vmcnt(0)
	ds_write_b64 v76, v[77:78]
	s_waitcnt lgkmcnt(0)
	s_barrier
	buffer_gl0_inv
	v_cmpx_gt_u32_e32 9, v0
	s_cbranch_execz .LBB99_51
; %bb.48:
	v_add_nc_u32_e32 v77, -1, v0
	v_add_nc_u32_e32 v78, 0x120, v75
	v_mov_b32_e32 v79, v75
	v_mov_b32_e32 v74, 0
	;; [unrolled: 1-line block ×3, first 2 shown]
	s_mov_b32 s5, 0
	.p2align	6
.LBB99_49:                              ; =>This Inner Loop Header: Depth=1
	s_clause 0x1
	buffer_load_dword v83, v79, s[0:3], 0 offen offset:4
	buffer_load_dword v84, v79, s[0:3], 0 offen
	ds_read_b64 v[81:82], v78
	v_add_nc_u32_e32 v77, 1, v77
	v_add_nc_u32_e32 v78, 8, v78
	;; [unrolled: 1-line block ×3, first 2 shown]
	v_cmp_lt_u32_e32 vcc_lo, 7, v77
	s_or_b32 s5, vcc_lo, s5
	s_waitcnt vmcnt(1) lgkmcnt(0)
	v_mul_f32_e32 v85, v82, v83
	v_mul_f32_e32 v83, v81, v83
	s_waitcnt vmcnt(0)
	v_fma_f32 v81, v81, v84, -v85
	v_fmac_f32_e32 v83, v82, v84
	v_add_f32_e32 v80, v80, v81
	v_add_f32_e32 v74, v74, v83
	s_andn2_b32 exec_lo, exec_lo, s5
	s_cbranch_execnz .LBB99_49
; %bb.50:
	s_or_b32 exec_lo, exec_lo, s5
	v_mov_b32_e32 v77, 0
	ds_read_b64 v[77:78], v77 offset:72
	s_waitcnt lgkmcnt(0)
	v_mul_f32_e32 v79, v74, v78
	v_mul_f32_e32 v78, v80, v78
	v_fma_f32 v79, v80, v77, -v79
	v_fmac_f32_e32 v78, v74, v77
	buffer_store_dword v79, off, s[0:3], 0 offset:72
	buffer_store_dword v78, off, s[0:3], 0 offset:76
.LBB99_51:
	s_or_b32 exec_lo, exec_lo, s4
	s_waitcnt_vscnt null, 0x0
	s_barrier
	buffer_gl0_inv
	s_clause 0x1
	buffer_load_dword v77, off, s[0:3], 0 offset:80
	buffer_load_dword v78, off, s[0:3], 0 offset:84
	s_mov_b32 s4, exec_lo
	s_waitcnt vmcnt(0)
	ds_write_b64 v76, v[77:78]
	s_waitcnt lgkmcnt(0)
	s_barrier
	buffer_gl0_inv
	v_cmpx_gt_u32_e32 10, v0
	s_cbranch_execz .LBB99_55
; %bb.52:
	v_add_nc_u32_e32 v77, -1, v0
	v_add_nc_u32_e32 v78, 0x120, v75
	v_mov_b32_e32 v79, v75
	v_mov_b32_e32 v74, 0
	;; [unrolled: 1-line block ×3, first 2 shown]
	s_mov_b32 s5, 0
	.p2align	6
.LBB99_53:                              ; =>This Inner Loop Header: Depth=1
	s_clause 0x1
	buffer_load_dword v83, v79, s[0:3], 0 offen offset:4
	buffer_load_dword v84, v79, s[0:3], 0 offen
	ds_read_b64 v[81:82], v78
	v_add_nc_u32_e32 v77, 1, v77
	v_add_nc_u32_e32 v78, 8, v78
	;; [unrolled: 1-line block ×3, first 2 shown]
	v_cmp_lt_u32_e32 vcc_lo, 8, v77
	s_or_b32 s5, vcc_lo, s5
	s_waitcnt vmcnt(1) lgkmcnt(0)
	v_mul_f32_e32 v85, v82, v83
	v_mul_f32_e32 v83, v81, v83
	s_waitcnt vmcnt(0)
	v_fma_f32 v81, v81, v84, -v85
	v_fmac_f32_e32 v83, v82, v84
	v_add_f32_e32 v80, v80, v81
	v_add_f32_e32 v74, v74, v83
	s_andn2_b32 exec_lo, exec_lo, s5
	s_cbranch_execnz .LBB99_53
; %bb.54:
	s_or_b32 exec_lo, exec_lo, s5
	v_mov_b32_e32 v77, 0
	ds_read_b64 v[77:78], v77 offset:80
	s_waitcnt lgkmcnt(0)
	v_mul_f32_e32 v79, v74, v78
	v_mul_f32_e32 v78, v80, v78
	v_fma_f32 v79, v80, v77, -v79
	v_fmac_f32_e32 v78, v74, v77
	buffer_store_dword v79, off, s[0:3], 0 offset:80
	buffer_store_dword v78, off, s[0:3], 0 offset:84
.LBB99_55:
	s_or_b32 exec_lo, exec_lo, s4
	s_waitcnt_vscnt null, 0x0
	s_barrier
	buffer_gl0_inv
	s_clause 0x1
	buffer_load_dword v77, off, s[0:3], 0 offset:88
	buffer_load_dword v78, off, s[0:3], 0 offset:92
	s_mov_b32 s4, exec_lo
	s_waitcnt vmcnt(0)
	ds_write_b64 v76, v[77:78]
	s_waitcnt lgkmcnt(0)
	s_barrier
	buffer_gl0_inv
	v_cmpx_gt_u32_e32 11, v0
	s_cbranch_execz .LBB99_59
; %bb.56:
	v_add_nc_u32_e32 v77, -1, v0
	v_add_nc_u32_e32 v78, 0x120, v75
	v_mov_b32_e32 v79, v75
	v_mov_b32_e32 v74, 0
	;; [unrolled: 1-line block ×3, first 2 shown]
	s_mov_b32 s5, 0
	.p2align	6
.LBB99_57:                              ; =>This Inner Loop Header: Depth=1
	s_clause 0x1
	buffer_load_dword v83, v79, s[0:3], 0 offen offset:4
	buffer_load_dword v84, v79, s[0:3], 0 offen
	ds_read_b64 v[81:82], v78
	v_add_nc_u32_e32 v77, 1, v77
	v_add_nc_u32_e32 v78, 8, v78
	;; [unrolled: 1-line block ×3, first 2 shown]
	v_cmp_lt_u32_e32 vcc_lo, 9, v77
	s_or_b32 s5, vcc_lo, s5
	s_waitcnt vmcnt(1) lgkmcnt(0)
	v_mul_f32_e32 v85, v82, v83
	v_mul_f32_e32 v83, v81, v83
	s_waitcnt vmcnt(0)
	v_fma_f32 v81, v81, v84, -v85
	v_fmac_f32_e32 v83, v82, v84
	v_add_f32_e32 v80, v80, v81
	v_add_f32_e32 v74, v74, v83
	s_andn2_b32 exec_lo, exec_lo, s5
	s_cbranch_execnz .LBB99_57
; %bb.58:
	s_or_b32 exec_lo, exec_lo, s5
	v_mov_b32_e32 v77, 0
	ds_read_b64 v[77:78], v77 offset:88
	s_waitcnt lgkmcnt(0)
	v_mul_f32_e32 v79, v74, v78
	v_mul_f32_e32 v78, v80, v78
	v_fma_f32 v79, v80, v77, -v79
	v_fmac_f32_e32 v78, v74, v77
	buffer_store_dword v79, off, s[0:3], 0 offset:88
	buffer_store_dword v78, off, s[0:3], 0 offset:92
.LBB99_59:
	s_or_b32 exec_lo, exec_lo, s4
	s_waitcnt_vscnt null, 0x0
	s_barrier
	buffer_gl0_inv
	s_clause 0x1
	buffer_load_dword v77, off, s[0:3], 0 offset:96
	buffer_load_dword v78, off, s[0:3], 0 offset:100
	s_mov_b32 s4, exec_lo
	s_waitcnt vmcnt(0)
	ds_write_b64 v76, v[77:78]
	s_waitcnt lgkmcnt(0)
	s_barrier
	buffer_gl0_inv
	v_cmpx_gt_u32_e32 12, v0
	s_cbranch_execz .LBB99_63
; %bb.60:
	v_add_nc_u32_e32 v77, -1, v0
	v_add_nc_u32_e32 v78, 0x120, v75
	v_mov_b32_e32 v79, v75
	v_mov_b32_e32 v74, 0
	;; [unrolled: 1-line block ×3, first 2 shown]
	s_mov_b32 s5, 0
	.p2align	6
.LBB99_61:                              ; =>This Inner Loop Header: Depth=1
	s_clause 0x1
	buffer_load_dword v83, v79, s[0:3], 0 offen offset:4
	buffer_load_dword v84, v79, s[0:3], 0 offen
	ds_read_b64 v[81:82], v78
	v_add_nc_u32_e32 v77, 1, v77
	v_add_nc_u32_e32 v78, 8, v78
	;; [unrolled: 1-line block ×3, first 2 shown]
	v_cmp_lt_u32_e32 vcc_lo, 10, v77
	s_or_b32 s5, vcc_lo, s5
	s_waitcnt vmcnt(1) lgkmcnt(0)
	v_mul_f32_e32 v85, v82, v83
	v_mul_f32_e32 v83, v81, v83
	s_waitcnt vmcnt(0)
	v_fma_f32 v81, v81, v84, -v85
	v_fmac_f32_e32 v83, v82, v84
	v_add_f32_e32 v80, v80, v81
	v_add_f32_e32 v74, v74, v83
	s_andn2_b32 exec_lo, exec_lo, s5
	s_cbranch_execnz .LBB99_61
; %bb.62:
	s_or_b32 exec_lo, exec_lo, s5
	v_mov_b32_e32 v77, 0
	ds_read_b64 v[77:78], v77 offset:96
	s_waitcnt lgkmcnt(0)
	v_mul_f32_e32 v79, v74, v78
	v_mul_f32_e32 v78, v80, v78
	v_fma_f32 v79, v80, v77, -v79
	v_fmac_f32_e32 v78, v74, v77
	buffer_store_dword v79, off, s[0:3], 0 offset:96
	buffer_store_dword v78, off, s[0:3], 0 offset:100
.LBB99_63:
	s_or_b32 exec_lo, exec_lo, s4
	s_waitcnt_vscnt null, 0x0
	s_barrier
	buffer_gl0_inv
	s_clause 0x1
	buffer_load_dword v77, off, s[0:3], 0 offset:104
	buffer_load_dword v78, off, s[0:3], 0 offset:108
	s_mov_b32 s4, exec_lo
	s_waitcnt vmcnt(0)
	ds_write_b64 v76, v[77:78]
	s_waitcnt lgkmcnt(0)
	s_barrier
	buffer_gl0_inv
	v_cmpx_gt_u32_e32 13, v0
	s_cbranch_execz .LBB99_67
; %bb.64:
	v_add_nc_u32_e32 v77, -1, v0
	v_add_nc_u32_e32 v78, 0x120, v75
	v_mov_b32_e32 v79, v75
	v_mov_b32_e32 v74, 0
	;; [unrolled: 1-line block ×3, first 2 shown]
	s_mov_b32 s5, 0
	.p2align	6
.LBB99_65:                              ; =>This Inner Loop Header: Depth=1
	s_clause 0x1
	buffer_load_dword v83, v79, s[0:3], 0 offen offset:4
	buffer_load_dword v84, v79, s[0:3], 0 offen
	ds_read_b64 v[81:82], v78
	v_add_nc_u32_e32 v77, 1, v77
	v_add_nc_u32_e32 v78, 8, v78
	;; [unrolled: 1-line block ×3, first 2 shown]
	v_cmp_lt_u32_e32 vcc_lo, 11, v77
	s_or_b32 s5, vcc_lo, s5
	s_waitcnt vmcnt(1) lgkmcnt(0)
	v_mul_f32_e32 v85, v82, v83
	v_mul_f32_e32 v83, v81, v83
	s_waitcnt vmcnt(0)
	v_fma_f32 v81, v81, v84, -v85
	v_fmac_f32_e32 v83, v82, v84
	v_add_f32_e32 v80, v80, v81
	v_add_f32_e32 v74, v74, v83
	s_andn2_b32 exec_lo, exec_lo, s5
	s_cbranch_execnz .LBB99_65
; %bb.66:
	s_or_b32 exec_lo, exec_lo, s5
	v_mov_b32_e32 v77, 0
	ds_read_b64 v[77:78], v77 offset:104
	s_waitcnt lgkmcnt(0)
	v_mul_f32_e32 v79, v74, v78
	v_mul_f32_e32 v78, v80, v78
	v_fma_f32 v79, v80, v77, -v79
	v_fmac_f32_e32 v78, v74, v77
	buffer_store_dword v79, off, s[0:3], 0 offset:104
	buffer_store_dword v78, off, s[0:3], 0 offset:108
.LBB99_67:
	s_or_b32 exec_lo, exec_lo, s4
	s_waitcnt_vscnt null, 0x0
	s_barrier
	buffer_gl0_inv
	s_clause 0x1
	buffer_load_dword v77, off, s[0:3], 0 offset:112
	buffer_load_dword v78, off, s[0:3], 0 offset:116
	s_mov_b32 s4, exec_lo
	s_waitcnt vmcnt(0)
	ds_write_b64 v76, v[77:78]
	s_waitcnt lgkmcnt(0)
	s_barrier
	buffer_gl0_inv
	v_cmpx_gt_u32_e32 14, v0
	s_cbranch_execz .LBB99_71
; %bb.68:
	v_add_nc_u32_e32 v77, -1, v0
	v_add_nc_u32_e32 v78, 0x120, v75
	v_mov_b32_e32 v79, v75
	v_mov_b32_e32 v74, 0
	;; [unrolled: 1-line block ×3, first 2 shown]
	s_mov_b32 s5, 0
	.p2align	6
.LBB99_69:                              ; =>This Inner Loop Header: Depth=1
	s_clause 0x1
	buffer_load_dword v83, v79, s[0:3], 0 offen offset:4
	buffer_load_dword v84, v79, s[0:3], 0 offen
	ds_read_b64 v[81:82], v78
	v_add_nc_u32_e32 v77, 1, v77
	v_add_nc_u32_e32 v78, 8, v78
	;; [unrolled: 1-line block ×3, first 2 shown]
	v_cmp_lt_u32_e32 vcc_lo, 12, v77
	s_or_b32 s5, vcc_lo, s5
	s_waitcnt vmcnt(1) lgkmcnt(0)
	v_mul_f32_e32 v85, v82, v83
	v_mul_f32_e32 v83, v81, v83
	s_waitcnt vmcnt(0)
	v_fma_f32 v81, v81, v84, -v85
	v_fmac_f32_e32 v83, v82, v84
	v_add_f32_e32 v80, v80, v81
	v_add_f32_e32 v74, v74, v83
	s_andn2_b32 exec_lo, exec_lo, s5
	s_cbranch_execnz .LBB99_69
; %bb.70:
	s_or_b32 exec_lo, exec_lo, s5
	v_mov_b32_e32 v77, 0
	ds_read_b64 v[77:78], v77 offset:112
	s_waitcnt lgkmcnt(0)
	v_mul_f32_e32 v79, v74, v78
	v_mul_f32_e32 v78, v80, v78
	v_fma_f32 v79, v80, v77, -v79
	v_fmac_f32_e32 v78, v74, v77
	buffer_store_dword v79, off, s[0:3], 0 offset:112
	buffer_store_dword v78, off, s[0:3], 0 offset:116
.LBB99_71:
	s_or_b32 exec_lo, exec_lo, s4
	s_waitcnt_vscnt null, 0x0
	s_barrier
	buffer_gl0_inv
	s_clause 0x1
	buffer_load_dword v77, off, s[0:3], 0 offset:120
	buffer_load_dword v78, off, s[0:3], 0 offset:124
	s_mov_b32 s4, exec_lo
	s_waitcnt vmcnt(0)
	ds_write_b64 v76, v[77:78]
	s_waitcnt lgkmcnt(0)
	s_barrier
	buffer_gl0_inv
	v_cmpx_gt_u32_e32 15, v0
	s_cbranch_execz .LBB99_75
; %bb.72:
	v_add_nc_u32_e32 v77, -1, v0
	v_add_nc_u32_e32 v78, 0x120, v75
	v_mov_b32_e32 v79, v75
	v_mov_b32_e32 v74, 0
	;; [unrolled: 1-line block ×3, first 2 shown]
	s_mov_b32 s5, 0
	.p2align	6
.LBB99_73:                              ; =>This Inner Loop Header: Depth=1
	s_clause 0x1
	buffer_load_dword v83, v79, s[0:3], 0 offen offset:4
	buffer_load_dword v84, v79, s[0:3], 0 offen
	ds_read_b64 v[81:82], v78
	v_add_nc_u32_e32 v77, 1, v77
	v_add_nc_u32_e32 v78, 8, v78
	;; [unrolled: 1-line block ×3, first 2 shown]
	v_cmp_lt_u32_e32 vcc_lo, 13, v77
	s_or_b32 s5, vcc_lo, s5
	s_waitcnt vmcnt(1) lgkmcnt(0)
	v_mul_f32_e32 v85, v82, v83
	v_mul_f32_e32 v83, v81, v83
	s_waitcnt vmcnt(0)
	v_fma_f32 v81, v81, v84, -v85
	v_fmac_f32_e32 v83, v82, v84
	v_add_f32_e32 v80, v80, v81
	v_add_f32_e32 v74, v74, v83
	s_andn2_b32 exec_lo, exec_lo, s5
	s_cbranch_execnz .LBB99_73
; %bb.74:
	s_or_b32 exec_lo, exec_lo, s5
	v_mov_b32_e32 v77, 0
	ds_read_b64 v[77:78], v77 offset:120
	s_waitcnt lgkmcnt(0)
	v_mul_f32_e32 v79, v74, v78
	v_mul_f32_e32 v78, v80, v78
	v_fma_f32 v79, v80, v77, -v79
	v_fmac_f32_e32 v78, v74, v77
	buffer_store_dword v79, off, s[0:3], 0 offset:120
	buffer_store_dword v78, off, s[0:3], 0 offset:124
.LBB99_75:
	s_or_b32 exec_lo, exec_lo, s4
	s_waitcnt_vscnt null, 0x0
	s_barrier
	buffer_gl0_inv
	s_clause 0x1
	buffer_load_dword v77, off, s[0:3], 0 offset:128
	buffer_load_dword v78, off, s[0:3], 0 offset:132
	s_mov_b32 s4, exec_lo
	s_waitcnt vmcnt(0)
	ds_write_b64 v76, v[77:78]
	s_waitcnt lgkmcnt(0)
	s_barrier
	buffer_gl0_inv
	v_cmpx_gt_u32_e32 16, v0
	s_cbranch_execz .LBB99_79
; %bb.76:
	v_add_nc_u32_e32 v77, -1, v0
	v_add_nc_u32_e32 v78, 0x120, v75
	v_mov_b32_e32 v79, v75
	v_mov_b32_e32 v74, 0
	;; [unrolled: 1-line block ×3, first 2 shown]
	s_mov_b32 s5, 0
	.p2align	6
.LBB99_77:                              ; =>This Inner Loop Header: Depth=1
	s_clause 0x1
	buffer_load_dword v83, v79, s[0:3], 0 offen offset:4
	buffer_load_dword v84, v79, s[0:3], 0 offen
	ds_read_b64 v[81:82], v78
	v_add_nc_u32_e32 v77, 1, v77
	v_add_nc_u32_e32 v78, 8, v78
	;; [unrolled: 1-line block ×3, first 2 shown]
	v_cmp_lt_u32_e32 vcc_lo, 14, v77
	s_or_b32 s5, vcc_lo, s5
	s_waitcnt vmcnt(1) lgkmcnt(0)
	v_mul_f32_e32 v85, v82, v83
	v_mul_f32_e32 v83, v81, v83
	s_waitcnt vmcnt(0)
	v_fma_f32 v81, v81, v84, -v85
	v_fmac_f32_e32 v83, v82, v84
	v_add_f32_e32 v80, v80, v81
	v_add_f32_e32 v74, v74, v83
	s_andn2_b32 exec_lo, exec_lo, s5
	s_cbranch_execnz .LBB99_77
; %bb.78:
	s_or_b32 exec_lo, exec_lo, s5
	v_mov_b32_e32 v77, 0
	ds_read_b64 v[77:78], v77 offset:128
	s_waitcnt lgkmcnt(0)
	v_mul_f32_e32 v79, v74, v78
	v_mul_f32_e32 v78, v80, v78
	v_fma_f32 v79, v80, v77, -v79
	v_fmac_f32_e32 v78, v74, v77
	buffer_store_dword v79, off, s[0:3], 0 offset:128
	buffer_store_dword v78, off, s[0:3], 0 offset:132
.LBB99_79:
	s_or_b32 exec_lo, exec_lo, s4
	s_waitcnt_vscnt null, 0x0
	s_barrier
	buffer_gl0_inv
	s_clause 0x1
	buffer_load_dword v77, off, s[0:3], 0 offset:136
	buffer_load_dword v78, off, s[0:3], 0 offset:140
	s_mov_b32 s4, exec_lo
	s_waitcnt vmcnt(0)
	ds_write_b64 v76, v[77:78]
	s_waitcnt lgkmcnt(0)
	s_barrier
	buffer_gl0_inv
	v_cmpx_gt_u32_e32 17, v0
	s_cbranch_execz .LBB99_83
; %bb.80:
	v_add_nc_u32_e32 v77, -1, v0
	v_add_nc_u32_e32 v78, 0x120, v75
	v_mov_b32_e32 v79, v75
	v_mov_b32_e32 v74, 0
	;; [unrolled: 1-line block ×3, first 2 shown]
	s_mov_b32 s5, 0
	.p2align	6
.LBB99_81:                              ; =>This Inner Loop Header: Depth=1
	s_clause 0x1
	buffer_load_dword v83, v79, s[0:3], 0 offen offset:4
	buffer_load_dword v84, v79, s[0:3], 0 offen
	ds_read_b64 v[81:82], v78
	v_add_nc_u32_e32 v77, 1, v77
	v_add_nc_u32_e32 v78, 8, v78
	v_add_nc_u32_e32 v79, 8, v79
	v_cmp_lt_u32_e32 vcc_lo, 15, v77
	s_or_b32 s5, vcc_lo, s5
	s_waitcnt vmcnt(1) lgkmcnt(0)
	v_mul_f32_e32 v85, v82, v83
	v_mul_f32_e32 v83, v81, v83
	s_waitcnt vmcnt(0)
	v_fma_f32 v81, v81, v84, -v85
	v_fmac_f32_e32 v83, v82, v84
	v_add_f32_e32 v80, v80, v81
	v_add_f32_e32 v74, v74, v83
	s_andn2_b32 exec_lo, exec_lo, s5
	s_cbranch_execnz .LBB99_81
; %bb.82:
	s_or_b32 exec_lo, exec_lo, s5
	v_mov_b32_e32 v77, 0
	ds_read_b64 v[77:78], v77 offset:136
	s_waitcnt lgkmcnt(0)
	v_mul_f32_e32 v79, v74, v78
	v_mul_f32_e32 v78, v80, v78
	v_fma_f32 v79, v80, v77, -v79
	v_fmac_f32_e32 v78, v74, v77
	buffer_store_dword v79, off, s[0:3], 0 offset:136
	buffer_store_dword v78, off, s[0:3], 0 offset:140
.LBB99_83:
	s_or_b32 exec_lo, exec_lo, s4
	s_waitcnt_vscnt null, 0x0
	s_barrier
	buffer_gl0_inv
	s_clause 0x1
	buffer_load_dword v77, off, s[0:3], 0 offset:144
	buffer_load_dword v78, off, s[0:3], 0 offset:148
	s_mov_b32 s4, exec_lo
	s_waitcnt vmcnt(0)
	ds_write_b64 v76, v[77:78]
	s_waitcnt lgkmcnt(0)
	s_barrier
	buffer_gl0_inv
	v_cmpx_gt_u32_e32 18, v0
	s_cbranch_execz .LBB99_87
; %bb.84:
	v_add_nc_u32_e32 v77, -1, v0
	v_add_nc_u32_e32 v78, 0x120, v75
	v_mov_b32_e32 v79, v75
	v_mov_b32_e32 v74, 0
	;; [unrolled: 1-line block ×3, first 2 shown]
	s_mov_b32 s5, 0
	.p2align	6
.LBB99_85:                              ; =>This Inner Loop Header: Depth=1
	s_clause 0x1
	buffer_load_dword v83, v79, s[0:3], 0 offen offset:4
	buffer_load_dword v84, v79, s[0:3], 0 offen
	ds_read_b64 v[81:82], v78
	v_add_nc_u32_e32 v77, 1, v77
	v_add_nc_u32_e32 v78, 8, v78
	;; [unrolled: 1-line block ×3, first 2 shown]
	v_cmp_lt_u32_e32 vcc_lo, 16, v77
	s_or_b32 s5, vcc_lo, s5
	s_waitcnt vmcnt(1) lgkmcnt(0)
	v_mul_f32_e32 v85, v82, v83
	v_mul_f32_e32 v83, v81, v83
	s_waitcnt vmcnt(0)
	v_fma_f32 v81, v81, v84, -v85
	v_fmac_f32_e32 v83, v82, v84
	v_add_f32_e32 v80, v80, v81
	v_add_f32_e32 v74, v74, v83
	s_andn2_b32 exec_lo, exec_lo, s5
	s_cbranch_execnz .LBB99_85
; %bb.86:
	s_or_b32 exec_lo, exec_lo, s5
	v_mov_b32_e32 v77, 0
	ds_read_b64 v[77:78], v77 offset:144
	s_waitcnt lgkmcnt(0)
	v_mul_f32_e32 v79, v74, v78
	v_mul_f32_e32 v78, v80, v78
	v_fma_f32 v79, v80, v77, -v79
	v_fmac_f32_e32 v78, v74, v77
	buffer_store_dword v79, off, s[0:3], 0 offset:144
	buffer_store_dword v78, off, s[0:3], 0 offset:148
.LBB99_87:
	s_or_b32 exec_lo, exec_lo, s4
	s_waitcnt_vscnt null, 0x0
	s_barrier
	buffer_gl0_inv
	s_clause 0x1
	buffer_load_dword v77, off, s[0:3], 0 offset:152
	buffer_load_dword v78, off, s[0:3], 0 offset:156
	s_mov_b32 s4, exec_lo
	s_waitcnt vmcnt(0)
	ds_write_b64 v76, v[77:78]
	s_waitcnt lgkmcnt(0)
	s_barrier
	buffer_gl0_inv
	v_cmpx_gt_u32_e32 19, v0
	s_cbranch_execz .LBB99_91
; %bb.88:
	v_add_nc_u32_e32 v77, -1, v0
	v_add_nc_u32_e32 v78, 0x120, v75
	v_mov_b32_e32 v79, v75
	v_mov_b32_e32 v74, 0
	;; [unrolled: 1-line block ×3, first 2 shown]
	s_mov_b32 s5, 0
	.p2align	6
.LBB99_89:                              ; =>This Inner Loop Header: Depth=1
	s_clause 0x1
	buffer_load_dword v83, v79, s[0:3], 0 offen offset:4
	buffer_load_dword v84, v79, s[0:3], 0 offen
	ds_read_b64 v[81:82], v78
	v_add_nc_u32_e32 v77, 1, v77
	v_add_nc_u32_e32 v78, 8, v78
	;; [unrolled: 1-line block ×3, first 2 shown]
	v_cmp_lt_u32_e32 vcc_lo, 17, v77
	s_or_b32 s5, vcc_lo, s5
	s_waitcnt vmcnt(1) lgkmcnt(0)
	v_mul_f32_e32 v85, v82, v83
	v_mul_f32_e32 v83, v81, v83
	s_waitcnt vmcnt(0)
	v_fma_f32 v81, v81, v84, -v85
	v_fmac_f32_e32 v83, v82, v84
	v_add_f32_e32 v80, v80, v81
	v_add_f32_e32 v74, v74, v83
	s_andn2_b32 exec_lo, exec_lo, s5
	s_cbranch_execnz .LBB99_89
; %bb.90:
	s_or_b32 exec_lo, exec_lo, s5
	v_mov_b32_e32 v77, 0
	ds_read_b64 v[77:78], v77 offset:152
	s_waitcnt lgkmcnt(0)
	v_mul_f32_e32 v79, v74, v78
	v_mul_f32_e32 v78, v80, v78
	v_fma_f32 v79, v80, v77, -v79
	v_fmac_f32_e32 v78, v74, v77
	buffer_store_dword v79, off, s[0:3], 0 offset:152
	buffer_store_dword v78, off, s[0:3], 0 offset:156
.LBB99_91:
	s_or_b32 exec_lo, exec_lo, s4
	s_waitcnt_vscnt null, 0x0
	s_barrier
	buffer_gl0_inv
	s_clause 0x1
	buffer_load_dword v77, off, s[0:3], 0 offset:160
	buffer_load_dword v78, off, s[0:3], 0 offset:164
	s_mov_b32 s4, exec_lo
	s_waitcnt vmcnt(0)
	ds_write_b64 v76, v[77:78]
	s_waitcnt lgkmcnt(0)
	s_barrier
	buffer_gl0_inv
	v_cmpx_gt_u32_e32 20, v0
	s_cbranch_execz .LBB99_95
; %bb.92:
	v_add_nc_u32_e32 v77, -1, v0
	v_add_nc_u32_e32 v78, 0x120, v75
	v_mov_b32_e32 v79, v75
	v_mov_b32_e32 v74, 0
	;; [unrolled: 1-line block ×3, first 2 shown]
	s_mov_b32 s5, 0
	.p2align	6
.LBB99_93:                              ; =>This Inner Loop Header: Depth=1
	s_clause 0x1
	buffer_load_dword v83, v79, s[0:3], 0 offen offset:4
	buffer_load_dword v84, v79, s[0:3], 0 offen
	ds_read_b64 v[81:82], v78
	v_add_nc_u32_e32 v77, 1, v77
	v_add_nc_u32_e32 v78, 8, v78
	;; [unrolled: 1-line block ×3, first 2 shown]
	v_cmp_lt_u32_e32 vcc_lo, 18, v77
	s_or_b32 s5, vcc_lo, s5
	s_waitcnt vmcnt(1) lgkmcnt(0)
	v_mul_f32_e32 v85, v82, v83
	v_mul_f32_e32 v83, v81, v83
	s_waitcnt vmcnt(0)
	v_fma_f32 v81, v81, v84, -v85
	v_fmac_f32_e32 v83, v82, v84
	v_add_f32_e32 v80, v80, v81
	v_add_f32_e32 v74, v74, v83
	s_andn2_b32 exec_lo, exec_lo, s5
	s_cbranch_execnz .LBB99_93
; %bb.94:
	s_or_b32 exec_lo, exec_lo, s5
	v_mov_b32_e32 v77, 0
	ds_read_b64 v[77:78], v77 offset:160
	s_waitcnt lgkmcnt(0)
	v_mul_f32_e32 v79, v74, v78
	v_mul_f32_e32 v78, v80, v78
	v_fma_f32 v79, v80, v77, -v79
	v_fmac_f32_e32 v78, v74, v77
	buffer_store_dword v79, off, s[0:3], 0 offset:160
	buffer_store_dword v78, off, s[0:3], 0 offset:164
.LBB99_95:
	s_or_b32 exec_lo, exec_lo, s4
	s_waitcnt_vscnt null, 0x0
	s_barrier
	buffer_gl0_inv
	s_clause 0x1
	buffer_load_dword v77, off, s[0:3], 0 offset:168
	buffer_load_dword v78, off, s[0:3], 0 offset:172
	s_mov_b32 s4, exec_lo
	s_waitcnt vmcnt(0)
	ds_write_b64 v76, v[77:78]
	s_waitcnt lgkmcnt(0)
	s_barrier
	buffer_gl0_inv
	v_cmpx_gt_u32_e32 21, v0
	s_cbranch_execz .LBB99_99
; %bb.96:
	v_add_nc_u32_e32 v77, -1, v0
	v_add_nc_u32_e32 v78, 0x120, v75
	v_mov_b32_e32 v79, v75
	v_mov_b32_e32 v74, 0
	;; [unrolled: 1-line block ×3, first 2 shown]
	s_mov_b32 s5, 0
	.p2align	6
.LBB99_97:                              ; =>This Inner Loop Header: Depth=1
	s_clause 0x1
	buffer_load_dword v83, v79, s[0:3], 0 offen offset:4
	buffer_load_dword v84, v79, s[0:3], 0 offen
	ds_read_b64 v[81:82], v78
	v_add_nc_u32_e32 v77, 1, v77
	v_add_nc_u32_e32 v78, 8, v78
	v_add_nc_u32_e32 v79, 8, v79
	v_cmp_lt_u32_e32 vcc_lo, 19, v77
	s_or_b32 s5, vcc_lo, s5
	s_waitcnt vmcnt(1) lgkmcnt(0)
	v_mul_f32_e32 v85, v82, v83
	v_mul_f32_e32 v83, v81, v83
	s_waitcnt vmcnt(0)
	v_fma_f32 v81, v81, v84, -v85
	v_fmac_f32_e32 v83, v82, v84
	v_add_f32_e32 v80, v80, v81
	v_add_f32_e32 v74, v74, v83
	s_andn2_b32 exec_lo, exec_lo, s5
	s_cbranch_execnz .LBB99_97
; %bb.98:
	s_or_b32 exec_lo, exec_lo, s5
	v_mov_b32_e32 v77, 0
	ds_read_b64 v[77:78], v77 offset:168
	s_waitcnt lgkmcnt(0)
	v_mul_f32_e32 v79, v74, v78
	v_mul_f32_e32 v78, v80, v78
	v_fma_f32 v79, v80, v77, -v79
	v_fmac_f32_e32 v78, v74, v77
	buffer_store_dword v79, off, s[0:3], 0 offset:168
	buffer_store_dword v78, off, s[0:3], 0 offset:172
.LBB99_99:
	s_or_b32 exec_lo, exec_lo, s4
	s_waitcnt_vscnt null, 0x0
	s_barrier
	buffer_gl0_inv
	s_clause 0x1
	buffer_load_dword v77, off, s[0:3], 0 offset:176
	buffer_load_dword v78, off, s[0:3], 0 offset:180
	s_mov_b32 s4, exec_lo
	s_waitcnt vmcnt(0)
	ds_write_b64 v76, v[77:78]
	s_waitcnt lgkmcnt(0)
	s_barrier
	buffer_gl0_inv
	v_cmpx_gt_u32_e32 22, v0
	s_cbranch_execz .LBB99_103
; %bb.100:
	v_add_nc_u32_e32 v77, -1, v0
	v_add_nc_u32_e32 v78, 0x120, v75
	v_mov_b32_e32 v79, v75
	v_mov_b32_e32 v74, 0
	;; [unrolled: 1-line block ×3, first 2 shown]
	s_mov_b32 s5, 0
	.p2align	6
.LBB99_101:                             ; =>This Inner Loop Header: Depth=1
	s_clause 0x1
	buffer_load_dword v83, v79, s[0:3], 0 offen offset:4
	buffer_load_dword v84, v79, s[0:3], 0 offen
	ds_read_b64 v[81:82], v78
	v_add_nc_u32_e32 v77, 1, v77
	v_add_nc_u32_e32 v78, 8, v78
	;; [unrolled: 1-line block ×3, first 2 shown]
	v_cmp_lt_u32_e32 vcc_lo, 20, v77
	s_or_b32 s5, vcc_lo, s5
	s_waitcnt vmcnt(1) lgkmcnt(0)
	v_mul_f32_e32 v85, v82, v83
	v_mul_f32_e32 v83, v81, v83
	s_waitcnt vmcnt(0)
	v_fma_f32 v81, v81, v84, -v85
	v_fmac_f32_e32 v83, v82, v84
	v_add_f32_e32 v80, v80, v81
	v_add_f32_e32 v74, v74, v83
	s_andn2_b32 exec_lo, exec_lo, s5
	s_cbranch_execnz .LBB99_101
; %bb.102:
	s_or_b32 exec_lo, exec_lo, s5
	v_mov_b32_e32 v77, 0
	ds_read_b64 v[77:78], v77 offset:176
	s_waitcnt lgkmcnt(0)
	v_mul_f32_e32 v79, v74, v78
	v_mul_f32_e32 v78, v80, v78
	v_fma_f32 v79, v80, v77, -v79
	v_fmac_f32_e32 v78, v74, v77
	buffer_store_dword v79, off, s[0:3], 0 offset:176
	buffer_store_dword v78, off, s[0:3], 0 offset:180
.LBB99_103:
	s_or_b32 exec_lo, exec_lo, s4
	s_waitcnt_vscnt null, 0x0
	s_barrier
	buffer_gl0_inv
	s_clause 0x1
	buffer_load_dword v77, off, s[0:3], 0 offset:184
	buffer_load_dword v78, off, s[0:3], 0 offset:188
	s_mov_b32 s4, exec_lo
	s_waitcnt vmcnt(0)
	ds_write_b64 v76, v[77:78]
	s_waitcnt lgkmcnt(0)
	s_barrier
	buffer_gl0_inv
	v_cmpx_gt_u32_e32 23, v0
	s_cbranch_execz .LBB99_107
; %bb.104:
	v_add_nc_u32_e32 v77, -1, v0
	v_add_nc_u32_e32 v78, 0x120, v75
	v_mov_b32_e32 v79, v75
	v_mov_b32_e32 v74, 0
	;; [unrolled: 1-line block ×3, first 2 shown]
	s_mov_b32 s5, 0
	.p2align	6
.LBB99_105:                             ; =>This Inner Loop Header: Depth=1
	s_clause 0x1
	buffer_load_dword v83, v79, s[0:3], 0 offen offset:4
	buffer_load_dword v84, v79, s[0:3], 0 offen
	ds_read_b64 v[81:82], v78
	v_add_nc_u32_e32 v77, 1, v77
	v_add_nc_u32_e32 v78, 8, v78
	;; [unrolled: 1-line block ×3, first 2 shown]
	v_cmp_lt_u32_e32 vcc_lo, 21, v77
	s_or_b32 s5, vcc_lo, s5
	s_waitcnt vmcnt(1) lgkmcnt(0)
	v_mul_f32_e32 v85, v82, v83
	v_mul_f32_e32 v83, v81, v83
	s_waitcnt vmcnt(0)
	v_fma_f32 v81, v81, v84, -v85
	v_fmac_f32_e32 v83, v82, v84
	v_add_f32_e32 v80, v80, v81
	v_add_f32_e32 v74, v74, v83
	s_andn2_b32 exec_lo, exec_lo, s5
	s_cbranch_execnz .LBB99_105
; %bb.106:
	s_or_b32 exec_lo, exec_lo, s5
	v_mov_b32_e32 v77, 0
	ds_read_b64 v[77:78], v77 offset:184
	s_waitcnt lgkmcnt(0)
	v_mul_f32_e32 v79, v74, v78
	v_mul_f32_e32 v78, v80, v78
	v_fma_f32 v79, v80, v77, -v79
	v_fmac_f32_e32 v78, v74, v77
	buffer_store_dword v79, off, s[0:3], 0 offset:184
	buffer_store_dword v78, off, s[0:3], 0 offset:188
.LBB99_107:
	s_or_b32 exec_lo, exec_lo, s4
	s_waitcnt_vscnt null, 0x0
	s_barrier
	buffer_gl0_inv
	s_clause 0x1
	buffer_load_dword v77, off, s[0:3], 0 offset:192
	buffer_load_dword v78, off, s[0:3], 0 offset:196
	s_mov_b32 s4, exec_lo
	s_waitcnt vmcnt(0)
	ds_write_b64 v76, v[77:78]
	s_waitcnt lgkmcnt(0)
	s_barrier
	buffer_gl0_inv
	v_cmpx_gt_u32_e32 24, v0
	s_cbranch_execz .LBB99_111
; %bb.108:
	v_add_nc_u32_e32 v77, -1, v0
	v_add_nc_u32_e32 v78, 0x120, v75
	v_mov_b32_e32 v79, v75
	v_mov_b32_e32 v74, 0
	;; [unrolled: 1-line block ×3, first 2 shown]
	s_mov_b32 s5, 0
	.p2align	6
.LBB99_109:                             ; =>This Inner Loop Header: Depth=1
	s_clause 0x1
	buffer_load_dword v83, v79, s[0:3], 0 offen offset:4
	buffer_load_dword v84, v79, s[0:3], 0 offen
	ds_read_b64 v[81:82], v78
	v_add_nc_u32_e32 v77, 1, v77
	v_add_nc_u32_e32 v78, 8, v78
	;; [unrolled: 1-line block ×3, first 2 shown]
	v_cmp_lt_u32_e32 vcc_lo, 22, v77
	s_or_b32 s5, vcc_lo, s5
	s_waitcnt vmcnt(1) lgkmcnt(0)
	v_mul_f32_e32 v85, v82, v83
	v_mul_f32_e32 v83, v81, v83
	s_waitcnt vmcnt(0)
	v_fma_f32 v81, v81, v84, -v85
	v_fmac_f32_e32 v83, v82, v84
	v_add_f32_e32 v80, v80, v81
	v_add_f32_e32 v74, v74, v83
	s_andn2_b32 exec_lo, exec_lo, s5
	s_cbranch_execnz .LBB99_109
; %bb.110:
	s_or_b32 exec_lo, exec_lo, s5
	v_mov_b32_e32 v77, 0
	ds_read_b64 v[77:78], v77 offset:192
	s_waitcnt lgkmcnt(0)
	v_mul_f32_e32 v79, v74, v78
	v_mul_f32_e32 v78, v80, v78
	v_fma_f32 v79, v80, v77, -v79
	v_fmac_f32_e32 v78, v74, v77
	buffer_store_dword v79, off, s[0:3], 0 offset:192
	buffer_store_dword v78, off, s[0:3], 0 offset:196
.LBB99_111:
	s_or_b32 exec_lo, exec_lo, s4
	s_waitcnt_vscnt null, 0x0
	s_barrier
	buffer_gl0_inv
	s_clause 0x1
	buffer_load_dword v77, off, s[0:3], 0 offset:200
	buffer_load_dword v78, off, s[0:3], 0 offset:204
	s_mov_b32 s4, exec_lo
	s_waitcnt vmcnt(0)
	ds_write_b64 v76, v[77:78]
	s_waitcnt lgkmcnt(0)
	s_barrier
	buffer_gl0_inv
	v_cmpx_gt_u32_e32 25, v0
	s_cbranch_execz .LBB99_115
; %bb.112:
	v_add_nc_u32_e32 v77, -1, v0
	v_add_nc_u32_e32 v78, 0x120, v75
	v_mov_b32_e32 v79, v75
	v_mov_b32_e32 v74, 0
	;; [unrolled: 1-line block ×3, first 2 shown]
	s_mov_b32 s5, 0
	.p2align	6
.LBB99_113:                             ; =>This Inner Loop Header: Depth=1
	s_clause 0x1
	buffer_load_dword v83, v79, s[0:3], 0 offen offset:4
	buffer_load_dword v84, v79, s[0:3], 0 offen
	ds_read_b64 v[81:82], v78
	v_add_nc_u32_e32 v77, 1, v77
	v_add_nc_u32_e32 v78, 8, v78
	;; [unrolled: 1-line block ×3, first 2 shown]
	v_cmp_lt_u32_e32 vcc_lo, 23, v77
	s_or_b32 s5, vcc_lo, s5
	s_waitcnt vmcnt(1) lgkmcnt(0)
	v_mul_f32_e32 v85, v82, v83
	v_mul_f32_e32 v83, v81, v83
	s_waitcnt vmcnt(0)
	v_fma_f32 v81, v81, v84, -v85
	v_fmac_f32_e32 v83, v82, v84
	v_add_f32_e32 v80, v80, v81
	v_add_f32_e32 v74, v74, v83
	s_andn2_b32 exec_lo, exec_lo, s5
	s_cbranch_execnz .LBB99_113
; %bb.114:
	s_or_b32 exec_lo, exec_lo, s5
	v_mov_b32_e32 v77, 0
	ds_read_b64 v[77:78], v77 offset:200
	s_waitcnt lgkmcnt(0)
	v_mul_f32_e32 v79, v74, v78
	v_mul_f32_e32 v78, v80, v78
	v_fma_f32 v79, v80, v77, -v79
	v_fmac_f32_e32 v78, v74, v77
	buffer_store_dword v79, off, s[0:3], 0 offset:200
	buffer_store_dword v78, off, s[0:3], 0 offset:204
.LBB99_115:
	s_or_b32 exec_lo, exec_lo, s4
	s_waitcnt_vscnt null, 0x0
	s_barrier
	buffer_gl0_inv
	s_clause 0x1
	buffer_load_dword v77, off, s[0:3], 0 offset:208
	buffer_load_dword v78, off, s[0:3], 0 offset:212
	s_mov_b32 s4, exec_lo
	s_waitcnt vmcnt(0)
	ds_write_b64 v76, v[77:78]
	s_waitcnt lgkmcnt(0)
	s_barrier
	buffer_gl0_inv
	v_cmpx_gt_u32_e32 26, v0
	s_cbranch_execz .LBB99_119
; %bb.116:
	v_add_nc_u32_e32 v77, -1, v0
	v_add_nc_u32_e32 v78, 0x120, v75
	v_mov_b32_e32 v79, v75
	v_mov_b32_e32 v74, 0
	;; [unrolled: 1-line block ×3, first 2 shown]
	s_mov_b32 s5, 0
	.p2align	6
.LBB99_117:                             ; =>This Inner Loop Header: Depth=1
	s_clause 0x1
	buffer_load_dword v83, v79, s[0:3], 0 offen offset:4
	buffer_load_dword v84, v79, s[0:3], 0 offen
	ds_read_b64 v[81:82], v78
	v_add_nc_u32_e32 v77, 1, v77
	v_add_nc_u32_e32 v78, 8, v78
	;; [unrolled: 1-line block ×3, first 2 shown]
	v_cmp_lt_u32_e32 vcc_lo, 24, v77
	s_or_b32 s5, vcc_lo, s5
	s_waitcnt vmcnt(1) lgkmcnt(0)
	v_mul_f32_e32 v85, v82, v83
	v_mul_f32_e32 v83, v81, v83
	s_waitcnt vmcnt(0)
	v_fma_f32 v81, v81, v84, -v85
	v_fmac_f32_e32 v83, v82, v84
	v_add_f32_e32 v80, v80, v81
	v_add_f32_e32 v74, v74, v83
	s_andn2_b32 exec_lo, exec_lo, s5
	s_cbranch_execnz .LBB99_117
; %bb.118:
	s_or_b32 exec_lo, exec_lo, s5
	v_mov_b32_e32 v77, 0
	ds_read_b64 v[77:78], v77 offset:208
	s_waitcnt lgkmcnt(0)
	v_mul_f32_e32 v79, v74, v78
	v_mul_f32_e32 v78, v80, v78
	v_fma_f32 v79, v80, v77, -v79
	v_fmac_f32_e32 v78, v74, v77
	buffer_store_dword v79, off, s[0:3], 0 offset:208
	buffer_store_dword v78, off, s[0:3], 0 offset:212
.LBB99_119:
	s_or_b32 exec_lo, exec_lo, s4
	s_waitcnt_vscnt null, 0x0
	s_barrier
	buffer_gl0_inv
	s_clause 0x1
	buffer_load_dword v77, off, s[0:3], 0 offset:216
	buffer_load_dword v78, off, s[0:3], 0 offset:220
	s_mov_b32 s4, exec_lo
	s_waitcnt vmcnt(0)
	ds_write_b64 v76, v[77:78]
	s_waitcnt lgkmcnt(0)
	s_barrier
	buffer_gl0_inv
	v_cmpx_gt_u32_e32 27, v0
	s_cbranch_execz .LBB99_123
; %bb.120:
	v_add_nc_u32_e32 v77, -1, v0
	v_add_nc_u32_e32 v78, 0x120, v75
	v_mov_b32_e32 v79, v75
	v_mov_b32_e32 v74, 0
	;; [unrolled: 1-line block ×3, first 2 shown]
	s_mov_b32 s5, 0
	.p2align	6
.LBB99_121:                             ; =>This Inner Loop Header: Depth=1
	s_clause 0x1
	buffer_load_dword v83, v79, s[0:3], 0 offen offset:4
	buffer_load_dword v84, v79, s[0:3], 0 offen
	ds_read_b64 v[81:82], v78
	v_add_nc_u32_e32 v77, 1, v77
	v_add_nc_u32_e32 v78, 8, v78
	;; [unrolled: 1-line block ×3, first 2 shown]
	v_cmp_lt_u32_e32 vcc_lo, 25, v77
	s_or_b32 s5, vcc_lo, s5
	s_waitcnt vmcnt(1) lgkmcnt(0)
	v_mul_f32_e32 v85, v82, v83
	v_mul_f32_e32 v83, v81, v83
	s_waitcnt vmcnt(0)
	v_fma_f32 v81, v81, v84, -v85
	v_fmac_f32_e32 v83, v82, v84
	v_add_f32_e32 v80, v80, v81
	v_add_f32_e32 v74, v74, v83
	s_andn2_b32 exec_lo, exec_lo, s5
	s_cbranch_execnz .LBB99_121
; %bb.122:
	s_or_b32 exec_lo, exec_lo, s5
	v_mov_b32_e32 v77, 0
	ds_read_b64 v[77:78], v77 offset:216
	s_waitcnt lgkmcnt(0)
	v_mul_f32_e32 v79, v74, v78
	v_mul_f32_e32 v78, v80, v78
	v_fma_f32 v79, v80, v77, -v79
	v_fmac_f32_e32 v78, v74, v77
	buffer_store_dword v79, off, s[0:3], 0 offset:216
	buffer_store_dword v78, off, s[0:3], 0 offset:220
.LBB99_123:
	s_or_b32 exec_lo, exec_lo, s4
	s_waitcnt_vscnt null, 0x0
	s_barrier
	buffer_gl0_inv
	s_clause 0x1
	buffer_load_dword v77, off, s[0:3], 0 offset:224
	buffer_load_dword v78, off, s[0:3], 0 offset:228
	s_mov_b32 s4, exec_lo
	s_waitcnt vmcnt(0)
	ds_write_b64 v76, v[77:78]
	s_waitcnt lgkmcnt(0)
	s_barrier
	buffer_gl0_inv
	v_cmpx_gt_u32_e32 28, v0
	s_cbranch_execz .LBB99_127
; %bb.124:
	v_add_nc_u32_e32 v77, -1, v0
	v_add_nc_u32_e32 v78, 0x120, v75
	v_mov_b32_e32 v79, v75
	v_mov_b32_e32 v74, 0
	v_mov_b32_e32 v80, 0
	s_mov_b32 s5, 0
	.p2align	6
.LBB99_125:                             ; =>This Inner Loop Header: Depth=1
	s_clause 0x1
	buffer_load_dword v83, v79, s[0:3], 0 offen offset:4
	buffer_load_dword v84, v79, s[0:3], 0 offen
	ds_read_b64 v[81:82], v78
	v_add_nc_u32_e32 v77, 1, v77
	v_add_nc_u32_e32 v78, 8, v78
	v_add_nc_u32_e32 v79, 8, v79
	v_cmp_lt_u32_e32 vcc_lo, 26, v77
	s_or_b32 s5, vcc_lo, s5
	s_waitcnt vmcnt(1) lgkmcnt(0)
	v_mul_f32_e32 v85, v82, v83
	v_mul_f32_e32 v83, v81, v83
	s_waitcnt vmcnt(0)
	v_fma_f32 v81, v81, v84, -v85
	v_fmac_f32_e32 v83, v82, v84
	v_add_f32_e32 v80, v80, v81
	v_add_f32_e32 v74, v74, v83
	s_andn2_b32 exec_lo, exec_lo, s5
	s_cbranch_execnz .LBB99_125
; %bb.126:
	s_or_b32 exec_lo, exec_lo, s5
	v_mov_b32_e32 v77, 0
	ds_read_b64 v[77:78], v77 offset:224
	s_waitcnt lgkmcnt(0)
	v_mul_f32_e32 v79, v74, v78
	v_mul_f32_e32 v78, v80, v78
	v_fma_f32 v79, v80, v77, -v79
	v_fmac_f32_e32 v78, v74, v77
	buffer_store_dword v79, off, s[0:3], 0 offset:224
	buffer_store_dword v78, off, s[0:3], 0 offset:228
.LBB99_127:
	s_or_b32 exec_lo, exec_lo, s4
	s_waitcnt_vscnt null, 0x0
	s_barrier
	buffer_gl0_inv
	s_clause 0x1
	buffer_load_dword v77, off, s[0:3], 0 offset:232
	buffer_load_dword v78, off, s[0:3], 0 offset:236
	s_mov_b32 s4, exec_lo
	s_waitcnt vmcnt(0)
	ds_write_b64 v76, v[77:78]
	s_waitcnt lgkmcnt(0)
	s_barrier
	buffer_gl0_inv
	v_cmpx_gt_u32_e32 29, v0
	s_cbranch_execz .LBB99_131
; %bb.128:
	v_add_nc_u32_e32 v77, -1, v0
	v_add_nc_u32_e32 v78, 0x120, v75
	v_mov_b32_e32 v79, v75
	v_mov_b32_e32 v74, 0
	;; [unrolled: 1-line block ×3, first 2 shown]
	s_mov_b32 s5, 0
	.p2align	6
.LBB99_129:                             ; =>This Inner Loop Header: Depth=1
	s_clause 0x1
	buffer_load_dword v83, v79, s[0:3], 0 offen offset:4
	buffer_load_dword v84, v79, s[0:3], 0 offen
	ds_read_b64 v[81:82], v78
	v_add_nc_u32_e32 v77, 1, v77
	v_add_nc_u32_e32 v78, 8, v78
	;; [unrolled: 1-line block ×3, first 2 shown]
	v_cmp_lt_u32_e32 vcc_lo, 27, v77
	s_or_b32 s5, vcc_lo, s5
	s_waitcnt vmcnt(1) lgkmcnt(0)
	v_mul_f32_e32 v85, v82, v83
	v_mul_f32_e32 v83, v81, v83
	s_waitcnt vmcnt(0)
	v_fma_f32 v81, v81, v84, -v85
	v_fmac_f32_e32 v83, v82, v84
	v_add_f32_e32 v80, v80, v81
	v_add_f32_e32 v74, v74, v83
	s_andn2_b32 exec_lo, exec_lo, s5
	s_cbranch_execnz .LBB99_129
; %bb.130:
	s_or_b32 exec_lo, exec_lo, s5
	v_mov_b32_e32 v77, 0
	ds_read_b64 v[77:78], v77 offset:232
	s_waitcnt lgkmcnt(0)
	v_mul_f32_e32 v79, v74, v78
	v_mul_f32_e32 v78, v80, v78
	v_fma_f32 v79, v80, v77, -v79
	v_fmac_f32_e32 v78, v74, v77
	buffer_store_dword v79, off, s[0:3], 0 offset:232
	buffer_store_dword v78, off, s[0:3], 0 offset:236
.LBB99_131:
	s_or_b32 exec_lo, exec_lo, s4
	s_waitcnt_vscnt null, 0x0
	s_barrier
	buffer_gl0_inv
	s_clause 0x1
	buffer_load_dword v77, off, s[0:3], 0 offset:240
	buffer_load_dword v78, off, s[0:3], 0 offset:244
	s_mov_b32 s4, exec_lo
	s_waitcnt vmcnt(0)
	ds_write_b64 v76, v[77:78]
	s_waitcnt lgkmcnt(0)
	s_barrier
	buffer_gl0_inv
	v_cmpx_gt_u32_e32 30, v0
	s_cbranch_execz .LBB99_135
; %bb.132:
	v_add_nc_u32_e32 v77, -1, v0
	v_add_nc_u32_e32 v78, 0x120, v75
	v_mov_b32_e32 v79, v75
	v_mov_b32_e32 v74, 0
	;; [unrolled: 1-line block ×3, first 2 shown]
	s_mov_b32 s5, 0
	.p2align	6
.LBB99_133:                             ; =>This Inner Loop Header: Depth=1
	s_clause 0x1
	buffer_load_dword v83, v79, s[0:3], 0 offen offset:4
	buffer_load_dword v84, v79, s[0:3], 0 offen
	ds_read_b64 v[81:82], v78
	v_add_nc_u32_e32 v77, 1, v77
	v_add_nc_u32_e32 v78, 8, v78
	;; [unrolled: 1-line block ×3, first 2 shown]
	v_cmp_lt_u32_e32 vcc_lo, 28, v77
	s_or_b32 s5, vcc_lo, s5
	s_waitcnt vmcnt(1) lgkmcnt(0)
	v_mul_f32_e32 v85, v82, v83
	v_mul_f32_e32 v83, v81, v83
	s_waitcnt vmcnt(0)
	v_fma_f32 v81, v81, v84, -v85
	v_fmac_f32_e32 v83, v82, v84
	v_add_f32_e32 v80, v80, v81
	v_add_f32_e32 v74, v74, v83
	s_andn2_b32 exec_lo, exec_lo, s5
	s_cbranch_execnz .LBB99_133
; %bb.134:
	s_or_b32 exec_lo, exec_lo, s5
	v_mov_b32_e32 v77, 0
	ds_read_b64 v[77:78], v77 offset:240
	s_waitcnt lgkmcnt(0)
	v_mul_f32_e32 v79, v74, v78
	v_mul_f32_e32 v78, v80, v78
	v_fma_f32 v79, v80, v77, -v79
	v_fmac_f32_e32 v78, v74, v77
	buffer_store_dword v79, off, s[0:3], 0 offset:240
	buffer_store_dword v78, off, s[0:3], 0 offset:244
.LBB99_135:
	s_or_b32 exec_lo, exec_lo, s4
	s_waitcnt_vscnt null, 0x0
	s_barrier
	buffer_gl0_inv
	s_clause 0x1
	buffer_load_dword v77, off, s[0:3], 0 offset:248
	buffer_load_dword v78, off, s[0:3], 0 offset:252
	s_mov_b32 s4, exec_lo
	s_waitcnt vmcnt(0)
	ds_write_b64 v76, v[77:78]
	s_waitcnt lgkmcnt(0)
	s_barrier
	buffer_gl0_inv
	v_cmpx_gt_u32_e32 31, v0
	s_cbranch_execz .LBB99_139
; %bb.136:
	v_add_nc_u32_e32 v77, -1, v0
	v_add_nc_u32_e32 v78, 0x120, v75
	v_mov_b32_e32 v79, v75
	v_mov_b32_e32 v74, 0
	v_mov_b32_e32 v80, 0
	s_mov_b32 s5, 0
	.p2align	6
.LBB99_137:                             ; =>This Inner Loop Header: Depth=1
	s_clause 0x1
	buffer_load_dword v83, v79, s[0:3], 0 offen offset:4
	buffer_load_dword v84, v79, s[0:3], 0 offen
	ds_read_b64 v[81:82], v78
	v_add_nc_u32_e32 v77, 1, v77
	v_add_nc_u32_e32 v78, 8, v78
	v_add_nc_u32_e32 v79, 8, v79
	v_cmp_lt_u32_e32 vcc_lo, 29, v77
	s_or_b32 s5, vcc_lo, s5
	s_waitcnt vmcnt(1) lgkmcnt(0)
	v_mul_f32_e32 v85, v82, v83
	v_mul_f32_e32 v83, v81, v83
	s_waitcnt vmcnt(0)
	v_fma_f32 v81, v81, v84, -v85
	v_fmac_f32_e32 v83, v82, v84
	v_add_f32_e32 v80, v80, v81
	v_add_f32_e32 v74, v74, v83
	s_andn2_b32 exec_lo, exec_lo, s5
	s_cbranch_execnz .LBB99_137
; %bb.138:
	s_or_b32 exec_lo, exec_lo, s5
	v_mov_b32_e32 v77, 0
	ds_read_b64 v[77:78], v77 offset:248
	s_waitcnt lgkmcnt(0)
	v_mul_f32_e32 v79, v74, v78
	v_mul_f32_e32 v78, v80, v78
	v_fma_f32 v79, v80, v77, -v79
	v_fmac_f32_e32 v78, v74, v77
	buffer_store_dword v79, off, s[0:3], 0 offset:248
	buffer_store_dword v78, off, s[0:3], 0 offset:252
.LBB99_139:
	s_or_b32 exec_lo, exec_lo, s4
	s_waitcnt_vscnt null, 0x0
	s_barrier
	buffer_gl0_inv
	s_clause 0x1
	buffer_load_dword v77, off, s[0:3], 0 offset:256
	buffer_load_dword v78, off, s[0:3], 0 offset:260
	s_mov_b32 s4, exec_lo
	s_waitcnt vmcnt(0)
	ds_write_b64 v76, v[77:78]
	s_waitcnt lgkmcnt(0)
	s_barrier
	buffer_gl0_inv
	v_cmpx_gt_u32_e32 32, v0
	s_cbranch_execz .LBB99_143
; %bb.140:
	v_add_nc_u32_e32 v77, -1, v0
	v_add_nc_u32_e32 v78, 0x120, v75
	v_mov_b32_e32 v79, v75
	v_mov_b32_e32 v74, 0
	;; [unrolled: 1-line block ×3, first 2 shown]
	s_mov_b32 s5, 0
	.p2align	6
.LBB99_141:                             ; =>This Inner Loop Header: Depth=1
	s_clause 0x1
	buffer_load_dword v83, v79, s[0:3], 0 offen offset:4
	buffer_load_dword v84, v79, s[0:3], 0 offen
	ds_read_b64 v[81:82], v78
	v_add_nc_u32_e32 v77, 1, v77
	v_add_nc_u32_e32 v78, 8, v78
	;; [unrolled: 1-line block ×3, first 2 shown]
	v_cmp_lt_u32_e32 vcc_lo, 30, v77
	s_or_b32 s5, vcc_lo, s5
	s_waitcnt vmcnt(1) lgkmcnt(0)
	v_mul_f32_e32 v85, v82, v83
	v_mul_f32_e32 v83, v81, v83
	s_waitcnt vmcnt(0)
	v_fma_f32 v81, v81, v84, -v85
	v_fmac_f32_e32 v83, v82, v84
	v_add_f32_e32 v80, v80, v81
	v_add_f32_e32 v74, v74, v83
	s_andn2_b32 exec_lo, exec_lo, s5
	s_cbranch_execnz .LBB99_141
; %bb.142:
	s_or_b32 exec_lo, exec_lo, s5
	v_mov_b32_e32 v77, 0
	ds_read_b64 v[77:78], v77 offset:256
	s_waitcnt lgkmcnt(0)
	v_mul_f32_e32 v79, v74, v78
	v_mul_f32_e32 v78, v80, v78
	v_fma_f32 v79, v80, v77, -v79
	v_fmac_f32_e32 v78, v74, v77
	buffer_store_dword v79, off, s[0:3], 0 offset:256
	buffer_store_dword v78, off, s[0:3], 0 offset:260
.LBB99_143:
	s_or_b32 exec_lo, exec_lo, s4
	s_waitcnt_vscnt null, 0x0
	s_barrier
	buffer_gl0_inv
	s_clause 0x1
	buffer_load_dword v77, off, s[0:3], 0 offset:264
	buffer_load_dword v78, off, s[0:3], 0 offset:268
	s_mov_b32 s4, exec_lo
	s_waitcnt vmcnt(0)
	ds_write_b64 v76, v[77:78]
	s_waitcnt lgkmcnt(0)
	s_barrier
	buffer_gl0_inv
	v_cmpx_gt_u32_e32 33, v0
	s_cbranch_execz .LBB99_147
; %bb.144:
	v_add_nc_u32_e32 v77, -1, v0
	v_add_nc_u32_e32 v78, 0x120, v75
	v_mov_b32_e32 v79, v75
	v_mov_b32_e32 v74, 0
	v_mov_b32_e32 v80, 0
	s_mov_b32 s5, 0
	.p2align	6
.LBB99_145:                             ; =>This Inner Loop Header: Depth=1
	s_clause 0x1
	buffer_load_dword v83, v79, s[0:3], 0 offen offset:4
	buffer_load_dword v84, v79, s[0:3], 0 offen
	ds_read_b64 v[81:82], v78
	v_add_nc_u32_e32 v77, 1, v77
	v_add_nc_u32_e32 v78, 8, v78
	v_add_nc_u32_e32 v79, 8, v79
	v_cmp_lt_u32_e32 vcc_lo, 31, v77
	s_or_b32 s5, vcc_lo, s5
	s_waitcnt vmcnt(1) lgkmcnt(0)
	v_mul_f32_e32 v85, v82, v83
	v_mul_f32_e32 v83, v81, v83
	s_waitcnt vmcnt(0)
	v_fma_f32 v81, v81, v84, -v85
	v_fmac_f32_e32 v83, v82, v84
	v_add_f32_e32 v80, v80, v81
	v_add_f32_e32 v74, v74, v83
	s_andn2_b32 exec_lo, exec_lo, s5
	s_cbranch_execnz .LBB99_145
; %bb.146:
	s_or_b32 exec_lo, exec_lo, s5
	v_mov_b32_e32 v77, 0
	ds_read_b64 v[77:78], v77 offset:264
	s_waitcnt lgkmcnt(0)
	v_mul_f32_e32 v79, v74, v78
	v_mul_f32_e32 v78, v80, v78
	v_fma_f32 v79, v80, v77, -v79
	v_fmac_f32_e32 v78, v74, v77
	buffer_store_dword v79, off, s[0:3], 0 offset:264
	buffer_store_dword v78, off, s[0:3], 0 offset:268
.LBB99_147:
	s_or_b32 exec_lo, exec_lo, s4
	s_waitcnt_vscnt null, 0x0
	s_barrier
	buffer_gl0_inv
	s_clause 0x1
	buffer_load_dword v77, off, s[0:3], 0 offset:272
	buffer_load_dword v78, off, s[0:3], 0 offset:276
	s_mov_b32 s4, exec_lo
	s_waitcnt vmcnt(0)
	ds_write_b64 v76, v[77:78]
	s_waitcnt lgkmcnt(0)
	s_barrier
	buffer_gl0_inv
	v_cmpx_gt_u32_e32 34, v0
	s_cbranch_execz .LBB99_151
; %bb.148:
	v_add_nc_u32_e32 v77, -1, v0
	v_add_nc_u32_e32 v78, 0x120, v75
	v_mov_b32_e32 v79, v75
	v_mov_b32_e32 v74, 0
	;; [unrolled: 1-line block ×3, first 2 shown]
	s_mov_b32 s5, 0
	.p2align	6
.LBB99_149:                             ; =>This Inner Loop Header: Depth=1
	s_clause 0x1
	buffer_load_dword v83, v79, s[0:3], 0 offen offset:4
	buffer_load_dword v84, v79, s[0:3], 0 offen
	ds_read_b64 v[81:82], v78
	v_add_nc_u32_e32 v77, 1, v77
	v_add_nc_u32_e32 v78, 8, v78
	;; [unrolled: 1-line block ×3, first 2 shown]
	v_cmp_lt_u32_e32 vcc_lo, 32, v77
	s_or_b32 s5, vcc_lo, s5
	s_waitcnt vmcnt(1) lgkmcnt(0)
	v_mul_f32_e32 v85, v82, v83
	v_mul_f32_e32 v83, v81, v83
	s_waitcnt vmcnt(0)
	v_fma_f32 v81, v81, v84, -v85
	v_fmac_f32_e32 v83, v82, v84
	v_add_f32_e32 v80, v80, v81
	v_add_f32_e32 v74, v74, v83
	s_andn2_b32 exec_lo, exec_lo, s5
	s_cbranch_execnz .LBB99_149
; %bb.150:
	s_or_b32 exec_lo, exec_lo, s5
	v_mov_b32_e32 v77, 0
	ds_read_b64 v[77:78], v77 offset:272
	s_waitcnt lgkmcnt(0)
	v_mul_f32_e32 v79, v74, v78
	v_mul_f32_e32 v78, v80, v78
	v_fma_f32 v79, v80, v77, -v79
	v_fmac_f32_e32 v78, v74, v77
	buffer_store_dword v79, off, s[0:3], 0 offset:272
	buffer_store_dword v78, off, s[0:3], 0 offset:276
.LBB99_151:
	s_or_b32 exec_lo, exec_lo, s4
	s_waitcnt_vscnt null, 0x0
	s_barrier
	buffer_gl0_inv
	s_clause 0x1
	buffer_load_dword v77, off, s[0:3], 0 offset:280
	buffer_load_dword v78, off, s[0:3], 0 offset:284
	s_mov_b32 s4, exec_lo
	s_waitcnt vmcnt(0)
	ds_write_b64 v76, v[77:78]
	s_waitcnt lgkmcnt(0)
	s_barrier
	buffer_gl0_inv
	v_cmpx_ne_u32_e32 35, v0
	s_cbranch_execz .LBB99_155
; %bb.152:
	v_mov_b32_e32 v74, 0
	v_mov_b32_e32 v77, 0
	s_mov_b32 s5, 0
	.p2align	6
.LBB99_153:                             ; =>This Inner Loop Header: Depth=1
	s_clause 0x1
	buffer_load_dword v80, v75, s[0:3], 0 offen offset:4
	buffer_load_dword v81, v75, s[0:3], 0 offen
	ds_read_b64 v[78:79], v76
	v_add_nc_u32_e32 v73, 1, v73
	v_add_nc_u32_e32 v76, 8, v76
	;; [unrolled: 1-line block ×3, first 2 shown]
	v_cmp_lt_u32_e32 vcc_lo, 33, v73
	s_or_b32 s5, vcc_lo, s5
	s_waitcnt vmcnt(1) lgkmcnt(0)
	v_mul_f32_e32 v82, v79, v80
	v_mul_f32_e32 v80, v78, v80
	s_waitcnt vmcnt(0)
	v_fma_f32 v78, v78, v81, -v82
	v_fmac_f32_e32 v80, v79, v81
	v_add_f32_e32 v77, v77, v78
	v_add_f32_e32 v74, v74, v80
	s_andn2_b32 exec_lo, exec_lo, s5
	s_cbranch_execnz .LBB99_153
; %bb.154:
	s_or_b32 exec_lo, exec_lo, s5
	v_mov_b32_e32 v73, 0
	ds_read_b64 v[75:76], v73 offset:280
	s_waitcnt lgkmcnt(0)
	v_mul_f32_e32 v73, v74, v76
	v_mul_f32_e32 v76, v77, v76
	v_fma_f32 v73, v77, v75, -v73
	v_fmac_f32_e32 v76, v74, v75
	buffer_store_dword v73, off, s[0:3], 0 offset:280
	buffer_store_dword v76, off, s[0:3], 0 offset:284
.LBB99_155:
	s_or_b32 exec_lo, exec_lo, s4
	s_mov_b32 s5, -1
	s_waitcnt_vscnt null, 0x0
	s_barrier
	buffer_gl0_inv
.LBB99_156:
	s_and_b32 vcc_lo, exec_lo, s5
	s_cbranch_vccz .LBB99_158
; %bb.157:
	s_lshl_b64 s[4:5], s[6:7], 2
	v_mov_b32_e32 v73, 0
	s_add_u32 s4, s10, s4
	s_addc_u32 s5, s11, s5
	global_load_dword v73, v73, s[4:5]
	s_waitcnt vmcnt(0)
	v_cmp_ne_u32_e32 vcc_lo, 0, v73
	s_cbranch_vccz .LBB99_159
.LBB99_158:
	s_endpgm
.LBB99_159:
	v_lshl_add_u32 v73, v0, 3, 0x120
	s_mov_b32 s4, exec_lo
	v_cmpx_eq_u32_e32 35, v0
	s_cbranch_execz .LBB99_161
; %bb.160:
	s_clause 0x1
	buffer_load_dword v74, off, s[0:3], 0 offset:272
	buffer_load_dword v75, off, s[0:3], 0 offset:276
	v_mov_b32_e32 v76, 0
	buffer_store_dword v76, off, s[0:3], 0 offset:272
	buffer_store_dword v76, off, s[0:3], 0 offset:276
	s_waitcnt vmcnt(0)
	ds_write_b64 v73, v[74:75]
.LBB99_161:
	s_or_b32 exec_lo, exec_lo, s4
	s_waitcnt lgkmcnt(0)
	s_waitcnt_vscnt null, 0x0
	s_barrier
	buffer_gl0_inv
	s_clause 0x3
	buffer_load_dword v77, off, s[0:3], 0 offset:284
	buffer_load_dword v78, off, s[0:3], 0 offset:280
	;; [unrolled: 1-line block ×4, first 2 shown]
	v_mov_b32_e32 v74, 0
	s_mov_b32 s4, exec_lo
	ds_read_b64 v[75:76], v74 offset:568
	s_waitcnt vmcnt(3) lgkmcnt(0)
	v_mul_f32_e32 v81, v76, v77
	v_mul_f32_e32 v77, v75, v77
	s_waitcnt vmcnt(2)
	v_fma_f32 v75, v75, v78, -v81
	v_fmac_f32_e32 v77, v76, v78
	v_add_f32_e32 v75, 0, v75
	v_add_f32_e32 v76, 0, v77
	s_waitcnt vmcnt(1)
	v_sub_f32_e32 v75, v79, v75
	s_waitcnt vmcnt(0)
	v_sub_f32_e32 v76, v80, v76
	buffer_store_dword v75, off, s[0:3], 0 offset:272
	buffer_store_dword v76, off, s[0:3], 0 offset:276
	v_cmpx_lt_u32_e32 33, v0
	s_cbranch_execz .LBB99_163
; %bb.162:
	s_clause 0x1
	buffer_load_dword v75, off, s[0:3], 0 offset:264
	buffer_load_dword v76, off, s[0:3], 0 offset:268
	buffer_store_dword v74, off, s[0:3], 0 offset:264
	buffer_store_dword v74, off, s[0:3], 0 offset:268
	s_waitcnt vmcnt(0)
	ds_write_b64 v73, v[75:76]
.LBB99_163:
	s_or_b32 exec_lo, exec_lo, s4
	s_waitcnt lgkmcnt(0)
	s_waitcnt_vscnt null, 0x0
	s_barrier
	buffer_gl0_inv
	s_clause 0x5
	buffer_load_dword v78, off, s[0:3], 0 offset:276
	buffer_load_dword v79, off, s[0:3], 0 offset:284
	;; [unrolled: 1-line block ×6, first 2 shown]
	ds_read_b128 v[74:77], v74 offset:560
	s_mov_b32 s4, exec_lo
	s_waitcnt vmcnt(5) lgkmcnt(0)
	v_mul_f32_e32 v84, v75, v78
	v_mul_f32_e32 v78, v74, v78
	s_waitcnt vmcnt(4)
	v_mul_f32_e32 v85, v76, v79
	v_mul_f32_e32 v79, v77, v79
	s_waitcnt vmcnt(3)
	v_fma_f32 v74, v74, v80, -v84
	v_fmac_f32_e32 v78, v75, v80
	s_waitcnt vmcnt(2)
	v_fmac_f32_e32 v85, v77, v81
	v_fma_f32 v75, v76, v81, -v79
	v_add_f32_e32 v74, 0, v74
	v_add_f32_e32 v76, 0, v78
	;; [unrolled: 1-line block ×4, first 2 shown]
	s_waitcnt vmcnt(1)
	v_sub_f32_e32 v74, v82, v74
	s_waitcnt vmcnt(0)
	v_sub_f32_e32 v75, v83, v75
	buffer_store_dword v74, off, s[0:3], 0 offset:264
	buffer_store_dword v75, off, s[0:3], 0 offset:268
	v_cmpx_lt_u32_e32 32, v0
	s_cbranch_execz .LBB99_165
; %bb.164:
	s_clause 0x1
	buffer_load_dword v74, off, s[0:3], 0 offset:256
	buffer_load_dword v75, off, s[0:3], 0 offset:260
	v_mov_b32_e32 v76, 0
	buffer_store_dword v76, off, s[0:3], 0 offset:256
	buffer_store_dword v76, off, s[0:3], 0 offset:260
	s_waitcnt vmcnt(0)
	ds_write_b64 v73, v[74:75]
.LBB99_165:
	s_or_b32 exec_lo, exec_lo, s4
	s_waitcnt lgkmcnt(0)
	s_waitcnt_vscnt null, 0x0
	s_barrier
	buffer_gl0_inv
	s_clause 0x7
	buffer_load_dword v81, off, s[0:3], 0 offset:268
	buffer_load_dword v82, off, s[0:3], 0 offset:276
	;; [unrolled: 1-line block ×8, first 2 shown]
	v_mov_b32_e32 v74, 0
	ds_read2_b64 v[75:78], v74 offset0:69 offset1:70
	ds_read_b64 v[79:80], v74 offset:568
	s_mov_b32 s4, exec_lo
	s_waitcnt vmcnt(7) lgkmcnt(1)
	v_mul_f32_e32 v89, v76, v81
	v_mul_f32_e32 v81, v75, v81
	s_waitcnt vmcnt(6)
	v_mul_f32_e32 v90, v77, v82
	v_mul_f32_e32 v82, v78, v82
	s_waitcnt vmcnt(5) lgkmcnt(0)
	v_mul_f32_e32 v91, v79, v83
	s_waitcnt vmcnt(4)
	v_fma_f32 v75, v75, v84, -v89
	v_fmac_f32_e32 v81, v76, v84
	v_mul_f32_e32 v76, v80, v83
	s_waitcnt vmcnt(3)
	v_fma_f32 v77, v77, v85, -v82
	v_fmac_f32_e32 v90, v78, v85
	v_add_f32_e32 v75, 0, v75
	v_add_f32_e32 v78, 0, v81
	s_waitcnt vmcnt(2)
	v_fma_f32 v76, v79, v86, -v76
	v_fmac_f32_e32 v91, v80, v86
	v_add_f32_e32 v75, v75, v77
	v_add_f32_e32 v77, v78, v90
	v_add_f32_e32 v75, v75, v76
	v_add_f32_e32 v76, v77, v91
	s_waitcnt vmcnt(1)
	v_sub_f32_e32 v75, v87, v75
	s_waitcnt vmcnt(0)
	v_sub_f32_e32 v76, v88, v76
	buffer_store_dword v75, off, s[0:3], 0 offset:256
	buffer_store_dword v76, off, s[0:3], 0 offset:260
	v_cmpx_lt_u32_e32 31, v0
	s_cbranch_execz .LBB99_167
; %bb.166:
	s_clause 0x1
	buffer_load_dword v75, off, s[0:3], 0 offset:248
	buffer_load_dword v76, off, s[0:3], 0 offset:252
	buffer_store_dword v74, off, s[0:3], 0 offset:248
	buffer_store_dword v74, off, s[0:3], 0 offset:252
	s_waitcnt vmcnt(0)
	ds_write_b64 v73, v[75:76]
.LBB99_167:
	s_or_b32 exec_lo, exec_lo, s4
	s_waitcnt lgkmcnt(0)
	s_waitcnt_vscnt null, 0x0
	s_barrier
	buffer_gl0_inv
	s_clause 0x9
	buffer_load_dword v83, off, s[0:3], 0 offset:260
	buffer_load_dword v84, off, s[0:3], 0 offset:268
	;; [unrolled: 1-line block ×10, first 2 shown]
	ds_read_b128 v[75:78], v74 offset:544
	ds_read_b128 v[79:82], v74 offset:560
	s_mov_b32 s4, exec_lo
	s_waitcnt vmcnt(9) lgkmcnt(1)
	v_mul_f32_e32 v74, v75, v83
	v_mul_f32_e32 v83, v76, v83
	s_waitcnt vmcnt(8)
	v_mul_f32_e32 v93, v77, v84
	v_mul_f32_e32 v84, v78, v84
	s_waitcnt vmcnt(7) lgkmcnt(0)
	v_mul_f32_e32 v94, v79, v85
	s_waitcnt vmcnt(5)
	v_fmac_f32_e32 v74, v76, v87
	v_fma_f32 v75, v75, v87, -v83
	v_mul_f32_e32 v76, v80, v85
	s_waitcnt vmcnt(4)
	v_fma_f32 v77, v77, v88, -v84
	v_fmac_f32_e32 v93, v78, v88
	v_add_f32_e32 v74, 0, v74
	v_add_f32_e32 v75, 0, v75
	v_mul_f32_e32 v78, v82, v86
	s_waitcnt vmcnt(3)
	v_fma_f32 v76, v79, v89, -v76
	v_mul_f32_e32 v95, v81, v86
	v_fmac_f32_e32 v94, v80, v89
	v_add_f32_e32 v75, v75, v77
	v_add_f32_e32 v74, v74, v93
	s_waitcnt vmcnt(2)
	v_fma_f32 v77, v81, v90, -v78
	v_fmac_f32_e32 v95, v82, v90
	v_add_f32_e32 v75, v75, v76
	v_add_f32_e32 v74, v74, v94
	;; [unrolled: 1-line block ×4, first 2 shown]
	s_waitcnt vmcnt(1)
	v_sub_f32_e32 v75, v91, v75
	s_waitcnt vmcnt(0)
	v_sub_f32_e32 v74, v92, v74
	buffer_store_dword v75, off, s[0:3], 0 offset:248
	buffer_store_dword v74, off, s[0:3], 0 offset:252
	v_cmpx_lt_u32_e32 30, v0
	s_cbranch_execz .LBB99_169
; %bb.168:
	s_clause 0x1
	buffer_load_dword v74, off, s[0:3], 0 offset:240
	buffer_load_dword v75, off, s[0:3], 0 offset:244
	v_mov_b32_e32 v76, 0
	buffer_store_dword v76, off, s[0:3], 0 offset:240
	buffer_store_dword v76, off, s[0:3], 0 offset:244
	s_waitcnt vmcnt(0)
	ds_write_b64 v73, v[74:75]
.LBB99_169:
	s_or_b32 exec_lo, exec_lo, s4
	s_waitcnt lgkmcnt(0)
	s_waitcnt_vscnt null, 0x0
	s_barrier
	buffer_gl0_inv
	s_clause 0xb
	buffer_load_dword v85, off, s[0:3], 0 offset:252
	buffer_load_dword v86, off, s[0:3], 0 offset:260
	;; [unrolled: 1-line block ×12, first 2 shown]
	v_mov_b32_e32 v74, 0
	ds_read2_b64 v[75:78], v74 offset0:67 offset1:68
	ds_read2_b64 v[79:82], v74 offset0:69 offset1:70
	ds_read_b64 v[83:84], v74 offset:568
	s_mov_b32 s4, exec_lo
	s_waitcnt vmcnt(11) lgkmcnt(2)
	v_mul_f32_e32 v97, v75, v85
	v_mul_f32_e32 v85, v76, v85
	s_waitcnt vmcnt(10)
	v_mul_f32_e32 v98, v77, v86
	v_mul_f32_e32 v86, v78, v86
	s_waitcnt vmcnt(9) lgkmcnt(1)
	v_mul_f32_e32 v99, v79, v87
	s_waitcnt vmcnt(6)
	v_fmac_f32_e32 v97, v76, v90
	v_fma_f32 v75, v75, v90, -v85
	v_mul_f32_e32 v76, v80, v87
	s_waitcnt vmcnt(5)
	v_fma_f32 v77, v77, v91, -v86
	v_fmac_f32_e32 v98, v78, v91
	v_add_f32_e32 v78, 0, v97
	v_add_f32_e32 v75, 0, v75
	v_mul_f32_e32 v85, v82, v88
	s_waitcnt vmcnt(4)
	v_fma_f32 v76, v79, v92, -v76
	v_mul_f32_e32 v100, v81, v88
	v_fmac_f32_e32 v99, v80, v92
	v_add_f32_e32 v75, v75, v77
	v_add_f32_e32 v77, v78, v98
	s_waitcnt lgkmcnt(0)
	v_mul_f32_e32 v78, v84, v89
	s_waitcnt vmcnt(3)
	v_fma_f32 v79, v81, v93, -v85
	v_mul_f32_e32 v101, v83, v89
	v_add_f32_e32 v75, v75, v76
	v_fmac_f32_e32 v100, v82, v93
	v_add_f32_e32 v76, v77, v99
	s_waitcnt vmcnt(2)
	v_fma_f32 v77, v83, v94, -v78
	v_fmac_f32_e32 v101, v84, v94
	v_add_f32_e32 v75, v75, v79
	v_add_f32_e32 v76, v76, v100
	;; [unrolled: 1-line block ×4, first 2 shown]
	s_waitcnt vmcnt(1)
	v_sub_f32_e32 v75, v95, v75
	s_waitcnt vmcnt(0)
	v_sub_f32_e32 v76, v96, v76
	buffer_store_dword v75, off, s[0:3], 0 offset:240
	buffer_store_dword v76, off, s[0:3], 0 offset:244
	v_cmpx_lt_u32_e32 29, v0
	s_cbranch_execz .LBB99_171
; %bb.170:
	s_clause 0x1
	buffer_load_dword v75, off, s[0:3], 0 offset:232
	buffer_load_dword v76, off, s[0:3], 0 offset:236
	buffer_store_dword v74, off, s[0:3], 0 offset:232
	buffer_store_dword v74, off, s[0:3], 0 offset:236
	s_waitcnt vmcnt(0)
	ds_write_b64 v73, v[75:76]
.LBB99_171:
	s_or_b32 exec_lo, exec_lo, s4
	s_waitcnt lgkmcnt(0)
	s_waitcnt_vscnt null, 0x0
	s_barrier
	buffer_gl0_inv
	s_clause 0xd
	buffer_load_dword v87, off, s[0:3], 0 offset:244
	buffer_load_dword v88, off, s[0:3], 0 offset:252
	;; [unrolled: 1-line block ×14, first 2 shown]
	ds_read_b128 v[75:78], v74 offset:528
	ds_read_b128 v[79:82], v74 offset:544
	;; [unrolled: 1-line block ×3, first 2 shown]
	s_mov_b32 s4, exec_lo
	s_waitcnt vmcnt(13) lgkmcnt(2)
	v_mul_f32_e32 v74, v75, v87
	v_mul_f32_e32 v87, v76, v87
	s_waitcnt vmcnt(12)
	v_mul_f32_e32 v101, v77, v88
	v_mul_f32_e32 v88, v78, v88
	s_waitcnt vmcnt(11) lgkmcnt(1)
	v_mul_f32_e32 v102, v79, v89
	s_waitcnt vmcnt(10)
	v_mul_f32_e32 v103, v81, v90
	s_waitcnt vmcnt(7)
	v_fma_f32 v75, v75, v93, -v87
	v_fmac_f32_e32 v74, v76, v93
	v_mul_f32_e32 v76, v80, v89
	s_waitcnt vmcnt(6)
	v_fma_f32 v77, v77, v94, -v88
	v_fmac_f32_e32 v101, v78, v94
	v_add_f32_e32 v75, 0, v75
	v_add_f32_e32 v74, 0, v74
	v_mul_f32_e32 v78, v82, v90
	s_waitcnt vmcnt(5)
	v_fma_f32 v76, v79, v95, -v76
	v_fmac_f32_e32 v102, v80, v95
	v_add_f32_e32 v75, v75, v77
	v_add_f32_e32 v74, v74, v101
	s_waitcnt lgkmcnt(0)
	v_mul_f32_e32 v77, v84, v91
	s_waitcnt vmcnt(4)
	v_fma_f32 v78, v81, v96, -v78
	v_mul_f32_e32 v104, v83, v91
	v_add_f32_e32 v75, v75, v76
	v_fmac_f32_e32 v103, v82, v96
	v_add_f32_e32 v74, v74, v102
	v_mul_f32_e32 v76, v86, v92
	s_waitcnt vmcnt(3)
	v_fma_f32 v77, v83, v97, -v77
	v_add_f32_e32 v75, v75, v78
	v_mul_f32_e32 v105, v85, v92
	v_fmac_f32_e32 v104, v84, v97
	v_add_f32_e32 v74, v74, v103
	s_waitcnt vmcnt(2)
	v_fma_f32 v76, v85, v98, -v76
	v_add_f32_e32 v75, v75, v77
	v_fmac_f32_e32 v105, v86, v98
	v_add_f32_e32 v74, v74, v104
	v_add_f32_e32 v75, v75, v76
	;; [unrolled: 1-line block ×3, first 2 shown]
	s_waitcnt vmcnt(1)
	v_sub_f32_e32 v75, v99, v75
	s_waitcnt vmcnt(0)
	v_sub_f32_e32 v74, v100, v74
	buffer_store_dword v75, off, s[0:3], 0 offset:232
	buffer_store_dword v74, off, s[0:3], 0 offset:236
	v_cmpx_lt_u32_e32 28, v0
	s_cbranch_execz .LBB99_173
; %bb.172:
	s_clause 0x1
	buffer_load_dword v74, off, s[0:3], 0 offset:224
	buffer_load_dword v75, off, s[0:3], 0 offset:228
	v_mov_b32_e32 v76, 0
	buffer_store_dword v76, off, s[0:3], 0 offset:224
	buffer_store_dword v76, off, s[0:3], 0 offset:228
	s_waitcnt vmcnt(0)
	ds_write_b64 v73, v[74:75]
.LBB99_173:
	s_or_b32 exec_lo, exec_lo, s4
	s_waitcnt lgkmcnt(0)
	s_waitcnt_vscnt null, 0x0
	s_barrier
	buffer_gl0_inv
	s_clause 0xf
	buffer_load_dword v89, off, s[0:3], 0 offset:236
	buffer_load_dword v90, off, s[0:3], 0 offset:244
	;; [unrolled: 1-line block ×16, first 2 shown]
	v_mov_b32_e32 v74, 0
	ds_read2_b64 v[75:78], v74 offset0:65 offset1:66
	ds_read2_b64 v[79:82], v74 offset0:67 offset1:68
	;; [unrolled: 1-line block ×3, first 2 shown]
	ds_read_b64 v[87:88], v74 offset:568
	s_mov_b32 s4, exec_lo
	s_waitcnt vmcnt(15) lgkmcnt(3)
	v_mul_f32_e32 v105, v75, v89
	v_mul_f32_e32 v89, v76, v89
	s_waitcnt vmcnt(14)
	v_mul_f32_e32 v106, v77, v90
	v_mul_f32_e32 v90, v78, v90
	s_waitcnt vmcnt(13) lgkmcnt(2)
	v_mul_f32_e32 v107, v79, v91
	s_waitcnt vmcnt(12)
	v_mul_f32_e32 v108, v81, v92
	s_waitcnt vmcnt(11) lgkmcnt(1)
	v_mul_f32_e32 v109, v83, v93
	s_waitcnt vmcnt(8)
	v_fma_f32 v75, v75, v96, -v89
	v_fmac_f32_e32 v105, v76, v96
	v_mul_f32_e32 v76, v80, v91
	s_waitcnt vmcnt(7)
	v_fma_f32 v77, v77, v97, -v90
	v_fmac_f32_e32 v106, v78, v97
	v_add_f32_e32 v75, 0, v75
	v_add_f32_e32 v78, 0, v105
	v_mul_f32_e32 v89, v82, v92
	s_waitcnt vmcnt(6)
	v_fma_f32 v76, v79, v98, -v76
	v_fmac_f32_e32 v107, v80, v98
	v_add_f32_e32 v75, v75, v77
	v_add_f32_e32 v77, v78, v106
	;; [unrolled: 6-line block ×3, first 2 shown]
	v_mul_f32_e32 v77, v86, v94
	s_waitcnt vmcnt(4)
	v_fma_f32 v78, v83, v100, -v78
	v_mul_f32_e32 v110, v85, v94
	v_add_f32_e32 v75, v75, v79
	v_fmac_f32_e32 v109, v84, v100
	v_add_f32_e32 v76, v76, v108
	s_waitcnt lgkmcnt(0)
	v_mul_f32_e32 v79, v88, v95
	s_waitcnt vmcnt(3)
	v_fma_f32 v77, v85, v101, -v77
	v_add_f32_e32 v75, v75, v78
	v_mul_f32_e32 v111, v87, v95
	v_fmac_f32_e32 v110, v86, v101
	v_add_f32_e32 v76, v76, v109
	s_waitcnt vmcnt(2)
	v_fma_f32 v78, v87, v102, -v79
	v_add_f32_e32 v75, v75, v77
	v_fmac_f32_e32 v111, v88, v102
	v_add_f32_e32 v76, v76, v110
	v_add_f32_e32 v75, v75, v78
	;; [unrolled: 1-line block ×3, first 2 shown]
	s_waitcnt vmcnt(1)
	v_sub_f32_e32 v75, v103, v75
	s_waitcnt vmcnt(0)
	v_sub_f32_e32 v76, v104, v76
	buffer_store_dword v75, off, s[0:3], 0 offset:224
	buffer_store_dword v76, off, s[0:3], 0 offset:228
	v_cmpx_lt_u32_e32 27, v0
	s_cbranch_execz .LBB99_175
; %bb.174:
	s_clause 0x1
	buffer_load_dword v75, off, s[0:3], 0 offset:216
	buffer_load_dword v76, off, s[0:3], 0 offset:220
	buffer_store_dword v74, off, s[0:3], 0 offset:216
	buffer_store_dword v74, off, s[0:3], 0 offset:220
	s_waitcnt vmcnt(0)
	ds_write_b64 v73, v[75:76]
.LBB99_175:
	s_or_b32 exec_lo, exec_lo, s4
	s_waitcnt lgkmcnt(0)
	s_waitcnt_vscnt null, 0x0
	s_barrier
	buffer_gl0_inv
	s_clause 0x11
	buffer_load_dword v91, off, s[0:3], 0 offset:228
	buffer_load_dword v92, off, s[0:3], 0 offset:236
	;; [unrolled: 1-line block ×18, first 2 shown]
	ds_read_b128 v[75:78], v74 offset:512
	ds_read_b128 v[79:82], v74 offset:528
	ds_read_b128 v[83:86], v74 offset:544
	ds_read_b128 v[87:90], v74 offset:560
	s_mov_b32 s4, exec_lo
	s_waitcnt vmcnt(17) lgkmcnt(3)
	v_mul_f32_e32 v74, v75, v91
	v_mul_f32_e32 v91, v76, v91
	s_waitcnt vmcnt(16)
	v_mul_f32_e32 v109, v77, v92
	v_mul_f32_e32 v92, v78, v92
	s_waitcnt vmcnt(15) lgkmcnt(2)
	v_mul_f32_e32 v110, v79, v93
	s_waitcnt vmcnt(14)
	v_mul_f32_e32 v111, v81, v94
	s_waitcnt vmcnt(13) lgkmcnt(1)
	v_mul_f32_e32 v112, v83, v95
	s_waitcnt vmcnt(12)
	v_mul_f32_e32 v113, v85, v96
	s_waitcnt vmcnt(9)
	v_fma_f32 v75, v75, v99, -v91
	v_fmac_f32_e32 v74, v76, v99
	v_mul_f32_e32 v76, v80, v93
	s_waitcnt vmcnt(8)
	v_fma_f32 v77, v77, v100, -v92
	v_fmac_f32_e32 v109, v78, v100
	v_add_f32_e32 v75, 0, v75
	v_add_f32_e32 v74, 0, v74
	v_mul_f32_e32 v78, v82, v94
	s_waitcnt vmcnt(7)
	v_fma_f32 v76, v79, v101, -v76
	v_fmac_f32_e32 v110, v80, v101
	v_add_f32_e32 v75, v75, v77
	v_add_f32_e32 v74, v74, v109
	;; [unrolled: 6-line block ×4, first 2 shown]
	s_waitcnt lgkmcnt(0)
	v_mul_f32_e32 v78, v88, v97
	s_waitcnt vmcnt(4)
	v_fma_f32 v76, v85, v104, -v76
	v_mul_f32_e32 v114, v87, v97
	v_add_f32_e32 v75, v75, v77
	v_fmac_f32_e32 v113, v86, v104
	v_add_f32_e32 v74, v74, v112
	v_mul_f32_e32 v77, v90, v98
	s_waitcnt vmcnt(3)
	v_fma_f32 v78, v87, v105, -v78
	v_add_f32_e32 v75, v75, v76
	v_mul_f32_e32 v115, v89, v98
	v_fmac_f32_e32 v114, v88, v105
	v_add_f32_e32 v74, v74, v113
	s_waitcnt vmcnt(2)
	v_fma_f32 v76, v89, v106, -v77
	v_add_f32_e32 v75, v75, v78
	v_fmac_f32_e32 v115, v90, v106
	v_add_f32_e32 v74, v74, v114
	v_add_f32_e32 v75, v75, v76
	;; [unrolled: 1-line block ×3, first 2 shown]
	s_waitcnt vmcnt(1)
	v_sub_f32_e32 v75, v107, v75
	s_waitcnt vmcnt(0)
	v_sub_f32_e32 v74, v108, v74
	buffer_store_dword v75, off, s[0:3], 0 offset:216
	buffer_store_dword v74, off, s[0:3], 0 offset:220
	v_cmpx_lt_u32_e32 26, v0
	s_cbranch_execz .LBB99_177
; %bb.176:
	s_clause 0x1
	buffer_load_dword v74, off, s[0:3], 0 offset:208
	buffer_load_dword v75, off, s[0:3], 0 offset:212
	v_mov_b32_e32 v76, 0
	buffer_store_dword v76, off, s[0:3], 0 offset:208
	buffer_store_dword v76, off, s[0:3], 0 offset:212
	s_waitcnt vmcnt(0)
	ds_write_b64 v73, v[74:75]
.LBB99_177:
	s_or_b32 exec_lo, exec_lo, s4
	s_waitcnt lgkmcnt(0)
	s_waitcnt_vscnt null, 0x0
	s_barrier
	buffer_gl0_inv
	s_clause 0x13
	buffer_load_dword v93, off, s[0:3], 0 offset:220
	buffer_load_dword v94, off, s[0:3], 0 offset:228
	;; [unrolled: 1-line block ×20, first 2 shown]
	v_mov_b32_e32 v74, 0
	ds_read2_b64 v[75:78], v74 offset0:63 offset1:64
	ds_read2_b64 v[79:82], v74 offset0:65 offset1:66
	;; [unrolled: 1-line block ×4, first 2 shown]
	ds_read_b64 v[91:92], v74 offset:568
	s_mov_b32 s4, exec_lo
	s_waitcnt vmcnt(19) lgkmcnt(4)
	v_mul_f32_e32 v113, v75, v93
	v_mul_f32_e32 v93, v76, v93
	s_waitcnt vmcnt(18)
	v_mul_f32_e32 v114, v77, v94
	v_mul_f32_e32 v94, v78, v94
	s_waitcnt vmcnt(17) lgkmcnt(3)
	v_mul_f32_e32 v115, v79, v95
	s_waitcnt vmcnt(16)
	v_mul_f32_e32 v116, v81, v96
	s_waitcnt vmcnt(15) lgkmcnt(2)
	v_mul_f32_e32 v117, v83, v97
	s_waitcnt vmcnt(14)
	;; [unrolled: 4-line block ×3, first 2 shown]
	v_fma_f32 v75, v75, v102, -v93
	v_fmac_f32_e32 v113, v76, v102
	v_mul_f32_e32 v76, v80, v95
	s_waitcnt vmcnt(9)
	v_fma_f32 v77, v77, v103, -v94
	v_fmac_f32_e32 v114, v78, v103
	v_add_f32_e32 v75, 0, v75
	v_add_f32_e32 v78, 0, v113
	v_mul_f32_e32 v93, v82, v96
	s_waitcnt vmcnt(8)
	v_fma_f32 v76, v79, v104, -v76
	v_fmac_f32_e32 v115, v80, v104
	v_add_f32_e32 v75, v75, v77
	v_add_f32_e32 v77, v78, v114
	;; [unrolled: 6-line block ×5, first 2 shown]
	v_mul_f32_e32 v78, v90, v100
	s_waitcnt vmcnt(4)
	v_fma_f32 v79, v87, v108, -v79
	v_mul_f32_e32 v120, v89, v100
	v_add_f32_e32 v75, v75, v77
	v_fmac_f32_e32 v119, v88, v108
	v_add_f32_e32 v76, v76, v118
	s_waitcnt lgkmcnt(0)
	v_mul_f32_e32 v77, v92, v101
	s_waitcnt vmcnt(3)
	v_fma_f32 v78, v89, v109, -v78
	v_add_f32_e32 v75, v75, v79
	v_mul_f32_e32 v121, v91, v101
	v_fmac_f32_e32 v120, v90, v109
	v_add_f32_e32 v76, v76, v119
	s_waitcnt vmcnt(2)
	v_fma_f32 v77, v91, v110, -v77
	v_add_f32_e32 v75, v75, v78
	v_fmac_f32_e32 v121, v92, v110
	v_add_f32_e32 v76, v76, v120
	v_add_f32_e32 v75, v75, v77
	;; [unrolled: 1-line block ×3, first 2 shown]
	s_waitcnt vmcnt(1)
	v_sub_f32_e32 v75, v111, v75
	s_waitcnt vmcnt(0)
	v_sub_f32_e32 v76, v112, v76
	buffer_store_dword v75, off, s[0:3], 0 offset:208
	buffer_store_dword v76, off, s[0:3], 0 offset:212
	v_cmpx_lt_u32_e32 25, v0
	s_cbranch_execz .LBB99_179
; %bb.178:
	s_clause 0x1
	buffer_load_dword v75, off, s[0:3], 0 offset:200
	buffer_load_dword v76, off, s[0:3], 0 offset:204
	buffer_store_dword v74, off, s[0:3], 0 offset:200
	buffer_store_dword v74, off, s[0:3], 0 offset:204
	s_waitcnt vmcnt(0)
	ds_write_b64 v73, v[75:76]
.LBB99_179:
	s_or_b32 exec_lo, exec_lo, s4
	s_waitcnt lgkmcnt(0)
	s_waitcnt_vscnt null, 0x0
	s_barrier
	buffer_gl0_inv
	s_clause 0x15
	buffer_load_dword v95, off, s[0:3], 0 offset:212
	buffer_load_dword v96, off, s[0:3], 0 offset:220
	;; [unrolled: 1-line block ×22, first 2 shown]
	ds_read_b128 v[75:78], v74 offset:496
	ds_read_b128 v[79:82], v74 offset:512
	;; [unrolled: 1-line block ×5, first 2 shown]
	s_mov_b32 s4, exec_lo
	s_waitcnt vmcnt(21) lgkmcnt(4)
	v_mul_f32_e32 v74, v75, v95
	v_mul_f32_e32 v95, v76, v95
	s_waitcnt vmcnt(20)
	v_mul_f32_e32 v117, v77, v96
	v_mul_f32_e32 v96, v78, v96
	s_waitcnt vmcnt(19) lgkmcnt(3)
	v_mul_f32_e32 v118, v79, v97
	s_waitcnt vmcnt(18)
	v_mul_f32_e32 v119, v81, v98
	s_waitcnt vmcnt(17) lgkmcnt(2)
	v_mul_f32_e32 v120, v83, v99
	s_waitcnt vmcnt(16)
	;; [unrolled: 4-line block ×3, first 2 shown]
	v_mul_f32_e32 v123, v89, v102
	s_waitcnt vmcnt(11)
	v_fma_f32 v75, v75, v105, -v95
	v_fmac_f32_e32 v74, v76, v105
	v_mul_f32_e32 v76, v80, v97
	s_waitcnt vmcnt(10)
	v_fma_f32 v77, v77, v106, -v96
	v_fmac_f32_e32 v117, v78, v106
	v_add_f32_e32 v75, 0, v75
	v_add_f32_e32 v74, 0, v74
	v_mul_f32_e32 v78, v82, v98
	s_waitcnt vmcnt(9)
	v_fma_f32 v76, v79, v107, -v76
	v_fmac_f32_e32 v118, v80, v107
	v_add_f32_e32 v75, v75, v77
	v_add_f32_e32 v74, v74, v117
	;; [unrolled: 6-line block ×6, first 2 shown]
	s_waitcnt lgkmcnt(0)
	v_mul_f32_e32 v76, v92, v103
	s_waitcnt vmcnt(4)
	v_fma_f32 v77, v89, v112, -v77
	v_mul_f32_e32 v124, v91, v103
	v_add_f32_e32 v75, v75, v78
	v_fmac_f32_e32 v123, v90, v112
	v_add_f32_e32 v74, v74, v122
	v_mul_f32_e32 v78, v94, v104
	s_waitcnt vmcnt(3)
	v_fma_f32 v76, v91, v113, -v76
	v_add_f32_e32 v75, v75, v77
	v_mul_f32_e32 v125, v93, v104
	v_fmac_f32_e32 v124, v92, v113
	v_add_f32_e32 v74, v74, v123
	s_waitcnt vmcnt(2)
	v_fma_f32 v77, v93, v114, -v78
	v_add_f32_e32 v75, v75, v76
	v_fmac_f32_e32 v125, v94, v114
	v_add_f32_e32 v74, v74, v124
	v_add_f32_e32 v75, v75, v77
	;; [unrolled: 1-line block ×3, first 2 shown]
	s_waitcnt vmcnt(1)
	v_sub_f32_e32 v75, v115, v75
	s_waitcnt vmcnt(0)
	v_sub_f32_e32 v74, v116, v74
	buffer_store_dword v75, off, s[0:3], 0 offset:200
	buffer_store_dword v74, off, s[0:3], 0 offset:204
	v_cmpx_lt_u32_e32 24, v0
	s_cbranch_execz .LBB99_181
; %bb.180:
	s_clause 0x1
	buffer_load_dword v74, off, s[0:3], 0 offset:192
	buffer_load_dword v75, off, s[0:3], 0 offset:196
	v_mov_b32_e32 v76, 0
	buffer_store_dword v76, off, s[0:3], 0 offset:192
	buffer_store_dword v76, off, s[0:3], 0 offset:196
	s_waitcnt vmcnt(0)
	ds_write_b64 v73, v[74:75]
.LBB99_181:
	s_or_b32 exec_lo, exec_lo, s4
	s_waitcnt lgkmcnt(0)
	s_waitcnt_vscnt null, 0x0
	s_barrier
	buffer_gl0_inv
	s_clause 0x17
	buffer_load_dword v97, off, s[0:3], 0 offset:204
	buffer_load_dword v98, off, s[0:3], 0 offset:212
	;; [unrolled: 1-line block ×24, first 2 shown]
	v_mov_b32_e32 v74, 0
	ds_read2_b64 v[75:78], v74 offset0:61 offset1:62
	ds_read2_b64 v[79:82], v74 offset0:63 offset1:64
	;; [unrolled: 1-line block ×5, first 2 shown]
	ds_read_b64 v[95:96], v74 offset:568
	s_mov_b32 s4, exec_lo
	s_waitcnt vmcnt(23) lgkmcnt(5)
	v_mul_f32_e32 v121, v75, v97
	v_mul_f32_e32 v97, v76, v97
	s_waitcnt vmcnt(22)
	v_mul_f32_e32 v122, v77, v98
	v_mul_f32_e32 v98, v78, v98
	s_waitcnt vmcnt(21) lgkmcnt(4)
	v_mul_f32_e32 v123, v79, v99
	s_waitcnt vmcnt(20)
	v_mul_f32_e32 v124, v81, v100
	s_waitcnt vmcnt(19) lgkmcnt(3)
	v_mul_f32_e32 v125, v83, v101
	s_waitcnt vmcnt(18)
	;; [unrolled: 4-line block ×4, first 2 shown]
	v_fma_f32 v75, v75, v108, -v97
	v_fmac_f32_e32 v121, v76, v108
	v_mul_f32_e32 v76, v80, v99
	s_waitcnt vmcnt(11)
	v_fma_f32 v77, v77, v109, -v98
	v_fmac_f32_e32 v122, v78, v109
	v_add_f32_e32 v75, 0, v75
	v_add_f32_e32 v78, 0, v121
	v_mul_f32_e32 v97, v82, v100
	s_waitcnt vmcnt(10)
	v_fma_f32 v76, v79, v110, -v76
	v_fmac_f32_e32 v123, v80, v110
	v_add_f32_e32 v75, v75, v77
	v_add_f32_e32 v77, v78, v122
	;; [unrolled: 6-line block ×7, first 2 shown]
	v_mul_f32_e32 v79, v94, v106
	s_waitcnt vmcnt(4)
	v_fma_f32 v77, v91, v116, -v77
	v_mul_f32_e32 v130, v93, v106
	v_add_f32_e32 v75, v75, v78
	v_fmac_f32_e32 v129, v92, v116
	v_add_f32_e32 v76, v76, v128
	s_waitcnt lgkmcnt(0)
	v_mul_f32_e32 v78, v96, v107
	s_waitcnt vmcnt(3)
	v_fma_f32 v79, v93, v117, -v79
	v_add_f32_e32 v75, v75, v77
	v_mul_f32_e32 v131, v95, v107
	v_fmac_f32_e32 v130, v94, v117
	v_add_f32_e32 v76, v76, v129
	s_waitcnt vmcnt(2)
	v_fma_f32 v77, v95, v118, -v78
	v_add_f32_e32 v75, v75, v79
	v_fmac_f32_e32 v131, v96, v118
	v_add_f32_e32 v76, v76, v130
	v_add_f32_e32 v75, v75, v77
	;; [unrolled: 1-line block ×3, first 2 shown]
	s_waitcnt vmcnt(1)
	v_sub_f32_e32 v75, v119, v75
	s_waitcnt vmcnt(0)
	v_sub_f32_e32 v76, v120, v76
	buffer_store_dword v75, off, s[0:3], 0 offset:192
	buffer_store_dword v76, off, s[0:3], 0 offset:196
	v_cmpx_lt_u32_e32 23, v0
	s_cbranch_execz .LBB99_183
; %bb.182:
	s_clause 0x1
	buffer_load_dword v75, off, s[0:3], 0 offset:184
	buffer_load_dword v76, off, s[0:3], 0 offset:188
	buffer_store_dword v74, off, s[0:3], 0 offset:184
	buffer_store_dword v74, off, s[0:3], 0 offset:188
	s_waitcnt vmcnt(0)
	ds_write_b64 v73, v[75:76]
.LBB99_183:
	s_or_b32 exec_lo, exec_lo, s4
	s_waitcnt lgkmcnt(0)
	s_waitcnt_vscnt null, 0x0
	s_barrier
	buffer_gl0_inv
	s_clause 0x19
	buffer_load_dword v99, off, s[0:3], 0 offset:196
	buffer_load_dword v100, off, s[0:3], 0 offset:204
	buffer_load_dword v101, off, s[0:3], 0 offset:212
	buffer_load_dword v102, off, s[0:3], 0 offset:220
	buffer_load_dword v103, off, s[0:3], 0 offset:228
	buffer_load_dword v104, off, s[0:3], 0 offset:236
	buffer_load_dword v105, off, s[0:3], 0 offset:244
	buffer_load_dword v106, off, s[0:3], 0 offset:252
	buffer_load_dword v107, off, s[0:3], 0 offset:260
	buffer_load_dword v108, off, s[0:3], 0 offset:268
	buffer_load_dword v109, off, s[0:3], 0 offset:276
	buffer_load_dword v110, off, s[0:3], 0 offset:284
	buffer_load_dword v111, off, s[0:3], 0 offset:192
	buffer_load_dword v112, off, s[0:3], 0 offset:200
	buffer_load_dword v113, off, s[0:3], 0 offset:208
	buffer_load_dword v114, off, s[0:3], 0 offset:216
	buffer_load_dword v115, off, s[0:3], 0 offset:224
	buffer_load_dword v116, off, s[0:3], 0 offset:232
	buffer_load_dword v117, off, s[0:3], 0 offset:240
	buffer_load_dword v118, off, s[0:3], 0 offset:248
	buffer_load_dword v119, off, s[0:3], 0 offset:256
	buffer_load_dword v120, off, s[0:3], 0 offset:264
	buffer_load_dword v121, off, s[0:3], 0 offset:272
	buffer_load_dword v122, off, s[0:3], 0 offset:280
	buffer_load_dword v123, off, s[0:3], 0 offset:184
	buffer_load_dword v124, off, s[0:3], 0 offset:188
	ds_read_b128 v[75:78], v74 offset:480
	ds_read_b128 v[79:82], v74 offset:496
	;; [unrolled: 1-line block ×6, first 2 shown]
	s_mov_b32 s4, exec_lo
	s_waitcnt vmcnt(25) lgkmcnt(5)
	v_mul_f32_e32 v74, v75, v99
	v_mul_f32_e32 v99, v76, v99
	s_waitcnt vmcnt(24)
	v_mul_f32_e32 v125, v77, v100
	v_mul_f32_e32 v100, v78, v100
	s_waitcnt vmcnt(23) lgkmcnt(4)
	v_mul_f32_e32 v126, v79, v101
	s_waitcnt vmcnt(22)
	v_mul_f32_e32 v127, v81, v102
	s_waitcnt vmcnt(21) lgkmcnt(3)
	v_mul_f32_e32 v128, v83, v103
	s_waitcnt vmcnt(20)
	;; [unrolled: 4-line block ×4, first 2 shown]
	v_mul_f32_e32 v133, v93, v108
	s_waitcnt vmcnt(13)
	v_fma_f32 v75, v75, v111, -v99
	v_fmac_f32_e32 v74, v76, v111
	v_mul_f32_e32 v76, v80, v101
	s_waitcnt vmcnt(12)
	v_fma_f32 v77, v77, v112, -v100
	v_fmac_f32_e32 v125, v78, v112
	v_add_f32_e32 v75, 0, v75
	v_add_f32_e32 v74, 0, v74
	v_mul_f32_e32 v78, v82, v102
	s_waitcnt vmcnt(11)
	v_fma_f32 v76, v79, v113, -v76
	v_fmac_f32_e32 v126, v80, v113
	v_add_f32_e32 v75, v75, v77
	v_add_f32_e32 v74, v74, v125
	;; [unrolled: 6-line block ×8, first 2 shown]
	s_waitcnt lgkmcnt(0)
	v_mul_f32_e32 v77, v96, v109
	s_waitcnt vmcnt(4)
	v_fma_f32 v78, v93, v120, -v78
	v_mul_f32_e32 v134, v95, v109
	v_add_f32_e32 v75, v75, v76
	v_fmac_f32_e32 v133, v94, v120
	v_add_f32_e32 v74, v74, v132
	v_mul_f32_e32 v76, v98, v110
	s_waitcnt vmcnt(3)
	v_fma_f32 v77, v95, v121, -v77
	v_add_f32_e32 v75, v75, v78
	v_mul_f32_e32 v135, v97, v110
	v_fmac_f32_e32 v134, v96, v121
	v_add_f32_e32 v74, v74, v133
	s_waitcnt vmcnt(2)
	v_fma_f32 v76, v97, v122, -v76
	v_add_f32_e32 v75, v75, v77
	v_fmac_f32_e32 v135, v98, v122
	v_add_f32_e32 v74, v74, v134
	v_add_f32_e32 v75, v75, v76
	;; [unrolled: 1-line block ×3, first 2 shown]
	s_waitcnt vmcnt(1)
	v_sub_f32_e32 v75, v123, v75
	s_waitcnt vmcnt(0)
	v_sub_f32_e32 v74, v124, v74
	buffer_store_dword v75, off, s[0:3], 0 offset:184
	buffer_store_dword v74, off, s[0:3], 0 offset:188
	v_cmpx_lt_u32_e32 22, v0
	s_cbranch_execz .LBB99_185
; %bb.184:
	s_clause 0x1
	buffer_load_dword v74, off, s[0:3], 0 offset:176
	buffer_load_dword v75, off, s[0:3], 0 offset:180
	v_mov_b32_e32 v76, 0
	buffer_store_dword v76, off, s[0:3], 0 offset:176
	buffer_store_dword v76, off, s[0:3], 0 offset:180
	s_waitcnt vmcnt(0)
	ds_write_b64 v73, v[74:75]
.LBB99_185:
	s_or_b32 exec_lo, exec_lo, s4
	s_waitcnt lgkmcnt(0)
	s_waitcnt_vscnt null, 0x0
	s_barrier
	buffer_gl0_inv
	s_clause 0x1b
	buffer_load_dword v101, off, s[0:3], 0 offset:188
	buffer_load_dword v102, off, s[0:3], 0 offset:196
	buffer_load_dword v103, off, s[0:3], 0 offset:204
	buffer_load_dword v104, off, s[0:3], 0 offset:212
	buffer_load_dword v105, off, s[0:3], 0 offset:220
	buffer_load_dword v106, off, s[0:3], 0 offset:228
	buffer_load_dword v107, off, s[0:3], 0 offset:236
	buffer_load_dword v108, off, s[0:3], 0 offset:244
	buffer_load_dword v109, off, s[0:3], 0 offset:252
	buffer_load_dword v110, off, s[0:3], 0 offset:260
	buffer_load_dword v111, off, s[0:3], 0 offset:268
	buffer_load_dword v112, off, s[0:3], 0 offset:276
	buffer_load_dword v113, off, s[0:3], 0 offset:284
	buffer_load_dword v114, off, s[0:3], 0 offset:184
	buffer_load_dword v115, off, s[0:3], 0 offset:192
	buffer_load_dword v116, off, s[0:3], 0 offset:200
	buffer_load_dword v117, off, s[0:3], 0 offset:208
	buffer_load_dword v118, off, s[0:3], 0 offset:216
	buffer_load_dword v119, off, s[0:3], 0 offset:224
	buffer_load_dword v120, off, s[0:3], 0 offset:232
	buffer_load_dword v121, off, s[0:3], 0 offset:240
	buffer_load_dword v122, off, s[0:3], 0 offset:248
	buffer_load_dword v123, off, s[0:3], 0 offset:256
	buffer_load_dword v124, off, s[0:3], 0 offset:264
	buffer_load_dword v125, off, s[0:3], 0 offset:272
	buffer_load_dword v126, off, s[0:3], 0 offset:280
	buffer_load_dword v127, off, s[0:3], 0 offset:176
	buffer_load_dword v128, off, s[0:3], 0 offset:180
	v_mov_b32_e32 v74, 0
	ds_read2_b64 v[75:78], v74 offset0:59 offset1:60
	ds_read2_b64 v[79:82], v74 offset0:61 offset1:62
	ds_read2_b64 v[83:86], v74 offset0:63 offset1:64
	ds_read2_b64 v[87:90], v74 offset0:65 offset1:66
	ds_read2_b64 v[91:94], v74 offset0:67 offset1:68
	ds_read2_b64 v[95:98], v74 offset0:69 offset1:70
	ds_read_b64 v[99:100], v74 offset:568
	s_mov_b32 s4, exec_lo
	s_waitcnt vmcnt(27) lgkmcnt(6)
	v_mul_f32_e32 v129, v75, v101
	v_mul_f32_e32 v101, v76, v101
	s_waitcnt vmcnt(26)
	v_mul_f32_e32 v130, v77, v102
	v_mul_f32_e32 v102, v78, v102
	s_waitcnt vmcnt(25) lgkmcnt(5)
	v_mul_f32_e32 v131, v79, v103
	s_waitcnt vmcnt(24)
	v_mul_f32_e32 v132, v81, v104
	s_waitcnt vmcnt(23) lgkmcnt(4)
	v_mul_f32_e32 v133, v83, v105
	s_waitcnt vmcnt(22)
	;; [unrolled: 4-line block ×5, first 2 shown]
	v_fma_f32 v75, v75, v114, -v101
	v_fmac_f32_e32 v129, v76, v114
	v_mul_f32_e32 v76, v80, v103
	s_waitcnt vmcnt(13)
	v_fma_f32 v77, v77, v115, -v102
	v_fmac_f32_e32 v130, v78, v115
	v_add_f32_e32 v75, 0, v75
	v_add_f32_e32 v78, 0, v129
	v_mul_f32_e32 v101, v82, v104
	s_waitcnt vmcnt(12)
	v_fma_f32 v76, v79, v116, -v76
	v_fmac_f32_e32 v131, v80, v116
	v_add_f32_e32 v75, v75, v77
	v_add_f32_e32 v77, v78, v130
	;; [unrolled: 6-line block ×9, first 2 shown]
	v_mul_f32_e32 v77, v98, v112
	s_waitcnt vmcnt(4)
	v_fma_f32 v78, v95, v124, -v78
	v_mul_f32_e32 v140, v97, v112
	v_add_f32_e32 v75, v75, v79
	v_fmac_f32_e32 v139, v96, v124
	v_add_f32_e32 v76, v76, v138
	s_waitcnt lgkmcnt(0)
	v_mul_f32_e32 v79, v100, v113
	s_waitcnt vmcnt(3)
	v_fma_f32 v77, v97, v125, -v77
	v_add_f32_e32 v75, v75, v78
	v_mul_f32_e32 v141, v99, v113
	v_fmac_f32_e32 v140, v98, v125
	v_add_f32_e32 v76, v76, v139
	s_waitcnt vmcnt(2)
	v_fma_f32 v78, v99, v126, -v79
	v_add_f32_e32 v75, v75, v77
	v_fmac_f32_e32 v141, v100, v126
	v_add_f32_e32 v76, v76, v140
	v_add_f32_e32 v75, v75, v78
	;; [unrolled: 1-line block ×3, first 2 shown]
	s_waitcnt vmcnt(1)
	v_sub_f32_e32 v75, v127, v75
	s_waitcnt vmcnt(0)
	v_sub_f32_e32 v76, v128, v76
	buffer_store_dword v75, off, s[0:3], 0 offset:176
	buffer_store_dword v76, off, s[0:3], 0 offset:180
	v_cmpx_lt_u32_e32 21, v0
	s_cbranch_execz .LBB99_187
; %bb.186:
	s_clause 0x1
	buffer_load_dword v75, off, s[0:3], 0 offset:168
	buffer_load_dword v76, off, s[0:3], 0 offset:172
	buffer_store_dword v74, off, s[0:3], 0 offset:168
	buffer_store_dword v74, off, s[0:3], 0 offset:172
	s_waitcnt vmcnt(0)
	ds_write_b64 v73, v[75:76]
.LBB99_187:
	s_or_b32 exec_lo, exec_lo, s4
	s_waitcnt lgkmcnt(0)
	s_waitcnt_vscnt null, 0x0
	s_barrier
	buffer_gl0_inv
	s_clause 0x1d
	buffer_load_dword v103, off, s[0:3], 0 offset:180
	buffer_load_dword v104, off, s[0:3], 0 offset:188
	;; [unrolled: 1-line block ×30, first 2 shown]
	ds_read_b128 v[75:78], v74 offset:464
	ds_read_b128 v[79:82], v74 offset:480
	;; [unrolled: 1-line block ×7, first 2 shown]
	s_mov_b32 s4, exec_lo
	s_waitcnt vmcnt(29) lgkmcnt(6)
	v_mul_f32_e32 v74, v75, v103
	v_mul_f32_e32 v103, v76, v103
	s_waitcnt vmcnt(28)
	v_mul_f32_e32 v133, v77, v104
	v_mul_f32_e32 v104, v78, v104
	s_waitcnt vmcnt(27) lgkmcnt(5)
	v_mul_f32_e32 v134, v79, v105
	s_waitcnt vmcnt(26)
	v_mul_f32_e32 v135, v81, v106
	s_waitcnt vmcnt(25) lgkmcnt(4)
	v_mul_f32_e32 v136, v83, v107
	s_waitcnt vmcnt(24)
	;; [unrolled: 4-line block ×5, first 2 shown]
	v_mul_f32_e32 v143, v97, v114
	s_waitcnt vmcnt(15)
	v_fma_f32 v75, v75, v117, -v103
	v_fmac_f32_e32 v74, v76, v117
	v_mul_f32_e32 v76, v80, v105
	s_waitcnt vmcnt(14)
	v_fma_f32 v77, v77, v118, -v104
	v_fmac_f32_e32 v133, v78, v118
	v_add_f32_e32 v75, 0, v75
	v_add_f32_e32 v74, 0, v74
	v_mul_f32_e32 v78, v82, v106
	s_waitcnt vmcnt(13)
	v_fma_f32 v76, v79, v119, -v76
	v_fmac_f32_e32 v134, v80, v119
	v_add_f32_e32 v75, v75, v77
	v_add_f32_e32 v74, v74, v133
	;; [unrolled: 6-line block ×10, first 2 shown]
	s_waitcnt lgkmcnt(0)
	v_mul_f32_e32 v78, v100, v115
	s_waitcnt vmcnt(4)
	v_fma_f32 v76, v97, v128, -v76
	v_mul_f32_e32 v144, v99, v115
	v_add_f32_e32 v75, v75, v77
	v_fmac_f32_e32 v143, v98, v128
	v_add_f32_e32 v74, v74, v142
	v_mul_f32_e32 v77, v102, v116
	s_waitcnt vmcnt(3)
	v_fma_f32 v78, v99, v129, -v78
	v_add_f32_e32 v75, v75, v76
	v_mul_f32_e32 v145, v101, v116
	v_fmac_f32_e32 v144, v100, v129
	v_add_f32_e32 v74, v74, v143
	s_waitcnt vmcnt(2)
	v_fma_f32 v76, v101, v130, -v77
	v_add_f32_e32 v75, v75, v78
	v_fmac_f32_e32 v145, v102, v130
	v_add_f32_e32 v74, v74, v144
	v_add_f32_e32 v75, v75, v76
	;; [unrolled: 1-line block ×3, first 2 shown]
	s_waitcnt vmcnt(1)
	v_sub_f32_e32 v75, v131, v75
	s_waitcnt vmcnt(0)
	v_sub_f32_e32 v74, v132, v74
	buffer_store_dword v75, off, s[0:3], 0 offset:168
	buffer_store_dword v74, off, s[0:3], 0 offset:172
	v_cmpx_lt_u32_e32 20, v0
	s_cbranch_execz .LBB99_189
; %bb.188:
	s_clause 0x1
	buffer_load_dword v74, off, s[0:3], 0 offset:160
	buffer_load_dword v75, off, s[0:3], 0 offset:164
	v_mov_b32_e32 v76, 0
	buffer_store_dword v76, off, s[0:3], 0 offset:160
	buffer_store_dword v76, off, s[0:3], 0 offset:164
	s_waitcnt vmcnt(0)
	ds_write_b64 v73, v[74:75]
.LBB99_189:
	s_or_b32 exec_lo, exec_lo, s4
	s_waitcnt lgkmcnt(0)
	s_waitcnt_vscnt null, 0x0
	s_barrier
	buffer_gl0_inv
	s_clause 0x1f
	buffer_load_dword v105, off, s[0:3], 0 offset:172
	buffer_load_dword v106, off, s[0:3], 0 offset:180
	;; [unrolled: 1-line block ×32, first 2 shown]
	v_mov_b32_e32 v74, 0
	ds_read2_b64 v[75:78], v74 offset0:57 offset1:58
	ds_read2_b64 v[79:82], v74 offset0:59 offset1:60
	;; [unrolled: 1-line block ×7, first 2 shown]
	ds_read_b64 v[103:104], v74 offset:568
	s_mov_b32 s4, exec_lo
	s_waitcnt vmcnt(31) lgkmcnt(7)
	v_mul_f32_e32 v137, v75, v105
	v_mul_f32_e32 v105, v76, v105
	s_waitcnt vmcnt(30)
	v_mul_f32_e32 v138, v77, v106
	v_mul_f32_e32 v106, v78, v106
	s_waitcnt vmcnt(29) lgkmcnt(6)
	v_mul_f32_e32 v139, v79, v107
	s_waitcnt vmcnt(28)
	v_mul_f32_e32 v140, v81, v108
	s_waitcnt vmcnt(27) lgkmcnt(5)
	v_mul_f32_e32 v141, v83, v109
	s_waitcnt vmcnt(26)
	;; [unrolled: 4-line block ×6, first 2 shown]
	v_fma_f32 v75, v75, v120, -v105
	v_fmac_f32_e32 v137, v76, v120
	v_mul_f32_e32 v76, v80, v107
	s_waitcnt vmcnt(15)
	v_fma_f32 v77, v77, v121, -v106
	v_fmac_f32_e32 v138, v78, v121
	v_add_f32_e32 v75, 0, v75
	v_add_f32_e32 v78, 0, v137
	v_mul_f32_e32 v105, v82, v108
	s_waitcnt vmcnt(14)
	v_fma_f32 v76, v79, v122, -v76
	v_fmac_f32_e32 v139, v80, v122
	v_add_f32_e32 v75, v75, v77
	v_add_f32_e32 v77, v78, v138
	;; [unrolled: 6-line block ×11, first 2 shown]
	v_mul_f32_e32 v78, v102, v118
	s_waitcnt vmcnt(4)
	v_fma_f32 v79, v99, v132, -v79
	v_mul_f32_e32 v150, v101, v118
	v_add_f32_e32 v75, v75, v77
	v_fmac_f32_e32 v149, v100, v132
	v_add_f32_e32 v76, v76, v148
	s_waitcnt lgkmcnt(0)
	v_mul_f32_e32 v77, v104, v119
	s_waitcnt vmcnt(3)
	v_fma_f32 v78, v101, v133, -v78
	v_add_f32_e32 v75, v75, v79
	v_mul_f32_e32 v151, v103, v119
	v_fmac_f32_e32 v150, v102, v133
	v_add_f32_e32 v76, v76, v149
	s_waitcnt vmcnt(2)
	v_fma_f32 v77, v103, v134, -v77
	v_add_f32_e32 v75, v75, v78
	v_fmac_f32_e32 v151, v104, v134
	v_add_f32_e32 v76, v76, v150
	v_add_f32_e32 v75, v75, v77
	;; [unrolled: 1-line block ×3, first 2 shown]
	s_waitcnt vmcnt(1)
	v_sub_f32_e32 v75, v135, v75
	s_waitcnt vmcnt(0)
	v_sub_f32_e32 v76, v136, v76
	buffer_store_dword v75, off, s[0:3], 0 offset:160
	buffer_store_dword v76, off, s[0:3], 0 offset:164
	v_cmpx_lt_u32_e32 19, v0
	s_cbranch_execz .LBB99_191
; %bb.190:
	s_clause 0x1
	buffer_load_dword v75, off, s[0:3], 0 offset:152
	buffer_load_dword v76, off, s[0:3], 0 offset:156
	buffer_store_dword v74, off, s[0:3], 0 offset:152
	buffer_store_dword v74, off, s[0:3], 0 offset:156
	s_waitcnt vmcnt(0)
	ds_write_b64 v73, v[75:76]
.LBB99_191:
	s_or_b32 exec_lo, exec_lo, s4
	s_waitcnt lgkmcnt(0)
	s_waitcnt_vscnt null, 0x0
	s_barrier
	buffer_gl0_inv
	s_clause 0x21
	buffer_load_dword v107, off, s[0:3], 0 offset:164
	buffer_load_dword v108, off, s[0:3], 0 offset:172
	;; [unrolled: 1-line block ×34, first 2 shown]
	ds_read_b128 v[75:78], v74 offset:448
	ds_read_b128 v[79:82], v74 offset:464
	;; [unrolled: 1-line block ×8, first 2 shown]
	s_mov_b32 s4, exec_lo
	s_waitcnt vmcnt(33) lgkmcnt(7)
	v_mul_f32_e32 v74, v75, v107
	v_mul_f32_e32 v107, v76, v107
	s_waitcnt vmcnt(32)
	v_mul_f32_e32 v141, v77, v108
	v_mul_f32_e32 v108, v78, v108
	s_waitcnt vmcnt(31) lgkmcnt(6)
	v_mul_f32_e32 v142, v79, v109
	s_waitcnt vmcnt(30)
	v_mul_f32_e32 v143, v81, v110
	s_waitcnt vmcnt(29) lgkmcnt(5)
	v_mul_f32_e32 v144, v83, v111
	s_waitcnt vmcnt(28)
	;; [unrolled: 4-line block ×6, first 2 shown]
	v_mul_f32_e32 v153, v101, v120
	s_waitcnt vmcnt(17)
	v_fma_f32 v75, v75, v123, -v107
	v_fmac_f32_e32 v74, v76, v123
	v_mul_f32_e32 v76, v80, v109
	s_waitcnt vmcnt(16)
	v_fma_f32 v77, v77, v124, -v108
	v_fmac_f32_e32 v141, v78, v124
	v_add_f32_e32 v75, 0, v75
	v_add_f32_e32 v74, 0, v74
	v_mul_f32_e32 v78, v82, v110
	s_waitcnt vmcnt(15)
	v_fma_f32 v76, v79, v125, -v76
	v_fmac_f32_e32 v142, v80, v125
	v_add_f32_e32 v75, v75, v77
	v_add_f32_e32 v74, v74, v141
	;; [unrolled: 6-line block ×12, first 2 shown]
	s_waitcnt lgkmcnt(0)
	v_mul_f32_e32 v76, v104, v121
	s_waitcnt vmcnt(4)
	v_fma_f32 v77, v101, v136, -v77
	v_mul_f32_e32 v154, v103, v121
	v_add_f32_e32 v75, v75, v78
	v_fmac_f32_e32 v153, v102, v136
	v_add_f32_e32 v74, v74, v152
	v_mul_f32_e32 v78, v106, v122
	s_waitcnt vmcnt(3)
	v_fma_f32 v76, v103, v137, -v76
	v_add_f32_e32 v75, v75, v77
	v_mul_f32_e32 v155, v105, v122
	v_fmac_f32_e32 v154, v104, v137
	v_add_f32_e32 v74, v74, v153
	s_waitcnt vmcnt(2)
	v_fma_f32 v77, v105, v138, -v78
	v_add_f32_e32 v75, v75, v76
	v_fmac_f32_e32 v155, v106, v138
	v_add_f32_e32 v74, v74, v154
	v_add_f32_e32 v75, v75, v77
	;; [unrolled: 1-line block ×3, first 2 shown]
	s_waitcnt vmcnt(1)
	v_sub_f32_e32 v75, v139, v75
	s_waitcnt vmcnt(0)
	v_sub_f32_e32 v74, v140, v74
	buffer_store_dword v75, off, s[0:3], 0 offset:152
	buffer_store_dword v74, off, s[0:3], 0 offset:156
	v_cmpx_lt_u32_e32 18, v0
	s_cbranch_execz .LBB99_193
; %bb.192:
	s_clause 0x1
	buffer_load_dword v74, off, s[0:3], 0 offset:144
	buffer_load_dword v75, off, s[0:3], 0 offset:148
	v_mov_b32_e32 v76, 0
	buffer_store_dword v76, off, s[0:3], 0 offset:144
	buffer_store_dword v76, off, s[0:3], 0 offset:148
	s_waitcnt vmcnt(0)
	ds_write_b64 v73, v[74:75]
.LBB99_193:
	s_or_b32 exec_lo, exec_lo, s4
	s_waitcnt lgkmcnt(0)
	s_waitcnt_vscnt null, 0x0
	s_barrier
	buffer_gl0_inv
	s_clause 0x23
	buffer_load_dword v109, off, s[0:3], 0 offset:156
	buffer_load_dword v110, off, s[0:3], 0 offset:164
	;; [unrolled: 1-line block ×36, first 2 shown]
	v_mov_b32_e32 v74, 0
	ds_read2_b64 v[75:78], v74 offset0:55 offset1:56
	ds_read2_b64 v[79:82], v74 offset0:57 offset1:58
	;; [unrolled: 1-line block ×8, first 2 shown]
	ds_read_b64 v[107:108], v74 offset:568
	s_mov_b32 s4, exec_lo
	s_waitcnt vmcnt(35) lgkmcnt(8)
	v_mul_f32_e32 v145, v75, v109
	v_mul_f32_e32 v109, v76, v109
	s_waitcnt vmcnt(34)
	v_mul_f32_e32 v146, v77, v110
	v_mul_f32_e32 v110, v78, v110
	s_waitcnt vmcnt(33) lgkmcnt(7)
	v_mul_f32_e32 v147, v79, v111
	s_waitcnt vmcnt(32)
	v_mul_f32_e32 v148, v81, v112
	s_waitcnt vmcnt(31) lgkmcnt(6)
	v_mul_f32_e32 v149, v83, v113
	s_waitcnt vmcnt(30)
	;; [unrolled: 4-line block ×7, first 2 shown]
	v_fma_f32 v75, v75, v126, -v109
	v_fmac_f32_e32 v145, v76, v126
	v_mul_f32_e32 v76, v80, v111
	s_waitcnt vmcnt(17)
	v_fma_f32 v77, v77, v127, -v110
	v_fmac_f32_e32 v146, v78, v127
	v_add_f32_e32 v75, 0, v75
	v_add_f32_e32 v78, 0, v145
	v_mul_f32_e32 v109, v82, v112
	s_waitcnt vmcnt(16)
	v_fma_f32 v76, v79, v128, -v76
	v_fmac_f32_e32 v147, v80, v128
	v_add_f32_e32 v75, v75, v77
	v_add_f32_e32 v77, v78, v146
	;; [unrolled: 6-line block ×13, first 2 shown]
	v_mul_f32_e32 v79, v106, v124
	s_waitcnt vmcnt(4)
	v_fma_f32 v77, v103, v140, -v77
	v_mul_f32_e32 v160, v105, v124
	v_add_f32_e32 v75, v75, v78
	v_fmac_f32_e32 v159, v104, v140
	v_add_f32_e32 v76, v76, v158
	s_waitcnt lgkmcnt(0)
	v_mul_f32_e32 v78, v108, v125
	s_waitcnt vmcnt(3)
	v_fma_f32 v79, v105, v141, -v79
	v_add_f32_e32 v75, v75, v77
	v_mul_f32_e32 v161, v107, v125
	v_fmac_f32_e32 v160, v106, v141
	v_add_f32_e32 v76, v76, v159
	s_waitcnt vmcnt(2)
	v_fma_f32 v77, v107, v142, -v78
	v_add_f32_e32 v75, v75, v79
	v_fmac_f32_e32 v161, v108, v142
	v_add_f32_e32 v76, v76, v160
	v_add_f32_e32 v75, v75, v77
	v_add_f32_e32 v76, v76, v161
	s_waitcnt vmcnt(1)
	v_sub_f32_e32 v75, v143, v75
	s_waitcnt vmcnt(0)
	v_sub_f32_e32 v76, v144, v76
	buffer_store_dword v75, off, s[0:3], 0 offset:144
	buffer_store_dword v76, off, s[0:3], 0 offset:148
	v_cmpx_lt_u32_e32 17, v0
	s_cbranch_execz .LBB99_195
; %bb.194:
	s_clause 0x1
	buffer_load_dword v75, off, s[0:3], 0 offset:136
	buffer_load_dword v76, off, s[0:3], 0 offset:140
	buffer_store_dword v74, off, s[0:3], 0 offset:136
	buffer_store_dword v74, off, s[0:3], 0 offset:140
	s_waitcnt vmcnt(0)
	ds_write_b64 v73, v[75:76]
.LBB99_195:
	s_or_b32 exec_lo, exec_lo, s4
	s_waitcnt lgkmcnt(0)
	s_waitcnt_vscnt null, 0x0
	s_barrier
	buffer_gl0_inv
	s_clause 0x25
	buffer_load_dword v111, off, s[0:3], 0 offset:148
	buffer_load_dword v112, off, s[0:3], 0 offset:156
	;; [unrolled: 1-line block ×38, first 2 shown]
	ds_read_b128 v[75:78], v74 offset:432
	ds_read_b128 v[79:82], v74 offset:448
	;; [unrolled: 1-line block ×9, first 2 shown]
	s_mov_b32 s4, exec_lo
	s_waitcnt vmcnt(37) lgkmcnt(8)
	v_mul_f32_e32 v74, v75, v111
	v_mul_f32_e32 v111, v76, v111
	s_waitcnt vmcnt(36)
	v_mul_f32_e32 v149, v77, v112
	v_mul_f32_e32 v112, v78, v112
	s_waitcnt vmcnt(35) lgkmcnt(7)
	v_mul_f32_e32 v150, v79, v113
	s_waitcnt vmcnt(34)
	v_mul_f32_e32 v151, v81, v114
	s_waitcnt vmcnt(33) lgkmcnt(6)
	v_mul_f32_e32 v152, v83, v115
	s_waitcnt vmcnt(32)
	v_mul_f32_e32 v153, v85, v116
	s_waitcnt vmcnt(31) lgkmcnt(5)
	v_mul_f32_e32 v154, v87, v117
	s_waitcnt vmcnt(30)
	v_mul_f32_e32 v155, v89, v118
	s_waitcnt vmcnt(29) lgkmcnt(4)
	v_mul_f32_e32 v156, v91, v119
	s_waitcnt vmcnt(28)
	v_mul_f32_e32 v157, v93, v120
	s_waitcnt vmcnt(27) lgkmcnt(3)
	v_mul_f32_e32 v158, v95, v121
	s_waitcnt vmcnt(26)
	v_mul_f32_e32 v159, v97, v122
	s_waitcnt vmcnt(25) lgkmcnt(2)
	v_mul_f32_e32 v160, v99, v123
	s_waitcnt vmcnt(24)
	v_mul_f32_e32 v161, v101, v124
	s_waitcnt vmcnt(23) lgkmcnt(1)
	v_mul_f32_e32 v162, v103, v125
	s_waitcnt vmcnt(22)
	v_mul_f32_e32 v163, v105, v126
	s_waitcnt vmcnt(19)
	v_fma_f32 v75, v75, v129, -v111
	v_fmac_f32_e32 v74, v76, v129
	v_mul_f32_e32 v76, v80, v113
	s_waitcnt vmcnt(18)
	v_fma_f32 v77, v77, v130, -v112
	v_fmac_f32_e32 v149, v78, v130
	v_add_f32_e32 v75, 0, v75
	v_add_f32_e32 v74, 0, v74
	v_mul_f32_e32 v78, v82, v114
	s_waitcnt vmcnt(17)
	v_fma_f32 v76, v79, v131, -v76
	v_fmac_f32_e32 v150, v80, v131
	v_add_f32_e32 v75, v75, v77
	v_add_f32_e32 v74, v74, v149
	v_mul_f32_e32 v77, v84, v115
	s_waitcnt vmcnt(16)
	v_fma_f32 v78, v81, v132, -v78
	v_fmac_f32_e32 v151, v82, v132
	v_add_f32_e32 v75, v75, v76
	v_add_f32_e32 v74, v74, v150
	v_mul_f32_e32 v76, v86, v116
	s_waitcnt vmcnt(15)
	v_fma_f32 v77, v83, v133, -v77
	v_fmac_f32_e32 v152, v84, v133
	v_add_f32_e32 v75, v75, v78
	v_add_f32_e32 v74, v74, v151
	v_mul_f32_e32 v78, v88, v117
	s_waitcnt vmcnt(14)
	v_fma_f32 v76, v85, v134, -v76
	v_fmac_f32_e32 v153, v86, v134
	v_add_f32_e32 v75, v75, v77
	v_add_f32_e32 v74, v74, v152
	v_mul_f32_e32 v77, v90, v118
	s_waitcnt vmcnt(13)
	v_fma_f32 v78, v87, v135, -v78
	v_fmac_f32_e32 v154, v88, v135
	v_add_f32_e32 v75, v75, v76
	v_add_f32_e32 v74, v74, v153
	v_mul_f32_e32 v76, v92, v119
	s_waitcnt vmcnt(12)
	v_fma_f32 v77, v89, v136, -v77
	v_fmac_f32_e32 v155, v90, v136
	v_add_f32_e32 v75, v75, v78
	v_add_f32_e32 v74, v74, v154
	v_mul_f32_e32 v78, v94, v120
	s_waitcnt vmcnt(11)
	v_fma_f32 v76, v91, v137, -v76
	v_fmac_f32_e32 v156, v92, v137
	v_add_f32_e32 v75, v75, v77
	v_add_f32_e32 v74, v74, v155
	v_mul_f32_e32 v77, v96, v121
	s_waitcnt vmcnt(10)
	v_fma_f32 v78, v93, v138, -v78
	v_fmac_f32_e32 v157, v94, v138
	v_add_f32_e32 v75, v75, v76
	v_add_f32_e32 v74, v74, v156
	v_mul_f32_e32 v76, v98, v122
	s_waitcnt vmcnt(9)
	v_fma_f32 v77, v95, v139, -v77
	v_fmac_f32_e32 v158, v96, v139
	v_add_f32_e32 v75, v75, v78
	v_add_f32_e32 v74, v74, v157
	v_mul_f32_e32 v78, v100, v123
	s_waitcnt vmcnt(8)
	v_fma_f32 v76, v97, v140, -v76
	v_fmac_f32_e32 v159, v98, v140
	v_add_f32_e32 v75, v75, v77
	v_add_f32_e32 v74, v74, v158
	v_mul_f32_e32 v77, v102, v124
	s_waitcnt vmcnt(7)
	v_fma_f32 v78, v99, v141, -v78
	v_fmac_f32_e32 v160, v100, v141
	v_add_f32_e32 v75, v75, v76
	v_add_f32_e32 v74, v74, v159
	v_mul_f32_e32 v76, v104, v125
	s_waitcnt vmcnt(6)
	v_fma_f32 v77, v101, v142, -v77
	v_fmac_f32_e32 v161, v102, v142
	v_add_f32_e32 v75, v75, v78
	v_add_f32_e32 v74, v74, v160
	v_mul_f32_e32 v78, v106, v126
	s_waitcnt vmcnt(5)
	v_fma_f32 v76, v103, v143, -v76
	v_fmac_f32_e32 v162, v104, v143
	v_add_f32_e32 v75, v75, v77
	v_add_f32_e32 v74, v74, v161
	s_waitcnt lgkmcnt(0)
	v_mul_f32_e32 v77, v108, v127
	s_waitcnt vmcnt(4)
	v_fma_f32 v78, v105, v144, -v78
	v_mul_f32_e32 v164, v107, v127
	v_add_f32_e32 v75, v75, v76
	v_fmac_f32_e32 v163, v106, v144
	v_add_f32_e32 v74, v74, v162
	v_mul_f32_e32 v76, v110, v128
	s_waitcnt vmcnt(3)
	v_fma_f32 v77, v107, v145, -v77
	v_add_f32_e32 v75, v75, v78
	v_mul_f32_e32 v165, v109, v128
	v_fmac_f32_e32 v164, v108, v145
	v_add_f32_e32 v74, v74, v163
	s_waitcnt vmcnt(2)
	v_fma_f32 v76, v109, v146, -v76
	v_add_f32_e32 v75, v75, v77
	v_fmac_f32_e32 v165, v110, v146
	v_add_f32_e32 v74, v74, v164
	v_add_f32_e32 v75, v75, v76
	;; [unrolled: 1-line block ×3, first 2 shown]
	s_waitcnt vmcnt(1)
	v_sub_f32_e32 v75, v147, v75
	s_waitcnt vmcnt(0)
	v_sub_f32_e32 v74, v148, v74
	buffer_store_dword v75, off, s[0:3], 0 offset:136
	buffer_store_dword v74, off, s[0:3], 0 offset:140
	v_cmpx_lt_u32_e32 16, v0
	s_cbranch_execz .LBB99_197
; %bb.196:
	s_clause 0x1
	buffer_load_dword v74, off, s[0:3], 0 offset:128
	buffer_load_dword v75, off, s[0:3], 0 offset:132
	v_mov_b32_e32 v76, 0
	buffer_store_dword v76, off, s[0:3], 0 offset:128
	buffer_store_dword v76, off, s[0:3], 0 offset:132
	s_waitcnt vmcnt(0)
	ds_write_b64 v73, v[74:75]
.LBB99_197:
	s_or_b32 exec_lo, exec_lo, s4
	s_waitcnt lgkmcnt(0)
	s_waitcnt_vscnt null, 0x0
	s_barrier
	buffer_gl0_inv
	s_clause 0x27
	buffer_load_dword v113, off, s[0:3], 0 offset:140
	buffer_load_dword v114, off, s[0:3], 0 offset:148
	;; [unrolled: 1-line block ×40, first 2 shown]
	v_mov_b32_e32 v74, 0
	ds_read2_b64 v[75:78], v74 offset0:53 offset1:54
	ds_read2_b64 v[79:82], v74 offset0:55 offset1:56
	;; [unrolled: 1-line block ×9, first 2 shown]
	ds_read_b64 v[111:112], v74 offset:568
	s_mov_b32 s4, exec_lo
	s_waitcnt vmcnt(39) lgkmcnt(9)
	v_mul_f32_e32 v153, v75, v113
	v_mul_f32_e32 v113, v76, v113
	s_waitcnt vmcnt(38)
	v_mul_f32_e32 v154, v77, v114
	v_mul_f32_e32 v114, v78, v114
	s_waitcnt vmcnt(37) lgkmcnt(8)
	v_mul_f32_e32 v155, v79, v115
	s_waitcnt vmcnt(36)
	v_mul_f32_e32 v156, v81, v116
	s_waitcnt vmcnt(35) lgkmcnt(7)
	v_mul_f32_e32 v157, v83, v117
	s_waitcnt vmcnt(34)
	v_mul_f32_e32 v158, v85, v118
	s_waitcnt vmcnt(33) lgkmcnt(6)
	v_mul_f32_e32 v159, v87, v119
	s_waitcnt vmcnt(32)
	v_mul_f32_e32 v160, v89, v120
	s_waitcnt vmcnt(31) lgkmcnt(5)
	v_mul_f32_e32 v161, v91, v121
	s_waitcnt vmcnt(30)
	v_mul_f32_e32 v162, v93, v122
	s_waitcnt vmcnt(29) lgkmcnt(4)
	v_mul_f32_e32 v163, v95, v123
	s_waitcnt vmcnt(28)
	v_mul_f32_e32 v164, v97, v124
	s_waitcnt vmcnt(27) lgkmcnt(3)
	v_mul_f32_e32 v165, v99, v125
	s_waitcnt vmcnt(26)
	v_mul_f32_e32 v166, v101, v126
	s_waitcnt vmcnt(25) lgkmcnt(2)
	v_mul_f32_e32 v167, v103, v127
	s_waitcnt vmcnt(24)
	v_mul_f32_e32 v168, v105, v128
	s_waitcnt vmcnt(23) lgkmcnt(1)
	v_mul_f32_e32 v169, v107, v129
	s_waitcnt vmcnt(20)
	v_fma_f32 v75, v75, v132, -v113
	v_fmac_f32_e32 v153, v76, v132
	v_mul_f32_e32 v76, v80, v115
	s_waitcnt vmcnt(19)
	v_fma_f32 v77, v77, v133, -v114
	v_fmac_f32_e32 v154, v78, v133
	v_add_f32_e32 v75, 0, v75
	v_add_f32_e32 v78, 0, v153
	v_mul_f32_e32 v113, v82, v116
	s_waitcnt vmcnt(18)
	v_fma_f32 v76, v79, v134, -v76
	v_fmac_f32_e32 v155, v80, v134
	v_add_f32_e32 v75, v75, v77
	v_add_f32_e32 v77, v78, v154
	v_mul_f32_e32 v78, v84, v117
	s_waitcnt vmcnt(17)
	v_fma_f32 v79, v81, v135, -v113
	v_fmac_f32_e32 v156, v82, v135
	v_add_f32_e32 v75, v75, v76
	v_add_f32_e32 v76, v77, v155
	v_mul_f32_e32 v77, v86, v118
	s_waitcnt vmcnt(16)
	v_fma_f32 v78, v83, v136, -v78
	v_fmac_f32_e32 v157, v84, v136
	v_add_f32_e32 v75, v75, v79
	v_add_f32_e32 v76, v76, v156
	v_mul_f32_e32 v79, v88, v119
	s_waitcnt vmcnt(15)
	v_fma_f32 v77, v85, v137, -v77
	v_fmac_f32_e32 v158, v86, v137
	v_add_f32_e32 v75, v75, v78
	v_add_f32_e32 v76, v76, v157
	v_mul_f32_e32 v78, v90, v120
	s_waitcnt vmcnt(14)
	v_fma_f32 v79, v87, v138, -v79
	v_fmac_f32_e32 v159, v88, v138
	v_add_f32_e32 v75, v75, v77
	v_add_f32_e32 v76, v76, v158
	v_mul_f32_e32 v77, v92, v121
	s_waitcnt vmcnt(13)
	v_fma_f32 v78, v89, v139, -v78
	v_fmac_f32_e32 v160, v90, v139
	v_add_f32_e32 v75, v75, v79
	v_add_f32_e32 v76, v76, v159
	v_mul_f32_e32 v79, v94, v122
	s_waitcnt vmcnt(12)
	v_fma_f32 v77, v91, v140, -v77
	v_fmac_f32_e32 v161, v92, v140
	v_add_f32_e32 v75, v75, v78
	v_add_f32_e32 v76, v76, v160
	v_mul_f32_e32 v78, v96, v123
	s_waitcnt vmcnt(11)
	v_fma_f32 v79, v93, v141, -v79
	v_fmac_f32_e32 v162, v94, v141
	v_add_f32_e32 v75, v75, v77
	v_add_f32_e32 v76, v76, v161
	v_mul_f32_e32 v77, v98, v124
	s_waitcnt vmcnt(10)
	v_fma_f32 v78, v95, v142, -v78
	v_fmac_f32_e32 v163, v96, v142
	v_add_f32_e32 v75, v75, v79
	v_add_f32_e32 v76, v76, v162
	v_mul_f32_e32 v79, v100, v125
	s_waitcnt vmcnt(9)
	v_fma_f32 v77, v97, v143, -v77
	v_fmac_f32_e32 v164, v98, v143
	v_add_f32_e32 v75, v75, v78
	v_add_f32_e32 v76, v76, v163
	v_mul_f32_e32 v78, v102, v126
	s_waitcnt vmcnt(8)
	v_fma_f32 v79, v99, v144, -v79
	v_fmac_f32_e32 v165, v100, v144
	v_add_f32_e32 v75, v75, v77
	v_add_f32_e32 v76, v76, v164
	v_mul_f32_e32 v77, v104, v127
	s_waitcnt vmcnt(7)
	v_fma_f32 v78, v101, v145, -v78
	v_fmac_f32_e32 v166, v102, v145
	v_add_f32_e32 v75, v75, v79
	v_add_f32_e32 v76, v76, v165
	v_mul_f32_e32 v79, v106, v128
	s_waitcnt vmcnt(6)
	v_fma_f32 v77, v103, v146, -v77
	v_fmac_f32_e32 v167, v104, v146
	v_add_f32_e32 v75, v75, v78
	v_add_f32_e32 v76, v76, v166
	v_mul_f32_e32 v78, v108, v129
	s_waitcnt vmcnt(5)
	v_fma_f32 v79, v105, v147, -v79
	v_fmac_f32_e32 v168, v106, v147
	v_add_f32_e32 v75, v75, v77
	v_add_f32_e32 v76, v76, v167
	v_mul_f32_e32 v77, v110, v130
	s_waitcnt vmcnt(4)
	v_fma_f32 v78, v107, v148, -v78
	v_mul_f32_e32 v170, v109, v130
	v_add_f32_e32 v75, v75, v79
	v_fmac_f32_e32 v169, v108, v148
	v_add_f32_e32 v76, v76, v168
	s_waitcnt lgkmcnt(0)
	v_mul_f32_e32 v79, v112, v131
	s_waitcnt vmcnt(3)
	v_fma_f32 v77, v109, v149, -v77
	v_add_f32_e32 v75, v75, v78
	v_mul_f32_e32 v171, v111, v131
	v_fmac_f32_e32 v170, v110, v149
	v_add_f32_e32 v76, v76, v169
	s_waitcnt vmcnt(2)
	v_fma_f32 v78, v111, v150, -v79
	v_add_f32_e32 v75, v75, v77
	v_fmac_f32_e32 v171, v112, v150
	v_add_f32_e32 v76, v76, v170
	v_add_f32_e32 v75, v75, v78
	;; [unrolled: 1-line block ×3, first 2 shown]
	s_waitcnt vmcnt(1)
	v_sub_f32_e32 v75, v151, v75
	s_waitcnt vmcnt(0)
	v_sub_f32_e32 v76, v152, v76
	buffer_store_dword v75, off, s[0:3], 0 offset:128
	buffer_store_dword v76, off, s[0:3], 0 offset:132
	v_cmpx_lt_u32_e32 15, v0
	s_cbranch_execz .LBB99_199
; %bb.198:
	s_clause 0x1
	buffer_load_dword v75, off, s[0:3], 0 offset:120
	buffer_load_dword v76, off, s[0:3], 0 offset:124
	buffer_store_dword v74, off, s[0:3], 0 offset:120
	buffer_store_dword v74, off, s[0:3], 0 offset:124
	s_waitcnt vmcnt(0)
	ds_write_b64 v73, v[75:76]
.LBB99_199:
	s_or_b32 exec_lo, exec_lo, s4
	s_waitcnt lgkmcnt(0)
	s_waitcnt_vscnt null, 0x0
	s_barrier
	buffer_gl0_inv
	s_clause 0x29
	buffer_load_dword v115, off, s[0:3], 0 offset:132
	buffer_load_dword v116, off, s[0:3], 0 offset:140
	buffer_load_dword v117, off, s[0:3], 0 offset:148
	buffer_load_dword v118, off, s[0:3], 0 offset:156
	buffer_load_dword v119, off, s[0:3], 0 offset:164
	buffer_load_dword v120, off, s[0:3], 0 offset:172
	buffer_load_dword v121, off, s[0:3], 0 offset:180
	buffer_load_dword v122, off, s[0:3], 0 offset:188
	buffer_load_dword v123, off, s[0:3], 0 offset:196
	buffer_load_dword v124, off, s[0:3], 0 offset:204
	buffer_load_dword v125, off, s[0:3], 0 offset:212
	buffer_load_dword v126, off, s[0:3], 0 offset:220
	buffer_load_dword v127, off, s[0:3], 0 offset:228
	buffer_load_dword v128, off, s[0:3], 0 offset:236
	buffer_load_dword v129, off, s[0:3], 0 offset:244
	buffer_load_dword v130, off, s[0:3], 0 offset:252
	buffer_load_dword v131, off, s[0:3], 0 offset:260
	buffer_load_dword v132, off, s[0:3], 0 offset:268
	buffer_load_dword v133, off, s[0:3], 0 offset:276
	buffer_load_dword v134, off, s[0:3], 0 offset:284
	buffer_load_dword v135, off, s[0:3], 0 offset:128
	buffer_load_dword v136, off, s[0:3], 0 offset:136
	buffer_load_dword v137, off, s[0:3], 0 offset:144
	buffer_load_dword v138, off, s[0:3], 0 offset:152
	buffer_load_dword v139, off, s[0:3], 0 offset:160
	buffer_load_dword v140, off, s[0:3], 0 offset:168
	buffer_load_dword v141, off, s[0:3], 0 offset:176
	buffer_load_dword v142, off, s[0:3], 0 offset:184
	buffer_load_dword v143, off, s[0:3], 0 offset:192
	buffer_load_dword v144, off, s[0:3], 0 offset:200
	buffer_load_dword v145, off, s[0:3], 0 offset:208
	buffer_load_dword v146, off, s[0:3], 0 offset:216
	buffer_load_dword v147, off, s[0:3], 0 offset:224
	buffer_load_dword v148, off, s[0:3], 0 offset:232
	buffer_load_dword v149, off, s[0:3], 0 offset:240
	buffer_load_dword v150, off, s[0:3], 0 offset:248
	buffer_load_dword v151, off, s[0:3], 0 offset:256
	buffer_load_dword v152, off, s[0:3], 0 offset:264
	buffer_load_dword v153, off, s[0:3], 0 offset:272
	buffer_load_dword v154, off, s[0:3], 0 offset:280
	buffer_load_dword v155, off, s[0:3], 0 offset:120
	buffer_load_dword v156, off, s[0:3], 0 offset:124
	ds_read_b128 v[75:78], v74 offset:416
	ds_read_b128 v[79:82], v74 offset:432
	;; [unrolled: 1-line block ×10, first 2 shown]
	s_mov_b32 s4, exec_lo
	s_waitcnt vmcnt(41) lgkmcnt(9)
	v_mul_f32_e32 v74, v75, v115
	v_mul_f32_e32 v115, v76, v115
	s_waitcnt vmcnt(40)
	v_mul_f32_e32 v157, v77, v116
	v_mul_f32_e32 v116, v78, v116
	s_waitcnt vmcnt(39) lgkmcnt(8)
	v_mul_f32_e32 v158, v79, v117
	s_waitcnt vmcnt(38)
	v_mul_f32_e32 v159, v81, v118
	s_waitcnt vmcnt(37) lgkmcnt(7)
	v_mul_f32_e32 v160, v83, v119
	s_waitcnt vmcnt(36)
	;; [unrolled: 4-line block ×8, first 2 shown]
	v_mul_f32_e32 v173, v109, v132
	s_waitcnt vmcnt(21)
	v_fma_f32 v75, v75, v135, -v115
	v_fmac_f32_e32 v74, v76, v135
	v_mul_f32_e32 v76, v80, v117
	s_waitcnt vmcnt(20)
	v_fma_f32 v77, v77, v136, -v116
	v_fmac_f32_e32 v157, v78, v136
	v_add_f32_e32 v75, 0, v75
	v_add_f32_e32 v74, 0, v74
	v_mul_f32_e32 v78, v82, v118
	s_waitcnt vmcnt(19)
	v_fma_f32 v76, v79, v137, -v76
	v_fmac_f32_e32 v158, v80, v137
	v_add_f32_e32 v75, v75, v77
	v_add_f32_e32 v74, v74, v157
	;; [unrolled: 6-line block ×16, first 2 shown]
	s_waitcnt lgkmcnt(0)
	v_mul_f32_e32 v78, v112, v133
	s_waitcnt vmcnt(4)
	v_fma_f32 v76, v109, v152, -v76
	v_mul_f32_e32 v174, v111, v133
	v_add_f32_e32 v75, v75, v77
	v_fmac_f32_e32 v173, v110, v152
	v_add_f32_e32 v74, v74, v172
	v_mul_f32_e32 v77, v114, v134
	s_waitcnt vmcnt(3)
	v_fma_f32 v78, v111, v153, -v78
	v_add_f32_e32 v75, v75, v76
	v_mul_f32_e32 v175, v113, v134
	v_fmac_f32_e32 v174, v112, v153
	v_add_f32_e32 v74, v74, v173
	s_waitcnt vmcnt(2)
	v_fma_f32 v76, v113, v154, -v77
	v_add_f32_e32 v75, v75, v78
	v_fmac_f32_e32 v175, v114, v154
	v_add_f32_e32 v74, v74, v174
	v_add_f32_e32 v75, v75, v76
	;; [unrolled: 1-line block ×3, first 2 shown]
	s_waitcnt vmcnt(1)
	v_sub_f32_e32 v75, v155, v75
	s_waitcnt vmcnt(0)
	v_sub_f32_e32 v74, v156, v74
	buffer_store_dword v75, off, s[0:3], 0 offset:120
	buffer_store_dword v74, off, s[0:3], 0 offset:124
	v_cmpx_lt_u32_e32 14, v0
	s_cbranch_execz .LBB99_201
; %bb.200:
	s_clause 0x1
	buffer_load_dword v74, off, s[0:3], 0 offset:112
	buffer_load_dword v75, off, s[0:3], 0 offset:116
	v_mov_b32_e32 v76, 0
	buffer_store_dword v76, off, s[0:3], 0 offset:112
	buffer_store_dword v76, off, s[0:3], 0 offset:116
	s_waitcnt vmcnt(0)
	ds_write_b64 v73, v[74:75]
.LBB99_201:
	s_or_b32 exec_lo, exec_lo, s4
	s_waitcnt lgkmcnt(0)
	s_waitcnt_vscnt null, 0x0
	s_barrier
	buffer_gl0_inv
	s_clause 0x2b
	buffer_load_dword v117, off, s[0:3], 0 offset:124
	buffer_load_dword v118, off, s[0:3], 0 offset:132
	;; [unrolled: 1-line block ×44, first 2 shown]
	v_mov_b32_e32 v74, 0
	ds_read2_b64 v[75:78], v74 offset0:51 offset1:52
	ds_read2_b64 v[79:82], v74 offset0:53 offset1:54
	ds_read2_b64 v[83:86], v74 offset0:55 offset1:56
	ds_read2_b64 v[87:90], v74 offset0:57 offset1:58
	ds_read2_b64 v[91:94], v74 offset0:59 offset1:60
	ds_read2_b64 v[95:98], v74 offset0:61 offset1:62
	ds_read2_b64 v[99:102], v74 offset0:63 offset1:64
	ds_read2_b64 v[103:106], v74 offset0:65 offset1:66
	ds_read2_b64 v[107:110], v74 offset0:67 offset1:68
	ds_read2_b64 v[111:114], v74 offset0:69 offset1:70
	ds_read_b64 v[115:116], v74 offset:568
	s_mov_b32 s4, exec_lo
	s_waitcnt vmcnt(43) lgkmcnt(10)
	v_mul_f32_e32 v161, v75, v117
	v_mul_f32_e32 v117, v76, v117
	s_waitcnt vmcnt(42)
	v_mul_f32_e32 v162, v77, v118
	v_mul_f32_e32 v118, v78, v118
	s_waitcnt vmcnt(41) lgkmcnt(9)
	v_mul_f32_e32 v163, v79, v119
	s_waitcnt vmcnt(40)
	v_mul_f32_e32 v164, v81, v120
	s_waitcnt vmcnt(39) lgkmcnt(8)
	v_mul_f32_e32 v165, v83, v121
	s_waitcnt vmcnt(38)
	;; [unrolled: 4-line block ×9, first 2 shown]
	v_fma_f32 v75, v75, v138, -v117
	v_fmac_f32_e32 v161, v76, v138
	v_mul_f32_e32 v76, v80, v119
	s_waitcnt vmcnt(21)
	v_fma_f32 v77, v77, v139, -v118
	v_fmac_f32_e32 v162, v78, v139
	v_add_f32_e32 v75, 0, v75
	v_add_f32_e32 v78, 0, v161
	v_mul_f32_e32 v117, v82, v120
	s_waitcnt vmcnt(20)
	v_fma_f32 v76, v79, v140, -v76
	v_fmac_f32_e32 v163, v80, v140
	v_add_f32_e32 v75, v75, v77
	v_add_f32_e32 v77, v78, v162
	;; [unrolled: 6-line block ×17, first 2 shown]
	v_mul_f32_e32 v78, v114, v136
	s_waitcnt vmcnt(4)
	v_fma_f32 v79, v111, v156, -v79
	v_mul_f32_e32 v180, v113, v136
	v_add_f32_e32 v75, v75, v77
	v_fmac_f32_e32 v179, v112, v156
	v_add_f32_e32 v76, v76, v178
	s_waitcnt lgkmcnt(0)
	v_mul_f32_e32 v77, v116, v137
	s_waitcnt vmcnt(3)
	v_fma_f32 v78, v113, v157, -v78
	v_add_f32_e32 v75, v75, v79
	v_mul_f32_e32 v181, v115, v137
	v_fmac_f32_e32 v180, v114, v157
	v_add_f32_e32 v76, v76, v179
	s_waitcnt vmcnt(2)
	v_fma_f32 v77, v115, v158, -v77
	v_add_f32_e32 v75, v75, v78
	v_fmac_f32_e32 v181, v116, v158
	v_add_f32_e32 v76, v76, v180
	v_add_f32_e32 v75, v75, v77
	;; [unrolled: 1-line block ×3, first 2 shown]
	s_waitcnt vmcnt(1)
	v_sub_f32_e32 v75, v159, v75
	s_waitcnt vmcnt(0)
	v_sub_f32_e32 v76, v160, v76
	buffer_store_dword v75, off, s[0:3], 0 offset:112
	buffer_store_dword v76, off, s[0:3], 0 offset:116
	v_cmpx_lt_u32_e32 13, v0
	s_cbranch_execz .LBB99_203
; %bb.202:
	s_clause 0x1
	buffer_load_dword v75, off, s[0:3], 0 offset:104
	buffer_load_dword v76, off, s[0:3], 0 offset:108
	buffer_store_dword v74, off, s[0:3], 0 offset:104
	buffer_store_dword v74, off, s[0:3], 0 offset:108
	s_waitcnt vmcnt(0)
	ds_write_b64 v73, v[75:76]
.LBB99_203:
	s_or_b32 exec_lo, exec_lo, s4
	s_waitcnt lgkmcnt(0)
	s_waitcnt_vscnt null, 0x0
	s_barrier
	buffer_gl0_inv
	s_clause 0x2d
	buffer_load_dword v119, off, s[0:3], 0 offset:116
	buffer_load_dword v120, off, s[0:3], 0 offset:124
	;; [unrolled: 1-line block ×46, first 2 shown]
	ds_read_b128 v[75:78], v74 offset:400
	ds_read_b128 v[79:82], v74 offset:416
	;; [unrolled: 1-line block ×11, first 2 shown]
	s_mov_b32 s4, exec_lo
	s_waitcnt vmcnt(45) lgkmcnt(10)
	v_mul_f32_e32 v74, v75, v119
	v_mul_f32_e32 v119, v76, v119
	s_waitcnt vmcnt(44)
	v_mul_f32_e32 v165, v77, v120
	v_mul_f32_e32 v120, v78, v120
	s_waitcnt vmcnt(43) lgkmcnt(9)
	v_mul_f32_e32 v166, v79, v121
	s_waitcnt vmcnt(42)
	v_mul_f32_e32 v167, v81, v122
	s_waitcnt vmcnt(41) lgkmcnt(8)
	v_mul_f32_e32 v168, v83, v123
	s_waitcnt vmcnt(40)
	;; [unrolled: 4-line block ×9, first 2 shown]
	v_mul_f32_e32 v183, v113, v138
	s_waitcnt vmcnt(23)
	v_fma_f32 v75, v75, v141, -v119
	v_fmac_f32_e32 v74, v76, v141
	v_mul_f32_e32 v76, v80, v121
	s_waitcnt vmcnt(22)
	v_fma_f32 v77, v77, v142, -v120
	v_fmac_f32_e32 v165, v78, v142
	v_add_f32_e32 v75, 0, v75
	v_add_f32_e32 v74, 0, v74
	v_mul_f32_e32 v78, v82, v122
	s_waitcnt vmcnt(21)
	v_fma_f32 v76, v79, v143, -v76
	v_fmac_f32_e32 v166, v80, v143
	v_add_f32_e32 v75, v75, v77
	v_add_f32_e32 v74, v74, v165
	;; [unrolled: 6-line block ×18, first 2 shown]
	s_waitcnt lgkmcnt(0)
	v_mul_f32_e32 v76, v116, v139
	s_waitcnt vmcnt(4)
	v_fma_f32 v77, v113, v160, -v77
	v_mul_f32_e32 v184, v115, v139
	v_add_f32_e32 v75, v75, v78
	v_fmac_f32_e32 v183, v114, v160
	v_add_f32_e32 v74, v74, v182
	v_mul_f32_e32 v78, v118, v140
	s_waitcnt vmcnt(3)
	v_fma_f32 v76, v115, v161, -v76
	v_add_f32_e32 v75, v75, v77
	v_mul_f32_e32 v185, v117, v140
	v_fmac_f32_e32 v184, v116, v161
	v_add_f32_e32 v74, v74, v183
	s_waitcnt vmcnt(2)
	v_fma_f32 v77, v117, v162, -v78
	v_add_f32_e32 v75, v75, v76
	v_fmac_f32_e32 v185, v118, v162
	v_add_f32_e32 v74, v74, v184
	v_add_f32_e32 v75, v75, v77
	;; [unrolled: 1-line block ×3, first 2 shown]
	s_waitcnt vmcnt(1)
	v_sub_f32_e32 v75, v163, v75
	s_waitcnt vmcnt(0)
	v_sub_f32_e32 v74, v164, v74
	buffer_store_dword v75, off, s[0:3], 0 offset:104
	buffer_store_dword v74, off, s[0:3], 0 offset:108
	v_cmpx_lt_u32_e32 12, v0
	s_cbranch_execz .LBB99_205
; %bb.204:
	s_clause 0x1
	buffer_load_dword v74, off, s[0:3], 0 offset:96
	buffer_load_dword v75, off, s[0:3], 0 offset:100
	v_mov_b32_e32 v76, 0
	buffer_store_dword v76, off, s[0:3], 0 offset:96
	buffer_store_dword v76, off, s[0:3], 0 offset:100
	s_waitcnt vmcnt(0)
	ds_write_b64 v73, v[74:75]
.LBB99_205:
	s_or_b32 exec_lo, exec_lo, s4
	s_waitcnt lgkmcnt(0)
	s_waitcnt_vscnt null, 0x0
	s_barrier
	buffer_gl0_inv
	s_clause 0x2f
	buffer_load_dword v121, off, s[0:3], 0 offset:108
	buffer_load_dword v122, off, s[0:3], 0 offset:116
	;; [unrolled: 1-line block ×48, first 2 shown]
	v_mov_b32_e32 v74, 0
	ds_read2_b64 v[75:78], v74 offset0:49 offset1:50
	ds_read2_b64 v[79:82], v74 offset0:51 offset1:52
	;; [unrolled: 1-line block ×11, first 2 shown]
	ds_read_b64 v[119:120], v74 offset:568
	s_mov_b32 s4, exec_lo
	s_waitcnt vmcnt(47) lgkmcnt(11)
	v_mul_f32_e32 v169, v75, v121
	v_mul_f32_e32 v121, v76, v121
	s_waitcnt vmcnt(46)
	v_mul_f32_e32 v170, v77, v122
	v_mul_f32_e32 v122, v78, v122
	s_waitcnt vmcnt(45) lgkmcnt(10)
	v_mul_f32_e32 v171, v79, v123
	s_waitcnt vmcnt(44)
	v_mul_f32_e32 v172, v81, v124
	s_waitcnt vmcnt(43) lgkmcnt(9)
	v_mul_f32_e32 v173, v83, v125
	s_waitcnt vmcnt(42)
	;; [unrolled: 4-line block ×10, first 2 shown]
	v_fma_f32 v75, v75, v144, -v121
	v_fmac_f32_e32 v169, v76, v144
	v_mul_f32_e32 v76, v80, v123
	s_waitcnt vmcnt(23)
	v_fma_f32 v77, v77, v145, -v122
	v_fmac_f32_e32 v170, v78, v145
	v_add_f32_e32 v75, 0, v75
	v_add_f32_e32 v78, 0, v169
	v_mul_f32_e32 v121, v82, v124
	s_waitcnt vmcnt(22)
	v_fma_f32 v76, v79, v146, -v76
	v_fmac_f32_e32 v171, v80, v146
	v_add_f32_e32 v75, v75, v77
	v_add_f32_e32 v77, v78, v170
	;; [unrolled: 6-line block ×19, first 2 shown]
	v_mul_f32_e32 v79, v118, v142
	s_waitcnt vmcnt(4)
	v_fma_f32 v77, v115, v164, -v77
	v_mul_f32_e32 v190, v117, v142
	v_add_f32_e32 v75, v75, v78
	v_fmac_f32_e32 v189, v116, v164
	v_add_f32_e32 v76, v76, v188
	s_waitcnt lgkmcnt(0)
	v_mul_f32_e32 v78, v120, v143
	s_waitcnt vmcnt(3)
	v_fma_f32 v79, v117, v165, -v79
	v_add_f32_e32 v75, v75, v77
	v_mul_f32_e32 v191, v119, v143
	v_fmac_f32_e32 v190, v118, v165
	v_add_f32_e32 v76, v76, v189
	s_waitcnt vmcnt(2)
	v_fma_f32 v77, v119, v166, -v78
	v_add_f32_e32 v75, v75, v79
	v_fmac_f32_e32 v191, v120, v166
	v_add_f32_e32 v76, v76, v190
	v_add_f32_e32 v75, v75, v77
	;; [unrolled: 1-line block ×3, first 2 shown]
	s_waitcnt vmcnt(1)
	v_sub_f32_e32 v75, v167, v75
	s_waitcnt vmcnt(0)
	v_sub_f32_e32 v76, v168, v76
	buffer_store_dword v75, off, s[0:3], 0 offset:96
	buffer_store_dword v76, off, s[0:3], 0 offset:100
	v_cmpx_lt_u32_e32 11, v0
	s_cbranch_execz .LBB99_207
; %bb.206:
	s_clause 0x1
	buffer_load_dword v75, off, s[0:3], 0 offset:88
	buffer_load_dword v76, off, s[0:3], 0 offset:92
	buffer_store_dword v74, off, s[0:3], 0 offset:88
	buffer_store_dword v74, off, s[0:3], 0 offset:92
	s_waitcnt vmcnt(0)
	ds_write_b64 v73, v[75:76]
.LBB99_207:
	s_or_b32 exec_lo, exec_lo, s4
	s_waitcnt lgkmcnt(0)
	s_waitcnt_vscnt null, 0x0
	s_barrier
	buffer_gl0_inv
	s_clause 0x31
	buffer_load_dword v123, off, s[0:3], 0 offset:100
	buffer_load_dword v124, off, s[0:3], 0 offset:108
	;; [unrolled: 1-line block ×50, first 2 shown]
	ds_read_b128 v[75:78], v74 offset:384
	ds_read_b128 v[79:82], v74 offset:400
	;; [unrolled: 1-line block ×12, first 2 shown]
	s_mov_b32 s4, exec_lo
	s_waitcnt vmcnt(49) lgkmcnt(11)
	v_mul_f32_e32 v74, v75, v123
	v_mul_f32_e32 v123, v76, v123
	s_waitcnt vmcnt(48)
	v_mul_f32_e32 v173, v77, v124
	v_mul_f32_e32 v124, v78, v124
	s_waitcnt vmcnt(47) lgkmcnt(10)
	v_mul_f32_e32 v174, v79, v125
	s_waitcnt vmcnt(46)
	v_mul_f32_e32 v175, v81, v126
	s_waitcnt vmcnt(45) lgkmcnt(9)
	v_mul_f32_e32 v176, v83, v127
	s_waitcnt vmcnt(44)
	;; [unrolled: 4-line block ×10, first 2 shown]
	v_mul_f32_e32 v193, v117, v144
	s_waitcnt vmcnt(25)
	v_fma_f32 v75, v75, v147, -v123
	v_fmac_f32_e32 v74, v76, v147
	v_mul_f32_e32 v76, v80, v125
	s_waitcnt vmcnt(24)
	v_fma_f32 v77, v77, v148, -v124
	v_fmac_f32_e32 v173, v78, v148
	v_add_f32_e32 v75, 0, v75
	v_add_f32_e32 v74, 0, v74
	v_mul_f32_e32 v78, v82, v126
	s_waitcnt vmcnt(23)
	v_fma_f32 v76, v79, v149, -v76
	v_fmac_f32_e32 v174, v80, v149
	v_add_f32_e32 v75, v75, v77
	v_add_f32_e32 v74, v74, v173
	;; [unrolled: 6-line block ×20, first 2 shown]
	s_waitcnt lgkmcnt(0)
	v_mul_f32_e32 v77, v120, v145
	s_waitcnt vmcnt(4)
	v_fma_f32 v78, v117, v168, -v78
	v_mul_f32_e32 v194, v119, v145
	v_add_f32_e32 v75, v75, v76
	v_fmac_f32_e32 v193, v118, v168
	v_add_f32_e32 v74, v74, v192
	v_mul_f32_e32 v76, v122, v146
	s_waitcnt vmcnt(3)
	v_fma_f32 v77, v119, v169, -v77
	v_add_f32_e32 v75, v75, v78
	v_mul_f32_e32 v195, v121, v146
	v_fmac_f32_e32 v194, v120, v169
	v_add_f32_e32 v74, v74, v193
	s_waitcnt vmcnt(2)
	v_fma_f32 v76, v121, v170, -v76
	v_add_f32_e32 v75, v75, v77
	v_fmac_f32_e32 v195, v122, v170
	v_add_f32_e32 v74, v74, v194
	v_add_f32_e32 v75, v75, v76
	;; [unrolled: 1-line block ×3, first 2 shown]
	s_waitcnt vmcnt(1)
	v_sub_f32_e32 v75, v171, v75
	s_waitcnt vmcnt(0)
	v_sub_f32_e32 v74, v172, v74
	buffer_store_dword v75, off, s[0:3], 0 offset:88
	buffer_store_dword v74, off, s[0:3], 0 offset:92
	v_cmpx_lt_u32_e32 10, v0
	s_cbranch_execz .LBB99_209
; %bb.208:
	s_clause 0x1
	buffer_load_dword v74, off, s[0:3], 0 offset:80
	buffer_load_dword v75, off, s[0:3], 0 offset:84
	v_mov_b32_e32 v76, 0
	buffer_store_dword v76, off, s[0:3], 0 offset:80
	buffer_store_dword v76, off, s[0:3], 0 offset:84
	s_waitcnt vmcnt(0)
	ds_write_b64 v73, v[74:75]
.LBB99_209:
	s_or_b32 exec_lo, exec_lo, s4
	s_waitcnt lgkmcnt(0)
	s_waitcnt_vscnt null, 0x0
	s_barrier
	buffer_gl0_inv
	s_clause 0x33
	buffer_load_dword v125, off, s[0:3], 0 offset:92
	buffer_load_dword v126, off, s[0:3], 0 offset:100
	;; [unrolled: 1-line block ×52, first 2 shown]
	v_mov_b32_e32 v74, 0
	ds_read2_b64 v[75:78], v74 offset0:47 offset1:48
	ds_read2_b64 v[79:82], v74 offset0:49 offset1:50
	;; [unrolled: 1-line block ×12, first 2 shown]
	ds_read_b64 v[123:124], v74 offset:568
	s_mov_b32 s4, exec_lo
	s_waitcnt vmcnt(51) lgkmcnt(12)
	v_mul_f32_e32 v177, v75, v125
	v_mul_f32_e32 v125, v76, v125
	s_waitcnt vmcnt(50)
	v_mul_f32_e32 v178, v77, v126
	v_mul_f32_e32 v126, v78, v126
	s_waitcnt vmcnt(49) lgkmcnt(11)
	v_mul_f32_e32 v179, v79, v127
	s_waitcnt vmcnt(48)
	v_mul_f32_e32 v180, v81, v128
	s_waitcnt vmcnt(47) lgkmcnt(10)
	v_mul_f32_e32 v181, v83, v129
	s_waitcnt vmcnt(46)
	;; [unrolled: 4-line block ×11, first 2 shown]
	v_fma_f32 v75, v75, v150, -v125
	v_fmac_f32_e32 v177, v76, v150
	v_mul_f32_e32 v76, v80, v127
	s_waitcnt vmcnt(25)
	v_fma_f32 v77, v77, v151, -v126
	v_fmac_f32_e32 v178, v78, v151
	v_add_f32_e32 v75, 0, v75
	v_add_f32_e32 v78, 0, v177
	v_mul_f32_e32 v125, v82, v128
	s_waitcnt vmcnt(24)
	v_fma_f32 v76, v79, v152, -v76
	v_fmac_f32_e32 v179, v80, v152
	v_add_f32_e32 v75, v75, v77
	v_add_f32_e32 v77, v78, v178
	v_mul_f32_e32 v78, v84, v129
	s_waitcnt vmcnt(23)
	v_fma_f32 v79, v81, v153, -v125
	v_fmac_f32_e32 v180, v82, v153
	v_add_f32_e32 v75, v75, v76
	v_add_f32_e32 v76, v77, v179
	v_mul_f32_e32 v77, v86, v130
	s_waitcnt vmcnt(22)
	v_fma_f32 v78, v83, v154, -v78
	v_fmac_f32_e32 v181, v84, v154
	v_add_f32_e32 v75, v75, v79
	v_add_f32_e32 v76, v76, v180
	v_mul_f32_e32 v79, v88, v131
	s_waitcnt vmcnt(21)
	v_fma_f32 v77, v85, v155, -v77
	v_fmac_f32_e32 v182, v86, v155
	v_add_f32_e32 v75, v75, v78
	v_add_f32_e32 v76, v76, v181
	v_mul_f32_e32 v78, v90, v132
	s_waitcnt vmcnt(20)
	v_fma_f32 v79, v87, v156, -v79
	v_fmac_f32_e32 v183, v88, v156
	v_add_f32_e32 v75, v75, v77
	v_add_f32_e32 v76, v76, v182
	v_mul_f32_e32 v77, v92, v133
	s_waitcnt vmcnt(19)
	v_fma_f32 v78, v89, v157, -v78
	v_fmac_f32_e32 v184, v90, v157
	v_add_f32_e32 v75, v75, v79
	v_add_f32_e32 v76, v76, v183
	v_mul_f32_e32 v79, v94, v134
	s_waitcnt vmcnt(18)
	v_fma_f32 v77, v91, v158, -v77
	v_fmac_f32_e32 v185, v92, v158
	v_add_f32_e32 v75, v75, v78
	v_add_f32_e32 v76, v76, v184
	v_mul_f32_e32 v78, v96, v135
	s_waitcnt vmcnt(17)
	v_fma_f32 v79, v93, v159, -v79
	v_fmac_f32_e32 v186, v94, v159
	v_add_f32_e32 v75, v75, v77
	v_add_f32_e32 v76, v76, v185
	v_mul_f32_e32 v77, v98, v136
	s_waitcnt vmcnt(16)
	v_fma_f32 v78, v95, v160, -v78
	v_fmac_f32_e32 v187, v96, v160
	v_add_f32_e32 v75, v75, v79
	v_add_f32_e32 v76, v76, v186
	v_mul_f32_e32 v79, v100, v137
	s_waitcnt vmcnt(15)
	v_fma_f32 v77, v97, v161, -v77
	v_fmac_f32_e32 v188, v98, v161
	v_add_f32_e32 v75, v75, v78
	v_add_f32_e32 v76, v76, v187
	v_mul_f32_e32 v78, v102, v138
	s_waitcnt vmcnt(14)
	v_fma_f32 v79, v99, v162, -v79
	v_fmac_f32_e32 v189, v100, v162
	v_add_f32_e32 v75, v75, v77
	v_add_f32_e32 v76, v76, v188
	v_mul_f32_e32 v77, v104, v139
	s_waitcnt vmcnt(13)
	v_fma_f32 v78, v101, v163, -v78
	v_fmac_f32_e32 v190, v102, v163
	v_add_f32_e32 v75, v75, v79
	v_add_f32_e32 v76, v76, v189
	v_mul_f32_e32 v79, v106, v140
	s_waitcnt vmcnt(12)
	v_fma_f32 v77, v103, v164, -v77
	v_fmac_f32_e32 v191, v104, v164
	v_add_f32_e32 v75, v75, v78
	v_add_f32_e32 v76, v76, v190
	v_mul_f32_e32 v78, v108, v141
	s_waitcnt vmcnt(11)
	v_fma_f32 v79, v105, v165, -v79
	v_fmac_f32_e32 v192, v106, v165
	v_add_f32_e32 v75, v75, v77
	v_add_f32_e32 v76, v76, v191
	v_mul_f32_e32 v77, v110, v142
	s_waitcnt vmcnt(10)
	v_fma_f32 v78, v107, v166, -v78
	v_fmac_f32_e32 v193, v108, v166
	v_add_f32_e32 v75, v75, v79
	v_add_f32_e32 v76, v76, v192
	v_mul_f32_e32 v79, v112, v143
	s_waitcnt vmcnt(9)
	v_fma_f32 v77, v109, v167, -v77
	v_fmac_f32_e32 v194, v110, v167
	v_add_f32_e32 v75, v75, v78
	v_add_f32_e32 v76, v76, v193
	v_mul_f32_e32 v78, v114, v144
	s_waitcnt vmcnt(8)
	v_fma_f32 v79, v111, v168, -v79
	v_fmac_f32_e32 v195, v112, v168
	v_add_f32_e32 v75, v75, v77
	v_add_f32_e32 v76, v76, v194
	v_mul_f32_e32 v77, v116, v145
	s_waitcnt vmcnt(7)
	v_fma_f32 v78, v113, v169, -v78
	v_fmac_f32_e32 v196, v114, v169
	v_add_f32_e32 v75, v75, v79
	v_add_f32_e32 v76, v76, v195
	v_mul_f32_e32 v79, v118, v146
	s_waitcnt vmcnt(6)
	v_fma_f32 v77, v115, v170, -v77
	v_fmac_f32_e32 v197, v116, v170
	v_add_f32_e32 v75, v75, v78
	v_add_f32_e32 v76, v76, v196
	v_mul_f32_e32 v78, v120, v147
	s_waitcnt vmcnt(5)
	v_fma_f32 v79, v117, v171, -v79
	v_fmac_f32_e32 v198, v118, v171
	v_add_f32_e32 v75, v75, v77
	v_add_f32_e32 v76, v76, v197
	v_mul_f32_e32 v77, v122, v148
	s_waitcnt vmcnt(4)
	v_fma_f32 v78, v119, v172, -v78
	v_mul_f32_e32 v200, v121, v148
	v_add_f32_e32 v75, v75, v79
	v_fmac_f32_e32 v199, v120, v172
	v_add_f32_e32 v76, v76, v198
	s_waitcnt lgkmcnt(0)
	v_mul_f32_e32 v79, v124, v149
	s_waitcnt vmcnt(3)
	v_fma_f32 v77, v121, v173, -v77
	v_add_f32_e32 v75, v75, v78
	v_mul_f32_e32 v201, v123, v149
	v_fmac_f32_e32 v200, v122, v173
	v_add_f32_e32 v76, v76, v199
	s_waitcnt vmcnt(2)
	v_fma_f32 v78, v123, v174, -v79
	v_add_f32_e32 v75, v75, v77
	v_fmac_f32_e32 v201, v124, v174
	v_add_f32_e32 v76, v76, v200
	v_add_f32_e32 v75, v75, v78
	v_add_f32_e32 v76, v76, v201
	s_waitcnt vmcnt(1)
	v_sub_f32_e32 v75, v175, v75
	s_waitcnt vmcnt(0)
	v_sub_f32_e32 v76, v176, v76
	buffer_store_dword v75, off, s[0:3], 0 offset:80
	buffer_store_dword v76, off, s[0:3], 0 offset:84
	v_cmpx_lt_u32_e32 9, v0
	s_cbranch_execz .LBB99_211
; %bb.210:
	s_clause 0x1
	buffer_load_dword v75, off, s[0:3], 0 offset:72
	buffer_load_dword v76, off, s[0:3], 0 offset:76
	buffer_store_dword v74, off, s[0:3], 0 offset:72
	buffer_store_dword v74, off, s[0:3], 0 offset:76
	s_waitcnt vmcnt(0)
	ds_write_b64 v73, v[75:76]
.LBB99_211:
	s_or_b32 exec_lo, exec_lo, s4
	s_waitcnt lgkmcnt(0)
	s_waitcnt_vscnt null, 0x0
	s_barrier
	buffer_gl0_inv
	s_clause 0x35
	buffer_load_dword v127, off, s[0:3], 0 offset:84
	buffer_load_dword v128, off, s[0:3], 0 offset:92
	;; [unrolled: 1-line block ×54, first 2 shown]
	ds_read_b128 v[75:78], v74 offset:368
	ds_read_b128 v[79:82], v74 offset:384
	;; [unrolled: 1-line block ×13, first 2 shown]
	s_mov_b32 s4, exec_lo
	s_waitcnt vmcnt(53) lgkmcnt(12)
	v_mul_f32_e32 v74, v75, v127
	v_mul_f32_e32 v127, v76, v127
	s_waitcnt vmcnt(52)
	v_mul_f32_e32 v181, v77, v128
	v_mul_f32_e32 v128, v78, v128
	s_waitcnt vmcnt(51) lgkmcnt(11)
	v_mul_f32_e32 v182, v79, v129
	s_waitcnt vmcnt(50)
	v_mul_f32_e32 v183, v81, v130
	s_waitcnt vmcnt(49) lgkmcnt(10)
	v_mul_f32_e32 v184, v83, v131
	s_waitcnt vmcnt(48)
	v_mul_f32_e32 v185, v85, v132
	s_waitcnt vmcnt(47) lgkmcnt(9)
	v_mul_f32_e32 v186, v87, v133
	s_waitcnt vmcnt(46)
	v_mul_f32_e32 v187, v89, v134
	s_waitcnt vmcnt(45) lgkmcnt(8)
	v_mul_f32_e32 v188, v91, v135
	s_waitcnt vmcnt(44)
	v_mul_f32_e32 v189, v93, v136
	s_waitcnt vmcnt(43) lgkmcnt(7)
	v_mul_f32_e32 v190, v95, v137
	s_waitcnt vmcnt(42)
	v_mul_f32_e32 v191, v97, v138
	s_waitcnt vmcnt(41) lgkmcnt(6)
	v_mul_f32_e32 v192, v99, v139
	s_waitcnt vmcnt(40)
	v_mul_f32_e32 v193, v101, v140
	s_waitcnt vmcnt(39) lgkmcnt(5)
	v_mul_f32_e32 v194, v103, v141
	s_waitcnt vmcnt(38)
	v_mul_f32_e32 v195, v105, v142
	s_waitcnt vmcnt(37) lgkmcnt(4)
	v_mul_f32_e32 v196, v107, v143
	s_waitcnt vmcnt(36)
	v_mul_f32_e32 v197, v109, v144
	s_waitcnt vmcnt(35) lgkmcnt(3)
	v_mul_f32_e32 v198, v111, v145
	s_waitcnt vmcnt(34)
	v_mul_f32_e32 v199, v113, v146
	s_waitcnt vmcnt(33) lgkmcnt(2)
	v_mul_f32_e32 v200, v115, v147
	s_waitcnt vmcnt(32)
	v_mul_f32_e32 v201, v117, v148
	s_waitcnt vmcnt(31) lgkmcnt(1)
	v_mul_f32_e32 v202, v119, v149
	s_waitcnt vmcnt(30)
	v_mul_f32_e32 v203, v121, v150
	s_waitcnt vmcnt(27)
	v_fma_f32 v75, v75, v153, -v127
	v_fmac_f32_e32 v74, v76, v153
	v_mul_f32_e32 v76, v80, v129
	s_waitcnt vmcnt(26)
	v_fma_f32 v77, v77, v154, -v128
	v_fmac_f32_e32 v181, v78, v154
	v_add_f32_e32 v75, 0, v75
	v_add_f32_e32 v74, 0, v74
	v_mul_f32_e32 v78, v82, v130
	s_waitcnt vmcnt(25)
	v_fma_f32 v76, v79, v155, -v76
	v_fmac_f32_e32 v182, v80, v155
	v_add_f32_e32 v75, v75, v77
	v_add_f32_e32 v74, v74, v181
	;; [unrolled: 6-line block ×22, first 2 shown]
	s_waitcnt lgkmcnt(0)
	v_mul_f32_e32 v78, v124, v151
	s_waitcnt vmcnt(4)
	v_fma_f32 v76, v121, v176, -v76
	v_mul_f32_e32 v204, v123, v151
	v_add_f32_e32 v75, v75, v77
	v_fmac_f32_e32 v203, v122, v176
	v_add_f32_e32 v74, v74, v202
	v_mul_f32_e32 v77, v126, v152
	s_waitcnt vmcnt(3)
	v_fma_f32 v78, v123, v177, -v78
	v_add_f32_e32 v75, v75, v76
	v_mul_f32_e32 v205, v125, v152
	v_fmac_f32_e32 v204, v124, v177
	v_add_f32_e32 v74, v74, v203
	s_waitcnt vmcnt(2)
	v_fma_f32 v76, v125, v178, -v77
	v_add_f32_e32 v75, v75, v78
	v_fmac_f32_e32 v205, v126, v178
	v_add_f32_e32 v74, v74, v204
	v_add_f32_e32 v75, v75, v76
	;; [unrolled: 1-line block ×3, first 2 shown]
	s_waitcnt vmcnt(1)
	v_sub_f32_e32 v75, v179, v75
	s_waitcnt vmcnt(0)
	v_sub_f32_e32 v74, v180, v74
	buffer_store_dword v75, off, s[0:3], 0 offset:72
	buffer_store_dword v74, off, s[0:3], 0 offset:76
	v_cmpx_lt_u32_e32 8, v0
	s_cbranch_execz .LBB99_213
; %bb.212:
	s_clause 0x1
	buffer_load_dword v74, off, s[0:3], 0 offset:64
	buffer_load_dword v75, off, s[0:3], 0 offset:68
	v_mov_b32_e32 v76, 0
	buffer_store_dword v76, off, s[0:3], 0 offset:64
	buffer_store_dword v76, off, s[0:3], 0 offset:68
	s_waitcnt vmcnt(0)
	ds_write_b64 v73, v[74:75]
.LBB99_213:
	s_or_b32 exec_lo, exec_lo, s4
	s_waitcnt lgkmcnt(0)
	s_waitcnt_vscnt null, 0x0
	s_barrier
	buffer_gl0_inv
	s_clause 0x37
	buffer_load_dword v129, off, s[0:3], 0 offset:76
	buffer_load_dword v130, off, s[0:3], 0 offset:84
	;; [unrolled: 1-line block ×56, first 2 shown]
	v_mov_b32_e32 v74, 0
	ds_read2_b64 v[75:78], v74 offset0:45 offset1:46
	ds_read2_b64 v[79:82], v74 offset0:47 offset1:48
	;; [unrolled: 1-line block ×13, first 2 shown]
	ds_read_b64 v[127:128], v74 offset:568
	s_mov_b32 s4, exec_lo
	s_waitcnt vmcnt(55) lgkmcnt(13)
	v_mul_f32_e32 v185, v75, v129
	v_mul_f32_e32 v129, v76, v129
	s_waitcnt vmcnt(54)
	v_mul_f32_e32 v186, v77, v130
	v_mul_f32_e32 v130, v78, v130
	s_waitcnt vmcnt(53) lgkmcnt(12)
	v_mul_f32_e32 v187, v79, v131
	s_waitcnt vmcnt(52)
	v_mul_f32_e32 v188, v81, v132
	s_waitcnt vmcnt(51) lgkmcnt(11)
	v_mul_f32_e32 v189, v83, v133
	s_waitcnt vmcnt(50)
	;; [unrolled: 4-line block ×12, first 2 shown]
	v_fma_f32 v75, v75, v156, -v129
	v_fmac_f32_e32 v185, v76, v156
	v_mul_f32_e32 v76, v80, v131
	s_waitcnt vmcnt(27)
	v_fma_f32 v77, v77, v157, -v130
	v_fmac_f32_e32 v186, v78, v157
	v_add_f32_e32 v75, 0, v75
	v_add_f32_e32 v78, 0, v185
	v_mul_f32_e32 v129, v82, v132
	s_waitcnt vmcnt(26)
	v_fma_f32 v76, v79, v158, -v76
	v_fmac_f32_e32 v187, v80, v158
	v_add_f32_e32 v75, v75, v77
	v_add_f32_e32 v77, v78, v186
	;; [unrolled: 6-line block ×23, first 2 shown]
	v_mul_f32_e32 v78, v126, v154
	s_waitcnt vmcnt(4)
	v_fma_f32 v79, v123, v180, -v79
	v_mul_f32_e32 v210, v125, v154
	v_add_f32_e32 v75, v75, v77
	v_fmac_f32_e32 v209, v124, v180
	v_add_f32_e32 v76, v76, v208
	s_waitcnt lgkmcnt(0)
	v_mul_f32_e32 v77, v128, v155
	s_waitcnt vmcnt(3)
	v_fma_f32 v78, v125, v181, -v78
	v_add_f32_e32 v75, v75, v79
	v_mul_f32_e32 v211, v127, v155
	v_fmac_f32_e32 v210, v126, v181
	v_add_f32_e32 v76, v76, v209
	s_waitcnt vmcnt(2)
	v_fma_f32 v77, v127, v182, -v77
	v_add_f32_e32 v75, v75, v78
	v_fmac_f32_e32 v211, v128, v182
	v_add_f32_e32 v76, v76, v210
	v_add_f32_e32 v75, v75, v77
	;; [unrolled: 1-line block ×3, first 2 shown]
	s_waitcnt vmcnt(1)
	v_sub_f32_e32 v75, v183, v75
	s_waitcnt vmcnt(0)
	v_sub_f32_e32 v76, v184, v76
	buffer_store_dword v75, off, s[0:3], 0 offset:64
	buffer_store_dword v76, off, s[0:3], 0 offset:68
	v_cmpx_lt_u32_e32 7, v0
	s_cbranch_execz .LBB99_215
; %bb.214:
	s_clause 0x1
	buffer_load_dword v75, off, s[0:3], 0 offset:56
	buffer_load_dword v76, off, s[0:3], 0 offset:60
	buffer_store_dword v74, off, s[0:3], 0 offset:56
	buffer_store_dword v74, off, s[0:3], 0 offset:60
	s_waitcnt vmcnt(0)
	ds_write_b64 v73, v[75:76]
.LBB99_215:
	s_or_b32 exec_lo, exec_lo, s4
	s_waitcnt lgkmcnt(0)
	s_waitcnt_vscnt null, 0x0
	s_barrier
	buffer_gl0_inv
	s_clause 0x39
	buffer_load_dword v131, off, s[0:3], 0 offset:68
	buffer_load_dword v132, off, s[0:3], 0 offset:76
	;; [unrolled: 1-line block ×58, first 2 shown]
	ds_read_b128 v[75:78], v74 offset:352
	ds_read_b128 v[79:82], v74 offset:368
	;; [unrolled: 1-line block ×14, first 2 shown]
	s_mov_b32 s4, exec_lo
	s_waitcnt vmcnt(57) lgkmcnt(13)
	v_mul_f32_e32 v74, v75, v131
	v_mul_f32_e32 v131, v76, v131
	s_waitcnt vmcnt(56)
	v_mul_f32_e32 v189, v77, v132
	v_mul_f32_e32 v132, v78, v132
	s_waitcnt vmcnt(55) lgkmcnt(12)
	v_mul_f32_e32 v190, v79, v133
	s_waitcnt vmcnt(54)
	v_mul_f32_e32 v191, v81, v134
	s_waitcnt vmcnt(53) lgkmcnt(11)
	v_mul_f32_e32 v192, v83, v135
	s_waitcnt vmcnt(52)
	;; [unrolled: 4-line block ×12, first 2 shown]
	v_mul_f32_e32 v213, v125, v156
	s_waitcnt vmcnt(29)
	v_fma_f32 v75, v75, v159, -v131
	v_fmac_f32_e32 v74, v76, v159
	v_mul_f32_e32 v76, v80, v133
	s_waitcnt vmcnt(28)
	v_fma_f32 v77, v77, v160, -v132
	v_fmac_f32_e32 v189, v78, v160
	v_add_f32_e32 v75, 0, v75
	v_add_f32_e32 v74, 0, v74
	v_mul_f32_e32 v78, v82, v134
	s_waitcnt vmcnt(27)
	v_fma_f32 v76, v79, v161, -v76
	v_fmac_f32_e32 v190, v80, v161
	v_add_f32_e32 v75, v75, v77
	v_add_f32_e32 v74, v74, v189
	;; [unrolled: 6-line block ×24, first 2 shown]
	s_waitcnt lgkmcnt(0)
	v_mul_f32_e32 v76, v128, v157
	s_waitcnt vmcnt(4)
	v_fma_f32 v77, v125, v184, -v77
	v_mul_f32_e32 v214, v127, v157
	v_add_f32_e32 v75, v75, v78
	v_fmac_f32_e32 v213, v126, v184
	v_add_f32_e32 v74, v74, v212
	v_mul_f32_e32 v78, v130, v158
	s_waitcnt vmcnt(3)
	v_fma_f32 v76, v127, v185, -v76
	v_add_f32_e32 v75, v75, v77
	v_mul_f32_e32 v215, v129, v158
	v_fmac_f32_e32 v214, v128, v185
	v_add_f32_e32 v74, v74, v213
	s_waitcnt vmcnt(2)
	v_fma_f32 v77, v129, v186, -v78
	v_add_f32_e32 v75, v75, v76
	v_fmac_f32_e32 v215, v130, v186
	v_add_f32_e32 v74, v74, v214
	v_add_f32_e32 v75, v75, v77
	;; [unrolled: 1-line block ×3, first 2 shown]
	s_waitcnt vmcnt(1)
	v_sub_f32_e32 v75, v187, v75
	s_waitcnt vmcnt(0)
	v_sub_f32_e32 v74, v188, v74
	buffer_store_dword v75, off, s[0:3], 0 offset:56
	buffer_store_dword v74, off, s[0:3], 0 offset:60
	v_cmpx_lt_u32_e32 6, v0
	s_cbranch_execz .LBB99_217
; %bb.216:
	s_clause 0x1
	buffer_load_dword v74, off, s[0:3], 0 offset:48
	buffer_load_dword v75, off, s[0:3], 0 offset:52
	v_mov_b32_e32 v76, 0
	buffer_store_dword v76, off, s[0:3], 0 offset:48
	buffer_store_dword v76, off, s[0:3], 0 offset:52
	s_waitcnt vmcnt(0)
	ds_write_b64 v73, v[74:75]
.LBB99_217:
	s_or_b32 exec_lo, exec_lo, s4
	s_waitcnt lgkmcnt(0)
	s_waitcnt_vscnt null, 0x0
	s_barrier
	buffer_gl0_inv
	s_clause 0x3b
	buffer_load_dword v133, off, s[0:3], 0 offset:60
	buffer_load_dword v134, off, s[0:3], 0 offset:68
	;; [unrolled: 1-line block ×60, first 2 shown]
	v_mov_b32_e32 v74, 0
	ds_read2_b64 v[75:78], v74 offset0:43 offset1:44
	ds_read2_b64 v[79:82], v74 offset0:45 offset1:46
	;; [unrolled: 1-line block ×14, first 2 shown]
	ds_read_b64 v[131:132], v74 offset:568
	s_mov_b32 s4, exec_lo
	s_waitcnt vmcnt(59) lgkmcnt(14)
	v_mul_f32_e32 v193, v75, v133
	v_mul_f32_e32 v133, v76, v133
	s_waitcnt vmcnt(58)
	v_mul_f32_e32 v194, v77, v134
	v_mul_f32_e32 v134, v78, v134
	s_waitcnt vmcnt(57) lgkmcnt(13)
	v_mul_f32_e32 v195, v79, v135
	s_waitcnt vmcnt(56)
	v_mul_f32_e32 v196, v81, v136
	s_waitcnt vmcnt(55) lgkmcnt(12)
	v_mul_f32_e32 v197, v83, v137
	s_waitcnt vmcnt(54)
	;; [unrolled: 4-line block ×13, first 2 shown]
	v_fma_f32 v75, v75, v162, -v133
	v_fmac_f32_e32 v193, v76, v162
	v_mul_f32_e32 v76, v80, v135
	s_waitcnt vmcnt(29)
	v_fma_f32 v77, v77, v163, -v134
	v_fmac_f32_e32 v194, v78, v163
	v_add_f32_e32 v75, 0, v75
	v_add_f32_e32 v78, 0, v193
	v_mul_f32_e32 v133, v82, v136
	s_waitcnt vmcnt(28)
	v_fma_f32 v76, v79, v164, -v76
	v_fmac_f32_e32 v195, v80, v164
	v_add_f32_e32 v75, v75, v77
	v_add_f32_e32 v77, v78, v194
	;; [unrolled: 6-line block ×25, first 2 shown]
	v_mul_f32_e32 v79, v130, v160
	s_waitcnt vmcnt(4)
	v_fma_f32 v77, v127, v188, -v77
	v_mul_f32_e32 v220, v129, v160
	v_add_f32_e32 v75, v75, v78
	v_fmac_f32_e32 v219, v128, v188
	v_add_f32_e32 v76, v76, v218
	s_waitcnt lgkmcnt(0)
	v_mul_f32_e32 v78, v132, v161
	s_waitcnt vmcnt(3)
	v_fma_f32 v79, v129, v189, -v79
	v_add_f32_e32 v75, v75, v77
	v_mul_f32_e32 v221, v131, v161
	v_fmac_f32_e32 v220, v130, v189
	v_add_f32_e32 v76, v76, v219
	s_waitcnt vmcnt(2)
	v_fma_f32 v77, v131, v190, -v78
	v_add_f32_e32 v75, v75, v79
	v_fmac_f32_e32 v221, v132, v190
	v_add_f32_e32 v76, v76, v220
	v_add_f32_e32 v75, v75, v77
	;; [unrolled: 1-line block ×3, first 2 shown]
	s_waitcnt vmcnt(1)
	v_sub_f32_e32 v75, v191, v75
	s_waitcnt vmcnt(0)
	v_sub_f32_e32 v76, v192, v76
	buffer_store_dword v75, off, s[0:3], 0 offset:48
	buffer_store_dword v76, off, s[0:3], 0 offset:52
	v_cmpx_lt_u32_e32 5, v0
	s_cbranch_execz .LBB99_219
; %bb.218:
	s_clause 0x1
	buffer_load_dword v75, off, s[0:3], 0 offset:40
	buffer_load_dword v76, off, s[0:3], 0 offset:44
	buffer_store_dword v74, off, s[0:3], 0 offset:40
	buffer_store_dword v74, off, s[0:3], 0 offset:44
	s_waitcnt vmcnt(0)
	ds_write_b64 v73, v[75:76]
.LBB99_219:
	s_or_b32 exec_lo, exec_lo, s4
	s_waitcnt lgkmcnt(0)
	s_waitcnt_vscnt null, 0x0
	s_barrier
	buffer_gl0_inv
	s_clause 0x3d
	buffer_load_dword v135, off, s[0:3], 0 offset:52
	buffer_load_dword v136, off, s[0:3], 0 offset:60
	buffer_load_dword v137, off, s[0:3], 0 offset:68
	buffer_load_dword v138, off, s[0:3], 0 offset:76
	buffer_load_dword v139, off, s[0:3], 0 offset:84
	buffer_load_dword v140, off, s[0:3], 0 offset:92
	buffer_load_dword v141, off, s[0:3], 0 offset:100
	buffer_load_dword v142, off, s[0:3], 0 offset:108
	buffer_load_dword v143, off, s[0:3], 0 offset:116
	buffer_load_dword v144, off, s[0:3], 0 offset:124
	buffer_load_dword v145, off, s[0:3], 0 offset:132
	buffer_load_dword v146, off, s[0:3], 0 offset:140
	buffer_load_dword v147, off, s[0:3], 0 offset:148
	buffer_load_dword v148, off, s[0:3], 0 offset:156
	buffer_load_dword v149, off, s[0:3], 0 offset:164
	buffer_load_dword v150, off, s[0:3], 0 offset:172
	buffer_load_dword v151, off, s[0:3], 0 offset:180
	buffer_load_dword v152, off, s[0:3], 0 offset:188
	buffer_load_dword v153, off, s[0:3], 0 offset:196
	buffer_load_dword v154, off, s[0:3], 0 offset:204
	buffer_load_dword v155, off, s[0:3], 0 offset:212
	buffer_load_dword v156, off, s[0:3], 0 offset:220
	buffer_load_dword v157, off, s[0:3], 0 offset:228
	buffer_load_dword v158, off, s[0:3], 0 offset:236
	buffer_load_dword v159, off, s[0:3], 0 offset:244
	buffer_load_dword v160, off, s[0:3], 0 offset:252
	buffer_load_dword v161, off, s[0:3], 0 offset:260
	buffer_load_dword v162, off, s[0:3], 0 offset:268
	buffer_load_dword v163, off, s[0:3], 0 offset:276
	buffer_load_dword v164, off, s[0:3], 0 offset:284
	buffer_load_dword v165, off, s[0:3], 0 offset:48
	buffer_load_dword v166, off, s[0:3], 0 offset:56
	buffer_load_dword v167, off, s[0:3], 0 offset:64
	buffer_load_dword v168, off, s[0:3], 0 offset:72
	buffer_load_dword v169, off, s[0:3], 0 offset:80
	buffer_load_dword v170, off, s[0:3], 0 offset:88
	buffer_load_dword v171, off, s[0:3], 0 offset:96
	buffer_load_dword v172, off, s[0:3], 0 offset:104
	buffer_load_dword v173, off, s[0:3], 0 offset:112
	buffer_load_dword v174, off, s[0:3], 0 offset:120
	buffer_load_dword v175, off, s[0:3], 0 offset:128
	buffer_load_dword v176, off, s[0:3], 0 offset:136
	buffer_load_dword v177, off, s[0:3], 0 offset:144
	buffer_load_dword v178, off, s[0:3], 0 offset:152
	buffer_load_dword v179, off, s[0:3], 0 offset:160
	buffer_load_dword v180, off, s[0:3], 0 offset:168
	buffer_load_dword v181, off, s[0:3], 0 offset:176
	buffer_load_dword v182, off, s[0:3], 0 offset:184
	buffer_load_dword v183, off, s[0:3], 0 offset:192
	buffer_load_dword v184, off, s[0:3], 0 offset:200
	buffer_load_dword v185, off, s[0:3], 0 offset:208
	buffer_load_dword v186, off, s[0:3], 0 offset:216
	buffer_load_dword v187, off, s[0:3], 0 offset:224
	buffer_load_dword v188, off, s[0:3], 0 offset:232
	buffer_load_dword v189, off, s[0:3], 0 offset:240
	buffer_load_dword v190, off, s[0:3], 0 offset:248
	buffer_load_dword v191, off, s[0:3], 0 offset:256
	buffer_load_dword v192, off, s[0:3], 0 offset:264
	buffer_load_dword v193, off, s[0:3], 0 offset:272
	buffer_load_dword v194, off, s[0:3], 0 offset:280
	buffer_load_dword v195, off, s[0:3], 0 offset:40
	buffer_load_dword v196, off, s[0:3], 0 offset:44
	ds_read_b128 v[75:78], v74 offset:336
	ds_read_b128 v[79:82], v74 offset:352
	;; [unrolled: 1-line block ×15, first 2 shown]
	s_mov_b32 s4, exec_lo
	s_waitcnt vmcnt(61) lgkmcnt(14)
	v_mul_f32_e32 v74, v75, v135
	v_mul_f32_e32 v135, v76, v135
	s_waitcnt vmcnt(60)
	v_mul_f32_e32 v197, v77, v136
	v_mul_f32_e32 v136, v78, v136
	s_waitcnt vmcnt(59) lgkmcnt(13)
	v_mul_f32_e32 v198, v79, v137
	s_waitcnt vmcnt(58)
	v_mul_f32_e32 v199, v81, v138
	s_waitcnt vmcnt(57) lgkmcnt(12)
	v_mul_f32_e32 v200, v83, v139
	s_waitcnt vmcnt(56)
	;; [unrolled: 4-line block ×13, first 2 shown]
	v_mul_f32_e32 v223, v129, v162
	s_waitcnt vmcnt(31)
	v_fma_f32 v75, v75, v165, -v135
	v_fmac_f32_e32 v74, v76, v165
	v_mul_f32_e32 v76, v80, v137
	s_waitcnt vmcnt(30)
	v_fma_f32 v77, v77, v166, -v136
	v_fmac_f32_e32 v197, v78, v166
	v_add_f32_e32 v75, 0, v75
	v_add_f32_e32 v74, 0, v74
	v_mul_f32_e32 v78, v82, v138
	s_waitcnt vmcnt(29)
	v_fma_f32 v76, v79, v167, -v76
	v_fmac_f32_e32 v198, v80, v167
	v_add_f32_e32 v75, v75, v77
	v_add_f32_e32 v74, v74, v197
	;; [unrolled: 6-line block ×26, first 2 shown]
	s_waitcnt lgkmcnt(0)
	v_mul_f32_e32 v77, v132, v163
	s_waitcnt vmcnt(4)
	v_fma_f32 v78, v129, v192, -v78
	v_mul_f32_e32 v224, v131, v163
	v_add_f32_e32 v75, v75, v76
	v_fmac_f32_e32 v223, v130, v192
	v_add_f32_e32 v74, v74, v222
	v_mul_f32_e32 v76, v134, v164
	s_waitcnt vmcnt(3)
	v_fma_f32 v77, v131, v193, -v77
	v_add_f32_e32 v75, v75, v78
	v_mul_f32_e32 v225, v133, v164
	v_fmac_f32_e32 v224, v132, v193
	v_add_f32_e32 v74, v74, v223
	s_waitcnt vmcnt(2)
	v_fma_f32 v76, v133, v194, -v76
	v_add_f32_e32 v75, v75, v77
	v_fmac_f32_e32 v225, v134, v194
	v_add_f32_e32 v74, v74, v224
	v_add_f32_e32 v75, v75, v76
	;; [unrolled: 1-line block ×3, first 2 shown]
	s_waitcnt vmcnt(1)
	v_sub_f32_e32 v75, v195, v75
	s_waitcnt vmcnt(0)
	v_sub_f32_e32 v74, v196, v74
	buffer_store_dword v75, off, s[0:3], 0 offset:40
	buffer_store_dword v74, off, s[0:3], 0 offset:44
	v_cmpx_lt_u32_e32 4, v0
	s_cbranch_execz .LBB99_221
; %bb.220:
	s_clause 0x1
	buffer_load_dword v74, off, s[0:3], 0 offset:32
	buffer_load_dword v75, off, s[0:3], 0 offset:36
	v_mov_b32_e32 v76, 0
	buffer_store_dword v76, off, s[0:3], 0 offset:32
	buffer_store_dword v76, off, s[0:3], 0 offset:36
	s_waitcnt vmcnt(0)
	ds_write_b64 v73, v[74:75]
.LBB99_221:
	s_or_b32 exec_lo, exec_lo, s4
	s_waitcnt lgkmcnt(0)
	s_waitcnt_vscnt null, 0x0
	s_barrier
	buffer_gl0_inv
	s_clause 0x3e
	buffer_load_dword v137, off, s[0:3], 0 offset:44
	buffer_load_dword v138, off, s[0:3], 0 offset:52
	;; [unrolled: 1-line block ×64, first 2 shown]
	v_mov_b32_e32 v74, 0
	ds_read2_b64 v[75:78], v74 offset0:41 offset1:42
	ds_read2_b64 v[79:82], v74 offset0:43 offset1:44
	;; [unrolled: 1-line block ×15, first 2 shown]
	ds_read_b64 v[135:136], v74 offset:568
	s_mov_b32 s4, exec_lo
	s_waitcnt vmcnt(62) lgkmcnt(15)
	v_mul_f32_e32 v201, v75, v137
	v_mul_f32_e32 v137, v76, v137
	v_mul_f32_e32 v202, v77, v138
	v_mul_f32_e32 v138, v78, v138
	s_waitcnt vmcnt(61) lgkmcnt(14)
	v_mul_f32_e32 v203, v79, v139
	s_waitcnt vmcnt(60)
	v_mul_f32_e32 v204, v81, v140
	s_waitcnt vmcnt(59) lgkmcnt(13)
	v_mul_f32_e32 v205, v83, v141
	s_waitcnt vmcnt(58)
	v_mul_f32_e32 v206, v85, v142
	;; [unrolled: 4-line block ×13, first 2 shown]
	s_waitcnt vmcnt(35) lgkmcnt(1)
	v_mul_f32_e32 v229, v131, v165
	s_waitcnt vmcnt(32)
	v_fma_f32 v75, v75, v168, -v137
	v_fmac_f32_e32 v201, v76, v168
	v_mul_f32_e32 v76, v80, v139
	s_waitcnt vmcnt(31)
	v_fma_f32 v77, v77, v169, -v138
	v_fmac_f32_e32 v202, v78, v169
	v_add_f32_e32 v75, 0, v75
	v_add_f32_e32 v78, 0, v201
	v_mul_f32_e32 v137, v82, v140
	s_waitcnt vmcnt(30)
	v_fma_f32 v76, v79, v170, -v76
	v_fmac_f32_e32 v203, v80, v170
	v_add_f32_e32 v75, v75, v77
	v_add_f32_e32 v77, v78, v202
	;; [unrolled: 6-line block ×27, first 2 shown]
	v_mul_f32_e32 v77, v134, v166
	s_waitcnt vmcnt(4)
	v_fma_f32 v78, v131, v196, -v78
	v_mul_f32_e32 v230, v133, v166
	v_add_f32_e32 v75, v75, v79
	v_fmac_f32_e32 v229, v132, v196
	v_add_f32_e32 v76, v76, v228
	s_waitcnt lgkmcnt(0)
	v_mul_f32_e32 v79, v136, v167
	s_waitcnt vmcnt(3)
	v_fma_f32 v77, v133, v197, -v77
	v_add_f32_e32 v75, v75, v78
	v_mul_f32_e32 v231, v135, v167
	v_fmac_f32_e32 v230, v134, v197
	v_add_f32_e32 v76, v76, v229
	s_waitcnt vmcnt(2)
	v_fma_f32 v78, v135, v198, -v79
	v_add_f32_e32 v75, v75, v77
	v_fmac_f32_e32 v231, v136, v198
	v_add_f32_e32 v76, v76, v230
	v_add_f32_e32 v75, v75, v78
	;; [unrolled: 1-line block ×3, first 2 shown]
	s_waitcnt vmcnt(1)
	v_sub_f32_e32 v75, v199, v75
	s_waitcnt vmcnt(0)
	v_sub_f32_e32 v76, v200, v76
	buffer_store_dword v75, off, s[0:3], 0 offset:32
	buffer_store_dword v76, off, s[0:3], 0 offset:36
	v_cmpx_lt_u32_e32 3, v0
	s_cbranch_execz .LBB99_223
; %bb.222:
	s_clause 0x1
	buffer_load_dword v75, off, s[0:3], 0 offset:24
	buffer_load_dword v76, off, s[0:3], 0 offset:28
	buffer_store_dword v74, off, s[0:3], 0 offset:24
	buffer_store_dword v74, off, s[0:3], 0 offset:28
	s_waitcnt vmcnt(0)
	ds_write_b64 v73, v[75:76]
.LBB99_223:
	s_or_b32 exec_lo, exec_lo, s4
	s_waitcnt lgkmcnt(0)
	s_waitcnt_vscnt null, 0x0
	s_barrier
	buffer_gl0_inv
	s_clause 0x3e
	buffer_load_dword v139, off, s[0:3], 0 offset:36
	buffer_load_dword v140, off, s[0:3], 0 offset:44
	;; [unrolled: 1-line block ×63, first 2 shown]
	s_clause 0x2
	buffer_load_dword v202, off, s[0:3], 0 offset:280
	buffer_load_dword v203, off, s[0:3], 0 offset:24
	;; [unrolled: 1-line block ×3, first 2 shown]
	ds_read_b128 v[75:78], v74 offset:320
	ds_read_b128 v[79:82], v74 offset:336
	;; [unrolled: 1-line block ×16, first 2 shown]
	s_mov_b32 s4, exec_lo
	s_waitcnt vmcnt(62) lgkmcnt(15)
	v_mul_f32_e32 v74, v75, v139
	v_mul_f32_e32 v139, v76, v139
	;; [unrolled: 1-line block ×4, first 2 shown]
	s_waitcnt lgkmcnt(14)
	v_mul_f32_e32 v206, v79, v141
	v_mul_f32_e32 v207, v81, v142
	s_waitcnt vmcnt(61) lgkmcnt(13)
	v_mul_f32_e32 v208, v83, v143
	s_waitcnt vmcnt(60)
	v_mul_f32_e32 v209, v85, v144
	s_waitcnt vmcnt(59) lgkmcnt(12)
	v_mul_f32_e32 v210, v87, v145
	s_waitcnt vmcnt(58)
	;; [unrolled: 4-line block ×13, first 2 shown]
	v_mul_f32_e32 v233, v133, v168
	s_waitcnt vmcnt(33)
	v_fma_f32 v75, v75, v171, -v139
	v_fmac_f32_e32 v74, v76, v171
	v_mul_f32_e32 v76, v80, v141
	s_waitcnt vmcnt(32)
	v_fma_f32 v77, v77, v172, -v140
	v_fmac_f32_e32 v205, v78, v172
	v_add_f32_e32 v75, 0, v75
	v_add_f32_e32 v74, 0, v74
	v_mul_f32_e32 v78, v82, v142
	s_waitcnt vmcnt(31)
	v_fma_f32 v76, v79, v173, -v76
	v_fmac_f32_e32 v206, v80, v173
	v_add_f32_e32 v75, v75, v77
	v_add_f32_e32 v74, v74, v205
	;; [unrolled: 6-line block ×28, first 2 shown]
	s_waitcnt lgkmcnt(0)
	v_mul_f32_e32 v78, v136, v169
	s_waitcnt vmcnt(4)
	v_fma_f32 v76, v133, v200, -v76
	v_mul_f32_e32 v234, v135, v169
	v_add_f32_e32 v75, v75, v77
	v_fmac_f32_e32 v233, v134, v200
	v_add_f32_e32 v74, v74, v232
	v_mul_f32_e32 v77, v138, v170
	s_waitcnt vmcnt(3)
	v_fma_f32 v78, v135, v201, -v78
	v_add_f32_e32 v75, v75, v76
	v_mul_f32_e32 v235, v137, v170
	v_fmac_f32_e32 v234, v136, v201
	v_add_f32_e32 v74, v74, v233
	s_waitcnt vmcnt(2)
	v_fma_f32 v76, v137, v202, -v77
	v_add_f32_e32 v75, v75, v78
	v_fmac_f32_e32 v235, v138, v202
	v_add_f32_e32 v74, v74, v234
	v_add_f32_e32 v75, v75, v76
	;; [unrolled: 1-line block ×3, first 2 shown]
	s_waitcnt vmcnt(1)
	v_sub_f32_e32 v75, v203, v75
	s_waitcnt vmcnt(0)
	v_sub_f32_e32 v74, v204, v74
	buffer_store_dword v75, off, s[0:3], 0 offset:24
	buffer_store_dword v74, off, s[0:3], 0 offset:28
	v_cmpx_lt_u32_e32 2, v0
	s_cbranch_execz .LBB99_225
; %bb.224:
	s_clause 0x1
	buffer_load_dword v74, off, s[0:3], 0 offset:16
	buffer_load_dword v75, off, s[0:3], 0 offset:20
	v_mov_b32_e32 v76, 0
	buffer_store_dword v76, off, s[0:3], 0 offset:16
	buffer_store_dword v76, off, s[0:3], 0 offset:20
	s_waitcnt vmcnt(0)
	ds_write_b64 v73, v[74:75]
.LBB99_225:
	s_or_b32 exec_lo, exec_lo, s4
	s_waitcnt lgkmcnt(0)
	s_waitcnt_vscnt null, 0x0
	s_barrier
	buffer_gl0_inv
	s_clause 0x3e
	buffer_load_dword v141, off, s[0:3], 0 offset:28
	buffer_load_dword v142, off, s[0:3], 0 offset:36
	;; [unrolled: 1-line block ×63, first 2 shown]
	s_clause 0x4
	buffer_load_dword v204, off, s[0:3], 0 offset:264
	buffer_load_dword v205, off, s[0:3], 0 offset:272
	;; [unrolled: 1-line block ×5, first 2 shown]
	v_mov_b32_e32 v74, 0
	ds_read2_b64 v[75:78], v74 offset0:39 offset1:40
	ds_read2_b64 v[79:82], v74 offset0:41 offset1:42
	;; [unrolled: 1-line block ×16, first 2 shown]
	ds_read_b64 v[139:140], v74 offset:568
	s_mov_b32 s4, exec_lo
	s_waitcnt vmcnt(62) lgkmcnt(16)
	v_mul_f32_e32 v209, v75, v141
	v_mul_f32_e32 v141, v76, v141
	;; [unrolled: 1-line block ×4, first 2 shown]
	s_waitcnt lgkmcnt(15)
	v_mul_f32_e32 v211, v79, v143
	v_mul_f32_e32 v212, v81, v144
	s_waitcnt lgkmcnt(14)
	v_mul_f32_e32 v213, v83, v145
	v_mul_f32_e32 v214, v85, v146
	s_waitcnt vmcnt(61) lgkmcnt(13)
	v_mul_f32_e32 v215, v87, v147
	s_waitcnt vmcnt(60)
	v_mul_f32_e32 v216, v89, v148
	s_waitcnt vmcnt(59) lgkmcnt(12)
	v_mul_f32_e32 v217, v91, v149
	s_waitcnt vmcnt(58)
	;; [unrolled: 4-line block ×13, first 2 shown]
	v_fma_f32 v75, v75, v174, -v141
	v_fmac_f32_e32 v209, v76, v174
	v_mul_f32_e32 v76, v80, v143
	s_waitcnt vmcnt(33)
	v_fma_f32 v77, v77, v175, -v142
	v_fmac_f32_e32 v210, v78, v175
	v_add_f32_e32 v75, 0, v75
	v_add_f32_e32 v78, 0, v209
	v_mul_f32_e32 v141, v82, v144
	s_waitcnt vmcnt(32)
	v_fma_f32 v76, v79, v176, -v76
	v_fmac_f32_e32 v211, v80, v176
	v_add_f32_e32 v75, v75, v77
	v_add_f32_e32 v77, v78, v210
	;; [unrolled: 6-line block ×29, first 2 shown]
	v_mul_f32_e32 v78, v138, v172
	s_waitcnt vmcnt(4)
	v_fma_f32 v79, v135, v204, -v79
	v_mul_f32_e32 v240, v137, v172
	v_add_f32_e32 v75, v75, v77
	v_fmac_f32_e32 v239, v136, v204
	v_add_f32_e32 v76, v76, v238
	s_waitcnt lgkmcnt(0)
	v_mul_f32_e32 v77, v140, v173
	s_waitcnt vmcnt(3)
	v_fma_f32 v78, v137, v205, -v78
	v_add_f32_e32 v75, v75, v79
	v_mul_f32_e32 v241, v139, v173
	v_fmac_f32_e32 v240, v138, v205
	v_add_f32_e32 v76, v76, v239
	s_waitcnt vmcnt(2)
	v_fma_f32 v77, v139, v206, -v77
	v_add_f32_e32 v75, v75, v78
	v_fmac_f32_e32 v241, v140, v206
	v_add_f32_e32 v76, v76, v240
	v_add_f32_e32 v75, v75, v77
	;; [unrolled: 1-line block ×3, first 2 shown]
	s_waitcnt vmcnt(1)
	v_sub_f32_e32 v75, v207, v75
	s_waitcnt vmcnt(0)
	v_sub_f32_e32 v76, v208, v76
	buffer_store_dword v75, off, s[0:3], 0 offset:16
	buffer_store_dword v76, off, s[0:3], 0 offset:20
	v_cmpx_lt_u32_e32 1, v0
	s_cbranch_execz .LBB99_227
; %bb.226:
	s_clause 0x1
	buffer_load_dword v75, off, s[0:3], 0 offset:8
	buffer_load_dword v76, off, s[0:3], 0 offset:12
	buffer_store_dword v74, off, s[0:3], 0 offset:8
	buffer_store_dword v74, off, s[0:3], 0 offset:12
	s_waitcnt vmcnt(0)
	ds_write_b64 v73, v[75:76]
.LBB99_227:
	s_or_b32 exec_lo, exec_lo, s4
	s_waitcnt lgkmcnt(0)
	s_waitcnt_vscnt null, 0x0
	s_barrier
	buffer_gl0_inv
	s_clause 0x3e
	buffer_load_dword v143, off, s[0:3], 0 offset:20
	buffer_load_dword v144, off, s[0:3], 0 offset:28
	;; [unrolled: 1-line block ×63, first 2 shown]
	s_clause 0x6
	buffer_load_dword v206, off, s[0:3], 0 offset:248
	buffer_load_dword v207, off, s[0:3], 0 offset:256
	;; [unrolled: 1-line block ×7, first 2 shown]
	ds_read_b128 v[75:78], v74 offset:304
	ds_read_b128 v[79:82], v74 offset:320
	;; [unrolled: 1-line block ×17, first 2 shown]
	s_mov_b32 s4, exec_lo
	s_waitcnt vmcnt(62) lgkmcnt(16)
	v_mul_f32_e32 v74, v75, v143
	v_mul_f32_e32 v143, v76, v143
	;; [unrolled: 1-line block ×4, first 2 shown]
	s_waitcnt lgkmcnt(15)
	v_mul_f32_e32 v214, v79, v145
	v_mul_f32_e32 v215, v81, v146
	s_waitcnt lgkmcnt(14)
	v_mul_f32_e32 v216, v83, v147
	v_mul_f32_e32 v217, v85, v148
	;; [unrolled: 3-line block ×3, first 2 shown]
	s_waitcnt vmcnt(61) lgkmcnt(12)
	v_mul_f32_e32 v220, v91, v151
	s_waitcnt vmcnt(60)
	v_mul_f32_e32 v221, v93, v152
	s_waitcnt vmcnt(59) lgkmcnt(11)
	v_mul_f32_e32 v222, v95, v153
	s_waitcnt vmcnt(58)
	v_mul_f32_e32 v223, v97, v154
	;; [unrolled: 4-line block ×12, first 2 shown]
	s_waitcnt vmcnt(35)
	v_fma_f32 v75, v75, v177, -v143
	v_fmac_f32_e32 v74, v76, v177
	v_mul_f32_e32 v76, v80, v145
	s_waitcnt vmcnt(34)
	v_fma_f32 v77, v77, v178, -v144
	v_fmac_f32_e32 v213, v78, v178
	v_add_f32_e32 v75, 0, v75
	v_add_f32_e32 v74, 0, v74
	v_mul_f32_e32 v78, v82, v146
	s_waitcnt vmcnt(33)
	v_fma_f32 v76, v79, v179, -v76
	v_fmac_f32_e32 v214, v80, v179
	v_add_f32_e32 v75, v75, v77
	v_add_f32_e32 v74, v74, v213
	;; [unrolled: 6-line block ×30, first 2 shown]
	s_waitcnt lgkmcnt(0)
	v_mul_f32_e32 v76, v140, v175
	s_waitcnt vmcnt(4)
	v_fma_f32 v77, v137, v208, -v77
	v_mul_f32_e32 v244, v139, v175
	v_add_f32_e32 v75, v75, v78
	v_fmac_f32_e32 v243, v138, v208
	v_add_f32_e32 v74, v74, v242
	v_mul_f32_e32 v78, v142, v176
	s_waitcnt vmcnt(3)
	v_fma_f32 v76, v139, v209, -v76
	v_add_f32_e32 v75, v75, v77
	v_mul_f32_e32 v245, v141, v176
	v_fmac_f32_e32 v244, v140, v209
	v_add_f32_e32 v74, v74, v243
	s_waitcnt vmcnt(2)
	v_fma_f32 v77, v141, v210, -v78
	v_add_f32_e32 v75, v75, v76
	v_fmac_f32_e32 v245, v142, v210
	v_add_f32_e32 v74, v74, v244
	v_add_f32_e32 v75, v75, v77
	;; [unrolled: 1-line block ×3, first 2 shown]
	s_waitcnt vmcnt(1)
	v_sub_f32_e32 v75, v211, v75
	s_waitcnt vmcnt(0)
	v_sub_f32_e32 v74, v212, v74
	buffer_store_dword v75, off, s[0:3], 0 offset:8
	buffer_store_dword v74, off, s[0:3], 0 offset:12
	v_cmpx_ne_u32_e32 0, v0
	s_cbranch_execz .LBB99_229
; %bb.228:
	s_clause 0x1
	buffer_load_dword v74, off, s[0:3], 0
	buffer_load_dword v75, off, s[0:3], 0 offset:4
	v_mov_b32_e32 v0, 0
	buffer_store_dword v0, off, s[0:3], 0
	buffer_store_dword v0, off, s[0:3], 0 offset:4
	s_waitcnt vmcnt(0)
	ds_write_b64 v73, v[74:75]
.LBB99_229:
	s_or_b32 exec_lo, exec_lo, s4
	s_waitcnt lgkmcnt(0)
	s_waitcnt_vscnt null, 0x0
	s_barrier
	buffer_gl0_inv
	s_clause 0x3e
	buffer_load_dword v143, off, s[0:3], 0 offset:12
	buffer_load_dword v144, off, s[0:3], 0 offset:20
	buffer_load_dword v145, off, s[0:3], 0 offset:28
	buffer_load_dword v146, off, s[0:3], 0 offset:36
	buffer_load_dword v147, off, s[0:3], 0 offset:44
	buffer_load_dword v148, off, s[0:3], 0 offset:52
	buffer_load_dword v149, off, s[0:3], 0 offset:60
	buffer_load_dword v150, off, s[0:3], 0 offset:68
	buffer_load_dword v151, off, s[0:3], 0 offset:76
	buffer_load_dword v152, off, s[0:3], 0 offset:84
	buffer_load_dword v153, off, s[0:3], 0 offset:92
	buffer_load_dword v154, off, s[0:3], 0 offset:100
	buffer_load_dword v155, off, s[0:3], 0 offset:108
	buffer_load_dword v156, off, s[0:3], 0 offset:116
	buffer_load_dword v157, off, s[0:3], 0 offset:124
	buffer_load_dword v158, off, s[0:3], 0 offset:132
	buffer_load_dword v159, off, s[0:3], 0 offset:140
	buffer_load_dword v160, off, s[0:3], 0 offset:148
	buffer_load_dword v161, off, s[0:3], 0 offset:156
	buffer_load_dword v162, off, s[0:3], 0 offset:164
	buffer_load_dword v163, off, s[0:3], 0 offset:172
	buffer_load_dword v164, off, s[0:3], 0 offset:180
	buffer_load_dword v165, off, s[0:3], 0 offset:188
	buffer_load_dword v166, off, s[0:3], 0 offset:196
	buffer_load_dword v167, off, s[0:3], 0 offset:204
	buffer_load_dword v168, off, s[0:3], 0 offset:212
	buffer_load_dword v169, off, s[0:3], 0 offset:220
	buffer_load_dword v170, off, s[0:3], 0 offset:228
	buffer_load_dword v171, off, s[0:3], 0 offset:236
	buffer_load_dword v172, off, s[0:3], 0 offset:244
	buffer_load_dword v173, off, s[0:3], 0 offset:252
	buffer_load_dword v174, off, s[0:3], 0 offset:260
	buffer_load_dword v175, off, s[0:3], 0 offset:268
	buffer_load_dword v176, off, s[0:3], 0 offset:276
	buffer_load_dword v177, off, s[0:3], 0 offset:284
	buffer_load_dword v178, off, s[0:3], 0 offset:8
	buffer_load_dword v179, off, s[0:3], 0 offset:16
	buffer_load_dword v180, off, s[0:3], 0 offset:24
	buffer_load_dword v181, off, s[0:3], 0 offset:32
	buffer_load_dword v182, off, s[0:3], 0 offset:40
	buffer_load_dword v183, off, s[0:3], 0 offset:48
	buffer_load_dword v184, off, s[0:3], 0 offset:56
	buffer_load_dword v185, off, s[0:3], 0 offset:64
	buffer_load_dword v186, off, s[0:3], 0 offset:72
	buffer_load_dword v187, off, s[0:3], 0 offset:80
	buffer_load_dword v188, off, s[0:3], 0 offset:88
	buffer_load_dword v189, off, s[0:3], 0 offset:96
	buffer_load_dword v190, off, s[0:3], 0 offset:104
	buffer_load_dword v191, off, s[0:3], 0 offset:112
	buffer_load_dword v192, off, s[0:3], 0 offset:120
	buffer_load_dword v193, off, s[0:3], 0 offset:128
	buffer_load_dword v194, off, s[0:3], 0 offset:136
	buffer_load_dword v195, off, s[0:3], 0 offset:144
	buffer_load_dword v196, off, s[0:3], 0 offset:152
	buffer_load_dword v197, off, s[0:3], 0 offset:160
	buffer_load_dword v198, off, s[0:3], 0 offset:168
	buffer_load_dword v199, off, s[0:3], 0 offset:176
	buffer_load_dword v200, off, s[0:3], 0 offset:184
	buffer_load_dword v201, off, s[0:3], 0 offset:192
	buffer_load_dword v202, off, s[0:3], 0 offset:200
	buffer_load_dword v203, off, s[0:3], 0 offset:208
	buffer_load_dword v204, off, s[0:3], 0 offset:216
	buffer_load_dword v205, off, s[0:3], 0 offset:224
	s_clause 0x8
	buffer_load_dword v206, off, s[0:3], 0 offset:232
	buffer_load_dword v207, off, s[0:3], 0 offset:240
	;; [unrolled: 1-line block ×7, first 2 shown]
	buffer_load_dword v213, off, s[0:3], 0
	buffer_load_dword v214, off, s[0:3], 0 offset:4
	v_mov_b32_e32 v0, 0
	ds_read2_b64 v[73:76], v0 offset0:37 offset1:38
	ds_read2_b64 v[77:80], v0 offset0:39 offset1:40
	;; [unrolled: 1-line block ×17, first 2 shown]
	ds_read_b64 v[141:142], v0 offset:568
	s_and_b32 vcc_lo, exec_lo, s16
	s_waitcnt vmcnt(62) lgkmcnt(17)
	v_mul_f32_e32 v215, v73, v143
	v_mul_f32_e32 v143, v74, v143
	;; [unrolled: 1-line block ×4, first 2 shown]
	s_waitcnt lgkmcnt(16)
	v_mul_f32_e32 v217, v77, v145
	v_mul_f32_e32 v218, v79, v146
	s_waitcnt lgkmcnt(15)
	v_mul_f32_e32 v219, v81, v147
	v_mul_f32_e32 v220, v83, v148
	;; [unrolled: 3-line block ×4, first 2 shown]
	s_waitcnt vmcnt(61) lgkmcnt(12)
	v_mul_f32_e32 v225, v93, v153
	s_waitcnt vmcnt(60)
	v_mul_f32_e32 v226, v95, v154
	s_waitcnt vmcnt(59) lgkmcnt(11)
	v_mul_f32_e32 v227, v97, v155
	s_waitcnt vmcnt(58)
	v_mul_f32_e32 v228, v99, v156
	;; [unrolled: 4-line block ×11, first 2 shown]
	s_waitcnt vmcnt(39) lgkmcnt(1)
	v_mul_f32_e32 v247, v137, v175
	s_waitcnt vmcnt(36)
	v_fma_f32 v73, v73, v178, -v143
	v_fmac_f32_e32 v215, v74, v178
	v_mul_f32_e32 v74, v78, v145
	s_waitcnt vmcnt(35)
	v_fma_f32 v75, v75, v179, -v144
	v_fmac_f32_e32 v216, v76, v179
	v_add_f32_e32 v73, 0, v73
	v_add_f32_e32 v76, 0, v215
	v_mul_f32_e32 v143, v80, v146
	s_waitcnt vmcnt(34)
	v_fma_f32 v74, v77, v180, -v74
	v_fmac_f32_e32 v217, v78, v180
	v_add_f32_e32 v73, v73, v75
	v_add_f32_e32 v75, v76, v216
	;; [unrolled: 6-line block ×31, first 2 shown]
	v_mul_f32_e32 v77, v140, v176
	s_waitcnt vmcnt(4)
	v_fma_f32 v75, v137, v210, -v75
	v_mul_f32_e32 v248, v139, v176
	v_add_f32_e32 v73, v73, v76
	v_fmac_f32_e32 v247, v138, v210
	v_add_f32_e32 v74, v74, v246
	s_waitcnt lgkmcnt(0)
	v_mul_f32_e32 v76, v142, v177
	s_waitcnt vmcnt(3)
	v_fma_f32 v77, v139, v211, -v77
	v_add_f32_e32 v73, v73, v75
	v_mul_f32_e32 v249, v141, v177
	v_fmac_f32_e32 v248, v140, v211
	v_add_f32_e32 v74, v74, v247
	s_waitcnt vmcnt(2)
	v_fma_f32 v75, v141, v212, -v76
	v_add_f32_e32 v73, v73, v77
	v_fmac_f32_e32 v249, v142, v212
	v_add_f32_e32 v74, v74, v248
	v_add_f32_e32 v73, v73, v75
	;; [unrolled: 1-line block ×3, first 2 shown]
	s_waitcnt vmcnt(1)
	v_sub_f32_e32 v73, v213, v73
	s_waitcnt vmcnt(0)
	v_sub_f32_e32 v74, v214, v74
	buffer_store_dword v73, off, s[0:3], 0
	buffer_store_dword v74, off, s[0:3], 0 offset:4
	s_cbranch_vccz .LBB99_300
; %bb.230:
	global_load_dword v0, v0, s[12:13] offset:136
	s_waitcnt vmcnt(0)
	v_add_nc_u32_e32 v0, -1, v0
	v_cmp_ne_u32_e32 vcc_lo, 34, v0
	s_cbranch_vccz .LBB99_232
; %bb.231:
	v_lshlrev_b32_e32 v0, 3, v0
	s_clause 0x3
	buffer_load_dword v73, v0, s[0:3], 0 offen
	buffer_load_dword v74, v0, s[0:3], 0 offen offset:4
	buffer_load_dword v75, off, s[0:3], 0 offset:276
	buffer_load_dword v76, off, s[0:3], 0 offset:272
	s_waitcnt vmcnt(3)
	buffer_store_dword v73, off, s[0:3], 0 offset:272
	s_waitcnt vmcnt(2)
	buffer_store_dword v74, off, s[0:3], 0 offset:276
	s_waitcnt vmcnt(1)
	buffer_store_dword v75, v0, s[0:3], 0 offen offset:4
	s_waitcnt vmcnt(0)
	buffer_store_dword v76, v0, s[0:3], 0 offen
.LBB99_232:
	v_mov_b32_e32 v0, 0
	global_load_dword v73, v0, s[12:13] offset:132
	s_waitcnt vmcnt(0)
	v_add_nc_u32_e32 v73, -1, v73
	v_cmp_eq_u32_e32 vcc_lo, 33, v73
	s_cbranch_vccnz .LBB99_234
; %bb.233:
	v_lshlrev_b32_e32 v73, 3, v73
	s_clause 0x3
	buffer_load_dword v74, v73, s[0:3], 0 offen
	buffer_load_dword v75, v73, s[0:3], 0 offen offset:4
	buffer_load_dword v76, off, s[0:3], 0 offset:264
	buffer_load_dword v77, off, s[0:3], 0 offset:268
	s_waitcnt vmcnt(3)
	buffer_store_dword v74, off, s[0:3], 0 offset:264
	s_waitcnt vmcnt(2)
	buffer_store_dword v75, off, s[0:3], 0 offset:268
	s_waitcnt vmcnt(1)
	buffer_store_dword v76, v73, s[0:3], 0 offen
	s_waitcnt vmcnt(0)
	buffer_store_dword v77, v73, s[0:3], 0 offen offset:4
.LBB99_234:
	global_load_dword v0, v0, s[12:13] offset:128
	s_waitcnt vmcnt(0)
	v_add_nc_u32_e32 v0, -1, v0
	v_cmp_eq_u32_e32 vcc_lo, 32, v0
	s_cbranch_vccnz .LBB99_236
; %bb.235:
	v_lshlrev_b32_e32 v0, 3, v0
	s_clause 0x3
	buffer_load_dword v73, v0, s[0:3], 0 offen
	buffer_load_dword v74, v0, s[0:3], 0 offen offset:4
	buffer_load_dword v75, off, s[0:3], 0 offset:260
	buffer_load_dword v76, off, s[0:3], 0 offset:256
	s_waitcnt vmcnt(3)
	buffer_store_dword v73, off, s[0:3], 0 offset:256
	s_waitcnt vmcnt(2)
	buffer_store_dword v74, off, s[0:3], 0 offset:260
	s_waitcnt vmcnt(1)
	buffer_store_dword v75, v0, s[0:3], 0 offen offset:4
	s_waitcnt vmcnt(0)
	buffer_store_dword v76, v0, s[0:3], 0 offen
.LBB99_236:
	v_mov_b32_e32 v0, 0
	global_load_dword v73, v0, s[12:13] offset:124
	s_waitcnt vmcnt(0)
	v_add_nc_u32_e32 v73, -1, v73
	v_cmp_eq_u32_e32 vcc_lo, 31, v73
	s_cbranch_vccnz .LBB99_238
; %bb.237:
	v_lshlrev_b32_e32 v73, 3, v73
	s_clause 0x3
	buffer_load_dword v74, v73, s[0:3], 0 offen
	buffer_load_dword v75, v73, s[0:3], 0 offen offset:4
	buffer_load_dword v76, off, s[0:3], 0 offset:248
	buffer_load_dword v77, off, s[0:3], 0 offset:252
	s_waitcnt vmcnt(3)
	buffer_store_dword v74, off, s[0:3], 0 offset:248
	s_waitcnt vmcnt(2)
	buffer_store_dword v75, off, s[0:3], 0 offset:252
	s_waitcnt vmcnt(1)
	buffer_store_dword v76, v73, s[0:3], 0 offen
	s_waitcnt vmcnt(0)
	buffer_store_dword v77, v73, s[0:3], 0 offen offset:4
.LBB99_238:
	global_load_dword v0, v0, s[12:13] offset:120
	s_waitcnt vmcnt(0)
	v_add_nc_u32_e32 v0, -1, v0
	v_cmp_eq_u32_e32 vcc_lo, 30, v0
	s_cbranch_vccnz .LBB99_240
; %bb.239:
	v_lshlrev_b32_e32 v0, 3, v0
	s_clause 0x3
	buffer_load_dword v73, v0, s[0:3], 0 offen
	buffer_load_dword v74, v0, s[0:3], 0 offen offset:4
	buffer_load_dword v75, off, s[0:3], 0 offset:244
	buffer_load_dword v76, off, s[0:3], 0 offset:240
	s_waitcnt vmcnt(3)
	buffer_store_dword v73, off, s[0:3], 0 offset:240
	s_waitcnt vmcnt(2)
	buffer_store_dword v74, off, s[0:3], 0 offset:244
	s_waitcnt vmcnt(1)
	buffer_store_dword v75, v0, s[0:3], 0 offen offset:4
	s_waitcnt vmcnt(0)
	buffer_store_dword v76, v0, s[0:3], 0 offen
.LBB99_240:
	;; [unrolled: 43-line block ×16, first 2 shown]
	v_mov_b32_e32 v0, 0
	global_load_dword v73, v0, s[12:13] offset:4
	s_waitcnt vmcnt(0)
	v_add_nc_u32_e32 v73, -1, v73
	v_cmp_eq_u32_e32 vcc_lo, 1, v73
	s_cbranch_vccnz .LBB99_298
; %bb.297:
	v_lshlrev_b32_e32 v73, 3, v73
	s_clause 0x3
	buffer_load_dword v74, v73, s[0:3], 0 offen
	buffer_load_dword v75, v73, s[0:3], 0 offen offset:4
	buffer_load_dword v76, off, s[0:3], 0 offset:8
	buffer_load_dword v77, off, s[0:3], 0 offset:12
	s_waitcnt vmcnt(3)
	buffer_store_dword v74, off, s[0:3], 0 offset:8
	s_waitcnt vmcnt(2)
	buffer_store_dword v75, off, s[0:3], 0 offset:12
	s_waitcnt vmcnt(1)
	buffer_store_dword v76, v73, s[0:3], 0 offen
	s_waitcnt vmcnt(0)
	buffer_store_dword v77, v73, s[0:3], 0 offen offset:4
.LBB99_298:
	global_load_dword v0, v0, s[12:13]
	s_waitcnt vmcnt(0)
	v_add_nc_u32_e32 v0, -1, v0
	v_cmp_eq_u32_e32 vcc_lo, 0, v0
	s_cbranch_vccnz .LBB99_300
; %bb.299:
	v_lshlrev_b32_e32 v0, 3, v0
	s_clause 0x3
	buffer_load_dword v73, v0, s[0:3], 0 offen
	buffer_load_dword v74, v0, s[0:3], 0 offen offset:4
	buffer_load_dword v75, off, s[0:3], 0 offset:4
	buffer_load_dword v76, off, s[0:3], 0
	s_waitcnt vmcnt(3)
	buffer_store_dword v73, off, s[0:3], 0
	s_waitcnt vmcnt(2)
	buffer_store_dword v74, off, s[0:3], 0 offset:4
	s_waitcnt vmcnt(1)
	buffer_store_dword v75, v0, s[0:3], 0 offen offset:4
	s_waitcnt vmcnt(0)
	buffer_store_dword v76, v0, s[0:3], 0 offen
.LBB99_300:
	s_clause 0x1
	buffer_load_dword v73, off, s[0:3], 0
	buffer_load_dword v74, off, s[0:3], 0 offset:4
	s_waitcnt vmcnt(0)
	flat_store_dwordx2 v[1:2], v[73:74]
	s_clause 0x1
	buffer_load_dword v0, off, s[0:3], 0 offset:8
	buffer_load_dword v1, off, s[0:3], 0 offset:12
	s_waitcnt vmcnt(0)
	flat_store_dwordx2 v[3:4], v[0:1]
	s_clause 0x1
	buffer_load_dword v0, off, s[0:3], 0 offset:16
	buffer_load_dword v1, off, s[0:3], 0 offset:20
	s_waitcnt vmcnt(0)
	flat_store_dwordx2 v[5:6], v[0:1]
	s_clause 0x1
	buffer_load_dword v0, off, s[0:3], 0 offset:24
	buffer_load_dword v1, off, s[0:3], 0 offset:28
	s_waitcnt vmcnt(0)
	flat_store_dwordx2 v[7:8], v[0:1]
	s_clause 0x1
	buffer_load_dword v0, off, s[0:3], 0 offset:32
	buffer_load_dword v1, off, s[0:3], 0 offset:36
	s_waitcnt vmcnt(0)
	flat_store_dwordx2 v[9:10], v[0:1]
	s_clause 0x1
	buffer_load_dword v0, off, s[0:3], 0 offset:40
	buffer_load_dword v1, off, s[0:3], 0 offset:44
	s_waitcnt vmcnt(0)
	flat_store_dwordx2 v[11:12], v[0:1]
	s_clause 0x1
	buffer_load_dword v0, off, s[0:3], 0 offset:48
	buffer_load_dword v1, off, s[0:3], 0 offset:52
	s_waitcnt vmcnt(0)
	flat_store_dwordx2 v[13:14], v[0:1]
	s_clause 0x1
	buffer_load_dword v0, off, s[0:3], 0 offset:56
	buffer_load_dword v1, off, s[0:3], 0 offset:60
	s_waitcnt vmcnt(0)
	flat_store_dwordx2 v[15:16], v[0:1]
	s_clause 0x1
	buffer_load_dword v0, off, s[0:3], 0 offset:64
	buffer_load_dword v1, off, s[0:3], 0 offset:68
	s_waitcnt vmcnt(0)
	flat_store_dwordx2 v[17:18], v[0:1]
	s_clause 0x1
	buffer_load_dword v0, off, s[0:3], 0 offset:72
	buffer_load_dword v1, off, s[0:3], 0 offset:76
	s_waitcnt vmcnt(0)
	flat_store_dwordx2 v[19:20], v[0:1]
	s_clause 0x1
	buffer_load_dword v0, off, s[0:3], 0 offset:80
	buffer_load_dword v1, off, s[0:3], 0 offset:84
	s_waitcnt vmcnt(0)
	flat_store_dwordx2 v[21:22], v[0:1]
	s_clause 0x1
	buffer_load_dword v0, off, s[0:3], 0 offset:88
	buffer_load_dword v1, off, s[0:3], 0 offset:92
	s_waitcnt vmcnt(0)
	flat_store_dwordx2 v[23:24], v[0:1]
	s_clause 0x1
	buffer_load_dword v0, off, s[0:3], 0 offset:96
	buffer_load_dword v1, off, s[0:3], 0 offset:100
	s_waitcnt vmcnt(0)
	flat_store_dwordx2 v[25:26], v[0:1]
	s_clause 0x1
	buffer_load_dword v0, off, s[0:3], 0 offset:104
	buffer_load_dword v1, off, s[0:3], 0 offset:108
	s_waitcnt vmcnt(0)
	flat_store_dwordx2 v[27:28], v[0:1]
	s_clause 0x1
	buffer_load_dword v0, off, s[0:3], 0 offset:112
	buffer_load_dword v1, off, s[0:3], 0 offset:116
	s_waitcnt vmcnt(0)
	flat_store_dwordx2 v[29:30], v[0:1]
	s_clause 0x1
	buffer_load_dword v0, off, s[0:3], 0 offset:120
	buffer_load_dword v1, off, s[0:3], 0 offset:124
	s_waitcnt vmcnt(0)
	flat_store_dwordx2 v[31:32], v[0:1]
	s_clause 0x1
	buffer_load_dword v0, off, s[0:3], 0 offset:128
	buffer_load_dword v1, off, s[0:3], 0 offset:132
	s_waitcnt vmcnt(0)
	flat_store_dwordx2 v[33:34], v[0:1]
	s_clause 0x1
	buffer_load_dword v0, off, s[0:3], 0 offset:136
	buffer_load_dword v1, off, s[0:3], 0 offset:140
	s_waitcnt vmcnt(0)
	flat_store_dwordx2 v[35:36], v[0:1]
	s_clause 0x1
	buffer_load_dword v0, off, s[0:3], 0 offset:144
	buffer_load_dword v1, off, s[0:3], 0 offset:148
	s_waitcnt vmcnt(0)
	flat_store_dwordx2 v[37:38], v[0:1]
	s_clause 0x1
	buffer_load_dword v0, off, s[0:3], 0 offset:152
	buffer_load_dword v1, off, s[0:3], 0 offset:156
	s_waitcnt vmcnt(0)
	flat_store_dwordx2 v[39:40], v[0:1]
	s_clause 0x1
	buffer_load_dword v0, off, s[0:3], 0 offset:160
	buffer_load_dword v1, off, s[0:3], 0 offset:164
	s_waitcnt vmcnt(0)
	flat_store_dwordx2 v[41:42], v[0:1]
	s_clause 0x1
	buffer_load_dword v0, off, s[0:3], 0 offset:168
	buffer_load_dword v1, off, s[0:3], 0 offset:172
	s_waitcnt vmcnt(0)
	flat_store_dwordx2 v[43:44], v[0:1]
	s_clause 0x1
	buffer_load_dword v0, off, s[0:3], 0 offset:176
	buffer_load_dword v1, off, s[0:3], 0 offset:180
	s_waitcnt vmcnt(0)
	flat_store_dwordx2 v[45:46], v[0:1]
	s_clause 0x1
	buffer_load_dword v0, off, s[0:3], 0 offset:184
	buffer_load_dword v1, off, s[0:3], 0 offset:188
	s_waitcnt vmcnt(0)
	flat_store_dwordx2 v[47:48], v[0:1]
	s_clause 0x1
	buffer_load_dword v0, off, s[0:3], 0 offset:192
	buffer_load_dword v1, off, s[0:3], 0 offset:196
	s_waitcnt vmcnt(0)
	flat_store_dwordx2 v[49:50], v[0:1]
	s_clause 0x1
	buffer_load_dword v0, off, s[0:3], 0 offset:200
	buffer_load_dword v1, off, s[0:3], 0 offset:204
	s_waitcnt vmcnt(0)
	flat_store_dwordx2 v[51:52], v[0:1]
	s_clause 0x1
	buffer_load_dword v0, off, s[0:3], 0 offset:208
	buffer_load_dword v1, off, s[0:3], 0 offset:212
	s_waitcnt vmcnt(0)
	flat_store_dwordx2 v[53:54], v[0:1]
	s_clause 0x1
	buffer_load_dword v0, off, s[0:3], 0 offset:216
	buffer_load_dword v1, off, s[0:3], 0 offset:220
	s_waitcnt vmcnt(0)
	flat_store_dwordx2 v[55:56], v[0:1]
	s_clause 0x1
	buffer_load_dword v0, off, s[0:3], 0 offset:224
	buffer_load_dword v1, off, s[0:3], 0 offset:228
	s_waitcnt vmcnt(0)
	flat_store_dwordx2 v[57:58], v[0:1]
	s_clause 0x1
	buffer_load_dword v0, off, s[0:3], 0 offset:232
	buffer_load_dword v1, off, s[0:3], 0 offset:236
	s_waitcnt vmcnt(0)
	flat_store_dwordx2 v[59:60], v[0:1]
	s_clause 0x1
	buffer_load_dword v0, off, s[0:3], 0 offset:240
	buffer_load_dword v1, off, s[0:3], 0 offset:244
	s_waitcnt vmcnt(0)
	flat_store_dwordx2 v[61:62], v[0:1]
	s_clause 0x1
	buffer_load_dword v0, off, s[0:3], 0 offset:248
	buffer_load_dword v1, off, s[0:3], 0 offset:252
	s_waitcnt vmcnt(0)
	flat_store_dwordx2 v[63:64], v[0:1]
	s_clause 0x1
	buffer_load_dword v0, off, s[0:3], 0 offset:256
	buffer_load_dword v1, off, s[0:3], 0 offset:260
	s_waitcnt vmcnt(0)
	flat_store_dwordx2 v[65:66], v[0:1]
	s_clause 0x1
	buffer_load_dword v0, off, s[0:3], 0 offset:264
	buffer_load_dword v1, off, s[0:3], 0 offset:268
	s_waitcnt vmcnt(0)
	flat_store_dwordx2 v[67:68], v[0:1]
	s_clause 0x1
	buffer_load_dword v0, off, s[0:3], 0 offset:272
	buffer_load_dword v1, off, s[0:3], 0 offset:276
	s_waitcnt vmcnt(0)
	flat_store_dwordx2 v[69:70], v[0:1]
	s_clause 0x1
	buffer_load_dword v0, off, s[0:3], 0 offset:280
	buffer_load_dword v1, off, s[0:3], 0 offset:284
	s_waitcnt vmcnt(0)
	flat_store_dwordx2 v[71:72], v[0:1]
	s_endpgm
	.section	.rodata,"a",@progbits
	.p2align	6, 0x0
	.amdhsa_kernel _ZN9rocsolver6v33100L18getri_kernel_smallILi36E19rocblas_complex_numIfEPKPS3_EEvT1_iilPiilS8_bb
		.amdhsa_group_segment_fixed_size 580
		.amdhsa_private_segment_fixed_size 304
		.amdhsa_kernarg_size 60
		.amdhsa_user_sgpr_count 6
		.amdhsa_user_sgpr_private_segment_buffer 1
		.amdhsa_user_sgpr_dispatch_ptr 0
		.amdhsa_user_sgpr_queue_ptr 0
		.amdhsa_user_sgpr_kernarg_segment_ptr 1
		.amdhsa_user_sgpr_dispatch_id 0
		.amdhsa_user_sgpr_flat_scratch_init 0
		.amdhsa_user_sgpr_private_segment_size 0
		.amdhsa_wavefront_size32 1
		.amdhsa_uses_dynamic_stack 0
		.amdhsa_system_sgpr_private_segment_wavefront_offset 1
		.amdhsa_system_sgpr_workgroup_id_x 1
		.amdhsa_system_sgpr_workgroup_id_y 0
		.amdhsa_system_sgpr_workgroup_id_z 0
		.amdhsa_system_sgpr_workgroup_info 0
		.amdhsa_system_vgpr_workitem_id 0
		.amdhsa_next_free_vgpr 250
		.amdhsa_next_free_sgpr 20
		.amdhsa_reserve_vcc 1
		.amdhsa_reserve_flat_scratch 0
		.amdhsa_float_round_mode_32 0
		.amdhsa_float_round_mode_16_64 0
		.amdhsa_float_denorm_mode_32 3
		.amdhsa_float_denorm_mode_16_64 3
		.amdhsa_dx10_clamp 1
		.amdhsa_ieee_mode 1
		.amdhsa_fp16_overflow 0
		.amdhsa_workgroup_processor_mode 1
		.amdhsa_memory_ordered 1
		.amdhsa_forward_progress 1
		.amdhsa_shared_vgpr_count 0
		.amdhsa_exception_fp_ieee_invalid_op 0
		.amdhsa_exception_fp_denorm_src 0
		.amdhsa_exception_fp_ieee_div_zero 0
		.amdhsa_exception_fp_ieee_overflow 0
		.amdhsa_exception_fp_ieee_underflow 0
		.amdhsa_exception_fp_ieee_inexact 0
		.amdhsa_exception_int_div_zero 0
	.end_amdhsa_kernel
	.section	.text._ZN9rocsolver6v33100L18getri_kernel_smallILi36E19rocblas_complex_numIfEPKPS3_EEvT1_iilPiilS8_bb,"axG",@progbits,_ZN9rocsolver6v33100L18getri_kernel_smallILi36E19rocblas_complex_numIfEPKPS3_EEvT1_iilPiilS8_bb,comdat
.Lfunc_end99:
	.size	_ZN9rocsolver6v33100L18getri_kernel_smallILi36E19rocblas_complex_numIfEPKPS3_EEvT1_iilPiilS8_bb, .Lfunc_end99-_ZN9rocsolver6v33100L18getri_kernel_smallILi36E19rocblas_complex_numIfEPKPS3_EEvT1_iilPiilS8_bb
                                        ; -- End function
	.set _ZN9rocsolver6v33100L18getri_kernel_smallILi36E19rocblas_complex_numIfEPKPS3_EEvT1_iilPiilS8_bb.num_vgpr, 250
	.set _ZN9rocsolver6v33100L18getri_kernel_smallILi36E19rocblas_complex_numIfEPKPS3_EEvT1_iilPiilS8_bb.num_agpr, 0
	.set _ZN9rocsolver6v33100L18getri_kernel_smallILi36E19rocblas_complex_numIfEPKPS3_EEvT1_iilPiilS8_bb.numbered_sgpr, 20
	.set _ZN9rocsolver6v33100L18getri_kernel_smallILi36E19rocblas_complex_numIfEPKPS3_EEvT1_iilPiilS8_bb.num_named_barrier, 0
	.set _ZN9rocsolver6v33100L18getri_kernel_smallILi36E19rocblas_complex_numIfEPKPS3_EEvT1_iilPiilS8_bb.private_seg_size, 304
	.set _ZN9rocsolver6v33100L18getri_kernel_smallILi36E19rocblas_complex_numIfEPKPS3_EEvT1_iilPiilS8_bb.uses_vcc, 1
	.set _ZN9rocsolver6v33100L18getri_kernel_smallILi36E19rocblas_complex_numIfEPKPS3_EEvT1_iilPiilS8_bb.uses_flat_scratch, 0
	.set _ZN9rocsolver6v33100L18getri_kernel_smallILi36E19rocblas_complex_numIfEPKPS3_EEvT1_iilPiilS8_bb.has_dyn_sized_stack, 0
	.set _ZN9rocsolver6v33100L18getri_kernel_smallILi36E19rocblas_complex_numIfEPKPS3_EEvT1_iilPiilS8_bb.has_recursion, 0
	.set _ZN9rocsolver6v33100L18getri_kernel_smallILi36E19rocblas_complex_numIfEPKPS3_EEvT1_iilPiilS8_bb.has_indirect_call, 0
	.section	.AMDGPU.csdata,"",@progbits
; Kernel info:
; codeLenInByte = 57372
; TotalNumSgprs: 22
; NumVgprs: 250
; ScratchSize: 304
; MemoryBound: 0
; FloatMode: 240
; IeeeMode: 1
; LDSByteSize: 580 bytes/workgroup (compile time only)
; SGPRBlocks: 0
; VGPRBlocks: 31
; NumSGPRsForWavesPerEU: 22
; NumVGPRsForWavesPerEU: 250
; Occupancy: 4
; WaveLimiterHint : 1
; COMPUTE_PGM_RSRC2:SCRATCH_EN: 1
; COMPUTE_PGM_RSRC2:USER_SGPR: 6
; COMPUTE_PGM_RSRC2:TRAP_HANDLER: 0
; COMPUTE_PGM_RSRC2:TGID_X_EN: 1
; COMPUTE_PGM_RSRC2:TGID_Y_EN: 0
; COMPUTE_PGM_RSRC2:TGID_Z_EN: 0
; COMPUTE_PGM_RSRC2:TIDIG_COMP_CNT: 0
	.section	.text._ZN9rocsolver6v33100L18getri_kernel_smallILi37E19rocblas_complex_numIfEPKPS3_EEvT1_iilPiilS8_bb,"axG",@progbits,_ZN9rocsolver6v33100L18getri_kernel_smallILi37E19rocblas_complex_numIfEPKPS3_EEvT1_iilPiilS8_bb,comdat
	.globl	_ZN9rocsolver6v33100L18getri_kernel_smallILi37E19rocblas_complex_numIfEPKPS3_EEvT1_iilPiilS8_bb ; -- Begin function _ZN9rocsolver6v33100L18getri_kernel_smallILi37E19rocblas_complex_numIfEPKPS3_EEvT1_iilPiilS8_bb
	.p2align	8
	.type	_ZN9rocsolver6v33100L18getri_kernel_smallILi37E19rocblas_complex_numIfEPKPS3_EEvT1_iilPiilS8_bb,@function
_ZN9rocsolver6v33100L18getri_kernel_smallILi37E19rocblas_complex_numIfEPKPS3_EEvT1_iilPiilS8_bb: ; @_ZN9rocsolver6v33100L18getri_kernel_smallILi37E19rocblas_complex_numIfEPKPS3_EEvT1_iilPiilS8_bb
; %bb.0:
	s_add_u32 s0, s0, s7
	s_addc_u32 s1, s1, 0
	s_mov_b32 s7, exec_lo
	v_cmpx_gt_u32_e32 37, v0
	s_cbranch_execz .LBB100_162
; %bb.1:
	s_clause 0x2
	s_load_dword s17, s[4:5], 0x38
	s_load_dwordx2 s[12:13], s[4:5], 0x0
	s_load_dwordx4 s[8:11], s[4:5], 0x28
	s_waitcnt lgkmcnt(0)
	s_bitcmp1_b32 s17, 8
	s_cselect_b32 s16, -1, 0
	s_ashr_i32 s7, s6, 31
	s_lshl_b64 s[14:15], s[6:7], 3
	s_add_u32 s12, s12, s14
	s_addc_u32 s13, s13, s15
	s_load_dwordx2 s[14:15], s[12:13], 0x0
	s_bfe_u32 s12, s17, 0x10008
	s_cmp_eq_u32 s12, 0
                                        ; implicit-def: $sgpr12_sgpr13
	s_cbranch_scc1 .LBB100_3
; %bb.2:
	s_clause 0x1
	s_load_dword s12, s[4:5], 0x20
	s_load_dwordx2 s[18:19], s[4:5], 0x18
	s_mul_i32 s13, s8, s7
	s_mul_hi_u32 s17, s8, s6
	s_mul_i32 s9, s9, s6
	s_add_i32 s13, s17, s13
	s_mul_i32 s8, s8, s6
	s_add_i32 s9, s13, s9
	s_lshl_b64 s[8:9], s[8:9], 2
	s_waitcnt lgkmcnt(0)
	s_ashr_i32 s13, s12, 31
	s_add_u32 s17, s18, s8
	s_addc_u32 s18, s19, s9
	s_lshl_b64 s[8:9], s[12:13], 2
	s_add_u32 s12, s17, s8
	s_addc_u32 s13, s18, s9
.LBB100_3:
	s_clause 0x1
	s_load_dwordx2 s[8:9], s[4:5], 0x8
	s_load_dword s17, s[4:5], 0x38
	v_lshlrev_b32_e32 v3, 3, v0
	s_waitcnt lgkmcnt(0)
	s_ashr_i32 s5, s8, 31
	s_mov_b32 s4, s8
	v_add3_u32 v10, s9, s9, v0
	s_lshl_b64 s[4:5], s[4:5], 3
	s_add_u32 s4, s14, s4
	s_addc_u32 s5, s15, s5
	v_add_co_u32 v4, s8, s4, v3
	v_add_co_ci_u32_e64 v5, null, s5, 0, s8
	s_mov_b32 s14, s9
	s_ashr_i32 s15, s9, 31
	v_ashrrev_i32_e32 v11, 31, v10
	flat_load_dwordx2 v[1:2], v[4:5]
	s_lshl_b64 s[14:15], s[14:15], 3
	v_add_nc_u32_e32 v12, s9, v10
	v_add_co_u32 v6, vcc_lo, v4, s14
	v_add_co_ci_u32_e64 v7, null, s15, v5, vcc_lo
	v_lshlrev_b64 v[8:9], 3, v[10:11]
	v_ashrrev_i32_e32 v13, 31, v12
	v_add_nc_u32_e32 v14, s9, v12
	s_bitcmp0_b32 s17, 0
	s_waitcnt vmcnt(0) lgkmcnt(0)
	buffer_store_dword v2, off, s[0:3], 0 offset:4
	buffer_store_dword v1, off, s[0:3], 0
	flat_load_dwordx2 v[1:2], v[6:7]
	v_add_co_u32 v8, vcc_lo, s4, v8
	v_add_co_ci_u32_e64 v9, null, s5, v9, vcc_lo
	v_lshlrev_b64 v[10:11], 3, v[12:13]
	v_ashrrev_i32_e32 v15, 31, v14
	v_add_nc_u32_e32 v16, s9, v14
	s_waitcnt vmcnt(0) lgkmcnt(0)
	buffer_store_dword v2, off, s[0:3], 0 offset:12
	buffer_store_dword v1, off, s[0:3], 0 offset:8
	flat_load_dwordx2 v[1:2], v[8:9]
	v_add_co_u32 v10, vcc_lo, s4, v10
	v_add_co_ci_u32_e64 v11, null, s5, v11, vcc_lo
	v_lshlrev_b64 v[12:13], 3, v[14:15]
	v_ashrrev_i32_e32 v17, 31, v16
	v_add_nc_u32_e32 v18, s9, v16
	s_waitcnt vmcnt(0) lgkmcnt(0)
	buffer_store_dword v2, off, s[0:3], 0 offset:20
	buffer_store_dword v1, off, s[0:3], 0 offset:16
	;; [unrolled: 9-line block ×31, first 2 shown]
	flat_load_dwordx2 v[1:2], v[68:69]
	v_add_co_u32 v70, vcc_lo, s4, v70
	v_add_co_ci_u32_e64 v71, null, s5, v71, vcc_lo
	v_lshlrev_b64 v[72:73], 3, v[74:75]
	v_ashrrev_i32_e32 v77, 31, v76
	s_waitcnt vmcnt(0) lgkmcnt(0)
	buffer_store_dword v2, off, s[0:3], 0 offset:260
	buffer_store_dword v1, off, s[0:3], 0 offset:256
	flat_load_dwordx2 v[1:2], v[70:71]
	v_add_co_u32 v72, vcc_lo, s4, v72
	v_add_co_ci_u32_e64 v73, null, s5, v73, vcc_lo
	v_lshlrev_b64 v[74:75], 3, v[76:77]
	v_add_nc_u32_e32 v76, s9, v76
	s_waitcnt vmcnt(0) lgkmcnt(0)
	buffer_store_dword v2, off, s[0:3], 0 offset:268
	buffer_store_dword v1, off, s[0:3], 0 offset:264
	flat_load_dwordx2 v[1:2], v[72:73]
	v_add_co_u32 v74, vcc_lo, s4, v74
	v_add_co_ci_u32_e64 v75, null, s5, v75, vcc_lo
	v_ashrrev_i32_e32 v77, 31, v76
	s_waitcnt vmcnt(0) lgkmcnt(0)
	buffer_store_dword v2, off, s[0:3], 0 offset:276
	buffer_store_dword v1, off, s[0:3], 0 offset:272
	flat_load_dwordx2 v[1:2], v[74:75]
	v_lshlrev_b64 v[76:77], 3, v[76:77]
	s_waitcnt vmcnt(0) lgkmcnt(0)
	buffer_store_dword v2, off, s[0:3], 0 offset:284
	buffer_store_dword v1, off, s[0:3], 0 offset:280
	v_add_co_u32 v76, vcc_lo, s4, v76
	v_add_co_ci_u32_e64 v77, null, s5, v77, vcc_lo
	s_mov_b32 s5, -1
	flat_load_dwordx2 v[1:2], v[76:77]
	s_waitcnt vmcnt(0) lgkmcnt(0)
	buffer_store_dword v2, off, s[0:3], 0 offset:292
	buffer_store_dword v1, off, s[0:3], 0 offset:288
	s_cbranch_scc1 .LBB100_160
; %bb.4:
	v_cmp_eq_u32_e64 s4, 0, v0
	s_and_saveexec_b32 s5, s4
; %bb.5:
	v_mov_b32_e32 v1, 0
	ds_write_b32 v1, v1 offset:296
; %bb.6:
	s_or_b32 exec_lo, exec_lo, s5
	v_lshl_add_u32 v79, v0, 3, 0
	s_waitcnt lgkmcnt(0)
	s_waitcnt_vscnt null, 0x0
	s_barrier
	buffer_gl0_inv
	s_clause 0x1
	buffer_load_dword v1, v79, s[0:3], 0 offen
	buffer_load_dword v2, v79, s[0:3], 0 offen offset:4
	s_waitcnt vmcnt(1)
	v_cmp_eq_f32_e32 vcc_lo, 0, v1
	s_waitcnt vmcnt(0)
	v_cmp_eq_f32_e64 s5, 0, v2
	s_and_b32 s5, vcc_lo, s5
	s_and_saveexec_b32 s8, s5
	s_cbranch_execz .LBB100_10
; %bb.7:
	v_mov_b32_e32 v1, 0
	s_mov_b32 s9, 0
	ds_read_b32 v2, v1 offset:296
	s_waitcnt lgkmcnt(0)
	v_readfirstlane_b32 s5, v2
	v_add_nc_u32_e32 v2, 1, v0
	s_cmp_eq_u32 s5, 0
	v_cmp_gt_i32_e32 vcc_lo, s5, v2
	s_cselect_b32 s14, -1, 0
	s_or_b32 s14, s14, vcc_lo
	s_and_b32 exec_lo, exec_lo, s14
	s_cbranch_execz .LBB100_10
; %bb.8:
	v_mov_b32_e32 v78, s5
.LBB100_9:                              ; =>This Inner Loop Header: Depth=1
	ds_cmpst_rtn_b32 v78, v1, v78, v2 offset:296
	s_waitcnt lgkmcnt(0)
	v_cmp_ne_u32_e32 vcc_lo, 0, v78
	v_cmp_le_i32_e64 s5, v78, v2
	s_and_b32 s5, vcc_lo, s5
	s_and_b32 s5, exec_lo, s5
	s_or_b32 s9, s5, s9
	s_andn2_b32 exec_lo, exec_lo, s9
	s_cbranch_execnz .LBB100_9
.LBB100_10:
	s_or_b32 exec_lo, exec_lo, s8
	v_mov_b32_e32 v1, 0
	s_barrier
	buffer_gl0_inv
	ds_read_b32 v2, v1 offset:296
	s_and_saveexec_b32 s5, s4
	s_cbranch_execz .LBB100_12
; %bb.11:
	s_lshl_b64 s[8:9], s[6:7], 2
	s_add_u32 s8, s10, s8
	s_addc_u32 s9, s11, s9
	s_waitcnt lgkmcnt(0)
	global_store_dword v1, v2, s[8:9]
.LBB100_12:
	s_or_b32 exec_lo, exec_lo, s5
	s_waitcnt lgkmcnt(0)
	v_cmp_ne_u32_e32 vcc_lo, 0, v2
	s_mov_b32 s5, 0
	s_cbranch_vccnz .LBB100_160
; %bb.13:
	s_clause 0x1
	buffer_load_dword v2, v79, s[0:3], 0 offen
	buffer_load_dword v78, v79, s[0:3], 0 offen offset:4
                                        ; implicit-def: $vgpr81
                                        ; implicit-def: $vgpr80
                                        ; implicit-def: $vgpr1
	s_waitcnt vmcnt(0)
	v_cmp_ngt_f32_e64 s5, |v2|, |v78|
	s_and_saveexec_b32 s8, s5
	s_xor_b32 s5, exec_lo, s8
	s_cbranch_execz .LBB100_15
; %bb.14:
	v_div_scale_f32 v1, null, v78, v78, v2
	v_div_scale_f32 v82, vcc_lo, v2, v78, v2
	v_rcp_f32_e32 v80, v1
	v_fma_f32 v81, -v1, v80, 1.0
	v_fmac_f32_e32 v80, v81, v80
	v_mul_f32_e32 v81, v82, v80
	v_fma_f32 v83, -v1, v81, v82
	v_fmac_f32_e32 v81, v83, v80
	v_fma_f32 v1, -v1, v81, v82
	v_div_fmas_f32 v1, v1, v80, v81
	v_div_fixup_f32 v1, v1, v78, v2
	v_fmac_f32_e32 v78, v2, v1
	v_div_scale_f32 v2, null, v78, v78, 1.0
	v_rcp_f32_e32 v80, v2
	v_fma_f32 v81, -v2, v80, 1.0
	v_fmac_f32_e32 v80, v81, v80
	v_div_scale_f32 v81, vcc_lo, 1.0, v78, 1.0
	v_mul_f32_e32 v82, v81, v80
	v_fma_f32 v83, -v2, v82, v81
	v_fmac_f32_e32 v82, v83, v80
	v_fma_f32 v2, -v2, v82, v81
	v_div_fmas_f32 v2, v2, v80, v82
	v_div_fixup_f32 v2, v2, v78, 1.0
                                        ; implicit-def: $vgpr78
	v_mul_f32_e32 v81, v1, v2
	v_xor_b32_e32 v80, 0x80000000, v2
                                        ; implicit-def: $vgpr2
	v_xor_b32_e32 v1, 0x80000000, v81
.LBB100_15:
	s_andn2_saveexec_b32 s5, s5
	s_cbranch_execz .LBB100_17
; %bb.16:
	v_div_scale_f32 v1, null, v2, v2, v78
	v_div_scale_f32 v82, vcc_lo, v78, v2, v78
	v_rcp_f32_e32 v80, v1
	v_fma_f32 v81, -v1, v80, 1.0
	v_fmac_f32_e32 v80, v81, v80
	v_mul_f32_e32 v81, v82, v80
	v_fma_f32 v83, -v1, v81, v82
	v_fmac_f32_e32 v81, v83, v80
	v_fma_f32 v1, -v1, v81, v82
	v_div_fmas_f32 v1, v1, v80, v81
	v_div_fixup_f32 v80, v1, v2, v78
	v_fmac_f32_e32 v2, v78, v80
	v_div_scale_f32 v1, null, v2, v2, 1.0
	v_div_scale_f32 v82, vcc_lo, 1.0, v2, 1.0
	v_rcp_f32_e32 v78, v1
	v_fma_f32 v81, -v1, v78, 1.0
	v_fmac_f32_e32 v78, v81, v78
	v_mul_f32_e32 v81, v82, v78
	v_fma_f32 v83, -v1, v81, v82
	v_fmac_f32_e32 v81, v83, v78
	v_fma_f32 v1, -v1, v81, v82
	v_div_fmas_f32 v1, v1, v78, v81
	v_div_fixup_f32 v81, v1, v2, 1.0
	v_xor_b32_e32 v1, 0x80000000, v81
	v_mul_f32_e64 v80, v80, -v81
.LBB100_17:
	s_or_b32 exec_lo, exec_lo, s5
	buffer_store_dword v81, v79, s[0:3], 0 offen
	buffer_store_dword v80, v79, s[0:3], 0 offen offset:4
	s_clause 0x1
	buffer_load_dword v82, off, s[0:3], 0 offset:12
	buffer_load_dword v81, off, s[0:3], 0 offset:8
	v_xor_b32_e32 v2, 0x80000000, v80
	v_add_nc_u32_e32 v78, 0x130, v3
	s_waitcnt vmcnt(0)
	ds_write2_b64 v3, v[1:2], v[81:82] offset1:38
	s_waitcnt lgkmcnt(0)
	s_waitcnt_vscnt null, 0x0
	s_barrier
	buffer_gl0_inv
	s_and_saveexec_b32 s5, s4
	s_cbranch_execz .LBB100_19
; %bb.18:
	s_clause 0x1
	buffer_load_dword v82, v79, s[0:3], 0 offen offset:4
	buffer_load_dword v83, v79, s[0:3], 0 offen
	ds_read_b64 v[1:2], v78
	v_mov_b32_e32 v80, 0
	ds_read_b64 v[80:81], v80 offset:8
	s_waitcnt vmcnt(1) lgkmcnt(1)
	v_mul_f32_e32 v84, v1, v82
	v_mul_f32_e32 v82, v2, v82
	s_waitcnt vmcnt(0)
	v_fmac_f32_e32 v84, v2, v83
	v_fma_f32 v1, v1, v83, -v82
	v_add_f32_e32 v2, 0, v84
	v_add_f32_e32 v1, 0, v1
	s_waitcnt lgkmcnt(0)
	v_mul_f32_e32 v82, v2, v81
	v_mul_f32_e32 v81, v1, v81
	v_fma_f32 v1, v1, v80, -v82
	v_fmac_f32_e32 v81, v2, v80
	buffer_store_dword v1, off, s[0:3], 0 offset:8
	buffer_store_dword v81, off, s[0:3], 0 offset:12
.LBB100_19:
	s_or_b32 exec_lo, exec_lo, s5
	s_waitcnt_vscnt null, 0x0
	s_barrier
	buffer_gl0_inv
	s_clause 0x1
	buffer_load_dword v1, off, s[0:3], 0 offset:16
	buffer_load_dword v2, off, s[0:3], 0 offset:20
	s_mov_b32 s5, exec_lo
	s_waitcnt vmcnt(0)
	ds_write_b64 v78, v[1:2]
	s_waitcnt lgkmcnt(0)
	s_barrier
	buffer_gl0_inv
	v_cmpx_gt_u32_e32 2, v0
	s_cbranch_execz .LBB100_23
; %bb.20:
	s_clause 0x1
	buffer_load_dword v80, v79, s[0:3], 0 offen offset:4
	buffer_load_dword v79, v79, s[0:3], 0 offen
	ds_read_b64 v[1:2], v78
	s_waitcnt vmcnt(1) lgkmcnt(0)
	v_mul_f32_e32 v81, v2, v80
	v_mul_f32_e32 v80, v1, v80
	s_waitcnt vmcnt(0)
	v_fma_f32 v1, v1, v79, -v81
	v_fmac_f32_e32 v80, v2, v79
	v_add_f32_e32 v2, 0, v1
	v_add_f32_e32 v1, 0, v80
	s_and_saveexec_b32 s8, s4
	s_cbranch_execz .LBB100_22
; %bb.21:
	s_clause 0x1
	buffer_load_dword v81, off, s[0:3], 0 offset:12
	buffer_load_dword v82, off, s[0:3], 0 offset:8
	v_mov_b32_e32 v79, 0
	ds_read_b64 v[79:80], v79 offset:312
	s_waitcnt vmcnt(1) lgkmcnt(0)
	v_mul_f32_e32 v83, v79, v81
	v_mul_f32_e32 v81, v80, v81
	s_waitcnt vmcnt(0)
	v_fmac_f32_e32 v83, v80, v82
	v_fma_f32 v79, v79, v82, -v81
	v_add_f32_e32 v1, v1, v83
	v_add_f32_e32 v2, v2, v79
.LBB100_22:
	s_or_b32 exec_lo, exec_lo, s8
	v_mov_b32_e32 v79, 0
	ds_read_b64 v[79:80], v79 offset:16
	s_waitcnt lgkmcnt(0)
	v_mul_f32_e32 v81, v1, v80
	v_mul_f32_e32 v80, v2, v80
	v_fma_f32 v2, v2, v79, -v81
	v_fmac_f32_e32 v80, v1, v79
	buffer_store_dword v2, off, s[0:3], 0 offset:16
	buffer_store_dword v80, off, s[0:3], 0 offset:20
.LBB100_23:
	s_or_b32 exec_lo, exec_lo, s5
	s_waitcnt_vscnt null, 0x0
	s_barrier
	buffer_gl0_inv
	s_clause 0x1
	buffer_load_dword v79, off, s[0:3], 0 offset:24
	buffer_load_dword v80, off, s[0:3], 0 offset:28
	v_add_nc_u32_e32 v1, -1, v0
	s_mov_b32 s4, exec_lo
	s_waitcnt vmcnt(0)
	ds_write_b64 v78, v[79:80]
	s_waitcnt lgkmcnt(0)
	s_barrier
	buffer_gl0_inv
	v_cmpx_gt_u32_e32 3, v0
	s_cbranch_execz .LBB100_27
; %bb.24:
	v_add_nc_u32_e32 v79, -1, v0
	v_add_nc_u32_e32 v80, 0x130, v3
	v_mov_b32_e32 v81, v3
	v_mov_b32_e32 v2, 0
	;; [unrolled: 1-line block ×3, first 2 shown]
	s_mov_b32 s5, 0
	.p2align	6
.LBB100_25:                             ; =>This Inner Loop Header: Depth=1
	s_clause 0x1
	buffer_load_dword v85, v81, s[0:3], 0 offen offset:4
	buffer_load_dword v86, v81, s[0:3], 0 offen
	ds_read_b64 v[83:84], v80
	v_add_nc_u32_e32 v79, 1, v79
	v_add_nc_u32_e32 v80, 8, v80
	;; [unrolled: 1-line block ×3, first 2 shown]
	v_cmp_lt_u32_e32 vcc_lo, 1, v79
	s_or_b32 s5, vcc_lo, s5
	s_waitcnt vmcnt(1) lgkmcnt(0)
	v_mul_f32_e32 v87, v84, v85
	v_mul_f32_e32 v85, v83, v85
	s_waitcnt vmcnt(0)
	v_fma_f32 v83, v83, v86, -v87
	v_fmac_f32_e32 v85, v84, v86
	v_add_f32_e32 v82, v82, v83
	v_add_f32_e32 v2, v2, v85
	s_andn2_b32 exec_lo, exec_lo, s5
	s_cbranch_execnz .LBB100_25
; %bb.26:
	s_or_b32 exec_lo, exec_lo, s5
	v_mov_b32_e32 v79, 0
	ds_read_b64 v[79:80], v79 offset:24
	s_waitcnt lgkmcnt(0)
	v_mul_f32_e32 v81, v2, v80
	v_mul_f32_e32 v80, v82, v80
	v_fma_f32 v81, v82, v79, -v81
	v_fmac_f32_e32 v80, v2, v79
	buffer_store_dword v81, off, s[0:3], 0 offset:24
	buffer_store_dword v80, off, s[0:3], 0 offset:28
.LBB100_27:
	s_or_b32 exec_lo, exec_lo, s4
	s_waitcnt_vscnt null, 0x0
	s_barrier
	buffer_gl0_inv
	s_clause 0x1
	buffer_load_dword v79, off, s[0:3], 0 offset:32
	buffer_load_dword v80, off, s[0:3], 0 offset:36
	s_mov_b32 s4, exec_lo
	s_waitcnt vmcnt(0)
	ds_write_b64 v78, v[79:80]
	s_waitcnt lgkmcnt(0)
	s_barrier
	buffer_gl0_inv
	v_cmpx_gt_u32_e32 4, v0
	s_cbranch_execz .LBB100_31
; %bb.28:
	v_add_nc_u32_e32 v79, -1, v0
	v_add_nc_u32_e32 v80, 0x130, v3
	v_mov_b32_e32 v81, v3
	v_mov_b32_e32 v2, 0
	;; [unrolled: 1-line block ×3, first 2 shown]
	s_mov_b32 s5, 0
	.p2align	6
.LBB100_29:                             ; =>This Inner Loop Header: Depth=1
	s_clause 0x1
	buffer_load_dword v85, v81, s[0:3], 0 offen offset:4
	buffer_load_dword v86, v81, s[0:3], 0 offen
	ds_read_b64 v[83:84], v80
	v_add_nc_u32_e32 v79, 1, v79
	v_add_nc_u32_e32 v80, 8, v80
	;; [unrolled: 1-line block ×3, first 2 shown]
	v_cmp_lt_u32_e32 vcc_lo, 2, v79
	s_or_b32 s5, vcc_lo, s5
	s_waitcnt vmcnt(1) lgkmcnt(0)
	v_mul_f32_e32 v87, v84, v85
	v_mul_f32_e32 v85, v83, v85
	s_waitcnt vmcnt(0)
	v_fma_f32 v83, v83, v86, -v87
	v_fmac_f32_e32 v85, v84, v86
	v_add_f32_e32 v82, v82, v83
	v_add_f32_e32 v2, v2, v85
	s_andn2_b32 exec_lo, exec_lo, s5
	s_cbranch_execnz .LBB100_29
; %bb.30:
	s_or_b32 exec_lo, exec_lo, s5
	v_mov_b32_e32 v79, 0
	ds_read_b64 v[79:80], v79 offset:32
	s_waitcnt lgkmcnt(0)
	v_mul_f32_e32 v81, v2, v80
	v_mul_f32_e32 v80, v82, v80
	v_fma_f32 v81, v82, v79, -v81
	v_fmac_f32_e32 v80, v2, v79
	buffer_store_dword v81, off, s[0:3], 0 offset:32
	buffer_store_dword v80, off, s[0:3], 0 offset:36
.LBB100_31:
	s_or_b32 exec_lo, exec_lo, s4
	s_waitcnt_vscnt null, 0x0
	s_barrier
	buffer_gl0_inv
	s_clause 0x1
	buffer_load_dword v79, off, s[0:3], 0 offset:40
	buffer_load_dword v80, off, s[0:3], 0 offset:44
	s_mov_b32 s4, exec_lo
	s_waitcnt vmcnt(0)
	ds_write_b64 v78, v[79:80]
	s_waitcnt lgkmcnt(0)
	s_barrier
	buffer_gl0_inv
	v_cmpx_gt_u32_e32 5, v0
	s_cbranch_execz .LBB100_35
; %bb.32:
	v_add_nc_u32_e32 v79, -1, v0
	v_add_nc_u32_e32 v80, 0x130, v3
	v_mov_b32_e32 v81, v3
	v_mov_b32_e32 v2, 0
	;; [unrolled: 1-line block ×3, first 2 shown]
	s_mov_b32 s5, 0
	.p2align	6
.LBB100_33:                             ; =>This Inner Loop Header: Depth=1
	s_clause 0x1
	buffer_load_dword v85, v81, s[0:3], 0 offen offset:4
	buffer_load_dword v86, v81, s[0:3], 0 offen
	ds_read_b64 v[83:84], v80
	v_add_nc_u32_e32 v79, 1, v79
	v_add_nc_u32_e32 v80, 8, v80
	;; [unrolled: 1-line block ×3, first 2 shown]
	v_cmp_lt_u32_e32 vcc_lo, 3, v79
	s_or_b32 s5, vcc_lo, s5
	s_waitcnt vmcnt(1) lgkmcnt(0)
	v_mul_f32_e32 v87, v84, v85
	v_mul_f32_e32 v85, v83, v85
	s_waitcnt vmcnt(0)
	v_fma_f32 v83, v83, v86, -v87
	v_fmac_f32_e32 v85, v84, v86
	v_add_f32_e32 v82, v82, v83
	v_add_f32_e32 v2, v2, v85
	s_andn2_b32 exec_lo, exec_lo, s5
	s_cbranch_execnz .LBB100_33
; %bb.34:
	s_or_b32 exec_lo, exec_lo, s5
	v_mov_b32_e32 v79, 0
	ds_read_b64 v[79:80], v79 offset:40
	s_waitcnt lgkmcnt(0)
	v_mul_f32_e32 v81, v2, v80
	v_mul_f32_e32 v80, v82, v80
	v_fma_f32 v81, v82, v79, -v81
	v_fmac_f32_e32 v80, v2, v79
	buffer_store_dword v81, off, s[0:3], 0 offset:40
	buffer_store_dword v80, off, s[0:3], 0 offset:44
.LBB100_35:
	s_or_b32 exec_lo, exec_lo, s4
	s_waitcnt_vscnt null, 0x0
	s_barrier
	buffer_gl0_inv
	s_clause 0x1
	buffer_load_dword v79, off, s[0:3], 0 offset:48
	buffer_load_dword v80, off, s[0:3], 0 offset:52
	s_mov_b32 s4, exec_lo
	s_waitcnt vmcnt(0)
	ds_write_b64 v78, v[79:80]
	s_waitcnt lgkmcnt(0)
	s_barrier
	buffer_gl0_inv
	v_cmpx_gt_u32_e32 6, v0
	s_cbranch_execz .LBB100_39
; %bb.36:
	v_add_nc_u32_e32 v79, -1, v0
	v_add_nc_u32_e32 v80, 0x130, v3
	v_mov_b32_e32 v81, v3
	v_mov_b32_e32 v2, 0
	;; [unrolled: 1-line block ×3, first 2 shown]
	s_mov_b32 s5, 0
	.p2align	6
.LBB100_37:                             ; =>This Inner Loop Header: Depth=1
	s_clause 0x1
	buffer_load_dword v85, v81, s[0:3], 0 offen offset:4
	buffer_load_dword v86, v81, s[0:3], 0 offen
	ds_read_b64 v[83:84], v80
	v_add_nc_u32_e32 v79, 1, v79
	v_add_nc_u32_e32 v80, 8, v80
	;; [unrolled: 1-line block ×3, first 2 shown]
	v_cmp_lt_u32_e32 vcc_lo, 4, v79
	s_or_b32 s5, vcc_lo, s5
	s_waitcnt vmcnt(1) lgkmcnt(0)
	v_mul_f32_e32 v87, v84, v85
	v_mul_f32_e32 v85, v83, v85
	s_waitcnt vmcnt(0)
	v_fma_f32 v83, v83, v86, -v87
	v_fmac_f32_e32 v85, v84, v86
	v_add_f32_e32 v82, v82, v83
	v_add_f32_e32 v2, v2, v85
	s_andn2_b32 exec_lo, exec_lo, s5
	s_cbranch_execnz .LBB100_37
; %bb.38:
	s_or_b32 exec_lo, exec_lo, s5
	v_mov_b32_e32 v79, 0
	ds_read_b64 v[79:80], v79 offset:48
	s_waitcnt lgkmcnt(0)
	v_mul_f32_e32 v81, v2, v80
	v_mul_f32_e32 v80, v82, v80
	v_fma_f32 v81, v82, v79, -v81
	v_fmac_f32_e32 v80, v2, v79
	buffer_store_dword v81, off, s[0:3], 0 offset:48
	buffer_store_dword v80, off, s[0:3], 0 offset:52
.LBB100_39:
	s_or_b32 exec_lo, exec_lo, s4
	s_waitcnt_vscnt null, 0x0
	s_barrier
	buffer_gl0_inv
	s_clause 0x1
	buffer_load_dword v79, off, s[0:3], 0 offset:56
	buffer_load_dword v80, off, s[0:3], 0 offset:60
	s_mov_b32 s4, exec_lo
	s_waitcnt vmcnt(0)
	ds_write_b64 v78, v[79:80]
	s_waitcnt lgkmcnt(0)
	s_barrier
	buffer_gl0_inv
	v_cmpx_gt_u32_e32 7, v0
	s_cbranch_execz .LBB100_43
; %bb.40:
	v_add_nc_u32_e32 v79, -1, v0
	v_add_nc_u32_e32 v80, 0x130, v3
	v_mov_b32_e32 v81, v3
	v_mov_b32_e32 v2, 0
	;; [unrolled: 1-line block ×3, first 2 shown]
	s_mov_b32 s5, 0
	.p2align	6
.LBB100_41:                             ; =>This Inner Loop Header: Depth=1
	s_clause 0x1
	buffer_load_dword v85, v81, s[0:3], 0 offen offset:4
	buffer_load_dword v86, v81, s[0:3], 0 offen
	ds_read_b64 v[83:84], v80
	v_add_nc_u32_e32 v79, 1, v79
	v_add_nc_u32_e32 v80, 8, v80
	;; [unrolled: 1-line block ×3, first 2 shown]
	v_cmp_lt_u32_e32 vcc_lo, 5, v79
	s_or_b32 s5, vcc_lo, s5
	s_waitcnt vmcnt(1) lgkmcnt(0)
	v_mul_f32_e32 v87, v84, v85
	v_mul_f32_e32 v85, v83, v85
	s_waitcnt vmcnt(0)
	v_fma_f32 v83, v83, v86, -v87
	v_fmac_f32_e32 v85, v84, v86
	v_add_f32_e32 v82, v82, v83
	v_add_f32_e32 v2, v2, v85
	s_andn2_b32 exec_lo, exec_lo, s5
	s_cbranch_execnz .LBB100_41
; %bb.42:
	s_or_b32 exec_lo, exec_lo, s5
	v_mov_b32_e32 v79, 0
	ds_read_b64 v[79:80], v79 offset:56
	s_waitcnt lgkmcnt(0)
	v_mul_f32_e32 v81, v2, v80
	v_mul_f32_e32 v80, v82, v80
	v_fma_f32 v81, v82, v79, -v81
	v_fmac_f32_e32 v80, v2, v79
	buffer_store_dword v81, off, s[0:3], 0 offset:56
	buffer_store_dword v80, off, s[0:3], 0 offset:60
.LBB100_43:
	s_or_b32 exec_lo, exec_lo, s4
	s_waitcnt_vscnt null, 0x0
	s_barrier
	buffer_gl0_inv
	s_clause 0x1
	buffer_load_dword v79, off, s[0:3], 0 offset:64
	buffer_load_dword v80, off, s[0:3], 0 offset:68
	s_mov_b32 s4, exec_lo
	s_waitcnt vmcnt(0)
	ds_write_b64 v78, v[79:80]
	s_waitcnt lgkmcnt(0)
	s_barrier
	buffer_gl0_inv
	v_cmpx_gt_u32_e32 8, v0
	s_cbranch_execz .LBB100_47
; %bb.44:
	v_add_nc_u32_e32 v79, -1, v0
	v_add_nc_u32_e32 v80, 0x130, v3
	v_mov_b32_e32 v81, v3
	v_mov_b32_e32 v2, 0
	;; [unrolled: 1-line block ×3, first 2 shown]
	s_mov_b32 s5, 0
	.p2align	6
.LBB100_45:                             ; =>This Inner Loop Header: Depth=1
	s_clause 0x1
	buffer_load_dword v85, v81, s[0:3], 0 offen offset:4
	buffer_load_dword v86, v81, s[0:3], 0 offen
	ds_read_b64 v[83:84], v80
	v_add_nc_u32_e32 v79, 1, v79
	v_add_nc_u32_e32 v80, 8, v80
	;; [unrolled: 1-line block ×3, first 2 shown]
	v_cmp_lt_u32_e32 vcc_lo, 6, v79
	s_or_b32 s5, vcc_lo, s5
	s_waitcnt vmcnt(1) lgkmcnt(0)
	v_mul_f32_e32 v87, v84, v85
	v_mul_f32_e32 v85, v83, v85
	s_waitcnt vmcnt(0)
	v_fma_f32 v83, v83, v86, -v87
	v_fmac_f32_e32 v85, v84, v86
	v_add_f32_e32 v82, v82, v83
	v_add_f32_e32 v2, v2, v85
	s_andn2_b32 exec_lo, exec_lo, s5
	s_cbranch_execnz .LBB100_45
; %bb.46:
	s_or_b32 exec_lo, exec_lo, s5
	v_mov_b32_e32 v79, 0
	ds_read_b64 v[79:80], v79 offset:64
	s_waitcnt lgkmcnt(0)
	v_mul_f32_e32 v81, v2, v80
	v_mul_f32_e32 v80, v82, v80
	v_fma_f32 v81, v82, v79, -v81
	v_fmac_f32_e32 v80, v2, v79
	buffer_store_dword v81, off, s[0:3], 0 offset:64
	buffer_store_dword v80, off, s[0:3], 0 offset:68
.LBB100_47:
	s_or_b32 exec_lo, exec_lo, s4
	s_waitcnt_vscnt null, 0x0
	s_barrier
	buffer_gl0_inv
	s_clause 0x1
	buffer_load_dword v79, off, s[0:3], 0 offset:72
	buffer_load_dword v80, off, s[0:3], 0 offset:76
	s_mov_b32 s4, exec_lo
	s_waitcnt vmcnt(0)
	ds_write_b64 v78, v[79:80]
	s_waitcnt lgkmcnt(0)
	s_barrier
	buffer_gl0_inv
	v_cmpx_gt_u32_e32 9, v0
	s_cbranch_execz .LBB100_51
; %bb.48:
	v_add_nc_u32_e32 v79, -1, v0
	v_add_nc_u32_e32 v80, 0x130, v3
	v_mov_b32_e32 v81, v3
	v_mov_b32_e32 v2, 0
	;; [unrolled: 1-line block ×3, first 2 shown]
	s_mov_b32 s5, 0
	.p2align	6
.LBB100_49:                             ; =>This Inner Loop Header: Depth=1
	s_clause 0x1
	buffer_load_dword v85, v81, s[0:3], 0 offen offset:4
	buffer_load_dword v86, v81, s[0:3], 0 offen
	ds_read_b64 v[83:84], v80
	v_add_nc_u32_e32 v79, 1, v79
	v_add_nc_u32_e32 v80, 8, v80
	;; [unrolled: 1-line block ×3, first 2 shown]
	v_cmp_lt_u32_e32 vcc_lo, 7, v79
	s_or_b32 s5, vcc_lo, s5
	s_waitcnt vmcnt(1) lgkmcnt(0)
	v_mul_f32_e32 v87, v84, v85
	v_mul_f32_e32 v85, v83, v85
	s_waitcnt vmcnt(0)
	v_fma_f32 v83, v83, v86, -v87
	v_fmac_f32_e32 v85, v84, v86
	v_add_f32_e32 v82, v82, v83
	v_add_f32_e32 v2, v2, v85
	s_andn2_b32 exec_lo, exec_lo, s5
	s_cbranch_execnz .LBB100_49
; %bb.50:
	s_or_b32 exec_lo, exec_lo, s5
	v_mov_b32_e32 v79, 0
	ds_read_b64 v[79:80], v79 offset:72
	s_waitcnt lgkmcnt(0)
	v_mul_f32_e32 v81, v2, v80
	v_mul_f32_e32 v80, v82, v80
	v_fma_f32 v81, v82, v79, -v81
	v_fmac_f32_e32 v80, v2, v79
	buffer_store_dword v81, off, s[0:3], 0 offset:72
	buffer_store_dword v80, off, s[0:3], 0 offset:76
.LBB100_51:
	s_or_b32 exec_lo, exec_lo, s4
	s_waitcnt_vscnt null, 0x0
	s_barrier
	buffer_gl0_inv
	s_clause 0x1
	buffer_load_dword v79, off, s[0:3], 0 offset:80
	buffer_load_dword v80, off, s[0:3], 0 offset:84
	s_mov_b32 s4, exec_lo
	s_waitcnt vmcnt(0)
	ds_write_b64 v78, v[79:80]
	s_waitcnt lgkmcnt(0)
	s_barrier
	buffer_gl0_inv
	v_cmpx_gt_u32_e32 10, v0
	s_cbranch_execz .LBB100_55
; %bb.52:
	v_add_nc_u32_e32 v79, -1, v0
	v_add_nc_u32_e32 v80, 0x130, v3
	v_mov_b32_e32 v81, v3
	v_mov_b32_e32 v2, 0
	;; [unrolled: 1-line block ×3, first 2 shown]
	s_mov_b32 s5, 0
	.p2align	6
.LBB100_53:                             ; =>This Inner Loop Header: Depth=1
	s_clause 0x1
	buffer_load_dword v85, v81, s[0:3], 0 offen offset:4
	buffer_load_dword v86, v81, s[0:3], 0 offen
	ds_read_b64 v[83:84], v80
	v_add_nc_u32_e32 v79, 1, v79
	v_add_nc_u32_e32 v80, 8, v80
	;; [unrolled: 1-line block ×3, first 2 shown]
	v_cmp_lt_u32_e32 vcc_lo, 8, v79
	s_or_b32 s5, vcc_lo, s5
	s_waitcnt vmcnt(1) lgkmcnt(0)
	v_mul_f32_e32 v87, v84, v85
	v_mul_f32_e32 v85, v83, v85
	s_waitcnt vmcnt(0)
	v_fma_f32 v83, v83, v86, -v87
	v_fmac_f32_e32 v85, v84, v86
	v_add_f32_e32 v82, v82, v83
	v_add_f32_e32 v2, v2, v85
	s_andn2_b32 exec_lo, exec_lo, s5
	s_cbranch_execnz .LBB100_53
; %bb.54:
	s_or_b32 exec_lo, exec_lo, s5
	v_mov_b32_e32 v79, 0
	ds_read_b64 v[79:80], v79 offset:80
	s_waitcnt lgkmcnt(0)
	v_mul_f32_e32 v81, v2, v80
	v_mul_f32_e32 v80, v82, v80
	v_fma_f32 v81, v82, v79, -v81
	v_fmac_f32_e32 v80, v2, v79
	buffer_store_dword v81, off, s[0:3], 0 offset:80
	buffer_store_dword v80, off, s[0:3], 0 offset:84
.LBB100_55:
	s_or_b32 exec_lo, exec_lo, s4
	s_waitcnt_vscnt null, 0x0
	s_barrier
	buffer_gl0_inv
	s_clause 0x1
	buffer_load_dword v79, off, s[0:3], 0 offset:88
	buffer_load_dword v80, off, s[0:3], 0 offset:92
	s_mov_b32 s4, exec_lo
	s_waitcnt vmcnt(0)
	ds_write_b64 v78, v[79:80]
	s_waitcnt lgkmcnt(0)
	s_barrier
	buffer_gl0_inv
	v_cmpx_gt_u32_e32 11, v0
	s_cbranch_execz .LBB100_59
; %bb.56:
	v_add_nc_u32_e32 v79, -1, v0
	v_add_nc_u32_e32 v80, 0x130, v3
	v_mov_b32_e32 v81, v3
	v_mov_b32_e32 v2, 0
	;; [unrolled: 1-line block ×3, first 2 shown]
	s_mov_b32 s5, 0
	.p2align	6
.LBB100_57:                             ; =>This Inner Loop Header: Depth=1
	s_clause 0x1
	buffer_load_dword v85, v81, s[0:3], 0 offen offset:4
	buffer_load_dword v86, v81, s[0:3], 0 offen
	ds_read_b64 v[83:84], v80
	v_add_nc_u32_e32 v79, 1, v79
	v_add_nc_u32_e32 v80, 8, v80
	v_add_nc_u32_e32 v81, 8, v81
	v_cmp_lt_u32_e32 vcc_lo, 9, v79
	s_or_b32 s5, vcc_lo, s5
	s_waitcnt vmcnt(1) lgkmcnt(0)
	v_mul_f32_e32 v87, v84, v85
	v_mul_f32_e32 v85, v83, v85
	s_waitcnt vmcnt(0)
	v_fma_f32 v83, v83, v86, -v87
	v_fmac_f32_e32 v85, v84, v86
	v_add_f32_e32 v82, v82, v83
	v_add_f32_e32 v2, v2, v85
	s_andn2_b32 exec_lo, exec_lo, s5
	s_cbranch_execnz .LBB100_57
; %bb.58:
	s_or_b32 exec_lo, exec_lo, s5
	v_mov_b32_e32 v79, 0
	ds_read_b64 v[79:80], v79 offset:88
	s_waitcnt lgkmcnt(0)
	v_mul_f32_e32 v81, v2, v80
	v_mul_f32_e32 v80, v82, v80
	v_fma_f32 v81, v82, v79, -v81
	v_fmac_f32_e32 v80, v2, v79
	buffer_store_dword v81, off, s[0:3], 0 offset:88
	buffer_store_dword v80, off, s[0:3], 0 offset:92
.LBB100_59:
	s_or_b32 exec_lo, exec_lo, s4
	s_waitcnt_vscnt null, 0x0
	s_barrier
	buffer_gl0_inv
	s_clause 0x1
	buffer_load_dword v79, off, s[0:3], 0 offset:96
	buffer_load_dword v80, off, s[0:3], 0 offset:100
	s_mov_b32 s4, exec_lo
	s_waitcnt vmcnt(0)
	ds_write_b64 v78, v[79:80]
	s_waitcnt lgkmcnt(0)
	s_barrier
	buffer_gl0_inv
	v_cmpx_gt_u32_e32 12, v0
	s_cbranch_execz .LBB100_63
; %bb.60:
	v_add_nc_u32_e32 v79, -1, v0
	v_add_nc_u32_e32 v80, 0x130, v3
	v_mov_b32_e32 v81, v3
	v_mov_b32_e32 v2, 0
	;; [unrolled: 1-line block ×3, first 2 shown]
	s_mov_b32 s5, 0
	.p2align	6
.LBB100_61:                             ; =>This Inner Loop Header: Depth=1
	s_clause 0x1
	buffer_load_dword v85, v81, s[0:3], 0 offen offset:4
	buffer_load_dword v86, v81, s[0:3], 0 offen
	ds_read_b64 v[83:84], v80
	v_add_nc_u32_e32 v79, 1, v79
	v_add_nc_u32_e32 v80, 8, v80
	;; [unrolled: 1-line block ×3, first 2 shown]
	v_cmp_lt_u32_e32 vcc_lo, 10, v79
	s_or_b32 s5, vcc_lo, s5
	s_waitcnt vmcnt(1) lgkmcnt(0)
	v_mul_f32_e32 v87, v84, v85
	v_mul_f32_e32 v85, v83, v85
	s_waitcnt vmcnt(0)
	v_fma_f32 v83, v83, v86, -v87
	v_fmac_f32_e32 v85, v84, v86
	v_add_f32_e32 v82, v82, v83
	v_add_f32_e32 v2, v2, v85
	s_andn2_b32 exec_lo, exec_lo, s5
	s_cbranch_execnz .LBB100_61
; %bb.62:
	s_or_b32 exec_lo, exec_lo, s5
	v_mov_b32_e32 v79, 0
	ds_read_b64 v[79:80], v79 offset:96
	s_waitcnt lgkmcnt(0)
	v_mul_f32_e32 v81, v2, v80
	v_mul_f32_e32 v80, v82, v80
	v_fma_f32 v81, v82, v79, -v81
	v_fmac_f32_e32 v80, v2, v79
	buffer_store_dword v81, off, s[0:3], 0 offset:96
	buffer_store_dword v80, off, s[0:3], 0 offset:100
.LBB100_63:
	s_or_b32 exec_lo, exec_lo, s4
	s_waitcnt_vscnt null, 0x0
	s_barrier
	buffer_gl0_inv
	s_clause 0x1
	buffer_load_dword v79, off, s[0:3], 0 offset:104
	buffer_load_dword v80, off, s[0:3], 0 offset:108
	s_mov_b32 s4, exec_lo
	s_waitcnt vmcnt(0)
	ds_write_b64 v78, v[79:80]
	s_waitcnt lgkmcnt(0)
	s_barrier
	buffer_gl0_inv
	v_cmpx_gt_u32_e32 13, v0
	s_cbranch_execz .LBB100_67
; %bb.64:
	v_add_nc_u32_e32 v79, -1, v0
	v_add_nc_u32_e32 v80, 0x130, v3
	v_mov_b32_e32 v81, v3
	v_mov_b32_e32 v2, 0
	;; [unrolled: 1-line block ×3, first 2 shown]
	s_mov_b32 s5, 0
	.p2align	6
.LBB100_65:                             ; =>This Inner Loop Header: Depth=1
	s_clause 0x1
	buffer_load_dword v85, v81, s[0:3], 0 offen offset:4
	buffer_load_dword v86, v81, s[0:3], 0 offen
	ds_read_b64 v[83:84], v80
	v_add_nc_u32_e32 v79, 1, v79
	v_add_nc_u32_e32 v80, 8, v80
	;; [unrolled: 1-line block ×3, first 2 shown]
	v_cmp_lt_u32_e32 vcc_lo, 11, v79
	s_or_b32 s5, vcc_lo, s5
	s_waitcnt vmcnt(1) lgkmcnt(0)
	v_mul_f32_e32 v87, v84, v85
	v_mul_f32_e32 v85, v83, v85
	s_waitcnt vmcnt(0)
	v_fma_f32 v83, v83, v86, -v87
	v_fmac_f32_e32 v85, v84, v86
	v_add_f32_e32 v82, v82, v83
	v_add_f32_e32 v2, v2, v85
	s_andn2_b32 exec_lo, exec_lo, s5
	s_cbranch_execnz .LBB100_65
; %bb.66:
	s_or_b32 exec_lo, exec_lo, s5
	v_mov_b32_e32 v79, 0
	ds_read_b64 v[79:80], v79 offset:104
	s_waitcnt lgkmcnt(0)
	v_mul_f32_e32 v81, v2, v80
	v_mul_f32_e32 v80, v82, v80
	v_fma_f32 v81, v82, v79, -v81
	v_fmac_f32_e32 v80, v2, v79
	buffer_store_dword v81, off, s[0:3], 0 offset:104
	buffer_store_dword v80, off, s[0:3], 0 offset:108
.LBB100_67:
	s_or_b32 exec_lo, exec_lo, s4
	s_waitcnt_vscnt null, 0x0
	s_barrier
	buffer_gl0_inv
	s_clause 0x1
	buffer_load_dword v79, off, s[0:3], 0 offset:112
	buffer_load_dword v80, off, s[0:3], 0 offset:116
	s_mov_b32 s4, exec_lo
	s_waitcnt vmcnt(0)
	ds_write_b64 v78, v[79:80]
	s_waitcnt lgkmcnt(0)
	s_barrier
	buffer_gl0_inv
	v_cmpx_gt_u32_e32 14, v0
	s_cbranch_execz .LBB100_71
; %bb.68:
	v_add_nc_u32_e32 v79, -1, v0
	v_add_nc_u32_e32 v80, 0x130, v3
	v_mov_b32_e32 v81, v3
	v_mov_b32_e32 v2, 0
	;; [unrolled: 1-line block ×3, first 2 shown]
	s_mov_b32 s5, 0
	.p2align	6
.LBB100_69:                             ; =>This Inner Loop Header: Depth=1
	s_clause 0x1
	buffer_load_dword v85, v81, s[0:3], 0 offen offset:4
	buffer_load_dword v86, v81, s[0:3], 0 offen
	ds_read_b64 v[83:84], v80
	v_add_nc_u32_e32 v79, 1, v79
	v_add_nc_u32_e32 v80, 8, v80
	;; [unrolled: 1-line block ×3, first 2 shown]
	v_cmp_lt_u32_e32 vcc_lo, 12, v79
	s_or_b32 s5, vcc_lo, s5
	s_waitcnt vmcnt(1) lgkmcnt(0)
	v_mul_f32_e32 v87, v84, v85
	v_mul_f32_e32 v85, v83, v85
	s_waitcnt vmcnt(0)
	v_fma_f32 v83, v83, v86, -v87
	v_fmac_f32_e32 v85, v84, v86
	v_add_f32_e32 v82, v82, v83
	v_add_f32_e32 v2, v2, v85
	s_andn2_b32 exec_lo, exec_lo, s5
	s_cbranch_execnz .LBB100_69
; %bb.70:
	s_or_b32 exec_lo, exec_lo, s5
	v_mov_b32_e32 v79, 0
	ds_read_b64 v[79:80], v79 offset:112
	s_waitcnt lgkmcnt(0)
	v_mul_f32_e32 v81, v2, v80
	v_mul_f32_e32 v80, v82, v80
	v_fma_f32 v81, v82, v79, -v81
	v_fmac_f32_e32 v80, v2, v79
	buffer_store_dword v81, off, s[0:3], 0 offset:112
	buffer_store_dword v80, off, s[0:3], 0 offset:116
.LBB100_71:
	s_or_b32 exec_lo, exec_lo, s4
	s_waitcnt_vscnt null, 0x0
	s_barrier
	buffer_gl0_inv
	s_clause 0x1
	buffer_load_dword v79, off, s[0:3], 0 offset:120
	buffer_load_dword v80, off, s[0:3], 0 offset:124
	s_mov_b32 s4, exec_lo
	s_waitcnt vmcnt(0)
	ds_write_b64 v78, v[79:80]
	s_waitcnt lgkmcnt(0)
	s_barrier
	buffer_gl0_inv
	v_cmpx_gt_u32_e32 15, v0
	s_cbranch_execz .LBB100_75
; %bb.72:
	v_add_nc_u32_e32 v79, -1, v0
	v_add_nc_u32_e32 v80, 0x130, v3
	v_mov_b32_e32 v81, v3
	v_mov_b32_e32 v2, 0
	;; [unrolled: 1-line block ×3, first 2 shown]
	s_mov_b32 s5, 0
	.p2align	6
.LBB100_73:                             ; =>This Inner Loop Header: Depth=1
	s_clause 0x1
	buffer_load_dword v85, v81, s[0:3], 0 offen offset:4
	buffer_load_dword v86, v81, s[0:3], 0 offen
	ds_read_b64 v[83:84], v80
	v_add_nc_u32_e32 v79, 1, v79
	v_add_nc_u32_e32 v80, 8, v80
	;; [unrolled: 1-line block ×3, first 2 shown]
	v_cmp_lt_u32_e32 vcc_lo, 13, v79
	s_or_b32 s5, vcc_lo, s5
	s_waitcnt vmcnt(1) lgkmcnt(0)
	v_mul_f32_e32 v87, v84, v85
	v_mul_f32_e32 v85, v83, v85
	s_waitcnt vmcnt(0)
	v_fma_f32 v83, v83, v86, -v87
	v_fmac_f32_e32 v85, v84, v86
	v_add_f32_e32 v82, v82, v83
	v_add_f32_e32 v2, v2, v85
	s_andn2_b32 exec_lo, exec_lo, s5
	s_cbranch_execnz .LBB100_73
; %bb.74:
	s_or_b32 exec_lo, exec_lo, s5
	v_mov_b32_e32 v79, 0
	ds_read_b64 v[79:80], v79 offset:120
	s_waitcnt lgkmcnt(0)
	v_mul_f32_e32 v81, v2, v80
	v_mul_f32_e32 v80, v82, v80
	v_fma_f32 v81, v82, v79, -v81
	v_fmac_f32_e32 v80, v2, v79
	buffer_store_dword v81, off, s[0:3], 0 offset:120
	buffer_store_dword v80, off, s[0:3], 0 offset:124
.LBB100_75:
	s_or_b32 exec_lo, exec_lo, s4
	s_waitcnt_vscnt null, 0x0
	s_barrier
	buffer_gl0_inv
	s_clause 0x1
	buffer_load_dword v79, off, s[0:3], 0 offset:128
	buffer_load_dword v80, off, s[0:3], 0 offset:132
	s_mov_b32 s4, exec_lo
	s_waitcnt vmcnt(0)
	ds_write_b64 v78, v[79:80]
	s_waitcnt lgkmcnt(0)
	s_barrier
	buffer_gl0_inv
	v_cmpx_gt_u32_e32 16, v0
	s_cbranch_execz .LBB100_79
; %bb.76:
	v_add_nc_u32_e32 v79, -1, v0
	v_add_nc_u32_e32 v80, 0x130, v3
	v_mov_b32_e32 v81, v3
	v_mov_b32_e32 v2, 0
	;; [unrolled: 1-line block ×3, first 2 shown]
	s_mov_b32 s5, 0
	.p2align	6
.LBB100_77:                             ; =>This Inner Loop Header: Depth=1
	s_clause 0x1
	buffer_load_dword v85, v81, s[0:3], 0 offen offset:4
	buffer_load_dword v86, v81, s[0:3], 0 offen
	ds_read_b64 v[83:84], v80
	v_add_nc_u32_e32 v79, 1, v79
	v_add_nc_u32_e32 v80, 8, v80
	;; [unrolled: 1-line block ×3, first 2 shown]
	v_cmp_lt_u32_e32 vcc_lo, 14, v79
	s_or_b32 s5, vcc_lo, s5
	s_waitcnt vmcnt(1) lgkmcnt(0)
	v_mul_f32_e32 v87, v84, v85
	v_mul_f32_e32 v85, v83, v85
	s_waitcnt vmcnt(0)
	v_fma_f32 v83, v83, v86, -v87
	v_fmac_f32_e32 v85, v84, v86
	v_add_f32_e32 v82, v82, v83
	v_add_f32_e32 v2, v2, v85
	s_andn2_b32 exec_lo, exec_lo, s5
	s_cbranch_execnz .LBB100_77
; %bb.78:
	s_or_b32 exec_lo, exec_lo, s5
	v_mov_b32_e32 v79, 0
	ds_read_b64 v[79:80], v79 offset:128
	s_waitcnt lgkmcnt(0)
	v_mul_f32_e32 v81, v2, v80
	v_mul_f32_e32 v80, v82, v80
	v_fma_f32 v81, v82, v79, -v81
	v_fmac_f32_e32 v80, v2, v79
	buffer_store_dword v81, off, s[0:3], 0 offset:128
	buffer_store_dword v80, off, s[0:3], 0 offset:132
.LBB100_79:
	s_or_b32 exec_lo, exec_lo, s4
	s_waitcnt_vscnt null, 0x0
	s_barrier
	buffer_gl0_inv
	s_clause 0x1
	buffer_load_dword v79, off, s[0:3], 0 offset:136
	buffer_load_dword v80, off, s[0:3], 0 offset:140
	s_mov_b32 s4, exec_lo
	s_waitcnt vmcnt(0)
	ds_write_b64 v78, v[79:80]
	s_waitcnt lgkmcnt(0)
	s_barrier
	buffer_gl0_inv
	v_cmpx_gt_u32_e32 17, v0
	s_cbranch_execz .LBB100_83
; %bb.80:
	v_add_nc_u32_e32 v79, -1, v0
	v_add_nc_u32_e32 v80, 0x130, v3
	v_mov_b32_e32 v81, v3
	v_mov_b32_e32 v2, 0
	;; [unrolled: 1-line block ×3, first 2 shown]
	s_mov_b32 s5, 0
	.p2align	6
.LBB100_81:                             ; =>This Inner Loop Header: Depth=1
	s_clause 0x1
	buffer_load_dword v85, v81, s[0:3], 0 offen offset:4
	buffer_load_dword v86, v81, s[0:3], 0 offen
	ds_read_b64 v[83:84], v80
	v_add_nc_u32_e32 v79, 1, v79
	v_add_nc_u32_e32 v80, 8, v80
	;; [unrolled: 1-line block ×3, first 2 shown]
	v_cmp_lt_u32_e32 vcc_lo, 15, v79
	s_or_b32 s5, vcc_lo, s5
	s_waitcnt vmcnt(1) lgkmcnt(0)
	v_mul_f32_e32 v87, v84, v85
	v_mul_f32_e32 v85, v83, v85
	s_waitcnt vmcnt(0)
	v_fma_f32 v83, v83, v86, -v87
	v_fmac_f32_e32 v85, v84, v86
	v_add_f32_e32 v82, v82, v83
	v_add_f32_e32 v2, v2, v85
	s_andn2_b32 exec_lo, exec_lo, s5
	s_cbranch_execnz .LBB100_81
; %bb.82:
	s_or_b32 exec_lo, exec_lo, s5
	v_mov_b32_e32 v79, 0
	ds_read_b64 v[79:80], v79 offset:136
	s_waitcnt lgkmcnt(0)
	v_mul_f32_e32 v81, v2, v80
	v_mul_f32_e32 v80, v82, v80
	v_fma_f32 v81, v82, v79, -v81
	v_fmac_f32_e32 v80, v2, v79
	buffer_store_dword v81, off, s[0:3], 0 offset:136
	buffer_store_dword v80, off, s[0:3], 0 offset:140
.LBB100_83:
	s_or_b32 exec_lo, exec_lo, s4
	s_waitcnt_vscnt null, 0x0
	s_barrier
	buffer_gl0_inv
	s_clause 0x1
	buffer_load_dword v79, off, s[0:3], 0 offset:144
	buffer_load_dword v80, off, s[0:3], 0 offset:148
	s_mov_b32 s4, exec_lo
	s_waitcnt vmcnt(0)
	ds_write_b64 v78, v[79:80]
	s_waitcnt lgkmcnt(0)
	s_barrier
	buffer_gl0_inv
	v_cmpx_gt_u32_e32 18, v0
	s_cbranch_execz .LBB100_87
; %bb.84:
	v_add_nc_u32_e32 v79, -1, v0
	v_add_nc_u32_e32 v80, 0x130, v3
	v_mov_b32_e32 v81, v3
	v_mov_b32_e32 v2, 0
	;; [unrolled: 1-line block ×3, first 2 shown]
	s_mov_b32 s5, 0
	.p2align	6
.LBB100_85:                             ; =>This Inner Loop Header: Depth=1
	s_clause 0x1
	buffer_load_dword v85, v81, s[0:3], 0 offen offset:4
	buffer_load_dword v86, v81, s[0:3], 0 offen
	ds_read_b64 v[83:84], v80
	v_add_nc_u32_e32 v79, 1, v79
	v_add_nc_u32_e32 v80, 8, v80
	v_add_nc_u32_e32 v81, 8, v81
	v_cmp_lt_u32_e32 vcc_lo, 16, v79
	s_or_b32 s5, vcc_lo, s5
	s_waitcnt vmcnt(1) lgkmcnt(0)
	v_mul_f32_e32 v87, v84, v85
	v_mul_f32_e32 v85, v83, v85
	s_waitcnt vmcnt(0)
	v_fma_f32 v83, v83, v86, -v87
	v_fmac_f32_e32 v85, v84, v86
	v_add_f32_e32 v82, v82, v83
	v_add_f32_e32 v2, v2, v85
	s_andn2_b32 exec_lo, exec_lo, s5
	s_cbranch_execnz .LBB100_85
; %bb.86:
	s_or_b32 exec_lo, exec_lo, s5
	v_mov_b32_e32 v79, 0
	ds_read_b64 v[79:80], v79 offset:144
	s_waitcnt lgkmcnt(0)
	v_mul_f32_e32 v81, v2, v80
	v_mul_f32_e32 v80, v82, v80
	v_fma_f32 v81, v82, v79, -v81
	v_fmac_f32_e32 v80, v2, v79
	buffer_store_dword v81, off, s[0:3], 0 offset:144
	buffer_store_dword v80, off, s[0:3], 0 offset:148
.LBB100_87:
	s_or_b32 exec_lo, exec_lo, s4
	s_waitcnt_vscnt null, 0x0
	s_barrier
	buffer_gl0_inv
	s_clause 0x1
	buffer_load_dword v79, off, s[0:3], 0 offset:152
	buffer_load_dword v80, off, s[0:3], 0 offset:156
	s_mov_b32 s4, exec_lo
	s_waitcnt vmcnt(0)
	ds_write_b64 v78, v[79:80]
	s_waitcnt lgkmcnt(0)
	s_barrier
	buffer_gl0_inv
	v_cmpx_gt_u32_e32 19, v0
	s_cbranch_execz .LBB100_91
; %bb.88:
	v_add_nc_u32_e32 v79, -1, v0
	v_add_nc_u32_e32 v80, 0x130, v3
	v_mov_b32_e32 v81, v3
	v_mov_b32_e32 v2, 0
	;; [unrolled: 1-line block ×3, first 2 shown]
	s_mov_b32 s5, 0
	.p2align	6
.LBB100_89:                             ; =>This Inner Loop Header: Depth=1
	s_clause 0x1
	buffer_load_dword v85, v81, s[0:3], 0 offen offset:4
	buffer_load_dword v86, v81, s[0:3], 0 offen
	ds_read_b64 v[83:84], v80
	v_add_nc_u32_e32 v79, 1, v79
	v_add_nc_u32_e32 v80, 8, v80
	;; [unrolled: 1-line block ×3, first 2 shown]
	v_cmp_lt_u32_e32 vcc_lo, 17, v79
	s_or_b32 s5, vcc_lo, s5
	s_waitcnt vmcnt(1) lgkmcnt(0)
	v_mul_f32_e32 v87, v84, v85
	v_mul_f32_e32 v85, v83, v85
	s_waitcnt vmcnt(0)
	v_fma_f32 v83, v83, v86, -v87
	v_fmac_f32_e32 v85, v84, v86
	v_add_f32_e32 v82, v82, v83
	v_add_f32_e32 v2, v2, v85
	s_andn2_b32 exec_lo, exec_lo, s5
	s_cbranch_execnz .LBB100_89
; %bb.90:
	s_or_b32 exec_lo, exec_lo, s5
	v_mov_b32_e32 v79, 0
	ds_read_b64 v[79:80], v79 offset:152
	s_waitcnt lgkmcnt(0)
	v_mul_f32_e32 v81, v2, v80
	v_mul_f32_e32 v80, v82, v80
	v_fma_f32 v81, v82, v79, -v81
	v_fmac_f32_e32 v80, v2, v79
	buffer_store_dword v81, off, s[0:3], 0 offset:152
	buffer_store_dword v80, off, s[0:3], 0 offset:156
.LBB100_91:
	s_or_b32 exec_lo, exec_lo, s4
	s_waitcnt_vscnt null, 0x0
	s_barrier
	buffer_gl0_inv
	s_clause 0x1
	buffer_load_dword v79, off, s[0:3], 0 offset:160
	buffer_load_dword v80, off, s[0:3], 0 offset:164
	s_mov_b32 s4, exec_lo
	s_waitcnt vmcnt(0)
	ds_write_b64 v78, v[79:80]
	s_waitcnt lgkmcnt(0)
	s_barrier
	buffer_gl0_inv
	v_cmpx_gt_u32_e32 20, v0
	s_cbranch_execz .LBB100_95
; %bb.92:
	v_add_nc_u32_e32 v79, -1, v0
	v_add_nc_u32_e32 v80, 0x130, v3
	v_mov_b32_e32 v81, v3
	v_mov_b32_e32 v2, 0
	;; [unrolled: 1-line block ×3, first 2 shown]
	s_mov_b32 s5, 0
	.p2align	6
.LBB100_93:                             ; =>This Inner Loop Header: Depth=1
	s_clause 0x1
	buffer_load_dword v85, v81, s[0:3], 0 offen offset:4
	buffer_load_dword v86, v81, s[0:3], 0 offen
	ds_read_b64 v[83:84], v80
	v_add_nc_u32_e32 v79, 1, v79
	v_add_nc_u32_e32 v80, 8, v80
	;; [unrolled: 1-line block ×3, first 2 shown]
	v_cmp_lt_u32_e32 vcc_lo, 18, v79
	s_or_b32 s5, vcc_lo, s5
	s_waitcnt vmcnt(1) lgkmcnt(0)
	v_mul_f32_e32 v87, v84, v85
	v_mul_f32_e32 v85, v83, v85
	s_waitcnt vmcnt(0)
	v_fma_f32 v83, v83, v86, -v87
	v_fmac_f32_e32 v85, v84, v86
	v_add_f32_e32 v82, v82, v83
	v_add_f32_e32 v2, v2, v85
	s_andn2_b32 exec_lo, exec_lo, s5
	s_cbranch_execnz .LBB100_93
; %bb.94:
	s_or_b32 exec_lo, exec_lo, s5
	v_mov_b32_e32 v79, 0
	ds_read_b64 v[79:80], v79 offset:160
	s_waitcnt lgkmcnt(0)
	v_mul_f32_e32 v81, v2, v80
	v_mul_f32_e32 v80, v82, v80
	v_fma_f32 v81, v82, v79, -v81
	v_fmac_f32_e32 v80, v2, v79
	buffer_store_dword v81, off, s[0:3], 0 offset:160
	buffer_store_dword v80, off, s[0:3], 0 offset:164
.LBB100_95:
	s_or_b32 exec_lo, exec_lo, s4
	s_waitcnt_vscnt null, 0x0
	s_barrier
	buffer_gl0_inv
	s_clause 0x1
	buffer_load_dword v79, off, s[0:3], 0 offset:168
	buffer_load_dword v80, off, s[0:3], 0 offset:172
	s_mov_b32 s4, exec_lo
	s_waitcnt vmcnt(0)
	ds_write_b64 v78, v[79:80]
	s_waitcnt lgkmcnt(0)
	s_barrier
	buffer_gl0_inv
	v_cmpx_gt_u32_e32 21, v0
	s_cbranch_execz .LBB100_99
; %bb.96:
	v_add_nc_u32_e32 v79, -1, v0
	v_add_nc_u32_e32 v80, 0x130, v3
	v_mov_b32_e32 v81, v3
	v_mov_b32_e32 v2, 0
	;; [unrolled: 1-line block ×3, first 2 shown]
	s_mov_b32 s5, 0
	.p2align	6
.LBB100_97:                             ; =>This Inner Loop Header: Depth=1
	s_clause 0x1
	buffer_load_dword v85, v81, s[0:3], 0 offen offset:4
	buffer_load_dword v86, v81, s[0:3], 0 offen
	ds_read_b64 v[83:84], v80
	v_add_nc_u32_e32 v79, 1, v79
	v_add_nc_u32_e32 v80, 8, v80
	;; [unrolled: 1-line block ×3, first 2 shown]
	v_cmp_lt_u32_e32 vcc_lo, 19, v79
	s_or_b32 s5, vcc_lo, s5
	s_waitcnt vmcnt(1) lgkmcnt(0)
	v_mul_f32_e32 v87, v84, v85
	v_mul_f32_e32 v85, v83, v85
	s_waitcnt vmcnt(0)
	v_fma_f32 v83, v83, v86, -v87
	v_fmac_f32_e32 v85, v84, v86
	v_add_f32_e32 v82, v82, v83
	v_add_f32_e32 v2, v2, v85
	s_andn2_b32 exec_lo, exec_lo, s5
	s_cbranch_execnz .LBB100_97
; %bb.98:
	s_or_b32 exec_lo, exec_lo, s5
	v_mov_b32_e32 v79, 0
	ds_read_b64 v[79:80], v79 offset:168
	s_waitcnt lgkmcnt(0)
	v_mul_f32_e32 v81, v2, v80
	v_mul_f32_e32 v80, v82, v80
	v_fma_f32 v81, v82, v79, -v81
	v_fmac_f32_e32 v80, v2, v79
	buffer_store_dword v81, off, s[0:3], 0 offset:168
	buffer_store_dword v80, off, s[0:3], 0 offset:172
.LBB100_99:
	s_or_b32 exec_lo, exec_lo, s4
	s_waitcnt_vscnt null, 0x0
	s_barrier
	buffer_gl0_inv
	s_clause 0x1
	buffer_load_dword v79, off, s[0:3], 0 offset:176
	buffer_load_dword v80, off, s[0:3], 0 offset:180
	s_mov_b32 s4, exec_lo
	s_waitcnt vmcnt(0)
	ds_write_b64 v78, v[79:80]
	s_waitcnt lgkmcnt(0)
	s_barrier
	buffer_gl0_inv
	v_cmpx_gt_u32_e32 22, v0
	s_cbranch_execz .LBB100_103
; %bb.100:
	v_add_nc_u32_e32 v79, -1, v0
	v_add_nc_u32_e32 v80, 0x130, v3
	v_mov_b32_e32 v81, v3
	v_mov_b32_e32 v2, 0
	;; [unrolled: 1-line block ×3, first 2 shown]
	s_mov_b32 s5, 0
	.p2align	6
.LBB100_101:                            ; =>This Inner Loop Header: Depth=1
	s_clause 0x1
	buffer_load_dword v85, v81, s[0:3], 0 offen offset:4
	buffer_load_dword v86, v81, s[0:3], 0 offen
	ds_read_b64 v[83:84], v80
	v_add_nc_u32_e32 v79, 1, v79
	v_add_nc_u32_e32 v80, 8, v80
	;; [unrolled: 1-line block ×3, first 2 shown]
	v_cmp_lt_u32_e32 vcc_lo, 20, v79
	s_or_b32 s5, vcc_lo, s5
	s_waitcnt vmcnt(1) lgkmcnt(0)
	v_mul_f32_e32 v87, v84, v85
	v_mul_f32_e32 v85, v83, v85
	s_waitcnt vmcnt(0)
	v_fma_f32 v83, v83, v86, -v87
	v_fmac_f32_e32 v85, v84, v86
	v_add_f32_e32 v82, v82, v83
	v_add_f32_e32 v2, v2, v85
	s_andn2_b32 exec_lo, exec_lo, s5
	s_cbranch_execnz .LBB100_101
; %bb.102:
	s_or_b32 exec_lo, exec_lo, s5
	v_mov_b32_e32 v79, 0
	ds_read_b64 v[79:80], v79 offset:176
	s_waitcnt lgkmcnt(0)
	v_mul_f32_e32 v81, v2, v80
	v_mul_f32_e32 v80, v82, v80
	v_fma_f32 v81, v82, v79, -v81
	v_fmac_f32_e32 v80, v2, v79
	buffer_store_dword v81, off, s[0:3], 0 offset:176
	buffer_store_dword v80, off, s[0:3], 0 offset:180
.LBB100_103:
	s_or_b32 exec_lo, exec_lo, s4
	s_waitcnt_vscnt null, 0x0
	s_barrier
	buffer_gl0_inv
	s_clause 0x1
	buffer_load_dword v79, off, s[0:3], 0 offset:184
	buffer_load_dword v80, off, s[0:3], 0 offset:188
	s_mov_b32 s4, exec_lo
	s_waitcnt vmcnt(0)
	ds_write_b64 v78, v[79:80]
	s_waitcnt lgkmcnt(0)
	s_barrier
	buffer_gl0_inv
	v_cmpx_gt_u32_e32 23, v0
	s_cbranch_execz .LBB100_107
; %bb.104:
	v_add_nc_u32_e32 v79, -1, v0
	v_add_nc_u32_e32 v80, 0x130, v3
	v_mov_b32_e32 v81, v3
	v_mov_b32_e32 v2, 0
	;; [unrolled: 1-line block ×3, first 2 shown]
	s_mov_b32 s5, 0
	.p2align	6
.LBB100_105:                            ; =>This Inner Loop Header: Depth=1
	s_clause 0x1
	buffer_load_dword v85, v81, s[0:3], 0 offen offset:4
	buffer_load_dword v86, v81, s[0:3], 0 offen
	ds_read_b64 v[83:84], v80
	v_add_nc_u32_e32 v79, 1, v79
	v_add_nc_u32_e32 v80, 8, v80
	;; [unrolled: 1-line block ×3, first 2 shown]
	v_cmp_lt_u32_e32 vcc_lo, 21, v79
	s_or_b32 s5, vcc_lo, s5
	s_waitcnt vmcnt(1) lgkmcnt(0)
	v_mul_f32_e32 v87, v84, v85
	v_mul_f32_e32 v85, v83, v85
	s_waitcnt vmcnt(0)
	v_fma_f32 v83, v83, v86, -v87
	v_fmac_f32_e32 v85, v84, v86
	v_add_f32_e32 v82, v82, v83
	v_add_f32_e32 v2, v2, v85
	s_andn2_b32 exec_lo, exec_lo, s5
	s_cbranch_execnz .LBB100_105
; %bb.106:
	s_or_b32 exec_lo, exec_lo, s5
	v_mov_b32_e32 v79, 0
	ds_read_b64 v[79:80], v79 offset:184
	s_waitcnt lgkmcnt(0)
	v_mul_f32_e32 v81, v2, v80
	v_mul_f32_e32 v80, v82, v80
	v_fma_f32 v81, v82, v79, -v81
	v_fmac_f32_e32 v80, v2, v79
	buffer_store_dword v81, off, s[0:3], 0 offset:184
	buffer_store_dword v80, off, s[0:3], 0 offset:188
.LBB100_107:
	s_or_b32 exec_lo, exec_lo, s4
	s_waitcnt_vscnt null, 0x0
	s_barrier
	buffer_gl0_inv
	s_clause 0x1
	buffer_load_dword v79, off, s[0:3], 0 offset:192
	buffer_load_dword v80, off, s[0:3], 0 offset:196
	s_mov_b32 s4, exec_lo
	s_waitcnt vmcnt(0)
	ds_write_b64 v78, v[79:80]
	s_waitcnt lgkmcnt(0)
	s_barrier
	buffer_gl0_inv
	v_cmpx_gt_u32_e32 24, v0
	s_cbranch_execz .LBB100_111
; %bb.108:
	v_add_nc_u32_e32 v79, -1, v0
	v_add_nc_u32_e32 v80, 0x130, v3
	v_mov_b32_e32 v81, v3
	v_mov_b32_e32 v2, 0
	;; [unrolled: 1-line block ×3, first 2 shown]
	s_mov_b32 s5, 0
	.p2align	6
.LBB100_109:                            ; =>This Inner Loop Header: Depth=1
	s_clause 0x1
	buffer_load_dword v85, v81, s[0:3], 0 offen offset:4
	buffer_load_dword v86, v81, s[0:3], 0 offen
	ds_read_b64 v[83:84], v80
	v_add_nc_u32_e32 v79, 1, v79
	v_add_nc_u32_e32 v80, 8, v80
	;; [unrolled: 1-line block ×3, first 2 shown]
	v_cmp_lt_u32_e32 vcc_lo, 22, v79
	s_or_b32 s5, vcc_lo, s5
	s_waitcnt vmcnt(1) lgkmcnt(0)
	v_mul_f32_e32 v87, v84, v85
	v_mul_f32_e32 v85, v83, v85
	s_waitcnt vmcnt(0)
	v_fma_f32 v83, v83, v86, -v87
	v_fmac_f32_e32 v85, v84, v86
	v_add_f32_e32 v82, v82, v83
	v_add_f32_e32 v2, v2, v85
	s_andn2_b32 exec_lo, exec_lo, s5
	s_cbranch_execnz .LBB100_109
; %bb.110:
	s_or_b32 exec_lo, exec_lo, s5
	v_mov_b32_e32 v79, 0
	ds_read_b64 v[79:80], v79 offset:192
	s_waitcnt lgkmcnt(0)
	v_mul_f32_e32 v81, v2, v80
	v_mul_f32_e32 v80, v82, v80
	v_fma_f32 v81, v82, v79, -v81
	v_fmac_f32_e32 v80, v2, v79
	buffer_store_dword v81, off, s[0:3], 0 offset:192
	buffer_store_dword v80, off, s[0:3], 0 offset:196
.LBB100_111:
	s_or_b32 exec_lo, exec_lo, s4
	s_waitcnt_vscnt null, 0x0
	s_barrier
	buffer_gl0_inv
	s_clause 0x1
	buffer_load_dword v79, off, s[0:3], 0 offset:200
	buffer_load_dword v80, off, s[0:3], 0 offset:204
	s_mov_b32 s4, exec_lo
	s_waitcnt vmcnt(0)
	ds_write_b64 v78, v[79:80]
	s_waitcnt lgkmcnt(0)
	s_barrier
	buffer_gl0_inv
	v_cmpx_gt_u32_e32 25, v0
	s_cbranch_execz .LBB100_115
; %bb.112:
	v_add_nc_u32_e32 v79, -1, v0
	v_add_nc_u32_e32 v80, 0x130, v3
	v_mov_b32_e32 v81, v3
	v_mov_b32_e32 v2, 0
	;; [unrolled: 1-line block ×3, first 2 shown]
	s_mov_b32 s5, 0
	.p2align	6
.LBB100_113:                            ; =>This Inner Loop Header: Depth=1
	s_clause 0x1
	buffer_load_dword v85, v81, s[0:3], 0 offen offset:4
	buffer_load_dword v86, v81, s[0:3], 0 offen
	ds_read_b64 v[83:84], v80
	v_add_nc_u32_e32 v79, 1, v79
	v_add_nc_u32_e32 v80, 8, v80
	v_add_nc_u32_e32 v81, 8, v81
	v_cmp_lt_u32_e32 vcc_lo, 23, v79
	s_or_b32 s5, vcc_lo, s5
	s_waitcnt vmcnt(1) lgkmcnt(0)
	v_mul_f32_e32 v87, v84, v85
	v_mul_f32_e32 v85, v83, v85
	s_waitcnt vmcnt(0)
	v_fma_f32 v83, v83, v86, -v87
	v_fmac_f32_e32 v85, v84, v86
	v_add_f32_e32 v82, v82, v83
	v_add_f32_e32 v2, v2, v85
	s_andn2_b32 exec_lo, exec_lo, s5
	s_cbranch_execnz .LBB100_113
; %bb.114:
	s_or_b32 exec_lo, exec_lo, s5
	v_mov_b32_e32 v79, 0
	ds_read_b64 v[79:80], v79 offset:200
	s_waitcnt lgkmcnt(0)
	v_mul_f32_e32 v81, v2, v80
	v_mul_f32_e32 v80, v82, v80
	v_fma_f32 v81, v82, v79, -v81
	v_fmac_f32_e32 v80, v2, v79
	buffer_store_dword v81, off, s[0:3], 0 offset:200
	buffer_store_dword v80, off, s[0:3], 0 offset:204
.LBB100_115:
	s_or_b32 exec_lo, exec_lo, s4
	s_waitcnt_vscnt null, 0x0
	s_barrier
	buffer_gl0_inv
	s_clause 0x1
	buffer_load_dword v79, off, s[0:3], 0 offset:208
	buffer_load_dword v80, off, s[0:3], 0 offset:212
	s_mov_b32 s4, exec_lo
	s_waitcnt vmcnt(0)
	ds_write_b64 v78, v[79:80]
	s_waitcnt lgkmcnt(0)
	s_barrier
	buffer_gl0_inv
	v_cmpx_gt_u32_e32 26, v0
	s_cbranch_execz .LBB100_119
; %bb.116:
	v_add_nc_u32_e32 v79, -1, v0
	v_add_nc_u32_e32 v80, 0x130, v3
	v_mov_b32_e32 v81, v3
	v_mov_b32_e32 v2, 0
	;; [unrolled: 1-line block ×3, first 2 shown]
	s_mov_b32 s5, 0
	.p2align	6
.LBB100_117:                            ; =>This Inner Loop Header: Depth=1
	s_clause 0x1
	buffer_load_dword v85, v81, s[0:3], 0 offen offset:4
	buffer_load_dword v86, v81, s[0:3], 0 offen
	ds_read_b64 v[83:84], v80
	v_add_nc_u32_e32 v79, 1, v79
	v_add_nc_u32_e32 v80, 8, v80
	;; [unrolled: 1-line block ×3, first 2 shown]
	v_cmp_lt_u32_e32 vcc_lo, 24, v79
	s_or_b32 s5, vcc_lo, s5
	s_waitcnt vmcnt(1) lgkmcnt(0)
	v_mul_f32_e32 v87, v84, v85
	v_mul_f32_e32 v85, v83, v85
	s_waitcnt vmcnt(0)
	v_fma_f32 v83, v83, v86, -v87
	v_fmac_f32_e32 v85, v84, v86
	v_add_f32_e32 v82, v82, v83
	v_add_f32_e32 v2, v2, v85
	s_andn2_b32 exec_lo, exec_lo, s5
	s_cbranch_execnz .LBB100_117
; %bb.118:
	s_or_b32 exec_lo, exec_lo, s5
	v_mov_b32_e32 v79, 0
	ds_read_b64 v[79:80], v79 offset:208
	s_waitcnt lgkmcnt(0)
	v_mul_f32_e32 v81, v2, v80
	v_mul_f32_e32 v80, v82, v80
	v_fma_f32 v81, v82, v79, -v81
	v_fmac_f32_e32 v80, v2, v79
	buffer_store_dword v81, off, s[0:3], 0 offset:208
	buffer_store_dword v80, off, s[0:3], 0 offset:212
.LBB100_119:
	s_or_b32 exec_lo, exec_lo, s4
	s_waitcnt_vscnt null, 0x0
	s_barrier
	buffer_gl0_inv
	s_clause 0x1
	buffer_load_dword v79, off, s[0:3], 0 offset:216
	buffer_load_dword v80, off, s[0:3], 0 offset:220
	s_mov_b32 s4, exec_lo
	s_waitcnt vmcnt(0)
	ds_write_b64 v78, v[79:80]
	s_waitcnt lgkmcnt(0)
	s_barrier
	buffer_gl0_inv
	v_cmpx_gt_u32_e32 27, v0
	s_cbranch_execz .LBB100_123
; %bb.120:
	v_add_nc_u32_e32 v79, -1, v0
	v_add_nc_u32_e32 v80, 0x130, v3
	v_mov_b32_e32 v81, v3
	v_mov_b32_e32 v2, 0
	;; [unrolled: 1-line block ×3, first 2 shown]
	s_mov_b32 s5, 0
	.p2align	6
.LBB100_121:                            ; =>This Inner Loop Header: Depth=1
	s_clause 0x1
	buffer_load_dword v85, v81, s[0:3], 0 offen offset:4
	buffer_load_dword v86, v81, s[0:3], 0 offen
	ds_read_b64 v[83:84], v80
	v_add_nc_u32_e32 v79, 1, v79
	v_add_nc_u32_e32 v80, 8, v80
	;; [unrolled: 1-line block ×3, first 2 shown]
	v_cmp_lt_u32_e32 vcc_lo, 25, v79
	s_or_b32 s5, vcc_lo, s5
	s_waitcnt vmcnt(1) lgkmcnt(0)
	v_mul_f32_e32 v87, v84, v85
	v_mul_f32_e32 v85, v83, v85
	s_waitcnt vmcnt(0)
	v_fma_f32 v83, v83, v86, -v87
	v_fmac_f32_e32 v85, v84, v86
	v_add_f32_e32 v82, v82, v83
	v_add_f32_e32 v2, v2, v85
	s_andn2_b32 exec_lo, exec_lo, s5
	s_cbranch_execnz .LBB100_121
; %bb.122:
	s_or_b32 exec_lo, exec_lo, s5
	v_mov_b32_e32 v79, 0
	ds_read_b64 v[79:80], v79 offset:216
	s_waitcnt lgkmcnt(0)
	v_mul_f32_e32 v81, v2, v80
	v_mul_f32_e32 v80, v82, v80
	v_fma_f32 v81, v82, v79, -v81
	v_fmac_f32_e32 v80, v2, v79
	buffer_store_dword v81, off, s[0:3], 0 offset:216
	buffer_store_dword v80, off, s[0:3], 0 offset:220
.LBB100_123:
	s_or_b32 exec_lo, exec_lo, s4
	s_waitcnt_vscnt null, 0x0
	s_barrier
	buffer_gl0_inv
	s_clause 0x1
	buffer_load_dword v79, off, s[0:3], 0 offset:224
	buffer_load_dword v80, off, s[0:3], 0 offset:228
	s_mov_b32 s4, exec_lo
	s_waitcnt vmcnt(0)
	ds_write_b64 v78, v[79:80]
	s_waitcnt lgkmcnt(0)
	s_barrier
	buffer_gl0_inv
	v_cmpx_gt_u32_e32 28, v0
	s_cbranch_execz .LBB100_127
; %bb.124:
	v_add_nc_u32_e32 v79, -1, v0
	v_add_nc_u32_e32 v80, 0x130, v3
	v_mov_b32_e32 v81, v3
	v_mov_b32_e32 v2, 0
	;; [unrolled: 1-line block ×3, first 2 shown]
	s_mov_b32 s5, 0
	.p2align	6
.LBB100_125:                            ; =>This Inner Loop Header: Depth=1
	s_clause 0x1
	buffer_load_dword v85, v81, s[0:3], 0 offen offset:4
	buffer_load_dword v86, v81, s[0:3], 0 offen
	ds_read_b64 v[83:84], v80
	v_add_nc_u32_e32 v79, 1, v79
	v_add_nc_u32_e32 v80, 8, v80
	;; [unrolled: 1-line block ×3, first 2 shown]
	v_cmp_lt_u32_e32 vcc_lo, 26, v79
	s_or_b32 s5, vcc_lo, s5
	s_waitcnt vmcnt(1) lgkmcnt(0)
	v_mul_f32_e32 v87, v84, v85
	v_mul_f32_e32 v85, v83, v85
	s_waitcnt vmcnt(0)
	v_fma_f32 v83, v83, v86, -v87
	v_fmac_f32_e32 v85, v84, v86
	v_add_f32_e32 v82, v82, v83
	v_add_f32_e32 v2, v2, v85
	s_andn2_b32 exec_lo, exec_lo, s5
	s_cbranch_execnz .LBB100_125
; %bb.126:
	s_or_b32 exec_lo, exec_lo, s5
	v_mov_b32_e32 v79, 0
	ds_read_b64 v[79:80], v79 offset:224
	s_waitcnt lgkmcnt(0)
	v_mul_f32_e32 v81, v2, v80
	v_mul_f32_e32 v80, v82, v80
	v_fma_f32 v81, v82, v79, -v81
	v_fmac_f32_e32 v80, v2, v79
	buffer_store_dword v81, off, s[0:3], 0 offset:224
	buffer_store_dword v80, off, s[0:3], 0 offset:228
.LBB100_127:
	s_or_b32 exec_lo, exec_lo, s4
	s_waitcnt_vscnt null, 0x0
	s_barrier
	buffer_gl0_inv
	s_clause 0x1
	buffer_load_dword v79, off, s[0:3], 0 offset:232
	buffer_load_dword v80, off, s[0:3], 0 offset:236
	s_mov_b32 s4, exec_lo
	s_waitcnt vmcnt(0)
	ds_write_b64 v78, v[79:80]
	s_waitcnt lgkmcnt(0)
	s_barrier
	buffer_gl0_inv
	v_cmpx_gt_u32_e32 29, v0
	s_cbranch_execz .LBB100_131
; %bb.128:
	v_add_nc_u32_e32 v79, -1, v0
	v_add_nc_u32_e32 v80, 0x130, v3
	v_mov_b32_e32 v81, v3
	v_mov_b32_e32 v2, 0
	;; [unrolled: 1-line block ×3, first 2 shown]
	s_mov_b32 s5, 0
	.p2align	6
.LBB100_129:                            ; =>This Inner Loop Header: Depth=1
	s_clause 0x1
	buffer_load_dword v85, v81, s[0:3], 0 offen offset:4
	buffer_load_dword v86, v81, s[0:3], 0 offen
	ds_read_b64 v[83:84], v80
	v_add_nc_u32_e32 v79, 1, v79
	v_add_nc_u32_e32 v80, 8, v80
	;; [unrolled: 1-line block ×3, first 2 shown]
	v_cmp_lt_u32_e32 vcc_lo, 27, v79
	s_or_b32 s5, vcc_lo, s5
	s_waitcnt vmcnt(1) lgkmcnt(0)
	v_mul_f32_e32 v87, v84, v85
	v_mul_f32_e32 v85, v83, v85
	s_waitcnt vmcnt(0)
	v_fma_f32 v83, v83, v86, -v87
	v_fmac_f32_e32 v85, v84, v86
	v_add_f32_e32 v82, v82, v83
	v_add_f32_e32 v2, v2, v85
	s_andn2_b32 exec_lo, exec_lo, s5
	s_cbranch_execnz .LBB100_129
; %bb.130:
	s_or_b32 exec_lo, exec_lo, s5
	v_mov_b32_e32 v79, 0
	ds_read_b64 v[79:80], v79 offset:232
	s_waitcnt lgkmcnt(0)
	v_mul_f32_e32 v81, v2, v80
	v_mul_f32_e32 v80, v82, v80
	v_fma_f32 v81, v82, v79, -v81
	v_fmac_f32_e32 v80, v2, v79
	buffer_store_dword v81, off, s[0:3], 0 offset:232
	buffer_store_dword v80, off, s[0:3], 0 offset:236
.LBB100_131:
	s_or_b32 exec_lo, exec_lo, s4
	s_waitcnt_vscnt null, 0x0
	s_barrier
	buffer_gl0_inv
	s_clause 0x1
	buffer_load_dword v79, off, s[0:3], 0 offset:240
	buffer_load_dword v80, off, s[0:3], 0 offset:244
	s_mov_b32 s4, exec_lo
	s_waitcnt vmcnt(0)
	ds_write_b64 v78, v[79:80]
	s_waitcnt lgkmcnt(0)
	s_barrier
	buffer_gl0_inv
	v_cmpx_gt_u32_e32 30, v0
	s_cbranch_execz .LBB100_135
; %bb.132:
	v_add_nc_u32_e32 v79, -1, v0
	v_add_nc_u32_e32 v80, 0x130, v3
	v_mov_b32_e32 v81, v3
	v_mov_b32_e32 v2, 0
	;; [unrolled: 1-line block ×3, first 2 shown]
	s_mov_b32 s5, 0
	.p2align	6
.LBB100_133:                            ; =>This Inner Loop Header: Depth=1
	s_clause 0x1
	buffer_load_dword v85, v81, s[0:3], 0 offen offset:4
	buffer_load_dword v86, v81, s[0:3], 0 offen
	ds_read_b64 v[83:84], v80
	v_add_nc_u32_e32 v79, 1, v79
	v_add_nc_u32_e32 v80, 8, v80
	;; [unrolled: 1-line block ×3, first 2 shown]
	v_cmp_lt_u32_e32 vcc_lo, 28, v79
	s_or_b32 s5, vcc_lo, s5
	s_waitcnt vmcnt(1) lgkmcnt(0)
	v_mul_f32_e32 v87, v84, v85
	v_mul_f32_e32 v85, v83, v85
	s_waitcnt vmcnt(0)
	v_fma_f32 v83, v83, v86, -v87
	v_fmac_f32_e32 v85, v84, v86
	v_add_f32_e32 v82, v82, v83
	v_add_f32_e32 v2, v2, v85
	s_andn2_b32 exec_lo, exec_lo, s5
	s_cbranch_execnz .LBB100_133
; %bb.134:
	s_or_b32 exec_lo, exec_lo, s5
	v_mov_b32_e32 v79, 0
	ds_read_b64 v[79:80], v79 offset:240
	s_waitcnt lgkmcnt(0)
	v_mul_f32_e32 v81, v2, v80
	v_mul_f32_e32 v80, v82, v80
	v_fma_f32 v81, v82, v79, -v81
	v_fmac_f32_e32 v80, v2, v79
	buffer_store_dword v81, off, s[0:3], 0 offset:240
	buffer_store_dword v80, off, s[0:3], 0 offset:244
.LBB100_135:
	s_or_b32 exec_lo, exec_lo, s4
	s_waitcnt_vscnt null, 0x0
	s_barrier
	buffer_gl0_inv
	s_clause 0x1
	buffer_load_dword v79, off, s[0:3], 0 offset:248
	buffer_load_dword v80, off, s[0:3], 0 offset:252
	s_mov_b32 s4, exec_lo
	s_waitcnt vmcnt(0)
	ds_write_b64 v78, v[79:80]
	s_waitcnt lgkmcnt(0)
	s_barrier
	buffer_gl0_inv
	v_cmpx_gt_u32_e32 31, v0
	s_cbranch_execz .LBB100_139
; %bb.136:
	v_add_nc_u32_e32 v79, -1, v0
	v_add_nc_u32_e32 v80, 0x130, v3
	v_mov_b32_e32 v81, v3
	v_mov_b32_e32 v2, 0
	;; [unrolled: 1-line block ×3, first 2 shown]
	s_mov_b32 s5, 0
	.p2align	6
.LBB100_137:                            ; =>This Inner Loop Header: Depth=1
	s_clause 0x1
	buffer_load_dword v85, v81, s[0:3], 0 offen offset:4
	buffer_load_dword v86, v81, s[0:3], 0 offen
	ds_read_b64 v[83:84], v80
	v_add_nc_u32_e32 v79, 1, v79
	v_add_nc_u32_e32 v80, 8, v80
	;; [unrolled: 1-line block ×3, first 2 shown]
	v_cmp_lt_u32_e32 vcc_lo, 29, v79
	s_or_b32 s5, vcc_lo, s5
	s_waitcnt vmcnt(1) lgkmcnt(0)
	v_mul_f32_e32 v87, v84, v85
	v_mul_f32_e32 v85, v83, v85
	s_waitcnt vmcnt(0)
	v_fma_f32 v83, v83, v86, -v87
	v_fmac_f32_e32 v85, v84, v86
	v_add_f32_e32 v82, v82, v83
	v_add_f32_e32 v2, v2, v85
	s_andn2_b32 exec_lo, exec_lo, s5
	s_cbranch_execnz .LBB100_137
; %bb.138:
	s_or_b32 exec_lo, exec_lo, s5
	v_mov_b32_e32 v79, 0
	ds_read_b64 v[79:80], v79 offset:248
	s_waitcnt lgkmcnt(0)
	v_mul_f32_e32 v81, v2, v80
	v_mul_f32_e32 v80, v82, v80
	v_fma_f32 v81, v82, v79, -v81
	v_fmac_f32_e32 v80, v2, v79
	buffer_store_dword v81, off, s[0:3], 0 offset:248
	buffer_store_dword v80, off, s[0:3], 0 offset:252
.LBB100_139:
	s_or_b32 exec_lo, exec_lo, s4
	s_waitcnt_vscnt null, 0x0
	s_barrier
	buffer_gl0_inv
	s_clause 0x1
	buffer_load_dword v79, off, s[0:3], 0 offset:256
	buffer_load_dword v80, off, s[0:3], 0 offset:260
	s_mov_b32 s4, exec_lo
	s_waitcnt vmcnt(0)
	ds_write_b64 v78, v[79:80]
	s_waitcnt lgkmcnt(0)
	s_barrier
	buffer_gl0_inv
	v_cmpx_gt_u32_e32 32, v0
	s_cbranch_execz .LBB100_143
; %bb.140:
	v_add_nc_u32_e32 v79, -1, v0
	v_add_nc_u32_e32 v80, 0x130, v3
	v_mov_b32_e32 v81, v3
	v_mov_b32_e32 v2, 0
	;; [unrolled: 1-line block ×3, first 2 shown]
	s_mov_b32 s5, 0
	.p2align	6
.LBB100_141:                            ; =>This Inner Loop Header: Depth=1
	s_clause 0x1
	buffer_load_dword v85, v81, s[0:3], 0 offen offset:4
	buffer_load_dword v86, v81, s[0:3], 0 offen
	ds_read_b64 v[83:84], v80
	v_add_nc_u32_e32 v79, 1, v79
	v_add_nc_u32_e32 v80, 8, v80
	;; [unrolled: 1-line block ×3, first 2 shown]
	v_cmp_lt_u32_e32 vcc_lo, 30, v79
	s_or_b32 s5, vcc_lo, s5
	s_waitcnt vmcnt(1) lgkmcnt(0)
	v_mul_f32_e32 v87, v84, v85
	v_mul_f32_e32 v85, v83, v85
	s_waitcnt vmcnt(0)
	v_fma_f32 v83, v83, v86, -v87
	v_fmac_f32_e32 v85, v84, v86
	v_add_f32_e32 v82, v82, v83
	v_add_f32_e32 v2, v2, v85
	s_andn2_b32 exec_lo, exec_lo, s5
	s_cbranch_execnz .LBB100_141
; %bb.142:
	s_or_b32 exec_lo, exec_lo, s5
	v_mov_b32_e32 v79, 0
	ds_read_b64 v[79:80], v79 offset:256
	s_waitcnt lgkmcnt(0)
	v_mul_f32_e32 v81, v2, v80
	v_mul_f32_e32 v80, v82, v80
	v_fma_f32 v81, v82, v79, -v81
	v_fmac_f32_e32 v80, v2, v79
	buffer_store_dword v81, off, s[0:3], 0 offset:256
	buffer_store_dword v80, off, s[0:3], 0 offset:260
.LBB100_143:
	s_or_b32 exec_lo, exec_lo, s4
	s_waitcnt_vscnt null, 0x0
	s_barrier
	buffer_gl0_inv
	s_clause 0x1
	buffer_load_dword v79, off, s[0:3], 0 offset:264
	buffer_load_dword v80, off, s[0:3], 0 offset:268
	s_mov_b32 s4, exec_lo
	s_waitcnt vmcnt(0)
	ds_write_b64 v78, v[79:80]
	s_waitcnt lgkmcnt(0)
	s_barrier
	buffer_gl0_inv
	v_cmpx_gt_u32_e32 33, v0
	s_cbranch_execz .LBB100_147
; %bb.144:
	v_add_nc_u32_e32 v79, -1, v0
	v_add_nc_u32_e32 v80, 0x130, v3
	v_mov_b32_e32 v81, v3
	v_mov_b32_e32 v2, 0
	;; [unrolled: 1-line block ×3, first 2 shown]
	s_mov_b32 s5, 0
	.p2align	6
.LBB100_145:                            ; =>This Inner Loop Header: Depth=1
	s_clause 0x1
	buffer_load_dword v85, v81, s[0:3], 0 offen offset:4
	buffer_load_dword v86, v81, s[0:3], 0 offen
	ds_read_b64 v[83:84], v80
	v_add_nc_u32_e32 v79, 1, v79
	v_add_nc_u32_e32 v80, 8, v80
	;; [unrolled: 1-line block ×3, first 2 shown]
	v_cmp_lt_u32_e32 vcc_lo, 31, v79
	s_or_b32 s5, vcc_lo, s5
	s_waitcnt vmcnt(1) lgkmcnt(0)
	v_mul_f32_e32 v87, v84, v85
	v_mul_f32_e32 v85, v83, v85
	s_waitcnt vmcnt(0)
	v_fma_f32 v83, v83, v86, -v87
	v_fmac_f32_e32 v85, v84, v86
	v_add_f32_e32 v82, v82, v83
	v_add_f32_e32 v2, v2, v85
	s_andn2_b32 exec_lo, exec_lo, s5
	s_cbranch_execnz .LBB100_145
; %bb.146:
	s_or_b32 exec_lo, exec_lo, s5
	v_mov_b32_e32 v79, 0
	ds_read_b64 v[79:80], v79 offset:264
	s_waitcnt lgkmcnt(0)
	v_mul_f32_e32 v81, v2, v80
	v_mul_f32_e32 v80, v82, v80
	v_fma_f32 v81, v82, v79, -v81
	v_fmac_f32_e32 v80, v2, v79
	buffer_store_dword v81, off, s[0:3], 0 offset:264
	buffer_store_dword v80, off, s[0:3], 0 offset:268
.LBB100_147:
	s_or_b32 exec_lo, exec_lo, s4
	s_waitcnt_vscnt null, 0x0
	s_barrier
	buffer_gl0_inv
	s_clause 0x1
	buffer_load_dword v79, off, s[0:3], 0 offset:272
	buffer_load_dword v80, off, s[0:3], 0 offset:276
	s_mov_b32 s4, exec_lo
	s_waitcnt vmcnt(0)
	ds_write_b64 v78, v[79:80]
	s_waitcnt lgkmcnt(0)
	s_barrier
	buffer_gl0_inv
	v_cmpx_gt_u32_e32 34, v0
	s_cbranch_execz .LBB100_151
; %bb.148:
	v_add_nc_u32_e32 v79, -1, v0
	v_add_nc_u32_e32 v80, 0x130, v3
	v_mov_b32_e32 v81, v3
	v_mov_b32_e32 v2, 0
	;; [unrolled: 1-line block ×3, first 2 shown]
	s_mov_b32 s5, 0
	.p2align	6
.LBB100_149:                            ; =>This Inner Loop Header: Depth=1
	s_clause 0x1
	buffer_load_dword v85, v81, s[0:3], 0 offen offset:4
	buffer_load_dword v86, v81, s[0:3], 0 offen
	ds_read_b64 v[83:84], v80
	v_add_nc_u32_e32 v79, 1, v79
	v_add_nc_u32_e32 v80, 8, v80
	;; [unrolled: 1-line block ×3, first 2 shown]
	v_cmp_lt_u32_e32 vcc_lo, 32, v79
	s_or_b32 s5, vcc_lo, s5
	s_waitcnt vmcnt(1) lgkmcnt(0)
	v_mul_f32_e32 v87, v84, v85
	v_mul_f32_e32 v85, v83, v85
	s_waitcnt vmcnt(0)
	v_fma_f32 v83, v83, v86, -v87
	v_fmac_f32_e32 v85, v84, v86
	v_add_f32_e32 v82, v82, v83
	v_add_f32_e32 v2, v2, v85
	s_andn2_b32 exec_lo, exec_lo, s5
	s_cbranch_execnz .LBB100_149
; %bb.150:
	s_or_b32 exec_lo, exec_lo, s5
	v_mov_b32_e32 v79, 0
	ds_read_b64 v[79:80], v79 offset:272
	s_waitcnt lgkmcnt(0)
	v_mul_f32_e32 v81, v2, v80
	v_mul_f32_e32 v80, v82, v80
	v_fma_f32 v81, v82, v79, -v81
	v_fmac_f32_e32 v80, v2, v79
	buffer_store_dword v81, off, s[0:3], 0 offset:272
	buffer_store_dword v80, off, s[0:3], 0 offset:276
.LBB100_151:
	s_or_b32 exec_lo, exec_lo, s4
	s_waitcnt_vscnt null, 0x0
	s_barrier
	buffer_gl0_inv
	s_clause 0x1
	buffer_load_dword v79, off, s[0:3], 0 offset:280
	buffer_load_dword v80, off, s[0:3], 0 offset:284
	s_mov_b32 s4, exec_lo
	s_waitcnt vmcnt(0)
	ds_write_b64 v78, v[79:80]
	s_waitcnt lgkmcnt(0)
	s_barrier
	buffer_gl0_inv
	v_cmpx_gt_u32_e32 35, v0
	s_cbranch_execz .LBB100_155
; %bb.152:
	v_add_nc_u32_e32 v79, -1, v0
	v_add_nc_u32_e32 v80, 0x130, v3
	v_mov_b32_e32 v81, v3
	v_mov_b32_e32 v2, 0
	;; [unrolled: 1-line block ×3, first 2 shown]
	s_mov_b32 s5, 0
	.p2align	6
.LBB100_153:                            ; =>This Inner Loop Header: Depth=1
	s_clause 0x1
	buffer_load_dword v85, v81, s[0:3], 0 offen offset:4
	buffer_load_dword v86, v81, s[0:3], 0 offen
	ds_read_b64 v[83:84], v80
	v_add_nc_u32_e32 v79, 1, v79
	v_add_nc_u32_e32 v80, 8, v80
	;; [unrolled: 1-line block ×3, first 2 shown]
	v_cmp_lt_u32_e32 vcc_lo, 33, v79
	s_or_b32 s5, vcc_lo, s5
	s_waitcnt vmcnt(1) lgkmcnt(0)
	v_mul_f32_e32 v87, v84, v85
	v_mul_f32_e32 v85, v83, v85
	s_waitcnt vmcnt(0)
	v_fma_f32 v83, v83, v86, -v87
	v_fmac_f32_e32 v85, v84, v86
	v_add_f32_e32 v82, v82, v83
	v_add_f32_e32 v2, v2, v85
	s_andn2_b32 exec_lo, exec_lo, s5
	s_cbranch_execnz .LBB100_153
; %bb.154:
	s_or_b32 exec_lo, exec_lo, s5
	v_mov_b32_e32 v79, 0
	ds_read_b64 v[79:80], v79 offset:280
	s_waitcnt lgkmcnt(0)
	v_mul_f32_e32 v81, v2, v80
	v_mul_f32_e32 v80, v82, v80
	v_fma_f32 v81, v82, v79, -v81
	v_fmac_f32_e32 v80, v2, v79
	buffer_store_dword v81, off, s[0:3], 0 offset:280
	buffer_store_dword v80, off, s[0:3], 0 offset:284
.LBB100_155:
	s_or_b32 exec_lo, exec_lo, s4
	s_waitcnt_vscnt null, 0x0
	s_barrier
	buffer_gl0_inv
	s_clause 0x1
	buffer_load_dword v79, off, s[0:3], 0 offset:288
	buffer_load_dword v80, off, s[0:3], 0 offset:292
	s_mov_b32 s4, exec_lo
	s_waitcnt vmcnt(0)
	ds_write_b64 v78, v[79:80]
	s_waitcnt lgkmcnt(0)
	s_barrier
	buffer_gl0_inv
	v_cmpx_ne_u32_e32 36, v0
	s_cbranch_execz .LBB100_159
; %bb.156:
	v_mov_b32_e32 v2, 0
	v_mov_b32_e32 v79, 0
	s_mov_b32 s5, 0
	.p2align	6
.LBB100_157:                            ; =>This Inner Loop Header: Depth=1
	s_clause 0x1
	buffer_load_dword v82, v3, s[0:3], 0 offen offset:4
	buffer_load_dword v83, v3, s[0:3], 0 offen
	ds_read_b64 v[80:81], v78
	v_add_nc_u32_e32 v1, 1, v1
	v_add_nc_u32_e32 v78, 8, v78
	;; [unrolled: 1-line block ×3, first 2 shown]
	v_cmp_lt_u32_e32 vcc_lo, 34, v1
	s_or_b32 s5, vcc_lo, s5
	s_waitcnt vmcnt(1) lgkmcnt(0)
	v_mul_f32_e32 v84, v81, v82
	v_mul_f32_e32 v82, v80, v82
	s_waitcnt vmcnt(0)
	v_fma_f32 v80, v80, v83, -v84
	v_fmac_f32_e32 v82, v81, v83
	v_add_f32_e32 v79, v79, v80
	v_add_f32_e32 v2, v2, v82
	s_andn2_b32 exec_lo, exec_lo, s5
	s_cbranch_execnz .LBB100_157
; %bb.158:
	s_or_b32 exec_lo, exec_lo, s5
	v_mov_b32_e32 v1, 0
	ds_read_b64 v[80:81], v1 offset:288
	s_waitcnt lgkmcnt(0)
	v_mul_f32_e32 v1, v2, v81
	v_mul_f32_e32 v3, v79, v81
	v_fma_f32 v1, v79, v80, -v1
	v_fmac_f32_e32 v3, v2, v80
	buffer_store_dword v1, off, s[0:3], 0 offset:288
	buffer_store_dword v3, off, s[0:3], 0 offset:292
.LBB100_159:
	s_or_b32 exec_lo, exec_lo, s4
	s_mov_b32 s5, -1
	s_waitcnt_vscnt null, 0x0
	s_barrier
	buffer_gl0_inv
.LBB100_160:
	s_and_b32 vcc_lo, exec_lo, s5
	s_cbranch_vccz .LBB100_162
; %bb.161:
	s_lshl_b64 s[4:5], s[6:7], 2
	v_mov_b32_e32 v1, 0
	s_add_u32 s4, s10, s4
	s_addc_u32 s5, s11, s5
	global_load_dword v1, v1, s[4:5]
	s_waitcnt vmcnt(0)
	v_cmp_ne_u32_e32 vcc_lo, 0, v1
	s_cbranch_vccz .LBB100_163
.LBB100_162:
	s_endpgm
.LBB100_163:
	v_lshl_add_u32 v1, v0, 3, 0x130
	s_mov_b32 s4, exec_lo
	v_cmpx_eq_u32_e32 36, v0
	s_cbranch_execz .LBB100_165
; %bb.164:
	s_clause 0x1
	buffer_load_dword v2, off, s[0:3], 0 offset:280
	buffer_load_dword v3, off, s[0:3], 0 offset:284
	v_mov_b32_e32 v78, 0
	buffer_store_dword v78, off, s[0:3], 0 offset:280
	buffer_store_dword v78, off, s[0:3], 0 offset:284
	s_waitcnt vmcnt(0)
	ds_write_b64 v1, v[2:3]
.LBB100_165:
	s_or_b32 exec_lo, exec_lo, s4
	s_waitcnt lgkmcnt(0)
	s_waitcnt_vscnt null, 0x0
	s_barrier
	buffer_gl0_inv
	s_clause 0x3
	buffer_load_dword v3, off, s[0:3], 0 offset:292
	buffer_load_dword v80, off, s[0:3], 0 offset:288
	;; [unrolled: 1-line block ×4, first 2 shown]
	v_mov_b32_e32 v2, 0
	s_mov_b32 s4, exec_lo
	ds_read_b64 v[78:79], v2 offset:592
	s_waitcnt vmcnt(3) lgkmcnt(0)
	v_mul_f32_e32 v83, v79, v3
	v_mul_f32_e32 v3, v78, v3
	s_waitcnt vmcnt(2)
	v_fma_f32 v78, v78, v80, -v83
	v_fmac_f32_e32 v3, v79, v80
	v_add_f32_e32 v78, 0, v78
	v_add_f32_e32 v3, 0, v3
	s_waitcnt vmcnt(1)
	v_sub_f32_e32 v78, v81, v78
	s_waitcnt vmcnt(0)
	v_sub_f32_e32 v3, v82, v3
	buffer_store_dword v78, off, s[0:3], 0 offset:280
	buffer_store_dword v3, off, s[0:3], 0 offset:284
	v_cmpx_lt_u32_e32 34, v0
	s_cbranch_execz .LBB100_167
; %bb.166:
	s_clause 0x1
	buffer_load_dword v78, off, s[0:3], 0 offset:272
	buffer_load_dword v79, off, s[0:3], 0 offset:276
	buffer_store_dword v2, off, s[0:3], 0 offset:272
	buffer_store_dword v2, off, s[0:3], 0 offset:276
	s_waitcnt vmcnt(0)
	ds_write_b64 v1, v[78:79]
.LBB100_167:
	s_or_b32 exec_lo, exec_lo, s4
	s_waitcnt lgkmcnt(0)
	s_waitcnt_vscnt null, 0x0
	s_barrier
	buffer_gl0_inv
	s_clause 0x5
	buffer_load_dword v3, off, s[0:3], 0 offset:284
	buffer_load_dword v82, off, s[0:3], 0 offset:292
	;; [unrolled: 1-line block ×6, first 2 shown]
	ds_read2_b64 v[78:81], v2 offset0:73 offset1:74
	s_mov_b32 s4, exec_lo
	s_waitcnt vmcnt(5) lgkmcnt(0)
	v_mul_f32_e32 v2, v79, v3
	v_mul_f32_e32 v3, v78, v3
	s_waitcnt vmcnt(4)
	v_mul_f32_e32 v87, v80, v82
	v_mul_f32_e32 v82, v81, v82
	s_waitcnt vmcnt(3)
	v_fma_f32 v2, v78, v83, -v2
	v_fmac_f32_e32 v3, v79, v83
	s_waitcnt vmcnt(2)
	v_fmac_f32_e32 v87, v81, v84
	v_fma_f32 v78, v80, v84, -v82
	v_add_f32_e32 v2, 0, v2
	v_add_f32_e32 v3, 0, v3
	;; [unrolled: 1-line block ×4, first 2 shown]
	s_waitcnt vmcnt(1)
	v_sub_f32_e32 v2, v85, v2
	s_waitcnt vmcnt(0)
	v_sub_f32_e32 v3, v86, v3
	buffer_store_dword v2, off, s[0:3], 0 offset:272
	buffer_store_dword v3, off, s[0:3], 0 offset:276
	v_cmpx_lt_u32_e32 33, v0
	s_cbranch_execz .LBB100_169
; %bb.168:
	s_clause 0x1
	buffer_load_dword v2, off, s[0:3], 0 offset:264
	buffer_load_dword v3, off, s[0:3], 0 offset:268
	v_mov_b32_e32 v78, 0
	buffer_store_dword v78, off, s[0:3], 0 offset:264
	buffer_store_dword v78, off, s[0:3], 0 offset:268
	s_waitcnt vmcnt(0)
	ds_write_b64 v1, v[2:3]
.LBB100_169:
	s_or_b32 exec_lo, exec_lo, s4
	s_waitcnt lgkmcnt(0)
	s_waitcnt_vscnt null, 0x0
	s_barrier
	buffer_gl0_inv
	s_clause 0x7
	buffer_load_dword v3, off, s[0:3], 0 offset:276
	buffer_load_dword v84, off, s[0:3], 0 offset:284
	;; [unrolled: 1-line block ×8, first 2 shown]
	v_mov_b32_e32 v2, 0
	ds_read_b128 v[78:81], v2 offset:576
	ds_read_b64 v[82:83], v2 offset:592
	s_mov_b32 s4, exec_lo
	s_waitcnt vmcnt(7) lgkmcnt(1)
	v_mul_f32_e32 v91, v79, v3
	v_mul_f32_e32 v3, v78, v3
	s_waitcnt vmcnt(6)
	v_mul_f32_e32 v92, v80, v84
	v_mul_f32_e32 v84, v81, v84
	s_waitcnt vmcnt(5) lgkmcnt(0)
	v_mul_f32_e32 v93, v82, v85
	s_waitcnt vmcnt(4)
	v_fma_f32 v78, v78, v86, -v91
	v_fmac_f32_e32 v3, v79, v86
	v_mul_f32_e32 v79, v83, v85
	s_waitcnt vmcnt(3)
	v_fma_f32 v80, v80, v87, -v84
	v_fmac_f32_e32 v92, v81, v87
	v_add_f32_e32 v78, 0, v78
	v_add_f32_e32 v3, 0, v3
	s_waitcnt vmcnt(2)
	v_fma_f32 v79, v82, v88, -v79
	v_fmac_f32_e32 v93, v83, v88
	v_add_f32_e32 v78, v78, v80
	v_add_f32_e32 v3, v3, v92
	;; [unrolled: 1-line block ×4, first 2 shown]
	s_waitcnt vmcnt(1)
	v_sub_f32_e32 v78, v89, v78
	s_waitcnt vmcnt(0)
	v_sub_f32_e32 v3, v90, v3
	buffer_store_dword v78, off, s[0:3], 0 offset:264
	buffer_store_dword v3, off, s[0:3], 0 offset:268
	v_cmpx_lt_u32_e32 32, v0
	s_cbranch_execz .LBB100_171
; %bb.170:
	s_clause 0x1
	buffer_load_dword v78, off, s[0:3], 0 offset:256
	buffer_load_dword v79, off, s[0:3], 0 offset:260
	buffer_store_dword v2, off, s[0:3], 0 offset:256
	buffer_store_dword v2, off, s[0:3], 0 offset:260
	s_waitcnt vmcnt(0)
	ds_write_b64 v1, v[78:79]
.LBB100_171:
	s_or_b32 exec_lo, exec_lo, s4
	s_waitcnt lgkmcnt(0)
	s_waitcnt_vscnt null, 0x0
	s_barrier
	buffer_gl0_inv
	s_clause 0x9
	buffer_load_dword v3, off, s[0:3], 0 offset:268
	buffer_load_dword v86, off, s[0:3], 0 offset:276
	;; [unrolled: 1-line block ×10, first 2 shown]
	ds_read2_b64 v[78:81], v2 offset0:71 offset1:72
	ds_read2_b64 v[82:85], v2 offset0:73 offset1:74
	s_mov_b32 s4, exec_lo
	s_waitcnt vmcnt(9) lgkmcnt(1)
	v_mul_f32_e32 v2, v78, v3
	v_mul_f32_e32 v3, v79, v3
	s_waitcnt vmcnt(8)
	v_mul_f32_e32 v95, v80, v86
	v_mul_f32_e32 v86, v81, v86
	s_waitcnt vmcnt(7) lgkmcnt(0)
	v_mul_f32_e32 v96, v82, v87
	s_waitcnt vmcnt(5)
	v_fmac_f32_e32 v2, v79, v89
	v_fma_f32 v3, v78, v89, -v3
	v_mul_f32_e32 v78, v83, v87
	s_waitcnt vmcnt(4)
	v_fma_f32 v79, v80, v90, -v86
	v_fmac_f32_e32 v95, v81, v90
	v_add_f32_e32 v2, 0, v2
	v_add_f32_e32 v3, 0, v3
	v_mul_f32_e32 v80, v85, v88
	s_waitcnt vmcnt(3)
	v_fma_f32 v78, v82, v91, -v78
	v_mul_f32_e32 v97, v84, v88
	v_fmac_f32_e32 v96, v83, v91
	v_add_f32_e32 v3, v3, v79
	v_add_f32_e32 v2, v2, v95
	s_waitcnt vmcnt(2)
	v_fma_f32 v79, v84, v92, -v80
	v_fmac_f32_e32 v97, v85, v92
	v_add_f32_e32 v3, v3, v78
	v_add_f32_e32 v2, v2, v96
	v_add_f32_e32 v3, v3, v79
	v_add_f32_e32 v2, v2, v97
	s_waitcnt vmcnt(1)
	v_sub_f32_e32 v3, v93, v3
	s_waitcnt vmcnt(0)
	v_sub_f32_e32 v2, v94, v2
	buffer_store_dword v3, off, s[0:3], 0 offset:256
	buffer_store_dword v2, off, s[0:3], 0 offset:260
	v_cmpx_lt_u32_e32 31, v0
	s_cbranch_execz .LBB100_173
; %bb.172:
	s_clause 0x1
	buffer_load_dword v2, off, s[0:3], 0 offset:248
	buffer_load_dword v3, off, s[0:3], 0 offset:252
	v_mov_b32_e32 v78, 0
	buffer_store_dword v78, off, s[0:3], 0 offset:248
	buffer_store_dword v78, off, s[0:3], 0 offset:252
	s_waitcnt vmcnt(0)
	ds_write_b64 v1, v[2:3]
.LBB100_173:
	s_or_b32 exec_lo, exec_lo, s4
	s_waitcnt lgkmcnt(0)
	s_waitcnt_vscnt null, 0x0
	s_barrier
	buffer_gl0_inv
	s_clause 0xb
	buffer_load_dword v3, off, s[0:3], 0 offset:260
	buffer_load_dword v88, off, s[0:3], 0 offset:268
	buffer_load_dword v89, off, s[0:3], 0 offset:276
	buffer_load_dword v90, off, s[0:3], 0 offset:284
	buffer_load_dword v91, off, s[0:3], 0 offset:292
	buffer_load_dword v92, off, s[0:3], 0 offset:256
	buffer_load_dword v93, off, s[0:3], 0 offset:264
	buffer_load_dword v94, off, s[0:3], 0 offset:272
	buffer_load_dword v95, off, s[0:3], 0 offset:280
	buffer_load_dword v96, off, s[0:3], 0 offset:288
	buffer_load_dword v97, off, s[0:3], 0 offset:248
	buffer_load_dword v98, off, s[0:3], 0 offset:252
	v_mov_b32_e32 v2, 0
	ds_read_b128 v[78:81], v2 offset:560
	ds_read_b128 v[82:85], v2 offset:576
	ds_read_b64 v[86:87], v2 offset:592
	s_mov_b32 s4, exec_lo
	s_waitcnt vmcnt(11) lgkmcnt(2)
	v_mul_f32_e32 v99, v78, v3
	v_mul_f32_e32 v3, v79, v3
	s_waitcnt vmcnt(10)
	v_mul_f32_e32 v100, v80, v88
	v_mul_f32_e32 v88, v81, v88
	s_waitcnt vmcnt(9) lgkmcnt(1)
	v_mul_f32_e32 v101, v82, v89
	s_waitcnt vmcnt(6)
	v_fmac_f32_e32 v99, v79, v92
	v_fma_f32 v3, v78, v92, -v3
	v_mul_f32_e32 v78, v83, v89
	s_waitcnt vmcnt(5)
	v_fma_f32 v79, v80, v93, -v88
	v_fmac_f32_e32 v100, v81, v93
	v_add_f32_e32 v80, 0, v99
	v_add_f32_e32 v3, 0, v3
	v_mul_f32_e32 v81, v85, v90
	s_waitcnt vmcnt(4)
	v_fma_f32 v78, v82, v94, -v78
	v_mul_f32_e32 v102, v84, v90
	v_fmac_f32_e32 v101, v83, v94
	v_add_f32_e32 v3, v3, v79
	v_add_f32_e32 v79, v80, v100
	s_waitcnt lgkmcnt(0)
	v_mul_f32_e32 v80, v87, v91
	s_waitcnt vmcnt(3)
	v_fma_f32 v81, v84, v95, -v81
	v_mul_f32_e32 v103, v86, v91
	v_add_f32_e32 v3, v3, v78
	v_fmac_f32_e32 v102, v85, v95
	v_add_f32_e32 v78, v79, v101
	s_waitcnt vmcnt(2)
	v_fma_f32 v79, v86, v96, -v80
	v_fmac_f32_e32 v103, v87, v96
	v_add_f32_e32 v3, v3, v81
	v_add_f32_e32 v78, v78, v102
	;; [unrolled: 1-line block ×4, first 2 shown]
	s_waitcnt vmcnt(1)
	v_sub_f32_e32 v3, v97, v3
	s_waitcnt vmcnt(0)
	v_sub_f32_e32 v78, v98, v78
	buffer_store_dword v3, off, s[0:3], 0 offset:248
	buffer_store_dword v78, off, s[0:3], 0 offset:252
	v_cmpx_lt_u32_e32 30, v0
	s_cbranch_execz .LBB100_175
; %bb.174:
	s_clause 0x1
	buffer_load_dword v78, off, s[0:3], 0 offset:240
	buffer_load_dword v79, off, s[0:3], 0 offset:244
	buffer_store_dword v2, off, s[0:3], 0 offset:240
	buffer_store_dword v2, off, s[0:3], 0 offset:244
	s_waitcnt vmcnt(0)
	ds_write_b64 v1, v[78:79]
.LBB100_175:
	s_or_b32 exec_lo, exec_lo, s4
	s_waitcnt lgkmcnt(0)
	s_waitcnt_vscnt null, 0x0
	s_barrier
	buffer_gl0_inv
	s_clause 0xd
	buffer_load_dword v3, off, s[0:3], 0 offset:252
	buffer_load_dword v90, off, s[0:3], 0 offset:260
	;; [unrolled: 1-line block ×14, first 2 shown]
	ds_read2_b64 v[78:81], v2 offset0:69 offset1:70
	ds_read2_b64 v[82:85], v2 offset0:71 offset1:72
	;; [unrolled: 1-line block ×3, first 2 shown]
	s_mov_b32 s4, exec_lo
	s_waitcnt vmcnt(13) lgkmcnt(2)
	v_mul_f32_e32 v2, v78, v3
	v_mul_f32_e32 v3, v79, v3
	s_waitcnt vmcnt(12)
	v_mul_f32_e32 v103, v80, v90
	v_mul_f32_e32 v90, v81, v90
	s_waitcnt vmcnt(11) lgkmcnt(1)
	v_mul_f32_e32 v104, v82, v91
	s_waitcnt vmcnt(10)
	v_mul_f32_e32 v105, v84, v92
	s_waitcnt vmcnt(7)
	v_fma_f32 v3, v78, v95, -v3
	v_fmac_f32_e32 v2, v79, v95
	v_mul_f32_e32 v78, v83, v91
	s_waitcnt vmcnt(6)
	v_fma_f32 v79, v80, v96, -v90
	v_fmac_f32_e32 v103, v81, v96
	v_add_f32_e32 v3, 0, v3
	v_add_f32_e32 v2, 0, v2
	v_mul_f32_e32 v80, v85, v92
	s_waitcnt vmcnt(5)
	v_fma_f32 v78, v82, v97, -v78
	v_fmac_f32_e32 v104, v83, v97
	v_add_f32_e32 v3, v3, v79
	v_add_f32_e32 v2, v2, v103
	s_waitcnt lgkmcnt(0)
	v_mul_f32_e32 v79, v87, v93
	s_waitcnt vmcnt(4)
	v_fma_f32 v80, v84, v98, -v80
	v_mul_f32_e32 v106, v86, v93
	v_add_f32_e32 v3, v3, v78
	v_fmac_f32_e32 v105, v85, v98
	v_add_f32_e32 v2, v2, v104
	v_mul_f32_e32 v78, v89, v94
	s_waitcnt vmcnt(3)
	v_fma_f32 v79, v86, v99, -v79
	v_add_f32_e32 v3, v3, v80
	v_mul_f32_e32 v107, v88, v94
	v_fmac_f32_e32 v106, v87, v99
	v_add_f32_e32 v2, v2, v105
	s_waitcnt vmcnt(2)
	v_fma_f32 v78, v88, v100, -v78
	v_add_f32_e32 v3, v3, v79
	v_fmac_f32_e32 v107, v89, v100
	v_add_f32_e32 v2, v2, v106
	v_add_f32_e32 v3, v3, v78
	;; [unrolled: 1-line block ×3, first 2 shown]
	s_waitcnt vmcnt(1)
	v_sub_f32_e32 v3, v101, v3
	s_waitcnt vmcnt(0)
	v_sub_f32_e32 v2, v102, v2
	buffer_store_dword v3, off, s[0:3], 0 offset:240
	buffer_store_dword v2, off, s[0:3], 0 offset:244
	v_cmpx_lt_u32_e32 29, v0
	s_cbranch_execz .LBB100_177
; %bb.176:
	s_clause 0x1
	buffer_load_dword v2, off, s[0:3], 0 offset:232
	buffer_load_dword v3, off, s[0:3], 0 offset:236
	v_mov_b32_e32 v78, 0
	buffer_store_dword v78, off, s[0:3], 0 offset:232
	buffer_store_dword v78, off, s[0:3], 0 offset:236
	s_waitcnt vmcnt(0)
	ds_write_b64 v1, v[2:3]
.LBB100_177:
	s_or_b32 exec_lo, exec_lo, s4
	s_waitcnt lgkmcnt(0)
	s_waitcnt_vscnt null, 0x0
	s_barrier
	buffer_gl0_inv
	s_clause 0xf
	buffer_load_dword v3, off, s[0:3], 0 offset:244
	buffer_load_dword v92, off, s[0:3], 0 offset:252
	;; [unrolled: 1-line block ×16, first 2 shown]
	v_mov_b32_e32 v2, 0
	ds_read_b128 v[78:81], v2 offset:544
	ds_read_b128 v[82:85], v2 offset:560
	;; [unrolled: 1-line block ×3, first 2 shown]
	ds_read_b64 v[90:91], v2 offset:592
	s_mov_b32 s4, exec_lo
	s_waitcnt vmcnt(15) lgkmcnt(3)
	v_mul_f32_e32 v107, v78, v3
	v_mul_f32_e32 v3, v79, v3
	s_waitcnt vmcnt(14)
	v_mul_f32_e32 v108, v80, v92
	v_mul_f32_e32 v92, v81, v92
	s_waitcnt vmcnt(13) lgkmcnt(2)
	v_mul_f32_e32 v109, v82, v93
	s_waitcnt vmcnt(12)
	v_mul_f32_e32 v110, v84, v94
	s_waitcnt vmcnt(11) lgkmcnt(1)
	v_mul_f32_e32 v111, v86, v95
	s_waitcnt vmcnt(8)
	v_fma_f32 v3, v78, v98, -v3
	v_fmac_f32_e32 v107, v79, v98
	v_mul_f32_e32 v78, v83, v93
	s_waitcnt vmcnt(7)
	v_fma_f32 v79, v80, v99, -v92
	v_fmac_f32_e32 v108, v81, v99
	v_add_f32_e32 v3, 0, v3
	v_add_f32_e32 v80, 0, v107
	v_mul_f32_e32 v81, v85, v94
	s_waitcnt vmcnt(6)
	v_fma_f32 v78, v82, v100, -v78
	v_fmac_f32_e32 v109, v83, v100
	v_add_f32_e32 v3, v3, v79
	v_add_f32_e32 v79, v80, v108
	;; [unrolled: 6-line block ×3, first 2 shown]
	v_mul_f32_e32 v79, v89, v96
	s_waitcnt vmcnt(4)
	v_fma_f32 v80, v86, v102, -v80
	v_mul_f32_e32 v112, v88, v96
	v_add_f32_e32 v3, v3, v81
	v_fmac_f32_e32 v111, v87, v102
	v_add_f32_e32 v78, v78, v110
	s_waitcnt lgkmcnt(0)
	v_mul_f32_e32 v81, v91, v97
	s_waitcnt vmcnt(3)
	v_fma_f32 v79, v88, v103, -v79
	v_add_f32_e32 v3, v3, v80
	v_mul_f32_e32 v113, v90, v97
	v_fmac_f32_e32 v112, v89, v103
	v_add_f32_e32 v78, v78, v111
	s_waitcnt vmcnt(2)
	v_fma_f32 v80, v90, v104, -v81
	v_add_f32_e32 v3, v3, v79
	v_fmac_f32_e32 v113, v91, v104
	v_add_f32_e32 v78, v78, v112
	v_add_f32_e32 v3, v3, v80
	;; [unrolled: 1-line block ×3, first 2 shown]
	s_waitcnt vmcnt(1)
	v_sub_f32_e32 v3, v105, v3
	s_waitcnt vmcnt(0)
	v_sub_f32_e32 v78, v106, v78
	buffer_store_dword v3, off, s[0:3], 0 offset:232
	buffer_store_dword v78, off, s[0:3], 0 offset:236
	v_cmpx_lt_u32_e32 28, v0
	s_cbranch_execz .LBB100_179
; %bb.178:
	s_clause 0x1
	buffer_load_dword v78, off, s[0:3], 0 offset:224
	buffer_load_dword v79, off, s[0:3], 0 offset:228
	buffer_store_dword v2, off, s[0:3], 0 offset:224
	buffer_store_dword v2, off, s[0:3], 0 offset:228
	s_waitcnt vmcnt(0)
	ds_write_b64 v1, v[78:79]
.LBB100_179:
	s_or_b32 exec_lo, exec_lo, s4
	s_waitcnt lgkmcnt(0)
	s_waitcnt_vscnt null, 0x0
	s_barrier
	buffer_gl0_inv
	s_clause 0x11
	buffer_load_dword v3, off, s[0:3], 0 offset:236
	buffer_load_dword v94, off, s[0:3], 0 offset:244
	;; [unrolled: 1-line block ×18, first 2 shown]
	ds_read2_b64 v[78:81], v2 offset0:67 offset1:68
	ds_read2_b64 v[82:85], v2 offset0:69 offset1:70
	;; [unrolled: 1-line block ×4, first 2 shown]
	s_mov_b32 s4, exec_lo
	s_waitcnt vmcnt(17) lgkmcnt(3)
	v_mul_f32_e32 v2, v78, v3
	v_mul_f32_e32 v3, v79, v3
	s_waitcnt vmcnt(16)
	v_mul_f32_e32 v111, v80, v94
	v_mul_f32_e32 v94, v81, v94
	s_waitcnt vmcnt(15) lgkmcnt(2)
	v_mul_f32_e32 v112, v82, v95
	s_waitcnt vmcnt(14)
	v_mul_f32_e32 v113, v84, v96
	s_waitcnt vmcnt(13) lgkmcnt(1)
	v_mul_f32_e32 v114, v86, v97
	s_waitcnt vmcnt(12)
	v_mul_f32_e32 v115, v88, v98
	s_waitcnt vmcnt(9)
	v_fma_f32 v3, v78, v101, -v3
	v_fmac_f32_e32 v2, v79, v101
	v_mul_f32_e32 v78, v83, v95
	s_waitcnt vmcnt(8)
	v_fma_f32 v79, v80, v102, -v94
	v_fmac_f32_e32 v111, v81, v102
	v_add_f32_e32 v3, 0, v3
	v_add_f32_e32 v2, 0, v2
	v_mul_f32_e32 v80, v85, v96
	s_waitcnt vmcnt(7)
	v_fma_f32 v78, v82, v103, -v78
	v_fmac_f32_e32 v112, v83, v103
	v_add_f32_e32 v3, v3, v79
	v_add_f32_e32 v2, v2, v111
	;; [unrolled: 6-line block ×4, first 2 shown]
	s_waitcnt lgkmcnt(0)
	v_mul_f32_e32 v80, v91, v99
	s_waitcnt vmcnt(4)
	v_fma_f32 v78, v88, v106, -v78
	v_mul_f32_e32 v116, v90, v99
	v_add_f32_e32 v3, v3, v79
	v_fmac_f32_e32 v115, v89, v106
	v_add_f32_e32 v2, v2, v114
	v_mul_f32_e32 v79, v93, v100
	s_waitcnt vmcnt(3)
	v_fma_f32 v80, v90, v107, -v80
	v_add_f32_e32 v3, v3, v78
	v_mul_f32_e32 v117, v92, v100
	v_fmac_f32_e32 v116, v91, v107
	v_add_f32_e32 v2, v2, v115
	s_waitcnt vmcnt(2)
	v_fma_f32 v78, v92, v108, -v79
	v_add_f32_e32 v3, v3, v80
	v_fmac_f32_e32 v117, v93, v108
	v_add_f32_e32 v2, v2, v116
	v_add_f32_e32 v3, v3, v78
	;; [unrolled: 1-line block ×3, first 2 shown]
	s_waitcnt vmcnt(1)
	v_sub_f32_e32 v3, v109, v3
	s_waitcnt vmcnt(0)
	v_sub_f32_e32 v2, v110, v2
	buffer_store_dword v3, off, s[0:3], 0 offset:224
	buffer_store_dword v2, off, s[0:3], 0 offset:228
	v_cmpx_lt_u32_e32 27, v0
	s_cbranch_execz .LBB100_181
; %bb.180:
	s_clause 0x1
	buffer_load_dword v2, off, s[0:3], 0 offset:216
	buffer_load_dword v3, off, s[0:3], 0 offset:220
	v_mov_b32_e32 v78, 0
	buffer_store_dword v78, off, s[0:3], 0 offset:216
	buffer_store_dword v78, off, s[0:3], 0 offset:220
	s_waitcnt vmcnt(0)
	ds_write_b64 v1, v[2:3]
.LBB100_181:
	s_or_b32 exec_lo, exec_lo, s4
	s_waitcnt lgkmcnt(0)
	s_waitcnt_vscnt null, 0x0
	s_barrier
	buffer_gl0_inv
	s_clause 0x13
	buffer_load_dword v3, off, s[0:3], 0 offset:228
	buffer_load_dword v96, off, s[0:3], 0 offset:236
	;; [unrolled: 1-line block ×20, first 2 shown]
	v_mov_b32_e32 v2, 0
	ds_read_b128 v[78:81], v2 offset:528
	ds_read_b128 v[82:85], v2 offset:544
	;; [unrolled: 1-line block ×4, first 2 shown]
	ds_read_b64 v[94:95], v2 offset:592
	s_mov_b32 s4, exec_lo
	s_waitcnt vmcnt(19) lgkmcnt(4)
	v_mul_f32_e32 v115, v78, v3
	v_mul_f32_e32 v3, v79, v3
	s_waitcnt vmcnt(18)
	v_mul_f32_e32 v116, v80, v96
	v_mul_f32_e32 v96, v81, v96
	s_waitcnt vmcnt(17) lgkmcnt(3)
	v_mul_f32_e32 v117, v82, v97
	s_waitcnt vmcnt(16)
	v_mul_f32_e32 v118, v84, v98
	s_waitcnt vmcnt(15) lgkmcnt(2)
	v_mul_f32_e32 v119, v86, v99
	s_waitcnt vmcnt(14)
	;; [unrolled: 4-line block ×3, first 2 shown]
	v_fma_f32 v3, v78, v104, -v3
	v_fmac_f32_e32 v115, v79, v104
	v_mul_f32_e32 v78, v83, v97
	s_waitcnt vmcnt(9)
	v_fma_f32 v79, v80, v105, -v96
	v_fmac_f32_e32 v116, v81, v105
	v_add_f32_e32 v3, 0, v3
	v_add_f32_e32 v80, 0, v115
	v_mul_f32_e32 v81, v85, v98
	s_waitcnt vmcnt(8)
	v_fma_f32 v78, v82, v106, -v78
	v_fmac_f32_e32 v117, v83, v106
	v_add_f32_e32 v3, v3, v79
	v_add_f32_e32 v79, v80, v116
	;; [unrolled: 6-line block ×5, first 2 shown]
	v_mul_f32_e32 v80, v93, v102
	s_waitcnt vmcnt(4)
	v_fma_f32 v81, v90, v110, -v81
	v_mul_f32_e32 v122, v92, v102
	v_add_f32_e32 v3, v3, v79
	v_fmac_f32_e32 v121, v91, v110
	v_add_f32_e32 v78, v78, v120
	s_waitcnt lgkmcnt(0)
	v_mul_f32_e32 v79, v95, v103
	s_waitcnt vmcnt(3)
	v_fma_f32 v80, v92, v111, -v80
	v_add_f32_e32 v3, v3, v81
	v_mul_f32_e32 v123, v94, v103
	v_fmac_f32_e32 v122, v93, v111
	v_add_f32_e32 v78, v78, v121
	s_waitcnt vmcnt(2)
	v_fma_f32 v79, v94, v112, -v79
	v_add_f32_e32 v3, v3, v80
	v_fmac_f32_e32 v123, v95, v112
	v_add_f32_e32 v78, v78, v122
	v_add_f32_e32 v3, v3, v79
	;; [unrolled: 1-line block ×3, first 2 shown]
	s_waitcnt vmcnt(1)
	v_sub_f32_e32 v3, v113, v3
	s_waitcnt vmcnt(0)
	v_sub_f32_e32 v78, v114, v78
	buffer_store_dword v3, off, s[0:3], 0 offset:216
	buffer_store_dword v78, off, s[0:3], 0 offset:220
	v_cmpx_lt_u32_e32 26, v0
	s_cbranch_execz .LBB100_183
; %bb.182:
	s_clause 0x1
	buffer_load_dword v78, off, s[0:3], 0 offset:208
	buffer_load_dword v79, off, s[0:3], 0 offset:212
	buffer_store_dword v2, off, s[0:3], 0 offset:208
	buffer_store_dword v2, off, s[0:3], 0 offset:212
	s_waitcnt vmcnt(0)
	ds_write_b64 v1, v[78:79]
.LBB100_183:
	s_or_b32 exec_lo, exec_lo, s4
	s_waitcnt lgkmcnt(0)
	s_waitcnt_vscnt null, 0x0
	s_barrier
	buffer_gl0_inv
	s_clause 0x15
	buffer_load_dword v3, off, s[0:3], 0 offset:220
	buffer_load_dword v98, off, s[0:3], 0 offset:228
	;; [unrolled: 1-line block ×22, first 2 shown]
	ds_read2_b64 v[78:81], v2 offset0:65 offset1:66
	ds_read2_b64 v[82:85], v2 offset0:67 offset1:68
	;; [unrolled: 1-line block ×5, first 2 shown]
	s_mov_b32 s4, exec_lo
	s_waitcnt vmcnt(21) lgkmcnt(4)
	v_mul_f32_e32 v2, v78, v3
	v_mul_f32_e32 v3, v79, v3
	s_waitcnt vmcnt(20)
	v_mul_f32_e32 v119, v80, v98
	v_mul_f32_e32 v98, v81, v98
	s_waitcnt vmcnt(19) lgkmcnt(3)
	v_mul_f32_e32 v120, v82, v99
	s_waitcnt vmcnt(18)
	v_mul_f32_e32 v121, v84, v100
	s_waitcnt vmcnt(17) lgkmcnt(2)
	v_mul_f32_e32 v122, v86, v101
	s_waitcnt vmcnt(16)
	;; [unrolled: 4-line block ×3, first 2 shown]
	v_mul_f32_e32 v125, v92, v104
	s_waitcnt vmcnt(11)
	v_fma_f32 v3, v78, v107, -v3
	v_fmac_f32_e32 v2, v79, v107
	v_mul_f32_e32 v78, v83, v99
	s_waitcnt vmcnt(10)
	v_fma_f32 v79, v80, v108, -v98
	v_fmac_f32_e32 v119, v81, v108
	v_add_f32_e32 v3, 0, v3
	v_add_f32_e32 v2, 0, v2
	v_mul_f32_e32 v80, v85, v100
	s_waitcnt vmcnt(9)
	v_fma_f32 v78, v82, v109, -v78
	v_fmac_f32_e32 v120, v83, v109
	v_add_f32_e32 v3, v3, v79
	v_add_f32_e32 v2, v2, v119
	;; [unrolled: 6-line block ×6, first 2 shown]
	s_waitcnt lgkmcnt(0)
	v_mul_f32_e32 v78, v95, v105
	s_waitcnt vmcnt(4)
	v_fma_f32 v79, v92, v114, -v79
	v_mul_f32_e32 v126, v94, v105
	v_add_f32_e32 v3, v3, v80
	v_fmac_f32_e32 v125, v93, v114
	v_add_f32_e32 v2, v2, v124
	v_mul_f32_e32 v80, v97, v106
	s_waitcnt vmcnt(3)
	v_fma_f32 v78, v94, v115, -v78
	v_add_f32_e32 v3, v3, v79
	v_mul_f32_e32 v127, v96, v106
	v_fmac_f32_e32 v126, v95, v115
	v_add_f32_e32 v2, v2, v125
	s_waitcnt vmcnt(2)
	v_fma_f32 v79, v96, v116, -v80
	v_add_f32_e32 v3, v3, v78
	v_fmac_f32_e32 v127, v97, v116
	v_add_f32_e32 v2, v2, v126
	v_add_f32_e32 v3, v3, v79
	;; [unrolled: 1-line block ×3, first 2 shown]
	s_waitcnt vmcnt(1)
	v_sub_f32_e32 v3, v117, v3
	s_waitcnt vmcnt(0)
	v_sub_f32_e32 v2, v118, v2
	buffer_store_dword v3, off, s[0:3], 0 offset:208
	buffer_store_dword v2, off, s[0:3], 0 offset:212
	v_cmpx_lt_u32_e32 25, v0
	s_cbranch_execz .LBB100_185
; %bb.184:
	s_clause 0x1
	buffer_load_dword v2, off, s[0:3], 0 offset:200
	buffer_load_dword v3, off, s[0:3], 0 offset:204
	v_mov_b32_e32 v78, 0
	buffer_store_dword v78, off, s[0:3], 0 offset:200
	buffer_store_dword v78, off, s[0:3], 0 offset:204
	s_waitcnt vmcnt(0)
	ds_write_b64 v1, v[2:3]
.LBB100_185:
	s_or_b32 exec_lo, exec_lo, s4
	s_waitcnt lgkmcnt(0)
	s_waitcnt_vscnt null, 0x0
	s_barrier
	buffer_gl0_inv
	s_clause 0x17
	buffer_load_dword v3, off, s[0:3], 0 offset:212
	buffer_load_dword v100, off, s[0:3], 0 offset:220
	;; [unrolled: 1-line block ×24, first 2 shown]
	v_mov_b32_e32 v2, 0
	ds_read_b128 v[78:81], v2 offset:512
	ds_read_b128 v[82:85], v2 offset:528
	;; [unrolled: 1-line block ×5, first 2 shown]
	ds_read_b64 v[98:99], v2 offset:592
	s_mov_b32 s4, exec_lo
	s_waitcnt vmcnt(23) lgkmcnt(5)
	v_mul_f32_e32 v123, v78, v3
	v_mul_f32_e32 v3, v79, v3
	s_waitcnt vmcnt(22)
	v_mul_f32_e32 v124, v80, v100
	v_mul_f32_e32 v100, v81, v100
	s_waitcnt vmcnt(21) lgkmcnt(4)
	v_mul_f32_e32 v125, v82, v101
	s_waitcnt vmcnt(20)
	v_mul_f32_e32 v126, v84, v102
	s_waitcnt vmcnt(19) lgkmcnt(3)
	v_mul_f32_e32 v127, v86, v103
	s_waitcnt vmcnt(18)
	;; [unrolled: 4-line block ×4, first 2 shown]
	v_fma_f32 v3, v78, v110, -v3
	v_fmac_f32_e32 v123, v79, v110
	v_mul_f32_e32 v78, v83, v101
	s_waitcnt vmcnt(11)
	v_fma_f32 v79, v80, v111, -v100
	v_fmac_f32_e32 v124, v81, v111
	v_add_f32_e32 v3, 0, v3
	v_add_f32_e32 v80, 0, v123
	v_mul_f32_e32 v81, v85, v102
	s_waitcnt vmcnt(10)
	v_fma_f32 v78, v82, v112, -v78
	v_fmac_f32_e32 v125, v83, v112
	v_add_f32_e32 v3, v3, v79
	v_add_f32_e32 v79, v80, v124
	;; [unrolled: 6-line block ×7, first 2 shown]
	v_mul_f32_e32 v81, v97, v108
	s_waitcnt vmcnt(4)
	v_fma_f32 v79, v94, v118, -v79
	v_mul_f32_e32 v132, v96, v108
	v_add_f32_e32 v3, v3, v80
	v_fmac_f32_e32 v131, v95, v118
	v_add_f32_e32 v78, v78, v130
	s_waitcnt lgkmcnt(0)
	v_mul_f32_e32 v80, v99, v109
	s_waitcnt vmcnt(3)
	v_fma_f32 v81, v96, v119, -v81
	v_add_f32_e32 v3, v3, v79
	v_mul_f32_e32 v133, v98, v109
	v_fmac_f32_e32 v132, v97, v119
	v_add_f32_e32 v78, v78, v131
	s_waitcnt vmcnt(2)
	v_fma_f32 v79, v98, v120, -v80
	v_add_f32_e32 v3, v3, v81
	v_fmac_f32_e32 v133, v99, v120
	v_add_f32_e32 v78, v78, v132
	v_add_f32_e32 v3, v3, v79
	;; [unrolled: 1-line block ×3, first 2 shown]
	s_waitcnt vmcnt(1)
	v_sub_f32_e32 v3, v121, v3
	s_waitcnt vmcnt(0)
	v_sub_f32_e32 v78, v122, v78
	buffer_store_dword v3, off, s[0:3], 0 offset:200
	buffer_store_dword v78, off, s[0:3], 0 offset:204
	v_cmpx_lt_u32_e32 24, v0
	s_cbranch_execz .LBB100_187
; %bb.186:
	s_clause 0x1
	buffer_load_dword v78, off, s[0:3], 0 offset:192
	buffer_load_dword v79, off, s[0:3], 0 offset:196
	buffer_store_dword v2, off, s[0:3], 0 offset:192
	buffer_store_dword v2, off, s[0:3], 0 offset:196
	s_waitcnt vmcnt(0)
	ds_write_b64 v1, v[78:79]
.LBB100_187:
	s_or_b32 exec_lo, exec_lo, s4
	s_waitcnt lgkmcnt(0)
	s_waitcnt_vscnt null, 0x0
	s_barrier
	buffer_gl0_inv
	s_clause 0x19
	buffer_load_dword v3, off, s[0:3], 0 offset:204
	buffer_load_dword v102, off, s[0:3], 0 offset:212
	;; [unrolled: 1-line block ×26, first 2 shown]
	ds_read2_b64 v[78:81], v2 offset0:63 offset1:64
	ds_read2_b64 v[82:85], v2 offset0:65 offset1:66
	;; [unrolled: 1-line block ×6, first 2 shown]
	s_mov_b32 s4, exec_lo
	s_waitcnt vmcnt(25) lgkmcnt(5)
	v_mul_f32_e32 v2, v78, v3
	v_mul_f32_e32 v3, v79, v3
	s_waitcnt vmcnt(24)
	v_mul_f32_e32 v127, v80, v102
	v_mul_f32_e32 v102, v81, v102
	s_waitcnt vmcnt(23) lgkmcnt(4)
	v_mul_f32_e32 v128, v82, v103
	s_waitcnt vmcnt(22)
	v_mul_f32_e32 v129, v84, v104
	s_waitcnt vmcnt(21) lgkmcnt(3)
	v_mul_f32_e32 v130, v86, v105
	s_waitcnt vmcnt(20)
	;; [unrolled: 4-line block ×4, first 2 shown]
	v_mul_f32_e32 v135, v96, v110
	s_waitcnt vmcnt(13)
	v_fma_f32 v3, v78, v113, -v3
	v_fmac_f32_e32 v2, v79, v113
	v_mul_f32_e32 v78, v83, v103
	s_waitcnt vmcnt(12)
	v_fma_f32 v79, v80, v114, -v102
	v_fmac_f32_e32 v127, v81, v114
	v_add_f32_e32 v3, 0, v3
	v_add_f32_e32 v2, 0, v2
	v_mul_f32_e32 v80, v85, v104
	s_waitcnt vmcnt(11)
	v_fma_f32 v78, v82, v115, -v78
	v_fmac_f32_e32 v128, v83, v115
	v_add_f32_e32 v3, v3, v79
	v_add_f32_e32 v2, v2, v127
	;; [unrolled: 6-line block ×8, first 2 shown]
	s_waitcnt lgkmcnt(0)
	v_mul_f32_e32 v79, v99, v111
	s_waitcnt vmcnt(4)
	v_fma_f32 v80, v96, v122, -v80
	v_mul_f32_e32 v136, v98, v111
	v_add_f32_e32 v3, v3, v78
	v_fmac_f32_e32 v135, v97, v122
	v_add_f32_e32 v2, v2, v134
	v_mul_f32_e32 v78, v101, v112
	s_waitcnt vmcnt(3)
	v_fma_f32 v79, v98, v123, -v79
	v_add_f32_e32 v3, v3, v80
	v_mul_f32_e32 v137, v100, v112
	v_fmac_f32_e32 v136, v99, v123
	v_add_f32_e32 v2, v2, v135
	s_waitcnt vmcnt(2)
	v_fma_f32 v78, v100, v124, -v78
	v_add_f32_e32 v3, v3, v79
	v_fmac_f32_e32 v137, v101, v124
	v_add_f32_e32 v2, v2, v136
	v_add_f32_e32 v3, v3, v78
	;; [unrolled: 1-line block ×3, first 2 shown]
	s_waitcnt vmcnt(1)
	v_sub_f32_e32 v3, v125, v3
	s_waitcnt vmcnt(0)
	v_sub_f32_e32 v2, v126, v2
	buffer_store_dword v3, off, s[0:3], 0 offset:192
	buffer_store_dword v2, off, s[0:3], 0 offset:196
	v_cmpx_lt_u32_e32 23, v0
	s_cbranch_execz .LBB100_189
; %bb.188:
	s_clause 0x1
	buffer_load_dword v2, off, s[0:3], 0 offset:184
	buffer_load_dword v3, off, s[0:3], 0 offset:188
	v_mov_b32_e32 v78, 0
	buffer_store_dword v78, off, s[0:3], 0 offset:184
	buffer_store_dword v78, off, s[0:3], 0 offset:188
	s_waitcnt vmcnt(0)
	ds_write_b64 v1, v[2:3]
.LBB100_189:
	s_or_b32 exec_lo, exec_lo, s4
	s_waitcnt lgkmcnt(0)
	s_waitcnt_vscnt null, 0x0
	s_barrier
	buffer_gl0_inv
	s_clause 0x1b
	buffer_load_dword v3, off, s[0:3], 0 offset:196
	buffer_load_dword v104, off, s[0:3], 0 offset:204
	;; [unrolled: 1-line block ×28, first 2 shown]
	v_mov_b32_e32 v2, 0
	ds_read_b128 v[78:81], v2 offset:496
	ds_read_b128 v[82:85], v2 offset:512
	;; [unrolled: 1-line block ×6, first 2 shown]
	ds_read_b64 v[102:103], v2 offset:592
	s_mov_b32 s4, exec_lo
	s_waitcnt vmcnt(27) lgkmcnt(6)
	v_mul_f32_e32 v131, v78, v3
	v_mul_f32_e32 v3, v79, v3
	s_waitcnt vmcnt(26)
	v_mul_f32_e32 v132, v80, v104
	v_mul_f32_e32 v104, v81, v104
	s_waitcnt vmcnt(25) lgkmcnt(5)
	v_mul_f32_e32 v133, v82, v105
	s_waitcnt vmcnt(24)
	v_mul_f32_e32 v134, v84, v106
	s_waitcnt vmcnt(23) lgkmcnt(4)
	v_mul_f32_e32 v135, v86, v107
	s_waitcnt vmcnt(22)
	;; [unrolled: 4-line block ×5, first 2 shown]
	v_fma_f32 v3, v78, v116, -v3
	v_fmac_f32_e32 v131, v79, v116
	v_mul_f32_e32 v78, v83, v105
	s_waitcnt vmcnt(13)
	v_fma_f32 v79, v80, v117, -v104
	v_fmac_f32_e32 v132, v81, v117
	v_add_f32_e32 v3, 0, v3
	v_add_f32_e32 v80, 0, v131
	v_mul_f32_e32 v81, v85, v106
	s_waitcnt vmcnt(12)
	v_fma_f32 v78, v82, v118, -v78
	v_fmac_f32_e32 v133, v83, v118
	v_add_f32_e32 v3, v3, v79
	v_add_f32_e32 v79, v80, v132
	;; [unrolled: 6-line block ×9, first 2 shown]
	v_mul_f32_e32 v79, v101, v114
	s_waitcnt vmcnt(4)
	v_fma_f32 v80, v98, v126, -v80
	v_mul_f32_e32 v142, v100, v114
	v_add_f32_e32 v3, v3, v81
	v_fmac_f32_e32 v141, v99, v126
	v_add_f32_e32 v78, v78, v140
	s_waitcnt lgkmcnt(0)
	v_mul_f32_e32 v81, v103, v115
	s_waitcnt vmcnt(3)
	v_fma_f32 v79, v100, v127, -v79
	v_add_f32_e32 v3, v3, v80
	v_mul_f32_e32 v143, v102, v115
	v_fmac_f32_e32 v142, v101, v127
	v_add_f32_e32 v78, v78, v141
	s_waitcnt vmcnt(2)
	v_fma_f32 v80, v102, v128, -v81
	v_add_f32_e32 v3, v3, v79
	v_fmac_f32_e32 v143, v103, v128
	v_add_f32_e32 v78, v78, v142
	v_add_f32_e32 v3, v3, v80
	;; [unrolled: 1-line block ×3, first 2 shown]
	s_waitcnt vmcnt(1)
	v_sub_f32_e32 v3, v129, v3
	s_waitcnt vmcnt(0)
	v_sub_f32_e32 v78, v130, v78
	buffer_store_dword v3, off, s[0:3], 0 offset:184
	buffer_store_dword v78, off, s[0:3], 0 offset:188
	v_cmpx_lt_u32_e32 22, v0
	s_cbranch_execz .LBB100_191
; %bb.190:
	s_clause 0x1
	buffer_load_dword v78, off, s[0:3], 0 offset:176
	buffer_load_dword v79, off, s[0:3], 0 offset:180
	buffer_store_dword v2, off, s[0:3], 0 offset:176
	buffer_store_dword v2, off, s[0:3], 0 offset:180
	s_waitcnt vmcnt(0)
	ds_write_b64 v1, v[78:79]
.LBB100_191:
	s_or_b32 exec_lo, exec_lo, s4
	s_waitcnt lgkmcnt(0)
	s_waitcnt_vscnt null, 0x0
	s_barrier
	buffer_gl0_inv
	s_clause 0x1d
	buffer_load_dword v3, off, s[0:3], 0 offset:188
	buffer_load_dword v106, off, s[0:3], 0 offset:196
	;; [unrolled: 1-line block ×30, first 2 shown]
	ds_read2_b64 v[78:81], v2 offset0:61 offset1:62
	ds_read2_b64 v[82:85], v2 offset0:63 offset1:64
	;; [unrolled: 1-line block ×7, first 2 shown]
	s_mov_b32 s4, exec_lo
	s_waitcnt vmcnt(29) lgkmcnt(6)
	v_mul_f32_e32 v2, v78, v3
	v_mul_f32_e32 v3, v79, v3
	s_waitcnt vmcnt(28)
	v_mul_f32_e32 v135, v80, v106
	v_mul_f32_e32 v106, v81, v106
	s_waitcnt vmcnt(27) lgkmcnt(5)
	v_mul_f32_e32 v136, v82, v107
	s_waitcnt vmcnt(26)
	v_mul_f32_e32 v137, v84, v108
	s_waitcnt vmcnt(25) lgkmcnt(4)
	v_mul_f32_e32 v138, v86, v109
	s_waitcnt vmcnt(24)
	;; [unrolled: 4-line block ×5, first 2 shown]
	v_mul_f32_e32 v145, v100, v116
	s_waitcnt vmcnt(15)
	v_fma_f32 v3, v78, v119, -v3
	v_fmac_f32_e32 v2, v79, v119
	v_mul_f32_e32 v78, v83, v107
	s_waitcnt vmcnt(14)
	v_fma_f32 v79, v80, v120, -v106
	v_fmac_f32_e32 v135, v81, v120
	v_add_f32_e32 v3, 0, v3
	v_add_f32_e32 v2, 0, v2
	v_mul_f32_e32 v80, v85, v108
	s_waitcnt vmcnt(13)
	v_fma_f32 v78, v82, v121, -v78
	v_fmac_f32_e32 v136, v83, v121
	v_add_f32_e32 v3, v3, v79
	v_add_f32_e32 v2, v2, v135
	;; [unrolled: 6-line block ×10, first 2 shown]
	s_waitcnt lgkmcnt(0)
	v_mul_f32_e32 v80, v103, v117
	s_waitcnt vmcnt(4)
	v_fma_f32 v78, v100, v130, -v78
	v_mul_f32_e32 v146, v102, v117
	v_add_f32_e32 v3, v3, v79
	v_fmac_f32_e32 v145, v101, v130
	v_add_f32_e32 v2, v2, v144
	v_mul_f32_e32 v79, v105, v118
	s_waitcnt vmcnt(3)
	v_fma_f32 v80, v102, v131, -v80
	v_add_f32_e32 v3, v3, v78
	v_mul_f32_e32 v147, v104, v118
	v_fmac_f32_e32 v146, v103, v131
	v_add_f32_e32 v2, v2, v145
	s_waitcnt vmcnt(2)
	v_fma_f32 v78, v104, v132, -v79
	v_add_f32_e32 v3, v3, v80
	v_fmac_f32_e32 v147, v105, v132
	v_add_f32_e32 v2, v2, v146
	v_add_f32_e32 v3, v3, v78
	;; [unrolled: 1-line block ×3, first 2 shown]
	s_waitcnt vmcnt(1)
	v_sub_f32_e32 v3, v133, v3
	s_waitcnt vmcnt(0)
	v_sub_f32_e32 v2, v134, v2
	buffer_store_dword v3, off, s[0:3], 0 offset:176
	buffer_store_dword v2, off, s[0:3], 0 offset:180
	v_cmpx_lt_u32_e32 21, v0
	s_cbranch_execz .LBB100_193
; %bb.192:
	s_clause 0x1
	buffer_load_dword v2, off, s[0:3], 0 offset:168
	buffer_load_dword v3, off, s[0:3], 0 offset:172
	v_mov_b32_e32 v78, 0
	buffer_store_dword v78, off, s[0:3], 0 offset:168
	buffer_store_dword v78, off, s[0:3], 0 offset:172
	s_waitcnt vmcnt(0)
	ds_write_b64 v1, v[2:3]
.LBB100_193:
	s_or_b32 exec_lo, exec_lo, s4
	s_waitcnt lgkmcnt(0)
	s_waitcnt_vscnt null, 0x0
	s_barrier
	buffer_gl0_inv
	s_clause 0x1f
	buffer_load_dword v3, off, s[0:3], 0 offset:180
	buffer_load_dword v108, off, s[0:3], 0 offset:188
	;; [unrolled: 1-line block ×32, first 2 shown]
	v_mov_b32_e32 v2, 0
	ds_read_b128 v[78:81], v2 offset:480
	ds_read_b128 v[82:85], v2 offset:496
	;; [unrolled: 1-line block ×7, first 2 shown]
	ds_read_b64 v[106:107], v2 offset:592
	s_mov_b32 s4, exec_lo
	s_waitcnt vmcnt(31) lgkmcnt(7)
	v_mul_f32_e32 v139, v78, v3
	v_mul_f32_e32 v3, v79, v3
	s_waitcnt vmcnt(30)
	v_mul_f32_e32 v140, v80, v108
	v_mul_f32_e32 v108, v81, v108
	s_waitcnt vmcnt(29) lgkmcnt(6)
	v_mul_f32_e32 v141, v82, v109
	s_waitcnt vmcnt(28)
	v_mul_f32_e32 v142, v84, v110
	s_waitcnt vmcnt(27) lgkmcnt(5)
	v_mul_f32_e32 v143, v86, v111
	s_waitcnt vmcnt(26)
	;; [unrolled: 4-line block ×6, first 2 shown]
	v_fma_f32 v3, v78, v122, -v3
	v_fmac_f32_e32 v139, v79, v122
	v_mul_f32_e32 v78, v83, v109
	s_waitcnt vmcnt(15)
	v_fma_f32 v79, v80, v123, -v108
	v_fmac_f32_e32 v140, v81, v123
	v_add_f32_e32 v3, 0, v3
	v_add_f32_e32 v80, 0, v139
	v_mul_f32_e32 v81, v85, v110
	s_waitcnt vmcnt(14)
	v_fma_f32 v78, v82, v124, -v78
	v_fmac_f32_e32 v141, v83, v124
	v_add_f32_e32 v3, v3, v79
	v_add_f32_e32 v79, v80, v140
	;; [unrolled: 6-line block ×11, first 2 shown]
	v_mul_f32_e32 v80, v105, v120
	s_waitcnt vmcnt(4)
	v_fma_f32 v81, v102, v134, -v81
	v_mul_f32_e32 v152, v104, v120
	v_add_f32_e32 v3, v3, v79
	v_fmac_f32_e32 v151, v103, v134
	v_add_f32_e32 v78, v78, v150
	s_waitcnt lgkmcnt(0)
	v_mul_f32_e32 v79, v107, v121
	s_waitcnt vmcnt(3)
	v_fma_f32 v80, v104, v135, -v80
	v_add_f32_e32 v3, v3, v81
	v_mul_f32_e32 v153, v106, v121
	v_fmac_f32_e32 v152, v105, v135
	v_add_f32_e32 v78, v78, v151
	s_waitcnt vmcnt(2)
	v_fma_f32 v79, v106, v136, -v79
	v_add_f32_e32 v3, v3, v80
	v_fmac_f32_e32 v153, v107, v136
	v_add_f32_e32 v78, v78, v152
	v_add_f32_e32 v3, v3, v79
	;; [unrolled: 1-line block ×3, first 2 shown]
	s_waitcnt vmcnt(1)
	v_sub_f32_e32 v3, v137, v3
	s_waitcnt vmcnt(0)
	v_sub_f32_e32 v78, v138, v78
	buffer_store_dword v3, off, s[0:3], 0 offset:168
	buffer_store_dword v78, off, s[0:3], 0 offset:172
	v_cmpx_lt_u32_e32 20, v0
	s_cbranch_execz .LBB100_195
; %bb.194:
	s_clause 0x1
	buffer_load_dword v78, off, s[0:3], 0 offset:160
	buffer_load_dword v79, off, s[0:3], 0 offset:164
	buffer_store_dword v2, off, s[0:3], 0 offset:160
	buffer_store_dword v2, off, s[0:3], 0 offset:164
	s_waitcnt vmcnt(0)
	ds_write_b64 v1, v[78:79]
.LBB100_195:
	s_or_b32 exec_lo, exec_lo, s4
	s_waitcnt lgkmcnt(0)
	s_waitcnt_vscnt null, 0x0
	s_barrier
	buffer_gl0_inv
	s_clause 0x21
	buffer_load_dword v3, off, s[0:3], 0 offset:172
	buffer_load_dword v110, off, s[0:3], 0 offset:180
	buffer_load_dword v111, off, s[0:3], 0 offset:188
	buffer_load_dword v112, off, s[0:3], 0 offset:196
	buffer_load_dword v113, off, s[0:3], 0 offset:204
	buffer_load_dword v114, off, s[0:3], 0 offset:212
	buffer_load_dword v115, off, s[0:3], 0 offset:220
	buffer_load_dword v116, off, s[0:3], 0 offset:228
	buffer_load_dword v117, off, s[0:3], 0 offset:236
	buffer_load_dword v118, off, s[0:3], 0 offset:244
	buffer_load_dword v119, off, s[0:3], 0 offset:252
	buffer_load_dword v120, off, s[0:3], 0 offset:260
	buffer_load_dword v121, off, s[0:3], 0 offset:268
	buffer_load_dword v122, off, s[0:3], 0 offset:276
	buffer_load_dword v123, off, s[0:3], 0 offset:284
	buffer_load_dword v124, off, s[0:3], 0 offset:292
	buffer_load_dword v125, off, s[0:3], 0 offset:168
	buffer_load_dword v126, off, s[0:3], 0 offset:176
	buffer_load_dword v127, off, s[0:3], 0 offset:184
	buffer_load_dword v128, off, s[0:3], 0 offset:192
	buffer_load_dword v129, off, s[0:3], 0 offset:200
	buffer_load_dword v130, off, s[0:3], 0 offset:208
	buffer_load_dword v131, off, s[0:3], 0 offset:216
	buffer_load_dword v132, off, s[0:3], 0 offset:224
	buffer_load_dword v133, off, s[0:3], 0 offset:232
	buffer_load_dword v134, off, s[0:3], 0 offset:240
	buffer_load_dword v135, off, s[0:3], 0 offset:248
	buffer_load_dword v136, off, s[0:3], 0 offset:256
	buffer_load_dword v137, off, s[0:3], 0 offset:264
	buffer_load_dword v138, off, s[0:3], 0 offset:272
	buffer_load_dword v139, off, s[0:3], 0 offset:280
	buffer_load_dword v140, off, s[0:3], 0 offset:288
	buffer_load_dword v141, off, s[0:3], 0 offset:160
	buffer_load_dword v142, off, s[0:3], 0 offset:164
	ds_read2_b64 v[78:81], v2 offset0:59 offset1:60
	ds_read2_b64 v[82:85], v2 offset0:61 offset1:62
	;; [unrolled: 1-line block ×8, first 2 shown]
	s_mov_b32 s4, exec_lo
	s_waitcnt vmcnt(33) lgkmcnt(7)
	v_mul_f32_e32 v2, v78, v3
	v_mul_f32_e32 v3, v79, v3
	s_waitcnt vmcnt(32)
	v_mul_f32_e32 v143, v80, v110
	v_mul_f32_e32 v110, v81, v110
	s_waitcnt vmcnt(31) lgkmcnt(6)
	v_mul_f32_e32 v144, v82, v111
	s_waitcnt vmcnt(30)
	v_mul_f32_e32 v145, v84, v112
	s_waitcnt vmcnt(29) lgkmcnt(5)
	v_mul_f32_e32 v146, v86, v113
	s_waitcnt vmcnt(28)
	;; [unrolled: 4-line block ×6, first 2 shown]
	v_mul_f32_e32 v155, v104, v122
	s_waitcnt vmcnt(17)
	v_fma_f32 v3, v78, v125, -v3
	v_fmac_f32_e32 v2, v79, v125
	v_mul_f32_e32 v78, v83, v111
	s_waitcnt vmcnt(16)
	v_fma_f32 v79, v80, v126, -v110
	v_fmac_f32_e32 v143, v81, v126
	v_add_f32_e32 v3, 0, v3
	v_add_f32_e32 v2, 0, v2
	v_mul_f32_e32 v80, v85, v112
	s_waitcnt vmcnt(15)
	v_fma_f32 v78, v82, v127, -v78
	v_fmac_f32_e32 v144, v83, v127
	v_add_f32_e32 v3, v3, v79
	v_add_f32_e32 v2, v2, v143
	;; [unrolled: 6-line block ×12, first 2 shown]
	s_waitcnt lgkmcnt(0)
	v_mul_f32_e32 v78, v107, v123
	s_waitcnt vmcnt(4)
	v_fma_f32 v79, v104, v138, -v79
	v_mul_f32_e32 v156, v106, v123
	v_add_f32_e32 v3, v3, v80
	v_fmac_f32_e32 v155, v105, v138
	v_add_f32_e32 v2, v2, v154
	v_mul_f32_e32 v80, v109, v124
	s_waitcnt vmcnt(3)
	v_fma_f32 v78, v106, v139, -v78
	v_add_f32_e32 v3, v3, v79
	v_mul_f32_e32 v157, v108, v124
	v_fmac_f32_e32 v156, v107, v139
	v_add_f32_e32 v2, v2, v155
	s_waitcnt vmcnt(2)
	v_fma_f32 v79, v108, v140, -v80
	v_add_f32_e32 v3, v3, v78
	v_fmac_f32_e32 v157, v109, v140
	v_add_f32_e32 v2, v2, v156
	v_add_f32_e32 v3, v3, v79
	;; [unrolled: 1-line block ×3, first 2 shown]
	s_waitcnt vmcnt(1)
	v_sub_f32_e32 v3, v141, v3
	s_waitcnt vmcnt(0)
	v_sub_f32_e32 v2, v142, v2
	buffer_store_dword v3, off, s[0:3], 0 offset:160
	buffer_store_dword v2, off, s[0:3], 0 offset:164
	v_cmpx_lt_u32_e32 19, v0
	s_cbranch_execz .LBB100_197
; %bb.196:
	s_clause 0x1
	buffer_load_dword v2, off, s[0:3], 0 offset:152
	buffer_load_dword v3, off, s[0:3], 0 offset:156
	v_mov_b32_e32 v78, 0
	buffer_store_dword v78, off, s[0:3], 0 offset:152
	buffer_store_dword v78, off, s[0:3], 0 offset:156
	s_waitcnt vmcnt(0)
	ds_write_b64 v1, v[2:3]
.LBB100_197:
	s_or_b32 exec_lo, exec_lo, s4
	s_waitcnt lgkmcnt(0)
	s_waitcnt_vscnt null, 0x0
	s_barrier
	buffer_gl0_inv
	s_clause 0x23
	buffer_load_dword v3, off, s[0:3], 0 offset:164
	buffer_load_dword v112, off, s[0:3], 0 offset:172
	;; [unrolled: 1-line block ×36, first 2 shown]
	v_mov_b32_e32 v2, 0
	ds_read_b128 v[78:81], v2 offset:464
	ds_read_b128 v[82:85], v2 offset:480
	ds_read_b128 v[86:89], v2 offset:496
	ds_read_b128 v[90:93], v2 offset:512
	ds_read_b128 v[94:97], v2 offset:528
	ds_read_b128 v[98:101], v2 offset:544
	ds_read_b128 v[102:105], v2 offset:560
	ds_read_b128 v[106:109], v2 offset:576
	ds_read_b64 v[110:111], v2 offset:592
	s_mov_b32 s4, exec_lo
	s_waitcnt vmcnt(35) lgkmcnt(8)
	v_mul_f32_e32 v147, v78, v3
	v_mul_f32_e32 v3, v79, v3
	s_waitcnt vmcnt(34)
	v_mul_f32_e32 v148, v80, v112
	v_mul_f32_e32 v112, v81, v112
	s_waitcnt vmcnt(33) lgkmcnt(7)
	v_mul_f32_e32 v149, v82, v113
	s_waitcnt vmcnt(32)
	v_mul_f32_e32 v150, v84, v114
	s_waitcnt vmcnt(31) lgkmcnt(6)
	v_mul_f32_e32 v151, v86, v115
	s_waitcnt vmcnt(30)
	;; [unrolled: 4-line block ×7, first 2 shown]
	v_fma_f32 v3, v78, v128, -v3
	v_fmac_f32_e32 v147, v79, v128
	v_mul_f32_e32 v78, v83, v113
	s_waitcnt vmcnt(17)
	v_fma_f32 v79, v80, v129, -v112
	v_fmac_f32_e32 v148, v81, v129
	v_add_f32_e32 v3, 0, v3
	v_add_f32_e32 v80, 0, v147
	v_mul_f32_e32 v81, v85, v114
	s_waitcnt vmcnt(16)
	v_fma_f32 v78, v82, v130, -v78
	v_fmac_f32_e32 v149, v83, v130
	v_add_f32_e32 v3, v3, v79
	v_add_f32_e32 v79, v80, v148
	;; [unrolled: 6-line block ×13, first 2 shown]
	v_mul_f32_e32 v81, v109, v126
	s_waitcnt vmcnt(4)
	v_fma_f32 v79, v106, v142, -v79
	v_mul_f32_e32 v162, v108, v126
	v_add_f32_e32 v3, v3, v80
	v_fmac_f32_e32 v161, v107, v142
	v_add_f32_e32 v78, v78, v160
	s_waitcnt lgkmcnt(0)
	v_mul_f32_e32 v80, v111, v127
	s_waitcnt vmcnt(3)
	v_fma_f32 v81, v108, v143, -v81
	v_add_f32_e32 v3, v3, v79
	v_mul_f32_e32 v163, v110, v127
	v_fmac_f32_e32 v162, v109, v143
	v_add_f32_e32 v78, v78, v161
	s_waitcnt vmcnt(2)
	v_fma_f32 v79, v110, v144, -v80
	v_add_f32_e32 v3, v3, v81
	v_fmac_f32_e32 v163, v111, v144
	v_add_f32_e32 v78, v78, v162
	v_add_f32_e32 v3, v3, v79
	;; [unrolled: 1-line block ×3, first 2 shown]
	s_waitcnt vmcnt(1)
	v_sub_f32_e32 v3, v145, v3
	s_waitcnt vmcnt(0)
	v_sub_f32_e32 v78, v146, v78
	buffer_store_dword v3, off, s[0:3], 0 offset:152
	buffer_store_dword v78, off, s[0:3], 0 offset:156
	v_cmpx_lt_u32_e32 18, v0
	s_cbranch_execz .LBB100_199
; %bb.198:
	s_clause 0x1
	buffer_load_dword v78, off, s[0:3], 0 offset:144
	buffer_load_dword v79, off, s[0:3], 0 offset:148
	buffer_store_dword v2, off, s[0:3], 0 offset:144
	buffer_store_dword v2, off, s[0:3], 0 offset:148
	s_waitcnt vmcnt(0)
	ds_write_b64 v1, v[78:79]
.LBB100_199:
	s_or_b32 exec_lo, exec_lo, s4
	s_waitcnt lgkmcnt(0)
	s_waitcnt_vscnt null, 0x0
	s_barrier
	buffer_gl0_inv
	s_clause 0x25
	buffer_load_dword v3, off, s[0:3], 0 offset:156
	buffer_load_dword v114, off, s[0:3], 0 offset:164
	;; [unrolled: 1-line block ×38, first 2 shown]
	ds_read2_b64 v[78:81], v2 offset0:57 offset1:58
	ds_read2_b64 v[82:85], v2 offset0:59 offset1:60
	;; [unrolled: 1-line block ×9, first 2 shown]
	s_mov_b32 s4, exec_lo
	s_waitcnt vmcnt(37) lgkmcnt(8)
	v_mul_f32_e32 v2, v78, v3
	v_mul_f32_e32 v3, v79, v3
	s_waitcnt vmcnt(36)
	v_mul_f32_e32 v151, v80, v114
	v_mul_f32_e32 v114, v81, v114
	s_waitcnt vmcnt(35) lgkmcnt(7)
	v_mul_f32_e32 v152, v82, v115
	s_waitcnt vmcnt(34)
	v_mul_f32_e32 v153, v84, v116
	s_waitcnt vmcnt(33) lgkmcnt(6)
	v_mul_f32_e32 v154, v86, v117
	s_waitcnt vmcnt(32)
	;; [unrolled: 4-line block ×7, first 2 shown]
	v_mul_f32_e32 v165, v108, v128
	s_waitcnt vmcnt(19)
	v_fma_f32 v3, v78, v131, -v3
	v_fmac_f32_e32 v2, v79, v131
	v_mul_f32_e32 v78, v83, v115
	s_waitcnt vmcnt(18)
	v_fma_f32 v79, v80, v132, -v114
	v_fmac_f32_e32 v151, v81, v132
	v_add_f32_e32 v3, 0, v3
	v_add_f32_e32 v2, 0, v2
	v_mul_f32_e32 v80, v85, v116
	s_waitcnt vmcnt(17)
	v_fma_f32 v78, v82, v133, -v78
	v_fmac_f32_e32 v152, v83, v133
	v_add_f32_e32 v3, v3, v79
	v_add_f32_e32 v2, v2, v151
	;; [unrolled: 6-line block ×14, first 2 shown]
	s_waitcnt lgkmcnt(0)
	v_mul_f32_e32 v79, v111, v129
	s_waitcnt vmcnt(4)
	v_fma_f32 v80, v108, v146, -v80
	v_mul_f32_e32 v166, v110, v129
	v_add_f32_e32 v3, v3, v78
	v_fmac_f32_e32 v165, v109, v146
	v_add_f32_e32 v2, v2, v164
	v_mul_f32_e32 v78, v113, v130
	s_waitcnt vmcnt(3)
	v_fma_f32 v79, v110, v147, -v79
	v_add_f32_e32 v3, v3, v80
	v_mul_f32_e32 v167, v112, v130
	v_fmac_f32_e32 v166, v111, v147
	v_add_f32_e32 v2, v2, v165
	s_waitcnt vmcnt(2)
	v_fma_f32 v78, v112, v148, -v78
	v_add_f32_e32 v3, v3, v79
	v_fmac_f32_e32 v167, v113, v148
	v_add_f32_e32 v2, v2, v166
	v_add_f32_e32 v3, v3, v78
	;; [unrolled: 1-line block ×3, first 2 shown]
	s_waitcnt vmcnt(1)
	v_sub_f32_e32 v3, v149, v3
	s_waitcnt vmcnt(0)
	v_sub_f32_e32 v2, v150, v2
	buffer_store_dword v3, off, s[0:3], 0 offset:144
	buffer_store_dword v2, off, s[0:3], 0 offset:148
	v_cmpx_lt_u32_e32 17, v0
	s_cbranch_execz .LBB100_201
; %bb.200:
	s_clause 0x1
	buffer_load_dword v2, off, s[0:3], 0 offset:136
	buffer_load_dword v3, off, s[0:3], 0 offset:140
	v_mov_b32_e32 v78, 0
	buffer_store_dword v78, off, s[0:3], 0 offset:136
	buffer_store_dword v78, off, s[0:3], 0 offset:140
	s_waitcnt vmcnt(0)
	ds_write_b64 v1, v[2:3]
.LBB100_201:
	s_or_b32 exec_lo, exec_lo, s4
	s_waitcnt lgkmcnt(0)
	s_waitcnt_vscnt null, 0x0
	s_barrier
	buffer_gl0_inv
	s_clause 0x27
	buffer_load_dword v3, off, s[0:3], 0 offset:148
	buffer_load_dword v116, off, s[0:3], 0 offset:156
	buffer_load_dword v117, off, s[0:3], 0 offset:164
	buffer_load_dword v118, off, s[0:3], 0 offset:172
	buffer_load_dword v119, off, s[0:3], 0 offset:180
	buffer_load_dword v120, off, s[0:3], 0 offset:188
	buffer_load_dword v121, off, s[0:3], 0 offset:196
	buffer_load_dword v122, off, s[0:3], 0 offset:204
	buffer_load_dword v123, off, s[0:3], 0 offset:212
	buffer_load_dword v124, off, s[0:3], 0 offset:220
	buffer_load_dword v125, off, s[0:3], 0 offset:228
	buffer_load_dword v126, off, s[0:3], 0 offset:236
	buffer_load_dword v127, off, s[0:3], 0 offset:244
	buffer_load_dword v128, off, s[0:3], 0 offset:252
	buffer_load_dword v129, off, s[0:3], 0 offset:260
	buffer_load_dword v130, off, s[0:3], 0 offset:268
	buffer_load_dword v131, off, s[0:3], 0 offset:276
	buffer_load_dword v132, off, s[0:3], 0 offset:284
	buffer_load_dword v133, off, s[0:3], 0 offset:292
	buffer_load_dword v134, off, s[0:3], 0 offset:144
	buffer_load_dword v135, off, s[0:3], 0 offset:152
	buffer_load_dword v136, off, s[0:3], 0 offset:160
	buffer_load_dword v137, off, s[0:3], 0 offset:168
	buffer_load_dword v138, off, s[0:3], 0 offset:176
	buffer_load_dword v139, off, s[0:3], 0 offset:184
	buffer_load_dword v140, off, s[0:3], 0 offset:192
	buffer_load_dword v141, off, s[0:3], 0 offset:200
	buffer_load_dword v142, off, s[0:3], 0 offset:208
	buffer_load_dword v143, off, s[0:3], 0 offset:216
	buffer_load_dword v144, off, s[0:3], 0 offset:224
	buffer_load_dword v145, off, s[0:3], 0 offset:232
	buffer_load_dword v146, off, s[0:3], 0 offset:240
	buffer_load_dword v147, off, s[0:3], 0 offset:248
	buffer_load_dword v148, off, s[0:3], 0 offset:256
	buffer_load_dword v149, off, s[0:3], 0 offset:264
	buffer_load_dword v150, off, s[0:3], 0 offset:272
	buffer_load_dword v151, off, s[0:3], 0 offset:280
	buffer_load_dword v152, off, s[0:3], 0 offset:288
	buffer_load_dword v153, off, s[0:3], 0 offset:136
	buffer_load_dword v154, off, s[0:3], 0 offset:140
	v_mov_b32_e32 v2, 0
	ds_read_b128 v[78:81], v2 offset:448
	ds_read_b128 v[82:85], v2 offset:464
	;; [unrolled: 1-line block ×9, first 2 shown]
	ds_read_b64 v[114:115], v2 offset:592
	s_mov_b32 s4, exec_lo
	s_waitcnt vmcnt(39) lgkmcnt(9)
	v_mul_f32_e32 v155, v78, v3
	v_mul_f32_e32 v3, v79, v3
	s_waitcnt vmcnt(38)
	v_mul_f32_e32 v156, v80, v116
	v_mul_f32_e32 v116, v81, v116
	s_waitcnt vmcnt(37) lgkmcnt(8)
	v_mul_f32_e32 v157, v82, v117
	s_waitcnt vmcnt(36)
	v_mul_f32_e32 v158, v84, v118
	s_waitcnt vmcnt(35) lgkmcnt(7)
	v_mul_f32_e32 v159, v86, v119
	s_waitcnt vmcnt(34)
	v_mul_f32_e32 v160, v88, v120
	s_waitcnt vmcnt(33) lgkmcnt(6)
	v_mul_f32_e32 v161, v90, v121
	s_waitcnt vmcnt(32)
	v_mul_f32_e32 v162, v92, v122
	s_waitcnt vmcnt(31) lgkmcnt(5)
	v_mul_f32_e32 v163, v94, v123
	s_waitcnt vmcnt(30)
	v_mul_f32_e32 v164, v96, v124
	s_waitcnt vmcnt(29) lgkmcnt(4)
	v_mul_f32_e32 v165, v98, v125
	s_waitcnt vmcnt(28)
	v_mul_f32_e32 v166, v100, v126
	s_waitcnt vmcnt(27) lgkmcnt(3)
	v_mul_f32_e32 v167, v102, v127
	s_waitcnt vmcnt(26)
	v_mul_f32_e32 v168, v104, v128
	s_waitcnt vmcnt(25) lgkmcnt(2)
	v_mul_f32_e32 v169, v106, v129
	s_waitcnt vmcnt(24)
	v_mul_f32_e32 v170, v108, v130
	s_waitcnt vmcnt(23) lgkmcnt(1)
	v_mul_f32_e32 v171, v110, v131
	s_waitcnt vmcnt(20)
	v_fma_f32 v3, v78, v134, -v3
	v_fmac_f32_e32 v155, v79, v134
	v_mul_f32_e32 v78, v83, v117
	s_waitcnt vmcnt(19)
	v_fma_f32 v79, v80, v135, -v116
	v_fmac_f32_e32 v156, v81, v135
	v_add_f32_e32 v3, 0, v3
	v_add_f32_e32 v80, 0, v155
	v_mul_f32_e32 v81, v85, v118
	s_waitcnt vmcnt(18)
	v_fma_f32 v78, v82, v136, -v78
	v_fmac_f32_e32 v157, v83, v136
	v_add_f32_e32 v3, v3, v79
	v_add_f32_e32 v79, v80, v156
	;; [unrolled: 6-line block ×15, first 2 shown]
	v_mul_f32_e32 v79, v113, v132
	s_waitcnt vmcnt(4)
	v_fma_f32 v80, v110, v150, -v80
	v_mul_f32_e32 v172, v112, v132
	v_add_f32_e32 v3, v3, v81
	v_fmac_f32_e32 v171, v111, v150
	v_add_f32_e32 v78, v78, v170
	s_waitcnt lgkmcnt(0)
	v_mul_f32_e32 v81, v115, v133
	s_waitcnt vmcnt(3)
	v_fma_f32 v79, v112, v151, -v79
	v_add_f32_e32 v3, v3, v80
	v_mul_f32_e32 v173, v114, v133
	v_fmac_f32_e32 v172, v113, v151
	v_add_f32_e32 v78, v78, v171
	s_waitcnt vmcnt(2)
	v_fma_f32 v80, v114, v152, -v81
	v_add_f32_e32 v3, v3, v79
	v_fmac_f32_e32 v173, v115, v152
	v_add_f32_e32 v78, v78, v172
	v_add_f32_e32 v3, v3, v80
	;; [unrolled: 1-line block ×3, first 2 shown]
	s_waitcnt vmcnt(1)
	v_sub_f32_e32 v3, v153, v3
	s_waitcnt vmcnt(0)
	v_sub_f32_e32 v78, v154, v78
	buffer_store_dword v3, off, s[0:3], 0 offset:136
	buffer_store_dword v78, off, s[0:3], 0 offset:140
	v_cmpx_lt_u32_e32 16, v0
	s_cbranch_execz .LBB100_203
; %bb.202:
	s_clause 0x1
	buffer_load_dword v78, off, s[0:3], 0 offset:128
	buffer_load_dword v79, off, s[0:3], 0 offset:132
	buffer_store_dword v2, off, s[0:3], 0 offset:128
	buffer_store_dword v2, off, s[0:3], 0 offset:132
	s_waitcnt vmcnt(0)
	ds_write_b64 v1, v[78:79]
.LBB100_203:
	s_or_b32 exec_lo, exec_lo, s4
	s_waitcnt lgkmcnt(0)
	s_waitcnt_vscnt null, 0x0
	s_barrier
	buffer_gl0_inv
	s_clause 0x29
	buffer_load_dword v3, off, s[0:3], 0 offset:140
	buffer_load_dword v118, off, s[0:3], 0 offset:148
	;; [unrolled: 1-line block ×42, first 2 shown]
	ds_read2_b64 v[78:81], v2 offset0:55 offset1:56
	ds_read2_b64 v[82:85], v2 offset0:57 offset1:58
	;; [unrolled: 1-line block ×10, first 2 shown]
	s_mov_b32 s4, exec_lo
	s_waitcnt vmcnt(41) lgkmcnt(9)
	v_mul_f32_e32 v2, v78, v3
	v_mul_f32_e32 v3, v79, v3
	s_waitcnt vmcnt(40)
	v_mul_f32_e32 v159, v80, v118
	v_mul_f32_e32 v118, v81, v118
	s_waitcnt vmcnt(39) lgkmcnt(8)
	v_mul_f32_e32 v160, v82, v119
	s_waitcnt vmcnt(38)
	v_mul_f32_e32 v161, v84, v120
	s_waitcnt vmcnt(37) lgkmcnt(7)
	v_mul_f32_e32 v162, v86, v121
	s_waitcnt vmcnt(36)
	;; [unrolled: 4-line block ×8, first 2 shown]
	v_mul_f32_e32 v175, v112, v134
	s_waitcnt vmcnt(21)
	v_fma_f32 v3, v78, v137, -v3
	v_fmac_f32_e32 v2, v79, v137
	v_mul_f32_e32 v78, v83, v119
	s_waitcnt vmcnt(20)
	v_fma_f32 v79, v80, v138, -v118
	v_fmac_f32_e32 v159, v81, v138
	v_add_f32_e32 v3, 0, v3
	v_add_f32_e32 v2, 0, v2
	v_mul_f32_e32 v80, v85, v120
	s_waitcnt vmcnt(19)
	v_fma_f32 v78, v82, v139, -v78
	v_fmac_f32_e32 v160, v83, v139
	v_add_f32_e32 v3, v3, v79
	v_add_f32_e32 v2, v2, v159
	;; [unrolled: 6-line block ×16, first 2 shown]
	s_waitcnt lgkmcnt(0)
	v_mul_f32_e32 v80, v115, v135
	s_waitcnt vmcnt(4)
	v_fma_f32 v78, v112, v154, -v78
	v_mul_f32_e32 v176, v114, v135
	v_add_f32_e32 v3, v3, v79
	v_fmac_f32_e32 v175, v113, v154
	v_add_f32_e32 v2, v2, v174
	v_mul_f32_e32 v79, v117, v136
	s_waitcnt vmcnt(3)
	v_fma_f32 v80, v114, v155, -v80
	v_add_f32_e32 v3, v3, v78
	v_mul_f32_e32 v177, v116, v136
	v_fmac_f32_e32 v176, v115, v155
	v_add_f32_e32 v2, v2, v175
	s_waitcnt vmcnt(2)
	v_fma_f32 v78, v116, v156, -v79
	v_add_f32_e32 v3, v3, v80
	v_fmac_f32_e32 v177, v117, v156
	v_add_f32_e32 v2, v2, v176
	v_add_f32_e32 v3, v3, v78
	;; [unrolled: 1-line block ×3, first 2 shown]
	s_waitcnt vmcnt(1)
	v_sub_f32_e32 v3, v157, v3
	s_waitcnt vmcnt(0)
	v_sub_f32_e32 v2, v158, v2
	buffer_store_dword v3, off, s[0:3], 0 offset:128
	buffer_store_dword v2, off, s[0:3], 0 offset:132
	v_cmpx_lt_u32_e32 15, v0
	s_cbranch_execz .LBB100_205
; %bb.204:
	s_clause 0x1
	buffer_load_dword v2, off, s[0:3], 0 offset:120
	buffer_load_dword v3, off, s[0:3], 0 offset:124
	v_mov_b32_e32 v78, 0
	buffer_store_dword v78, off, s[0:3], 0 offset:120
	buffer_store_dword v78, off, s[0:3], 0 offset:124
	s_waitcnt vmcnt(0)
	ds_write_b64 v1, v[2:3]
.LBB100_205:
	s_or_b32 exec_lo, exec_lo, s4
	s_waitcnt lgkmcnt(0)
	s_waitcnt_vscnt null, 0x0
	s_barrier
	buffer_gl0_inv
	s_clause 0x2b
	buffer_load_dword v3, off, s[0:3], 0 offset:132
	buffer_load_dword v120, off, s[0:3], 0 offset:140
	;; [unrolled: 1-line block ×44, first 2 shown]
	v_mov_b32_e32 v2, 0
	ds_read_b128 v[78:81], v2 offset:432
	ds_read_b128 v[82:85], v2 offset:448
	;; [unrolled: 1-line block ×10, first 2 shown]
	ds_read_b64 v[118:119], v2 offset:592
	s_mov_b32 s4, exec_lo
	s_waitcnt vmcnt(43) lgkmcnt(10)
	v_mul_f32_e32 v163, v78, v3
	v_mul_f32_e32 v3, v79, v3
	s_waitcnt vmcnt(42)
	v_mul_f32_e32 v164, v80, v120
	v_mul_f32_e32 v120, v81, v120
	s_waitcnt vmcnt(41) lgkmcnt(9)
	v_mul_f32_e32 v165, v82, v121
	s_waitcnt vmcnt(40)
	v_mul_f32_e32 v166, v84, v122
	s_waitcnt vmcnt(39) lgkmcnt(8)
	v_mul_f32_e32 v167, v86, v123
	s_waitcnt vmcnt(38)
	;; [unrolled: 4-line block ×9, first 2 shown]
	v_fma_f32 v3, v78, v140, -v3
	v_fmac_f32_e32 v163, v79, v140
	v_mul_f32_e32 v78, v83, v121
	s_waitcnt vmcnt(21)
	v_fma_f32 v79, v80, v141, -v120
	v_fmac_f32_e32 v164, v81, v141
	v_add_f32_e32 v3, 0, v3
	v_add_f32_e32 v80, 0, v163
	v_mul_f32_e32 v81, v85, v122
	s_waitcnt vmcnt(20)
	v_fma_f32 v78, v82, v142, -v78
	v_fmac_f32_e32 v165, v83, v142
	v_add_f32_e32 v3, v3, v79
	v_add_f32_e32 v79, v80, v164
	;; [unrolled: 6-line block ×17, first 2 shown]
	v_mul_f32_e32 v80, v117, v138
	s_waitcnt vmcnt(4)
	v_fma_f32 v81, v114, v158, -v81
	v_mul_f32_e32 v182, v116, v138
	v_add_f32_e32 v3, v3, v79
	v_fmac_f32_e32 v181, v115, v158
	v_add_f32_e32 v78, v78, v180
	s_waitcnt lgkmcnt(0)
	v_mul_f32_e32 v79, v119, v139
	s_waitcnt vmcnt(3)
	v_fma_f32 v80, v116, v159, -v80
	v_add_f32_e32 v3, v3, v81
	v_mul_f32_e32 v183, v118, v139
	v_fmac_f32_e32 v182, v117, v159
	v_add_f32_e32 v78, v78, v181
	s_waitcnt vmcnt(2)
	v_fma_f32 v79, v118, v160, -v79
	v_add_f32_e32 v3, v3, v80
	v_fmac_f32_e32 v183, v119, v160
	v_add_f32_e32 v78, v78, v182
	v_add_f32_e32 v3, v3, v79
	;; [unrolled: 1-line block ×3, first 2 shown]
	s_waitcnt vmcnt(1)
	v_sub_f32_e32 v3, v161, v3
	s_waitcnt vmcnt(0)
	v_sub_f32_e32 v78, v162, v78
	buffer_store_dword v3, off, s[0:3], 0 offset:120
	buffer_store_dword v78, off, s[0:3], 0 offset:124
	v_cmpx_lt_u32_e32 14, v0
	s_cbranch_execz .LBB100_207
; %bb.206:
	s_clause 0x1
	buffer_load_dword v78, off, s[0:3], 0 offset:112
	buffer_load_dword v79, off, s[0:3], 0 offset:116
	buffer_store_dword v2, off, s[0:3], 0 offset:112
	buffer_store_dword v2, off, s[0:3], 0 offset:116
	s_waitcnt vmcnt(0)
	ds_write_b64 v1, v[78:79]
.LBB100_207:
	s_or_b32 exec_lo, exec_lo, s4
	s_waitcnt lgkmcnt(0)
	s_waitcnt_vscnt null, 0x0
	s_barrier
	buffer_gl0_inv
	s_clause 0x2d
	buffer_load_dword v3, off, s[0:3], 0 offset:124
	buffer_load_dword v122, off, s[0:3], 0 offset:132
	;; [unrolled: 1-line block ×46, first 2 shown]
	ds_read2_b64 v[78:81], v2 offset0:53 offset1:54
	ds_read2_b64 v[82:85], v2 offset0:55 offset1:56
	;; [unrolled: 1-line block ×11, first 2 shown]
	s_mov_b32 s4, exec_lo
	s_waitcnt vmcnt(45) lgkmcnt(10)
	v_mul_f32_e32 v2, v78, v3
	v_mul_f32_e32 v3, v79, v3
	s_waitcnt vmcnt(44)
	v_mul_f32_e32 v167, v80, v122
	v_mul_f32_e32 v122, v81, v122
	s_waitcnt vmcnt(43) lgkmcnt(9)
	v_mul_f32_e32 v168, v82, v123
	s_waitcnt vmcnt(42)
	v_mul_f32_e32 v169, v84, v124
	s_waitcnt vmcnt(41) lgkmcnt(8)
	v_mul_f32_e32 v170, v86, v125
	s_waitcnt vmcnt(40)
	;; [unrolled: 4-line block ×9, first 2 shown]
	v_mul_f32_e32 v185, v116, v140
	s_waitcnt vmcnt(23)
	v_fma_f32 v3, v78, v143, -v3
	v_fmac_f32_e32 v2, v79, v143
	v_mul_f32_e32 v78, v83, v123
	s_waitcnt vmcnt(22)
	v_fma_f32 v79, v80, v144, -v122
	v_fmac_f32_e32 v167, v81, v144
	v_add_f32_e32 v3, 0, v3
	v_add_f32_e32 v2, 0, v2
	v_mul_f32_e32 v80, v85, v124
	s_waitcnt vmcnt(21)
	v_fma_f32 v78, v82, v145, -v78
	v_fmac_f32_e32 v168, v83, v145
	v_add_f32_e32 v3, v3, v79
	v_add_f32_e32 v2, v2, v167
	;; [unrolled: 6-line block ×18, first 2 shown]
	s_waitcnt lgkmcnt(0)
	v_mul_f32_e32 v78, v119, v141
	s_waitcnt vmcnt(4)
	v_fma_f32 v79, v116, v162, -v79
	v_mul_f32_e32 v186, v118, v141
	v_add_f32_e32 v3, v3, v80
	v_fmac_f32_e32 v185, v117, v162
	v_add_f32_e32 v2, v2, v184
	v_mul_f32_e32 v80, v121, v142
	s_waitcnt vmcnt(3)
	v_fma_f32 v78, v118, v163, -v78
	v_add_f32_e32 v3, v3, v79
	v_mul_f32_e32 v187, v120, v142
	v_fmac_f32_e32 v186, v119, v163
	v_add_f32_e32 v2, v2, v185
	s_waitcnt vmcnt(2)
	v_fma_f32 v79, v120, v164, -v80
	v_add_f32_e32 v3, v3, v78
	v_fmac_f32_e32 v187, v121, v164
	v_add_f32_e32 v2, v2, v186
	v_add_f32_e32 v3, v3, v79
	;; [unrolled: 1-line block ×3, first 2 shown]
	s_waitcnt vmcnt(1)
	v_sub_f32_e32 v3, v165, v3
	s_waitcnt vmcnt(0)
	v_sub_f32_e32 v2, v166, v2
	buffer_store_dword v3, off, s[0:3], 0 offset:112
	buffer_store_dword v2, off, s[0:3], 0 offset:116
	v_cmpx_lt_u32_e32 13, v0
	s_cbranch_execz .LBB100_209
; %bb.208:
	s_clause 0x1
	buffer_load_dword v2, off, s[0:3], 0 offset:104
	buffer_load_dword v3, off, s[0:3], 0 offset:108
	v_mov_b32_e32 v78, 0
	buffer_store_dword v78, off, s[0:3], 0 offset:104
	buffer_store_dword v78, off, s[0:3], 0 offset:108
	s_waitcnt vmcnt(0)
	ds_write_b64 v1, v[2:3]
.LBB100_209:
	s_or_b32 exec_lo, exec_lo, s4
	s_waitcnt lgkmcnt(0)
	s_waitcnt_vscnt null, 0x0
	s_barrier
	buffer_gl0_inv
	s_clause 0x2f
	buffer_load_dword v3, off, s[0:3], 0 offset:116
	buffer_load_dword v124, off, s[0:3], 0 offset:124
	buffer_load_dword v125, off, s[0:3], 0 offset:132
	buffer_load_dword v126, off, s[0:3], 0 offset:140
	buffer_load_dword v127, off, s[0:3], 0 offset:148
	buffer_load_dword v128, off, s[0:3], 0 offset:156
	buffer_load_dword v129, off, s[0:3], 0 offset:164
	buffer_load_dword v130, off, s[0:3], 0 offset:172
	buffer_load_dword v131, off, s[0:3], 0 offset:180
	buffer_load_dword v132, off, s[0:3], 0 offset:188
	buffer_load_dword v133, off, s[0:3], 0 offset:196
	buffer_load_dword v134, off, s[0:3], 0 offset:204
	buffer_load_dword v135, off, s[0:3], 0 offset:212
	buffer_load_dword v136, off, s[0:3], 0 offset:220
	buffer_load_dword v137, off, s[0:3], 0 offset:228
	buffer_load_dword v138, off, s[0:3], 0 offset:236
	buffer_load_dword v139, off, s[0:3], 0 offset:244
	buffer_load_dword v140, off, s[0:3], 0 offset:252
	buffer_load_dword v141, off, s[0:3], 0 offset:260
	buffer_load_dword v142, off, s[0:3], 0 offset:268
	buffer_load_dword v143, off, s[0:3], 0 offset:276
	buffer_load_dword v144, off, s[0:3], 0 offset:284
	buffer_load_dword v145, off, s[0:3], 0 offset:292
	buffer_load_dword v146, off, s[0:3], 0 offset:112
	buffer_load_dword v147, off, s[0:3], 0 offset:120
	buffer_load_dword v148, off, s[0:3], 0 offset:128
	buffer_load_dword v149, off, s[0:3], 0 offset:136
	buffer_load_dword v150, off, s[0:3], 0 offset:144
	buffer_load_dword v151, off, s[0:3], 0 offset:152
	buffer_load_dword v152, off, s[0:3], 0 offset:160
	buffer_load_dword v153, off, s[0:3], 0 offset:168
	buffer_load_dword v154, off, s[0:3], 0 offset:176
	buffer_load_dword v155, off, s[0:3], 0 offset:184
	buffer_load_dword v156, off, s[0:3], 0 offset:192
	buffer_load_dword v157, off, s[0:3], 0 offset:200
	buffer_load_dword v158, off, s[0:3], 0 offset:208
	buffer_load_dword v159, off, s[0:3], 0 offset:216
	buffer_load_dword v160, off, s[0:3], 0 offset:224
	buffer_load_dword v161, off, s[0:3], 0 offset:232
	buffer_load_dword v162, off, s[0:3], 0 offset:240
	buffer_load_dword v163, off, s[0:3], 0 offset:248
	buffer_load_dword v164, off, s[0:3], 0 offset:256
	buffer_load_dword v165, off, s[0:3], 0 offset:264
	buffer_load_dword v166, off, s[0:3], 0 offset:272
	buffer_load_dword v167, off, s[0:3], 0 offset:280
	buffer_load_dword v168, off, s[0:3], 0 offset:288
	buffer_load_dword v169, off, s[0:3], 0 offset:104
	buffer_load_dword v170, off, s[0:3], 0 offset:108
	v_mov_b32_e32 v2, 0
	ds_read_b128 v[78:81], v2 offset:416
	ds_read_b128 v[82:85], v2 offset:432
	;; [unrolled: 1-line block ×11, first 2 shown]
	ds_read_b64 v[122:123], v2 offset:592
	s_mov_b32 s4, exec_lo
	s_waitcnt vmcnt(47) lgkmcnt(11)
	v_mul_f32_e32 v171, v78, v3
	v_mul_f32_e32 v3, v79, v3
	s_waitcnt vmcnt(46)
	v_mul_f32_e32 v172, v80, v124
	v_mul_f32_e32 v124, v81, v124
	s_waitcnt vmcnt(45) lgkmcnt(10)
	v_mul_f32_e32 v173, v82, v125
	s_waitcnt vmcnt(44)
	v_mul_f32_e32 v174, v84, v126
	s_waitcnt vmcnt(43) lgkmcnt(9)
	v_mul_f32_e32 v175, v86, v127
	s_waitcnt vmcnt(42)
	;; [unrolled: 4-line block ×10, first 2 shown]
	v_fma_f32 v3, v78, v146, -v3
	v_fmac_f32_e32 v171, v79, v146
	v_mul_f32_e32 v78, v83, v125
	s_waitcnt vmcnt(23)
	v_fma_f32 v79, v80, v147, -v124
	v_fmac_f32_e32 v172, v81, v147
	v_add_f32_e32 v3, 0, v3
	v_add_f32_e32 v80, 0, v171
	v_mul_f32_e32 v81, v85, v126
	s_waitcnt vmcnt(22)
	v_fma_f32 v78, v82, v148, -v78
	v_fmac_f32_e32 v173, v83, v148
	v_add_f32_e32 v3, v3, v79
	v_add_f32_e32 v79, v80, v172
	;; [unrolled: 6-line block ×19, first 2 shown]
	v_mul_f32_e32 v81, v121, v144
	s_waitcnt vmcnt(4)
	v_fma_f32 v79, v118, v166, -v79
	v_mul_f32_e32 v192, v120, v144
	v_add_f32_e32 v3, v3, v80
	v_fmac_f32_e32 v191, v119, v166
	v_add_f32_e32 v78, v78, v190
	s_waitcnt lgkmcnt(0)
	v_mul_f32_e32 v80, v123, v145
	s_waitcnt vmcnt(3)
	v_fma_f32 v81, v120, v167, -v81
	v_add_f32_e32 v3, v3, v79
	v_mul_f32_e32 v193, v122, v145
	v_fmac_f32_e32 v192, v121, v167
	v_add_f32_e32 v78, v78, v191
	s_waitcnt vmcnt(2)
	v_fma_f32 v79, v122, v168, -v80
	v_add_f32_e32 v3, v3, v81
	v_fmac_f32_e32 v193, v123, v168
	v_add_f32_e32 v78, v78, v192
	v_add_f32_e32 v3, v3, v79
	;; [unrolled: 1-line block ×3, first 2 shown]
	s_waitcnt vmcnt(1)
	v_sub_f32_e32 v3, v169, v3
	s_waitcnt vmcnt(0)
	v_sub_f32_e32 v78, v170, v78
	buffer_store_dword v3, off, s[0:3], 0 offset:104
	buffer_store_dword v78, off, s[0:3], 0 offset:108
	v_cmpx_lt_u32_e32 12, v0
	s_cbranch_execz .LBB100_211
; %bb.210:
	s_clause 0x1
	buffer_load_dword v78, off, s[0:3], 0 offset:96
	buffer_load_dword v79, off, s[0:3], 0 offset:100
	buffer_store_dword v2, off, s[0:3], 0 offset:96
	buffer_store_dword v2, off, s[0:3], 0 offset:100
	s_waitcnt vmcnt(0)
	ds_write_b64 v1, v[78:79]
.LBB100_211:
	s_or_b32 exec_lo, exec_lo, s4
	s_waitcnt lgkmcnt(0)
	s_waitcnt_vscnt null, 0x0
	s_barrier
	buffer_gl0_inv
	s_clause 0x31
	buffer_load_dword v3, off, s[0:3], 0 offset:108
	buffer_load_dword v126, off, s[0:3], 0 offset:116
	;; [unrolled: 1-line block ×50, first 2 shown]
	ds_read2_b64 v[78:81], v2 offset0:51 offset1:52
	ds_read2_b64 v[82:85], v2 offset0:53 offset1:54
	;; [unrolled: 1-line block ×12, first 2 shown]
	s_mov_b32 s4, exec_lo
	s_waitcnt vmcnt(49) lgkmcnt(11)
	v_mul_f32_e32 v2, v78, v3
	v_mul_f32_e32 v3, v79, v3
	s_waitcnt vmcnt(48)
	v_mul_f32_e32 v175, v80, v126
	v_mul_f32_e32 v126, v81, v126
	s_waitcnt vmcnt(47) lgkmcnt(10)
	v_mul_f32_e32 v176, v82, v127
	s_waitcnt vmcnt(46)
	v_mul_f32_e32 v177, v84, v128
	s_waitcnt vmcnt(45) lgkmcnt(9)
	v_mul_f32_e32 v178, v86, v129
	s_waitcnt vmcnt(44)
	v_mul_f32_e32 v179, v88, v130
	s_waitcnt vmcnt(43) lgkmcnt(8)
	v_mul_f32_e32 v180, v90, v131
	s_waitcnt vmcnt(42)
	v_mul_f32_e32 v181, v92, v132
	s_waitcnt vmcnt(41) lgkmcnt(7)
	v_mul_f32_e32 v182, v94, v133
	s_waitcnt vmcnt(40)
	v_mul_f32_e32 v183, v96, v134
	s_waitcnt vmcnt(39) lgkmcnt(6)
	v_mul_f32_e32 v184, v98, v135
	s_waitcnt vmcnt(38)
	v_mul_f32_e32 v185, v100, v136
	s_waitcnt vmcnt(37) lgkmcnt(5)
	v_mul_f32_e32 v186, v102, v137
	s_waitcnt vmcnt(36)
	v_mul_f32_e32 v187, v104, v138
	s_waitcnt vmcnt(35) lgkmcnt(4)
	v_mul_f32_e32 v188, v106, v139
	s_waitcnt vmcnt(34)
	v_mul_f32_e32 v189, v108, v140
	s_waitcnt vmcnt(33) lgkmcnt(3)
	v_mul_f32_e32 v190, v110, v141
	s_waitcnt vmcnt(32)
	v_mul_f32_e32 v191, v112, v142
	s_waitcnt vmcnt(31) lgkmcnt(2)
	v_mul_f32_e32 v192, v114, v143
	s_waitcnt vmcnt(30)
	v_mul_f32_e32 v193, v116, v144
	s_waitcnt vmcnt(29) lgkmcnt(1)
	v_mul_f32_e32 v194, v118, v145
	s_waitcnt vmcnt(28)
	v_mul_f32_e32 v195, v120, v146
	s_waitcnt vmcnt(25)
	v_fma_f32 v3, v78, v149, -v3
	v_fmac_f32_e32 v2, v79, v149
	v_mul_f32_e32 v78, v83, v127
	s_waitcnt vmcnt(24)
	v_fma_f32 v79, v80, v150, -v126
	v_fmac_f32_e32 v175, v81, v150
	v_add_f32_e32 v3, 0, v3
	v_add_f32_e32 v2, 0, v2
	v_mul_f32_e32 v80, v85, v128
	s_waitcnt vmcnt(23)
	v_fma_f32 v78, v82, v151, -v78
	v_fmac_f32_e32 v176, v83, v151
	v_add_f32_e32 v3, v3, v79
	v_add_f32_e32 v2, v2, v175
	;; [unrolled: 6-line block ×20, first 2 shown]
	s_waitcnt lgkmcnt(0)
	v_mul_f32_e32 v79, v123, v147
	s_waitcnt vmcnt(4)
	v_fma_f32 v80, v120, v170, -v80
	v_mul_f32_e32 v196, v122, v147
	v_add_f32_e32 v3, v3, v78
	v_fmac_f32_e32 v195, v121, v170
	v_add_f32_e32 v2, v2, v194
	v_mul_f32_e32 v78, v125, v148
	s_waitcnt vmcnt(3)
	v_fma_f32 v79, v122, v171, -v79
	v_add_f32_e32 v3, v3, v80
	v_mul_f32_e32 v197, v124, v148
	v_fmac_f32_e32 v196, v123, v171
	v_add_f32_e32 v2, v2, v195
	s_waitcnt vmcnt(2)
	v_fma_f32 v78, v124, v172, -v78
	v_add_f32_e32 v3, v3, v79
	v_fmac_f32_e32 v197, v125, v172
	v_add_f32_e32 v2, v2, v196
	v_add_f32_e32 v3, v3, v78
	;; [unrolled: 1-line block ×3, first 2 shown]
	s_waitcnt vmcnt(1)
	v_sub_f32_e32 v3, v173, v3
	s_waitcnt vmcnt(0)
	v_sub_f32_e32 v2, v174, v2
	buffer_store_dword v3, off, s[0:3], 0 offset:96
	buffer_store_dword v2, off, s[0:3], 0 offset:100
	v_cmpx_lt_u32_e32 11, v0
	s_cbranch_execz .LBB100_213
; %bb.212:
	s_clause 0x1
	buffer_load_dword v2, off, s[0:3], 0 offset:88
	buffer_load_dword v3, off, s[0:3], 0 offset:92
	v_mov_b32_e32 v78, 0
	buffer_store_dword v78, off, s[0:3], 0 offset:88
	buffer_store_dword v78, off, s[0:3], 0 offset:92
	s_waitcnt vmcnt(0)
	ds_write_b64 v1, v[2:3]
.LBB100_213:
	s_or_b32 exec_lo, exec_lo, s4
	s_waitcnt lgkmcnt(0)
	s_waitcnt_vscnt null, 0x0
	s_barrier
	buffer_gl0_inv
	s_clause 0x33
	buffer_load_dword v3, off, s[0:3], 0 offset:100
	buffer_load_dword v128, off, s[0:3], 0 offset:108
	;; [unrolled: 1-line block ×52, first 2 shown]
	v_mov_b32_e32 v2, 0
	ds_read_b128 v[78:81], v2 offset:400
	ds_read_b128 v[82:85], v2 offset:416
	;; [unrolled: 1-line block ×12, first 2 shown]
	ds_read_b64 v[126:127], v2 offset:592
	s_mov_b32 s4, exec_lo
	s_waitcnt vmcnt(51) lgkmcnt(12)
	v_mul_f32_e32 v179, v78, v3
	v_mul_f32_e32 v3, v79, v3
	s_waitcnt vmcnt(50)
	v_mul_f32_e32 v180, v80, v128
	v_mul_f32_e32 v128, v81, v128
	s_waitcnt vmcnt(49) lgkmcnt(11)
	v_mul_f32_e32 v181, v82, v129
	s_waitcnt vmcnt(48)
	v_mul_f32_e32 v182, v84, v130
	s_waitcnt vmcnt(47) lgkmcnt(10)
	v_mul_f32_e32 v183, v86, v131
	s_waitcnt vmcnt(46)
	;; [unrolled: 4-line block ×11, first 2 shown]
	v_fma_f32 v3, v78, v152, -v3
	v_fmac_f32_e32 v179, v79, v152
	v_mul_f32_e32 v78, v83, v129
	s_waitcnt vmcnt(25)
	v_fma_f32 v79, v80, v153, -v128
	v_fmac_f32_e32 v180, v81, v153
	v_add_f32_e32 v3, 0, v3
	v_add_f32_e32 v80, 0, v179
	v_mul_f32_e32 v81, v85, v130
	s_waitcnt vmcnt(24)
	v_fma_f32 v78, v82, v154, -v78
	v_fmac_f32_e32 v181, v83, v154
	v_add_f32_e32 v3, v3, v79
	v_add_f32_e32 v79, v80, v180
	;; [unrolled: 6-line block ×21, first 2 shown]
	v_mul_f32_e32 v79, v125, v150
	s_waitcnt vmcnt(4)
	v_fma_f32 v80, v122, v174, -v80
	v_mul_f32_e32 v202, v124, v150
	v_add_f32_e32 v3, v3, v81
	v_fmac_f32_e32 v201, v123, v174
	v_add_f32_e32 v78, v78, v200
	s_waitcnt lgkmcnt(0)
	v_mul_f32_e32 v81, v127, v151
	s_waitcnt vmcnt(3)
	v_fma_f32 v79, v124, v175, -v79
	v_add_f32_e32 v3, v3, v80
	v_mul_f32_e32 v203, v126, v151
	v_fmac_f32_e32 v202, v125, v175
	v_add_f32_e32 v78, v78, v201
	s_waitcnt vmcnt(2)
	v_fma_f32 v80, v126, v176, -v81
	v_add_f32_e32 v3, v3, v79
	v_fmac_f32_e32 v203, v127, v176
	v_add_f32_e32 v78, v78, v202
	v_add_f32_e32 v3, v3, v80
	;; [unrolled: 1-line block ×3, first 2 shown]
	s_waitcnt vmcnt(1)
	v_sub_f32_e32 v3, v177, v3
	s_waitcnt vmcnt(0)
	v_sub_f32_e32 v78, v178, v78
	buffer_store_dword v3, off, s[0:3], 0 offset:88
	buffer_store_dword v78, off, s[0:3], 0 offset:92
	v_cmpx_lt_u32_e32 10, v0
	s_cbranch_execz .LBB100_215
; %bb.214:
	s_clause 0x1
	buffer_load_dword v78, off, s[0:3], 0 offset:80
	buffer_load_dword v79, off, s[0:3], 0 offset:84
	buffer_store_dword v2, off, s[0:3], 0 offset:80
	buffer_store_dword v2, off, s[0:3], 0 offset:84
	s_waitcnt vmcnt(0)
	ds_write_b64 v1, v[78:79]
.LBB100_215:
	s_or_b32 exec_lo, exec_lo, s4
	s_waitcnt lgkmcnt(0)
	s_waitcnt_vscnt null, 0x0
	s_barrier
	buffer_gl0_inv
	s_clause 0x35
	buffer_load_dword v3, off, s[0:3], 0 offset:92
	buffer_load_dword v130, off, s[0:3], 0 offset:100
	;; [unrolled: 1-line block ×54, first 2 shown]
	ds_read2_b64 v[78:81], v2 offset0:49 offset1:50
	ds_read2_b64 v[82:85], v2 offset0:51 offset1:52
	;; [unrolled: 1-line block ×13, first 2 shown]
	s_mov_b32 s4, exec_lo
	s_waitcnt vmcnt(53) lgkmcnt(12)
	v_mul_f32_e32 v2, v78, v3
	v_mul_f32_e32 v3, v79, v3
	s_waitcnt vmcnt(52)
	v_mul_f32_e32 v183, v80, v130
	v_mul_f32_e32 v130, v81, v130
	s_waitcnt vmcnt(51) lgkmcnt(11)
	v_mul_f32_e32 v184, v82, v131
	s_waitcnt vmcnt(50)
	v_mul_f32_e32 v185, v84, v132
	s_waitcnt vmcnt(49) lgkmcnt(10)
	v_mul_f32_e32 v186, v86, v133
	s_waitcnt vmcnt(48)
	;; [unrolled: 4-line block ×11, first 2 shown]
	v_mul_f32_e32 v205, v124, v152
	s_waitcnt vmcnt(27)
	v_fma_f32 v3, v78, v155, -v3
	v_fmac_f32_e32 v2, v79, v155
	v_mul_f32_e32 v78, v83, v131
	s_waitcnt vmcnt(26)
	v_fma_f32 v79, v80, v156, -v130
	v_fmac_f32_e32 v183, v81, v156
	v_add_f32_e32 v3, 0, v3
	v_add_f32_e32 v2, 0, v2
	v_mul_f32_e32 v80, v85, v132
	s_waitcnt vmcnt(25)
	v_fma_f32 v78, v82, v157, -v78
	v_fmac_f32_e32 v184, v83, v157
	v_add_f32_e32 v3, v3, v79
	v_add_f32_e32 v2, v2, v183
	;; [unrolled: 6-line block ×22, first 2 shown]
	s_waitcnt lgkmcnt(0)
	v_mul_f32_e32 v80, v127, v153
	s_waitcnt vmcnt(4)
	v_fma_f32 v78, v124, v178, -v78
	v_mul_f32_e32 v206, v126, v153
	v_add_f32_e32 v3, v3, v79
	v_fmac_f32_e32 v205, v125, v178
	v_add_f32_e32 v2, v2, v204
	v_mul_f32_e32 v79, v129, v154
	s_waitcnt vmcnt(3)
	v_fma_f32 v80, v126, v179, -v80
	v_add_f32_e32 v3, v3, v78
	v_mul_f32_e32 v207, v128, v154
	v_fmac_f32_e32 v206, v127, v179
	v_add_f32_e32 v2, v2, v205
	s_waitcnt vmcnt(2)
	v_fma_f32 v78, v128, v180, -v79
	v_add_f32_e32 v3, v3, v80
	v_fmac_f32_e32 v207, v129, v180
	v_add_f32_e32 v2, v2, v206
	v_add_f32_e32 v3, v3, v78
	v_add_f32_e32 v2, v2, v207
	s_waitcnt vmcnt(1)
	v_sub_f32_e32 v3, v181, v3
	s_waitcnt vmcnt(0)
	v_sub_f32_e32 v2, v182, v2
	buffer_store_dword v3, off, s[0:3], 0 offset:80
	buffer_store_dword v2, off, s[0:3], 0 offset:84
	v_cmpx_lt_u32_e32 9, v0
	s_cbranch_execz .LBB100_217
; %bb.216:
	s_clause 0x1
	buffer_load_dword v2, off, s[0:3], 0 offset:72
	buffer_load_dword v3, off, s[0:3], 0 offset:76
	v_mov_b32_e32 v78, 0
	buffer_store_dword v78, off, s[0:3], 0 offset:72
	buffer_store_dword v78, off, s[0:3], 0 offset:76
	s_waitcnt vmcnt(0)
	ds_write_b64 v1, v[2:3]
.LBB100_217:
	s_or_b32 exec_lo, exec_lo, s4
	s_waitcnt lgkmcnt(0)
	s_waitcnt_vscnt null, 0x0
	s_barrier
	buffer_gl0_inv
	s_clause 0x37
	buffer_load_dword v3, off, s[0:3], 0 offset:84
	buffer_load_dword v132, off, s[0:3], 0 offset:92
	;; [unrolled: 1-line block ×56, first 2 shown]
	v_mov_b32_e32 v2, 0
	ds_read_b128 v[78:81], v2 offset:384
	ds_read_b128 v[82:85], v2 offset:400
	ds_read_b128 v[86:89], v2 offset:416
	ds_read_b128 v[90:93], v2 offset:432
	ds_read_b128 v[94:97], v2 offset:448
	ds_read_b128 v[98:101], v2 offset:464
	ds_read_b128 v[102:105], v2 offset:480
	ds_read_b128 v[106:109], v2 offset:496
	ds_read_b128 v[110:113], v2 offset:512
	ds_read_b128 v[114:117], v2 offset:528
	ds_read_b128 v[118:121], v2 offset:544
	ds_read_b128 v[122:125], v2 offset:560
	ds_read_b128 v[126:129], v2 offset:576
	ds_read_b64 v[130:131], v2 offset:592
	s_mov_b32 s4, exec_lo
	s_waitcnt vmcnt(55) lgkmcnt(13)
	v_mul_f32_e32 v187, v78, v3
	v_mul_f32_e32 v3, v79, v3
	s_waitcnt vmcnt(54)
	v_mul_f32_e32 v188, v80, v132
	v_mul_f32_e32 v132, v81, v132
	s_waitcnt vmcnt(53) lgkmcnt(12)
	v_mul_f32_e32 v189, v82, v133
	s_waitcnt vmcnt(52)
	v_mul_f32_e32 v190, v84, v134
	s_waitcnt vmcnt(51) lgkmcnt(11)
	v_mul_f32_e32 v191, v86, v135
	s_waitcnt vmcnt(50)
	;; [unrolled: 4-line block ×12, first 2 shown]
	v_fma_f32 v3, v78, v158, -v3
	v_fmac_f32_e32 v187, v79, v158
	v_mul_f32_e32 v78, v83, v133
	s_waitcnt vmcnt(27)
	v_fma_f32 v79, v80, v159, -v132
	v_fmac_f32_e32 v188, v81, v159
	v_add_f32_e32 v3, 0, v3
	v_add_f32_e32 v80, 0, v187
	v_mul_f32_e32 v81, v85, v134
	s_waitcnt vmcnt(26)
	v_fma_f32 v78, v82, v160, -v78
	v_fmac_f32_e32 v189, v83, v160
	v_add_f32_e32 v3, v3, v79
	v_add_f32_e32 v79, v80, v188
	;; [unrolled: 6-line block ×23, first 2 shown]
	v_mul_f32_e32 v80, v129, v156
	s_waitcnt vmcnt(4)
	v_fma_f32 v81, v126, v182, -v81
	v_mul_f32_e32 v212, v128, v156
	v_add_f32_e32 v3, v3, v79
	v_fmac_f32_e32 v211, v127, v182
	v_add_f32_e32 v78, v78, v210
	s_waitcnt lgkmcnt(0)
	v_mul_f32_e32 v79, v131, v157
	s_waitcnt vmcnt(3)
	v_fma_f32 v80, v128, v183, -v80
	v_add_f32_e32 v3, v3, v81
	v_mul_f32_e32 v213, v130, v157
	v_fmac_f32_e32 v212, v129, v183
	v_add_f32_e32 v78, v78, v211
	s_waitcnt vmcnt(2)
	v_fma_f32 v79, v130, v184, -v79
	v_add_f32_e32 v3, v3, v80
	v_fmac_f32_e32 v213, v131, v184
	v_add_f32_e32 v78, v78, v212
	v_add_f32_e32 v3, v3, v79
	v_add_f32_e32 v78, v78, v213
	s_waitcnt vmcnt(1)
	v_sub_f32_e32 v3, v185, v3
	s_waitcnt vmcnt(0)
	v_sub_f32_e32 v78, v186, v78
	buffer_store_dword v3, off, s[0:3], 0 offset:72
	buffer_store_dword v78, off, s[0:3], 0 offset:76
	v_cmpx_lt_u32_e32 8, v0
	s_cbranch_execz .LBB100_219
; %bb.218:
	s_clause 0x1
	buffer_load_dword v78, off, s[0:3], 0 offset:64
	buffer_load_dword v79, off, s[0:3], 0 offset:68
	buffer_store_dword v2, off, s[0:3], 0 offset:64
	buffer_store_dword v2, off, s[0:3], 0 offset:68
	s_waitcnt vmcnt(0)
	ds_write_b64 v1, v[78:79]
.LBB100_219:
	s_or_b32 exec_lo, exec_lo, s4
	s_waitcnt lgkmcnt(0)
	s_waitcnt_vscnt null, 0x0
	s_barrier
	buffer_gl0_inv
	s_clause 0x39
	buffer_load_dword v3, off, s[0:3], 0 offset:76
	buffer_load_dword v134, off, s[0:3], 0 offset:84
	;; [unrolled: 1-line block ×58, first 2 shown]
	ds_read2_b64 v[78:81], v2 offset0:47 offset1:48
	ds_read2_b64 v[82:85], v2 offset0:49 offset1:50
	ds_read2_b64 v[86:89], v2 offset0:51 offset1:52
	ds_read2_b64 v[90:93], v2 offset0:53 offset1:54
	ds_read2_b64 v[94:97], v2 offset0:55 offset1:56
	ds_read2_b64 v[98:101], v2 offset0:57 offset1:58
	ds_read2_b64 v[102:105], v2 offset0:59 offset1:60
	ds_read2_b64 v[106:109], v2 offset0:61 offset1:62
	ds_read2_b64 v[110:113], v2 offset0:63 offset1:64
	ds_read2_b64 v[114:117], v2 offset0:65 offset1:66
	ds_read2_b64 v[118:121], v2 offset0:67 offset1:68
	ds_read2_b64 v[122:125], v2 offset0:69 offset1:70
	ds_read2_b64 v[126:129], v2 offset0:71 offset1:72
	ds_read2_b64 v[130:133], v2 offset0:73 offset1:74
	s_mov_b32 s4, exec_lo
	s_waitcnt vmcnt(57) lgkmcnt(13)
	v_mul_f32_e32 v2, v78, v3
	v_mul_f32_e32 v3, v79, v3
	s_waitcnt vmcnt(56)
	v_mul_f32_e32 v191, v80, v134
	v_mul_f32_e32 v134, v81, v134
	s_waitcnt vmcnt(55) lgkmcnt(12)
	v_mul_f32_e32 v192, v82, v135
	s_waitcnt vmcnt(54)
	v_mul_f32_e32 v193, v84, v136
	s_waitcnt vmcnt(53) lgkmcnt(11)
	v_mul_f32_e32 v194, v86, v137
	s_waitcnt vmcnt(52)
	;; [unrolled: 4-line block ×12, first 2 shown]
	v_mul_f32_e32 v215, v128, v158
	s_waitcnt vmcnt(29)
	v_fma_f32 v3, v78, v161, -v3
	v_fmac_f32_e32 v2, v79, v161
	v_mul_f32_e32 v78, v83, v135
	s_waitcnt vmcnt(28)
	v_fma_f32 v79, v80, v162, -v134
	v_fmac_f32_e32 v191, v81, v162
	v_add_f32_e32 v3, 0, v3
	v_add_f32_e32 v2, 0, v2
	v_mul_f32_e32 v80, v85, v136
	s_waitcnt vmcnt(27)
	v_fma_f32 v78, v82, v163, -v78
	v_fmac_f32_e32 v192, v83, v163
	v_add_f32_e32 v3, v3, v79
	v_add_f32_e32 v2, v2, v191
	;; [unrolled: 6-line block ×24, first 2 shown]
	s_waitcnt lgkmcnt(0)
	v_mul_f32_e32 v78, v131, v159
	s_waitcnt vmcnt(4)
	v_fma_f32 v79, v128, v186, -v79
	v_mul_f32_e32 v216, v130, v159
	v_add_f32_e32 v3, v3, v80
	v_fmac_f32_e32 v215, v129, v186
	v_add_f32_e32 v2, v2, v214
	v_mul_f32_e32 v80, v133, v160
	s_waitcnt vmcnt(3)
	v_fma_f32 v78, v130, v187, -v78
	v_add_f32_e32 v3, v3, v79
	v_mul_f32_e32 v217, v132, v160
	v_fmac_f32_e32 v216, v131, v187
	v_add_f32_e32 v2, v2, v215
	s_waitcnt vmcnt(2)
	v_fma_f32 v79, v132, v188, -v80
	v_add_f32_e32 v3, v3, v78
	v_fmac_f32_e32 v217, v133, v188
	v_add_f32_e32 v2, v2, v216
	v_add_f32_e32 v3, v3, v79
	v_add_f32_e32 v2, v2, v217
	s_waitcnt vmcnt(1)
	v_sub_f32_e32 v3, v189, v3
	s_waitcnt vmcnt(0)
	v_sub_f32_e32 v2, v190, v2
	buffer_store_dword v3, off, s[0:3], 0 offset:64
	buffer_store_dword v2, off, s[0:3], 0 offset:68
	v_cmpx_lt_u32_e32 7, v0
	s_cbranch_execz .LBB100_221
; %bb.220:
	s_clause 0x1
	buffer_load_dword v2, off, s[0:3], 0 offset:56
	buffer_load_dword v3, off, s[0:3], 0 offset:60
	v_mov_b32_e32 v78, 0
	buffer_store_dword v78, off, s[0:3], 0 offset:56
	buffer_store_dword v78, off, s[0:3], 0 offset:60
	s_waitcnt vmcnt(0)
	ds_write_b64 v1, v[2:3]
.LBB100_221:
	s_or_b32 exec_lo, exec_lo, s4
	s_waitcnt lgkmcnt(0)
	s_waitcnt_vscnt null, 0x0
	s_barrier
	buffer_gl0_inv
	s_clause 0x3b
	buffer_load_dword v3, off, s[0:3], 0 offset:68
	buffer_load_dword v136, off, s[0:3], 0 offset:76
	buffer_load_dword v137, off, s[0:3], 0 offset:84
	buffer_load_dword v138, off, s[0:3], 0 offset:92
	buffer_load_dword v139, off, s[0:3], 0 offset:100
	buffer_load_dword v140, off, s[0:3], 0 offset:108
	buffer_load_dword v141, off, s[0:3], 0 offset:116
	buffer_load_dword v142, off, s[0:3], 0 offset:124
	buffer_load_dword v143, off, s[0:3], 0 offset:132
	buffer_load_dword v144, off, s[0:3], 0 offset:140
	buffer_load_dword v145, off, s[0:3], 0 offset:148
	buffer_load_dword v146, off, s[0:3], 0 offset:156
	buffer_load_dword v147, off, s[0:3], 0 offset:164
	buffer_load_dword v148, off, s[0:3], 0 offset:172
	buffer_load_dword v149, off, s[0:3], 0 offset:180
	buffer_load_dword v150, off, s[0:3], 0 offset:188
	buffer_load_dword v151, off, s[0:3], 0 offset:196
	buffer_load_dword v152, off, s[0:3], 0 offset:204
	buffer_load_dword v153, off, s[0:3], 0 offset:212
	buffer_load_dword v154, off, s[0:3], 0 offset:220
	buffer_load_dword v155, off, s[0:3], 0 offset:228
	buffer_load_dword v156, off, s[0:3], 0 offset:236
	buffer_load_dword v157, off, s[0:3], 0 offset:244
	buffer_load_dword v158, off, s[0:3], 0 offset:252
	buffer_load_dword v159, off, s[0:3], 0 offset:260
	buffer_load_dword v160, off, s[0:3], 0 offset:268
	buffer_load_dword v161, off, s[0:3], 0 offset:276
	buffer_load_dword v162, off, s[0:3], 0 offset:284
	buffer_load_dword v163, off, s[0:3], 0 offset:292
	buffer_load_dword v164, off, s[0:3], 0 offset:64
	buffer_load_dword v165, off, s[0:3], 0 offset:72
	buffer_load_dword v166, off, s[0:3], 0 offset:80
	buffer_load_dword v167, off, s[0:3], 0 offset:88
	buffer_load_dword v168, off, s[0:3], 0 offset:96
	buffer_load_dword v169, off, s[0:3], 0 offset:104
	buffer_load_dword v170, off, s[0:3], 0 offset:112
	buffer_load_dword v171, off, s[0:3], 0 offset:120
	buffer_load_dword v172, off, s[0:3], 0 offset:128
	buffer_load_dword v173, off, s[0:3], 0 offset:136
	buffer_load_dword v174, off, s[0:3], 0 offset:144
	buffer_load_dword v175, off, s[0:3], 0 offset:152
	buffer_load_dword v176, off, s[0:3], 0 offset:160
	buffer_load_dword v177, off, s[0:3], 0 offset:168
	buffer_load_dword v178, off, s[0:3], 0 offset:176
	buffer_load_dword v179, off, s[0:3], 0 offset:184
	buffer_load_dword v180, off, s[0:3], 0 offset:192
	buffer_load_dword v181, off, s[0:3], 0 offset:200
	buffer_load_dword v182, off, s[0:3], 0 offset:208
	buffer_load_dword v183, off, s[0:3], 0 offset:216
	buffer_load_dword v184, off, s[0:3], 0 offset:224
	buffer_load_dword v185, off, s[0:3], 0 offset:232
	buffer_load_dword v186, off, s[0:3], 0 offset:240
	buffer_load_dword v187, off, s[0:3], 0 offset:248
	buffer_load_dword v188, off, s[0:3], 0 offset:256
	buffer_load_dword v189, off, s[0:3], 0 offset:264
	buffer_load_dword v190, off, s[0:3], 0 offset:272
	buffer_load_dword v191, off, s[0:3], 0 offset:280
	buffer_load_dword v192, off, s[0:3], 0 offset:288
	buffer_load_dword v193, off, s[0:3], 0 offset:56
	buffer_load_dword v194, off, s[0:3], 0 offset:60
	v_mov_b32_e32 v2, 0
	ds_read_b128 v[78:81], v2 offset:368
	ds_read_b128 v[82:85], v2 offset:384
	;; [unrolled: 1-line block ×14, first 2 shown]
	ds_read_b64 v[134:135], v2 offset:592
	s_mov_b32 s4, exec_lo
	s_waitcnt vmcnt(59) lgkmcnt(14)
	v_mul_f32_e32 v195, v78, v3
	v_mul_f32_e32 v3, v79, v3
	s_waitcnt vmcnt(58)
	v_mul_f32_e32 v196, v80, v136
	v_mul_f32_e32 v136, v81, v136
	s_waitcnt vmcnt(57) lgkmcnt(13)
	v_mul_f32_e32 v197, v82, v137
	s_waitcnt vmcnt(56)
	v_mul_f32_e32 v198, v84, v138
	s_waitcnt vmcnt(55) lgkmcnt(12)
	v_mul_f32_e32 v199, v86, v139
	s_waitcnt vmcnt(54)
	v_mul_f32_e32 v200, v88, v140
	s_waitcnt vmcnt(53) lgkmcnt(11)
	v_mul_f32_e32 v201, v90, v141
	s_waitcnt vmcnt(52)
	v_mul_f32_e32 v202, v92, v142
	s_waitcnt vmcnt(51) lgkmcnt(10)
	v_mul_f32_e32 v203, v94, v143
	s_waitcnt vmcnt(50)
	v_mul_f32_e32 v204, v96, v144
	s_waitcnt vmcnt(49) lgkmcnt(9)
	v_mul_f32_e32 v205, v98, v145
	s_waitcnt vmcnt(48)
	v_mul_f32_e32 v206, v100, v146
	s_waitcnt vmcnt(47) lgkmcnt(8)
	v_mul_f32_e32 v207, v102, v147
	s_waitcnt vmcnt(46)
	v_mul_f32_e32 v208, v104, v148
	s_waitcnt vmcnt(45) lgkmcnt(7)
	v_mul_f32_e32 v209, v106, v149
	s_waitcnt vmcnt(44)
	v_mul_f32_e32 v210, v108, v150
	s_waitcnt vmcnt(43) lgkmcnt(6)
	v_mul_f32_e32 v211, v110, v151
	s_waitcnt vmcnt(42)
	v_mul_f32_e32 v212, v112, v152
	s_waitcnt vmcnt(41) lgkmcnt(5)
	v_mul_f32_e32 v213, v114, v153
	s_waitcnt vmcnt(40)
	v_mul_f32_e32 v214, v116, v154
	s_waitcnt vmcnt(39) lgkmcnt(4)
	v_mul_f32_e32 v215, v118, v155
	s_waitcnt vmcnt(38)
	v_mul_f32_e32 v216, v120, v156
	s_waitcnt vmcnt(37) lgkmcnt(3)
	v_mul_f32_e32 v217, v122, v157
	s_waitcnt vmcnt(36)
	v_mul_f32_e32 v218, v124, v158
	s_waitcnt vmcnt(35) lgkmcnt(2)
	v_mul_f32_e32 v219, v126, v159
	s_waitcnt vmcnt(34)
	v_mul_f32_e32 v220, v128, v160
	s_waitcnt vmcnt(33) lgkmcnt(1)
	v_mul_f32_e32 v221, v130, v161
	s_waitcnt vmcnt(30)
	v_fma_f32 v3, v78, v164, -v3
	v_fmac_f32_e32 v195, v79, v164
	v_mul_f32_e32 v78, v83, v137
	s_waitcnt vmcnt(29)
	v_fma_f32 v79, v80, v165, -v136
	v_fmac_f32_e32 v196, v81, v165
	v_add_f32_e32 v3, 0, v3
	v_add_f32_e32 v80, 0, v195
	v_mul_f32_e32 v81, v85, v138
	s_waitcnt vmcnt(28)
	v_fma_f32 v78, v82, v166, -v78
	v_fmac_f32_e32 v197, v83, v166
	v_add_f32_e32 v3, v3, v79
	v_add_f32_e32 v79, v80, v196
	v_mul_f32_e32 v80, v87, v139
	s_waitcnt vmcnt(27)
	v_fma_f32 v81, v84, v167, -v81
	v_fmac_f32_e32 v198, v85, v167
	v_add_f32_e32 v3, v3, v78
	v_add_f32_e32 v78, v79, v197
	v_mul_f32_e32 v79, v89, v140
	s_waitcnt vmcnt(26)
	v_fma_f32 v80, v86, v168, -v80
	v_fmac_f32_e32 v199, v87, v168
	v_add_f32_e32 v3, v3, v81
	v_add_f32_e32 v78, v78, v198
	v_mul_f32_e32 v81, v91, v141
	s_waitcnt vmcnt(25)
	v_fma_f32 v79, v88, v169, -v79
	v_fmac_f32_e32 v200, v89, v169
	v_add_f32_e32 v3, v3, v80
	v_add_f32_e32 v78, v78, v199
	v_mul_f32_e32 v80, v93, v142
	s_waitcnt vmcnt(24)
	v_fma_f32 v81, v90, v170, -v81
	v_fmac_f32_e32 v201, v91, v170
	v_add_f32_e32 v3, v3, v79
	v_add_f32_e32 v78, v78, v200
	v_mul_f32_e32 v79, v95, v143
	s_waitcnt vmcnt(23)
	v_fma_f32 v80, v92, v171, -v80
	v_fmac_f32_e32 v202, v93, v171
	v_add_f32_e32 v3, v3, v81
	v_add_f32_e32 v78, v78, v201
	v_mul_f32_e32 v81, v97, v144
	s_waitcnt vmcnt(22)
	v_fma_f32 v79, v94, v172, -v79
	v_fmac_f32_e32 v203, v95, v172
	v_add_f32_e32 v3, v3, v80
	v_add_f32_e32 v78, v78, v202
	v_mul_f32_e32 v80, v99, v145
	s_waitcnt vmcnt(21)
	v_fma_f32 v81, v96, v173, -v81
	v_fmac_f32_e32 v204, v97, v173
	v_add_f32_e32 v3, v3, v79
	v_add_f32_e32 v78, v78, v203
	v_mul_f32_e32 v79, v101, v146
	s_waitcnt vmcnt(20)
	v_fma_f32 v80, v98, v174, -v80
	v_fmac_f32_e32 v205, v99, v174
	v_add_f32_e32 v3, v3, v81
	v_add_f32_e32 v78, v78, v204
	v_mul_f32_e32 v81, v103, v147
	s_waitcnt vmcnt(19)
	v_fma_f32 v79, v100, v175, -v79
	v_fmac_f32_e32 v206, v101, v175
	v_add_f32_e32 v3, v3, v80
	v_add_f32_e32 v78, v78, v205
	v_mul_f32_e32 v80, v105, v148
	s_waitcnt vmcnt(18)
	v_fma_f32 v81, v102, v176, -v81
	v_fmac_f32_e32 v207, v103, v176
	v_add_f32_e32 v3, v3, v79
	v_add_f32_e32 v78, v78, v206
	v_mul_f32_e32 v79, v107, v149
	s_waitcnt vmcnt(17)
	v_fma_f32 v80, v104, v177, -v80
	v_fmac_f32_e32 v208, v105, v177
	v_add_f32_e32 v3, v3, v81
	v_add_f32_e32 v78, v78, v207
	v_mul_f32_e32 v81, v109, v150
	s_waitcnt vmcnt(16)
	v_fma_f32 v79, v106, v178, -v79
	v_fmac_f32_e32 v209, v107, v178
	v_add_f32_e32 v3, v3, v80
	v_add_f32_e32 v78, v78, v208
	v_mul_f32_e32 v80, v111, v151
	s_waitcnt vmcnt(15)
	v_fma_f32 v81, v108, v179, -v81
	v_fmac_f32_e32 v210, v109, v179
	v_add_f32_e32 v3, v3, v79
	v_add_f32_e32 v78, v78, v209
	v_mul_f32_e32 v79, v113, v152
	s_waitcnt vmcnt(14)
	v_fma_f32 v80, v110, v180, -v80
	v_fmac_f32_e32 v211, v111, v180
	v_add_f32_e32 v3, v3, v81
	v_add_f32_e32 v78, v78, v210
	v_mul_f32_e32 v81, v115, v153
	s_waitcnt vmcnt(13)
	v_fma_f32 v79, v112, v181, -v79
	v_fmac_f32_e32 v212, v113, v181
	v_add_f32_e32 v3, v3, v80
	v_add_f32_e32 v78, v78, v211
	v_mul_f32_e32 v80, v117, v154
	s_waitcnt vmcnt(12)
	v_fma_f32 v81, v114, v182, -v81
	v_fmac_f32_e32 v213, v115, v182
	v_add_f32_e32 v3, v3, v79
	v_add_f32_e32 v78, v78, v212
	v_mul_f32_e32 v79, v119, v155
	s_waitcnt vmcnt(11)
	v_fma_f32 v80, v116, v183, -v80
	v_fmac_f32_e32 v214, v117, v183
	v_add_f32_e32 v3, v3, v81
	v_add_f32_e32 v78, v78, v213
	v_mul_f32_e32 v81, v121, v156
	s_waitcnt vmcnt(10)
	v_fma_f32 v79, v118, v184, -v79
	v_fmac_f32_e32 v215, v119, v184
	v_add_f32_e32 v3, v3, v80
	v_add_f32_e32 v78, v78, v214
	v_mul_f32_e32 v80, v123, v157
	s_waitcnt vmcnt(9)
	v_fma_f32 v81, v120, v185, -v81
	v_fmac_f32_e32 v216, v121, v185
	v_add_f32_e32 v3, v3, v79
	v_add_f32_e32 v78, v78, v215
	v_mul_f32_e32 v79, v125, v158
	s_waitcnt vmcnt(8)
	v_fma_f32 v80, v122, v186, -v80
	v_fmac_f32_e32 v217, v123, v186
	v_add_f32_e32 v3, v3, v81
	v_add_f32_e32 v78, v78, v216
	v_mul_f32_e32 v81, v127, v159
	s_waitcnt vmcnt(7)
	v_fma_f32 v79, v124, v187, -v79
	v_fmac_f32_e32 v218, v125, v187
	v_add_f32_e32 v3, v3, v80
	v_add_f32_e32 v78, v78, v217
	v_mul_f32_e32 v80, v129, v160
	s_waitcnt vmcnt(6)
	v_fma_f32 v81, v126, v188, -v81
	v_fmac_f32_e32 v219, v127, v188
	v_add_f32_e32 v3, v3, v79
	v_add_f32_e32 v78, v78, v218
	v_mul_f32_e32 v79, v131, v161
	s_waitcnt vmcnt(5)
	v_fma_f32 v80, v128, v189, -v80
	v_fmac_f32_e32 v220, v129, v189
	v_add_f32_e32 v3, v3, v81
	v_add_f32_e32 v78, v78, v219
	v_mul_f32_e32 v81, v133, v162
	s_waitcnt vmcnt(4)
	v_fma_f32 v79, v130, v190, -v79
	v_mul_f32_e32 v222, v132, v162
	v_add_f32_e32 v3, v3, v80
	v_fmac_f32_e32 v221, v131, v190
	v_add_f32_e32 v78, v78, v220
	s_waitcnt lgkmcnt(0)
	v_mul_f32_e32 v80, v135, v163
	s_waitcnt vmcnt(3)
	v_fma_f32 v81, v132, v191, -v81
	v_add_f32_e32 v3, v3, v79
	v_mul_f32_e32 v223, v134, v163
	v_fmac_f32_e32 v222, v133, v191
	v_add_f32_e32 v78, v78, v221
	s_waitcnt vmcnt(2)
	v_fma_f32 v79, v134, v192, -v80
	v_add_f32_e32 v3, v3, v81
	v_fmac_f32_e32 v223, v135, v192
	v_add_f32_e32 v78, v78, v222
	v_add_f32_e32 v3, v3, v79
	;; [unrolled: 1-line block ×3, first 2 shown]
	s_waitcnt vmcnt(1)
	v_sub_f32_e32 v3, v193, v3
	s_waitcnt vmcnt(0)
	v_sub_f32_e32 v78, v194, v78
	buffer_store_dword v3, off, s[0:3], 0 offset:56
	buffer_store_dword v78, off, s[0:3], 0 offset:60
	v_cmpx_lt_u32_e32 6, v0
	s_cbranch_execz .LBB100_223
; %bb.222:
	s_clause 0x1
	buffer_load_dword v78, off, s[0:3], 0 offset:48
	buffer_load_dword v79, off, s[0:3], 0 offset:52
	buffer_store_dword v2, off, s[0:3], 0 offset:48
	buffer_store_dword v2, off, s[0:3], 0 offset:52
	s_waitcnt vmcnt(0)
	ds_write_b64 v1, v[78:79]
.LBB100_223:
	s_or_b32 exec_lo, exec_lo, s4
	s_waitcnt lgkmcnt(0)
	s_waitcnt_vscnt null, 0x0
	s_barrier
	buffer_gl0_inv
	s_clause 0x3d
	buffer_load_dword v3, off, s[0:3], 0 offset:60
	buffer_load_dword v138, off, s[0:3], 0 offset:68
	;; [unrolled: 1-line block ×62, first 2 shown]
	ds_read2_b64 v[78:81], v2 offset0:45 offset1:46
	ds_read2_b64 v[82:85], v2 offset0:47 offset1:48
	;; [unrolled: 1-line block ×15, first 2 shown]
	s_mov_b32 s4, exec_lo
	s_waitcnt vmcnt(61) lgkmcnt(14)
	v_mul_f32_e32 v2, v78, v3
	v_mul_f32_e32 v3, v79, v3
	s_waitcnt vmcnt(60)
	v_mul_f32_e32 v199, v80, v138
	v_mul_f32_e32 v138, v81, v138
	s_waitcnt vmcnt(59) lgkmcnt(13)
	v_mul_f32_e32 v200, v82, v139
	s_waitcnt vmcnt(58)
	v_mul_f32_e32 v201, v84, v140
	s_waitcnt vmcnt(57) lgkmcnt(12)
	v_mul_f32_e32 v202, v86, v141
	s_waitcnt vmcnt(56)
	;; [unrolled: 4-line block ×13, first 2 shown]
	v_mul_f32_e32 v225, v132, v164
	s_waitcnt vmcnt(31)
	v_fma_f32 v3, v78, v167, -v3
	v_fmac_f32_e32 v2, v79, v167
	v_mul_f32_e32 v78, v83, v139
	s_waitcnt vmcnt(30)
	v_fma_f32 v79, v80, v168, -v138
	v_fmac_f32_e32 v199, v81, v168
	v_add_f32_e32 v3, 0, v3
	v_add_f32_e32 v2, 0, v2
	v_mul_f32_e32 v80, v85, v140
	s_waitcnt vmcnt(29)
	v_fma_f32 v78, v82, v169, -v78
	v_fmac_f32_e32 v200, v83, v169
	v_add_f32_e32 v3, v3, v79
	v_add_f32_e32 v2, v2, v199
	;; [unrolled: 6-line block ×26, first 2 shown]
	s_waitcnt lgkmcnt(0)
	v_mul_f32_e32 v79, v135, v165
	s_waitcnt vmcnt(4)
	v_fma_f32 v80, v132, v194, -v80
	v_mul_f32_e32 v226, v134, v165
	v_add_f32_e32 v3, v3, v78
	v_fmac_f32_e32 v225, v133, v194
	v_add_f32_e32 v2, v2, v224
	v_mul_f32_e32 v78, v137, v166
	s_waitcnt vmcnt(3)
	v_fma_f32 v79, v134, v195, -v79
	v_add_f32_e32 v3, v3, v80
	v_mul_f32_e32 v227, v136, v166
	v_fmac_f32_e32 v226, v135, v195
	v_add_f32_e32 v2, v2, v225
	s_waitcnt vmcnt(2)
	v_fma_f32 v78, v136, v196, -v78
	v_add_f32_e32 v3, v3, v79
	v_fmac_f32_e32 v227, v137, v196
	v_add_f32_e32 v2, v2, v226
	v_add_f32_e32 v3, v3, v78
	;; [unrolled: 1-line block ×3, first 2 shown]
	s_waitcnt vmcnt(1)
	v_sub_f32_e32 v3, v197, v3
	s_waitcnt vmcnt(0)
	v_sub_f32_e32 v2, v198, v2
	buffer_store_dword v3, off, s[0:3], 0 offset:48
	buffer_store_dword v2, off, s[0:3], 0 offset:52
	v_cmpx_lt_u32_e32 5, v0
	s_cbranch_execz .LBB100_225
; %bb.224:
	s_clause 0x1
	buffer_load_dword v2, off, s[0:3], 0 offset:40
	buffer_load_dword v3, off, s[0:3], 0 offset:44
	v_mov_b32_e32 v78, 0
	buffer_store_dword v78, off, s[0:3], 0 offset:40
	buffer_store_dword v78, off, s[0:3], 0 offset:44
	s_waitcnt vmcnt(0)
	ds_write_b64 v1, v[2:3]
.LBB100_225:
	s_or_b32 exec_lo, exec_lo, s4
	s_waitcnt lgkmcnt(0)
	s_waitcnt_vscnt null, 0x0
	s_barrier
	buffer_gl0_inv
	s_clause 0x3e
	buffer_load_dword v3, off, s[0:3], 0 offset:52
	buffer_load_dword v140, off, s[0:3], 0 offset:60
	;; [unrolled: 1-line block ×64, first 2 shown]
	v_mov_b32_e32 v2, 0
	ds_read_b128 v[78:81], v2 offset:352
	ds_read_b128 v[82:85], v2 offset:368
	ds_read_b128 v[86:89], v2 offset:384
	ds_read_b128 v[90:93], v2 offset:400
	ds_read_b128 v[94:97], v2 offset:416
	ds_read_b128 v[98:101], v2 offset:432
	ds_read_b128 v[102:105], v2 offset:448
	ds_read_b128 v[106:109], v2 offset:464
	ds_read_b128 v[110:113], v2 offset:480
	ds_read_b128 v[114:117], v2 offset:496
	ds_read_b128 v[118:121], v2 offset:512
	ds_read_b128 v[122:125], v2 offset:528
	ds_read_b128 v[126:129], v2 offset:544
	ds_read_b128 v[130:133], v2 offset:560
	ds_read_b128 v[134:137], v2 offset:576
	ds_read_b64 v[138:139], v2 offset:592
	s_mov_b32 s4, exec_lo
	s_waitcnt vmcnt(62) lgkmcnt(15)
	v_mul_f32_e32 v203, v78, v3
	v_mul_f32_e32 v3, v79, v3
	;; [unrolled: 1-line block ×4, first 2 shown]
	s_waitcnt vmcnt(61) lgkmcnt(14)
	v_mul_f32_e32 v205, v82, v141
	s_waitcnt vmcnt(60)
	v_mul_f32_e32 v206, v84, v142
	s_waitcnt vmcnt(59) lgkmcnt(13)
	v_mul_f32_e32 v207, v86, v143
	s_waitcnt vmcnt(58)
	v_mul_f32_e32 v208, v88, v144
	;; [unrolled: 4-line block ×13, first 2 shown]
	s_waitcnt vmcnt(35) lgkmcnt(1)
	v_mul_f32_e32 v231, v134, v167
	s_waitcnt vmcnt(32)
	v_fma_f32 v3, v78, v170, -v3
	v_fmac_f32_e32 v203, v79, v170
	v_mul_f32_e32 v78, v83, v141
	s_waitcnt vmcnt(31)
	v_fma_f32 v79, v80, v171, -v140
	v_fmac_f32_e32 v204, v81, v171
	v_add_f32_e32 v3, 0, v3
	v_add_f32_e32 v80, 0, v203
	v_mul_f32_e32 v81, v85, v142
	s_waitcnt vmcnt(30)
	v_fma_f32 v78, v82, v172, -v78
	v_fmac_f32_e32 v205, v83, v172
	v_add_f32_e32 v3, v3, v79
	v_add_f32_e32 v79, v80, v204
	;; [unrolled: 6-line block ×27, first 2 shown]
	v_mul_f32_e32 v79, v137, v168
	s_waitcnt vmcnt(4)
	v_fma_f32 v80, v134, v198, -v80
	v_mul_f32_e32 v232, v136, v168
	v_add_f32_e32 v3, v3, v81
	v_fmac_f32_e32 v231, v135, v198
	v_add_f32_e32 v78, v78, v230
	s_waitcnt lgkmcnt(0)
	v_mul_f32_e32 v81, v139, v169
	s_waitcnt vmcnt(3)
	v_fma_f32 v79, v136, v199, -v79
	v_add_f32_e32 v3, v3, v80
	v_mul_f32_e32 v233, v138, v169
	v_fmac_f32_e32 v232, v137, v199
	v_add_f32_e32 v78, v78, v231
	s_waitcnt vmcnt(2)
	v_fma_f32 v80, v138, v200, -v81
	v_add_f32_e32 v3, v3, v79
	v_fmac_f32_e32 v233, v139, v200
	v_add_f32_e32 v78, v78, v232
	v_add_f32_e32 v3, v3, v80
	;; [unrolled: 1-line block ×3, first 2 shown]
	s_waitcnt vmcnt(1)
	v_sub_f32_e32 v3, v201, v3
	s_waitcnt vmcnt(0)
	v_sub_f32_e32 v78, v202, v78
	buffer_store_dword v3, off, s[0:3], 0 offset:40
	buffer_store_dword v78, off, s[0:3], 0 offset:44
	v_cmpx_lt_u32_e32 4, v0
	s_cbranch_execz .LBB100_227
; %bb.226:
	s_clause 0x1
	buffer_load_dword v78, off, s[0:3], 0 offset:32
	buffer_load_dword v79, off, s[0:3], 0 offset:36
	buffer_store_dword v2, off, s[0:3], 0 offset:32
	buffer_store_dword v2, off, s[0:3], 0 offset:36
	s_waitcnt vmcnt(0)
	ds_write_b64 v1, v[78:79]
.LBB100_227:
	s_or_b32 exec_lo, exec_lo, s4
	s_waitcnt lgkmcnt(0)
	s_waitcnt_vscnt null, 0x0
	s_barrier
	buffer_gl0_inv
	s_clause 0x3e
	buffer_load_dword v3, off, s[0:3], 0 offset:44
	buffer_load_dword v142, off, s[0:3], 0 offset:52
	;; [unrolled: 1-line block ×63, first 2 shown]
	s_clause 0x2
	buffer_load_dword v204, off, s[0:3], 0 offset:288
	buffer_load_dword v205, off, s[0:3], 0 offset:32
	;; [unrolled: 1-line block ×3, first 2 shown]
	ds_read2_b64 v[78:81], v2 offset0:43 offset1:44
	ds_read2_b64 v[82:85], v2 offset0:45 offset1:46
	;; [unrolled: 1-line block ×16, first 2 shown]
	s_mov_b32 s4, exec_lo
	s_waitcnt vmcnt(62) lgkmcnt(15)
	v_mul_f32_e32 v2, v78, v3
	v_mul_f32_e32 v3, v79, v3
	;; [unrolled: 1-line block ×4, first 2 shown]
	s_waitcnt lgkmcnt(14)
	v_mul_f32_e32 v208, v82, v143
	v_mul_f32_e32 v209, v84, v144
	s_waitcnt vmcnt(61) lgkmcnt(13)
	v_mul_f32_e32 v210, v86, v145
	s_waitcnt vmcnt(60)
	v_mul_f32_e32 v211, v88, v146
	s_waitcnt vmcnt(59) lgkmcnt(12)
	v_mul_f32_e32 v212, v90, v147
	s_waitcnt vmcnt(58)
	;; [unrolled: 4-line block ×13, first 2 shown]
	v_mul_f32_e32 v235, v136, v170
	s_waitcnt vmcnt(33)
	v_fma_f32 v3, v78, v173, -v3
	v_fmac_f32_e32 v2, v79, v173
	v_mul_f32_e32 v78, v83, v143
	s_waitcnt vmcnt(32)
	v_fma_f32 v79, v80, v174, -v142
	v_fmac_f32_e32 v207, v81, v174
	v_add_f32_e32 v3, 0, v3
	v_add_f32_e32 v2, 0, v2
	v_mul_f32_e32 v80, v85, v144
	s_waitcnt vmcnt(31)
	v_fma_f32 v78, v82, v175, -v78
	v_fmac_f32_e32 v208, v83, v175
	v_add_f32_e32 v3, v3, v79
	v_add_f32_e32 v2, v2, v207
	;; [unrolled: 6-line block ×28, first 2 shown]
	s_waitcnt lgkmcnt(0)
	v_mul_f32_e32 v80, v139, v171
	s_waitcnt vmcnt(4)
	v_fma_f32 v78, v136, v202, -v78
	v_mul_f32_e32 v236, v138, v171
	v_add_f32_e32 v3, v3, v79
	v_fmac_f32_e32 v235, v137, v202
	v_add_f32_e32 v2, v2, v234
	v_mul_f32_e32 v79, v141, v172
	s_waitcnt vmcnt(3)
	v_fma_f32 v80, v138, v203, -v80
	v_add_f32_e32 v3, v3, v78
	v_mul_f32_e32 v237, v140, v172
	v_fmac_f32_e32 v236, v139, v203
	v_add_f32_e32 v2, v2, v235
	s_waitcnt vmcnt(2)
	v_fma_f32 v78, v140, v204, -v79
	v_add_f32_e32 v3, v3, v80
	v_fmac_f32_e32 v237, v141, v204
	v_add_f32_e32 v2, v2, v236
	v_add_f32_e32 v3, v3, v78
	;; [unrolled: 1-line block ×3, first 2 shown]
	s_waitcnt vmcnt(1)
	v_sub_f32_e32 v3, v205, v3
	s_waitcnt vmcnt(0)
	v_sub_f32_e32 v2, v206, v2
	buffer_store_dword v3, off, s[0:3], 0 offset:32
	buffer_store_dword v2, off, s[0:3], 0 offset:36
	v_cmpx_lt_u32_e32 3, v0
	s_cbranch_execz .LBB100_229
; %bb.228:
	s_clause 0x1
	buffer_load_dword v2, off, s[0:3], 0 offset:24
	buffer_load_dword v3, off, s[0:3], 0 offset:28
	v_mov_b32_e32 v78, 0
	buffer_store_dword v78, off, s[0:3], 0 offset:24
	buffer_store_dword v78, off, s[0:3], 0 offset:28
	s_waitcnt vmcnt(0)
	ds_write_b64 v1, v[2:3]
.LBB100_229:
	s_or_b32 exec_lo, exec_lo, s4
	s_waitcnt lgkmcnt(0)
	s_waitcnt_vscnt null, 0x0
	s_barrier
	buffer_gl0_inv
	s_clause 0x3e
	buffer_load_dword v3, off, s[0:3], 0 offset:36
	buffer_load_dword v144, off, s[0:3], 0 offset:44
	;; [unrolled: 1-line block ×63, first 2 shown]
	s_clause 0x4
	buffer_load_dword v206, off, s[0:3], 0 offset:272
	buffer_load_dword v207, off, s[0:3], 0 offset:280
	;; [unrolled: 1-line block ×5, first 2 shown]
	v_mov_b32_e32 v2, 0
	ds_read_b128 v[78:81], v2 offset:336
	ds_read_b128 v[82:85], v2 offset:352
	;; [unrolled: 1-line block ×16, first 2 shown]
	ds_read_b64 v[142:143], v2 offset:592
	s_mov_b32 s4, exec_lo
	s_waitcnt vmcnt(62) lgkmcnt(16)
	v_mul_f32_e32 v211, v78, v3
	v_mul_f32_e32 v3, v79, v3
	v_mul_f32_e32 v212, v80, v144
	v_mul_f32_e32 v144, v81, v144
	s_waitcnt lgkmcnt(15)
	v_mul_f32_e32 v213, v82, v145
	v_mul_f32_e32 v214, v84, v146
	s_waitcnt lgkmcnt(14)
	v_mul_f32_e32 v215, v86, v147
	v_mul_f32_e32 v216, v88, v148
	s_waitcnt vmcnt(61) lgkmcnt(13)
	v_mul_f32_e32 v217, v90, v149
	s_waitcnt vmcnt(60)
	v_mul_f32_e32 v218, v92, v150
	s_waitcnt vmcnt(59) lgkmcnt(12)
	v_mul_f32_e32 v219, v94, v151
	s_waitcnt vmcnt(58)
	;; [unrolled: 4-line block ×13, first 2 shown]
	v_fma_f32 v3, v78, v176, -v3
	v_fmac_f32_e32 v211, v79, v176
	v_mul_f32_e32 v78, v83, v145
	s_waitcnt vmcnt(33)
	v_fma_f32 v79, v80, v177, -v144
	v_fmac_f32_e32 v212, v81, v177
	v_add_f32_e32 v3, 0, v3
	v_add_f32_e32 v80, 0, v211
	v_mul_f32_e32 v81, v85, v146
	s_waitcnt vmcnt(32)
	v_fma_f32 v78, v82, v178, -v78
	v_fmac_f32_e32 v213, v83, v178
	v_add_f32_e32 v3, v3, v79
	v_add_f32_e32 v79, v80, v212
	;; [unrolled: 6-line block ×29, first 2 shown]
	v_mul_f32_e32 v80, v141, v174
	s_waitcnt vmcnt(4)
	v_fma_f32 v81, v138, v206, -v81
	v_mul_f32_e32 v242, v140, v174
	v_add_f32_e32 v3, v3, v79
	v_fmac_f32_e32 v241, v139, v206
	v_add_f32_e32 v78, v78, v240
	s_waitcnt lgkmcnt(0)
	v_mul_f32_e32 v79, v143, v175
	s_waitcnt vmcnt(3)
	v_fma_f32 v80, v140, v207, -v80
	v_add_f32_e32 v3, v3, v81
	v_mul_f32_e32 v243, v142, v175
	v_fmac_f32_e32 v242, v141, v207
	v_add_f32_e32 v78, v78, v241
	s_waitcnt vmcnt(2)
	v_fma_f32 v79, v142, v208, -v79
	v_add_f32_e32 v3, v3, v80
	v_fmac_f32_e32 v243, v143, v208
	v_add_f32_e32 v78, v78, v242
	v_add_f32_e32 v3, v3, v79
	;; [unrolled: 1-line block ×3, first 2 shown]
	s_waitcnt vmcnt(1)
	v_sub_f32_e32 v3, v209, v3
	s_waitcnt vmcnt(0)
	v_sub_f32_e32 v78, v210, v78
	buffer_store_dword v3, off, s[0:3], 0 offset:24
	buffer_store_dword v78, off, s[0:3], 0 offset:28
	v_cmpx_lt_u32_e32 2, v0
	s_cbranch_execz .LBB100_231
; %bb.230:
	s_clause 0x1
	buffer_load_dword v78, off, s[0:3], 0 offset:16
	buffer_load_dword v79, off, s[0:3], 0 offset:20
	buffer_store_dword v2, off, s[0:3], 0 offset:16
	buffer_store_dword v2, off, s[0:3], 0 offset:20
	s_waitcnt vmcnt(0)
	ds_write_b64 v1, v[78:79]
.LBB100_231:
	s_or_b32 exec_lo, exec_lo, s4
	s_waitcnt lgkmcnt(0)
	s_waitcnt_vscnt null, 0x0
	s_barrier
	buffer_gl0_inv
	s_clause 0x3e
	buffer_load_dword v3, off, s[0:3], 0 offset:28
	buffer_load_dword v146, off, s[0:3], 0 offset:36
	;; [unrolled: 1-line block ×63, first 2 shown]
	s_clause 0x6
	buffer_load_dword v208, off, s[0:3], 0 offset:256
	buffer_load_dword v209, off, s[0:3], 0 offset:264
	;; [unrolled: 1-line block ×7, first 2 shown]
	ds_read2_b64 v[78:81], v2 offset0:41 offset1:42
	ds_read2_b64 v[82:85], v2 offset0:43 offset1:44
	;; [unrolled: 1-line block ×17, first 2 shown]
	s_mov_b32 s4, exec_lo
	s_waitcnt vmcnt(62) lgkmcnt(16)
	v_mul_f32_e32 v2, v78, v3
	v_mul_f32_e32 v3, v79, v3
	;; [unrolled: 1-line block ×4, first 2 shown]
	s_waitcnt lgkmcnt(15)
	v_mul_f32_e32 v216, v82, v147
	v_mul_f32_e32 v217, v84, v148
	s_waitcnt lgkmcnt(14)
	v_mul_f32_e32 v218, v86, v149
	v_mul_f32_e32 v219, v88, v150
	;; [unrolled: 3-line block ×3, first 2 shown]
	s_waitcnt vmcnt(61) lgkmcnt(12)
	v_mul_f32_e32 v222, v94, v153
	s_waitcnt vmcnt(60)
	v_mul_f32_e32 v223, v96, v154
	s_waitcnt vmcnt(59) lgkmcnt(11)
	v_mul_f32_e32 v224, v98, v155
	s_waitcnt vmcnt(58)
	v_mul_f32_e32 v225, v100, v156
	;; [unrolled: 4-line block ×12, first 2 shown]
	s_waitcnt vmcnt(35)
	v_fma_f32 v3, v78, v179, -v3
	v_fmac_f32_e32 v2, v79, v179
	v_mul_f32_e32 v78, v83, v147
	s_waitcnt vmcnt(34)
	v_fma_f32 v79, v80, v180, -v146
	v_fmac_f32_e32 v215, v81, v180
	v_add_f32_e32 v3, 0, v3
	v_add_f32_e32 v2, 0, v2
	v_mul_f32_e32 v80, v85, v148
	s_waitcnt vmcnt(33)
	v_fma_f32 v78, v82, v181, -v78
	v_fmac_f32_e32 v216, v83, v181
	v_add_f32_e32 v3, v3, v79
	v_add_f32_e32 v2, v2, v215
	v_mul_f32_e32 v79, v87, v149
	s_waitcnt vmcnt(32)
	v_fma_f32 v80, v84, v182, -v80
	v_fmac_f32_e32 v217, v85, v182
	v_add_f32_e32 v3, v3, v78
	v_add_f32_e32 v2, v2, v216
	v_mul_f32_e32 v78, v89, v150
	s_waitcnt vmcnt(31)
	v_fma_f32 v79, v86, v183, -v79
	v_fmac_f32_e32 v218, v87, v183
	v_add_f32_e32 v3, v3, v80
	v_add_f32_e32 v2, v2, v217
	v_mul_f32_e32 v80, v91, v151
	s_waitcnt vmcnt(30)
	v_fma_f32 v78, v88, v184, -v78
	v_fmac_f32_e32 v219, v89, v184
	v_add_f32_e32 v3, v3, v79
	v_add_f32_e32 v2, v2, v218
	v_mul_f32_e32 v79, v93, v152
	s_waitcnt vmcnt(29)
	v_fma_f32 v80, v90, v185, -v80
	v_fmac_f32_e32 v220, v91, v185
	v_add_f32_e32 v3, v3, v78
	v_add_f32_e32 v2, v2, v219
	v_mul_f32_e32 v78, v95, v153
	s_waitcnt vmcnt(28)
	v_fma_f32 v79, v92, v186, -v79
	v_fmac_f32_e32 v221, v93, v186
	v_add_f32_e32 v3, v3, v80
	v_add_f32_e32 v2, v2, v220
	v_mul_f32_e32 v80, v97, v154
	s_waitcnt vmcnt(27)
	v_fma_f32 v78, v94, v187, -v78
	v_fmac_f32_e32 v222, v95, v187
	v_add_f32_e32 v3, v3, v79
	v_add_f32_e32 v2, v2, v221
	v_mul_f32_e32 v79, v99, v155
	s_waitcnt vmcnt(26)
	v_fma_f32 v80, v96, v188, -v80
	v_fmac_f32_e32 v223, v97, v188
	v_add_f32_e32 v3, v3, v78
	v_add_f32_e32 v2, v2, v222
	v_mul_f32_e32 v78, v101, v156
	s_waitcnt vmcnt(25)
	v_fma_f32 v79, v98, v189, -v79
	v_fmac_f32_e32 v224, v99, v189
	v_add_f32_e32 v3, v3, v80
	v_add_f32_e32 v2, v2, v223
	v_mul_f32_e32 v80, v103, v157
	s_waitcnt vmcnt(24)
	v_fma_f32 v78, v100, v190, -v78
	v_fmac_f32_e32 v225, v101, v190
	v_add_f32_e32 v3, v3, v79
	v_add_f32_e32 v2, v2, v224
	v_mul_f32_e32 v79, v105, v158
	s_waitcnt vmcnt(23)
	v_fma_f32 v80, v102, v191, -v80
	v_fmac_f32_e32 v226, v103, v191
	v_add_f32_e32 v3, v3, v78
	v_add_f32_e32 v2, v2, v225
	v_mul_f32_e32 v78, v107, v159
	s_waitcnt vmcnt(22)
	v_fma_f32 v79, v104, v192, -v79
	v_fmac_f32_e32 v227, v105, v192
	v_add_f32_e32 v3, v3, v80
	v_add_f32_e32 v2, v2, v226
	v_mul_f32_e32 v80, v109, v160
	s_waitcnt vmcnt(21)
	v_fma_f32 v78, v106, v193, -v78
	v_fmac_f32_e32 v228, v107, v193
	v_add_f32_e32 v3, v3, v79
	v_add_f32_e32 v2, v2, v227
	v_mul_f32_e32 v79, v111, v161
	s_waitcnt vmcnt(20)
	v_fma_f32 v80, v108, v194, -v80
	v_fmac_f32_e32 v229, v109, v194
	v_add_f32_e32 v3, v3, v78
	v_add_f32_e32 v2, v2, v228
	v_mul_f32_e32 v78, v113, v162
	s_waitcnt vmcnt(19)
	v_fma_f32 v79, v110, v195, -v79
	v_fmac_f32_e32 v230, v111, v195
	v_add_f32_e32 v3, v3, v80
	v_add_f32_e32 v2, v2, v229
	v_mul_f32_e32 v80, v115, v163
	s_waitcnt vmcnt(18)
	v_fma_f32 v78, v112, v196, -v78
	v_fmac_f32_e32 v231, v113, v196
	v_add_f32_e32 v3, v3, v79
	v_add_f32_e32 v2, v2, v230
	v_mul_f32_e32 v79, v117, v164
	s_waitcnt vmcnt(17)
	v_fma_f32 v80, v114, v197, -v80
	v_fmac_f32_e32 v232, v115, v197
	v_add_f32_e32 v3, v3, v78
	v_add_f32_e32 v2, v2, v231
	v_mul_f32_e32 v78, v119, v165
	s_waitcnt vmcnt(16)
	v_fma_f32 v79, v116, v198, -v79
	v_fmac_f32_e32 v233, v117, v198
	v_add_f32_e32 v3, v3, v80
	v_add_f32_e32 v2, v2, v232
	v_mul_f32_e32 v80, v121, v166
	s_waitcnt vmcnt(15)
	v_fma_f32 v78, v118, v199, -v78
	v_fmac_f32_e32 v234, v119, v199
	v_add_f32_e32 v3, v3, v79
	v_add_f32_e32 v2, v2, v233
	v_mul_f32_e32 v79, v123, v167
	s_waitcnt vmcnt(14)
	v_fma_f32 v80, v120, v200, -v80
	v_fmac_f32_e32 v235, v121, v200
	v_add_f32_e32 v3, v3, v78
	v_add_f32_e32 v2, v2, v234
	v_mul_f32_e32 v78, v125, v168
	s_waitcnt vmcnt(13)
	v_fma_f32 v79, v122, v201, -v79
	v_fmac_f32_e32 v236, v123, v201
	v_add_f32_e32 v3, v3, v80
	v_add_f32_e32 v2, v2, v235
	v_mul_f32_e32 v80, v127, v169
	s_waitcnt vmcnt(12)
	v_fma_f32 v78, v124, v202, -v78
	v_fmac_f32_e32 v237, v125, v202
	v_add_f32_e32 v3, v3, v79
	v_add_f32_e32 v2, v2, v236
	v_mul_f32_e32 v79, v129, v170
	s_waitcnt vmcnt(11)
	v_fma_f32 v80, v126, v203, -v80
	v_fmac_f32_e32 v238, v127, v203
	v_add_f32_e32 v3, v3, v78
	v_add_f32_e32 v2, v2, v237
	v_mul_f32_e32 v78, v131, v171
	s_waitcnt vmcnt(10)
	v_fma_f32 v79, v128, v204, -v79
	v_fmac_f32_e32 v239, v129, v204
	v_add_f32_e32 v3, v3, v80
	v_add_f32_e32 v2, v2, v238
	v_mul_f32_e32 v80, v133, v172
	s_waitcnt vmcnt(9)
	v_fma_f32 v78, v130, v205, -v78
	v_fmac_f32_e32 v240, v131, v205
	v_add_f32_e32 v3, v3, v79
	v_add_f32_e32 v2, v2, v239
	v_mul_f32_e32 v79, v135, v173
	s_waitcnt vmcnt(8)
	v_fma_f32 v80, v132, v206, -v80
	v_fmac_f32_e32 v241, v133, v206
	v_add_f32_e32 v3, v3, v78
	v_add_f32_e32 v2, v2, v240
	v_mul_f32_e32 v78, v137, v174
	s_waitcnt vmcnt(7)
	v_fma_f32 v79, v134, v207, -v79
	v_fmac_f32_e32 v242, v135, v207
	v_add_f32_e32 v3, v3, v80
	v_add_f32_e32 v2, v2, v241
	v_mul_f32_e32 v80, v139, v175
	s_waitcnt vmcnt(6)
	v_fma_f32 v78, v136, v208, -v78
	v_fmac_f32_e32 v243, v137, v208
	v_add_f32_e32 v3, v3, v79
	v_add_f32_e32 v2, v2, v242
	v_mul_f32_e32 v79, v141, v176
	s_waitcnt vmcnt(5)
	v_fma_f32 v80, v138, v209, -v80
	v_fmac_f32_e32 v244, v139, v209
	v_add_f32_e32 v3, v3, v78
	v_add_f32_e32 v2, v2, v243
	s_waitcnt lgkmcnt(0)
	v_mul_f32_e32 v78, v143, v177
	s_waitcnt vmcnt(4)
	v_fma_f32 v79, v140, v210, -v79
	v_mul_f32_e32 v246, v142, v177
	v_add_f32_e32 v3, v3, v80
	v_fmac_f32_e32 v245, v141, v210
	v_add_f32_e32 v2, v2, v244
	v_mul_f32_e32 v80, v145, v178
	s_waitcnt vmcnt(3)
	v_fma_f32 v78, v142, v211, -v78
	v_add_f32_e32 v3, v3, v79
	v_mul_f32_e32 v247, v144, v178
	v_fmac_f32_e32 v246, v143, v211
	v_add_f32_e32 v2, v2, v245
	s_waitcnt vmcnt(2)
	v_fma_f32 v79, v144, v212, -v80
	v_add_f32_e32 v3, v3, v78
	v_fmac_f32_e32 v247, v145, v212
	v_add_f32_e32 v2, v2, v246
	v_add_f32_e32 v3, v3, v79
	;; [unrolled: 1-line block ×3, first 2 shown]
	s_waitcnt vmcnt(1)
	v_sub_f32_e32 v3, v213, v3
	s_waitcnt vmcnt(0)
	v_sub_f32_e32 v2, v214, v2
	buffer_store_dword v3, off, s[0:3], 0 offset:16
	buffer_store_dword v2, off, s[0:3], 0 offset:20
	v_cmpx_lt_u32_e32 1, v0
	s_cbranch_execz .LBB100_233
; %bb.232:
	s_clause 0x1
	buffer_load_dword v2, off, s[0:3], 0 offset:8
	buffer_load_dword v3, off, s[0:3], 0 offset:12
	v_mov_b32_e32 v78, 0
	buffer_store_dword v78, off, s[0:3], 0 offset:8
	buffer_store_dword v78, off, s[0:3], 0 offset:12
	s_waitcnt vmcnt(0)
	ds_write_b64 v1, v[2:3]
.LBB100_233:
	s_or_b32 exec_lo, exec_lo, s4
	s_waitcnt lgkmcnt(0)
	s_waitcnt_vscnt null, 0x0
	s_barrier
	buffer_gl0_inv
	s_clause 0x3e
	buffer_load_dword v147, off, s[0:3], 0 offset:20
	buffer_load_dword v148, off, s[0:3], 0 offset:28
	;; [unrolled: 1-line block ×63, first 2 shown]
	s_clause 0x8
	buffer_load_dword v210, off, s[0:3], 0 offset:240
	buffer_load_dword v211, off, s[0:3], 0 offset:248
	;; [unrolled: 1-line block ×9, first 2 shown]
	v_mov_b32_e32 v78, 0
	ds_read_b128 v[79:82], v78 offset:320
	ds_read_b128 v[83:86], v78 offset:336
	;; [unrolled: 1-line block ×17, first 2 shown]
	ds_read_b64 v[2:3], v78 offset:592
	s_mov_b32 s4, exec_lo
	s_waitcnt vmcnt(62) lgkmcnt(17)
	v_mul_f32_e32 v219, v79, v147
	v_mul_f32_e32 v147, v80, v147
	;; [unrolled: 1-line block ×4, first 2 shown]
	s_waitcnt lgkmcnt(16)
	v_mul_f32_e32 v221, v83, v149
	v_mul_f32_e32 v222, v85, v150
	s_waitcnt lgkmcnt(15)
	v_mul_f32_e32 v223, v87, v151
	v_mul_f32_e32 v224, v89, v152
	;; [unrolled: 3-line block ×4, first 2 shown]
	s_waitcnt vmcnt(61) lgkmcnt(12)
	v_mul_f32_e32 v229, v99, v157
	s_waitcnt vmcnt(60)
	v_mul_f32_e32 v230, v101, v158
	s_waitcnt vmcnt(59) lgkmcnt(11)
	v_mul_f32_e32 v231, v103, v159
	s_waitcnt vmcnt(58)
	v_mul_f32_e32 v232, v105, v160
	;; [unrolled: 4-line block ×11, first 2 shown]
	s_waitcnt vmcnt(39) lgkmcnt(1)
	v_mul_f32_e32 v251, v143, v179
	s_waitcnt vmcnt(36)
	v_fma_f32 v79, v79, v182, -v147
	v_fmac_f32_e32 v219, v80, v182
	v_mul_f32_e32 v80, v84, v149
	s_waitcnt vmcnt(35)
	v_fma_f32 v81, v81, v183, -v148
	v_fmac_f32_e32 v220, v82, v183
	v_add_f32_e32 v79, 0, v79
	v_add_f32_e32 v82, 0, v219
	v_mul_f32_e32 v147, v86, v150
	s_waitcnt vmcnt(34)
	v_fma_f32 v80, v83, v184, -v80
	v_fmac_f32_e32 v221, v84, v184
	v_add_f32_e32 v79, v79, v81
	v_add_f32_e32 v81, v82, v220
	;; [unrolled: 6-line block ×31, first 2 shown]
	v_mul_f32_e32 v83, v146, v180
	s_waitcnt vmcnt(4)
	v_fma_f32 v81, v143, v214, -v81
	v_mul_f32_e32 v252, v145, v180
	v_add_f32_e32 v79, v79, v82
	v_fmac_f32_e32 v251, v144, v214
	v_add_f32_e32 v80, v80, v250
	s_waitcnt lgkmcnt(0)
	v_mul_f32_e32 v253, v2, v181
	v_mul_f32_e32 v82, v3, v181
	s_waitcnt vmcnt(3)
	v_fma_f32 v83, v145, v215, -v83
	v_add_f32_e32 v79, v79, v81
	v_fmac_f32_e32 v252, v146, v215
	v_add_f32_e32 v80, v80, v251
	s_waitcnt vmcnt(2)
	v_fmac_f32_e32 v253, v3, v216
	v_fma_f32 v2, v2, v216, -v82
	v_add_f32_e32 v3, v79, v83
	v_add_f32_e32 v79, v80, v252
	;; [unrolled: 1-line block ×4, first 2 shown]
	s_waitcnt vmcnt(1)
	v_sub_f32_e32 v2, v217, v2
	s_waitcnt vmcnt(0)
	v_sub_f32_e32 v3, v218, v3
	buffer_store_dword v2, off, s[0:3], 0 offset:8
	buffer_store_dword v3, off, s[0:3], 0 offset:12
	v_cmpx_ne_u32_e32 0, v0
	s_cbranch_execz .LBB100_235
; %bb.234:
	s_clause 0x1
	buffer_load_dword v2, off, s[0:3], 0
	buffer_load_dword v3, off, s[0:3], 0 offset:4
	buffer_store_dword v78, off, s[0:3], 0
	buffer_store_dword v78, off, s[0:3], 0 offset:4
	s_waitcnt vmcnt(0)
	ds_write_b64 v1, v[2:3]
.LBB100_235:
	s_or_b32 exec_lo, exec_lo, s4
	s_waitcnt lgkmcnt(0)
	s_waitcnt_vscnt null, 0x0
	s_barrier
	buffer_gl0_inv
	s_clause 0x24
	buffer_load_dword v114, off, s[0:3], 0 offset:12
	buffer_load_dword v115, off, s[0:3], 0 offset:20
	;; [unrolled: 1-line block ×37, first 2 shown]
	ds_read2_b64 v[0:3], v78 offset0:39 offset1:40
	ds_read2_b64 v[116:119], v78 offset0:41 offset1:42
	;; [unrolled: 1-line block ×4, first 2 shown]
	s_clause 0x1
	buffer_load_dword v128, off, s[0:3], 0 offset:156
	buffer_load_dword v131, off, s[0:3], 0 offset:4
	s_and_b32 vcc_lo, exec_lo, s16
	s_waitcnt vmcnt(38) lgkmcnt(3)
	v_mul_f32_e32 v129, v0, v114
	s_waitcnt vmcnt(37)
	v_mul_f32_e32 v130, v2, v115
	v_mul_f32_e32 v114, v1, v114
	;; [unrolled: 1-line block ×3, first 2 shown]
	s_waitcnt vmcnt(34)
	v_fmac_f32_e32 v129, v1, v85
	v_fmac_f32_e32 v130, v3, v83
	v_fma_f32 v132, v0, v85, -v114
	v_fma_f32 v133, v2, v83, -v115
	ds_read2_b64 v[0:3], v78 offset0:47 offset1:48
	s_waitcnt vmcnt(33) lgkmcnt(3)
	v_mul_f32_e32 v134, v116, v80
	s_waitcnt vmcnt(32)
	v_mul_f32_e32 v135, v118, v81
	v_mul_f32_e32 v80, v117, v80
	;; [unrolled: 1-line block ×3, first 2 shown]
	s_waitcnt vmcnt(31) lgkmcnt(2)
	v_mul_f32_e32 v136, v120, v82
	v_mul_f32_e32 v83, v121, v82
	v_fmac_f32_e32 v134, v117, v79
	s_waitcnt vmcnt(26)
	v_fmac_f32_e32 v135, v119, v91
	v_fma_f32 v119, v116, v79, -v80
	v_fma_f32 v91, v118, v91, -v81
	ds_read2_b64 v[79:82], v78 offset0:49 offset1:50
	ds_read2_b64 v[114:117], v78 offset0:51 offset1:52
	v_mul_f32_e32 v137, v122, v84
	v_mul_f32_e32 v84, v123, v84
	v_fmac_f32_e32 v136, v121, v90
	v_fma_f32 v90, v120, v90, -v83
	s_waitcnt vmcnt(25) lgkmcnt(3)
	v_mul_f32_e32 v118, v124, v87
	v_fmac_f32_e32 v137, v123, v89
	v_fma_f32 v89, v122, v89, -v84
	s_waitcnt vmcnt(24)
	v_mul_f32_e32 v120, v126, v88
	v_mul_f32_e32 v83, v125, v87
	;; [unrolled: 1-line block ×3, first 2 shown]
	s_waitcnt vmcnt(23) lgkmcnt(2)
	v_mul_f32_e32 v87, v0, v92
	s_waitcnt vmcnt(22)
	v_mul_f32_e32 v88, v2, v93
	v_mul_f32_e32 v92, v1, v92
	;; [unrolled: 1-line block ×3, first 2 shown]
	v_fmac_f32_e32 v118, v125, v86
	s_waitcnt vmcnt(19)
	v_fmac_f32_e32 v87, v1, v98
	v_fmac_f32_e32 v88, v3, v97
	v_fma_f32 v92, v0, v98, -v92
	v_fma_f32 v93, v2, v97, -v93
	s_waitcnt vmcnt(17) lgkmcnt(1)
	v_mul_f32_e32 v97, v79, v95
	s_waitcnt vmcnt(16)
	v_mul_f32_e32 v98, v81, v96
	v_mul_f32_e32 v95, v80, v95
	;; [unrolled: 1-line block ×3, first 2 shown]
	v_fmac_f32_e32 v120, v127, v100
	v_fma_f32 v121, v124, v86, -v83
	v_fma_f32 v100, v126, v100, -v84
	ds_read2_b64 v[83:86], v78 offset0:53 offset1:54
	ds_read2_b64 v[0:3], v78 offset0:55 offset1:56
	v_fmac_f32_e32 v97, v80, v94
	s_waitcnt vmcnt(10)
	v_fmac_f32_e32 v98, v82, v108
	v_fma_f32 v94, v79, v94, -v95
	v_fma_f32 v95, v81, v108, -v96
	s_clause 0x5
	buffer_load_dword v96, off, s[0:3], 0 offset:164
	buffer_load_dword v108, off, s[0:3], 0 offset:172
	;; [unrolled: 1-line block ×6, first 2 shown]
	s_waitcnt lgkmcnt(2)
	v_mul_f32_e32 v122, v114, v101
	v_mul_f32_e32 v123, v116, v102
	;; [unrolled: 1-line block ×4, first 2 shown]
	v_fmac_f32_e32 v122, v115, v107
	v_fmac_f32_e32 v123, v117, v106
	v_fma_f32 v101, v114, v107, -v101
	v_fma_f32 v102, v116, v106, -v102
	s_clause 0x1
	buffer_load_dword v106, off, s[0:3], 0 offset:180
	buffer_load_dword v107, off, s[0:3], 0 offset:188
	s_waitcnt vmcnt(17) lgkmcnt(1)
	v_mul_f32_e32 v114, v83, v104
	v_mul_f32_e32 v79, v84, v104
	s_waitcnt vmcnt(16)
	v_mul_f32_e32 v115, v85, v105
	v_mul_f32_e32 v80, v86, v105
	buffer_load_dword v104, off, s[0:3], 0 offset:196
	v_fmac_f32_e32 v114, v84, v103
	v_fma_f32 v103, v83, v103, -v79
	v_add_f32_e32 v83, 0, v129
	s_waitcnt vmcnt(13)
	v_fmac_f32_e32 v115, v86, v113
	v_fma_f32 v105, v85, v113, -v80
	v_add_f32_e32 v84, 0, v132
	s_waitcnt vmcnt(12) lgkmcnt(0)
	v_mul_f32_e32 v113, v0, v112
	v_mul_f32_e32 v85, v1, v112
	v_add_f32_e32 v83, v83, v130
	ds_read2_b64 v[79:82], v78 offset0:57 offset1:58
	s_clause 0x3
	buffer_load_dword v112, off, s[0:3], 0 offset:216
	buffer_load_dword v116, off, s[0:3], 0 offset:208
	;; [unrolled: 1-line block ×4, first 2 shown]
	v_add_f32_e32 v84, v84, v133
	v_fmac_f32_e32 v113, v1, v111
	v_fma_f32 v111, v0, v111, -v85
	v_add_f32_e32 v0, v83, v134
	s_clause 0x1
	buffer_load_dword v130, off, s[0:3], 0 offset:204
	buffer_load_dword v132, off, s[0:3], 0 offset:212
	v_add_f32_e32 v1, v84, v119
	s_waitcnt vmcnt(17)
	v_mul_f32_e32 v119, v2, v110
	v_mul_f32_e32 v83, v3, v110
	v_add_f32_e32 v0, v0, v135
	buffer_load_dword v110, off, s[0:3], 0 offset:220
	v_add_f32_e32 v1, v1, v91
	s_clause 0x1
	buffer_load_dword v133, off, s[0:3], 0 offset:228
	buffer_load_dword v134, off, s[0:3], 0 offset:236
	v_fmac_f32_e32 v119, v3, v109
	v_add_f32_e32 v0, v0, v136
	s_clause 0x1
	buffer_load_dword v135, off, s[0:3], 0 offset:244
	buffer_load_dword v136, off, s[0:3], 0 offset:252
	v_add_f32_e32 v1, v1, v90
	v_fma_f32 v109, v2, v109, -v83
	v_add_f32_e32 v0, v0, v137
	s_clause 0x3
	buffer_load_dword v137, off, s[0:3], 0 offset:260
	buffer_load_dword v138, off, s[0:3], 0 offset:268
	;; [unrolled: 1-line block ×4, first 2 shown]
	v_add_f32_e32 v1, v1, v89
	s_waitcnt vmcnt(25) lgkmcnt(0)
	v_mul_f32_e32 v85, v80, v128
	v_mul_f32_e32 v91, v79, v128
	v_add_f32_e32 v0, v0, v118
	buffer_load_dword v118, off, s[0:3], 0 offset:292
	v_add_f32_e32 v1, v1, v121
	v_fmac_f32_e32 v91, v80, v99
	v_add_f32_e32 v0, v0, v120
	s_clause 0x3
	buffer_load_dword v120, off, s[0:3], 0 offset:248
	buffer_load_dword v121, off, s[0:3], 0 offset:240
	;; [unrolled: 1-line block ×4, first 2 shown]
	v_add_f32_e32 v1, v1, v100
	s_clause 0x5
	buffer_load_dword v100, off, s[0:3], 0 offset:280
	buffer_load_dword v143, off, s[0:3], 0 offset:272
	;; [unrolled: 1-line block ×5, first 2 shown]
	buffer_load_dword v147, off, s[0:3], 0
	v_add_f32_e32 v0, v0, v87
	v_add_f32_e32 v1, v1, v92
	v_fma_f32 v92, v79, v99, -v85
	v_add_f32_e32 v0, v0, v88
	v_add_f32_e32 v1, v1, v93
	;; [unrolled: 1-line block ×7, first 2 shown]
	ds_read2_b64 v[0:3], v78 offset0:59 offset1:60
	v_add_f32_e32 v83, v83, v101
	v_add_f32_e32 v84, v84, v123
	;; [unrolled: 1-line block ×4, first 2 shown]
	ds_read2_b64 v[83:86], v78 offset0:61 offset1:62
	v_add_f32_e32 v80, v87, v103
	v_add_f32_e32 v79, v79, v115
	s_waitcnt vmcnt(34)
	v_mul_f32_e32 v87, v82, v96
	s_waitcnt vmcnt(33) lgkmcnt(1)
	v_mul_f32_e32 v99, v0, v108
	v_mul_f32_e32 v88, v1, v108
	;; [unrolled: 1-line block ×3, first 2 shown]
	s_waitcnt vmcnt(29)
	v_fma_f32 v96, v81, v127, -v87
	v_fmac_f32_e32 v99, v1, v126
	v_add_f32_e32 v1, v80, v105
	v_fma_f32 v101, v0, v126, -v88
	v_add_f32_e32 v0, v79, v113
	v_fmac_f32_e32 v95, v82, v127
	ds_read2_b64 v[79:82], v78 offset0:63 offset1:64
	ds_read2_b64 v[87:90], v78 offset0:65 offset1:66
	v_add_f32_e32 v1, v1, v111
	v_add_f32_e32 v0, v0, v119
	s_waitcnt vmcnt(27) lgkmcnt(2)
	v_mul_f32_e32 v103, v83, v107
	v_mul_f32_e32 v94, v84, v107
	v_add_f32_e32 v1, v1, v109
	v_mul_f32_e32 v102, v2, v106
	v_mul_f32_e32 v93, v3, v106
	v_fmac_f32_e32 v103, v84, v124
	v_fma_f32 v106, v83, v124, -v94
	v_add_f32_e32 v84, v1, v92
	v_add_f32_e32 v83, v0, v91
	s_waitcnt vmcnt(26)
	v_mul_f32_e32 v105, v85, v104
	v_mul_f32_e32 v97, v86, v104
	v_fma_f32 v104, v2, v125, -v93
	v_add_f32_e32 v109, v84, v96
	v_add_f32_e32 v107, v83, v95
	v_fmac_f32_e32 v102, v3, v125
	ds_read2_b64 v[0:3], v78 offset0:67 offset1:68
	ds_read2_b64 v[91:94], v78 offset0:69 offset1:70
	v_add_f32_e32 v101, v109, v101
	s_waitcnt vmcnt(22)
	v_fmac_f32_e32 v105, v86, v129
	v_fma_f32 v108, v85, v129, -v97
	ds_read2_b64 v[83:86], v78 offset0:71 offset1:72
	ds_read2_b64 v[95:98], v78 offset0:73 offset1:74
	v_add_f32_e32 v78, v107, v99
	v_add_f32_e32 v101, v101, v104
	s_waitcnt vmcnt(21) lgkmcnt(5)
	v_mul_f32_e32 v107, v80, v130
	v_mul_f32_e32 v99, v79, v130
	s_waitcnt vmcnt(20)
	v_mul_f32_e32 v111, v82, v132
	v_add_f32_e32 v78, v78, v102
	v_add_f32_e32 v101, v101, v106
	v_fma_f32 v79, v79, v117, -v107
	v_mul_f32_e32 v109, v81, v132
	v_fmac_f32_e32 v99, v80, v117
	v_add_f32_e32 v78, v78, v103
	v_add_f32_e32 v101, v101, v108
	s_waitcnt vmcnt(19) lgkmcnt(4)
	v_mul_f32_e32 v107, v88, v110
	v_fma_f32 v81, v81, v116, -v111
	v_mul_f32_e32 v102, v87, v110
	v_add_f32_e32 v78, v78, v105
	v_add_f32_e32 v79, v101, v79
	v_fmac_f32_e32 v109, v82, v116
	s_waitcnt vmcnt(18)
	v_mul_f32_e32 v111, v90, v133
	v_fma_f32 v87, v87, v112, -v107
	v_add_f32_e32 v78, v78, v99
	v_add_f32_e32 v79, v79, v81
	v_mul_f32_e32 v80, v89, v133
	v_fmac_f32_e32 v102, v88, v112
	s_waitcnt vmcnt(17) lgkmcnt(3)
	v_mul_f32_e32 v104, v0, v134
	v_add_f32_e32 v78, v78, v109
	v_mul_f32_e32 v81, v1, v134
	s_waitcnt vmcnt(6)
	v_fma_f32 v88, v89, v142, -v111
	v_add_f32_e32 v79, v79, v87
	v_fmac_f32_e32 v80, v90, v142
	v_add_f32_e32 v78, v78, v102
	v_mul_f32_e32 v87, v3, v135
	v_fmac_f32_e32 v104, v1, v141
	v_fma_f32 v0, v0, v141, -v81
	v_add_f32_e32 v1, v79, v88
	v_mul_f32_e32 v103, v2, v135
	v_add_f32_e32 v78, v78, v80
	s_waitcnt lgkmcnt(2)
	v_mul_f32_e32 v79, v92, v136
	v_fma_f32 v2, v2, v121, -v87
	v_add_f32_e32 v0, v1, v0
	v_mul_f32_e32 v106, v91, v136
	v_fmac_f32_e32 v103, v3, v121
	v_add_f32_e32 v1, v78, v104
	v_mul_f32_e32 v3, v94, v137
	v_fma_f32 v78, v91, v120, -v79
	v_add_f32_e32 v0, v0, v2
	v_mul_f32_e32 v82, v93, v137
	v_fmac_f32_e32 v106, v92, v120
	v_add_f32_e32 v1, v1, v103
	s_waitcnt lgkmcnt(1)
	v_mul_f32_e32 v2, v84, v138
	s_waitcnt vmcnt(2)
	v_fma_f32 v3, v93, v145, -v3
	v_add_f32_e32 v0, v0, v78
	v_mul_f32_e32 v110, v83, v138
	v_fmac_f32_e32 v82, v94, v145
	v_add_f32_e32 v1, v1, v106
	v_mul_f32_e32 v78, v86, v139
	v_fma_f32 v2, v83, v144, -v2
	v_add_f32_e32 v0, v0, v3
	v_mul_f32_e32 v105, v85, v139
	v_fmac_f32_e32 v110, v84, v144
	v_add_f32_e32 v1, v1, v82
	s_waitcnt lgkmcnt(0)
	v_mul_f32_e32 v3, v96, v140
	v_fma_f32 v78, v85, v143, -v78
	v_add_f32_e32 v0, v0, v2
	v_mul_f32_e32 v108, v95, v140
	v_fmac_f32_e32 v105, v86, v143
	v_add_f32_e32 v1, v1, v110
	v_mul_f32_e32 v2, v98, v118
	v_fma_f32 v3, v95, v100, -v3
	v_add_f32_e32 v0, v0, v78
	v_mul_f32_e32 v99, v97, v118
	v_fmac_f32_e32 v108, v96, v100
	v_add_f32_e32 v1, v1, v105
	s_waitcnt vmcnt(1)
	v_fma_f32 v2, v97, v146, -v2
	v_add_f32_e32 v0, v0, v3
	v_fmac_f32_e32 v99, v98, v146
	v_add_f32_e32 v1, v1, v108
	v_add_f32_e32 v0, v0, v2
	v_add_f32_e32 v1, v1, v99
	s_waitcnt vmcnt(0)
	v_sub_f32_e32 v0, v147, v0
	v_sub_f32_e32 v1, v131, v1
	buffer_store_dword v0, off, s[0:3], 0
	buffer_store_dword v1, off, s[0:3], 0 offset:4
	s_cbranch_vccz .LBB100_308
; %bb.236:
	v_mov_b32_e32 v0, 0
	global_load_dword v1, v0, s[12:13] offset:140
	s_waitcnt vmcnt(0)
	v_add_nc_u32_e32 v1, -1, v1
	v_cmp_ne_u32_e32 vcc_lo, 35, v1
	s_cbranch_vccz .LBB100_238
; %bb.237:
	v_lshlrev_b32_e32 v1, 3, v1
	s_clause 0x3
	buffer_load_dword v2, v1, s[0:3], 0 offen
	buffer_load_dword v3, v1, s[0:3], 0 offen offset:4
	buffer_load_dword v78, off, s[0:3], 0 offset:280
	buffer_load_dword v79, off, s[0:3], 0 offset:284
	s_waitcnt vmcnt(3)
	buffer_store_dword v2, off, s[0:3], 0 offset:280
	s_waitcnt vmcnt(2)
	buffer_store_dword v3, off, s[0:3], 0 offset:284
	s_waitcnt vmcnt(1)
	buffer_store_dword v78, v1, s[0:3], 0 offen
	s_waitcnt vmcnt(0)
	buffer_store_dword v79, v1, s[0:3], 0 offen offset:4
.LBB100_238:
	global_load_dword v0, v0, s[12:13] offset:136
	s_waitcnt vmcnt(0)
	v_add_nc_u32_e32 v0, -1, v0
	v_cmp_eq_u32_e32 vcc_lo, 34, v0
	s_cbranch_vccnz .LBB100_240
; %bb.239:
	v_lshlrev_b32_e32 v0, 3, v0
	s_clause 0x3
	buffer_load_dword v1, v0, s[0:3], 0 offen
	buffer_load_dword v2, v0, s[0:3], 0 offen offset:4
	buffer_load_dword v3, off, s[0:3], 0 offset:276
	buffer_load_dword v78, off, s[0:3], 0 offset:272
	s_waitcnt vmcnt(3)
	buffer_store_dword v1, off, s[0:3], 0 offset:272
	s_waitcnt vmcnt(2)
	buffer_store_dword v2, off, s[0:3], 0 offset:276
	s_waitcnt vmcnt(1)
	buffer_store_dword v3, v0, s[0:3], 0 offen offset:4
	s_waitcnt vmcnt(0)
	buffer_store_dword v78, v0, s[0:3], 0 offen
.LBB100_240:
	v_mov_b32_e32 v0, 0
	global_load_dword v1, v0, s[12:13] offset:132
	s_waitcnt vmcnt(0)
	v_add_nc_u32_e32 v1, -1, v1
	v_cmp_eq_u32_e32 vcc_lo, 33, v1
	s_cbranch_vccnz .LBB100_242
; %bb.241:
	v_lshlrev_b32_e32 v1, 3, v1
	s_clause 0x3
	buffer_load_dword v2, v1, s[0:3], 0 offen
	buffer_load_dword v3, v1, s[0:3], 0 offen offset:4
	buffer_load_dword v78, off, s[0:3], 0 offset:264
	buffer_load_dword v79, off, s[0:3], 0 offset:268
	s_waitcnt vmcnt(3)
	buffer_store_dword v2, off, s[0:3], 0 offset:264
	s_waitcnt vmcnt(2)
	buffer_store_dword v3, off, s[0:3], 0 offset:268
	s_waitcnt vmcnt(1)
	buffer_store_dword v78, v1, s[0:3], 0 offen
	s_waitcnt vmcnt(0)
	buffer_store_dword v79, v1, s[0:3], 0 offen offset:4
.LBB100_242:
	global_load_dword v0, v0, s[12:13] offset:128
	s_waitcnt vmcnt(0)
	v_add_nc_u32_e32 v0, -1, v0
	v_cmp_eq_u32_e32 vcc_lo, 32, v0
	s_cbranch_vccnz .LBB100_244
; %bb.243:
	v_lshlrev_b32_e32 v0, 3, v0
	s_clause 0x3
	buffer_load_dword v1, v0, s[0:3], 0 offen
	buffer_load_dword v2, v0, s[0:3], 0 offen offset:4
	buffer_load_dword v3, off, s[0:3], 0 offset:260
	buffer_load_dword v78, off, s[0:3], 0 offset:256
	s_waitcnt vmcnt(3)
	buffer_store_dword v1, off, s[0:3], 0 offset:256
	s_waitcnt vmcnt(2)
	buffer_store_dword v2, off, s[0:3], 0 offset:260
	s_waitcnt vmcnt(1)
	buffer_store_dword v3, v0, s[0:3], 0 offen offset:4
	s_waitcnt vmcnt(0)
	buffer_store_dword v78, v0, s[0:3], 0 offen
.LBB100_244:
	v_mov_b32_e32 v0, 0
	global_load_dword v1, v0, s[12:13] offset:124
	s_waitcnt vmcnt(0)
	v_add_nc_u32_e32 v1, -1, v1
	v_cmp_eq_u32_e32 vcc_lo, 31, v1
	s_cbranch_vccnz .LBB100_246
; %bb.245:
	v_lshlrev_b32_e32 v1, 3, v1
	s_clause 0x3
	buffer_load_dword v2, v1, s[0:3], 0 offen
	buffer_load_dword v3, v1, s[0:3], 0 offen offset:4
	buffer_load_dword v78, off, s[0:3], 0 offset:248
	buffer_load_dword v79, off, s[0:3], 0 offset:252
	s_waitcnt vmcnt(3)
	buffer_store_dword v2, off, s[0:3], 0 offset:248
	s_waitcnt vmcnt(2)
	buffer_store_dword v3, off, s[0:3], 0 offset:252
	s_waitcnt vmcnt(1)
	buffer_store_dword v78, v1, s[0:3], 0 offen
	s_waitcnt vmcnt(0)
	buffer_store_dword v79, v1, s[0:3], 0 offen offset:4
.LBB100_246:
	;; [unrolled: 43-line block ×17, first 2 shown]
	global_load_dword v0, v0, s[12:13]
	s_waitcnt vmcnt(0)
	v_add_nc_u32_e32 v0, -1, v0
	v_cmp_eq_u32_e32 vcc_lo, 0, v0
	s_cbranch_vccnz .LBB100_308
; %bb.307:
	v_lshlrev_b32_e32 v0, 3, v0
	s_clause 0x3
	buffer_load_dword v1, v0, s[0:3], 0 offen
	buffer_load_dword v2, v0, s[0:3], 0 offen offset:4
	buffer_load_dword v3, off, s[0:3], 0 offset:4
	buffer_load_dword v78, off, s[0:3], 0
	s_waitcnt vmcnt(3)
	buffer_store_dword v1, off, s[0:3], 0
	s_waitcnt vmcnt(2)
	buffer_store_dword v2, off, s[0:3], 0 offset:4
	s_waitcnt vmcnt(1)
	buffer_store_dword v3, v0, s[0:3], 0 offen offset:4
	s_waitcnt vmcnt(0)
	buffer_store_dword v78, v0, s[0:3], 0 offen
.LBB100_308:
	s_clause 0x1
	buffer_load_dword v0, off, s[0:3], 0
	buffer_load_dword v1, off, s[0:3], 0 offset:4
	s_waitcnt vmcnt(0)
	flat_store_dwordx2 v[4:5], v[0:1]
	s_clause 0x1
	buffer_load_dword v0, off, s[0:3], 0 offset:8
	buffer_load_dword v1, off, s[0:3], 0 offset:12
	s_waitcnt vmcnt(0)
	flat_store_dwordx2 v[6:7], v[0:1]
	s_clause 0x1
	buffer_load_dword v0, off, s[0:3], 0 offset:16
	;; [unrolled: 5-line block ×36, first 2 shown]
	buffer_load_dword v1, off, s[0:3], 0 offset:292
	s_waitcnt vmcnt(0)
	flat_store_dwordx2 v[76:77], v[0:1]
	s_endpgm
	.section	.rodata,"a",@progbits
	.p2align	6, 0x0
	.amdhsa_kernel _ZN9rocsolver6v33100L18getri_kernel_smallILi37E19rocblas_complex_numIfEPKPS3_EEvT1_iilPiilS8_bb
		.amdhsa_group_segment_fixed_size 600
		.amdhsa_private_segment_fixed_size 304
		.amdhsa_kernarg_size 60
		.amdhsa_user_sgpr_count 6
		.amdhsa_user_sgpr_private_segment_buffer 1
		.amdhsa_user_sgpr_dispatch_ptr 0
		.amdhsa_user_sgpr_queue_ptr 0
		.amdhsa_user_sgpr_kernarg_segment_ptr 1
		.amdhsa_user_sgpr_dispatch_id 0
		.amdhsa_user_sgpr_flat_scratch_init 0
		.amdhsa_user_sgpr_private_segment_size 0
		.amdhsa_wavefront_size32 1
		.amdhsa_uses_dynamic_stack 0
		.amdhsa_system_sgpr_private_segment_wavefront_offset 1
		.amdhsa_system_sgpr_workgroup_id_x 1
		.amdhsa_system_sgpr_workgroup_id_y 0
		.amdhsa_system_sgpr_workgroup_id_z 0
		.amdhsa_system_sgpr_workgroup_info 0
		.amdhsa_system_vgpr_workitem_id 0
		.amdhsa_next_free_vgpr 254
		.amdhsa_next_free_sgpr 20
		.amdhsa_reserve_vcc 1
		.amdhsa_reserve_flat_scratch 0
		.amdhsa_float_round_mode_32 0
		.amdhsa_float_round_mode_16_64 0
		.amdhsa_float_denorm_mode_32 3
		.amdhsa_float_denorm_mode_16_64 3
		.amdhsa_dx10_clamp 1
		.amdhsa_ieee_mode 1
		.amdhsa_fp16_overflow 0
		.amdhsa_workgroup_processor_mode 1
		.amdhsa_memory_ordered 1
		.amdhsa_forward_progress 1
		.amdhsa_shared_vgpr_count 0
		.amdhsa_exception_fp_ieee_invalid_op 0
		.amdhsa_exception_fp_denorm_src 0
		.amdhsa_exception_fp_ieee_div_zero 0
		.amdhsa_exception_fp_ieee_overflow 0
		.amdhsa_exception_fp_ieee_underflow 0
		.amdhsa_exception_fp_ieee_inexact 0
		.amdhsa_exception_int_div_zero 0
	.end_amdhsa_kernel
	.section	.text._ZN9rocsolver6v33100L18getri_kernel_smallILi37E19rocblas_complex_numIfEPKPS3_EEvT1_iilPiilS8_bb,"axG",@progbits,_ZN9rocsolver6v33100L18getri_kernel_smallILi37E19rocblas_complex_numIfEPKPS3_EEvT1_iilPiilS8_bb,comdat
.Lfunc_end100:
	.size	_ZN9rocsolver6v33100L18getri_kernel_smallILi37E19rocblas_complex_numIfEPKPS3_EEvT1_iilPiilS8_bb, .Lfunc_end100-_ZN9rocsolver6v33100L18getri_kernel_smallILi37E19rocblas_complex_numIfEPKPS3_EEvT1_iilPiilS8_bb
                                        ; -- End function
	.set _ZN9rocsolver6v33100L18getri_kernel_smallILi37E19rocblas_complex_numIfEPKPS3_EEvT1_iilPiilS8_bb.num_vgpr, 254
	.set _ZN9rocsolver6v33100L18getri_kernel_smallILi37E19rocblas_complex_numIfEPKPS3_EEvT1_iilPiilS8_bb.num_agpr, 0
	.set _ZN9rocsolver6v33100L18getri_kernel_smallILi37E19rocblas_complex_numIfEPKPS3_EEvT1_iilPiilS8_bb.numbered_sgpr, 20
	.set _ZN9rocsolver6v33100L18getri_kernel_smallILi37E19rocblas_complex_numIfEPKPS3_EEvT1_iilPiilS8_bb.num_named_barrier, 0
	.set _ZN9rocsolver6v33100L18getri_kernel_smallILi37E19rocblas_complex_numIfEPKPS3_EEvT1_iilPiilS8_bb.private_seg_size, 304
	.set _ZN9rocsolver6v33100L18getri_kernel_smallILi37E19rocblas_complex_numIfEPKPS3_EEvT1_iilPiilS8_bb.uses_vcc, 1
	.set _ZN9rocsolver6v33100L18getri_kernel_smallILi37E19rocblas_complex_numIfEPKPS3_EEvT1_iilPiilS8_bb.uses_flat_scratch, 0
	.set _ZN9rocsolver6v33100L18getri_kernel_smallILi37E19rocblas_complex_numIfEPKPS3_EEvT1_iilPiilS8_bb.has_dyn_sized_stack, 0
	.set _ZN9rocsolver6v33100L18getri_kernel_smallILi37E19rocblas_complex_numIfEPKPS3_EEvT1_iilPiilS8_bb.has_recursion, 0
	.set _ZN9rocsolver6v33100L18getri_kernel_smallILi37E19rocblas_complex_numIfEPKPS3_EEvT1_iilPiilS8_bb.has_indirect_call, 0
	.section	.AMDGPU.csdata,"",@progbits
; Kernel info:
; codeLenInByte = 59832
; TotalNumSgprs: 22
; NumVgprs: 254
; ScratchSize: 304
; MemoryBound: 0
; FloatMode: 240
; IeeeMode: 1
; LDSByteSize: 600 bytes/workgroup (compile time only)
; SGPRBlocks: 0
; VGPRBlocks: 31
; NumSGPRsForWavesPerEU: 22
; NumVGPRsForWavesPerEU: 254
; Occupancy: 4
; WaveLimiterHint : 1
; COMPUTE_PGM_RSRC2:SCRATCH_EN: 1
; COMPUTE_PGM_RSRC2:USER_SGPR: 6
; COMPUTE_PGM_RSRC2:TRAP_HANDLER: 0
; COMPUTE_PGM_RSRC2:TGID_X_EN: 1
; COMPUTE_PGM_RSRC2:TGID_Y_EN: 0
; COMPUTE_PGM_RSRC2:TGID_Z_EN: 0
; COMPUTE_PGM_RSRC2:TIDIG_COMP_CNT: 0
	.section	.text._ZN9rocsolver6v33100L18getri_kernel_smallILi38E19rocblas_complex_numIfEPKPS3_EEvT1_iilPiilS8_bb,"axG",@progbits,_ZN9rocsolver6v33100L18getri_kernel_smallILi38E19rocblas_complex_numIfEPKPS3_EEvT1_iilPiilS8_bb,comdat
	.globl	_ZN9rocsolver6v33100L18getri_kernel_smallILi38E19rocblas_complex_numIfEPKPS3_EEvT1_iilPiilS8_bb ; -- Begin function _ZN9rocsolver6v33100L18getri_kernel_smallILi38E19rocblas_complex_numIfEPKPS3_EEvT1_iilPiilS8_bb
	.p2align	8
	.type	_ZN9rocsolver6v33100L18getri_kernel_smallILi38E19rocblas_complex_numIfEPKPS3_EEvT1_iilPiilS8_bb,@function
_ZN9rocsolver6v33100L18getri_kernel_smallILi38E19rocblas_complex_numIfEPKPS3_EEvT1_iilPiilS8_bb: ; @_ZN9rocsolver6v33100L18getri_kernel_smallILi38E19rocblas_complex_numIfEPKPS3_EEvT1_iilPiilS8_bb
; %bb.0:
	s_add_u32 s0, s0, s7
	s_addc_u32 s1, s1, 0
	s_mov_b32 s7, exec_lo
	v_cmpx_gt_u32_e32 38, v0
	s_cbranch_execz .LBB101_166
; %bb.1:
	s_clause 0x2
	s_load_dword s17, s[4:5], 0x38
	s_load_dwordx2 s[12:13], s[4:5], 0x0
	s_load_dwordx4 s[8:11], s[4:5], 0x28
	s_waitcnt lgkmcnt(0)
	s_bitcmp1_b32 s17, 8
	s_cselect_b32 s16, -1, 0
	s_ashr_i32 s7, s6, 31
	s_lshl_b64 s[14:15], s[6:7], 3
	s_add_u32 s12, s12, s14
	s_addc_u32 s13, s13, s15
	s_load_dwordx2 s[14:15], s[12:13], 0x0
	s_bfe_u32 s12, s17, 0x10008
	s_cmp_eq_u32 s12, 0
                                        ; implicit-def: $sgpr12_sgpr13
	s_cbranch_scc1 .LBB101_3
; %bb.2:
	s_clause 0x1
	s_load_dword s12, s[4:5], 0x20
	s_load_dwordx2 s[18:19], s[4:5], 0x18
	s_mul_i32 s13, s8, s7
	s_mul_hi_u32 s17, s8, s6
	s_mul_i32 s9, s9, s6
	s_add_i32 s13, s17, s13
	s_mul_i32 s8, s8, s6
	s_add_i32 s9, s13, s9
	s_lshl_b64 s[8:9], s[8:9], 2
	s_waitcnt lgkmcnt(0)
	s_ashr_i32 s13, s12, 31
	s_add_u32 s17, s18, s8
	s_addc_u32 s18, s19, s9
	s_lshl_b64 s[8:9], s[12:13], 2
	s_add_u32 s12, s17, s8
	s_addc_u32 s13, s18, s9
.LBB101_3:
	s_clause 0x1
	s_load_dwordx2 s[8:9], s[4:5], 0x8
	s_load_dword s17, s[4:5], 0x38
	v_lshlrev_b32_e32 v79, 3, v0
	s_waitcnt lgkmcnt(0)
	s_ashr_i32 s5, s8, 31
	s_mov_b32 s4, s8
	v_add3_u32 v9, s9, s9, v0
	s_lshl_b64 s[4:5], s[4:5], 3
	s_add_u32 s4, s14, s4
	s_addc_u32 s5, s15, s5
	v_add_co_u32 v1, s8, s4, v79
	v_add_co_ci_u32_e64 v2, null, s5, 0, s8
	s_mov_b32 s14, s9
	s_ashr_i32 s15, s9, 31
	v_ashrrev_i32_e32 v10, 31, v9
	flat_load_dwordx2 v[5:6], v[1:2]
	s_lshl_b64 s[14:15], s[14:15], 3
	v_add_nc_u32_e32 v12, s9, v9
	v_add_co_u32 v3, vcc_lo, v1, s14
	v_add_co_ci_u32_e64 v4, null, s15, v2, vcc_lo
	v_ashrrev_i32_e32 v13, 31, v12
	s_bitcmp0_b32 s17, 0
	s_waitcnt vmcnt(0) lgkmcnt(0)
	buffer_store_dword v6, off, s[0:3], 0 offset:4
	buffer_store_dword v5, off, s[0:3], 0
	flat_load_dwordx2 v[7:8], v[3:4]
	v_lshlrev_b64 v[5:6], 3, v[9:10]
	s_waitcnt vmcnt(0) lgkmcnt(0)
	buffer_store_dword v8, off, s[0:3], 0 offset:12
	buffer_store_dword v7, off, s[0:3], 0 offset:8
	v_add_co_u32 v5, vcc_lo, s4, v5
	v_add_co_ci_u32_e64 v6, null, s5, v6, vcc_lo
	v_lshlrev_b64 v[7:8], 3, v[12:13]
	flat_load_dwordx2 v[10:11], v[5:6]
	s_waitcnt vmcnt(0) lgkmcnt(0)
	buffer_store_dword v11, off, s[0:3], 0 offset:20
	buffer_store_dword v10, off, s[0:3], 0 offset:16
	v_add_co_u32 v7, vcc_lo, s4, v7
	v_add_co_ci_u32_e64 v8, null, s5, v8, vcc_lo
	v_add_nc_u32_e32 v11, s9, v12
	flat_load_dwordx2 v[13:14], v[7:8]
	s_waitcnt vmcnt(0) lgkmcnt(0)
	buffer_store_dword v14, off, s[0:3], 0 offset:28
	buffer_store_dword v13, off, s[0:3], 0 offset:24
	v_ashrrev_i32_e32 v12, 31, v11
	v_add_nc_u32_e32 v15, s9, v11
	v_lshlrev_b64 v[9:10], 3, v[11:12]
	v_ashrrev_i32_e32 v16, 31, v15
	v_add_nc_u32_e32 v18, s9, v15
	v_add_co_u32 v9, vcc_lo, s4, v9
	v_add_co_ci_u32_e64 v10, null, s5, v10, vcc_lo
	v_lshlrev_b64 v[11:12], 3, v[15:16]
	v_ashrrev_i32_e32 v19, 31, v18
	flat_load_dwordx2 v[13:14], v[9:10]
	s_waitcnt vmcnt(0) lgkmcnt(0)
	buffer_store_dword v14, off, s[0:3], 0 offset:36
	buffer_store_dword v13, off, s[0:3], 0 offset:32
	v_add_co_u32 v11, vcc_lo, s4, v11
	v_add_co_ci_u32_e64 v12, null, s5, v12, vcc_lo
	v_lshlrev_b64 v[13:14], 3, v[18:19]
	flat_load_dwordx2 v[16:17], v[11:12]
	s_waitcnt vmcnt(0) lgkmcnt(0)
	buffer_store_dword v17, off, s[0:3], 0 offset:44
	buffer_store_dword v16, off, s[0:3], 0 offset:40
	v_add_co_u32 v13, vcc_lo, s4, v13
	v_add_co_ci_u32_e64 v14, null, s5, v14, vcc_lo
	v_add_nc_u32_e32 v17, s9, v18
	flat_load_dwordx2 v[19:20], v[13:14]
	s_waitcnt vmcnt(0) lgkmcnt(0)
	buffer_store_dword v20, off, s[0:3], 0 offset:52
	buffer_store_dword v19, off, s[0:3], 0 offset:48
	v_ashrrev_i32_e32 v18, 31, v17
	v_add_nc_u32_e32 v21, s9, v17
	v_lshlrev_b64 v[15:16], 3, v[17:18]
	v_ashrrev_i32_e32 v22, 31, v21
	v_add_nc_u32_e32 v24, s9, v21
	v_add_co_u32 v15, vcc_lo, s4, v15
	v_add_co_ci_u32_e64 v16, null, s5, v16, vcc_lo
	v_lshlrev_b64 v[17:18], 3, v[21:22]
	v_ashrrev_i32_e32 v25, 31, v24
	flat_load_dwordx2 v[19:20], v[15:16]
	s_waitcnt vmcnt(0) lgkmcnt(0)
	buffer_store_dword v20, off, s[0:3], 0 offset:60
	buffer_store_dword v19, off, s[0:3], 0 offset:56
	v_add_co_u32 v17, vcc_lo, s4, v17
	v_add_co_ci_u32_e64 v18, null, s5, v18, vcc_lo
	v_lshlrev_b64 v[19:20], 3, v[24:25]
	flat_load_dwordx2 v[22:23], v[17:18]
	s_waitcnt vmcnt(0) lgkmcnt(0)
	buffer_store_dword v23, off, s[0:3], 0 offset:68
	buffer_store_dword v22, off, s[0:3], 0 offset:64
	v_add_co_u32 v19, vcc_lo, s4, v19
	v_add_co_ci_u32_e64 v20, null, s5, v20, vcc_lo
	v_add_nc_u32_e32 v23, s9, v24
	flat_load_dwordx2 v[25:26], v[19:20]
	s_waitcnt vmcnt(0) lgkmcnt(0)
	buffer_store_dword v26, off, s[0:3], 0 offset:76
	buffer_store_dword v25, off, s[0:3], 0 offset:72
	v_ashrrev_i32_e32 v24, 31, v23
	v_add_nc_u32_e32 v27, s9, v23
	v_lshlrev_b64 v[21:22], 3, v[23:24]
	v_ashrrev_i32_e32 v28, 31, v27
	v_add_nc_u32_e32 v30, s9, v27
	v_add_co_u32 v21, vcc_lo, s4, v21
	v_add_co_ci_u32_e64 v22, null, s5, v22, vcc_lo
	v_lshlrev_b64 v[23:24], 3, v[27:28]
	v_ashrrev_i32_e32 v31, 31, v30
	flat_load_dwordx2 v[25:26], v[21:22]
	s_waitcnt vmcnt(0) lgkmcnt(0)
	buffer_store_dword v26, off, s[0:3], 0 offset:84
	buffer_store_dword v25, off, s[0:3], 0 offset:80
	v_add_co_u32 v23, vcc_lo, s4, v23
	v_add_co_ci_u32_e64 v24, null, s5, v24, vcc_lo
	v_lshlrev_b64 v[25:26], 3, v[30:31]
	flat_load_dwordx2 v[28:29], v[23:24]
	s_waitcnt vmcnt(0) lgkmcnt(0)
	buffer_store_dword v29, off, s[0:3], 0 offset:92
	buffer_store_dword v28, off, s[0:3], 0 offset:88
	v_add_co_u32 v25, vcc_lo, s4, v25
	v_add_co_ci_u32_e64 v26, null, s5, v26, vcc_lo
	v_add_nc_u32_e32 v29, s9, v30
	flat_load_dwordx2 v[31:32], v[25:26]
	s_waitcnt vmcnt(0) lgkmcnt(0)
	buffer_store_dword v32, off, s[0:3], 0 offset:100
	buffer_store_dword v31, off, s[0:3], 0 offset:96
	v_ashrrev_i32_e32 v30, 31, v29
	v_add_nc_u32_e32 v33, s9, v29
	v_lshlrev_b64 v[27:28], 3, v[29:30]
	v_ashrrev_i32_e32 v34, 31, v33
	v_add_nc_u32_e32 v36, s9, v33
	v_add_co_u32 v27, vcc_lo, s4, v27
	v_add_co_ci_u32_e64 v28, null, s5, v28, vcc_lo
	v_lshlrev_b64 v[29:30], 3, v[33:34]
	v_ashrrev_i32_e32 v37, 31, v36
	flat_load_dwordx2 v[31:32], v[27:28]
	s_waitcnt vmcnt(0) lgkmcnt(0)
	buffer_store_dword v32, off, s[0:3], 0 offset:108
	buffer_store_dword v31, off, s[0:3], 0 offset:104
	v_add_co_u32 v29, vcc_lo, s4, v29
	v_add_co_ci_u32_e64 v30, null, s5, v30, vcc_lo
	v_lshlrev_b64 v[31:32], 3, v[36:37]
	flat_load_dwordx2 v[34:35], v[29:30]
	s_waitcnt vmcnt(0) lgkmcnt(0)
	buffer_store_dword v35, off, s[0:3], 0 offset:116
	buffer_store_dword v34, off, s[0:3], 0 offset:112
	v_add_co_u32 v31, vcc_lo, s4, v31
	v_add_co_ci_u32_e64 v32, null, s5, v32, vcc_lo
	v_add_nc_u32_e32 v35, s9, v36
	flat_load_dwordx2 v[37:38], v[31:32]
	s_waitcnt vmcnt(0) lgkmcnt(0)
	buffer_store_dword v38, off, s[0:3], 0 offset:124
	buffer_store_dword v37, off, s[0:3], 0 offset:120
	v_ashrrev_i32_e32 v36, 31, v35
	v_add_nc_u32_e32 v39, s9, v35
	v_lshlrev_b64 v[33:34], 3, v[35:36]
	v_ashrrev_i32_e32 v40, 31, v39
	v_add_nc_u32_e32 v42, s9, v39
	v_add_co_u32 v33, vcc_lo, s4, v33
	v_add_co_ci_u32_e64 v34, null, s5, v34, vcc_lo
	v_lshlrev_b64 v[35:36], 3, v[39:40]
	v_ashrrev_i32_e32 v43, 31, v42
	flat_load_dwordx2 v[37:38], v[33:34]
	s_waitcnt vmcnt(0) lgkmcnt(0)
	buffer_store_dword v38, off, s[0:3], 0 offset:132
	buffer_store_dword v37, off, s[0:3], 0 offset:128
	v_add_co_u32 v35, vcc_lo, s4, v35
	v_add_co_ci_u32_e64 v36, null, s5, v36, vcc_lo
	v_lshlrev_b64 v[37:38], 3, v[42:43]
	flat_load_dwordx2 v[40:41], v[35:36]
	s_waitcnt vmcnt(0) lgkmcnt(0)
	buffer_store_dword v41, off, s[0:3], 0 offset:140
	buffer_store_dword v40, off, s[0:3], 0 offset:136
	v_add_co_u32 v37, vcc_lo, s4, v37
	v_add_co_ci_u32_e64 v38, null, s5, v38, vcc_lo
	v_add_nc_u32_e32 v41, s9, v42
	flat_load_dwordx2 v[43:44], v[37:38]
	s_waitcnt vmcnt(0) lgkmcnt(0)
	buffer_store_dword v44, off, s[0:3], 0 offset:148
	buffer_store_dword v43, off, s[0:3], 0 offset:144
	v_ashrrev_i32_e32 v42, 31, v41
	v_add_nc_u32_e32 v45, s9, v41
	v_lshlrev_b64 v[39:40], 3, v[41:42]
	v_ashrrev_i32_e32 v46, 31, v45
	v_add_nc_u32_e32 v48, s9, v45
	v_add_co_u32 v39, vcc_lo, s4, v39
	v_add_co_ci_u32_e64 v40, null, s5, v40, vcc_lo
	v_lshlrev_b64 v[41:42], 3, v[45:46]
	v_ashrrev_i32_e32 v49, 31, v48
	flat_load_dwordx2 v[43:44], v[39:40]
	s_waitcnt vmcnt(0) lgkmcnt(0)
	buffer_store_dword v44, off, s[0:3], 0 offset:156
	buffer_store_dword v43, off, s[0:3], 0 offset:152
	v_add_co_u32 v41, vcc_lo, s4, v41
	v_add_co_ci_u32_e64 v42, null, s5, v42, vcc_lo
	v_lshlrev_b64 v[43:44], 3, v[48:49]
	flat_load_dwordx2 v[46:47], v[41:42]
	s_waitcnt vmcnt(0) lgkmcnt(0)
	buffer_store_dword v47, off, s[0:3], 0 offset:164
	buffer_store_dword v46, off, s[0:3], 0 offset:160
	v_add_co_u32 v43, vcc_lo, s4, v43
	v_add_co_ci_u32_e64 v44, null, s5, v44, vcc_lo
	v_add_nc_u32_e32 v47, s9, v48
	flat_load_dwordx2 v[49:50], v[43:44]
	s_waitcnt vmcnt(0) lgkmcnt(0)
	buffer_store_dword v50, off, s[0:3], 0 offset:172
	buffer_store_dword v49, off, s[0:3], 0 offset:168
	v_ashrrev_i32_e32 v48, 31, v47
	v_add_nc_u32_e32 v51, s9, v47
	v_lshlrev_b64 v[45:46], 3, v[47:48]
	v_ashrrev_i32_e32 v52, 31, v51
	v_add_nc_u32_e32 v54, s9, v51
	v_add_co_u32 v45, vcc_lo, s4, v45
	v_add_co_ci_u32_e64 v46, null, s5, v46, vcc_lo
	v_lshlrev_b64 v[47:48], 3, v[51:52]
	v_ashrrev_i32_e32 v55, 31, v54
	flat_load_dwordx2 v[49:50], v[45:46]
	s_waitcnt vmcnt(0) lgkmcnt(0)
	buffer_store_dword v50, off, s[0:3], 0 offset:180
	buffer_store_dword v49, off, s[0:3], 0 offset:176
	v_add_co_u32 v47, vcc_lo, s4, v47
	v_add_co_ci_u32_e64 v48, null, s5, v48, vcc_lo
	v_lshlrev_b64 v[49:50], 3, v[54:55]
	flat_load_dwordx2 v[52:53], v[47:48]
	s_waitcnt vmcnt(0) lgkmcnt(0)
	buffer_store_dword v53, off, s[0:3], 0 offset:188
	buffer_store_dword v52, off, s[0:3], 0 offset:184
	v_add_co_u32 v49, vcc_lo, s4, v49
	v_add_co_ci_u32_e64 v50, null, s5, v50, vcc_lo
	v_add_nc_u32_e32 v53, s9, v54
	flat_load_dwordx2 v[55:56], v[49:50]
	s_waitcnt vmcnt(0) lgkmcnt(0)
	buffer_store_dword v56, off, s[0:3], 0 offset:196
	buffer_store_dword v55, off, s[0:3], 0 offset:192
	v_ashrrev_i32_e32 v54, 31, v53
	v_add_nc_u32_e32 v57, s9, v53
	v_lshlrev_b64 v[51:52], 3, v[53:54]
	v_ashrrev_i32_e32 v58, 31, v57
	v_add_nc_u32_e32 v60, s9, v57
	v_add_co_u32 v51, vcc_lo, s4, v51
	v_add_co_ci_u32_e64 v52, null, s5, v52, vcc_lo
	v_lshlrev_b64 v[53:54], 3, v[57:58]
	v_ashrrev_i32_e32 v61, 31, v60
	flat_load_dwordx2 v[55:56], v[51:52]
	s_waitcnt vmcnt(0) lgkmcnt(0)
	buffer_store_dword v56, off, s[0:3], 0 offset:204
	buffer_store_dword v55, off, s[0:3], 0 offset:200
	v_add_co_u32 v53, vcc_lo, s4, v53
	v_add_co_ci_u32_e64 v54, null, s5, v54, vcc_lo
	v_lshlrev_b64 v[55:56], 3, v[60:61]
	flat_load_dwordx2 v[58:59], v[53:54]
	s_waitcnt vmcnt(0) lgkmcnt(0)
	buffer_store_dword v59, off, s[0:3], 0 offset:212
	buffer_store_dword v58, off, s[0:3], 0 offset:208
	v_add_co_u32 v55, vcc_lo, s4, v55
	v_add_co_ci_u32_e64 v56, null, s5, v56, vcc_lo
	v_add_nc_u32_e32 v59, s9, v60
	flat_load_dwordx2 v[61:62], v[55:56]
	s_waitcnt vmcnt(0) lgkmcnt(0)
	buffer_store_dword v62, off, s[0:3], 0 offset:220
	buffer_store_dword v61, off, s[0:3], 0 offset:216
	v_ashrrev_i32_e32 v60, 31, v59
	v_add_nc_u32_e32 v63, s9, v59
	v_lshlrev_b64 v[57:58], 3, v[59:60]
	v_ashrrev_i32_e32 v64, 31, v63
	v_add_nc_u32_e32 v66, s9, v63
	v_add_co_u32 v57, vcc_lo, s4, v57
	v_add_co_ci_u32_e64 v58, null, s5, v58, vcc_lo
	v_lshlrev_b64 v[59:60], 3, v[63:64]
	v_ashrrev_i32_e32 v67, 31, v66
	flat_load_dwordx2 v[61:62], v[57:58]
	s_waitcnt vmcnt(0) lgkmcnt(0)
	buffer_store_dword v62, off, s[0:3], 0 offset:228
	buffer_store_dword v61, off, s[0:3], 0 offset:224
	v_add_co_u32 v59, vcc_lo, s4, v59
	v_add_co_ci_u32_e64 v60, null, s5, v60, vcc_lo
	v_lshlrev_b64 v[61:62], 3, v[66:67]
	flat_load_dwordx2 v[64:65], v[59:60]
	s_waitcnt vmcnt(0) lgkmcnt(0)
	buffer_store_dword v65, off, s[0:3], 0 offset:236
	buffer_store_dword v64, off, s[0:3], 0 offset:232
	v_add_co_u32 v61, vcc_lo, s4, v61
	v_add_co_ci_u32_e64 v62, null, s5, v62, vcc_lo
	v_add_nc_u32_e32 v65, s9, v66
	flat_load_dwordx2 v[67:68], v[61:62]
	s_waitcnt vmcnt(0) lgkmcnt(0)
	buffer_store_dword v68, off, s[0:3], 0 offset:244
	buffer_store_dword v67, off, s[0:3], 0 offset:240
	v_ashrrev_i32_e32 v66, 31, v65
	v_add_nc_u32_e32 v69, s9, v65
	v_lshlrev_b64 v[63:64], 3, v[65:66]
	v_ashrrev_i32_e32 v70, 31, v69
	v_add_nc_u32_e32 v72, s9, v69
	v_add_co_u32 v63, vcc_lo, s4, v63
	v_add_co_ci_u32_e64 v64, null, s5, v64, vcc_lo
	v_lshlrev_b64 v[65:66], 3, v[69:70]
	v_ashrrev_i32_e32 v73, 31, v72
	flat_load_dwordx2 v[67:68], v[63:64]
	s_waitcnt vmcnt(0) lgkmcnt(0)
	buffer_store_dword v68, off, s[0:3], 0 offset:252
	buffer_store_dword v67, off, s[0:3], 0 offset:248
	v_add_co_u32 v65, vcc_lo, s4, v65
	v_add_co_ci_u32_e64 v66, null, s5, v66, vcc_lo
	v_lshlrev_b64 v[67:68], 3, v[72:73]
	flat_load_dwordx2 v[70:71], v[65:66]
	s_waitcnt vmcnt(0) lgkmcnt(0)
	buffer_store_dword v71, off, s[0:3], 0 offset:260
	buffer_store_dword v70, off, s[0:3], 0 offset:256
	v_add_co_u32 v67, vcc_lo, s4, v67
	v_add_co_ci_u32_e64 v68, null, s5, v68, vcc_lo
	v_add_nc_u32_e32 v71, s9, v72
	flat_load_dwordx2 v[73:74], v[67:68]
	s_waitcnt vmcnt(0) lgkmcnt(0)
	buffer_store_dword v74, off, s[0:3], 0 offset:268
	buffer_store_dword v73, off, s[0:3], 0 offset:264
	v_ashrrev_i32_e32 v72, 31, v71
	v_add_nc_u32_e32 v75, s9, v71
	v_lshlrev_b64 v[69:70], 3, v[71:72]
	v_ashrrev_i32_e32 v76, 31, v75
	v_add_nc_u32_e32 v80, s9, v75
	v_add_co_u32 v69, vcc_lo, s4, v69
	v_add_co_ci_u32_e64 v70, null, s5, v70, vcc_lo
	v_lshlrev_b64 v[71:72], 3, v[75:76]
	v_ashrrev_i32_e32 v81, 31, v80
	v_add_nc_u32_e32 v75, s9, v80
	flat_load_dwordx2 v[73:74], v[69:70]
	s_waitcnt vmcnt(0) lgkmcnt(0)
	buffer_store_dword v74, off, s[0:3], 0 offset:276
	buffer_store_dword v73, off, s[0:3], 0 offset:272
	v_add_co_u32 v71, vcc_lo, s4, v71
	v_add_co_ci_u32_e64 v72, null, s5, v72, vcc_lo
	v_lshlrev_b64 v[73:74], 3, v[80:81]
	flat_load_dwordx2 v[76:77], v[71:72]
	s_waitcnt vmcnt(0) lgkmcnt(0)
	buffer_store_dword v77, off, s[0:3], 0 offset:284
	buffer_store_dword v76, off, s[0:3], 0 offset:280
	v_add_co_u32 v73, vcc_lo, s4, v73
	v_add_co_ci_u32_e64 v74, null, s5, v74, vcc_lo
	v_ashrrev_i32_e32 v76, 31, v75
	flat_load_dwordx2 v[77:78], v[73:74]
	s_waitcnt vmcnt(0) lgkmcnt(0)
	buffer_store_dword v78, off, s[0:3], 0 offset:292
	buffer_store_dword v77, off, s[0:3], 0 offset:288
	v_lshlrev_b64 v[75:76], 3, v[75:76]
	v_add_co_u32 v75, vcc_lo, s4, v75
	v_add_co_ci_u32_e64 v76, null, s5, v76, vcc_lo
	s_mov_b32 s5, -1
	flat_load_dwordx2 v[77:78], v[75:76]
	s_waitcnt vmcnt(0) lgkmcnt(0)
	buffer_store_dword v78, off, s[0:3], 0 offset:300
	buffer_store_dword v77, off, s[0:3], 0 offset:296
	s_cbranch_scc1 .LBB101_164
; %bb.4:
	v_cmp_eq_u32_e64 s4, 0, v0
	s_and_saveexec_b32 s5, s4
; %bb.5:
	v_mov_b32_e32 v77, 0
	ds_write_b32 v77, v77 offset:608
; %bb.6:
	s_or_b32 exec_lo, exec_lo, s5
	v_lshl_add_u32 v81, v0, 3, 0
	s_waitcnt lgkmcnt(0)
	s_waitcnt_vscnt null, 0x0
	s_barrier
	buffer_gl0_inv
	s_clause 0x1
	buffer_load_dword v77, v81, s[0:3], 0 offen
	buffer_load_dword v78, v81, s[0:3], 0 offen offset:4
	s_waitcnt vmcnt(1)
	v_cmp_eq_f32_e32 vcc_lo, 0, v77
	s_waitcnt vmcnt(0)
	v_cmp_eq_f32_e64 s5, 0, v78
	s_and_b32 s5, vcc_lo, s5
	s_and_saveexec_b32 s8, s5
	s_cbranch_execz .LBB101_10
; %bb.7:
	v_mov_b32_e32 v77, 0
	s_mov_b32 s9, 0
	ds_read_b32 v78, v77 offset:608
	s_waitcnt lgkmcnt(0)
	v_readfirstlane_b32 s5, v78
	v_add_nc_u32_e32 v78, 1, v0
	s_cmp_eq_u32 s5, 0
	v_cmp_gt_i32_e32 vcc_lo, s5, v78
	s_cselect_b32 s14, -1, 0
	s_or_b32 s14, s14, vcc_lo
	s_and_b32 exec_lo, exec_lo, s14
	s_cbranch_execz .LBB101_10
; %bb.8:
	v_mov_b32_e32 v80, s5
.LBB101_9:                              ; =>This Inner Loop Header: Depth=1
	ds_cmpst_rtn_b32 v80, v77, v80, v78 offset:608
	s_waitcnt lgkmcnt(0)
	v_cmp_ne_u32_e32 vcc_lo, 0, v80
	v_cmp_le_i32_e64 s5, v80, v78
	s_and_b32 s5, vcc_lo, s5
	s_and_b32 s5, exec_lo, s5
	s_or_b32 s9, s5, s9
	s_andn2_b32 exec_lo, exec_lo, s9
	s_cbranch_execnz .LBB101_9
.LBB101_10:
	s_or_b32 exec_lo, exec_lo, s8
	v_mov_b32_e32 v77, 0
	s_barrier
	buffer_gl0_inv
	ds_read_b32 v78, v77 offset:608
	s_and_saveexec_b32 s5, s4
	s_cbranch_execz .LBB101_12
; %bb.11:
	s_lshl_b64 s[8:9], s[6:7], 2
	s_add_u32 s8, s10, s8
	s_addc_u32 s9, s11, s9
	s_waitcnt lgkmcnt(0)
	global_store_dword v77, v78, s[8:9]
.LBB101_12:
	s_or_b32 exec_lo, exec_lo, s5
	s_waitcnt lgkmcnt(0)
	v_cmp_ne_u32_e32 vcc_lo, 0, v78
	s_mov_b32 s5, 0
	s_cbranch_vccnz .LBB101_164
; %bb.13:
	s_clause 0x1
	buffer_load_dword v78, v81, s[0:3], 0 offen
	buffer_load_dword v80, v81, s[0:3], 0 offen offset:4
                                        ; implicit-def: $vgpr83
                                        ; implicit-def: $vgpr82
                                        ; implicit-def: $vgpr77
	s_waitcnt vmcnt(0)
	v_cmp_ngt_f32_e64 s5, |v78|, |v80|
	s_and_saveexec_b32 s8, s5
	s_xor_b32 s5, exec_lo, s8
	s_cbranch_execz .LBB101_15
; %bb.14:
	v_div_scale_f32 v77, null, v80, v80, v78
	v_div_scale_f32 v84, vcc_lo, v78, v80, v78
	v_rcp_f32_e32 v82, v77
	v_fma_f32 v83, -v77, v82, 1.0
	v_fmac_f32_e32 v82, v83, v82
	v_mul_f32_e32 v83, v84, v82
	v_fma_f32 v85, -v77, v83, v84
	v_fmac_f32_e32 v83, v85, v82
	v_fma_f32 v77, -v77, v83, v84
	v_div_fmas_f32 v77, v77, v82, v83
	v_div_fixup_f32 v77, v77, v80, v78
	v_fmac_f32_e32 v80, v78, v77
	v_div_scale_f32 v78, null, v80, v80, 1.0
	v_rcp_f32_e32 v82, v78
	v_fma_f32 v83, -v78, v82, 1.0
	v_fmac_f32_e32 v82, v83, v82
	v_div_scale_f32 v83, vcc_lo, 1.0, v80, 1.0
	v_mul_f32_e32 v84, v83, v82
	v_fma_f32 v85, -v78, v84, v83
	v_fmac_f32_e32 v84, v85, v82
	v_fma_f32 v78, -v78, v84, v83
	v_div_fmas_f32 v78, v78, v82, v84
	v_div_fixup_f32 v78, v78, v80, 1.0
                                        ; implicit-def: $vgpr80
	v_mul_f32_e32 v83, v77, v78
	v_xor_b32_e32 v82, 0x80000000, v78
                                        ; implicit-def: $vgpr78
	v_xor_b32_e32 v77, 0x80000000, v83
.LBB101_15:
	s_andn2_saveexec_b32 s5, s5
	s_cbranch_execz .LBB101_17
; %bb.16:
	v_div_scale_f32 v77, null, v78, v78, v80
	v_div_scale_f32 v84, vcc_lo, v80, v78, v80
	v_rcp_f32_e32 v82, v77
	v_fma_f32 v83, -v77, v82, 1.0
	v_fmac_f32_e32 v82, v83, v82
	v_mul_f32_e32 v83, v84, v82
	v_fma_f32 v85, -v77, v83, v84
	v_fmac_f32_e32 v83, v85, v82
	v_fma_f32 v77, -v77, v83, v84
	v_div_fmas_f32 v77, v77, v82, v83
	v_div_fixup_f32 v82, v77, v78, v80
	v_fmac_f32_e32 v78, v80, v82
	v_div_scale_f32 v77, null, v78, v78, 1.0
	v_div_scale_f32 v84, vcc_lo, 1.0, v78, 1.0
	v_rcp_f32_e32 v80, v77
	v_fma_f32 v83, -v77, v80, 1.0
	v_fmac_f32_e32 v80, v83, v80
	v_mul_f32_e32 v83, v84, v80
	v_fma_f32 v85, -v77, v83, v84
	v_fmac_f32_e32 v83, v85, v80
	v_fma_f32 v77, -v77, v83, v84
	v_div_fmas_f32 v77, v77, v80, v83
	v_div_fixup_f32 v83, v77, v78, 1.0
	v_xor_b32_e32 v77, 0x80000000, v83
	v_mul_f32_e64 v82, v82, -v83
.LBB101_17:
	s_or_b32 exec_lo, exec_lo, s5
	buffer_store_dword v83, v81, s[0:3], 0 offen
	buffer_store_dword v82, v81, s[0:3], 0 offen offset:4
	s_clause 0x1
	buffer_load_dword v84, off, s[0:3], 0 offset:12
	buffer_load_dword v83, off, s[0:3], 0 offset:8
	v_xor_b32_e32 v78, 0x80000000, v82
	v_add_nc_u32_e32 v80, 0x130, v79
	s_waitcnt vmcnt(0)
	ds_write2_b64 v79, v[77:78], v[83:84] offset1:38
	s_waitcnt lgkmcnt(0)
	s_waitcnt_vscnt null, 0x0
	s_barrier
	buffer_gl0_inv
	s_and_saveexec_b32 s5, s4
	s_cbranch_execz .LBB101_19
; %bb.18:
	s_clause 0x1
	buffer_load_dword v84, v81, s[0:3], 0 offen offset:4
	buffer_load_dword v85, v81, s[0:3], 0 offen
	ds_read_b64 v[77:78], v80
	v_mov_b32_e32 v82, 0
	ds_read_b64 v[82:83], v82 offset:8
	s_waitcnt vmcnt(1) lgkmcnt(1)
	v_mul_f32_e32 v86, v77, v84
	v_mul_f32_e32 v84, v78, v84
	s_waitcnt vmcnt(0)
	v_fmac_f32_e32 v86, v78, v85
	v_fma_f32 v77, v77, v85, -v84
	v_add_f32_e32 v78, 0, v86
	v_add_f32_e32 v77, 0, v77
	s_waitcnt lgkmcnt(0)
	v_mul_f32_e32 v84, v78, v83
	v_mul_f32_e32 v83, v77, v83
	v_fma_f32 v77, v77, v82, -v84
	v_fmac_f32_e32 v83, v78, v82
	buffer_store_dword v77, off, s[0:3], 0 offset:8
	buffer_store_dword v83, off, s[0:3], 0 offset:12
.LBB101_19:
	s_or_b32 exec_lo, exec_lo, s5
	s_waitcnt_vscnt null, 0x0
	s_barrier
	buffer_gl0_inv
	s_clause 0x1
	buffer_load_dword v77, off, s[0:3], 0 offset:16
	buffer_load_dword v78, off, s[0:3], 0 offset:20
	s_mov_b32 s5, exec_lo
	s_waitcnt vmcnt(0)
	ds_write_b64 v80, v[77:78]
	s_waitcnt lgkmcnt(0)
	s_barrier
	buffer_gl0_inv
	v_cmpx_gt_u32_e32 2, v0
	s_cbranch_execz .LBB101_23
; %bb.20:
	s_clause 0x1
	buffer_load_dword v82, v81, s[0:3], 0 offen offset:4
	buffer_load_dword v81, v81, s[0:3], 0 offen
	ds_read_b64 v[77:78], v80
	s_waitcnt vmcnt(1) lgkmcnt(0)
	v_mul_f32_e32 v83, v78, v82
	v_mul_f32_e32 v82, v77, v82
	s_waitcnt vmcnt(0)
	v_fma_f32 v77, v77, v81, -v83
	v_fmac_f32_e32 v82, v78, v81
	v_add_f32_e32 v78, 0, v77
	v_add_f32_e32 v77, 0, v82
	s_and_saveexec_b32 s8, s4
	s_cbranch_execz .LBB101_22
; %bb.21:
	s_clause 0x1
	buffer_load_dword v83, off, s[0:3], 0 offset:12
	buffer_load_dword v84, off, s[0:3], 0 offset:8
	v_mov_b32_e32 v81, 0
	ds_read_b64 v[81:82], v81 offset:312
	s_waitcnt vmcnt(1) lgkmcnt(0)
	v_mul_f32_e32 v85, v81, v83
	v_mul_f32_e32 v83, v82, v83
	s_waitcnt vmcnt(0)
	v_fmac_f32_e32 v85, v82, v84
	v_fma_f32 v81, v81, v84, -v83
	v_add_f32_e32 v77, v77, v85
	v_add_f32_e32 v78, v78, v81
.LBB101_22:
	s_or_b32 exec_lo, exec_lo, s8
	v_mov_b32_e32 v81, 0
	ds_read_b64 v[81:82], v81 offset:16
	s_waitcnt lgkmcnt(0)
	v_mul_f32_e32 v83, v77, v82
	v_mul_f32_e32 v82, v78, v82
	v_fma_f32 v78, v78, v81, -v83
	v_fmac_f32_e32 v82, v77, v81
	buffer_store_dword v78, off, s[0:3], 0 offset:16
	buffer_store_dword v82, off, s[0:3], 0 offset:20
.LBB101_23:
	s_or_b32 exec_lo, exec_lo, s5
	s_waitcnt_vscnt null, 0x0
	s_barrier
	buffer_gl0_inv
	s_clause 0x1
	buffer_load_dword v81, off, s[0:3], 0 offset:24
	buffer_load_dword v82, off, s[0:3], 0 offset:28
	v_add_nc_u32_e32 v77, -1, v0
	s_mov_b32 s4, exec_lo
	s_waitcnt vmcnt(0)
	ds_write_b64 v80, v[81:82]
	s_waitcnt lgkmcnt(0)
	s_barrier
	buffer_gl0_inv
	v_cmpx_gt_u32_e32 3, v0
	s_cbranch_execz .LBB101_27
; %bb.24:
	v_add_nc_u32_e32 v81, -1, v0
	v_add_nc_u32_e32 v82, 0x130, v79
	v_mov_b32_e32 v83, v79
	v_mov_b32_e32 v78, 0
	;; [unrolled: 1-line block ×3, first 2 shown]
	s_mov_b32 s5, 0
	.p2align	6
.LBB101_25:                             ; =>This Inner Loop Header: Depth=1
	s_clause 0x1
	buffer_load_dword v87, v83, s[0:3], 0 offen offset:4
	buffer_load_dword v88, v83, s[0:3], 0 offen
	ds_read_b64 v[85:86], v82
	v_add_nc_u32_e32 v81, 1, v81
	v_add_nc_u32_e32 v82, 8, v82
	;; [unrolled: 1-line block ×3, first 2 shown]
	v_cmp_lt_u32_e32 vcc_lo, 1, v81
	s_or_b32 s5, vcc_lo, s5
	s_waitcnt vmcnt(1) lgkmcnt(0)
	v_mul_f32_e32 v89, v86, v87
	v_mul_f32_e32 v87, v85, v87
	s_waitcnt vmcnt(0)
	v_fma_f32 v85, v85, v88, -v89
	v_fmac_f32_e32 v87, v86, v88
	v_add_f32_e32 v84, v84, v85
	v_add_f32_e32 v78, v78, v87
	s_andn2_b32 exec_lo, exec_lo, s5
	s_cbranch_execnz .LBB101_25
; %bb.26:
	s_or_b32 exec_lo, exec_lo, s5
	v_mov_b32_e32 v81, 0
	ds_read_b64 v[81:82], v81 offset:24
	s_waitcnt lgkmcnt(0)
	v_mul_f32_e32 v83, v78, v82
	v_mul_f32_e32 v82, v84, v82
	v_fma_f32 v83, v84, v81, -v83
	v_fmac_f32_e32 v82, v78, v81
	buffer_store_dword v83, off, s[0:3], 0 offset:24
	buffer_store_dword v82, off, s[0:3], 0 offset:28
.LBB101_27:
	s_or_b32 exec_lo, exec_lo, s4
	s_waitcnt_vscnt null, 0x0
	s_barrier
	buffer_gl0_inv
	s_clause 0x1
	buffer_load_dword v81, off, s[0:3], 0 offset:32
	buffer_load_dword v82, off, s[0:3], 0 offset:36
	s_mov_b32 s4, exec_lo
	s_waitcnt vmcnt(0)
	ds_write_b64 v80, v[81:82]
	s_waitcnt lgkmcnt(0)
	s_barrier
	buffer_gl0_inv
	v_cmpx_gt_u32_e32 4, v0
	s_cbranch_execz .LBB101_31
; %bb.28:
	v_add_nc_u32_e32 v81, -1, v0
	v_add_nc_u32_e32 v82, 0x130, v79
	v_mov_b32_e32 v83, v79
	v_mov_b32_e32 v78, 0
	;; [unrolled: 1-line block ×3, first 2 shown]
	s_mov_b32 s5, 0
	.p2align	6
.LBB101_29:                             ; =>This Inner Loop Header: Depth=1
	s_clause 0x1
	buffer_load_dword v87, v83, s[0:3], 0 offen offset:4
	buffer_load_dword v88, v83, s[0:3], 0 offen
	ds_read_b64 v[85:86], v82
	v_add_nc_u32_e32 v81, 1, v81
	v_add_nc_u32_e32 v82, 8, v82
	;; [unrolled: 1-line block ×3, first 2 shown]
	v_cmp_lt_u32_e32 vcc_lo, 2, v81
	s_or_b32 s5, vcc_lo, s5
	s_waitcnt vmcnt(1) lgkmcnt(0)
	v_mul_f32_e32 v89, v86, v87
	v_mul_f32_e32 v87, v85, v87
	s_waitcnt vmcnt(0)
	v_fma_f32 v85, v85, v88, -v89
	v_fmac_f32_e32 v87, v86, v88
	v_add_f32_e32 v84, v84, v85
	v_add_f32_e32 v78, v78, v87
	s_andn2_b32 exec_lo, exec_lo, s5
	s_cbranch_execnz .LBB101_29
; %bb.30:
	s_or_b32 exec_lo, exec_lo, s5
	v_mov_b32_e32 v81, 0
	ds_read_b64 v[81:82], v81 offset:32
	s_waitcnt lgkmcnt(0)
	v_mul_f32_e32 v83, v78, v82
	v_mul_f32_e32 v82, v84, v82
	v_fma_f32 v83, v84, v81, -v83
	v_fmac_f32_e32 v82, v78, v81
	buffer_store_dword v83, off, s[0:3], 0 offset:32
	buffer_store_dword v82, off, s[0:3], 0 offset:36
.LBB101_31:
	s_or_b32 exec_lo, exec_lo, s4
	s_waitcnt_vscnt null, 0x0
	s_barrier
	buffer_gl0_inv
	s_clause 0x1
	buffer_load_dword v81, off, s[0:3], 0 offset:40
	buffer_load_dword v82, off, s[0:3], 0 offset:44
	s_mov_b32 s4, exec_lo
	s_waitcnt vmcnt(0)
	ds_write_b64 v80, v[81:82]
	s_waitcnt lgkmcnt(0)
	s_barrier
	buffer_gl0_inv
	v_cmpx_gt_u32_e32 5, v0
	s_cbranch_execz .LBB101_35
; %bb.32:
	v_add_nc_u32_e32 v81, -1, v0
	v_add_nc_u32_e32 v82, 0x130, v79
	v_mov_b32_e32 v83, v79
	v_mov_b32_e32 v78, 0
	;; [unrolled: 1-line block ×3, first 2 shown]
	s_mov_b32 s5, 0
	.p2align	6
.LBB101_33:                             ; =>This Inner Loop Header: Depth=1
	s_clause 0x1
	buffer_load_dword v87, v83, s[0:3], 0 offen offset:4
	buffer_load_dword v88, v83, s[0:3], 0 offen
	ds_read_b64 v[85:86], v82
	v_add_nc_u32_e32 v81, 1, v81
	v_add_nc_u32_e32 v82, 8, v82
	;; [unrolled: 1-line block ×3, first 2 shown]
	v_cmp_lt_u32_e32 vcc_lo, 3, v81
	s_or_b32 s5, vcc_lo, s5
	s_waitcnt vmcnt(1) lgkmcnt(0)
	v_mul_f32_e32 v89, v86, v87
	v_mul_f32_e32 v87, v85, v87
	s_waitcnt vmcnt(0)
	v_fma_f32 v85, v85, v88, -v89
	v_fmac_f32_e32 v87, v86, v88
	v_add_f32_e32 v84, v84, v85
	v_add_f32_e32 v78, v78, v87
	s_andn2_b32 exec_lo, exec_lo, s5
	s_cbranch_execnz .LBB101_33
; %bb.34:
	s_or_b32 exec_lo, exec_lo, s5
	v_mov_b32_e32 v81, 0
	ds_read_b64 v[81:82], v81 offset:40
	s_waitcnt lgkmcnt(0)
	v_mul_f32_e32 v83, v78, v82
	v_mul_f32_e32 v82, v84, v82
	v_fma_f32 v83, v84, v81, -v83
	v_fmac_f32_e32 v82, v78, v81
	buffer_store_dword v83, off, s[0:3], 0 offset:40
	buffer_store_dword v82, off, s[0:3], 0 offset:44
.LBB101_35:
	s_or_b32 exec_lo, exec_lo, s4
	s_waitcnt_vscnt null, 0x0
	s_barrier
	buffer_gl0_inv
	s_clause 0x1
	buffer_load_dword v81, off, s[0:3], 0 offset:48
	buffer_load_dword v82, off, s[0:3], 0 offset:52
	s_mov_b32 s4, exec_lo
	s_waitcnt vmcnt(0)
	ds_write_b64 v80, v[81:82]
	s_waitcnt lgkmcnt(0)
	s_barrier
	buffer_gl0_inv
	v_cmpx_gt_u32_e32 6, v0
	s_cbranch_execz .LBB101_39
; %bb.36:
	v_add_nc_u32_e32 v81, -1, v0
	v_add_nc_u32_e32 v82, 0x130, v79
	v_mov_b32_e32 v83, v79
	v_mov_b32_e32 v78, 0
	v_mov_b32_e32 v84, 0
	s_mov_b32 s5, 0
	.p2align	6
.LBB101_37:                             ; =>This Inner Loop Header: Depth=1
	s_clause 0x1
	buffer_load_dword v87, v83, s[0:3], 0 offen offset:4
	buffer_load_dword v88, v83, s[0:3], 0 offen
	ds_read_b64 v[85:86], v82
	v_add_nc_u32_e32 v81, 1, v81
	v_add_nc_u32_e32 v82, 8, v82
	;; [unrolled: 1-line block ×3, first 2 shown]
	v_cmp_lt_u32_e32 vcc_lo, 4, v81
	s_or_b32 s5, vcc_lo, s5
	s_waitcnt vmcnt(1) lgkmcnt(0)
	v_mul_f32_e32 v89, v86, v87
	v_mul_f32_e32 v87, v85, v87
	s_waitcnt vmcnt(0)
	v_fma_f32 v85, v85, v88, -v89
	v_fmac_f32_e32 v87, v86, v88
	v_add_f32_e32 v84, v84, v85
	v_add_f32_e32 v78, v78, v87
	s_andn2_b32 exec_lo, exec_lo, s5
	s_cbranch_execnz .LBB101_37
; %bb.38:
	s_or_b32 exec_lo, exec_lo, s5
	v_mov_b32_e32 v81, 0
	ds_read_b64 v[81:82], v81 offset:48
	s_waitcnt lgkmcnt(0)
	v_mul_f32_e32 v83, v78, v82
	v_mul_f32_e32 v82, v84, v82
	v_fma_f32 v83, v84, v81, -v83
	v_fmac_f32_e32 v82, v78, v81
	buffer_store_dword v83, off, s[0:3], 0 offset:48
	buffer_store_dword v82, off, s[0:3], 0 offset:52
.LBB101_39:
	s_or_b32 exec_lo, exec_lo, s4
	s_waitcnt_vscnt null, 0x0
	s_barrier
	buffer_gl0_inv
	s_clause 0x1
	buffer_load_dword v81, off, s[0:3], 0 offset:56
	buffer_load_dword v82, off, s[0:3], 0 offset:60
	s_mov_b32 s4, exec_lo
	s_waitcnt vmcnt(0)
	ds_write_b64 v80, v[81:82]
	s_waitcnt lgkmcnt(0)
	s_barrier
	buffer_gl0_inv
	v_cmpx_gt_u32_e32 7, v0
	s_cbranch_execz .LBB101_43
; %bb.40:
	v_add_nc_u32_e32 v81, -1, v0
	v_add_nc_u32_e32 v82, 0x130, v79
	v_mov_b32_e32 v83, v79
	v_mov_b32_e32 v78, 0
	;; [unrolled: 1-line block ×3, first 2 shown]
	s_mov_b32 s5, 0
	.p2align	6
.LBB101_41:                             ; =>This Inner Loop Header: Depth=1
	s_clause 0x1
	buffer_load_dword v87, v83, s[0:3], 0 offen offset:4
	buffer_load_dword v88, v83, s[0:3], 0 offen
	ds_read_b64 v[85:86], v82
	v_add_nc_u32_e32 v81, 1, v81
	v_add_nc_u32_e32 v82, 8, v82
	;; [unrolled: 1-line block ×3, first 2 shown]
	v_cmp_lt_u32_e32 vcc_lo, 5, v81
	s_or_b32 s5, vcc_lo, s5
	s_waitcnt vmcnt(1) lgkmcnt(0)
	v_mul_f32_e32 v89, v86, v87
	v_mul_f32_e32 v87, v85, v87
	s_waitcnt vmcnt(0)
	v_fma_f32 v85, v85, v88, -v89
	v_fmac_f32_e32 v87, v86, v88
	v_add_f32_e32 v84, v84, v85
	v_add_f32_e32 v78, v78, v87
	s_andn2_b32 exec_lo, exec_lo, s5
	s_cbranch_execnz .LBB101_41
; %bb.42:
	s_or_b32 exec_lo, exec_lo, s5
	v_mov_b32_e32 v81, 0
	ds_read_b64 v[81:82], v81 offset:56
	s_waitcnt lgkmcnt(0)
	v_mul_f32_e32 v83, v78, v82
	v_mul_f32_e32 v82, v84, v82
	v_fma_f32 v83, v84, v81, -v83
	v_fmac_f32_e32 v82, v78, v81
	buffer_store_dword v83, off, s[0:3], 0 offset:56
	buffer_store_dword v82, off, s[0:3], 0 offset:60
.LBB101_43:
	s_or_b32 exec_lo, exec_lo, s4
	s_waitcnt_vscnt null, 0x0
	s_barrier
	buffer_gl0_inv
	s_clause 0x1
	buffer_load_dword v81, off, s[0:3], 0 offset:64
	buffer_load_dword v82, off, s[0:3], 0 offset:68
	s_mov_b32 s4, exec_lo
	s_waitcnt vmcnt(0)
	ds_write_b64 v80, v[81:82]
	s_waitcnt lgkmcnt(0)
	s_barrier
	buffer_gl0_inv
	v_cmpx_gt_u32_e32 8, v0
	s_cbranch_execz .LBB101_47
; %bb.44:
	v_add_nc_u32_e32 v81, -1, v0
	v_add_nc_u32_e32 v82, 0x130, v79
	v_mov_b32_e32 v83, v79
	v_mov_b32_e32 v78, 0
	;; [unrolled: 1-line block ×3, first 2 shown]
	s_mov_b32 s5, 0
	.p2align	6
.LBB101_45:                             ; =>This Inner Loop Header: Depth=1
	s_clause 0x1
	buffer_load_dword v87, v83, s[0:3], 0 offen offset:4
	buffer_load_dword v88, v83, s[0:3], 0 offen
	ds_read_b64 v[85:86], v82
	v_add_nc_u32_e32 v81, 1, v81
	v_add_nc_u32_e32 v82, 8, v82
	;; [unrolled: 1-line block ×3, first 2 shown]
	v_cmp_lt_u32_e32 vcc_lo, 6, v81
	s_or_b32 s5, vcc_lo, s5
	s_waitcnt vmcnt(1) lgkmcnt(0)
	v_mul_f32_e32 v89, v86, v87
	v_mul_f32_e32 v87, v85, v87
	s_waitcnt vmcnt(0)
	v_fma_f32 v85, v85, v88, -v89
	v_fmac_f32_e32 v87, v86, v88
	v_add_f32_e32 v84, v84, v85
	v_add_f32_e32 v78, v78, v87
	s_andn2_b32 exec_lo, exec_lo, s5
	s_cbranch_execnz .LBB101_45
; %bb.46:
	s_or_b32 exec_lo, exec_lo, s5
	v_mov_b32_e32 v81, 0
	ds_read_b64 v[81:82], v81 offset:64
	s_waitcnt lgkmcnt(0)
	v_mul_f32_e32 v83, v78, v82
	v_mul_f32_e32 v82, v84, v82
	v_fma_f32 v83, v84, v81, -v83
	v_fmac_f32_e32 v82, v78, v81
	buffer_store_dword v83, off, s[0:3], 0 offset:64
	buffer_store_dword v82, off, s[0:3], 0 offset:68
.LBB101_47:
	s_or_b32 exec_lo, exec_lo, s4
	s_waitcnt_vscnt null, 0x0
	s_barrier
	buffer_gl0_inv
	s_clause 0x1
	buffer_load_dword v81, off, s[0:3], 0 offset:72
	buffer_load_dword v82, off, s[0:3], 0 offset:76
	s_mov_b32 s4, exec_lo
	s_waitcnt vmcnt(0)
	ds_write_b64 v80, v[81:82]
	s_waitcnt lgkmcnt(0)
	s_barrier
	buffer_gl0_inv
	v_cmpx_gt_u32_e32 9, v0
	s_cbranch_execz .LBB101_51
; %bb.48:
	v_add_nc_u32_e32 v81, -1, v0
	v_add_nc_u32_e32 v82, 0x130, v79
	v_mov_b32_e32 v83, v79
	v_mov_b32_e32 v78, 0
	v_mov_b32_e32 v84, 0
	s_mov_b32 s5, 0
	.p2align	6
.LBB101_49:                             ; =>This Inner Loop Header: Depth=1
	s_clause 0x1
	buffer_load_dword v87, v83, s[0:3], 0 offen offset:4
	buffer_load_dword v88, v83, s[0:3], 0 offen
	ds_read_b64 v[85:86], v82
	v_add_nc_u32_e32 v81, 1, v81
	v_add_nc_u32_e32 v82, 8, v82
	;; [unrolled: 1-line block ×3, first 2 shown]
	v_cmp_lt_u32_e32 vcc_lo, 7, v81
	s_or_b32 s5, vcc_lo, s5
	s_waitcnt vmcnt(1) lgkmcnt(0)
	v_mul_f32_e32 v89, v86, v87
	v_mul_f32_e32 v87, v85, v87
	s_waitcnt vmcnt(0)
	v_fma_f32 v85, v85, v88, -v89
	v_fmac_f32_e32 v87, v86, v88
	v_add_f32_e32 v84, v84, v85
	v_add_f32_e32 v78, v78, v87
	s_andn2_b32 exec_lo, exec_lo, s5
	s_cbranch_execnz .LBB101_49
; %bb.50:
	s_or_b32 exec_lo, exec_lo, s5
	v_mov_b32_e32 v81, 0
	ds_read_b64 v[81:82], v81 offset:72
	s_waitcnt lgkmcnt(0)
	v_mul_f32_e32 v83, v78, v82
	v_mul_f32_e32 v82, v84, v82
	v_fma_f32 v83, v84, v81, -v83
	v_fmac_f32_e32 v82, v78, v81
	buffer_store_dword v83, off, s[0:3], 0 offset:72
	buffer_store_dword v82, off, s[0:3], 0 offset:76
.LBB101_51:
	s_or_b32 exec_lo, exec_lo, s4
	s_waitcnt_vscnt null, 0x0
	s_barrier
	buffer_gl0_inv
	s_clause 0x1
	buffer_load_dword v81, off, s[0:3], 0 offset:80
	buffer_load_dword v82, off, s[0:3], 0 offset:84
	s_mov_b32 s4, exec_lo
	s_waitcnt vmcnt(0)
	ds_write_b64 v80, v[81:82]
	s_waitcnt lgkmcnt(0)
	s_barrier
	buffer_gl0_inv
	v_cmpx_gt_u32_e32 10, v0
	s_cbranch_execz .LBB101_55
; %bb.52:
	v_add_nc_u32_e32 v81, -1, v0
	v_add_nc_u32_e32 v82, 0x130, v79
	v_mov_b32_e32 v83, v79
	v_mov_b32_e32 v78, 0
	;; [unrolled: 1-line block ×3, first 2 shown]
	s_mov_b32 s5, 0
	.p2align	6
.LBB101_53:                             ; =>This Inner Loop Header: Depth=1
	s_clause 0x1
	buffer_load_dword v87, v83, s[0:3], 0 offen offset:4
	buffer_load_dword v88, v83, s[0:3], 0 offen
	ds_read_b64 v[85:86], v82
	v_add_nc_u32_e32 v81, 1, v81
	v_add_nc_u32_e32 v82, 8, v82
	v_add_nc_u32_e32 v83, 8, v83
	v_cmp_lt_u32_e32 vcc_lo, 8, v81
	s_or_b32 s5, vcc_lo, s5
	s_waitcnt vmcnt(1) lgkmcnt(0)
	v_mul_f32_e32 v89, v86, v87
	v_mul_f32_e32 v87, v85, v87
	s_waitcnt vmcnt(0)
	v_fma_f32 v85, v85, v88, -v89
	v_fmac_f32_e32 v87, v86, v88
	v_add_f32_e32 v84, v84, v85
	v_add_f32_e32 v78, v78, v87
	s_andn2_b32 exec_lo, exec_lo, s5
	s_cbranch_execnz .LBB101_53
; %bb.54:
	s_or_b32 exec_lo, exec_lo, s5
	v_mov_b32_e32 v81, 0
	ds_read_b64 v[81:82], v81 offset:80
	s_waitcnt lgkmcnt(0)
	v_mul_f32_e32 v83, v78, v82
	v_mul_f32_e32 v82, v84, v82
	v_fma_f32 v83, v84, v81, -v83
	v_fmac_f32_e32 v82, v78, v81
	buffer_store_dword v83, off, s[0:3], 0 offset:80
	buffer_store_dword v82, off, s[0:3], 0 offset:84
.LBB101_55:
	s_or_b32 exec_lo, exec_lo, s4
	s_waitcnt_vscnt null, 0x0
	s_barrier
	buffer_gl0_inv
	s_clause 0x1
	buffer_load_dword v81, off, s[0:3], 0 offset:88
	buffer_load_dword v82, off, s[0:3], 0 offset:92
	s_mov_b32 s4, exec_lo
	s_waitcnt vmcnt(0)
	ds_write_b64 v80, v[81:82]
	s_waitcnt lgkmcnt(0)
	s_barrier
	buffer_gl0_inv
	v_cmpx_gt_u32_e32 11, v0
	s_cbranch_execz .LBB101_59
; %bb.56:
	v_add_nc_u32_e32 v81, -1, v0
	v_add_nc_u32_e32 v82, 0x130, v79
	v_mov_b32_e32 v83, v79
	v_mov_b32_e32 v78, 0
	;; [unrolled: 1-line block ×3, first 2 shown]
	s_mov_b32 s5, 0
	.p2align	6
.LBB101_57:                             ; =>This Inner Loop Header: Depth=1
	s_clause 0x1
	buffer_load_dword v87, v83, s[0:3], 0 offen offset:4
	buffer_load_dword v88, v83, s[0:3], 0 offen
	ds_read_b64 v[85:86], v82
	v_add_nc_u32_e32 v81, 1, v81
	v_add_nc_u32_e32 v82, 8, v82
	;; [unrolled: 1-line block ×3, first 2 shown]
	v_cmp_lt_u32_e32 vcc_lo, 9, v81
	s_or_b32 s5, vcc_lo, s5
	s_waitcnt vmcnt(1) lgkmcnt(0)
	v_mul_f32_e32 v89, v86, v87
	v_mul_f32_e32 v87, v85, v87
	s_waitcnt vmcnt(0)
	v_fma_f32 v85, v85, v88, -v89
	v_fmac_f32_e32 v87, v86, v88
	v_add_f32_e32 v84, v84, v85
	v_add_f32_e32 v78, v78, v87
	s_andn2_b32 exec_lo, exec_lo, s5
	s_cbranch_execnz .LBB101_57
; %bb.58:
	s_or_b32 exec_lo, exec_lo, s5
	v_mov_b32_e32 v81, 0
	ds_read_b64 v[81:82], v81 offset:88
	s_waitcnt lgkmcnt(0)
	v_mul_f32_e32 v83, v78, v82
	v_mul_f32_e32 v82, v84, v82
	v_fma_f32 v83, v84, v81, -v83
	v_fmac_f32_e32 v82, v78, v81
	buffer_store_dword v83, off, s[0:3], 0 offset:88
	buffer_store_dword v82, off, s[0:3], 0 offset:92
.LBB101_59:
	s_or_b32 exec_lo, exec_lo, s4
	s_waitcnt_vscnt null, 0x0
	s_barrier
	buffer_gl0_inv
	s_clause 0x1
	buffer_load_dword v81, off, s[0:3], 0 offset:96
	buffer_load_dword v82, off, s[0:3], 0 offset:100
	s_mov_b32 s4, exec_lo
	s_waitcnt vmcnt(0)
	ds_write_b64 v80, v[81:82]
	s_waitcnt lgkmcnt(0)
	s_barrier
	buffer_gl0_inv
	v_cmpx_gt_u32_e32 12, v0
	s_cbranch_execz .LBB101_63
; %bb.60:
	v_add_nc_u32_e32 v81, -1, v0
	v_add_nc_u32_e32 v82, 0x130, v79
	v_mov_b32_e32 v83, v79
	v_mov_b32_e32 v78, 0
	;; [unrolled: 1-line block ×3, first 2 shown]
	s_mov_b32 s5, 0
	.p2align	6
.LBB101_61:                             ; =>This Inner Loop Header: Depth=1
	s_clause 0x1
	buffer_load_dword v87, v83, s[0:3], 0 offen offset:4
	buffer_load_dword v88, v83, s[0:3], 0 offen
	ds_read_b64 v[85:86], v82
	v_add_nc_u32_e32 v81, 1, v81
	v_add_nc_u32_e32 v82, 8, v82
	;; [unrolled: 1-line block ×3, first 2 shown]
	v_cmp_lt_u32_e32 vcc_lo, 10, v81
	s_or_b32 s5, vcc_lo, s5
	s_waitcnt vmcnt(1) lgkmcnt(0)
	v_mul_f32_e32 v89, v86, v87
	v_mul_f32_e32 v87, v85, v87
	s_waitcnt vmcnt(0)
	v_fma_f32 v85, v85, v88, -v89
	v_fmac_f32_e32 v87, v86, v88
	v_add_f32_e32 v84, v84, v85
	v_add_f32_e32 v78, v78, v87
	s_andn2_b32 exec_lo, exec_lo, s5
	s_cbranch_execnz .LBB101_61
; %bb.62:
	s_or_b32 exec_lo, exec_lo, s5
	v_mov_b32_e32 v81, 0
	ds_read_b64 v[81:82], v81 offset:96
	s_waitcnt lgkmcnt(0)
	v_mul_f32_e32 v83, v78, v82
	v_mul_f32_e32 v82, v84, v82
	v_fma_f32 v83, v84, v81, -v83
	v_fmac_f32_e32 v82, v78, v81
	buffer_store_dword v83, off, s[0:3], 0 offset:96
	buffer_store_dword v82, off, s[0:3], 0 offset:100
.LBB101_63:
	s_or_b32 exec_lo, exec_lo, s4
	s_waitcnt_vscnt null, 0x0
	s_barrier
	buffer_gl0_inv
	s_clause 0x1
	buffer_load_dword v81, off, s[0:3], 0 offset:104
	buffer_load_dword v82, off, s[0:3], 0 offset:108
	s_mov_b32 s4, exec_lo
	s_waitcnt vmcnt(0)
	ds_write_b64 v80, v[81:82]
	s_waitcnt lgkmcnt(0)
	s_barrier
	buffer_gl0_inv
	v_cmpx_gt_u32_e32 13, v0
	s_cbranch_execz .LBB101_67
; %bb.64:
	v_add_nc_u32_e32 v81, -1, v0
	v_add_nc_u32_e32 v82, 0x130, v79
	v_mov_b32_e32 v83, v79
	v_mov_b32_e32 v78, 0
	;; [unrolled: 1-line block ×3, first 2 shown]
	s_mov_b32 s5, 0
	.p2align	6
.LBB101_65:                             ; =>This Inner Loop Header: Depth=1
	s_clause 0x1
	buffer_load_dword v87, v83, s[0:3], 0 offen offset:4
	buffer_load_dword v88, v83, s[0:3], 0 offen
	ds_read_b64 v[85:86], v82
	v_add_nc_u32_e32 v81, 1, v81
	v_add_nc_u32_e32 v82, 8, v82
	;; [unrolled: 1-line block ×3, first 2 shown]
	v_cmp_lt_u32_e32 vcc_lo, 11, v81
	s_or_b32 s5, vcc_lo, s5
	s_waitcnt vmcnt(1) lgkmcnt(0)
	v_mul_f32_e32 v89, v86, v87
	v_mul_f32_e32 v87, v85, v87
	s_waitcnt vmcnt(0)
	v_fma_f32 v85, v85, v88, -v89
	v_fmac_f32_e32 v87, v86, v88
	v_add_f32_e32 v84, v84, v85
	v_add_f32_e32 v78, v78, v87
	s_andn2_b32 exec_lo, exec_lo, s5
	s_cbranch_execnz .LBB101_65
; %bb.66:
	s_or_b32 exec_lo, exec_lo, s5
	v_mov_b32_e32 v81, 0
	ds_read_b64 v[81:82], v81 offset:104
	s_waitcnt lgkmcnt(0)
	v_mul_f32_e32 v83, v78, v82
	v_mul_f32_e32 v82, v84, v82
	v_fma_f32 v83, v84, v81, -v83
	v_fmac_f32_e32 v82, v78, v81
	buffer_store_dword v83, off, s[0:3], 0 offset:104
	buffer_store_dword v82, off, s[0:3], 0 offset:108
.LBB101_67:
	s_or_b32 exec_lo, exec_lo, s4
	s_waitcnt_vscnt null, 0x0
	s_barrier
	buffer_gl0_inv
	s_clause 0x1
	buffer_load_dword v81, off, s[0:3], 0 offset:112
	buffer_load_dword v82, off, s[0:3], 0 offset:116
	s_mov_b32 s4, exec_lo
	s_waitcnt vmcnt(0)
	ds_write_b64 v80, v[81:82]
	s_waitcnt lgkmcnt(0)
	s_barrier
	buffer_gl0_inv
	v_cmpx_gt_u32_e32 14, v0
	s_cbranch_execz .LBB101_71
; %bb.68:
	v_add_nc_u32_e32 v81, -1, v0
	v_add_nc_u32_e32 v82, 0x130, v79
	v_mov_b32_e32 v83, v79
	v_mov_b32_e32 v78, 0
	;; [unrolled: 1-line block ×3, first 2 shown]
	s_mov_b32 s5, 0
	.p2align	6
.LBB101_69:                             ; =>This Inner Loop Header: Depth=1
	s_clause 0x1
	buffer_load_dword v87, v83, s[0:3], 0 offen offset:4
	buffer_load_dword v88, v83, s[0:3], 0 offen
	ds_read_b64 v[85:86], v82
	v_add_nc_u32_e32 v81, 1, v81
	v_add_nc_u32_e32 v82, 8, v82
	;; [unrolled: 1-line block ×3, first 2 shown]
	v_cmp_lt_u32_e32 vcc_lo, 12, v81
	s_or_b32 s5, vcc_lo, s5
	s_waitcnt vmcnt(1) lgkmcnt(0)
	v_mul_f32_e32 v89, v86, v87
	v_mul_f32_e32 v87, v85, v87
	s_waitcnt vmcnt(0)
	v_fma_f32 v85, v85, v88, -v89
	v_fmac_f32_e32 v87, v86, v88
	v_add_f32_e32 v84, v84, v85
	v_add_f32_e32 v78, v78, v87
	s_andn2_b32 exec_lo, exec_lo, s5
	s_cbranch_execnz .LBB101_69
; %bb.70:
	s_or_b32 exec_lo, exec_lo, s5
	v_mov_b32_e32 v81, 0
	ds_read_b64 v[81:82], v81 offset:112
	s_waitcnt lgkmcnt(0)
	v_mul_f32_e32 v83, v78, v82
	v_mul_f32_e32 v82, v84, v82
	v_fma_f32 v83, v84, v81, -v83
	v_fmac_f32_e32 v82, v78, v81
	buffer_store_dword v83, off, s[0:3], 0 offset:112
	buffer_store_dword v82, off, s[0:3], 0 offset:116
.LBB101_71:
	s_or_b32 exec_lo, exec_lo, s4
	s_waitcnt_vscnt null, 0x0
	s_barrier
	buffer_gl0_inv
	s_clause 0x1
	buffer_load_dword v81, off, s[0:3], 0 offset:120
	buffer_load_dword v82, off, s[0:3], 0 offset:124
	s_mov_b32 s4, exec_lo
	s_waitcnt vmcnt(0)
	ds_write_b64 v80, v[81:82]
	s_waitcnt lgkmcnt(0)
	s_barrier
	buffer_gl0_inv
	v_cmpx_gt_u32_e32 15, v0
	s_cbranch_execz .LBB101_75
; %bb.72:
	v_add_nc_u32_e32 v81, -1, v0
	v_add_nc_u32_e32 v82, 0x130, v79
	v_mov_b32_e32 v83, v79
	v_mov_b32_e32 v78, 0
	;; [unrolled: 1-line block ×3, first 2 shown]
	s_mov_b32 s5, 0
	.p2align	6
.LBB101_73:                             ; =>This Inner Loop Header: Depth=1
	s_clause 0x1
	buffer_load_dword v87, v83, s[0:3], 0 offen offset:4
	buffer_load_dword v88, v83, s[0:3], 0 offen
	ds_read_b64 v[85:86], v82
	v_add_nc_u32_e32 v81, 1, v81
	v_add_nc_u32_e32 v82, 8, v82
	;; [unrolled: 1-line block ×3, first 2 shown]
	v_cmp_lt_u32_e32 vcc_lo, 13, v81
	s_or_b32 s5, vcc_lo, s5
	s_waitcnt vmcnt(1) lgkmcnt(0)
	v_mul_f32_e32 v89, v86, v87
	v_mul_f32_e32 v87, v85, v87
	s_waitcnt vmcnt(0)
	v_fma_f32 v85, v85, v88, -v89
	v_fmac_f32_e32 v87, v86, v88
	v_add_f32_e32 v84, v84, v85
	v_add_f32_e32 v78, v78, v87
	s_andn2_b32 exec_lo, exec_lo, s5
	s_cbranch_execnz .LBB101_73
; %bb.74:
	s_or_b32 exec_lo, exec_lo, s5
	v_mov_b32_e32 v81, 0
	ds_read_b64 v[81:82], v81 offset:120
	s_waitcnt lgkmcnt(0)
	v_mul_f32_e32 v83, v78, v82
	v_mul_f32_e32 v82, v84, v82
	v_fma_f32 v83, v84, v81, -v83
	v_fmac_f32_e32 v82, v78, v81
	buffer_store_dword v83, off, s[0:3], 0 offset:120
	buffer_store_dword v82, off, s[0:3], 0 offset:124
.LBB101_75:
	s_or_b32 exec_lo, exec_lo, s4
	s_waitcnt_vscnt null, 0x0
	s_barrier
	buffer_gl0_inv
	s_clause 0x1
	buffer_load_dword v81, off, s[0:3], 0 offset:128
	buffer_load_dword v82, off, s[0:3], 0 offset:132
	s_mov_b32 s4, exec_lo
	s_waitcnt vmcnt(0)
	ds_write_b64 v80, v[81:82]
	s_waitcnt lgkmcnt(0)
	s_barrier
	buffer_gl0_inv
	v_cmpx_gt_u32_e32 16, v0
	s_cbranch_execz .LBB101_79
; %bb.76:
	v_add_nc_u32_e32 v81, -1, v0
	v_add_nc_u32_e32 v82, 0x130, v79
	v_mov_b32_e32 v83, v79
	v_mov_b32_e32 v78, 0
	;; [unrolled: 1-line block ×3, first 2 shown]
	s_mov_b32 s5, 0
	.p2align	6
.LBB101_77:                             ; =>This Inner Loop Header: Depth=1
	s_clause 0x1
	buffer_load_dword v87, v83, s[0:3], 0 offen offset:4
	buffer_load_dword v88, v83, s[0:3], 0 offen
	ds_read_b64 v[85:86], v82
	v_add_nc_u32_e32 v81, 1, v81
	v_add_nc_u32_e32 v82, 8, v82
	;; [unrolled: 1-line block ×3, first 2 shown]
	v_cmp_lt_u32_e32 vcc_lo, 14, v81
	s_or_b32 s5, vcc_lo, s5
	s_waitcnt vmcnt(1) lgkmcnt(0)
	v_mul_f32_e32 v89, v86, v87
	v_mul_f32_e32 v87, v85, v87
	s_waitcnt vmcnt(0)
	v_fma_f32 v85, v85, v88, -v89
	v_fmac_f32_e32 v87, v86, v88
	v_add_f32_e32 v84, v84, v85
	v_add_f32_e32 v78, v78, v87
	s_andn2_b32 exec_lo, exec_lo, s5
	s_cbranch_execnz .LBB101_77
; %bb.78:
	s_or_b32 exec_lo, exec_lo, s5
	v_mov_b32_e32 v81, 0
	ds_read_b64 v[81:82], v81 offset:128
	s_waitcnt lgkmcnt(0)
	v_mul_f32_e32 v83, v78, v82
	v_mul_f32_e32 v82, v84, v82
	v_fma_f32 v83, v84, v81, -v83
	v_fmac_f32_e32 v82, v78, v81
	buffer_store_dword v83, off, s[0:3], 0 offset:128
	buffer_store_dword v82, off, s[0:3], 0 offset:132
.LBB101_79:
	s_or_b32 exec_lo, exec_lo, s4
	s_waitcnt_vscnt null, 0x0
	s_barrier
	buffer_gl0_inv
	s_clause 0x1
	buffer_load_dword v81, off, s[0:3], 0 offset:136
	buffer_load_dword v82, off, s[0:3], 0 offset:140
	s_mov_b32 s4, exec_lo
	s_waitcnt vmcnt(0)
	ds_write_b64 v80, v[81:82]
	s_waitcnt lgkmcnt(0)
	s_barrier
	buffer_gl0_inv
	v_cmpx_gt_u32_e32 17, v0
	s_cbranch_execz .LBB101_83
; %bb.80:
	v_add_nc_u32_e32 v81, -1, v0
	v_add_nc_u32_e32 v82, 0x130, v79
	v_mov_b32_e32 v83, v79
	v_mov_b32_e32 v78, 0
	;; [unrolled: 1-line block ×3, first 2 shown]
	s_mov_b32 s5, 0
	.p2align	6
.LBB101_81:                             ; =>This Inner Loop Header: Depth=1
	s_clause 0x1
	buffer_load_dword v87, v83, s[0:3], 0 offen offset:4
	buffer_load_dword v88, v83, s[0:3], 0 offen
	ds_read_b64 v[85:86], v82
	v_add_nc_u32_e32 v81, 1, v81
	v_add_nc_u32_e32 v82, 8, v82
	;; [unrolled: 1-line block ×3, first 2 shown]
	v_cmp_lt_u32_e32 vcc_lo, 15, v81
	s_or_b32 s5, vcc_lo, s5
	s_waitcnt vmcnt(1) lgkmcnt(0)
	v_mul_f32_e32 v89, v86, v87
	v_mul_f32_e32 v87, v85, v87
	s_waitcnt vmcnt(0)
	v_fma_f32 v85, v85, v88, -v89
	v_fmac_f32_e32 v87, v86, v88
	v_add_f32_e32 v84, v84, v85
	v_add_f32_e32 v78, v78, v87
	s_andn2_b32 exec_lo, exec_lo, s5
	s_cbranch_execnz .LBB101_81
; %bb.82:
	s_or_b32 exec_lo, exec_lo, s5
	v_mov_b32_e32 v81, 0
	ds_read_b64 v[81:82], v81 offset:136
	s_waitcnt lgkmcnt(0)
	v_mul_f32_e32 v83, v78, v82
	v_mul_f32_e32 v82, v84, v82
	v_fma_f32 v83, v84, v81, -v83
	v_fmac_f32_e32 v82, v78, v81
	buffer_store_dword v83, off, s[0:3], 0 offset:136
	buffer_store_dword v82, off, s[0:3], 0 offset:140
.LBB101_83:
	s_or_b32 exec_lo, exec_lo, s4
	s_waitcnt_vscnt null, 0x0
	s_barrier
	buffer_gl0_inv
	s_clause 0x1
	buffer_load_dword v81, off, s[0:3], 0 offset:144
	buffer_load_dword v82, off, s[0:3], 0 offset:148
	s_mov_b32 s4, exec_lo
	s_waitcnt vmcnt(0)
	ds_write_b64 v80, v[81:82]
	s_waitcnt lgkmcnt(0)
	s_barrier
	buffer_gl0_inv
	v_cmpx_gt_u32_e32 18, v0
	s_cbranch_execz .LBB101_87
; %bb.84:
	v_add_nc_u32_e32 v81, -1, v0
	v_add_nc_u32_e32 v82, 0x130, v79
	v_mov_b32_e32 v83, v79
	v_mov_b32_e32 v78, 0
	;; [unrolled: 1-line block ×3, first 2 shown]
	s_mov_b32 s5, 0
	.p2align	6
.LBB101_85:                             ; =>This Inner Loop Header: Depth=1
	s_clause 0x1
	buffer_load_dword v87, v83, s[0:3], 0 offen offset:4
	buffer_load_dword v88, v83, s[0:3], 0 offen
	ds_read_b64 v[85:86], v82
	v_add_nc_u32_e32 v81, 1, v81
	v_add_nc_u32_e32 v82, 8, v82
	;; [unrolled: 1-line block ×3, first 2 shown]
	v_cmp_lt_u32_e32 vcc_lo, 16, v81
	s_or_b32 s5, vcc_lo, s5
	s_waitcnt vmcnt(1) lgkmcnt(0)
	v_mul_f32_e32 v89, v86, v87
	v_mul_f32_e32 v87, v85, v87
	s_waitcnt vmcnt(0)
	v_fma_f32 v85, v85, v88, -v89
	v_fmac_f32_e32 v87, v86, v88
	v_add_f32_e32 v84, v84, v85
	v_add_f32_e32 v78, v78, v87
	s_andn2_b32 exec_lo, exec_lo, s5
	s_cbranch_execnz .LBB101_85
; %bb.86:
	s_or_b32 exec_lo, exec_lo, s5
	v_mov_b32_e32 v81, 0
	ds_read_b64 v[81:82], v81 offset:144
	s_waitcnt lgkmcnt(0)
	v_mul_f32_e32 v83, v78, v82
	v_mul_f32_e32 v82, v84, v82
	v_fma_f32 v83, v84, v81, -v83
	v_fmac_f32_e32 v82, v78, v81
	buffer_store_dword v83, off, s[0:3], 0 offset:144
	buffer_store_dword v82, off, s[0:3], 0 offset:148
.LBB101_87:
	s_or_b32 exec_lo, exec_lo, s4
	s_waitcnt_vscnt null, 0x0
	s_barrier
	buffer_gl0_inv
	s_clause 0x1
	buffer_load_dword v81, off, s[0:3], 0 offset:152
	buffer_load_dword v82, off, s[0:3], 0 offset:156
	s_mov_b32 s4, exec_lo
	s_waitcnt vmcnt(0)
	ds_write_b64 v80, v[81:82]
	s_waitcnt lgkmcnt(0)
	s_barrier
	buffer_gl0_inv
	v_cmpx_gt_u32_e32 19, v0
	s_cbranch_execz .LBB101_91
; %bb.88:
	v_add_nc_u32_e32 v81, -1, v0
	v_add_nc_u32_e32 v82, 0x130, v79
	v_mov_b32_e32 v83, v79
	v_mov_b32_e32 v78, 0
	;; [unrolled: 1-line block ×3, first 2 shown]
	s_mov_b32 s5, 0
	.p2align	6
.LBB101_89:                             ; =>This Inner Loop Header: Depth=1
	s_clause 0x1
	buffer_load_dword v87, v83, s[0:3], 0 offen offset:4
	buffer_load_dword v88, v83, s[0:3], 0 offen
	ds_read_b64 v[85:86], v82
	v_add_nc_u32_e32 v81, 1, v81
	v_add_nc_u32_e32 v82, 8, v82
	;; [unrolled: 1-line block ×3, first 2 shown]
	v_cmp_lt_u32_e32 vcc_lo, 17, v81
	s_or_b32 s5, vcc_lo, s5
	s_waitcnt vmcnt(1) lgkmcnt(0)
	v_mul_f32_e32 v89, v86, v87
	v_mul_f32_e32 v87, v85, v87
	s_waitcnt vmcnt(0)
	v_fma_f32 v85, v85, v88, -v89
	v_fmac_f32_e32 v87, v86, v88
	v_add_f32_e32 v84, v84, v85
	v_add_f32_e32 v78, v78, v87
	s_andn2_b32 exec_lo, exec_lo, s5
	s_cbranch_execnz .LBB101_89
; %bb.90:
	s_or_b32 exec_lo, exec_lo, s5
	v_mov_b32_e32 v81, 0
	ds_read_b64 v[81:82], v81 offset:152
	s_waitcnt lgkmcnt(0)
	v_mul_f32_e32 v83, v78, v82
	v_mul_f32_e32 v82, v84, v82
	v_fma_f32 v83, v84, v81, -v83
	v_fmac_f32_e32 v82, v78, v81
	buffer_store_dword v83, off, s[0:3], 0 offset:152
	buffer_store_dword v82, off, s[0:3], 0 offset:156
.LBB101_91:
	s_or_b32 exec_lo, exec_lo, s4
	s_waitcnt_vscnt null, 0x0
	s_barrier
	buffer_gl0_inv
	s_clause 0x1
	buffer_load_dword v81, off, s[0:3], 0 offset:160
	buffer_load_dword v82, off, s[0:3], 0 offset:164
	s_mov_b32 s4, exec_lo
	s_waitcnt vmcnt(0)
	ds_write_b64 v80, v[81:82]
	s_waitcnt lgkmcnt(0)
	s_barrier
	buffer_gl0_inv
	v_cmpx_gt_u32_e32 20, v0
	s_cbranch_execz .LBB101_95
; %bb.92:
	v_add_nc_u32_e32 v81, -1, v0
	v_add_nc_u32_e32 v82, 0x130, v79
	v_mov_b32_e32 v83, v79
	v_mov_b32_e32 v78, 0
	;; [unrolled: 1-line block ×3, first 2 shown]
	s_mov_b32 s5, 0
	.p2align	6
.LBB101_93:                             ; =>This Inner Loop Header: Depth=1
	s_clause 0x1
	buffer_load_dword v87, v83, s[0:3], 0 offen offset:4
	buffer_load_dword v88, v83, s[0:3], 0 offen
	ds_read_b64 v[85:86], v82
	v_add_nc_u32_e32 v81, 1, v81
	v_add_nc_u32_e32 v82, 8, v82
	;; [unrolled: 1-line block ×3, first 2 shown]
	v_cmp_lt_u32_e32 vcc_lo, 18, v81
	s_or_b32 s5, vcc_lo, s5
	s_waitcnt vmcnt(1) lgkmcnt(0)
	v_mul_f32_e32 v89, v86, v87
	v_mul_f32_e32 v87, v85, v87
	s_waitcnt vmcnt(0)
	v_fma_f32 v85, v85, v88, -v89
	v_fmac_f32_e32 v87, v86, v88
	v_add_f32_e32 v84, v84, v85
	v_add_f32_e32 v78, v78, v87
	s_andn2_b32 exec_lo, exec_lo, s5
	s_cbranch_execnz .LBB101_93
; %bb.94:
	s_or_b32 exec_lo, exec_lo, s5
	v_mov_b32_e32 v81, 0
	ds_read_b64 v[81:82], v81 offset:160
	s_waitcnt lgkmcnt(0)
	v_mul_f32_e32 v83, v78, v82
	v_mul_f32_e32 v82, v84, v82
	v_fma_f32 v83, v84, v81, -v83
	v_fmac_f32_e32 v82, v78, v81
	buffer_store_dword v83, off, s[0:3], 0 offset:160
	buffer_store_dword v82, off, s[0:3], 0 offset:164
.LBB101_95:
	s_or_b32 exec_lo, exec_lo, s4
	s_waitcnt_vscnt null, 0x0
	s_barrier
	buffer_gl0_inv
	s_clause 0x1
	buffer_load_dword v81, off, s[0:3], 0 offset:168
	buffer_load_dword v82, off, s[0:3], 0 offset:172
	s_mov_b32 s4, exec_lo
	s_waitcnt vmcnt(0)
	ds_write_b64 v80, v[81:82]
	s_waitcnt lgkmcnt(0)
	s_barrier
	buffer_gl0_inv
	v_cmpx_gt_u32_e32 21, v0
	s_cbranch_execz .LBB101_99
; %bb.96:
	v_add_nc_u32_e32 v81, -1, v0
	v_add_nc_u32_e32 v82, 0x130, v79
	v_mov_b32_e32 v83, v79
	v_mov_b32_e32 v78, 0
	;; [unrolled: 1-line block ×3, first 2 shown]
	s_mov_b32 s5, 0
	.p2align	6
.LBB101_97:                             ; =>This Inner Loop Header: Depth=1
	s_clause 0x1
	buffer_load_dword v87, v83, s[0:3], 0 offen offset:4
	buffer_load_dword v88, v83, s[0:3], 0 offen
	ds_read_b64 v[85:86], v82
	v_add_nc_u32_e32 v81, 1, v81
	v_add_nc_u32_e32 v82, 8, v82
	;; [unrolled: 1-line block ×3, first 2 shown]
	v_cmp_lt_u32_e32 vcc_lo, 19, v81
	s_or_b32 s5, vcc_lo, s5
	s_waitcnt vmcnt(1) lgkmcnt(0)
	v_mul_f32_e32 v89, v86, v87
	v_mul_f32_e32 v87, v85, v87
	s_waitcnt vmcnt(0)
	v_fma_f32 v85, v85, v88, -v89
	v_fmac_f32_e32 v87, v86, v88
	v_add_f32_e32 v84, v84, v85
	v_add_f32_e32 v78, v78, v87
	s_andn2_b32 exec_lo, exec_lo, s5
	s_cbranch_execnz .LBB101_97
; %bb.98:
	s_or_b32 exec_lo, exec_lo, s5
	v_mov_b32_e32 v81, 0
	ds_read_b64 v[81:82], v81 offset:168
	s_waitcnt lgkmcnt(0)
	v_mul_f32_e32 v83, v78, v82
	v_mul_f32_e32 v82, v84, v82
	v_fma_f32 v83, v84, v81, -v83
	v_fmac_f32_e32 v82, v78, v81
	buffer_store_dword v83, off, s[0:3], 0 offset:168
	buffer_store_dword v82, off, s[0:3], 0 offset:172
.LBB101_99:
	s_or_b32 exec_lo, exec_lo, s4
	s_waitcnt_vscnt null, 0x0
	s_barrier
	buffer_gl0_inv
	s_clause 0x1
	buffer_load_dword v81, off, s[0:3], 0 offset:176
	buffer_load_dword v82, off, s[0:3], 0 offset:180
	s_mov_b32 s4, exec_lo
	s_waitcnt vmcnt(0)
	ds_write_b64 v80, v[81:82]
	s_waitcnt lgkmcnt(0)
	s_barrier
	buffer_gl0_inv
	v_cmpx_gt_u32_e32 22, v0
	s_cbranch_execz .LBB101_103
; %bb.100:
	v_add_nc_u32_e32 v81, -1, v0
	v_add_nc_u32_e32 v82, 0x130, v79
	v_mov_b32_e32 v83, v79
	v_mov_b32_e32 v78, 0
	;; [unrolled: 1-line block ×3, first 2 shown]
	s_mov_b32 s5, 0
	.p2align	6
.LBB101_101:                            ; =>This Inner Loop Header: Depth=1
	s_clause 0x1
	buffer_load_dword v87, v83, s[0:3], 0 offen offset:4
	buffer_load_dword v88, v83, s[0:3], 0 offen
	ds_read_b64 v[85:86], v82
	v_add_nc_u32_e32 v81, 1, v81
	v_add_nc_u32_e32 v82, 8, v82
	;; [unrolled: 1-line block ×3, first 2 shown]
	v_cmp_lt_u32_e32 vcc_lo, 20, v81
	s_or_b32 s5, vcc_lo, s5
	s_waitcnt vmcnt(1) lgkmcnt(0)
	v_mul_f32_e32 v89, v86, v87
	v_mul_f32_e32 v87, v85, v87
	s_waitcnt vmcnt(0)
	v_fma_f32 v85, v85, v88, -v89
	v_fmac_f32_e32 v87, v86, v88
	v_add_f32_e32 v84, v84, v85
	v_add_f32_e32 v78, v78, v87
	s_andn2_b32 exec_lo, exec_lo, s5
	s_cbranch_execnz .LBB101_101
; %bb.102:
	s_or_b32 exec_lo, exec_lo, s5
	v_mov_b32_e32 v81, 0
	ds_read_b64 v[81:82], v81 offset:176
	s_waitcnt lgkmcnt(0)
	v_mul_f32_e32 v83, v78, v82
	v_mul_f32_e32 v82, v84, v82
	v_fma_f32 v83, v84, v81, -v83
	v_fmac_f32_e32 v82, v78, v81
	buffer_store_dword v83, off, s[0:3], 0 offset:176
	buffer_store_dword v82, off, s[0:3], 0 offset:180
.LBB101_103:
	s_or_b32 exec_lo, exec_lo, s4
	s_waitcnt_vscnt null, 0x0
	s_barrier
	buffer_gl0_inv
	s_clause 0x1
	buffer_load_dword v81, off, s[0:3], 0 offset:184
	buffer_load_dword v82, off, s[0:3], 0 offset:188
	s_mov_b32 s4, exec_lo
	s_waitcnt vmcnt(0)
	ds_write_b64 v80, v[81:82]
	s_waitcnt lgkmcnt(0)
	s_barrier
	buffer_gl0_inv
	v_cmpx_gt_u32_e32 23, v0
	s_cbranch_execz .LBB101_107
; %bb.104:
	v_add_nc_u32_e32 v81, -1, v0
	v_add_nc_u32_e32 v82, 0x130, v79
	v_mov_b32_e32 v83, v79
	v_mov_b32_e32 v78, 0
	v_mov_b32_e32 v84, 0
	s_mov_b32 s5, 0
	.p2align	6
.LBB101_105:                            ; =>This Inner Loop Header: Depth=1
	s_clause 0x1
	buffer_load_dword v87, v83, s[0:3], 0 offen offset:4
	buffer_load_dword v88, v83, s[0:3], 0 offen
	ds_read_b64 v[85:86], v82
	v_add_nc_u32_e32 v81, 1, v81
	v_add_nc_u32_e32 v82, 8, v82
	;; [unrolled: 1-line block ×3, first 2 shown]
	v_cmp_lt_u32_e32 vcc_lo, 21, v81
	s_or_b32 s5, vcc_lo, s5
	s_waitcnt vmcnt(1) lgkmcnt(0)
	v_mul_f32_e32 v89, v86, v87
	v_mul_f32_e32 v87, v85, v87
	s_waitcnt vmcnt(0)
	v_fma_f32 v85, v85, v88, -v89
	v_fmac_f32_e32 v87, v86, v88
	v_add_f32_e32 v84, v84, v85
	v_add_f32_e32 v78, v78, v87
	s_andn2_b32 exec_lo, exec_lo, s5
	s_cbranch_execnz .LBB101_105
; %bb.106:
	s_or_b32 exec_lo, exec_lo, s5
	v_mov_b32_e32 v81, 0
	ds_read_b64 v[81:82], v81 offset:184
	s_waitcnt lgkmcnt(0)
	v_mul_f32_e32 v83, v78, v82
	v_mul_f32_e32 v82, v84, v82
	v_fma_f32 v83, v84, v81, -v83
	v_fmac_f32_e32 v82, v78, v81
	buffer_store_dword v83, off, s[0:3], 0 offset:184
	buffer_store_dword v82, off, s[0:3], 0 offset:188
.LBB101_107:
	s_or_b32 exec_lo, exec_lo, s4
	s_waitcnt_vscnt null, 0x0
	s_barrier
	buffer_gl0_inv
	s_clause 0x1
	buffer_load_dword v81, off, s[0:3], 0 offset:192
	buffer_load_dword v82, off, s[0:3], 0 offset:196
	s_mov_b32 s4, exec_lo
	s_waitcnt vmcnt(0)
	ds_write_b64 v80, v[81:82]
	s_waitcnt lgkmcnt(0)
	s_barrier
	buffer_gl0_inv
	v_cmpx_gt_u32_e32 24, v0
	s_cbranch_execz .LBB101_111
; %bb.108:
	v_add_nc_u32_e32 v81, -1, v0
	v_add_nc_u32_e32 v82, 0x130, v79
	v_mov_b32_e32 v83, v79
	v_mov_b32_e32 v78, 0
	;; [unrolled: 1-line block ×3, first 2 shown]
	s_mov_b32 s5, 0
	.p2align	6
.LBB101_109:                            ; =>This Inner Loop Header: Depth=1
	s_clause 0x1
	buffer_load_dword v87, v83, s[0:3], 0 offen offset:4
	buffer_load_dword v88, v83, s[0:3], 0 offen
	ds_read_b64 v[85:86], v82
	v_add_nc_u32_e32 v81, 1, v81
	v_add_nc_u32_e32 v82, 8, v82
	;; [unrolled: 1-line block ×3, first 2 shown]
	v_cmp_lt_u32_e32 vcc_lo, 22, v81
	s_or_b32 s5, vcc_lo, s5
	s_waitcnt vmcnt(1) lgkmcnt(0)
	v_mul_f32_e32 v89, v86, v87
	v_mul_f32_e32 v87, v85, v87
	s_waitcnt vmcnt(0)
	v_fma_f32 v85, v85, v88, -v89
	v_fmac_f32_e32 v87, v86, v88
	v_add_f32_e32 v84, v84, v85
	v_add_f32_e32 v78, v78, v87
	s_andn2_b32 exec_lo, exec_lo, s5
	s_cbranch_execnz .LBB101_109
; %bb.110:
	s_or_b32 exec_lo, exec_lo, s5
	v_mov_b32_e32 v81, 0
	ds_read_b64 v[81:82], v81 offset:192
	s_waitcnt lgkmcnt(0)
	v_mul_f32_e32 v83, v78, v82
	v_mul_f32_e32 v82, v84, v82
	v_fma_f32 v83, v84, v81, -v83
	v_fmac_f32_e32 v82, v78, v81
	buffer_store_dword v83, off, s[0:3], 0 offset:192
	buffer_store_dword v82, off, s[0:3], 0 offset:196
.LBB101_111:
	s_or_b32 exec_lo, exec_lo, s4
	s_waitcnt_vscnt null, 0x0
	s_barrier
	buffer_gl0_inv
	s_clause 0x1
	buffer_load_dword v81, off, s[0:3], 0 offset:200
	buffer_load_dword v82, off, s[0:3], 0 offset:204
	s_mov_b32 s4, exec_lo
	s_waitcnt vmcnt(0)
	ds_write_b64 v80, v[81:82]
	s_waitcnt lgkmcnt(0)
	s_barrier
	buffer_gl0_inv
	v_cmpx_gt_u32_e32 25, v0
	s_cbranch_execz .LBB101_115
; %bb.112:
	v_add_nc_u32_e32 v81, -1, v0
	v_add_nc_u32_e32 v82, 0x130, v79
	v_mov_b32_e32 v83, v79
	v_mov_b32_e32 v78, 0
	;; [unrolled: 1-line block ×3, first 2 shown]
	s_mov_b32 s5, 0
	.p2align	6
.LBB101_113:                            ; =>This Inner Loop Header: Depth=1
	s_clause 0x1
	buffer_load_dword v87, v83, s[0:3], 0 offen offset:4
	buffer_load_dword v88, v83, s[0:3], 0 offen
	ds_read_b64 v[85:86], v82
	v_add_nc_u32_e32 v81, 1, v81
	v_add_nc_u32_e32 v82, 8, v82
	;; [unrolled: 1-line block ×3, first 2 shown]
	v_cmp_lt_u32_e32 vcc_lo, 23, v81
	s_or_b32 s5, vcc_lo, s5
	s_waitcnt vmcnt(1) lgkmcnt(0)
	v_mul_f32_e32 v89, v86, v87
	v_mul_f32_e32 v87, v85, v87
	s_waitcnt vmcnt(0)
	v_fma_f32 v85, v85, v88, -v89
	v_fmac_f32_e32 v87, v86, v88
	v_add_f32_e32 v84, v84, v85
	v_add_f32_e32 v78, v78, v87
	s_andn2_b32 exec_lo, exec_lo, s5
	s_cbranch_execnz .LBB101_113
; %bb.114:
	s_or_b32 exec_lo, exec_lo, s5
	v_mov_b32_e32 v81, 0
	ds_read_b64 v[81:82], v81 offset:200
	s_waitcnt lgkmcnt(0)
	v_mul_f32_e32 v83, v78, v82
	v_mul_f32_e32 v82, v84, v82
	v_fma_f32 v83, v84, v81, -v83
	v_fmac_f32_e32 v82, v78, v81
	buffer_store_dword v83, off, s[0:3], 0 offset:200
	buffer_store_dword v82, off, s[0:3], 0 offset:204
.LBB101_115:
	s_or_b32 exec_lo, exec_lo, s4
	s_waitcnt_vscnt null, 0x0
	s_barrier
	buffer_gl0_inv
	s_clause 0x1
	buffer_load_dword v81, off, s[0:3], 0 offset:208
	buffer_load_dword v82, off, s[0:3], 0 offset:212
	s_mov_b32 s4, exec_lo
	s_waitcnt vmcnt(0)
	ds_write_b64 v80, v[81:82]
	s_waitcnt lgkmcnt(0)
	s_barrier
	buffer_gl0_inv
	v_cmpx_gt_u32_e32 26, v0
	s_cbranch_execz .LBB101_119
; %bb.116:
	v_add_nc_u32_e32 v81, -1, v0
	v_add_nc_u32_e32 v82, 0x130, v79
	v_mov_b32_e32 v83, v79
	v_mov_b32_e32 v78, 0
	;; [unrolled: 1-line block ×3, first 2 shown]
	s_mov_b32 s5, 0
	.p2align	6
.LBB101_117:                            ; =>This Inner Loop Header: Depth=1
	s_clause 0x1
	buffer_load_dword v87, v83, s[0:3], 0 offen offset:4
	buffer_load_dword v88, v83, s[0:3], 0 offen
	ds_read_b64 v[85:86], v82
	v_add_nc_u32_e32 v81, 1, v81
	v_add_nc_u32_e32 v82, 8, v82
	;; [unrolled: 1-line block ×3, first 2 shown]
	v_cmp_lt_u32_e32 vcc_lo, 24, v81
	s_or_b32 s5, vcc_lo, s5
	s_waitcnt vmcnt(1) lgkmcnt(0)
	v_mul_f32_e32 v89, v86, v87
	v_mul_f32_e32 v87, v85, v87
	s_waitcnt vmcnt(0)
	v_fma_f32 v85, v85, v88, -v89
	v_fmac_f32_e32 v87, v86, v88
	v_add_f32_e32 v84, v84, v85
	v_add_f32_e32 v78, v78, v87
	s_andn2_b32 exec_lo, exec_lo, s5
	s_cbranch_execnz .LBB101_117
; %bb.118:
	s_or_b32 exec_lo, exec_lo, s5
	v_mov_b32_e32 v81, 0
	ds_read_b64 v[81:82], v81 offset:208
	s_waitcnt lgkmcnt(0)
	v_mul_f32_e32 v83, v78, v82
	v_mul_f32_e32 v82, v84, v82
	v_fma_f32 v83, v84, v81, -v83
	v_fmac_f32_e32 v82, v78, v81
	buffer_store_dword v83, off, s[0:3], 0 offset:208
	buffer_store_dword v82, off, s[0:3], 0 offset:212
.LBB101_119:
	s_or_b32 exec_lo, exec_lo, s4
	s_waitcnt_vscnt null, 0x0
	s_barrier
	buffer_gl0_inv
	s_clause 0x1
	buffer_load_dword v81, off, s[0:3], 0 offset:216
	buffer_load_dword v82, off, s[0:3], 0 offset:220
	s_mov_b32 s4, exec_lo
	s_waitcnt vmcnt(0)
	ds_write_b64 v80, v[81:82]
	s_waitcnt lgkmcnt(0)
	s_barrier
	buffer_gl0_inv
	v_cmpx_gt_u32_e32 27, v0
	s_cbranch_execz .LBB101_123
; %bb.120:
	v_add_nc_u32_e32 v81, -1, v0
	v_add_nc_u32_e32 v82, 0x130, v79
	v_mov_b32_e32 v83, v79
	v_mov_b32_e32 v78, 0
	;; [unrolled: 1-line block ×3, first 2 shown]
	s_mov_b32 s5, 0
	.p2align	6
.LBB101_121:                            ; =>This Inner Loop Header: Depth=1
	s_clause 0x1
	buffer_load_dword v87, v83, s[0:3], 0 offen offset:4
	buffer_load_dword v88, v83, s[0:3], 0 offen
	ds_read_b64 v[85:86], v82
	v_add_nc_u32_e32 v81, 1, v81
	v_add_nc_u32_e32 v82, 8, v82
	;; [unrolled: 1-line block ×3, first 2 shown]
	v_cmp_lt_u32_e32 vcc_lo, 25, v81
	s_or_b32 s5, vcc_lo, s5
	s_waitcnt vmcnt(1) lgkmcnt(0)
	v_mul_f32_e32 v89, v86, v87
	v_mul_f32_e32 v87, v85, v87
	s_waitcnt vmcnt(0)
	v_fma_f32 v85, v85, v88, -v89
	v_fmac_f32_e32 v87, v86, v88
	v_add_f32_e32 v84, v84, v85
	v_add_f32_e32 v78, v78, v87
	s_andn2_b32 exec_lo, exec_lo, s5
	s_cbranch_execnz .LBB101_121
; %bb.122:
	s_or_b32 exec_lo, exec_lo, s5
	v_mov_b32_e32 v81, 0
	ds_read_b64 v[81:82], v81 offset:216
	s_waitcnt lgkmcnt(0)
	v_mul_f32_e32 v83, v78, v82
	v_mul_f32_e32 v82, v84, v82
	v_fma_f32 v83, v84, v81, -v83
	v_fmac_f32_e32 v82, v78, v81
	buffer_store_dword v83, off, s[0:3], 0 offset:216
	buffer_store_dword v82, off, s[0:3], 0 offset:220
.LBB101_123:
	s_or_b32 exec_lo, exec_lo, s4
	s_waitcnt_vscnt null, 0x0
	s_barrier
	buffer_gl0_inv
	s_clause 0x1
	buffer_load_dword v81, off, s[0:3], 0 offset:224
	buffer_load_dword v82, off, s[0:3], 0 offset:228
	s_mov_b32 s4, exec_lo
	s_waitcnt vmcnt(0)
	ds_write_b64 v80, v[81:82]
	s_waitcnt lgkmcnt(0)
	s_barrier
	buffer_gl0_inv
	v_cmpx_gt_u32_e32 28, v0
	s_cbranch_execz .LBB101_127
; %bb.124:
	v_add_nc_u32_e32 v81, -1, v0
	v_add_nc_u32_e32 v82, 0x130, v79
	v_mov_b32_e32 v83, v79
	v_mov_b32_e32 v78, 0
	;; [unrolled: 1-line block ×3, first 2 shown]
	s_mov_b32 s5, 0
	.p2align	6
.LBB101_125:                            ; =>This Inner Loop Header: Depth=1
	s_clause 0x1
	buffer_load_dword v87, v83, s[0:3], 0 offen offset:4
	buffer_load_dword v88, v83, s[0:3], 0 offen
	ds_read_b64 v[85:86], v82
	v_add_nc_u32_e32 v81, 1, v81
	v_add_nc_u32_e32 v82, 8, v82
	;; [unrolled: 1-line block ×3, first 2 shown]
	v_cmp_lt_u32_e32 vcc_lo, 26, v81
	s_or_b32 s5, vcc_lo, s5
	s_waitcnt vmcnt(1) lgkmcnt(0)
	v_mul_f32_e32 v89, v86, v87
	v_mul_f32_e32 v87, v85, v87
	s_waitcnt vmcnt(0)
	v_fma_f32 v85, v85, v88, -v89
	v_fmac_f32_e32 v87, v86, v88
	v_add_f32_e32 v84, v84, v85
	v_add_f32_e32 v78, v78, v87
	s_andn2_b32 exec_lo, exec_lo, s5
	s_cbranch_execnz .LBB101_125
; %bb.126:
	s_or_b32 exec_lo, exec_lo, s5
	v_mov_b32_e32 v81, 0
	ds_read_b64 v[81:82], v81 offset:224
	s_waitcnt lgkmcnt(0)
	v_mul_f32_e32 v83, v78, v82
	v_mul_f32_e32 v82, v84, v82
	v_fma_f32 v83, v84, v81, -v83
	v_fmac_f32_e32 v82, v78, v81
	buffer_store_dword v83, off, s[0:3], 0 offset:224
	buffer_store_dword v82, off, s[0:3], 0 offset:228
.LBB101_127:
	s_or_b32 exec_lo, exec_lo, s4
	s_waitcnt_vscnt null, 0x0
	s_barrier
	buffer_gl0_inv
	s_clause 0x1
	buffer_load_dword v81, off, s[0:3], 0 offset:232
	buffer_load_dword v82, off, s[0:3], 0 offset:236
	s_mov_b32 s4, exec_lo
	s_waitcnt vmcnt(0)
	ds_write_b64 v80, v[81:82]
	s_waitcnt lgkmcnt(0)
	s_barrier
	buffer_gl0_inv
	v_cmpx_gt_u32_e32 29, v0
	s_cbranch_execz .LBB101_131
; %bb.128:
	v_add_nc_u32_e32 v81, -1, v0
	v_add_nc_u32_e32 v82, 0x130, v79
	v_mov_b32_e32 v83, v79
	v_mov_b32_e32 v78, 0
	;; [unrolled: 1-line block ×3, first 2 shown]
	s_mov_b32 s5, 0
	.p2align	6
.LBB101_129:                            ; =>This Inner Loop Header: Depth=1
	s_clause 0x1
	buffer_load_dword v87, v83, s[0:3], 0 offen offset:4
	buffer_load_dword v88, v83, s[0:3], 0 offen
	ds_read_b64 v[85:86], v82
	v_add_nc_u32_e32 v81, 1, v81
	v_add_nc_u32_e32 v82, 8, v82
	v_add_nc_u32_e32 v83, 8, v83
	v_cmp_lt_u32_e32 vcc_lo, 27, v81
	s_or_b32 s5, vcc_lo, s5
	s_waitcnt vmcnt(1) lgkmcnt(0)
	v_mul_f32_e32 v89, v86, v87
	v_mul_f32_e32 v87, v85, v87
	s_waitcnt vmcnt(0)
	v_fma_f32 v85, v85, v88, -v89
	v_fmac_f32_e32 v87, v86, v88
	v_add_f32_e32 v84, v84, v85
	v_add_f32_e32 v78, v78, v87
	s_andn2_b32 exec_lo, exec_lo, s5
	s_cbranch_execnz .LBB101_129
; %bb.130:
	s_or_b32 exec_lo, exec_lo, s5
	v_mov_b32_e32 v81, 0
	ds_read_b64 v[81:82], v81 offset:232
	s_waitcnt lgkmcnt(0)
	v_mul_f32_e32 v83, v78, v82
	v_mul_f32_e32 v82, v84, v82
	v_fma_f32 v83, v84, v81, -v83
	v_fmac_f32_e32 v82, v78, v81
	buffer_store_dword v83, off, s[0:3], 0 offset:232
	buffer_store_dword v82, off, s[0:3], 0 offset:236
.LBB101_131:
	s_or_b32 exec_lo, exec_lo, s4
	s_waitcnt_vscnt null, 0x0
	s_barrier
	buffer_gl0_inv
	s_clause 0x1
	buffer_load_dword v81, off, s[0:3], 0 offset:240
	buffer_load_dword v82, off, s[0:3], 0 offset:244
	s_mov_b32 s4, exec_lo
	s_waitcnt vmcnt(0)
	ds_write_b64 v80, v[81:82]
	s_waitcnt lgkmcnt(0)
	s_barrier
	buffer_gl0_inv
	v_cmpx_gt_u32_e32 30, v0
	s_cbranch_execz .LBB101_135
; %bb.132:
	v_add_nc_u32_e32 v81, -1, v0
	v_add_nc_u32_e32 v82, 0x130, v79
	v_mov_b32_e32 v83, v79
	v_mov_b32_e32 v78, 0
	;; [unrolled: 1-line block ×3, first 2 shown]
	s_mov_b32 s5, 0
	.p2align	6
.LBB101_133:                            ; =>This Inner Loop Header: Depth=1
	s_clause 0x1
	buffer_load_dword v87, v83, s[0:3], 0 offen offset:4
	buffer_load_dword v88, v83, s[0:3], 0 offen
	ds_read_b64 v[85:86], v82
	v_add_nc_u32_e32 v81, 1, v81
	v_add_nc_u32_e32 v82, 8, v82
	;; [unrolled: 1-line block ×3, first 2 shown]
	v_cmp_lt_u32_e32 vcc_lo, 28, v81
	s_or_b32 s5, vcc_lo, s5
	s_waitcnt vmcnt(1) lgkmcnt(0)
	v_mul_f32_e32 v89, v86, v87
	v_mul_f32_e32 v87, v85, v87
	s_waitcnt vmcnt(0)
	v_fma_f32 v85, v85, v88, -v89
	v_fmac_f32_e32 v87, v86, v88
	v_add_f32_e32 v84, v84, v85
	v_add_f32_e32 v78, v78, v87
	s_andn2_b32 exec_lo, exec_lo, s5
	s_cbranch_execnz .LBB101_133
; %bb.134:
	s_or_b32 exec_lo, exec_lo, s5
	v_mov_b32_e32 v81, 0
	ds_read_b64 v[81:82], v81 offset:240
	s_waitcnt lgkmcnt(0)
	v_mul_f32_e32 v83, v78, v82
	v_mul_f32_e32 v82, v84, v82
	v_fma_f32 v83, v84, v81, -v83
	v_fmac_f32_e32 v82, v78, v81
	buffer_store_dword v83, off, s[0:3], 0 offset:240
	buffer_store_dword v82, off, s[0:3], 0 offset:244
.LBB101_135:
	s_or_b32 exec_lo, exec_lo, s4
	s_waitcnt_vscnt null, 0x0
	s_barrier
	buffer_gl0_inv
	s_clause 0x1
	buffer_load_dword v81, off, s[0:3], 0 offset:248
	buffer_load_dword v82, off, s[0:3], 0 offset:252
	s_mov_b32 s4, exec_lo
	s_waitcnt vmcnt(0)
	ds_write_b64 v80, v[81:82]
	s_waitcnt lgkmcnt(0)
	s_barrier
	buffer_gl0_inv
	v_cmpx_gt_u32_e32 31, v0
	s_cbranch_execz .LBB101_139
; %bb.136:
	v_add_nc_u32_e32 v81, -1, v0
	v_add_nc_u32_e32 v82, 0x130, v79
	v_mov_b32_e32 v83, v79
	v_mov_b32_e32 v78, 0
	;; [unrolled: 1-line block ×3, first 2 shown]
	s_mov_b32 s5, 0
	.p2align	6
.LBB101_137:                            ; =>This Inner Loop Header: Depth=1
	s_clause 0x1
	buffer_load_dword v87, v83, s[0:3], 0 offen offset:4
	buffer_load_dword v88, v83, s[0:3], 0 offen
	ds_read_b64 v[85:86], v82
	v_add_nc_u32_e32 v81, 1, v81
	v_add_nc_u32_e32 v82, 8, v82
	;; [unrolled: 1-line block ×3, first 2 shown]
	v_cmp_lt_u32_e32 vcc_lo, 29, v81
	s_or_b32 s5, vcc_lo, s5
	s_waitcnt vmcnt(1) lgkmcnt(0)
	v_mul_f32_e32 v89, v86, v87
	v_mul_f32_e32 v87, v85, v87
	s_waitcnt vmcnt(0)
	v_fma_f32 v85, v85, v88, -v89
	v_fmac_f32_e32 v87, v86, v88
	v_add_f32_e32 v84, v84, v85
	v_add_f32_e32 v78, v78, v87
	s_andn2_b32 exec_lo, exec_lo, s5
	s_cbranch_execnz .LBB101_137
; %bb.138:
	s_or_b32 exec_lo, exec_lo, s5
	v_mov_b32_e32 v81, 0
	ds_read_b64 v[81:82], v81 offset:248
	s_waitcnt lgkmcnt(0)
	v_mul_f32_e32 v83, v78, v82
	v_mul_f32_e32 v82, v84, v82
	v_fma_f32 v83, v84, v81, -v83
	v_fmac_f32_e32 v82, v78, v81
	buffer_store_dword v83, off, s[0:3], 0 offset:248
	buffer_store_dword v82, off, s[0:3], 0 offset:252
.LBB101_139:
	s_or_b32 exec_lo, exec_lo, s4
	s_waitcnt_vscnt null, 0x0
	s_barrier
	buffer_gl0_inv
	s_clause 0x1
	buffer_load_dword v81, off, s[0:3], 0 offset:256
	buffer_load_dword v82, off, s[0:3], 0 offset:260
	s_mov_b32 s4, exec_lo
	s_waitcnt vmcnt(0)
	ds_write_b64 v80, v[81:82]
	s_waitcnt lgkmcnt(0)
	s_barrier
	buffer_gl0_inv
	v_cmpx_gt_u32_e32 32, v0
	s_cbranch_execz .LBB101_143
; %bb.140:
	v_add_nc_u32_e32 v81, -1, v0
	v_add_nc_u32_e32 v82, 0x130, v79
	v_mov_b32_e32 v83, v79
	v_mov_b32_e32 v78, 0
	;; [unrolled: 1-line block ×3, first 2 shown]
	s_mov_b32 s5, 0
	.p2align	6
.LBB101_141:                            ; =>This Inner Loop Header: Depth=1
	s_clause 0x1
	buffer_load_dword v87, v83, s[0:3], 0 offen offset:4
	buffer_load_dword v88, v83, s[0:3], 0 offen
	ds_read_b64 v[85:86], v82
	v_add_nc_u32_e32 v81, 1, v81
	v_add_nc_u32_e32 v82, 8, v82
	;; [unrolled: 1-line block ×3, first 2 shown]
	v_cmp_lt_u32_e32 vcc_lo, 30, v81
	s_or_b32 s5, vcc_lo, s5
	s_waitcnt vmcnt(1) lgkmcnt(0)
	v_mul_f32_e32 v89, v86, v87
	v_mul_f32_e32 v87, v85, v87
	s_waitcnt vmcnt(0)
	v_fma_f32 v85, v85, v88, -v89
	v_fmac_f32_e32 v87, v86, v88
	v_add_f32_e32 v84, v84, v85
	v_add_f32_e32 v78, v78, v87
	s_andn2_b32 exec_lo, exec_lo, s5
	s_cbranch_execnz .LBB101_141
; %bb.142:
	s_or_b32 exec_lo, exec_lo, s5
	v_mov_b32_e32 v81, 0
	ds_read_b64 v[81:82], v81 offset:256
	s_waitcnt lgkmcnt(0)
	v_mul_f32_e32 v83, v78, v82
	v_mul_f32_e32 v82, v84, v82
	v_fma_f32 v83, v84, v81, -v83
	v_fmac_f32_e32 v82, v78, v81
	buffer_store_dword v83, off, s[0:3], 0 offset:256
	buffer_store_dword v82, off, s[0:3], 0 offset:260
.LBB101_143:
	s_or_b32 exec_lo, exec_lo, s4
	s_waitcnt_vscnt null, 0x0
	s_barrier
	buffer_gl0_inv
	s_clause 0x1
	buffer_load_dword v81, off, s[0:3], 0 offset:264
	buffer_load_dword v82, off, s[0:3], 0 offset:268
	s_mov_b32 s4, exec_lo
	s_waitcnt vmcnt(0)
	ds_write_b64 v80, v[81:82]
	s_waitcnt lgkmcnt(0)
	s_barrier
	buffer_gl0_inv
	v_cmpx_gt_u32_e32 33, v0
	s_cbranch_execz .LBB101_147
; %bb.144:
	v_add_nc_u32_e32 v81, -1, v0
	v_add_nc_u32_e32 v82, 0x130, v79
	v_mov_b32_e32 v83, v79
	v_mov_b32_e32 v78, 0
	;; [unrolled: 1-line block ×3, first 2 shown]
	s_mov_b32 s5, 0
	.p2align	6
.LBB101_145:                            ; =>This Inner Loop Header: Depth=1
	s_clause 0x1
	buffer_load_dword v87, v83, s[0:3], 0 offen offset:4
	buffer_load_dword v88, v83, s[0:3], 0 offen
	ds_read_b64 v[85:86], v82
	v_add_nc_u32_e32 v81, 1, v81
	v_add_nc_u32_e32 v82, 8, v82
	;; [unrolled: 1-line block ×3, first 2 shown]
	v_cmp_lt_u32_e32 vcc_lo, 31, v81
	s_or_b32 s5, vcc_lo, s5
	s_waitcnt vmcnt(1) lgkmcnt(0)
	v_mul_f32_e32 v89, v86, v87
	v_mul_f32_e32 v87, v85, v87
	s_waitcnt vmcnt(0)
	v_fma_f32 v85, v85, v88, -v89
	v_fmac_f32_e32 v87, v86, v88
	v_add_f32_e32 v84, v84, v85
	v_add_f32_e32 v78, v78, v87
	s_andn2_b32 exec_lo, exec_lo, s5
	s_cbranch_execnz .LBB101_145
; %bb.146:
	s_or_b32 exec_lo, exec_lo, s5
	v_mov_b32_e32 v81, 0
	ds_read_b64 v[81:82], v81 offset:264
	s_waitcnt lgkmcnt(0)
	v_mul_f32_e32 v83, v78, v82
	v_mul_f32_e32 v82, v84, v82
	v_fma_f32 v83, v84, v81, -v83
	v_fmac_f32_e32 v82, v78, v81
	buffer_store_dword v83, off, s[0:3], 0 offset:264
	buffer_store_dword v82, off, s[0:3], 0 offset:268
.LBB101_147:
	s_or_b32 exec_lo, exec_lo, s4
	s_waitcnt_vscnt null, 0x0
	s_barrier
	buffer_gl0_inv
	s_clause 0x1
	buffer_load_dword v81, off, s[0:3], 0 offset:272
	buffer_load_dword v82, off, s[0:3], 0 offset:276
	s_mov_b32 s4, exec_lo
	s_waitcnt vmcnt(0)
	ds_write_b64 v80, v[81:82]
	s_waitcnt lgkmcnt(0)
	s_barrier
	buffer_gl0_inv
	v_cmpx_gt_u32_e32 34, v0
	s_cbranch_execz .LBB101_151
; %bb.148:
	v_add_nc_u32_e32 v81, -1, v0
	v_add_nc_u32_e32 v82, 0x130, v79
	v_mov_b32_e32 v83, v79
	v_mov_b32_e32 v78, 0
	;; [unrolled: 1-line block ×3, first 2 shown]
	s_mov_b32 s5, 0
	.p2align	6
.LBB101_149:                            ; =>This Inner Loop Header: Depth=1
	s_clause 0x1
	buffer_load_dword v87, v83, s[0:3], 0 offen offset:4
	buffer_load_dword v88, v83, s[0:3], 0 offen
	ds_read_b64 v[85:86], v82
	v_add_nc_u32_e32 v81, 1, v81
	v_add_nc_u32_e32 v82, 8, v82
	;; [unrolled: 1-line block ×3, first 2 shown]
	v_cmp_lt_u32_e32 vcc_lo, 32, v81
	s_or_b32 s5, vcc_lo, s5
	s_waitcnt vmcnt(1) lgkmcnt(0)
	v_mul_f32_e32 v89, v86, v87
	v_mul_f32_e32 v87, v85, v87
	s_waitcnt vmcnt(0)
	v_fma_f32 v85, v85, v88, -v89
	v_fmac_f32_e32 v87, v86, v88
	v_add_f32_e32 v84, v84, v85
	v_add_f32_e32 v78, v78, v87
	s_andn2_b32 exec_lo, exec_lo, s5
	s_cbranch_execnz .LBB101_149
; %bb.150:
	s_or_b32 exec_lo, exec_lo, s5
	v_mov_b32_e32 v81, 0
	ds_read_b64 v[81:82], v81 offset:272
	s_waitcnt lgkmcnt(0)
	v_mul_f32_e32 v83, v78, v82
	v_mul_f32_e32 v82, v84, v82
	v_fma_f32 v83, v84, v81, -v83
	v_fmac_f32_e32 v82, v78, v81
	buffer_store_dword v83, off, s[0:3], 0 offset:272
	buffer_store_dword v82, off, s[0:3], 0 offset:276
.LBB101_151:
	s_or_b32 exec_lo, exec_lo, s4
	s_waitcnt_vscnt null, 0x0
	s_barrier
	buffer_gl0_inv
	s_clause 0x1
	buffer_load_dword v81, off, s[0:3], 0 offset:280
	buffer_load_dword v82, off, s[0:3], 0 offset:284
	s_mov_b32 s4, exec_lo
	s_waitcnt vmcnt(0)
	ds_write_b64 v80, v[81:82]
	s_waitcnt lgkmcnt(0)
	s_barrier
	buffer_gl0_inv
	v_cmpx_gt_u32_e32 35, v0
	s_cbranch_execz .LBB101_155
; %bb.152:
	v_add_nc_u32_e32 v81, -1, v0
	v_add_nc_u32_e32 v82, 0x130, v79
	v_mov_b32_e32 v83, v79
	v_mov_b32_e32 v78, 0
	;; [unrolled: 1-line block ×3, first 2 shown]
	s_mov_b32 s5, 0
	.p2align	6
.LBB101_153:                            ; =>This Inner Loop Header: Depth=1
	s_clause 0x1
	buffer_load_dword v87, v83, s[0:3], 0 offen offset:4
	buffer_load_dword v88, v83, s[0:3], 0 offen
	ds_read_b64 v[85:86], v82
	v_add_nc_u32_e32 v81, 1, v81
	v_add_nc_u32_e32 v82, 8, v82
	;; [unrolled: 1-line block ×3, first 2 shown]
	v_cmp_lt_u32_e32 vcc_lo, 33, v81
	s_or_b32 s5, vcc_lo, s5
	s_waitcnt vmcnt(1) lgkmcnt(0)
	v_mul_f32_e32 v89, v86, v87
	v_mul_f32_e32 v87, v85, v87
	s_waitcnt vmcnt(0)
	v_fma_f32 v85, v85, v88, -v89
	v_fmac_f32_e32 v87, v86, v88
	v_add_f32_e32 v84, v84, v85
	v_add_f32_e32 v78, v78, v87
	s_andn2_b32 exec_lo, exec_lo, s5
	s_cbranch_execnz .LBB101_153
; %bb.154:
	s_or_b32 exec_lo, exec_lo, s5
	v_mov_b32_e32 v81, 0
	ds_read_b64 v[81:82], v81 offset:280
	s_waitcnt lgkmcnt(0)
	v_mul_f32_e32 v83, v78, v82
	v_mul_f32_e32 v82, v84, v82
	v_fma_f32 v83, v84, v81, -v83
	v_fmac_f32_e32 v82, v78, v81
	buffer_store_dword v83, off, s[0:3], 0 offset:280
	buffer_store_dword v82, off, s[0:3], 0 offset:284
.LBB101_155:
	s_or_b32 exec_lo, exec_lo, s4
	s_waitcnt_vscnt null, 0x0
	s_barrier
	buffer_gl0_inv
	s_clause 0x1
	buffer_load_dword v81, off, s[0:3], 0 offset:288
	buffer_load_dword v82, off, s[0:3], 0 offset:292
	s_mov_b32 s4, exec_lo
	s_waitcnt vmcnt(0)
	ds_write_b64 v80, v[81:82]
	s_waitcnt lgkmcnt(0)
	s_barrier
	buffer_gl0_inv
	v_cmpx_gt_u32_e32 36, v0
	s_cbranch_execz .LBB101_159
; %bb.156:
	v_add_nc_u32_e32 v81, -1, v0
	v_add_nc_u32_e32 v82, 0x130, v79
	v_mov_b32_e32 v83, v79
	v_mov_b32_e32 v78, 0
	;; [unrolled: 1-line block ×3, first 2 shown]
	s_mov_b32 s5, 0
	.p2align	6
.LBB101_157:                            ; =>This Inner Loop Header: Depth=1
	s_clause 0x1
	buffer_load_dword v87, v83, s[0:3], 0 offen offset:4
	buffer_load_dword v88, v83, s[0:3], 0 offen
	ds_read_b64 v[85:86], v82
	v_add_nc_u32_e32 v81, 1, v81
	v_add_nc_u32_e32 v82, 8, v82
	;; [unrolled: 1-line block ×3, first 2 shown]
	v_cmp_lt_u32_e32 vcc_lo, 34, v81
	s_or_b32 s5, vcc_lo, s5
	s_waitcnt vmcnt(1) lgkmcnt(0)
	v_mul_f32_e32 v89, v86, v87
	v_mul_f32_e32 v87, v85, v87
	s_waitcnt vmcnt(0)
	v_fma_f32 v85, v85, v88, -v89
	v_fmac_f32_e32 v87, v86, v88
	v_add_f32_e32 v84, v84, v85
	v_add_f32_e32 v78, v78, v87
	s_andn2_b32 exec_lo, exec_lo, s5
	s_cbranch_execnz .LBB101_157
; %bb.158:
	s_or_b32 exec_lo, exec_lo, s5
	v_mov_b32_e32 v81, 0
	ds_read_b64 v[81:82], v81 offset:288
	s_waitcnt lgkmcnt(0)
	v_mul_f32_e32 v83, v78, v82
	v_mul_f32_e32 v82, v84, v82
	v_fma_f32 v83, v84, v81, -v83
	v_fmac_f32_e32 v82, v78, v81
	buffer_store_dword v83, off, s[0:3], 0 offset:288
	buffer_store_dword v82, off, s[0:3], 0 offset:292
.LBB101_159:
	s_or_b32 exec_lo, exec_lo, s4
	s_waitcnt_vscnt null, 0x0
	s_barrier
	buffer_gl0_inv
	s_clause 0x1
	buffer_load_dword v81, off, s[0:3], 0 offset:296
	buffer_load_dword v82, off, s[0:3], 0 offset:300
	s_mov_b32 s4, exec_lo
	s_waitcnt vmcnt(0)
	ds_write_b64 v80, v[81:82]
	s_waitcnt lgkmcnt(0)
	s_barrier
	buffer_gl0_inv
	v_cmpx_ne_u32_e32 37, v0
	s_cbranch_execz .LBB101_163
; %bb.160:
	v_mov_b32_e32 v78, 0
	v_mov_b32_e32 v81, 0
	s_mov_b32 s5, 0
	.p2align	6
.LBB101_161:                            ; =>This Inner Loop Header: Depth=1
	s_clause 0x1
	buffer_load_dword v84, v79, s[0:3], 0 offen offset:4
	buffer_load_dword v85, v79, s[0:3], 0 offen
	ds_read_b64 v[82:83], v80
	v_add_nc_u32_e32 v77, 1, v77
	v_add_nc_u32_e32 v80, 8, v80
	;; [unrolled: 1-line block ×3, first 2 shown]
	v_cmp_lt_u32_e32 vcc_lo, 35, v77
	s_or_b32 s5, vcc_lo, s5
	s_waitcnt vmcnt(1) lgkmcnt(0)
	v_mul_f32_e32 v86, v83, v84
	v_mul_f32_e32 v84, v82, v84
	s_waitcnt vmcnt(0)
	v_fma_f32 v82, v82, v85, -v86
	v_fmac_f32_e32 v84, v83, v85
	v_add_f32_e32 v81, v81, v82
	v_add_f32_e32 v78, v78, v84
	s_andn2_b32 exec_lo, exec_lo, s5
	s_cbranch_execnz .LBB101_161
; %bb.162:
	s_or_b32 exec_lo, exec_lo, s5
	v_mov_b32_e32 v77, 0
	ds_read_b64 v[79:80], v77 offset:296
	s_waitcnt lgkmcnt(0)
	v_mul_f32_e32 v77, v78, v80
	v_mul_f32_e32 v80, v81, v80
	v_fma_f32 v77, v81, v79, -v77
	v_fmac_f32_e32 v80, v78, v79
	buffer_store_dword v77, off, s[0:3], 0 offset:296
	buffer_store_dword v80, off, s[0:3], 0 offset:300
.LBB101_163:
	s_or_b32 exec_lo, exec_lo, s4
	s_mov_b32 s5, -1
	s_waitcnt_vscnt null, 0x0
	s_barrier
	buffer_gl0_inv
.LBB101_164:
	s_and_b32 vcc_lo, exec_lo, s5
	s_cbranch_vccz .LBB101_166
; %bb.165:
	s_lshl_b64 s[4:5], s[6:7], 2
	v_mov_b32_e32 v77, 0
	s_add_u32 s4, s10, s4
	s_addc_u32 s5, s11, s5
	global_load_dword v77, v77, s[4:5]
	s_waitcnt vmcnt(0)
	v_cmp_ne_u32_e32 vcc_lo, 0, v77
	s_cbranch_vccz .LBB101_167
.LBB101_166:
	s_endpgm
.LBB101_167:
	v_lshl_add_u32 v77, v0, 3, 0x130
	s_mov_b32 s4, exec_lo
	v_cmpx_eq_u32_e32 37, v0
	s_cbranch_execz .LBB101_169
; %bb.168:
	s_clause 0x1
	buffer_load_dword v78, off, s[0:3], 0 offset:288
	buffer_load_dword v79, off, s[0:3], 0 offset:292
	v_mov_b32_e32 v80, 0
	buffer_store_dword v80, off, s[0:3], 0 offset:288
	buffer_store_dword v80, off, s[0:3], 0 offset:292
	s_waitcnt vmcnt(0)
	ds_write_b64 v77, v[78:79]
.LBB101_169:
	s_or_b32 exec_lo, exec_lo, s4
	s_waitcnt lgkmcnt(0)
	s_waitcnt_vscnt null, 0x0
	s_barrier
	buffer_gl0_inv
	s_clause 0x3
	buffer_load_dword v81, off, s[0:3], 0 offset:300
	buffer_load_dword v82, off, s[0:3], 0 offset:296
	buffer_load_dword v83, off, s[0:3], 0 offset:288
	buffer_load_dword v84, off, s[0:3], 0 offset:292
	v_mov_b32_e32 v78, 0
	s_mov_b32 s4, exec_lo
	ds_read_b64 v[79:80], v78 offset:600
	s_waitcnt vmcnt(3) lgkmcnt(0)
	v_mul_f32_e32 v85, v80, v81
	v_mul_f32_e32 v81, v79, v81
	s_waitcnt vmcnt(2)
	v_fma_f32 v79, v79, v82, -v85
	v_fmac_f32_e32 v81, v80, v82
	v_add_f32_e32 v79, 0, v79
	v_add_f32_e32 v80, 0, v81
	s_waitcnt vmcnt(1)
	v_sub_f32_e32 v79, v83, v79
	s_waitcnt vmcnt(0)
	v_sub_f32_e32 v80, v84, v80
	buffer_store_dword v79, off, s[0:3], 0 offset:288
	buffer_store_dword v80, off, s[0:3], 0 offset:292
	v_cmpx_lt_u32_e32 35, v0
	s_cbranch_execz .LBB101_171
; %bb.170:
	s_clause 0x1
	buffer_load_dword v79, off, s[0:3], 0 offset:280
	buffer_load_dword v80, off, s[0:3], 0 offset:284
	buffer_store_dword v78, off, s[0:3], 0 offset:280
	buffer_store_dword v78, off, s[0:3], 0 offset:284
	s_waitcnt vmcnt(0)
	ds_write_b64 v77, v[79:80]
.LBB101_171:
	s_or_b32 exec_lo, exec_lo, s4
	s_waitcnt lgkmcnt(0)
	s_waitcnt_vscnt null, 0x0
	s_barrier
	buffer_gl0_inv
	s_clause 0x5
	buffer_load_dword v82, off, s[0:3], 0 offset:292
	buffer_load_dword v83, off, s[0:3], 0 offset:300
	;; [unrolled: 1-line block ×6, first 2 shown]
	ds_read_b128 v[78:81], v78 offset:592
	s_mov_b32 s4, exec_lo
	s_waitcnt vmcnt(5) lgkmcnt(0)
	v_mul_f32_e32 v88, v79, v82
	v_mul_f32_e32 v82, v78, v82
	s_waitcnt vmcnt(4)
	v_mul_f32_e32 v89, v80, v83
	v_mul_f32_e32 v83, v81, v83
	s_waitcnt vmcnt(3)
	v_fma_f32 v78, v78, v84, -v88
	v_fmac_f32_e32 v82, v79, v84
	s_waitcnt vmcnt(2)
	v_fmac_f32_e32 v89, v81, v85
	v_fma_f32 v79, v80, v85, -v83
	v_add_f32_e32 v78, 0, v78
	v_add_f32_e32 v80, 0, v82
	v_add_f32_e32 v78, v78, v79
	v_add_f32_e32 v79, v80, v89
	s_waitcnt vmcnt(1)
	v_sub_f32_e32 v78, v86, v78
	s_waitcnt vmcnt(0)
	v_sub_f32_e32 v79, v87, v79
	buffer_store_dword v78, off, s[0:3], 0 offset:280
	buffer_store_dword v79, off, s[0:3], 0 offset:284
	v_cmpx_lt_u32_e32 34, v0
	s_cbranch_execz .LBB101_173
; %bb.172:
	s_clause 0x1
	buffer_load_dword v78, off, s[0:3], 0 offset:272
	buffer_load_dword v79, off, s[0:3], 0 offset:276
	v_mov_b32_e32 v80, 0
	buffer_store_dword v80, off, s[0:3], 0 offset:272
	buffer_store_dword v80, off, s[0:3], 0 offset:276
	s_waitcnt vmcnt(0)
	ds_write_b64 v77, v[78:79]
.LBB101_173:
	s_or_b32 exec_lo, exec_lo, s4
	s_waitcnt lgkmcnt(0)
	s_waitcnt_vscnt null, 0x0
	s_barrier
	buffer_gl0_inv
	s_clause 0x7
	buffer_load_dword v85, off, s[0:3], 0 offset:284
	buffer_load_dword v86, off, s[0:3], 0 offset:292
	;; [unrolled: 1-line block ×8, first 2 shown]
	v_mov_b32_e32 v78, 0
	ds_read2_b64 v[79:82], v78 offset0:73 offset1:74
	ds_read_b64 v[83:84], v78 offset:600
	s_mov_b32 s4, exec_lo
	s_waitcnt vmcnt(7) lgkmcnt(1)
	v_mul_f32_e32 v93, v80, v85
	v_mul_f32_e32 v85, v79, v85
	s_waitcnt vmcnt(6)
	v_mul_f32_e32 v94, v81, v86
	v_mul_f32_e32 v86, v82, v86
	s_waitcnt vmcnt(5) lgkmcnt(0)
	v_mul_f32_e32 v95, v83, v87
	s_waitcnt vmcnt(4)
	v_fma_f32 v79, v79, v88, -v93
	v_fmac_f32_e32 v85, v80, v88
	v_mul_f32_e32 v80, v84, v87
	s_waitcnt vmcnt(3)
	v_fma_f32 v81, v81, v89, -v86
	v_fmac_f32_e32 v94, v82, v89
	v_add_f32_e32 v79, 0, v79
	v_add_f32_e32 v82, 0, v85
	s_waitcnt vmcnt(2)
	v_fma_f32 v80, v83, v90, -v80
	v_fmac_f32_e32 v95, v84, v90
	v_add_f32_e32 v79, v79, v81
	v_add_f32_e32 v81, v82, v94
	;; [unrolled: 1-line block ×4, first 2 shown]
	s_waitcnt vmcnt(1)
	v_sub_f32_e32 v79, v91, v79
	s_waitcnt vmcnt(0)
	v_sub_f32_e32 v80, v92, v80
	buffer_store_dword v79, off, s[0:3], 0 offset:272
	buffer_store_dword v80, off, s[0:3], 0 offset:276
	v_cmpx_lt_u32_e32 33, v0
	s_cbranch_execz .LBB101_175
; %bb.174:
	s_clause 0x1
	buffer_load_dword v79, off, s[0:3], 0 offset:264
	buffer_load_dword v80, off, s[0:3], 0 offset:268
	buffer_store_dword v78, off, s[0:3], 0 offset:264
	buffer_store_dword v78, off, s[0:3], 0 offset:268
	s_waitcnt vmcnt(0)
	ds_write_b64 v77, v[79:80]
.LBB101_175:
	s_or_b32 exec_lo, exec_lo, s4
	s_waitcnt lgkmcnt(0)
	s_waitcnt_vscnt null, 0x0
	s_barrier
	buffer_gl0_inv
	s_clause 0x9
	buffer_load_dword v87, off, s[0:3], 0 offset:276
	buffer_load_dword v88, off, s[0:3], 0 offset:284
	;; [unrolled: 1-line block ×10, first 2 shown]
	ds_read_b128 v[79:82], v78 offset:576
	ds_read_b128 v[83:86], v78 offset:592
	s_mov_b32 s4, exec_lo
	s_waitcnt vmcnt(9) lgkmcnt(1)
	v_mul_f32_e32 v78, v79, v87
	v_mul_f32_e32 v87, v80, v87
	s_waitcnt vmcnt(8)
	v_mul_f32_e32 v97, v81, v88
	v_mul_f32_e32 v88, v82, v88
	s_waitcnt vmcnt(7) lgkmcnt(0)
	v_mul_f32_e32 v98, v83, v89
	s_waitcnt vmcnt(5)
	v_fmac_f32_e32 v78, v80, v91
	v_fma_f32 v79, v79, v91, -v87
	v_mul_f32_e32 v80, v84, v89
	s_waitcnt vmcnt(4)
	v_fma_f32 v81, v81, v92, -v88
	v_fmac_f32_e32 v97, v82, v92
	v_add_f32_e32 v78, 0, v78
	v_add_f32_e32 v79, 0, v79
	v_mul_f32_e32 v82, v86, v90
	s_waitcnt vmcnt(3)
	v_fma_f32 v80, v83, v93, -v80
	v_mul_f32_e32 v99, v85, v90
	v_fmac_f32_e32 v98, v84, v93
	v_add_f32_e32 v79, v79, v81
	v_add_f32_e32 v78, v78, v97
	s_waitcnt vmcnt(2)
	v_fma_f32 v81, v85, v94, -v82
	v_fmac_f32_e32 v99, v86, v94
	v_add_f32_e32 v79, v79, v80
	v_add_f32_e32 v78, v78, v98
	;; [unrolled: 1-line block ×4, first 2 shown]
	s_waitcnt vmcnt(1)
	v_sub_f32_e32 v79, v95, v79
	s_waitcnt vmcnt(0)
	v_sub_f32_e32 v78, v96, v78
	buffer_store_dword v79, off, s[0:3], 0 offset:264
	buffer_store_dword v78, off, s[0:3], 0 offset:268
	v_cmpx_lt_u32_e32 32, v0
	s_cbranch_execz .LBB101_177
; %bb.176:
	s_clause 0x1
	buffer_load_dword v78, off, s[0:3], 0 offset:256
	buffer_load_dword v79, off, s[0:3], 0 offset:260
	v_mov_b32_e32 v80, 0
	buffer_store_dword v80, off, s[0:3], 0 offset:256
	buffer_store_dword v80, off, s[0:3], 0 offset:260
	s_waitcnt vmcnt(0)
	ds_write_b64 v77, v[78:79]
.LBB101_177:
	s_or_b32 exec_lo, exec_lo, s4
	s_waitcnt lgkmcnt(0)
	s_waitcnt_vscnt null, 0x0
	s_barrier
	buffer_gl0_inv
	s_clause 0xb
	buffer_load_dword v89, off, s[0:3], 0 offset:268
	buffer_load_dword v90, off, s[0:3], 0 offset:276
	;; [unrolled: 1-line block ×12, first 2 shown]
	v_mov_b32_e32 v78, 0
	ds_read2_b64 v[79:82], v78 offset0:71 offset1:72
	ds_read2_b64 v[83:86], v78 offset0:73 offset1:74
	ds_read_b64 v[87:88], v78 offset:600
	s_mov_b32 s4, exec_lo
	s_waitcnt vmcnt(11) lgkmcnt(2)
	v_mul_f32_e32 v101, v79, v89
	v_mul_f32_e32 v89, v80, v89
	s_waitcnt vmcnt(10)
	v_mul_f32_e32 v102, v81, v90
	v_mul_f32_e32 v90, v82, v90
	s_waitcnt vmcnt(9) lgkmcnt(1)
	v_mul_f32_e32 v103, v83, v91
	s_waitcnt vmcnt(6)
	v_fmac_f32_e32 v101, v80, v94
	v_fma_f32 v79, v79, v94, -v89
	v_mul_f32_e32 v80, v84, v91
	s_waitcnt vmcnt(5)
	v_fma_f32 v81, v81, v95, -v90
	v_fmac_f32_e32 v102, v82, v95
	v_add_f32_e32 v82, 0, v101
	v_add_f32_e32 v79, 0, v79
	v_mul_f32_e32 v89, v86, v92
	s_waitcnt vmcnt(4)
	v_fma_f32 v80, v83, v96, -v80
	v_mul_f32_e32 v104, v85, v92
	v_fmac_f32_e32 v103, v84, v96
	v_add_f32_e32 v79, v79, v81
	v_add_f32_e32 v81, v82, v102
	s_waitcnt lgkmcnt(0)
	v_mul_f32_e32 v82, v88, v93
	s_waitcnt vmcnt(3)
	v_fma_f32 v83, v85, v97, -v89
	v_mul_f32_e32 v105, v87, v93
	v_add_f32_e32 v79, v79, v80
	v_fmac_f32_e32 v104, v86, v97
	v_add_f32_e32 v80, v81, v103
	s_waitcnt vmcnt(2)
	v_fma_f32 v81, v87, v98, -v82
	v_fmac_f32_e32 v105, v88, v98
	v_add_f32_e32 v79, v79, v83
	v_add_f32_e32 v80, v80, v104
	;; [unrolled: 1-line block ×4, first 2 shown]
	s_waitcnt vmcnt(1)
	v_sub_f32_e32 v79, v99, v79
	s_waitcnt vmcnt(0)
	v_sub_f32_e32 v80, v100, v80
	buffer_store_dword v79, off, s[0:3], 0 offset:256
	buffer_store_dword v80, off, s[0:3], 0 offset:260
	v_cmpx_lt_u32_e32 31, v0
	s_cbranch_execz .LBB101_179
; %bb.178:
	s_clause 0x1
	buffer_load_dword v79, off, s[0:3], 0 offset:248
	buffer_load_dword v80, off, s[0:3], 0 offset:252
	buffer_store_dword v78, off, s[0:3], 0 offset:248
	buffer_store_dword v78, off, s[0:3], 0 offset:252
	s_waitcnt vmcnt(0)
	ds_write_b64 v77, v[79:80]
.LBB101_179:
	s_or_b32 exec_lo, exec_lo, s4
	s_waitcnt lgkmcnt(0)
	s_waitcnt_vscnt null, 0x0
	s_barrier
	buffer_gl0_inv
	s_clause 0xd
	buffer_load_dword v91, off, s[0:3], 0 offset:260
	buffer_load_dword v92, off, s[0:3], 0 offset:268
	;; [unrolled: 1-line block ×14, first 2 shown]
	ds_read_b128 v[79:82], v78 offset:560
	ds_read_b128 v[83:86], v78 offset:576
	;; [unrolled: 1-line block ×3, first 2 shown]
	s_mov_b32 s4, exec_lo
	s_waitcnt vmcnt(13) lgkmcnt(2)
	v_mul_f32_e32 v78, v79, v91
	v_mul_f32_e32 v91, v80, v91
	s_waitcnt vmcnt(12)
	v_mul_f32_e32 v105, v81, v92
	v_mul_f32_e32 v92, v82, v92
	s_waitcnt vmcnt(11) lgkmcnt(1)
	v_mul_f32_e32 v106, v83, v93
	s_waitcnt vmcnt(10)
	v_mul_f32_e32 v107, v85, v94
	s_waitcnt vmcnt(7)
	v_fma_f32 v79, v79, v97, -v91
	v_fmac_f32_e32 v78, v80, v97
	v_mul_f32_e32 v80, v84, v93
	s_waitcnt vmcnt(6)
	v_fma_f32 v81, v81, v98, -v92
	v_fmac_f32_e32 v105, v82, v98
	v_add_f32_e32 v79, 0, v79
	v_add_f32_e32 v78, 0, v78
	v_mul_f32_e32 v82, v86, v94
	s_waitcnt vmcnt(5)
	v_fma_f32 v80, v83, v99, -v80
	v_fmac_f32_e32 v106, v84, v99
	v_add_f32_e32 v79, v79, v81
	v_add_f32_e32 v78, v78, v105
	s_waitcnt lgkmcnt(0)
	v_mul_f32_e32 v81, v88, v95
	s_waitcnt vmcnt(4)
	v_fma_f32 v82, v85, v100, -v82
	v_mul_f32_e32 v108, v87, v95
	v_add_f32_e32 v79, v79, v80
	v_fmac_f32_e32 v107, v86, v100
	v_add_f32_e32 v78, v78, v106
	v_mul_f32_e32 v80, v90, v96
	s_waitcnt vmcnt(3)
	v_fma_f32 v81, v87, v101, -v81
	v_add_f32_e32 v79, v79, v82
	v_mul_f32_e32 v109, v89, v96
	v_fmac_f32_e32 v108, v88, v101
	v_add_f32_e32 v78, v78, v107
	s_waitcnt vmcnt(2)
	v_fma_f32 v80, v89, v102, -v80
	v_add_f32_e32 v79, v79, v81
	v_fmac_f32_e32 v109, v90, v102
	v_add_f32_e32 v78, v78, v108
	v_add_f32_e32 v79, v79, v80
	;; [unrolled: 1-line block ×3, first 2 shown]
	s_waitcnt vmcnt(1)
	v_sub_f32_e32 v79, v103, v79
	s_waitcnt vmcnt(0)
	v_sub_f32_e32 v78, v104, v78
	buffer_store_dword v79, off, s[0:3], 0 offset:248
	buffer_store_dword v78, off, s[0:3], 0 offset:252
	v_cmpx_lt_u32_e32 30, v0
	s_cbranch_execz .LBB101_181
; %bb.180:
	s_clause 0x1
	buffer_load_dword v78, off, s[0:3], 0 offset:240
	buffer_load_dword v79, off, s[0:3], 0 offset:244
	v_mov_b32_e32 v80, 0
	buffer_store_dword v80, off, s[0:3], 0 offset:240
	buffer_store_dword v80, off, s[0:3], 0 offset:244
	s_waitcnt vmcnt(0)
	ds_write_b64 v77, v[78:79]
.LBB101_181:
	s_or_b32 exec_lo, exec_lo, s4
	s_waitcnt lgkmcnt(0)
	s_waitcnt_vscnt null, 0x0
	s_barrier
	buffer_gl0_inv
	s_clause 0xf
	buffer_load_dword v93, off, s[0:3], 0 offset:252
	buffer_load_dword v94, off, s[0:3], 0 offset:260
	;; [unrolled: 1-line block ×16, first 2 shown]
	v_mov_b32_e32 v78, 0
	ds_read2_b64 v[79:82], v78 offset0:69 offset1:70
	ds_read2_b64 v[83:86], v78 offset0:71 offset1:72
	;; [unrolled: 1-line block ×3, first 2 shown]
	ds_read_b64 v[91:92], v78 offset:600
	s_mov_b32 s4, exec_lo
	s_waitcnt vmcnt(15) lgkmcnt(3)
	v_mul_f32_e32 v109, v79, v93
	v_mul_f32_e32 v93, v80, v93
	s_waitcnt vmcnt(14)
	v_mul_f32_e32 v110, v81, v94
	v_mul_f32_e32 v94, v82, v94
	s_waitcnt vmcnt(13) lgkmcnt(2)
	v_mul_f32_e32 v111, v83, v95
	s_waitcnt vmcnt(12)
	v_mul_f32_e32 v112, v85, v96
	s_waitcnt vmcnt(11) lgkmcnt(1)
	v_mul_f32_e32 v113, v87, v97
	s_waitcnt vmcnt(8)
	v_fma_f32 v79, v79, v100, -v93
	v_fmac_f32_e32 v109, v80, v100
	v_mul_f32_e32 v80, v84, v95
	s_waitcnt vmcnt(7)
	v_fma_f32 v81, v81, v101, -v94
	v_fmac_f32_e32 v110, v82, v101
	v_add_f32_e32 v79, 0, v79
	v_add_f32_e32 v82, 0, v109
	v_mul_f32_e32 v93, v86, v96
	s_waitcnt vmcnt(6)
	v_fma_f32 v80, v83, v102, -v80
	v_fmac_f32_e32 v111, v84, v102
	v_add_f32_e32 v79, v79, v81
	v_add_f32_e32 v81, v82, v110
	;; [unrolled: 6-line block ×3, first 2 shown]
	v_mul_f32_e32 v81, v90, v98
	s_waitcnt vmcnt(4)
	v_fma_f32 v82, v87, v104, -v82
	v_mul_f32_e32 v114, v89, v98
	v_add_f32_e32 v79, v79, v83
	v_fmac_f32_e32 v113, v88, v104
	v_add_f32_e32 v80, v80, v112
	s_waitcnt lgkmcnt(0)
	v_mul_f32_e32 v83, v92, v99
	s_waitcnt vmcnt(3)
	v_fma_f32 v81, v89, v105, -v81
	v_add_f32_e32 v79, v79, v82
	v_mul_f32_e32 v115, v91, v99
	v_fmac_f32_e32 v114, v90, v105
	v_add_f32_e32 v80, v80, v113
	s_waitcnt vmcnt(2)
	v_fma_f32 v82, v91, v106, -v83
	v_add_f32_e32 v79, v79, v81
	v_fmac_f32_e32 v115, v92, v106
	v_add_f32_e32 v80, v80, v114
	v_add_f32_e32 v79, v79, v82
	;; [unrolled: 1-line block ×3, first 2 shown]
	s_waitcnt vmcnt(1)
	v_sub_f32_e32 v79, v107, v79
	s_waitcnt vmcnt(0)
	v_sub_f32_e32 v80, v108, v80
	buffer_store_dword v79, off, s[0:3], 0 offset:240
	buffer_store_dword v80, off, s[0:3], 0 offset:244
	v_cmpx_lt_u32_e32 29, v0
	s_cbranch_execz .LBB101_183
; %bb.182:
	s_clause 0x1
	buffer_load_dword v79, off, s[0:3], 0 offset:232
	buffer_load_dword v80, off, s[0:3], 0 offset:236
	buffer_store_dword v78, off, s[0:3], 0 offset:232
	buffer_store_dword v78, off, s[0:3], 0 offset:236
	s_waitcnt vmcnt(0)
	ds_write_b64 v77, v[79:80]
.LBB101_183:
	s_or_b32 exec_lo, exec_lo, s4
	s_waitcnt lgkmcnt(0)
	s_waitcnt_vscnt null, 0x0
	s_barrier
	buffer_gl0_inv
	s_clause 0x11
	buffer_load_dword v95, off, s[0:3], 0 offset:244
	buffer_load_dword v96, off, s[0:3], 0 offset:252
	;; [unrolled: 1-line block ×18, first 2 shown]
	ds_read_b128 v[79:82], v78 offset:544
	ds_read_b128 v[83:86], v78 offset:560
	;; [unrolled: 1-line block ×4, first 2 shown]
	s_mov_b32 s4, exec_lo
	s_waitcnt vmcnt(17) lgkmcnt(3)
	v_mul_f32_e32 v78, v79, v95
	v_mul_f32_e32 v95, v80, v95
	s_waitcnt vmcnt(16)
	v_mul_f32_e32 v113, v81, v96
	v_mul_f32_e32 v96, v82, v96
	s_waitcnt vmcnt(15) lgkmcnt(2)
	v_mul_f32_e32 v114, v83, v97
	s_waitcnt vmcnt(14)
	v_mul_f32_e32 v115, v85, v98
	s_waitcnt vmcnt(13) lgkmcnt(1)
	v_mul_f32_e32 v116, v87, v99
	s_waitcnt vmcnt(12)
	v_mul_f32_e32 v117, v89, v100
	s_waitcnt vmcnt(9)
	v_fma_f32 v79, v79, v103, -v95
	v_fmac_f32_e32 v78, v80, v103
	v_mul_f32_e32 v80, v84, v97
	s_waitcnt vmcnt(8)
	v_fma_f32 v81, v81, v104, -v96
	v_fmac_f32_e32 v113, v82, v104
	v_add_f32_e32 v79, 0, v79
	v_add_f32_e32 v78, 0, v78
	v_mul_f32_e32 v82, v86, v98
	s_waitcnt vmcnt(7)
	v_fma_f32 v80, v83, v105, -v80
	v_fmac_f32_e32 v114, v84, v105
	v_add_f32_e32 v79, v79, v81
	v_add_f32_e32 v78, v78, v113
	;; [unrolled: 6-line block ×4, first 2 shown]
	s_waitcnt lgkmcnt(0)
	v_mul_f32_e32 v82, v92, v101
	s_waitcnt vmcnt(4)
	v_fma_f32 v80, v89, v108, -v80
	v_mul_f32_e32 v118, v91, v101
	v_add_f32_e32 v79, v79, v81
	v_fmac_f32_e32 v117, v90, v108
	v_add_f32_e32 v78, v78, v116
	v_mul_f32_e32 v81, v94, v102
	s_waitcnt vmcnt(3)
	v_fma_f32 v82, v91, v109, -v82
	v_add_f32_e32 v79, v79, v80
	v_mul_f32_e32 v119, v93, v102
	v_fmac_f32_e32 v118, v92, v109
	v_add_f32_e32 v78, v78, v117
	s_waitcnt vmcnt(2)
	v_fma_f32 v80, v93, v110, -v81
	v_add_f32_e32 v79, v79, v82
	v_fmac_f32_e32 v119, v94, v110
	v_add_f32_e32 v78, v78, v118
	v_add_f32_e32 v79, v79, v80
	;; [unrolled: 1-line block ×3, first 2 shown]
	s_waitcnt vmcnt(1)
	v_sub_f32_e32 v79, v111, v79
	s_waitcnt vmcnt(0)
	v_sub_f32_e32 v78, v112, v78
	buffer_store_dword v79, off, s[0:3], 0 offset:232
	buffer_store_dword v78, off, s[0:3], 0 offset:236
	v_cmpx_lt_u32_e32 28, v0
	s_cbranch_execz .LBB101_185
; %bb.184:
	s_clause 0x1
	buffer_load_dword v78, off, s[0:3], 0 offset:224
	buffer_load_dword v79, off, s[0:3], 0 offset:228
	v_mov_b32_e32 v80, 0
	buffer_store_dword v80, off, s[0:3], 0 offset:224
	buffer_store_dword v80, off, s[0:3], 0 offset:228
	s_waitcnt vmcnt(0)
	ds_write_b64 v77, v[78:79]
.LBB101_185:
	s_or_b32 exec_lo, exec_lo, s4
	s_waitcnt lgkmcnt(0)
	s_waitcnt_vscnt null, 0x0
	s_barrier
	buffer_gl0_inv
	s_clause 0x13
	buffer_load_dword v97, off, s[0:3], 0 offset:236
	buffer_load_dword v98, off, s[0:3], 0 offset:244
	;; [unrolled: 1-line block ×20, first 2 shown]
	v_mov_b32_e32 v78, 0
	ds_read2_b64 v[79:82], v78 offset0:67 offset1:68
	ds_read2_b64 v[83:86], v78 offset0:69 offset1:70
	ds_read2_b64 v[87:90], v78 offset0:71 offset1:72
	ds_read2_b64 v[91:94], v78 offset0:73 offset1:74
	ds_read_b64 v[95:96], v78 offset:600
	s_mov_b32 s4, exec_lo
	s_waitcnt vmcnt(19) lgkmcnt(4)
	v_mul_f32_e32 v117, v79, v97
	v_mul_f32_e32 v97, v80, v97
	s_waitcnt vmcnt(18)
	v_mul_f32_e32 v118, v81, v98
	v_mul_f32_e32 v98, v82, v98
	s_waitcnt vmcnt(17) lgkmcnt(3)
	v_mul_f32_e32 v119, v83, v99
	s_waitcnt vmcnt(16)
	v_mul_f32_e32 v120, v85, v100
	s_waitcnt vmcnt(15) lgkmcnt(2)
	v_mul_f32_e32 v121, v87, v101
	s_waitcnt vmcnt(14)
	v_mul_f32_e32 v122, v89, v102
	s_waitcnt vmcnt(13) lgkmcnt(1)
	v_mul_f32_e32 v123, v91, v103
	s_waitcnt vmcnt(10)
	v_fma_f32 v79, v79, v106, -v97
	v_fmac_f32_e32 v117, v80, v106
	v_mul_f32_e32 v80, v84, v99
	s_waitcnt vmcnt(9)
	v_fma_f32 v81, v81, v107, -v98
	v_fmac_f32_e32 v118, v82, v107
	v_add_f32_e32 v79, 0, v79
	v_add_f32_e32 v82, 0, v117
	v_mul_f32_e32 v97, v86, v100
	s_waitcnt vmcnt(8)
	v_fma_f32 v80, v83, v108, -v80
	v_fmac_f32_e32 v119, v84, v108
	v_add_f32_e32 v79, v79, v81
	v_add_f32_e32 v81, v82, v118
	;; [unrolled: 6-line block ×5, first 2 shown]
	v_mul_f32_e32 v82, v94, v104
	s_waitcnt vmcnt(4)
	v_fma_f32 v83, v91, v112, -v83
	v_mul_f32_e32 v124, v93, v104
	v_add_f32_e32 v79, v79, v81
	v_fmac_f32_e32 v123, v92, v112
	v_add_f32_e32 v80, v80, v122
	s_waitcnt lgkmcnt(0)
	v_mul_f32_e32 v81, v96, v105
	s_waitcnt vmcnt(3)
	v_fma_f32 v82, v93, v113, -v82
	v_add_f32_e32 v79, v79, v83
	v_mul_f32_e32 v125, v95, v105
	v_fmac_f32_e32 v124, v94, v113
	v_add_f32_e32 v80, v80, v123
	s_waitcnt vmcnt(2)
	v_fma_f32 v81, v95, v114, -v81
	v_add_f32_e32 v79, v79, v82
	v_fmac_f32_e32 v125, v96, v114
	v_add_f32_e32 v80, v80, v124
	v_add_f32_e32 v79, v79, v81
	;; [unrolled: 1-line block ×3, first 2 shown]
	s_waitcnt vmcnt(1)
	v_sub_f32_e32 v79, v115, v79
	s_waitcnt vmcnt(0)
	v_sub_f32_e32 v80, v116, v80
	buffer_store_dword v79, off, s[0:3], 0 offset:224
	buffer_store_dword v80, off, s[0:3], 0 offset:228
	v_cmpx_lt_u32_e32 27, v0
	s_cbranch_execz .LBB101_187
; %bb.186:
	s_clause 0x1
	buffer_load_dword v79, off, s[0:3], 0 offset:216
	buffer_load_dword v80, off, s[0:3], 0 offset:220
	buffer_store_dword v78, off, s[0:3], 0 offset:216
	buffer_store_dword v78, off, s[0:3], 0 offset:220
	s_waitcnt vmcnt(0)
	ds_write_b64 v77, v[79:80]
.LBB101_187:
	s_or_b32 exec_lo, exec_lo, s4
	s_waitcnt lgkmcnt(0)
	s_waitcnt_vscnt null, 0x0
	s_barrier
	buffer_gl0_inv
	s_clause 0x15
	buffer_load_dword v99, off, s[0:3], 0 offset:228
	buffer_load_dword v100, off, s[0:3], 0 offset:236
	;; [unrolled: 1-line block ×22, first 2 shown]
	ds_read_b128 v[79:82], v78 offset:528
	ds_read_b128 v[83:86], v78 offset:544
	;; [unrolled: 1-line block ×5, first 2 shown]
	s_mov_b32 s4, exec_lo
	s_waitcnt vmcnt(21) lgkmcnt(4)
	v_mul_f32_e32 v78, v79, v99
	v_mul_f32_e32 v99, v80, v99
	s_waitcnt vmcnt(20)
	v_mul_f32_e32 v121, v81, v100
	v_mul_f32_e32 v100, v82, v100
	s_waitcnt vmcnt(19) lgkmcnt(3)
	v_mul_f32_e32 v122, v83, v101
	s_waitcnt vmcnt(18)
	v_mul_f32_e32 v123, v85, v102
	s_waitcnt vmcnt(17) lgkmcnt(2)
	v_mul_f32_e32 v124, v87, v103
	s_waitcnt vmcnt(16)
	;; [unrolled: 4-line block ×3, first 2 shown]
	v_mul_f32_e32 v127, v93, v106
	s_waitcnt vmcnt(11)
	v_fma_f32 v79, v79, v109, -v99
	v_fmac_f32_e32 v78, v80, v109
	v_mul_f32_e32 v80, v84, v101
	s_waitcnt vmcnt(10)
	v_fma_f32 v81, v81, v110, -v100
	v_fmac_f32_e32 v121, v82, v110
	v_add_f32_e32 v79, 0, v79
	v_add_f32_e32 v78, 0, v78
	v_mul_f32_e32 v82, v86, v102
	s_waitcnt vmcnt(9)
	v_fma_f32 v80, v83, v111, -v80
	v_fmac_f32_e32 v122, v84, v111
	v_add_f32_e32 v79, v79, v81
	v_add_f32_e32 v78, v78, v121
	;; [unrolled: 6-line block ×6, first 2 shown]
	s_waitcnt lgkmcnt(0)
	v_mul_f32_e32 v80, v96, v107
	s_waitcnt vmcnt(4)
	v_fma_f32 v81, v93, v116, -v81
	v_mul_f32_e32 v128, v95, v107
	v_add_f32_e32 v79, v79, v82
	v_fmac_f32_e32 v127, v94, v116
	v_add_f32_e32 v78, v78, v126
	v_mul_f32_e32 v82, v98, v108
	s_waitcnt vmcnt(3)
	v_fma_f32 v80, v95, v117, -v80
	v_add_f32_e32 v79, v79, v81
	v_mul_f32_e32 v129, v97, v108
	v_fmac_f32_e32 v128, v96, v117
	v_add_f32_e32 v78, v78, v127
	s_waitcnt vmcnt(2)
	v_fma_f32 v81, v97, v118, -v82
	v_add_f32_e32 v79, v79, v80
	v_fmac_f32_e32 v129, v98, v118
	v_add_f32_e32 v78, v78, v128
	v_add_f32_e32 v79, v79, v81
	;; [unrolled: 1-line block ×3, first 2 shown]
	s_waitcnt vmcnt(1)
	v_sub_f32_e32 v79, v119, v79
	s_waitcnt vmcnt(0)
	v_sub_f32_e32 v78, v120, v78
	buffer_store_dword v79, off, s[0:3], 0 offset:216
	buffer_store_dword v78, off, s[0:3], 0 offset:220
	v_cmpx_lt_u32_e32 26, v0
	s_cbranch_execz .LBB101_189
; %bb.188:
	s_clause 0x1
	buffer_load_dword v78, off, s[0:3], 0 offset:208
	buffer_load_dword v79, off, s[0:3], 0 offset:212
	v_mov_b32_e32 v80, 0
	buffer_store_dword v80, off, s[0:3], 0 offset:208
	buffer_store_dword v80, off, s[0:3], 0 offset:212
	s_waitcnt vmcnt(0)
	ds_write_b64 v77, v[78:79]
.LBB101_189:
	s_or_b32 exec_lo, exec_lo, s4
	s_waitcnt lgkmcnt(0)
	s_waitcnt_vscnt null, 0x0
	s_barrier
	buffer_gl0_inv
	s_clause 0x17
	buffer_load_dword v101, off, s[0:3], 0 offset:220
	buffer_load_dword v102, off, s[0:3], 0 offset:228
	buffer_load_dword v103, off, s[0:3], 0 offset:236
	buffer_load_dword v104, off, s[0:3], 0 offset:244
	buffer_load_dword v105, off, s[0:3], 0 offset:252
	buffer_load_dword v106, off, s[0:3], 0 offset:260
	buffer_load_dword v107, off, s[0:3], 0 offset:268
	buffer_load_dword v108, off, s[0:3], 0 offset:276
	buffer_load_dword v109, off, s[0:3], 0 offset:284
	buffer_load_dword v110, off, s[0:3], 0 offset:292
	buffer_load_dword v111, off, s[0:3], 0 offset:300
	buffer_load_dword v112, off, s[0:3], 0 offset:216
	buffer_load_dword v113, off, s[0:3], 0 offset:224
	buffer_load_dword v114, off, s[0:3], 0 offset:232
	buffer_load_dword v115, off, s[0:3], 0 offset:240
	buffer_load_dword v116, off, s[0:3], 0 offset:248
	buffer_load_dword v117, off, s[0:3], 0 offset:256
	buffer_load_dword v118, off, s[0:3], 0 offset:264
	buffer_load_dword v119, off, s[0:3], 0 offset:272
	buffer_load_dword v120, off, s[0:3], 0 offset:280
	buffer_load_dword v121, off, s[0:3], 0 offset:288
	buffer_load_dword v122, off, s[0:3], 0 offset:296
	buffer_load_dword v123, off, s[0:3], 0 offset:208
	buffer_load_dword v124, off, s[0:3], 0 offset:212
	v_mov_b32_e32 v78, 0
	ds_read2_b64 v[79:82], v78 offset0:65 offset1:66
	ds_read2_b64 v[83:86], v78 offset0:67 offset1:68
	ds_read2_b64 v[87:90], v78 offset0:69 offset1:70
	ds_read2_b64 v[91:94], v78 offset0:71 offset1:72
	ds_read2_b64 v[95:98], v78 offset0:73 offset1:74
	ds_read_b64 v[99:100], v78 offset:600
	s_mov_b32 s4, exec_lo
	s_waitcnt vmcnt(23) lgkmcnt(5)
	v_mul_f32_e32 v125, v79, v101
	v_mul_f32_e32 v101, v80, v101
	s_waitcnt vmcnt(22)
	v_mul_f32_e32 v126, v81, v102
	v_mul_f32_e32 v102, v82, v102
	s_waitcnt vmcnt(21) lgkmcnt(4)
	v_mul_f32_e32 v127, v83, v103
	s_waitcnt vmcnt(20)
	v_mul_f32_e32 v128, v85, v104
	s_waitcnt vmcnt(19) lgkmcnt(3)
	v_mul_f32_e32 v129, v87, v105
	s_waitcnt vmcnt(18)
	;; [unrolled: 4-line block ×4, first 2 shown]
	v_fma_f32 v79, v79, v112, -v101
	v_fmac_f32_e32 v125, v80, v112
	v_mul_f32_e32 v80, v84, v103
	s_waitcnt vmcnt(11)
	v_fma_f32 v81, v81, v113, -v102
	v_fmac_f32_e32 v126, v82, v113
	v_add_f32_e32 v79, 0, v79
	v_add_f32_e32 v82, 0, v125
	v_mul_f32_e32 v101, v86, v104
	s_waitcnt vmcnt(10)
	v_fma_f32 v80, v83, v114, -v80
	v_fmac_f32_e32 v127, v84, v114
	v_add_f32_e32 v79, v79, v81
	v_add_f32_e32 v81, v82, v126
	;; [unrolled: 6-line block ×7, first 2 shown]
	v_mul_f32_e32 v83, v98, v110
	s_waitcnt vmcnt(4)
	v_fma_f32 v81, v95, v120, -v81
	v_mul_f32_e32 v134, v97, v110
	v_add_f32_e32 v79, v79, v82
	v_fmac_f32_e32 v133, v96, v120
	v_add_f32_e32 v80, v80, v132
	s_waitcnt lgkmcnt(0)
	v_mul_f32_e32 v82, v100, v111
	s_waitcnt vmcnt(3)
	v_fma_f32 v83, v97, v121, -v83
	v_add_f32_e32 v79, v79, v81
	v_mul_f32_e32 v135, v99, v111
	v_fmac_f32_e32 v134, v98, v121
	v_add_f32_e32 v80, v80, v133
	s_waitcnt vmcnt(2)
	v_fma_f32 v81, v99, v122, -v82
	v_add_f32_e32 v79, v79, v83
	v_fmac_f32_e32 v135, v100, v122
	v_add_f32_e32 v80, v80, v134
	v_add_f32_e32 v79, v79, v81
	;; [unrolled: 1-line block ×3, first 2 shown]
	s_waitcnt vmcnt(1)
	v_sub_f32_e32 v79, v123, v79
	s_waitcnt vmcnt(0)
	v_sub_f32_e32 v80, v124, v80
	buffer_store_dword v79, off, s[0:3], 0 offset:208
	buffer_store_dword v80, off, s[0:3], 0 offset:212
	v_cmpx_lt_u32_e32 25, v0
	s_cbranch_execz .LBB101_191
; %bb.190:
	s_clause 0x1
	buffer_load_dword v79, off, s[0:3], 0 offset:200
	buffer_load_dword v80, off, s[0:3], 0 offset:204
	buffer_store_dword v78, off, s[0:3], 0 offset:200
	buffer_store_dword v78, off, s[0:3], 0 offset:204
	s_waitcnt vmcnt(0)
	ds_write_b64 v77, v[79:80]
.LBB101_191:
	s_or_b32 exec_lo, exec_lo, s4
	s_waitcnt lgkmcnt(0)
	s_waitcnt_vscnt null, 0x0
	s_barrier
	buffer_gl0_inv
	s_clause 0x19
	buffer_load_dword v103, off, s[0:3], 0 offset:212
	buffer_load_dword v104, off, s[0:3], 0 offset:220
	;; [unrolled: 1-line block ×26, first 2 shown]
	ds_read_b128 v[79:82], v78 offset:512
	ds_read_b128 v[83:86], v78 offset:528
	;; [unrolled: 1-line block ×6, first 2 shown]
	s_mov_b32 s4, exec_lo
	s_waitcnt vmcnt(25) lgkmcnt(5)
	v_mul_f32_e32 v78, v79, v103
	v_mul_f32_e32 v103, v80, v103
	s_waitcnt vmcnt(24)
	v_mul_f32_e32 v129, v81, v104
	v_mul_f32_e32 v104, v82, v104
	s_waitcnt vmcnt(23) lgkmcnt(4)
	v_mul_f32_e32 v130, v83, v105
	s_waitcnt vmcnt(22)
	v_mul_f32_e32 v131, v85, v106
	s_waitcnt vmcnt(21) lgkmcnt(3)
	v_mul_f32_e32 v132, v87, v107
	s_waitcnt vmcnt(20)
	;; [unrolled: 4-line block ×4, first 2 shown]
	v_mul_f32_e32 v137, v97, v112
	s_waitcnt vmcnt(13)
	v_fma_f32 v79, v79, v115, -v103
	v_fmac_f32_e32 v78, v80, v115
	v_mul_f32_e32 v80, v84, v105
	s_waitcnt vmcnt(12)
	v_fma_f32 v81, v81, v116, -v104
	v_fmac_f32_e32 v129, v82, v116
	v_add_f32_e32 v79, 0, v79
	v_add_f32_e32 v78, 0, v78
	v_mul_f32_e32 v82, v86, v106
	s_waitcnt vmcnt(11)
	v_fma_f32 v80, v83, v117, -v80
	v_fmac_f32_e32 v130, v84, v117
	v_add_f32_e32 v79, v79, v81
	v_add_f32_e32 v78, v78, v129
	;; [unrolled: 6-line block ×8, first 2 shown]
	s_waitcnt lgkmcnt(0)
	v_mul_f32_e32 v81, v100, v113
	s_waitcnt vmcnt(4)
	v_fma_f32 v82, v97, v124, -v82
	v_mul_f32_e32 v138, v99, v113
	v_add_f32_e32 v79, v79, v80
	v_fmac_f32_e32 v137, v98, v124
	v_add_f32_e32 v78, v78, v136
	v_mul_f32_e32 v80, v102, v114
	s_waitcnt vmcnt(3)
	v_fma_f32 v81, v99, v125, -v81
	v_add_f32_e32 v79, v79, v82
	v_mul_f32_e32 v139, v101, v114
	v_fmac_f32_e32 v138, v100, v125
	v_add_f32_e32 v78, v78, v137
	s_waitcnt vmcnt(2)
	v_fma_f32 v80, v101, v126, -v80
	v_add_f32_e32 v79, v79, v81
	v_fmac_f32_e32 v139, v102, v126
	v_add_f32_e32 v78, v78, v138
	v_add_f32_e32 v79, v79, v80
	;; [unrolled: 1-line block ×3, first 2 shown]
	s_waitcnt vmcnt(1)
	v_sub_f32_e32 v79, v127, v79
	s_waitcnt vmcnt(0)
	v_sub_f32_e32 v78, v128, v78
	buffer_store_dword v79, off, s[0:3], 0 offset:200
	buffer_store_dword v78, off, s[0:3], 0 offset:204
	v_cmpx_lt_u32_e32 24, v0
	s_cbranch_execz .LBB101_193
; %bb.192:
	s_clause 0x1
	buffer_load_dword v78, off, s[0:3], 0 offset:192
	buffer_load_dword v79, off, s[0:3], 0 offset:196
	v_mov_b32_e32 v80, 0
	buffer_store_dword v80, off, s[0:3], 0 offset:192
	buffer_store_dword v80, off, s[0:3], 0 offset:196
	s_waitcnt vmcnt(0)
	ds_write_b64 v77, v[78:79]
.LBB101_193:
	s_or_b32 exec_lo, exec_lo, s4
	s_waitcnt lgkmcnt(0)
	s_waitcnt_vscnt null, 0x0
	s_barrier
	buffer_gl0_inv
	s_clause 0x1b
	buffer_load_dword v105, off, s[0:3], 0 offset:204
	buffer_load_dword v106, off, s[0:3], 0 offset:212
	;; [unrolled: 1-line block ×28, first 2 shown]
	v_mov_b32_e32 v78, 0
	ds_read2_b64 v[79:82], v78 offset0:63 offset1:64
	ds_read2_b64 v[83:86], v78 offset0:65 offset1:66
	;; [unrolled: 1-line block ×6, first 2 shown]
	ds_read_b64 v[103:104], v78 offset:600
	s_mov_b32 s4, exec_lo
	s_waitcnt vmcnt(27) lgkmcnt(6)
	v_mul_f32_e32 v133, v79, v105
	v_mul_f32_e32 v105, v80, v105
	s_waitcnt vmcnt(26)
	v_mul_f32_e32 v134, v81, v106
	v_mul_f32_e32 v106, v82, v106
	s_waitcnt vmcnt(25) lgkmcnt(5)
	v_mul_f32_e32 v135, v83, v107
	s_waitcnt vmcnt(24)
	v_mul_f32_e32 v136, v85, v108
	s_waitcnt vmcnt(23) lgkmcnt(4)
	v_mul_f32_e32 v137, v87, v109
	s_waitcnt vmcnt(22)
	;; [unrolled: 4-line block ×5, first 2 shown]
	v_fma_f32 v79, v79, v118, -v105
	v_fmac_f32_e32 v133, v80, v118
	v_mul_f32_e32 v80, v84, v107
	s_waitcnt vmcnt(13)
	v_fma_f32 v81, v81, v119, -v106
	v_fmac_f32_e32 v134, v82, v119
	v_add_f32_e32 v79, 0, v79
	v_add_f32_e32 v82, 0, v133
	v_mul_f32_e32 v105, v86, v108
	s_waitcnt vmcnt(12)
	v_fma_f32 v80, v83, v120, -v80
	v_fmac_f32_e32 v135, v84, v120
	v_add_f32_e32 v79, v79, v81
	v_add_f32_e32 v81, v82, v134
	;; [unrolled: 6-line block ×9, first 2 shown]
	v_mul_f32_e32 v81, v102, v116
	s_waitcnt vmcnt(4)
	v_fma_f32 v82, v99, v128, -v82
	v_mul_f32_e32 v144, v101, v116
	v_add_f32_e32 v79, v79, v83
	v_fmac_f32_e32 v143, v100, v128
	v_add_f32_e32 v80, v80, v142
	s_waitcnt lgkmcnt(0)
	v_mul_f32_e32 v83, v104, v117
	s_waitcnt vmcnt(3)
	v_fma_f32 v81, v101, v129, -v81
	v_add_f32_e32 v79, v79, v82
	v_mul_f32_e32 v145, v103, v117
	v_fmac_f32_e32 v144, v102, v129
	v_add_f32_e32 v80, v80, v143
	s_waitcnt vmcnt(2)
	v_fma_f32 v82, v103, v130, -v83
	v_add_f32_e32 v79, v79, v81
	v_fmac_f32_e32 v145, v104, v130
	v_add_f32_e32 v80, v80, v144
	v_add_f32_e32 v79, v79, v82
	;; [unrolled: 1-line block ×3, first 2 shown]
	s_waitcnt vmcnt(1)
	v_sub_f32_e32 v79, v131, v79
	s_waitcnt vmcnt(0)
	v_sub_f32_e32 v80, v132, v80
	buffer_store_dword v79, off, s[0:3], 0 offset:192
	buffer_store_dword v80, off, s[0:3], 0 offset:196
	v_cmpx_lt_u32_e32 23, v0
	s_cbranch_execz .LBB101_195
; %bb.194:
	s_clause 0x1
	buffer_load_dword v79, off, s[0:3], 0 offset:184
	buffer_load_dword v80, off, s[0:3], 0 offset:188
	buffer_store_dword v78, off, s[0:3], 0 offset:184
	buffer_store_dword v78, off, s[0:3], 0 offset:188
	s_waitcnt vmcnt(0)
	ds_write_b64 v77, v[79:80]
.LBB101_195:
	s_or_b32 exec_lo, exec_lo, s4
	s_waitcnt lgkmcnt(0)
	s_waitcnt_vscnt null, 0x0
	s_barrier
	buffer_gl0_inv
	s_clause 0x1d
	buffer_load_dword v107, off, s[0:3], 0 offset:196
	buffer_load_dword v108, off, s[0:3], 0 offset:204
	;; [unrolled: 1-line block ×30, first 2 shown]
	ds_read_b128 v[79:82], v78 offset:496
	ds_read_b128 v[83:86], v78 offset:512
	;; [unrolled: 1-line block ×7, first 2 shown]
	s_mov_b32 s4, exec_lo
	s_waitcnt vmcnt(29) lgkmcnt(6)
	v_mul_f32_e32 v78, v79, v107
	v_mul_f32_e32 v107, v80, v107
	s_waitcnt vmcnt(28)
	v_mul_f32_e32 v137, v81, v108
	v_mul_f32_e32 v108, v82, v108
	s_waitcnt vmcnt(27) lgkmcnt(5)
	v_mul_f32_e32 v138, v83, v109
	s_waitcnt vmcnt(26)
	v_mul_f32_e32 v139, v85, v110
	s_waitcnt vmcnt(25) lgkmcnt(4)
	v_mul_f32_e32 v140, v87, v111
	s_waitcnt vmcnt(24)
	v_mul_f32_e32 v141, v89, v112
	s_waitcnt vmcnt(23) lgkmcnt(3)
	v_mul_f32_e32 v142, v91, v113
	s_waitcnt vmcnt(22)
	v_mul_f32_e32 v143, v93, v114
	s_waitcnt vmcnt(21) lgkmcnt(2)
	v_mul_f32_e32 v144, v95, v115
	s_waitcnt vmcnt(20)
	v_mul_f32_e32 v145, v97, v116
	s_waitcnt vmcnt(19) lgkmcnt(1)
	v_mul_f32_e32 v146, v99, v117
	s_waitcnt vmcnt(18)
	v_mul_f32_e32 v147, v101, v118
	s_waitcnt vmcnt(15)
	v_fma_f32 v79, v79, v121, -v107
	v_fmac_f32_e32 v78, v80, v121
	v_mul_f32_e32 v80, v84, v109
	s_waitcnt vmcnt(14)
	v_fma_f32 v81, v81, v122, -v108
	v_fmac_f32_e32 v137, v82, v122
	v_add_f32_e32 v79, 0, v79
	v_add_f32_e32 v78, 0, v78
	v_mul_f32_e32 v82, v86, v110
	s_waitcnt vmcnt(13)
	v_fma_f32 v80, v83, v123, -v80
	v_fmac_f32_e32 v138, v84, v123
	v_add_f32_e32 v79, v79, v81
	v_add_f32_e32 v78, v78, v137
	;; [unrolled: 6-line block ×10, first 2 shown]
	s_waitcnt lgkmcnt(0)
	v_mul_f32_e32 v82, v104, v119
	s_waitcnt vmcnt(4)
	v_fma_f32 v80, v101, v132, -v80
	v_mul_f32_e32 v148, v103, v119
	v_add_f32_e32 v79, v79, v81
	v_fmac_f32_e32 v147, v102, v132
	v_add_f32_e32 v78, v78, v146
	v_mul_f32_e32 v81, v106, v120
	s_waitcnt vmcnt(3)
	v_fma_f32 v82, v103, v133, -v82
	v_add_f32_e32 v79, v79, v80
	v_mul_f32_e32 v149, v105, v120
	v_fmac_f32_e32 v148, v104, v133
	v_add_f32_e32 v78, v78, v147
	s_waitcnt vmcnt(2)
	v_fma_f32 v80, v105, v134, -v81
	v_add_f32_e32 v79, v79, v82
	v_fmac_f32_e32 v149, v106, v134
	v_add_f32_e32 v78, v78, v148
	v_add_f32_e32 v79, v79, v80
	;; [unrolled: 1-line block ×3, first 2 shown]
	s_waitcnt vmcnt(1)
	v_sub_f32_e32 v79, v135, v79
	s_waitcnt vmcnt(0)
	v_sub_f32_e32 v78, v136, v78
	buffer_store_dword v79, off, s[0:3], 0 offset:184
	buffer_store_dword v78, off, s[0:3], 0 offset:188
	v_cmpx_lt_u32_e32 22, v0
	s_cbranch_execz .LBB101_197
; %bb.196:
	s_clause 0x1
	buffer_load_dword v78, off, s[0:3], 0 offset:176
	buffer_load_dword v79, off, s[0:3], 0 offset:180
	v_mov_b32_e32 v80, 0
	buffer_store_dword v80, off, s[0:3], 0 offset:176
	buffer_store_dword v80, off, s[0:3], 0 offset:180
	s_waitcnt vmcnt(0)
	ds_write_b64 v77, v[78:79]
.LBB101_197:
	s_or_b32 exec_lo, exec_lo, s4
	s_waitcnt lgkmcnt(0)
	s_waitcnt_vscnt null, 0x0
	s_barrier
	buffer_gl0_inv
	s_clause 0x1f
	buffer_load_dword v109, off, s[0:3], 0 offset:188
	buffer_load_dword v110, off, s[0:3], 0 offset:196
	;; [unrolled: 1-line block ×32, first 2 shown]
	v_mov_b32_e32 v78, 0
	ds_read2_b64 v[79:82], v78 offset0:61 offset1:62
	ds_read2_b64 v[83:86], v78 offset0:63 offset1:64
	;; [unrolled: 1-line block ×7, first 2 shown]
	ds_read_b64 v[107:108], v78 offset:600
	s_mov_b32 s4, exec_lo
	s_waitcnt vmcnt(31) lgkmcnt(7)
	v_mul_f32_e32 v141, v79, v109
	v_mul_f32_e32 v109, v80, v109
	s_waitcnt vmcnt(30)
	v_mul_f32_e32 v142, v81, v110
	v_mul_f32_e32 v110, v82, v110
	s_waitcnt vmcnt(29) lgkmcnt(6)
	v_mul_f32_e32 v143, v83, v111
	s_waitcnt vmcnt(28)
	v_mul_f32_e32 v144, v85, v112
	s_waitcnt vmcnt(27) lgkmcnt(5)
	v_mul_f32_e32 v145, v87, v113
	s_waitcnt vmcnt(26)
	v_mul_f32_e32 v146, v89, v114
	s_waitcnt vmcnt(25) lgkmcnt(4)
	v_mul_f32_e32 v147, v91, v115
	s_waitcnt vmcnt(24)
	v_mul_f32_e32 v148, v93, v116
	s_waitcnt vmcnt(23) lgkmcnt(3)
	v_mul_f32_e32 v149, v95, v117
	s_waitcnt vmcnt(22)
	v_mul_f32_e32 v150, v97, v118
	s_waitcnt vmcnt(21) lgkmcnt(2)
	v_mul_f32_e32 v151, v99, v119
	s_waitcnt vmcnt(20)
	v_mul_f32_e32 v152, v101, v120
	s_waitcnt vmcnt(19) lgkmcnt(1)
	v_mul_f32_e32 v153, v103, v121
	s_waitcnt vmcnt(16)
	v_fma_f32 v79, v79, v124, -v109
	v_fmac_f32_e32 v141, v80, v124
	v_mul_f32_e32 v80, v84, v111
	s_waitcnt vmcnt(15)
	v_fma_f32 v81, v81, v125, -v110
	v_fmac_f32_e32 v142, v82, v125
	v_add_f32_e32 v79, 0, v79
	v_add_f32_e32 v82, 0, v141
	v_mul_f32_e32 v109, v86, v112
	s_waitcnt vmcnt(14)
	v_fma_f32 v80, v83, v126, -v80
	v_fmac_f32_e32 v143, v84, v126
	v_add_f32_e32 v79, v79, v81
	v_add_f32_e32 v81, v82, v142
	;; [unrolled: 6-line block ×11, first 2 shown]
	v_mul_f32_e32 v82, v106, v122
	s_waitcnt vmcnt(4)
	v_fma_f32 v83, v103, v136, -v83
	v_mul_f32_e32 v154, v105, v122
	v_add_f32_e32 v79, v79, v81
	v_fmac_f32_e32 v153, v104, v136
	v_add_f32_e32 v80, v80, v152
	s_waitcnt lgkmcnt(0)
	v_mul_f32_e32 v81, v108, v123
	s_waitcnt vmcnt(3)
	v_fma_f32 v82, v105, v137, -v82
	v_add_f32_e32 v79, v79, v83
	v_mul_f32_e32 v155, v107, v123
	v_fmac_f32_e32 v154, v106, v137
	v_add_f32_e32 v80, v80, v153
	s_waitcnt vmcnt(2)
	v_fma_f32 v81, v107, v138, -v81
	v_add_f32_e32 v79, v79, v82
	v_fmac_f32_e32 v155, v108, v138
	v_add_f32_e32 v80, v80, v154
	v_add_f32_e32 v79, v79, v81
	;; [unrolled: 1-line block ×3, first 2 shown]
	s_waitcnt vmcnt(1)
	v_sub_f32_e32 v79, v139, v79
	s_waitcnt vmcnt(0)
	v_sub_f32_e32 v80, v140, v80
	buffer_store_dword v79, off, s[0:3], 0 offset:176
	buffer_store_dword v80, off, s[0:3], 0 offset:180
	v_cmpx_lt_u32_e32 21, v0
	s_cbranch_execz .LBB101_199
; %bb.198:
	s_clause 0x1
	buffer_load_dword v79, off, s[0:3], 0 offset:168
	buffer_load_dword v80, off, s[0:3], 0 offset:172
	buffer_store_dword v78, off, s[0:3], 0 offset:168
	buffer_store_dword v78, off, s[0:3], 0 offset:172
	s_waitcnt vmcnt(0)
	ds_write_b64 v77, v[79:80]
.LBB101_199:
	s_or_b32 exec_lo, exec_lo, s4
	s_waitcnt lgkmcnt(0)
	s_waitcnt_vscnt null, 0x0
	s_barrier
	buffer_gl0_inv
	s_clause 0x21
	buffer_load_dword v111, off, s[0:3], 0 offset:180
	buffer_load_dword v112, off, s[0:3], 0 offset:188
	;; [unrolled: 1-line block ×34, first 2 shown]
	ds_read_b128 v[79:82], v78 offset:480
	ds_read_b128 v[83:86], v78 offset:496
	;; [unrolled: 1-line block ×8, first 2 shown]
	s_mov_b32 s4, exec_lo
	s_waitcnt vmcnt(33) lgkmcnt(7)
	v_mul_f32_e32 v78, v79, v111
	v_mul_f32_e32 v111, v80, v111
	s_waitcnt vmcnt(32)
	v_mul_f32_e32 v145, v81, v112
	v_mul_f32_e32 v112, v82, v112
	s_waitcnt vmcnt(31) lgkmcnt(6)
	v_mul_f32_e32 v146, v83, v113
	s_waitcnt vmcnt(30)
	v_mul_f32_e32 v147, v85, v114
	s_waitcnt vmcnt(29) lgkmcnt(5)
	v_mul_f32_e32 v148, v87, v115
	s_waitcnt vmcnt(28)
	v_mul_f32_e32 v149, v89, v116
	s_waitcnt vmcnt(27) lgkmcnt(4)
	v_mul_f32_e32 v150, v91, v117
	s_waitcnt vmcnt(26)
	v_mul_f32_e32 v151, v93, v118
	s_waitcnt vmcnt(25) lgkmcnt(3)
	v_mul_f32_e32 v152, v95, v119
	s_waitcnt vmcnt(24)
	v_mul_f32_e32 v153, v97, v120
	s_waitcnt vmcnt(23) lgkmcnt(2)
	v_mul_f32_e32 v154, v99, v121
	s_waitcnt vmcnt(22)
	v_mul_f32_e32 v155, v101, v122
	s_waitcnt vmcnt(21) lgkmcnt(1)
	v_mul_f32_e32 v156, v103, v123
	s_waitcnt vmcnt(20)
	v_mul_f32_e32 v157, v105, v124
	s_waitcnt vmcnt(17)
	v_fma_f32 v79, v79, v127, -v111
	v_fmac_f32_e32 v78, v80, v127
	v_mul_f32_e32 v80, v84, v113
	s_waitcnt vmcnt(16)
	v_fma_f32 v81, v81, v128, -v112
	v_fmac_f32_e32 v145, v82, v128
	v_add_f32_e32 v79, 0, v79
	v_add_f32_e32 v78, 0, v78
	v_mul_f32_e32 v82, v86, v114
	s_waitcnt vmcnt(15)
	v_fma_f32 v80, v83, v129, -v80
	v_fmac_f32_e32 v146, v84, v129
	v_add_f32_e32 v79, v79, v81
	v_add_f32_e32 v78, v78, v145
	;; [unrolled: 6-line block ×12, first 2 shown]
	s_waitcnt lgkmcnt(0)
	v_mul_f32_e32 v80, v108, v125
	s_waitcnt vmcnt(4)
	v_fma_f32 v81, v105, v140, -v81
	v_mul_f32_e32 v158, v107, v125
	v_add_f32_e32 v79, v79, v82
	v_fmac_f32_e32 v157, v106, v140
	v_add_f32_e32 v78, v78, v156
	v_mul_f32_e32 v82, v110, v126
	s_waitcnt vmcnt(3)
	v_fma_f32 v80, v107, v141, -v80
	v_add_f32_e32 v79, v79, v81
	v_mul_f32_e32 v159, v109, v126
	v_fmac_f32_e32 v158, v108, v141
	v_add_f32_e32 v78, v78, v157
	s_waitcnt vmcnt(2)
	v_fma_f32 v81, v109, v142, -v82
	v_add_f32_e32 v79, v79, v80
	v_fmac_f32_e32 v159, v110, v142
	v_add_f32_e32 v78, v78, v158
	v_add_f32_e32 v79, v79, v81
	;; [unrolled: 1-line block ×3, first 2 shown]
	s_waitcnt vmcnt(1)
	v_sub_f32_e32 v79, v143, v79
	s_waitcnt vmcnt(0)
	v_sub_f32_e32 v78, v144, v78
	buffer_store_dword v79, off, s[0:3], 0 offset:168
	buffer_store_dword v78, off, s[0:3], 0 offset:172
	v_cmpx_lt_u32_e32 20, v0
	s_cbranch_execz .LBB101_201
; %bb.200:
	s_clause 0x1
	buffer_load_dword v78, off, s[0:3], 0 offset:160
	buffer_load_dword v79, off, s[0:3], 0 offset:164
	v_mov_b32_e32 v80, 0
	buffer_store_dword v80, off, s[0:3], 0 offset:160
	buffer_store_dword v80, off, s[0:3], 0 offset:164
	s_waitcnt vmcnt(0)
	ds_write_b64 v77, v[78:79]
.LBB101_201:
	s_or_b32 exec_lo, exec_lo, s4
	s_waitcnt lgkmcnt(0)
	s_waitcnt_vscnt null, 0x0
	s_barrier
	buffer_gl0_inv
	s_clause 0x23
	buffer_load_dword v113, off, s[0:3], 0 offset:172
	buffer_load_dword v114, off, s[0:3], 0 offset:180
	;; [unrolled: 1-line block ×36, first 2 shown]
	v_mov_b32_e32 v78, 0
	ds_read2_b64 v[79:82], v78 offset0:59 offset1:60
	ds_read2_b64 v[83:86], v78 offset0:61 offset1:62
	;; [unrolled: 1-line block ×8, first 2 shown]
	ds_read_b64 v[111:112], v78 offset:600
	s_mov_b32 s4, exec_lo
	s_waitcnt vmcnt(35) lgkmcnt(8)
	v_mul_f32_e32 v149, v79, v113
	v_mul_f32_e32 v113, v80, v113
	s_waitcnt vmcnt(34)
	v_mul_f32_e32 v150, v81, v114
	v_mul_f32_e32 v114, v82, v114
	s_waitcnt vmcnt(33) lgkmcnt(7)
	v_mul_f32_e32 v151, v83, v115
	s_waitcnt vmcnt(32)
	v_mul_f32_e32 v152, v85, v116
	s_waitcnt vmcnt(31) lgkmcnt(6)
	v_mul_f32_e32 v153, v87, v117
	s_waitcnt vmcnt(30)
	;; [unrolled: 4-line block ×7, first 2 shown]
	v_fma_f32 v79, v79, v130, -v113
	v_fmac_f32_e32 v149, v80, v130
	v_mul_f32_e32 v80, v84, v115
	s_waitcnt vmcnt(17)
	v_fma_f32 v81, v81, v131, -v114
	v_fmac_f32_e32 v150, v82, v131
	v_add_f32_e32 v79, 0, v79
	v_add_f32_e32 v82, 0, v149
	v_mul_f32_e32 v113, v86, v116
	s_waitcnt vmcnt(16)
	v_fma_f32 v80, v83, v132, -v80
	v_fmac_f32_e32 v151, v84, v132
	v_add_f32_e32 v79, v79, v81
	v_add_f32_e32 v81, v82, v150
	v_mul_f32_e32 v82, v88, v117
	s_waitcnt vmcnt(15)
	v_fma_f32 v83, v85, v133, -v113
	v_fmac_f32_e32 v152, v86, v133
	v_add_f32_e32 v79, v79, v80
	v_add_f32_e32 v80, v81, v151
	v_mul_f32_e32 v81, v90, v118
	s_waitcnt vmcnt(14)
	v_fma_f32 v82, v87, v134, -v82
	v_fmac_f32_e32 v153, v88, v134
	v_add_f32_e32 v79, v79, v83
	v_add_f32_e32 v80, v80, v152
	v_mul_f32_e32 v83, v92, v119
	s_waitcnt vmcnt(13)
	v_fma_f32 v81, v89, v135, -v81
	v_fmac_f32_e32 v154, v90, v135
	v_add_f32_e32 v79, v79, v82
	v_add_f32_e32 v80, v80, v153
	v_mul_f32_e32 v82, v94, v120
	s_waitcnt vmcnt(12)
	v_fma_f32 v83, v91, v136, -v83
	v_fmac_f32_e32 v155, v92, v136
	v_add_f32_e32 v79, v79, v81
	v_add_f32_e32 v80, v80, v154
	v_mul_f32_e32 v81, v96, v121
	s_waitcnt vmcnt(11)
	v_fma_f32 v82, v93, v137, -v82
	v_fmac_f32_e32 v156, v94, v137
	v_add_f32_e32 v79, v79, v83
	v_add_f32_e32 v80, v80, v155
	v_mul_f32_e32 v83, v98, v122
	s_waitcnt vmcnt(10)
	v_fma_f32 v81, v95, v138, -v81
	v_fmac_f32_e32 v157, v96, v138
	v_add_f32_e32 v79, v79, v82
	v_add_f32_e32 v80, v80, v156
	v_mul_f32_e32 v82, v100, v123
	s_waitcnt vmcnt(9)
	v_fma_f32 v83, v97, v139, -v83
	v_fmac_f32_e32 v158, v98, v139
	v_add_f32_e32 v79, v79, v81
	v_add_f32_e32 v80, v80, v157
	v_mul_f32_e32 v81, v102, v124
	s_waitcnt vmcnt(8)
	v_fma_f32 v82, v99, v140, -v82
	v_fmac_f32_e32 v159, v100, v140
	v_add_f32_e32 v79, v79, v83
	v_add_f32_e32 v80, v80, v158
	v_mul_f32_e32 v83, v104, v125
	s_waitcnt vmcnt(7)
	v_fma_f32 v81, v101, v141, -v81
	v_fmac_f32_e32 v160, v102, v141
	v_add_f32_e32 v79, v79, v82
	v_add_f32_e32 v80, v80, v159
	v_mul_f32_e32 v82, v106, v126
	s_waitcnt vmcnt(6)
	v_fma_f32 v83, v103, v142, -v83
	v_fmac_f32_e32 v161, v104, v142
	v_add_f32_e32 v79, v79, v81
	v_add_f32_e32 v80, v80, v160
	v_mul_f32_e32 v81, v108, v127
	s_waitcnt vmcnt(5)
	v_fma_f32 v82, v105, v143, -v82
	v_fmac_f32_e32 v162, v106, v143
	v_add_f32_e32 v79, v79, v83
	v_add_f32_e32 v80, v80, v161
	v_mul_f32_e32 v83, v110, v128
	s_waitcnt vmcnt(4)
	v_fma_f32 v81, v107, v144, -v81
	v_mul_f32_e32 v164, v109, v128
	v_add_f32_e32 v79, v79, v82
	v_fmac_f32_e32 v163, v108, v144
	v_add_f32_e32 v80, v80, v162
	s_waitcnt lgkmcnt(0)
	v_mul_f32_e32 v82, v112, v129
	s_waitcnt vmcnt(3)
	v_fma_f32 v83, v109, v145, -v83
	v_add_f32_e32 v79, v79, v81
	v_mul_f32_e32 v165, v111, v129
	v_fmac_f32_e32 v164, v110, v145
	v_add_f32_e32 v80, v80, v163
	s_waitcnt vmcnt(2)
	v_fma_f32 v81, v111, v146, -v82
	v_add_f32_e32 v79, v79, v83
	v_fmac_f32_e32 v165, v112, v146
	v_add_f32_e32 v80, v80, v164
	v_add_f32_e32 v79, v79, v81
	;; [unrolled: 1-line block ×3, first 2 shown]
	s_waitcnt vmcnt(1)
	v_sub_f32_e32 v79, v147, v79
	s_waitcnt vmcnt(0)
	v_sub_f32_e32 v80, v148, v80
	buffer_store_dword v79, off, s[0:3], 0 offset:160
	buffer_store_dword v80, off, s[0:3], 0 offset:164
	v_cmpx_lt_u32_e32 19, v0
	s_cbranch_execz .LBB101_203
; %bb.202:
	s_clause 0x1
	buffer_load_dword v79, off, s[0:3], 0 offset:152
	buffer_load_dword v80, off, s[0:3], 0 offset:156
	buffer_store_dword v78, off, s[0:3], 0 offset:152
	buffer_store_dword v78, off, s[0:3], 0 offset:156
	s_waitcnt vmcnt(0)
	ds_write_b64 v77, v[79:80]
.LBB101_203:
	s_or_b32 exec_lo, exec_lo, s4
	s_waitcnt lgkmcnt(0)
	s_waitcnt_vscnt null, 0x0
	s_barrier
	buffer_gl0_inv
	s_clause 0x25
	buffer_load_dword v115, off, s[0:3], 0 offset:164
	buffer_load_dword v116, off, s[0:3], 0 offset:172
	;; [unrolled: 1-line block ×38, first 2 shown]
	ds_read_b128 v[79:82], v78 offset:464
	ds_read_b128 v[83:86], v78 offset:480
	;; [unrolled: 1-line block ×9, first 2 shown]
	s_mov_b32 s4, exec_lo
	s_waitcnt vmcnt(37) lgkmcnt(8)
	v_mul_f32_e32 v78, v79, v115
	v_mul_f32_e32 v115, v80, v115
	s_waitcnt vmcnt(36)
	v_mul_f32_e32 v153, v81, v116
	v_mul_f32_e32 v116, v82, v116
	s_waitcnt vmcnt(35) lgkmcnt(7)
	v_mul_f32_e32 v154, v83, v117
	s_waitcnt vmcnt(34)
	v_mul_f32_e32 v155, v85, v118
	s_waitcnt vmcnt(33) lgkmcnt(6)
	v_mul_f32_e32 v156, v87, v119
	s_waitcnt vmcnt(32)
	;; [unrolled: 4-line block ×7, first 2 shown]
	v_mul_f32_e32 v167, v109, v130
	s_waitcnt vmcnt(19)
	v_fma_f32 v79, v79, v133, -v115
	v_fmac_f32_e32 v78, v80, v133
	v_mul_f32_e32 v80, v84, v117
	s_waitcnt vmcnt(18)
	v_fma_f32 v81, v81, v134, -v116
	v_fmac_f32_e32 v153, v82, v134
	v_add_f32_e32 v79, 0, v79
	v_add_f32_e32 v78, 0, v78
	v_mul_f32_e32 v82, v86, v118
	s_waitcnt vmcnt(17)
	v_fma_f32 v80, v83, v135, -v80
	v_fmac_f32_e32 v154, v84, v135
	v_add_f32_e32 v79, v79, v81
	v_add_f32_e32 v78, v78, v153
	;; [unrolled: 6-line block ×14, first 2 shown]
	s_waitcnt lgkmcnt(0)
	v_mul_f32_e32 v81, v112, v131
	s_waitcnt vmcnt(4)
	v_fma_f32 v82, v109, v148, -v82
	v_mul_f32_e32 v168, v111, v131
	v_add_f32_e32 v79, v79, v80
	v_fmac_f32_e32 v167, v110, v148
	v_add_f32_e32 v78, v78, v166
	v_mul_f32_e32 v80, v114, v132
	s_waitcnt vmcnt(3)
	v_fma_f32 v81, v111, v149, -v81
	v_add_f32_e32 v79, v79, v82
	v_mul_f32_e32 v169, v113, v132
	v_fmac_f32_e32 v168, v112, v149
	v_add_f32_e32 v78, v78, v167
	s_waitcnt vmcnt(2)
	v_fma_f32 v80, v113, v150, -v80
	v_add_f32_e32 v79, v79, v81
	v_fmac_f32_e32 v169, v114, v150
	v_add_f32_e32 v78, v78, v168
	v_add_f32_e32 v79, v79, v80
	;; [unrolled: 1-line block ×3, first 2 shown]
	s_waitcnt vmcnt(1)
	v_sub_f32_e32 v79, v151, v79
	s_waitcnt vmcnt(0)
	v_sub_f32_e32 v78, v152, v78
	buffer_store_dword v79, off, s[0:3], 0 offset:152
	buffer_store_dword v78, off, s[0:3], 0 offset:156
	v_cmpx_lt_u32_e32 18, v0
	s_cbranch_execz .LBB101_205
; %bb.204:
	s_clause 0x1
	buffer_load_dword v78, off, s[0:3], 0 offset:144
	buffer_load_dword v79, off, s[0:3], 0 offset:148
	v_mov_b32_e32 v80, 0
	buffer_store_dword v80, off, s[0:3], 0 offset:144
	buffer_store_dword v80, off, s[0:3], 0 offset:148
	s_waitcnt vmcnt(0)
	ds_write_b64 v77, v[78:79]
.LBB101_205:
	s_or_b32 exec_lo, exec_lo, s4
	s_waitcnt lgkmcnt(0)
	s_waitcnt_vscnt null, 0x0
	s_barrier
	buffer_gl0_inv
	s_clause 0x27
	buffer_load_dword v117, off, s[0:3], 0 offset:156
	buffer_load_dword v118, off, s[0:3], 0 offset:164
	;; [unrolled: 1-line block ×40, first 2 shown]
	v_mov_b32_e32 v78, 0
	ds_read2_b64 v[79:82], v78 offset0:57 offset1:58
	ds_read2_b64 v[83:86], v78 offset0:59 offset1:60
	;; [unrolled: 1-line block ×9, first 2 shown]
	ds_read_b64 v[115:116], v78 offset:600
	s_mov_b32 s4, exec_lo
	s_waitcnt vmcnt(39) lgkmcnt(9)
	v_mul_f32_e32 v157, v79, v117
	v_mul_f32_e32 v117, v80, v117
	s_waitcnt vmcnt(38)
	v_mul_f32_e32 v158, v81, v118
	v_mul_f32_e32 v118, v82, v118
	s_waitcnt vmcnt(37) lgkmcnt(8)
	v_mul_f32_e32 v159, v83, v119
	s_waitcnt vmcnt(36)
	v_mul_f32_e32 v160, v85, v120
	s_waitcnt vmcnt(35) lgkmcnt(7)
	v_mul_f32_e32 v161, v87, v121
	s_waitcnt vmcnt(34)
	v_mul_f32_e32 v162, v89, v122
	s_waitcnt vmcnt(33) lgkmcnt(6)
	v_mul_f32_e32 v163, v91, v123
	s_waitcnt vmcnt(32)
	v_mul_f32_e32 v164, v93, v124
	s_waitcnt vmcnt(31) lgkmcnt(5)
	v_mul_f32_e32 v165, v95, v125
	s_waitcnt vmcnt(30)
	v_mul_f32_e32 v166, v97, v126
	s_waitcnt vmcnt(29) lgkmcnt(4)
	v_mul_f32_e32 v167, v99, v127
	s_waitcnt vmcnt(28)
	v_mul_f32_e32 v168, v101, v128
	s_waitcnt vmcnt(27) lgkmcnt(3)
	v_mul_f32_e32 v169, v103, v129
	s_waitcnt vmcnt(26)
	v_mul_f32_e32 v170, v105, v130
	s_waitcnt vmcnt(25) lgkmcnt(2)
	v_mul_f32_e32 v171, v107, v131
	s_waitcnt vmcnt(24)
	v_mul_f32_e32 v172, v109, v132
	s_waitcnt vmcnt(23) lgkmcnt(1)
	v_mul_f32_e32 v173, v111, v133
	s_waitcnt vmcnt(20)
	v_fma_f32 v79, v79, v136, -v117
	v_fmac_f32_e32 v157, v80, v136
	v_mul_f32_e32 v80, v84, v119
	s_waitcnt vmcnt(19)
	v_fma_f32 v81, v81, v137, -v118
	v_fmac_f32_e32 v158, v82, v137
	v_add_f32_e32 v79, 0, v79
	v_add_f32_e32 v82, 0, v157
	v_mul_f32_e32 v117, v86, v120
	s_waitcnt vmcnt(18)
	v_fma_f32 v80, v83, v138, -v80
	v_fmac_f32_e32 v159, v84, v138
	v_add_f32_e32 v79, v79, v81
	v_add_f32_e32 v81, v82, v158
	;; [unrolled: 6-line block ×15, first 2 shown]
	v_mul_f32_e32 v81, v114, v134
	s_waitcnt vmcnt(4)
	v_fma_f32 v82, v111, v152, -v82
	v_mul_f32_e32 v174, v113, v134
	v_add_f32_e32 v79, v79, v83
	v_fmac_f32_e32 v173, v112, v152
	v_add_f32_e32 v80, v80, v172
	s_waitcnt lgkmcnt(0)
	v_mul_f32_e32 v83, v116, v135
	s_waitcnt vmcnt(3)
	v_fma_f32 v81, v113, v153, -v81
	v_add_f32_e32 v79, v79, v82
	v_mul_f32_e32 v175, v115, v135
	v_fmac_f32_e32 v174, v114, v153
	v_add_f32_e32 v80, v80, v173
	s_waitcnt vmcnt(2)
	v_fma_f32 v82, v115, v154, -v83
	v_add_f32_e32 v79, v79, v81
	v_fmac_f32_e32 v175, v116, v154
	v_add_f32_e32 v80, v80, v174
	v_add_f32_e32 v79, v79, v82
	;; [unrolled: 1-line block ×3, first 2 shown]
	s_waitcnt vmcnt(1)
	v_sub_f32_e32 v79, v155, v79
	s_waitcnt vmcnt(0)
	v_sub_f32_e32 v80, v156, v80
	buffer_store_dword v79, off, s[0:3], 0 offset:144
	buffer_store_dword v80, off, s[0:3], 0 offset:148
	v_cmpx_lt_u32_e32 17, v0
	s_cbranch_execz .LBB101_207
; %bb.206:
	s_clause 0x1
	buffer_load_dword v79, off, s[0:3], 0 offset:136
	buffer_load_dword v80, off, s[0:3], 0 offset:140
	buffer_store_dword v78, off, s[0:3], 0 offset:136
	buffer_store_dword v78, off, s[0:3], 0 offset:140
	s_waitcnt vmcnt(0)
	ds_write_b64 v77, v[79:80]
.LBB101_207:
	s_or_b32 exec_lo, exec_lo, s4
	s_waitcnt lgkmcnt(0)
	s_waitcnt_vscnt null, 0x0
	s_barrier
	buffer_gl0_inv
	s_clause 0x29
	buffer_load_dword v119, off, s[0:3], 0 offset:148
	buffer_load_dword v120, off, s[0:3], 0 offset:156
	buffer_load_dword v121, off, s[0:3], 0 offset:164
	buffer_load_dword v122, off, s[0:3], 0 offset:172
	buffer_load_dword v123, off, s[0:3], 0 offset:180
	buffer_load_dword v124, off, s[0:3], 0 offset:188
	buffer_load_dword v125, off, s[0:3], 0 offset:196
	buffer_load_dword v126, off, s[0:3], 0 offset:204
	buffer_load_dword v127, off, s[0:3], 0 offset:212
	buffer_load_dword v128, off, s[0:3], 0 offset:220
	buffer_load_dword v129, off, s[0:3], 0 offset:228
	buffer_load_dword v130, off, s[0:3], 0 offset:236
	buffer_load_dword v131, off, s[0:3], 0 offset:244
	buffer_load_dword v132, off, s[0:3], 0 offset:252
	buffer_load_dword v133, off, s[0:3], 0 offset:260
	buffer_load_dword v134, off, s[0:3], 0 offset:268
	buffer_load_dword v135, off, s[0:3], 0 offset:276
	buffer_load_dword v136, off, s[0:3], 0 offset:284
	buffer_load_dword v137, off, s[0:3], 0 offset:292
	buffer_load_dword v138, off, s[0:3], 0 offset:300
	buffer_load_dword v139, off, s[0:3], 0 offset:144
	buffer_load_dword v140, off, s[0:3], 0 offset:152
	buffer_load_dword v141, off, s[0:3], 0 offset:160
	buffer_load_dword v142, off, s[0:3], 0 offset:168
	buffer_load_dword v143, off, s[0:3], 0 offset:176
	buffer_load_dword v144, off, s[0:3], 0 offset:184
	buffer_load_dword v145, off, s[0:3], 0 offset:192
	buffer_load_dword v146, off, s[0:3], 0 offset:200
	buffer_load_dword v147, off, s[0:3], 0 offset:208
	buffer_load_dword v148, off, s[0:3], 0 offset:216
	buffer_load_dword v149, off, s[0:3], 0 offset:224
	buffer_load_dword v150, off, s[0:3], 0 offset:232
	buffer_load_dword v151, off, s[0:3], 0 offset:240
	buffer_load_dword v152, off, s[0:3], 0 offset:248
	buffer_load_dword v153, off, s[0:3], 0 offset:256
	buffer_load_dword v154, off, s[0:3], 0 offset:264
	buffer_load_dword v155, off, s[0:3], 0 offset:272
	buffer_load_dword v156, off, s[0:3], 0 offset:280
	buffer_load_dword v157, off, s[0:3], 0 offset:288
	buffer_load_dword v158, off, s[0:3], 0 offset:296
	buffer_load_dword v159, off, s[0:3], 0 offset:136
	buffer_load_dword v160, off, s[0:3], 0 offset:140
	ds_read_b128 v[79:82], v78 offset:448
	ds_read_b128 v[83:86], v78 offset:464
	;; [unrolled: 1-line block ×10, first 2 shown]
	s_mov_b32 s4, exec_lo
	s_waitcnt vmcnt(41) lgkmcnt(9)
	v_mul_f32_e32 v78, v79, v119
	v_mul_f32_e32 v119, v80, v119
	s_waitcnt vmcnt(40)
	v_mul_f32_e32 v161, v81, v120
	v_mul_f32_e32 v120, v82, v120
	s_waitcnt vmcnt(39) lgkmcnt(8)
	v_mul_f32_e32 v162, v83, v121
	s_waitcnt vmcnt(38)
	v_mul_f32_e32 v163, v85, v122
	s_waitcnt vmcnt(37) lgkmcnt(7)
	v_mul_f32_e32 v164, v87, v123
	s_waitcnt vmcnt(36)
	;; [unrolled: 4-line block ×8, first 2 shown]
	v_mul_f32_e32 v177, v113, v136
	s_waitcnt vmcnt(21)
	v_fma_f32 v79, v79, v139, -v119
	v_fmac_f32_e32 v78, v80, v139
	v_mul_f32_e32 v80, v84, v121
	s_waitcnt vmcnt(20)
	v_fma_f32 v81, v81, v140, -v120
	v_fmac_f32_e32 v161, v82, v140
	v_add_f32_e32 v79, 0, v79
	v_add_f32_e32 v78, 0, v78
	v_mul_f32_e32 v82, v86, v122
	s_waitcnt vmcnt(19)
	v_fma_f32 v80, v83, v141, -v80
	v_fmac_f32_e32 v162, v84, v141
	v_add_f32_e32 v79, v79, v81
	v_add_f32_e32 v78, v78, v161
	;; [unrolled: 6-line block ×16, first 2 shown]
	s_waitcnt lgkmcnt(0)
	v_mul_f32_e32 v82, v116, v137
	s_waitcnt vmcnt(4)
	v_fma_f32 v80, v113, v156, -v80
	v_mul_f32_e32 v178, v115, v137
	v_add_f32_e32 v79, v79, v81
	v_fmac_f32_e32 v177, v114, v156
	v_add_f32_e32 v78, v78, v176
	v_mul_f32_e32 v81, v118, v138
	s_waitcnt vmcnt(3)
	v_fma_f32 v82, v115, v157, -v82
	v_add_f32_e32 v79, v79, v80
	v_mul_f32_e32 v179, v117, v138
	v_fmac_f32_e32 v178, v116, v157
	v_add_f32_e32 v78, v78, v177
	s_waitcnt vmcnt(2)
	v_fma_f32 v80, v117, v158, -v81
	v_add_f32_e32 v79, v79, v82
	v_fmac_f32_e32 v179, v118, v158
	v_add_f32_e32 v78, v78, v178
	v_add_f32_e32 v79, v79, v80
	;; [unrolled: 1-line block ×3, first 2 shown]
	s_waitcnt vmcnt(1)
	v_sub_f32_e32 v79, v159, v79
	s_waitcnt vmcnt(0)
	v_sub_f32_e32 v78, v160, v78
	buffer_store_dword v79, off, s[0:3], 0 offset:136
	buffer_store_dword v78, off, s[0:3], 0 offset:140
	v_cmpx_lt_u32_e32 16, v0
	s_cbranch_execz .LBB101_209
; %bb.208:
	s_clause 0x1
	buffer_load_dword v78, off, s[0:3], 0 offset:128
	buffer_load_dword v79, off, s[0:3], 0 offset:132
	v_mov_b32_e32 v80, 0
	buffer_store_dword v80, off, s[0:3], 0 offset:128
	buffer_store_dword v80, off, s[0:3], 0 offset:132
	s_waitcnt vmcnt(0)
	ds_write_b64 v77, v[78:79]
.LBB101_209:
	s_or_b32 exec_lo, exec_lo, s4
	s_waitcnt lgkmcnt(0)
	s_waitcnt_vscnt null, 0x0
	s_barrier
	buffer_gl0_inv
	s_clause 0x2b
	buffer_load_dword v121, off, s[0:3], 0 offset:140
	buffer_load_dword v122, off, s[0:3], 0 offset:148
	;; [unrolled: 1-line block ×44, first 2 shown]
	v_mov_b32_e32 v78, 0
	ds_read2_b64 v[79:82], v78 offset0:55 offset1:56
	ds_read2_b64 v[83:86], v78 offset0:57 offset1:58
	;; [unrolled: 1-line block ×10, first 2 shown]
	ds_read_b64 v[119:120], v78 offset:600
	s_mov_b32 s4, exec_lo
	s_waitcnt vmcnt(43) lgkmcnt(10)
	v_mul_f32_e32 v165, v79, v121
	v_mul_f32_e32 v121, v80, v121
	s_waitcnt vmcnt(42)
	v_mul_f32_e32 v166, v81, v122
	v_mul_f32_e32 v122, v82, v122
	s_waitcnt vmcnt(41) lgkmcnt(9)
	v_mul_f32_e32 v167, v83, v123
	s_waitcnt vmcnt(40)
	v_mul_f32_e32 v168, v85, v124
	s_waitcnt vmcnt(39) lgkmcnt(8)
	v_mul_f32_e32 v169, v87, v125
	s_waitcnt vmcnt(38)
	;; [unrolled: 4-line block ×9, first 2 shown]
	v_fma_f32 v79, v79, v142, -v121
	v_fmac_f32_e32 v165, v80, v142
	v_mul_f32_e32 v80, v84, v123
	s_waitcnt vmcnt(21)
	v_fma_f32 v81, v81, v143, -v122
	v_fmac_f32_e32 v166, v82, v143
	v_add_f32_e32 v79, 0, v79
	v_add_f32_e32 v82, 0, v165
	v_mul_f32_e32 v121, v86, v124
	s_waitcnt vmcnt(20)
	v_fma_f32 v80, v83, v144, -v80
	v_fmac_f32_e32 v167, v84, v144
	v_add_f32_e32 v79, v79, v81
	v_add_f32_e32 v81, v82, v166
	;; [unrolled: 6-line block ×17, first 2 shown]
	v_mul_f32_e32 v82, v118, v140
	s_waitcnt vmcnt(4)
	v_fma_f32 v83, v115, v160, -v83
	v_mul_f32_e32 v184, v117, v140
	v_add_f32_e32 v79, v79, v81
	v_fmac_f32_e32 v183, v116, v160
	v_add_f32_e32 v80, v80, v182
	s_waitcnt lgkmcnt(0)
	v_mul_f32_e32 v81, v120, v141
	s_waitcnt vmcnt(3)
	v_fma_f32 v82, v117, v161, -v82
	v_add_f32_e32 v79, v79, v83
	v_mul_f32_e32 v185, v119, v141
	v_fmac_f32_e32 v184, v118, v161
	v_add_f32_e32 v80, v80, v183
	s_waitcnt vmcnt(2)
	v_fma_f32 v81, v119, v162, -v81
	v_add_f32_e32 v79, v79, v82
	v_fmac_f32_e32 v185, v120, v162
	v_add_f32_e32 v80, v80, v184
	v_add_f32_e32 v79, v79, v81
	;; [unrolled: 1-line block ×3, first 2 shown]
	s_waitcnt vmcnt(1)
	v_sub_f32_e32 v79, v163, v79
	s_waitcnt vmcnt(0)
	v_sub_f32_e32 v80, v164, v80
	buffer_store_dword v79, off, s[0:3], 0 offset:128
	buffer_store_dword v80, off, s[0:3], 0 offset:132
	v_cmpx_lt_u32_e32 15, v0
	s_cbranch_execz .LBB101_211
; %bb.210:
	s_clause 0x1
	buffer_load_dword v79, off, s[0:3], 0 offset:120
	buffer_load_dword v80, off, s[0:3], 0 offset:124
	buffer_store_dword v78, off, s[0:3], 0 offset:120
	buffer_store_dword v78, off, s[0:3], 0 offset:124
	s_waitcnt vmcnt(0)
	ds_write_b64 v77, v[79:80]
.LBB101_211:
	s_or_b32 exec_lo, exec_lo, s4
	s_waitcnt lgkmcnt(0)
	s_waitcnt_vscnt null, 0x0
	s_barrier
	buffer_gl0_inv
	s_clause 0x2d
	buffer_load_dword v123, off, s[0:3], 0 offset:132
	buffer_load_dword v124, off, s[0:3], 0 offset:140
	;; [unrolled: 1-line block ×46, first 2 shown]
	ds_read_b128 v[79:82], v78 offset:432
	ds_read_b128 v[83:86], v78 offset:448
	ds_read_b128 v[87:90], v78 offset:464
	ds_read_b128 v[91:94], v78 offset:480
	ds_read_b128 v[95:98], v78 offset:496
	ds_read_b128 v[99:102], v78 offset:512
	ds_read_b128 v[103:106], v78 offset:528
	ds_read_b128 v[107:110], v78 offset:544
	ds_read_b128 v[111:114], v78 offset:560
	ds_read_b128 v[115:118], v78 offset:576
	ds_read_b128 v[119:122], v78 offset:592
	s_mov_b32 s4, exec_lo
	s_waitcnt vmcnt(45) lgkmcnt(10)
	v_mul_f32_e32 v78, v79, v123
	v_mul_f32_e32 v123, v80, v123
	s_waitcnt vmcnt(44)
	v_mul_f32_e32 v169, v81, v124
	v_mul_f32_e32 v124, v82, v124
	s_waitcnt vmcnt(43) lgkmcnt(9)
	v_mul_f32_e32 v170, v83, v125
	s_waitcnt vmcnt(42)
	v_mul_f32_e32 v171, v85, v126
	s_waitcnt vmcnt(41) lgkmcnt(8)
	v_mul_f32_e32 v172, v87, v127
	s_waitcnt vmcnt(40)
	v_mul_f32_e32 v173, v89, v128
	s_waitcnt vmcnt(39) lgkmcnt(7)
	v_mul_f32_e32 v174, v91, v129
	s_waitcnt vmcnt(38)
	v_mul_f32_e32 v175, v93, v130
	s_waitcnt vmcnt(37) lgkmcnt(6)
	v_mul_f32_e32 v176, v95, v131
	s_waitcnt vmcnt(36)
	v_mul_f32_e32 v177, v97, v132
	s_waitcnt vmcnt(35) lgkmcnt(5)
	v_mul_f32_e32 v178, v99, v133
	s_waitcnt vmcnt(34)
	v_mul_f32_e32 v179, v101, v134
	s_waitcnt vmcnt(33) lgkmcnt(4)
	v_mul_f32_e32 v180, v103, v135
	s_waitcnt vmcnt(32)
	v_mul_f32_e32 v181, v105, v136
	s_waitcnt vmcnt(31) lgkmcnt(3)
	v_mul_f32_e32 v182, v107, v137
	s_waitcnt vmcnt(30)
	v_mul_f32_e32 v183, v109, v138
	s_waitcnt vmcnt(29) lgkmcnt(2)
	v_mul_f32_e32 v184, v111, v139
	s_waitcnt vmcnt(28)
	v_mul_f32_e32 v185, v113, v140
	s_waitcnt vmcnt(27) lgkmcnt(1)
	v_mul_f32_e32 v186, v115, v141
	s_waitcnt vmcnt(26)
	v_mul_f32_e32 v187, v117, v142
	s_waitcnt vmcnt(23)
	v_fma_f32 v79, v79, v145, -v123
	v_fmac_f32_e32 v78, v80, v145
	v_mul_f32_e32 v80, v84, v125
	s_waitcnt vmcnt(22)
	v_fma_f32 v81, v81, v146, -v124
	v_fmac_f32_e32 v169, v82, v146
	v_add_f32_e32 v79, 0, v79
	v_add_f32_e32 v78, 0, v78
	v_mul_f32_e32 v82, v86, v126
	s_waitcnt vmcnt(21)
	v_fma_f32 v80, v83, v147, -v80
	v_fmac_f32_e32 v170, v84, v147
	v_add_f32_e32 v79, v79, v81
	v_add_f32_e32 v78, v78, v169
	;; [unrolled: 6-line block ×18, first 2 shown]
	s_waitcnt lgkmcnt(0)
	v_mul_f32_e32 v80, v120, v143
	s_waitcnt vmcnt(4)
	v_fma_f32 v81, v117, v164, -v81
	v_mul_f32_e32 v188, v119, v143
	v_add_f32_e32 v79, v79, v82
	v_fmac_f32_e32 v187, v118, v164
	v_add_f32_e32 v78, v78, v186
	v_mul_f32_e32 v82, v122, v144
	s_waitcnt vmcnt(3)
	v_fma_f32 v80, v119, v165, -v80
	v_add_f32_e32 v79, v79, v81
	v_mul_f32_e32 v189, v121, v144
	v_fmac_f32_e32 v188, v120, v165
	v_add_f32_e32 v78, v78, v187
	s_waitcnt vmcnt(2)
	v_fma_f32 v81, v121, v166, -v82
	v_add_f32_e32 v79, v79, v80
	v_fmac_f32_e32 v189, v122, v166
	v_add_f32_e32 v78, v78, v188
	v_add_f32_e32 v79, v79, v81
	;; [unrolled: 1-line block ×3, first 2 shown]
	s_waitcnt vmcnt(1)
	v_sub_f32_e32 v79, v167, v79
	s_waitcnt vmcnt(0)
	v_sub_f32_e32 v78, v168, v78
	buffer_store_dword v79, off, s[0:3], 0 offset:120
	buffer_store_dword v78, off, s[0:3], 0 offset:124
	v_cmpx_lt_u32_e32 14, v0
	s_cbranch_execz .LBB101_213
; %bb.212:
	s_clause 0x1
	buffer_load_dword v78, off, s[0:3], 0 offset:112
	buffer_load_dword v79, off, s[0:3], 0 offset:116
	v_mov_b32_e32 v80, 0
	buffer_store_dword v80, off, s[0:3], 0 offset:112
	buffer_store_dword v80, off, s[0:3], 0 offset:116
	s_waitcnt vmcnt(0)
	ds_write_b64 v77, v[78:79]
.LBB101_213:
	s_or_b32 exec_lo, exec_lo, s4
	s_waitcnt lgkmcnt(0)
	s_waitcnt_vscnt null, 0x0
	s_barrier
	buffer_gl0_inv
	s_clause 0x2f
	buffer_load_dword v125, off, s[0:3], 0 offset:124
	buffer_load_dword v126, off, s[0:3], 0 offset:132
	;; [unrolled: 1-line block ×48, first 2 shown]
	v_mov_b32_e32 v78, 0
	ds_read2_b64 v[79:82], v78 offset0:53 offset1:54
	ds_read2_b64 v[83:86], v78 offset0:55 offset1:56
	;; [unrolled: 1-line block ×11, first 2 shown]
	ds_read_b64 v[123:124], v78 offset:600
	s_mov_b32 s4, exec_lo
	s_waitcnt vmcnt(47) lgkmcnt(11)
	v_mul_f32_e32 v173, v79, v125
	v_mul_f32_e32 v125, v80, v125
	s_waitcnt vmcnt(46)
	v_mul_f32_e32 v174, v81, v126
	v_mul_f32_e32 v126, v82, v126
	s_waitcnt vmcnt(45) lgkmcnt(10)
	v_mul_f32_e32 v175, v83, v127
	s_waitcnt vmcnt(44)
	v_mul_f32_e32 v176, v85, v128
	s_waitcnt vmcnt(43) lgkmcnt(9)
	v_mul_f32_e32 v177, v87, v129
	s_waitcnt vmcnt(42)
	;; [unrolled: 4-line block ×10, first 2 shown]
	v_fma_f32 v79, v79, v148, -v125
	v_fmac_f32_e32 v173, v80, v148
	v_mul_f32_e32 v80, v84, v127
	s_waitcnt vmcnt(23)
	v_fma_f32 v81, v81, v149, -v126
	v_fmac_f32_e32 v174, v82, v149
	v_add_f32_e32 v79, 0, v79
	v_add_f32_e32 v82, 0, v173
	v_mul_f32_e32 v125, v86, v128
	s_waitcnt vmcnt(22)
	v_fma_f32 v80, v83, v150, -v80
	v_fmac_f32_e32 v175, v84, v150
	v_add_f32_e32 v79, v79, v81
	v_add_f32_e32 v81, v82, v174
	;; [unrolled: 6-line block ×19, first 2 shown]
	v_mul_f32_e32 v83, v122, v146
	s_waitcnt vmcnt(4)
	v_fma_f32 v81, v119, v168, -v81
	v_mul_f32_e32 v194, v121, v146
	v_add_f32_e32 v79, v79, v82
	v_fmac_f32_e32 v193, v120, v168
	v_add_f32_e32 v80, v80, v192
	s_waitcnt lgkmcnt(0)
	v_mul_f32_e32 v82, v124, v147
	s_waitcnt vmcnt(3)
	v_fma_f32 v83, v121, v169, -v83
	v_add_f32_e32 v79, v79, v81
	v_mul_f32_e32 v195, v123, v147
	v_fmac_f32_e32 v194, v122, v169
	v_add_f32_e32 v80, v80, v193
	s_waitcnt vmcnt(2)
	v_fma_f32 v81, v123, v170, -v82
	v_add_f32_e32 v79, v79, v83
	v_fmac_f32_e32 v195, v124, v170
	v_add_f32_e32 v80, v80, v194
	v_add_f32_e32 v79, v79, v81
	;; [unrolled: 1-line block ×3, first 2 shown]
	s_waitcnt vmcnt(1)
	v_sub_f32_e32 v79, v171, v79
	s_waitcnt vmcnt(0)
	v_sub_f32_e32 v80, v172, v80
	buffer_store_dword v79, off, s[0:3], 0 offset:112
	buffer_store_dword v80, off, s[0:3], 0 offset:116
	v_cmpx_lt_u32_e32 13, v0
	s_cbranch_execz .LBB101_215
; %bb.214:
	s_clause 0x1
	buffer_load_dword v79, off, s[0:3], 0 offset:104
	buffer_load_dword v80, off, s[0:3], 0 offset:108
	buffer_store_dword v78, off, s[0:3], 0 offset:104
	buffer_store_dword v78, off, s[0:3], 0 offset:108
	s_waitcnt vmcnt(0)
	ds_write_b64 v77, v[79:80]
.LBB101_215:
	s_or_b32 exec_lo, exec_lo, s4
	s_waitcnt lgkmcnt(0)
	s_waitcnt_vscnt null, 0x0
	s_barrier
	buffer_gl0_inv
	s_clause 0x31
	buffer_load_dword v127, off, s[0:3], 0 offset:116
	buffer_load_dword v128, off, s[0:3], 0 offset:124
	;; [unrolled: 1-line block ×50, first 2 shown]
	ds_read_b128 v[79:82], v78 offset:416
	ds_read_b128 v[83:86], v78 offset:432
	;; [unrolled: 1-line block ×12, first 2 shown]
	s_mov_b32 s4, exec_lo
	s_waitcnt vmcnt(49) lgkmcnt(11)
	v_mul_f32_e32 v78, v79, v127
	v_mul_f32_e32 v127, v80, v127
	s_waitcnt vmcnt(48)
	v_mul_f32_e32 v177, v81, v128
	v_mul_f32_e32 v128, v82, v128
	s_waitcnt vmcnt(47) lgkmcnt(10)
	v_mul_f32_e32 v178, v83, v129
	s_waitcnt vmcnt(46)
	v_mul_f32_e32 v179, v85, v130
	s_waitcnt vmcnt(45) lgkmcnt(9)
	v_mul_f32_e32 v180, v87, v131
	s_waitcnt vmcnt(44)
	;; [unrolled: 4-line block ×10, first 2 shown]
	v_mul_f32_e32 v197, v121, v148
	s_waitcnt vmcnt(25)
	v_fma_f32 v79, v79, v151, -v127
	v_fmac_f32_e32 v78, v80, v151
	v_mul_f32_e32 v80, v84, v129
	s_waitcnt vmcnt(24)
	v_fma_f32 v81, v81, v152, -v128
	v_fmac_f32_e32 v177, v82, v152
	v_add_f32_e32 v79, 0, v79
	v_add_f32_e32 v78, 0, v78
	v_mul_f32_e32 v82, v86, v130
	s_waitcnt vmcnt(23)
	v_fma_f32 v80, v83, v153, -v80
	v_fmac_f32_e32 v178, v84, v153
	v_add_f32_e32 v79, v79, v81
	v_add_f32_e32 v78, v78, v177
	;; [unrolled: 6-line block ×20, first 2 shown]
	s_waitcnt lgkmcnt(0)
	v_mul_f32_e32 v81, v124, v149
	s_waitcnt vmcnt(4)
	v_fma_f32 v82, v121, v172, -v82
	v_mul_f32_e32 v198, v123, v149
	v_add_f32_e32 v79, v79, v80
	v_fmac_f32_e32 v197, v122, v172
	v_add_f32_e32 v78, v78, v196
	v_mul_f32_e32 v80, v126, v150
	s_waitcnt vmcnt(3)
	v_fma_f32 v81, v123, v173, -v81
	v_add_f32_e32 v79, v79, v82
	v_mul_f32_e32 v199, v125, v150
	v_fmac_f32_e32 v198, v124, v173
	v_add_f32_e32 v78, v78, v197
	s_waitcnt vmcnt(2)
	v_fma_f32 v80, v125, v174, -v80
	v_add_f32_e32 v79, v79, v81
	v_fmac_f32_e32 v199, v126, v174
	v_add_f32_e32 v78, v78, v198
	v_add_f32_e32 v79, v79, v80
	v_add_f32_e32 v78, v78, v199
	s_waitcnt vmcnt(1)
	v_sub_f32_e32 v79, v175, v79
	s_waitcnt vmcnt(0)
	v_sub_f32_e32 v78, v176, v78
	buffer_store_dword v79, off, s[0:3], 0 offset:104
	buffer_store_dword v78, off, s[0:3], 0 offset:108
	v_cmpx_lt_u32_e32 12, v0
	s_cbranch_execz .LBB101_217
; %bb.216:
	s_clause 0x1
	buffer_load_dword v78, off, s[0:3], 0 offset:96
	buffer_load_dword v79, off, s[0:3], 0 offset:100
	v_mov_b32_e32 v80, 0
	buffer_store_dword v80, off, s[0:3], 0 offset:96
	buffer_store_dword v80, off, s[0:3], 0 offset:100
	s_waitcnt vmcnt(0)
	ds_write_b64 v77, v[78:79]
.LBB101_217:
	s_or_b32 exec_lo, exec_lo, s4
	s_waitcnt lgkmcnt(0)
	s_waitcnt_vscnt null, 0x0
	s_barrier
	buffer_gl0_inv
	s_clause 0x33
	buffer_load_dword v129, off, s[0:3], 0 offset:108
	buffer_load_dword v130, off, s[0:3], 0 offset:116
	;; [unrolled: 1-line block ×52, first 2 shown]
	v_mov_b32_e32 v78, 0
	ds_read2_b64 v[79:82], v78 offset0:51 offset1:52
	ds_read2_b64 v[83:86], v78 offset0:53 offset1:54
	;; [unrolled: 1-line block ×12, first 2 shown]
	ds_read_b64 v[127:128], v78 offset:600
	s_mov_b32 s4, exec_lo
	s_waitcnt vmcnt(51) lgkmcnt(12)
	v_mul_f32_e32 v181, v79, v129
	v_mul_f32_e32 v129, v80, v129
	s_waitcnt vmcnt(50)
	v_mul_f32_e32 v182, v81, v130
	v_mul_f32_e32 v130, v82, v130
	s_waitcnt vmcnt(49) lgkmcnt(11)
	v_mul_f32_e32 v183, v83, v131
	s_waitcnt vmcnt(48)
	v_mul_f32_e32 v184, v85, v132
	s_waitcnt vmcnt(47) lgkmcnt(10)
	v_mul_f32_e32 v185, v87, v133
	s_waitcnt vmcnt(46)
	;; [unrolled: 4-line block ×11, first 2 shown]
	v_fma_f32 v79, v79, v154, -v129
	v_fmac_f32_e32 v181, v80, v154
	v_mul_f32_e32 v80, v84, v131
	s_waitcnt vmcnt(25)
	v_fma_f32 v81, v81, v155, -v130
	v_fmac_f32_e32 v182, v82, v155
	v_add_f32_e32 v79, 0, v79
	v_add_f32_e32 v82, 0, v181
	v_mul_f32_e32 v129, v86, v132
	s_waitcnt vmcnt(24)
	v_fma_f32 v80, v83, v156, -v80
	v_fmac_f32_e32 v183, v84, v156
	v_add_f32_e32 v79, v79, v81
	v_add_f32_e32 v81, v82, v182
	;; [unrolled: 6-line block ×21, first 2 shown]
	v_mul_f32_e32 v81, v126, v152
	s_waitcnt vmcnt(4)
	v_fma_f32 v82, v123, v176, -v82
	v_mul_f32_e32 v204, v125, v152
	v_add_f32_e32 v79, v79, v83
	v_fmac_f32_e32 v203, v124, v176
	v_add_f32_e32 v80, v80, v202
	s_waitcnt lgkmcnt(0)
	v_mul_f32_e32 v83, v128, v153
	s_waitcnt vmcnt(3)
	v_fma_f32 v81, v125, v177, -v81
	v_add_f32_e32 v79, v79, v82
	v_mul_f32_e32 v205, v127, v153
	v_fmac_f32_e32 v204, v126, v177
	v_add_f32_e32 v80, v80, v203
	s_waitcnt vmcnt(2)
	v_fma_f32 v82, v127, v178, -v83
	v_add_f32_e32 v79, v79, v81
	v_fmac_f32_e32 v205, v128, v178
	v_add_f32_e32 v80, v80, v204
	v_add_f32_e32 v79, v79, v82
	;; [unrolled: 1-line block ×3, first 2 shown]
	s_waitcnt vmcnt(1)
	v_sub_f32_e32 v79, v179, v79
	s_waitcnt vmcnt(0)
	v_sub_f32_e32 v80, v180, v80
	buffer_store_dword v79, off, s[0:3], 0 offset:96
	buffer_store_dword v80, off, s[0:3], 0 offset:100
	v_cmpx_lt_u32_e32 11, v0
	s_cbranch_execz .LBB101_219
; %bb.218:
	s_clause 0x1
	buffer_load_dword v79, off, s[0:3], 0 offset:88
	buffer_load_dword v80, off, s[0:3], 0 offset:92
	buffer_store_dword v78, off, s[0:3], 0 offset:88
	buffer_store_dword v78, off, s[0:3], 0 offset:92
	s_waitcnt vmcnt(0)
	ds_write_b64 v77, v[79:80]
.LBB101_219:
	s_or_b32 exec_lo, exec_lo, s4
	s_waitcnt lgkmcnt(0)
	s_waitcnt_vscnt null, 0x0
	s_barrier
	buffer_gl0_inv
	s_clause 0x35
	buffer_load_dword v131, off, s[0:3], 0 offset:100
	buffer_load_dword v132, off, s[0:3], 0 offset:108
	;; [unrolled: 1-line block ×54, first 2 shown]
	ds_read_b128 v[79:82], v78 offset:400
	ds_read_b128 v[83:86], v78 offset:416
	;; [unrolled: 1-line block ×13, first 2 shown]
	s_mov_b32 s4, exec_lo
	s_waitcnt vmcnt(53) lgkmcnt(12)
	v_mul_f32_e32 v78, v79, v131
	v_mul_f32_e32 v131, v80, v131
	s_waitcnt vmcnt(52)
	v_mul_f32_e32 v185, v81, v132
	v_mul_f32_e32 v132, v82, v132
	s_waitcnt vmcnt(51) lgkmcnt(11)
	v_mul_f32_e32 v186, v83, v133
	s_waitcnt vmcnt(50)
	v_mul_f32_e32 v187, v85, v134
	s_waitcnt vmcnt(49) lgkmcnt(10)
	v_mul_f32_e32 v188, v87, v135
	s_waitcnt vmcnt(48)
	;; [unrolled: 4-line block ×11, first 2 shown]
	v_mul_f32_e32 v207, v125, v154
	s_waitcnt vmcnt(27)
	v_fma_f32 v79, v79, v157, -v131
	v_fmac_f32_e32 v78, v80, v157
	v_mul_f32_e32 v80, v84, v133
	s_waitcnt vmcnt(26)
	v_fma_f32 v81, v81, v158, -v132
	v_fmac_f32_e32 v185, v82, v158
	v_add_f32_e32 v79, 0, v79
	v_add_f32_e32 v78, 0, v78
	v_mul_f32_e32 v82, v86, v134
	s_waitcnt vmcnt(25)
	v_fma_f32 v80, v83, v159, -v80
	v_fmac_f32_e32 v186, v84, v159
	v_add_f32_e32 v79, v79, v81
	v_add_f32_e32 v78, v78, v185
	;; [unrolled: 6-line block ×22, first 2 shown]
	s_waitcnt lgkmcnt(0)
	v_mul_f32_e32 v82, v128, v155
	s_waitcnt vmcnt(4)
	v_fma_f32 v80, v125, v180, -v80
	v_mul_f32_e32 v208, v127, v155
	v_add_f32_e32 v79, v79, v81
	v_fmac_f32_e32 v207, v126, v180
	v_add_f32_e32 v78, v78, v206
	v_mul_f32_e32 v81, v130, v156
	s_waitcnt vmcnt(3)
	v_fma_f32 v82, v127, v181, -v82
	v_add_f32_e32 v79, v79, v80
	v_mul_f32_e32 v209, v129, v156
	v_fmac_f32_e32 v208, v128, v181
	v_add_f32_e32 v78, v78, v207
	s_waitcnt vmcnt(2)
	v_fma_f32 v80, v129, v182, -v81
	v_add_f32_e32 v79, v79, v82
	v_fmac_f32_e32 v209, v130, v182
	v_add_f32_e32 v78, v78, v208
	v_add_f32_e32 v79, v79, v80
	;; [unrolled: 1-line block ×3, first 2 shown]
	s_waitcnt vmcnt(1)
	v_sub_f32_e32 v79, v183, v79
	s_waitcnt vmcnt(0)
	v_sub_f32_e32 v78, v184, v78
	buffer_store_dword v79, off, s[0:3], 0 offset:88
	buffer_store_dword v78, off, s[0:3], 0 offset:92
	v_cmpx_lt_u32_e32 10, v0
	s_cbranch_execz .LBB101_221
; %bb.220:
	s_clause 0x1
	buffer_load_dword v78, off, s[0:3], 0 offset:80
	buffer_load_dword v79, off, s[0:3], 0 offset:84
	v_mov_b32_e32 v80, 0
	buffer_store_dword v80, off, s[0:3], 0 offset:80
	buffer_store_dword v80, off, s[0:3], 0 offset:84
	s_waitcnt vmcnt(0)
	ds_write_b64 v77, v[78:79]
.LBB101_221:
	s_or_b32 exec_lo, exec_lo, s4
	s_waitcnt lgkmcnt(0)
	s_waitcnt_vscnt null, 0x0
	s_barrier
	buffer_gl0_inv
	s_clause 0x37
	buffer_load_dword v133, off, s[0:3], 0 offset:92
	buffer_load_dword v134, off, s[0:3], 0 offset:100
	;; [unrolled: 1-line block ×56, first 2 shown]
	v_mov_b32_e32 v78, 0
	ds_read2_b64 v[79:82], v78 offset0:49 offset1:50
	ds_read2_b64 v[83:86], v78 offset0:51 offset1:52
	;; [unrolled: 1-line block ×13, first 2 shown]
	ds_read_b64 v[131:132], v78 offset:600
	s_mov_b32 s4, exec_lo
	s_waitcnt vmcnt(55) lgkmcnt(13)
	v_mul_f32_e32 v189, v79, v133
	v_mul_f32_e32 v133, v80, v133
	s_waitcnt vmcnt(54)
	v_mul_f32_e32 v190, v81, v134
	v_mul_f32_e32 v134, v82, v134
	s_waitcnt vmcnt(53) lgkmcnt(12)
	v_mul_f32_e32 v191, v83, v135
	s_waitcnt vmcnt(52)
	v_mul_f32_e32 v192, v85, v136
	s_waitcnt vmcnt(51) lgkmcnt(11)
	v_mul_f32_e32 v193, v87, v137
	s_waitcnt vmcnt(50)
	;; [unrolled: 4-line block ×12, first 2 shown]
	v_fma_f32 v79, v79, v160, -v133
	v_fmac_f32_e32 v189, v80, v160
	v_mul_f32_e32 v80, v84, v135
	s_waitcnt vmcnt(27)
	v_fma_f32 v81, v81, v161, -v134
	v_fmac_f32_e32 v190, v82, v161
	v_add_f32_e32 v79, 0, v79
	v_add_f32_e32 v82, 0, v189
	v_mul_f32_e32 v133, v86, v136
	s_waitcnt vmcnt(26)
	v_fma_f32 v80, v83, v162, -v80
	v_fmac_f32_e32 v191, v84, v162
	v_add_f32_e32 v79, v79, v81
	v_add_f32_e32 v81, v82, v190
	;; [unrolled: 6-line block ×23, first 2 shown]
	v_mul_f32_e32 v82, v130, v158
	s_waitcnt vmcnt(4)
	v_fma_f32 v83, v127, v184, -v83
	v_mul_f32_e32 v214, v129, v158
	v_add_f32_e32 v79, v79, v81
	v_fmac_f32_e32 v213, v128, v184
	v_add_f32_e32 v80, v80, v212
	s_waitcnt lgkmcnt(0)
	v_mul_f32_e32 v81, v132, v159
	s_waitcnt vmcnt(3)
	v_fma_f32 v82, v129, v185, -v82
	v_add_f32_e32 v79, v79, v83
	v_mul_f32_e32 v215, v131, v159
	v_fmac_f32_e32 v214, v130, v185
	v_add_f32_e32 v80, v80, v213
	s_waitcnt vmcnt(2)
	v_fma_f32 v81, v131, v186, -v81
	v_add_f32_e32 v79, v79, v82
	v_fmac_f32_e32 v215, v132, v186
	v_add_f32_e32 v80, v80, v214
	v_add_f32_e32 v79, v79, v81
	;; [unrolled: 1-line block ×3, first 2 shown]
	s_waitcnt vmcnt(1)
	v_sub_f32_e32 v79, v187, v79
	s_waitcnt vmcnt(0)
	v_sub_f32_e32 v80, v188, v80
	buffer_store_dword v79, off, s[0:3], 0 offset:80
	buffer_store_dword v80, off, s[0:3], 0 offset:84
	v_cmpx_lt_u32_e32 9, v0
	s_cbranch_execz .LBB101_223
; %bb.222:
	s_clause 0x1
	buffer_load_dword v79, off, s[0:3], 0 offset:72
	buffer_load_dword v80, off, s[0:3], 0 offset:76
	buffer_store_dword v78, off, s[0:3], 0 offset:72
	buffer_store_dword v78, off, s[0:3], 0 offset:76
	s_waitcnt vmcnt(0)
	ds_write_b64 v77, v[79:80]
.LBB101_223:
	s_or_b32 exec_lo, exec_lo, s4
	s_waitcnt lgkmcnt(0)
	s_waitcnt_vscnt null, 0x0
	s_barrier
	buffer_gl0_inv
	s_clause 0x39
	buffer_load_dword v135, off, s[0:3], 0 offset:84
	buffer_load_dword v136, off, s[0:3], 0 offset:92
	;; [unrolled: 1-line block ×58, first 2 shown]
	ds_read_b128 v[79:82], v78 offset:384
	ds_read_b128 v[83:86], v78 offset:400
	;; [unrolled: 1-line block ×14, first 2 shown]
	s_mov_b32 s4, exec_lo
	s_waitcnt vmcnt(57) lgkmcnt(13)
	v_mul_f32_e32 v78, v79, v135
	v_mul_f32_e32 v135, v80, v135
	s_waitcnt vmcnt(56)
	v_mul_f32_e32 v193, v81, v136
	v_mul_f32_e32 v136, v82, v136
	s_waitcnt vmcnt(55) lgkmcnt(12)
	v_mul_f32_e32 v194, v83, v137
	s_waitcnt vmcnt(54)
	v_mul_f32_e32 v195, v85, v138
	s_waitcnt vmcnt(53) lgkmcnt(11)
	v_mul_f32_e32 v196, v87, v139
	s_waitcnt vmcnt(52)
	;; [unrolled: 4-line block ×12, first 2 shown]
	v_mul_f32_e32 v217, v129, v160
	s_waitcnt vmcnt(29)
	v_fma_f32 v79, v79, v163, -v135
	v_fmac_f32_e32 v78, v80, v163
	v_mul_f32_e32 v80, v84, v137
	s_waitcnt vmcnt(28)
	v_fma_f32 v81, v81, v164, -v136
	v_fmac_f32_e32 v193, v82, v164
	v_add_f32_e32 v79, 0, v79
	v_add_f32_e32 v78, 0, v78
	v_mul_f32_e32 v82, v86, v138
	s_waitcnt vmcnt(27)
	v_fma_f32 v80, v83, v165, -v80
	v_fmac_f32_e32 v194, v84, v165
	v_add_f32_e32 v79, v79, v81
	v_add_f32_e32 v78, v78, v193
	;; [unrolled: 6-line block ×24, first 2 shown]
	s_waitcnt lgkmcnt(0)
	v_mul_f32_e32 v80, v132, v161
	s_waitcnt vmcnt(4)
	v_fma_f32 v81, v129, v188, -v81
	v_mul_f32_e32 v218, v131, v161
	v_add_f32_e32 v79, v79, v82
	v_fmac_f32_e32 v217, v130, v188
	v_add_f32_e32 v78, v78, v216
	v_mul_f32_e32 v82, v134, v162
	s_waitcnt vmcnt(3)
	v_fma_f32 v80, v131, v189, -v80
	v_add_f32_e32 v79, v79, v81
	v_mul_f32_e32 v219, v133, v162
	v_fmac_f32_e32 v218, v132, v189
	v_add_f32_e32 v78, v78, v217
	s_waitcnt vmcnt(2)
	v_fma_f32 v81, v133, v190, -v82
	v_add_f32_e32 v79, v79, v80
	v_fmac_f32_e32 v219, v134, v190
	v_add_f32_e32 v78, v78, v218
	v_add_f32_e32 v79, v79, v81
	v_add_f32_e32 v78, v78, v219
	s_waitcnt vmcnt(1)
	v_sub_f32_e32 v79, v191, v79
	s_waitcnt vmcnt(0)
	v_sub_f32_e32 v78, v192, v78
	buffer_store_dword v79, off, s[0:3], 0 offset:72
	buffer_store_dword v78, off, s[0:3], 0 offset:76
	v_cmpx_lt_u32_e32 8, v0
	s_cbranch_execz .LBB101_225
; %bb.224:
	s_clause 0x1
	buffer_load_dword v78, off, s[0:3], 0 offset:64
	buffer_load_dword v79, off, s[0:3], 0 offset:68
	v_mov_b32_e32 v80, 0
	buffer_store_dword v80, off, s[0:3], 0 offset:64
	buffer_store_dword v80, off, s[0:3], 0 offset:68
	s_waitcnt vmcnt(0)
	ds_write_b64 v77, v[78:79]
.LBB101_225:
	s_or_b32 exec_lo, exec_lo, s4
	s_waitcnt lgkmcnt(0)
	s_waitcnt_vscnt null, 0x0
	s_barrier
	buffer_gl0_inv
	s_clause 0x3b
	buffer_load_dword v137, off, s[0:3], 0 offset:76
	buffer_load_dword v138, off, s[0:3], 0 offset:84
	;; [unrolled: 1-line block ×60, first 2 shown]
	v_mov_b32_e32 v78, 0
	ds_read2_b64 v[79:82], v78 offset0:47 offset1:48
	ds_read2_b64 v[83:86], v78 offset0:49 offset1:50
	;; [unrolled: 1-line block ×14, first 2 shown]
	ds_read_b64 v[135:136], v78 offset:600
	s_mov_b32 s4, exec_lo
	s_waitcnt vmcnt(59) lgkmcnt(14)
	v_mul_f32_e32 v197, v79, v137
	v_mul_f32_e32 v137, v80, v137
	s_waitcnt vmcnt(58)
	v_mul_f32_e32 v198, v81, v138
	v_mul_f32_e32 v138, v82, v138
	s_waitcnt vmcnt(57) lgkmcnt(13)
	v_mul_f32_e32 v199, v83, v139
	s_waitcnt vmcnt(56)
	v_mul_f32_e32 v200, v85, v140
	s_waitcnt vmcnt(55) lgkmcnt(12)
	v_mul_f32_e32 v201, v87, v141
	s_waitcnt vmcnt(54)
	;; [unrolled: 4-line block ×13, first 2 shown]
	v_fma_f32 v79, v79, v166, -v137
	v_fmac_f32_e32 v197, v80, v166
	v_mul_f32_e32 v80, v84, v139
	s_waitcnt vmcnt(29)
	v_fma_f32 v81, v81, v167, -v138
	v_fmac_f32_e32 v198, v82, v167
	v_add_f32_e32 v79, 0, v79
	v_add_f32_e32 v82, 0, v197
	v_mul_f32_e32 v137, v86, v140
	s_waitcnt vmcnt(28)
	v_fma_f32 v80, v83, v168, -v80
	v_fmac_f32_e32 v199, v84, v168
	v_add_f32_e32 v79, v79, v81
	v_add_f32_e32 v81, v82, v198
	;; [unrolled: 6-line block ×25, first 2 shown]
	v_mul_f32_e32 v83, v134, v164
	s_waitcnt vmcnt(4)
	v_fma_f32 v81, v131, v192, -v81
	v_mul_f32_e32 v224, v133, v164
	v_add_f32_e32 v79, v79, v82
	v_fmac_f32_e32 v223, v132, v192
	v_add_f32_e32 v80, v80, v222
	s_waitcnt lgkmcnt(0)
	v_mul_f32_e32 v82, v136, v165
	s_waitcnt vmcnt(3)
	v_fma_f32 v83, v133, v193, -v83
	v_add_f32_e32 v79, v79, v81
	v_mul_f32_e32 v225, v135, v165
	v_fmac_f32_e32 v224, v134, v193
	v_add_f32_e32 v80, v80, v223
	s_waitcnt vmcnt(2)
	v_fma_f32 v81, v135, v194, -v82
	v_add_f32_e32 v79, v79, v83
	v_fmac_f32_e32 v225, v136, v194
	v_add_f32_e32 v80, v80, v224
	v_add_f32_e32 v79, v79, v81
	;; [unrolled: 1-line block ×3, first 2 shown]
	s_waitcnt vmcnt(1)
	v_sub_f32_e32 v79, v195, v79
	s_waitcnt vmcnt(0)
	v_sub_f32_e32 v80, v196, v80
	buffer_store_dword v79, off, s[0:3], 0 offset:64
	buffer_store_dword v80, off, s[0:3], 0 offset:68
	v_cmpx_lt_u32_e32 7, v0
	s_cbranch_execz .LBB101_227
; %bb.226:
	s_clause 0x1
	buffer_load_dword v79, off, s[0:3], 0 offset:56
	buffer_load_dword v80, off, s[0:3], 0 offset:60
	buffer_store_dword v78, off, s[0:3], 0 offset:56
	buffer_store_dword v78, off, s[0:3], 0 offset:60
	s_waitcnt vmcnt(0)
	ds_write_b64 v77, v[79:80]
.LBB101_227:
	s_or_b32 exec_lo, exec_lo, s4
	s_waitcnt lgkmcnt(0)
	s_waitcnt_vscnt null, 0x0
	s_barrier
	buffer_gl0_inv
	s_clause 0x3d
	buffer_load_dword v139, off, s[0:3], 0 offset:68
	buffer_load_dword v140, off, s[0:3], 0 offset:76
	;; [unrolled: 1-line block ×62, first 2 shown]
	ds_read_b128 v[79:82], v78 offset:368
	ds_read_b128 v[83:86], v78 offset:384
	ds_read_b128 v[87:90], v78 offset:400
	ds_read_b128 v[91:94], v78 offset:416
	ds_read_b128 v[95:98], v78 offset:432
	ds_read_b128 v[99:102], v78 offset:448
	ds_read_b128 v[103:106], v78 offset:464
	ds_read_b128 v[107:110], v78 offset:480
	ds_read_b128 v[111:114], v78 offset:496
	ds_read_b128 v[115:118], v78 offset:512
	ds_read_b128 v[119:122], v78 offset:528
	ds_read_b128 v[123:126], v78 offset:544
	ds_read_b128 v[127:130], v78 offset:560
	ds_read_b128 v[131:134], v78 offset:576
	ds_read_b128 v[135:138], v78 offset:592
	s_mov_b32 s4, exec_lo
	s_waitcnt vmcnt(61) lgkmcnt(14)
	v_mul_f32_e32 v78, v79, v139
	v_mul_f32_e32 v139, v80, v139
	s_waitcnt vmcnt(60)
	v_mul_f32_e32 v201, v81, v140
	v_mul_f32_e32 v140, v82, v140
	s_waitcnt vmcnt(59) lgkmcnt(13)
	v_mul_f32_e32 v202, v83, v141
	s_waitcnt vmcnt(58)
	v_mul_f32_e32 v203, v85, v142
	s_waitcnt vmcnt(57) lgkmcnt(12)
	v_mul_f32_e32 v204, v87, v143
	s_waitcnt vmcnt(56)
	v_mul_f32_e32 v205, v89, v144
	s_waitcnt vmcnt(55) lgkmcnt(11)
	v_mul_f32_e32 v206, v91, v145
	s_waitcnt vmcnt(54)
	v_mul_f32_e32 v207, v93, v146
	s_waitcnt vmcnt(53) lgkmcnt(10)
	v_mul_f32_e32 v208, v95, v147
	s_waitcnt vmcnt(52)
	v_mul_f32_e32 v209, v97, v148
	s_waitcnt vmcnt(51) lgkmcnt(9)
	v_mul_f32_e32 v210, v99, v149
	s_waitcnt vmcnt(50)
	v_mul_f32_e32 v211, v101, v150
	s_waitcnt vmcnt(49) lgkmcnt(8)
	v_mul_f32_e32 v212, v103, v151
	s_waitcnt vmcnt(48)
	v_mul_f32_e32 v213, v105, v152
	s_waitcnt vmcnt(47) lgkmcnt(7)
	v_mul_f32_e32 v214, v107, v153
	s_waitcnt vmcnt(46)
	v_mul_f32_e32 v215, v109, v154
	s_waitcnt vmcnt(45) lgkmcnt(6)
	v_mul_f32_e32 v216, v111, v155
	s_waitcnt vmcnt(44)
	v_mul_f32_e32 v217, v113, v156
	s_waitcnt vmcnt(43) lgkmcnt(5)
	v_mul_f32_e32 v218, v115, v157
	s_waitcnt vmcnt(42)
	v_mul_f32_e32 v219, v117, v158
	s_waitcnt vmcnt(41) lgkmcnt(4)
	v_mul_f32_e32 v220, v119, v159
	s_waitcnt vmcnt(40)
	v_mul_f32_e32 v221, v121, v160
	s_waitcnt vmcnt(39) lgkmcnt(3)
	v_mul_f32_e32 v222, v123, v161
	s_waitcnt vmcnt(38)
	v_mul_f32_e32 v223, v125, v162
	s_waitcnt vmcnt(37) lgkmcnt(2)
	v_mul_f32_e32 v224, v127, v163
	s_waitcnt vmcnt(36)
	v_mul_f32_e32 v225, v129, v164
	s_waitcnt vmcnt(35) lgkmcnt(1)
	v_mul_f32_e32 v226, v131, v165
	s_waitcnt vmcnt(34)
	v_mul_f32_e32 v227, v133, v166
	s_waitcnt vmcnt(31)
	v_fma_f32 v79, v79, v169, -v139
	v_fmac_f32_e32 v78, v80, v169
	v_mul_f32_e32 v80, v84, v141
	s_waitcnt vmcnt(30)
	v_fma_f32 v81, v81, v170, -v140
	v_fmac_f32_e32 v201, v82, v170
	v_add_f32_e32 v79, 0, v79
	v_add_f32_e32 v78, 0, v78
	v_mul_f32_e32 v82, v86, v142
	s_waitcnt vmcnt(29)
	v_fma_f32 v80, v83, v171, -v80
	v_fmac_f32_e32 v202, v84, v171
	v_add_f32_e32 v79, v79, v81
	v_add_f32_e32 v78, v78, v201
	;; [unrolled: 6-line block ×26, first 2 shown]
	s_waitcnt lgkmcnt(0)
	v_mul_f32_e32 v81, v136, v167
	s_waitcnt vmcnt(4)
	v_fma_f32 v82, v133, v196, -v82
	v_mul_f32_e32 v228, v135, v167
	v_add_f32_e32 v79, v79, v80
	v_fmac_f32_e32 v227, v134, v196
	v_add_f32_e32 v78, v78, v226
	v_mul_f32_e32 v80, v138, v168
	s_waitcnt vmcnt(3)
	v_fma_f32 v81, v135, v197, -v81
	v_add_f32_e32 v79, v79, v82
	v_mul_f32_e32 v229, v137, v168
	v_fmac_f32_e32 v228, v136, v197
	v_add_f32_e32 v78, v78, v227
	s_waitcnt vmcnt(2)
	v_fma_f32 v80, v137, v198, -v80
	v_add_f32_e32 v79, v79, v81
	v_fmac_f32_e32 v229, v138, v198
	v_add_f32_e32 v78, v78, v228
	v_add_f32_e32 v79, v79, v80
	;; [unrolled: 1-line block ×3, first 2 shown]
	s_waitcnt vmcnt(1)
	v_sub_f32_e32 v79, v199, v79
	s_waitcnt vmcnt(0)
	v_sub_f32_e32 v78, v200, v78
	buffer_store_dword v79, off, s[0:3], 0 offset:56
	buffer_store_dword v78, off, s[0:3], 0 offset:60
	v_cmpx_lt_u32_e32 6, v0
	s_cbranch_execz .LBB101_229
; %bb.228:
	s_clause 0x1
	buffer_load_dword v78, off, s[0:3], 0 offset:48
	buffer_load_dword v79, off, s[0:3], 0 offset:52
	v_mov_b32_e32 v80, 0
	buffer_store_dword v80, off, s[0:3], 0 offset:48
	buffer_store_dword v80, off, s[0:3], 0 offset:52
	s_waitcnt vmcnt(0)
	ds_write_b64 v77, v[78:79]
.LBB101_229:
	s_or_b32 exec_lo, exec_lo, s4
	s_waitcnt lgkmcnt(0)
	s_waitcnt_vscnt null, 0x0
	s_barrier
	buffer_gl0_inv
	s_clause 0x3e
	buffer_load_dword v141, off, s[0:3], 0 offset:60
	buffer_load_dword v142, off, s[0:3], 0 offset:68
	;; [unrolled: 1-line block ×64, first 2 shown]
	v_mov_b32_e32 v78, 0
	ds_read2_b64 v[79:82], v78 offset0:45 offset1:46
	ds_read2_b64 v[83:86], v78 offset0:47 offset1:48
	;; [unrolled: 1-line block ×15, first 2 shown]
	ds_read_b64 v[139:140], v78 offset:600
	s_mov_b32 s4, exec_lo
	s_waitcnt vmcnt(62) lgkmcnt(15)
	v_mul_f32_e32 v205, v79, v141
	v_mul_f32_e32 v141, v80, v141
	;; [unrolled: 1-line block ×4, first 2 shown]
	s_waitcnt vmcnt(61) lgkmcnt(14)
	v_mul_f32_e32 v207, v83, v143
	s_waitcnt vmcnt(60)
	v_mul_f32_e32 v208, v85, v144
	s_waitcnt vmcnt(59) lgkmcnt(13)
	v_mul_f32_e32 v209, v87, v145
	s_waitcnt vmcnt(58)
	v_mul_f32_e32 v210, v89, v146
	s_waitcnt vmcnt(57) lgkmcnt(12)
	v_mul_f32_e32 v211, v91, v147
	s_waitcnt vmcnt(56)
	v_mul_f32_e32 v212, v93, v148
	s_waitcnt vmcnt(55) lgkmcnt(11)
	v_mul_f32_e32 v213, v95, v149
	s_waitcnt vmcnt(54)
	v_mul_f32_e32 v214, v97, v150
	s_waitcnt vmcnt(53) lgkmcnt(10)
	v_mul_f32_e32 v215, v99, v151
	s_waitcnt vmcnt(52)
	v_mul_f32_e32 v216, v101, v152
	s_waitcnt vmcnt(51) lgkmcnt(9)
	v_mul_f32_e32 v217, v103, v153
	s_waitcnt vmcnt(50)
	v_mul_f32_e32 v218, v105, v154
	s_waitcnt vmcnt(49) lgkmcnt(8)
	v_mul_f32_e32 v219, v107, v155
	s_waitcnt vmcnt(48)
	v_mul_f32_e32 v220, v109, v156
	s_waitcnt vmcnt(47) lgkmcnt(7)
	v_mul_f32_e32 v221, v111, v157
	s_waitcnt vmcnt(46)
	v_mul_f32_e32 v222, v113, v158
	s_waitcnt vmcnt(45) lgkmcnt(6)
	v_mul_f32_e32 v223, v115, v159
	s_waitcnt vmcnt(44)
	v_mul_f32_e32 v224, v117, v160
	s_waitcnt vmcnt(43) lgkmcnt(5)
	v_mul_f32_e32 v225, v119, v161
	s_waitcnt vmcnt(42)
	v_mul_f32_e32 v226, v121, v162
	s_waitcnt vmcnt(41) lgkmcnt(4)
	v_mul_f32_e32 v227, v123, v163
	s_waitcnt vmcnt(40)
	v_mul_f32_e32 v228, v125, v164
	s_waitcnt vmcnt(39) lgkmcnt(3)
	v_mul_f32_e32 v229, v127, v165
	s_waitcnt vmcnt(38)
	v_mul_f32_e32 v230, v129, v166
	s_waitcnt vmcnt(37) lgkmcnt(2)
	v_mul_f32_e32 v231, v131, v167
	s_waitcnt vmcnt(36)
	v_mul_f32_e32 v232, v133, v168
	s_waitcnt vmcnt(35) lgkmcnt(1)
	v_mul_f32_e32 v233, v135, v169
	s_waitcnt vmcnt(32)
	v_fma_f32 v79, v79, v172, -v141
	v_fmac_f32_e32 v205, v80, v172
	v_mul_f32_e32 v80, v84, v143
	s_waitcnt vmcnt(31)
	v_fma_f32 v81, v81, v173, -v142
	v_fmac_f32_e32 v206, v82, v173
	v_add_f32_e32 v79, 0, v79
	v_add_f32_e32 v82, 0, v205
	v_mul_f32_e32 v141, v86, v144
	s_waitcnt vmcnt(30)
	v_fma_f32 v80, v83, v174, -v80
	v_fmac_f32_e32 v207, v84, v174
	v_add_f32_e32 v79, v79, v81
	v_add_f32_e32 v81, v82, v206
	v_mul_f32_e32 v82, v88, v145
	s_waitcnt vmcnt(29)
	v_fma_f32 v83, v85, v175, -v141
	v_fmac_f32_e32 v208, v86, v175
	v_add_f32_e32 v79, v79, v80
	v_add_f32_e32 v80, v81, v207
	v_mul_f32_e32 v81, v90, v146
	s_waitcnt vmcnt(28)
	v_fma_f32 v82, v87, v176, -v82
	v_fmac_f32_e32 v209, v88, v176
	v_add_f32_e32 v79, v79, v83
	v_add_f32_e32 v80, v80, v208
	v_mul_f32_e32 v83, v92, v147
	s_waitcnt vmcnt(27)
	v_fma_f32 v81, v89, v177, -v81
	v_fmac_f32_e32 v210, v90, v177
	v_add_f32_e32 v79, v79, v82
	v_add_f32_e32 v80, v80, v209
	v_mul_f32_e32 v82, v94, v148
	s_waitcnt vmcnt(26)
	v_fma_f32 v83, v91, v178, -v83
	v_fmac_f32_e32 v211, v92, v178
	v_add_f32_e32 v79, v79, v81
	v_add_f32_e32 v80, v80, v210
	v_mul_f32_e32 v81, v96, v149
	s_waitcnt vmcnt(25)
	v_fma_f32 v82, v93, v179, -v82
	v_fmac_f32_e32 v212, v94, v179
	v_add_f32_e32 v79, v79, v83
	v_add_f32_e32 v80, v80, v211
	v_mul_f32_e32 v83, v98, v150
	s_waitcnt vmcnt(24)
	v_fma_f32 v81, v95, v180, -v81
	v_fmac_f32_e32 v213, v96, v180
	v_add_f32_e32 v79, v79, v82
	v_add_f32_e32 v80, v80, v212
	v_mul_f32_e32 v82, v100, v151
	s_waitcnt vmcnt(23)
	v_fma_f32 v83, v97, v181, -v83
	v_fmac_f32_e32 v214, v98, v181
	v_add_f32_e32 v79, v79, v81
	v_add_f32_e32 v80, v80, v213
	v_mul_f32_e32 v81, v102, v152
	s_waitcnt vmcnt(22)
	v_fma_f32 v82, v99, v182, -v82
	v_fmac_f32_e32 v215, v100, v182
	v_add_f32_e32 v79, v79, v83
	v_add_f32_e32 v80, v80, v214
	v_mul_f32_e32 v83, v104, v153
	s_waitcnt vmcnt(21)
	v_fma_f32 v81, v101, v183, -v81
	v_fmac_f32_e32 v216, v102, v183
	v_add_f32_e32 v79, v79, v82
	v_add_f32_e32 v80, v80, v215
	v_mul_f32_e32 v82, v106, v154
	s_waitcnt vmcnt(20)
	v_fma_f32 v83, v103, v184, -v83
	v_fmac_f32_e32 v217, v104, v184
	v_add_f32_e32 v79, v79, v81
	v_add_f32_e32 v80, v80, v216
	v_mul_f32_e32 v81, v108, v155
	s_waitcnt vmcnt(19)
	v_fma_f32 v82, v105, v185, -v82
	v_fmac_f32_e32 v218, v106, v185
	v_add_f32_e32 v79, v79, v83
	v_add_f32_e32 v80, v80, v217
	v_mul_f32_e32 v83, v110, v156
	s_waitcnt vmcnt(18)
	v_fma_f32 v81, v107, v186, -v81
	v_fmac_f32_e32 v219, v108, v186
	v_add_f32_e32 v79, v79, v82
	v_add_f32_e32 v80, v80, v218
	v_mul_f32_e32 v82, v112, v157
	s_waitcnt vmcnt(17)
	v_fma_f32 v83, v109, v187, -v83
	v_fmac_f32_e32 v220, v110, v187
	v_add_f32_e32 v79, v79, v81
	v_add_f32_e32 v80, v80, v219
	v_mul_f32_e32 v81, v114, v158
	s_waitcnt vmcnt(16)
	v_fma_f32 v82, v111, v188, -v82
	v_fmac_f32_e32 v221, v112, v188
	v_add_f32_e32 v79, v79, v83
	v_add_f32_e32 v80, v80, v220
	v_mul_f32_e32 v83, v116, v159
	s_waitcnt vmcnt(15)
	v_fma_f32 v81, v113, v189, -v81
	v_fmac_f32_e32 v222, v114, v189
	v_add_f32_e32 v79, v79, v82
	v_add_f32_e32 v80, v80, v221
	v_mul_f32_e32 v82, v118, v160
	s_waitcnt vmcnt(14)
	v_fma_f32 v83, v115, v190, -v83
	v_fmac_f32_e32 v223, v116, v190
	v_add_f32_e32 v79, v79, v81
	v_add_f32_e32 v80, v80, v222
	v_mul_f32_e32 v81, v120, v161
	s_waitcnt vmcnt(13)
	v_fma_f32 v82, v117, v191, -v82
	v_fmac_f32_e32 v224, v118, v191
	v_add_f32_e32 v79, v79, v83
	v_add_f32_e32 v80, v80, v223
	v_mul_f32_e32 v83, v122, v162
	s_waitcnt vmcnt(12)
	v_fma_f32 v81, v119, v192, -v81
	v_fmac_f32_e32 v225, v120, v192
	v_add_f32_e32 v79, v79, v82
	v_add_f32_e32 v80, v80, v224
	v_mul_f32_e32 v82, v124, v163
	s_waitcnt vmcnt(11)
	v_fma_f32 v83, v121, v193, -v83
	v_fmac_f32_e32 v226, v122, v193
	v_add_f32_e32 v79, v79, v81
	v_add_f32_e32 v80, v80, v225
	v_mul_f32_e32 v81, v126, v164
	s_waitcnt vmcnt(10)
	v_fma_f32 v82, v123, v194, -v82
	v_fmac_f32_e32 v227, v124, v194
	v_add_f32_e32 v79, v79, v83
	v_add_f32_e32 v80, v80, v226
	v_mul_f32_e32 v83, v128, v165
	s_waitcnt vmcnt(9)
	v_fma_f32 v81, v125, v195, -v81
	v_fmac_f32_e32 v228, v126, v195
	v_add_f32_e32 v79, v79, v82
	v_add_f32_e32 v80, v80, v227
	v_mul_f32_e32 v82, v130, v166
	s_waitcnt vmcnt(8)
	v_fma_f32 v83, v127, v196, -v83
	v_fmac_f32_e32 v229, v128, v196
	v_add_f32_e32 v79, v79, v81
	v_add_f32_e32 v80, v80, v228
	v_mul_f32_e32 v81, v132, v167
	s_waitcnt vmcnt(7)
	v_fma_f32 v82, v129, v197, -v82
	v_fmac_f32_e32 v230, v130, v197
	v_add_f32_e32 v79, v79, v83
	v_add_f32_e32 v80, v80, v229
	v_mul_f32_e32 v83, v134, v168
	s_waitcnt vmcnt(6)
	v_fma_f32 v81, v131, v198, -v81
	v_fmac_f32_e32 v231, v132, v198
	v_add_f32_e32 v79, v79, v82
	v_add_f32_e32 v80, v80, v230
	v_mul_f32_e32 v82, v136, v169
	s_waitcnt vmcnt(5)
	v_fma_f32 v83, v133, v199, -v83
	v_fmac_f32_e32 v232, v134, v199
	v_add_f32_e32 v79, v79, v81
	v_add_f32_e32 v80, v80, v231
	v_mul_f32_e32 v81, v138, v170
	s_waitcnt vmcnt(4)
	v_fma_f32 v82, v135, v200, -v82
	v_mul_f32_e32 v234, v137, v170
	v_add_f32_e32 v79, v79, v83
	v_fmac_f32_e32 v233, v136, v200
	v_add_f32_e32 v80, v80, v232
	s_waitcnt lgkmcnt(0)
	v_mul_f32_e32 v83, v140, v171
	s_waitcnt vmcnt(3)
	v_fma_f32 v81, v137, v201, -v81
	v_add_f32_e32 v79, v79, v82
	v_mul_f32_e32 v235, v139, v171
	v_fmac_f32_e32 v234, v138, v201
	v_add_f32_e32 v80, v80, v233
	s_waitcnt vmcnt(2)
	v_fma_f32 v82, v139, v202, -v83
	v_add_f32_e32 v79, v79, v81
	v_fmac_f32_e32 v235, v140, v202
	v_add_f32_e32 v80, v80, v234
	v_add_f32_e32 v79, v79, v82
	;; [unrolled: 1-line block ×3, first 2 shown]
	s_waitcnt vmcnt(1)
	v_sub_f32_e32 v79, v203, v79
	s_waitcnt vmcnt(0)
	v_sub_f32_e32 v80, v204, v80
	buffer_store_dword v79, off, s[0:3], 0 offset:48
	buffer_store_dword v80, off, s[0:3], 0 offset:52
	v_cmpx_lt_u32_e32 5, v0
	s_cbranch_execz .LBB101_231
; %bb.230:
	s_clause 0x1
	buffer_load_dword v79, off, s[0:3], 0 offset:40
	buffer_load_dword v80, off, s[0:3], 0 offset:44
	buffer_store_dword v78, off, s[0:3], 0 offset:40
	buffer_store_dword v78, off, s[0:3], 0 offset:44
	s_waitcnt vmcnt(0)
	ds_write_b64 v77, v[79:80]
.LBB101_231:
	s_or_b32 exec_lo, exec_lo, s4
	s_waitcnt lgkmcnt(0)
	s_waitcnt_vscnt null, 0x0
	s_barrier
	buffer_gl0_inv
	s_clause 0x3e
	buffer_load_dword v143, off, s[0:3], 0 offset:52
	buffer_load_dword v144, off, s[0:3], 0 offset:60
	;; [unrolled: 1-line block ×63, first 2 shown]
	s_clause 0x2
	buffer_load_dword v206, off, s[0:3], 0 offset:296
	buffer_load_dword v207, off, s[0:3], 0 offset:40
	;; [unrolled: 1-line block ×3, first 2 shown]
	ds_read_b128 v[79:82], v78 offset:352
	ds_read_b128 v[83:86], v78 offset:368
	;; [unrolled: 1-line block ×16, first 2 shown]
	s_mov_b32 s4, exec_lo
	s_waitcnt vmcnt(62) lgkmcnt(15)
	v_mul_f32_e32 v78, v79, v143
	v_mul_f32_e32 v143, v80, v143
	;; [unrolled: 1-line block ×4, first 2 shown]
	s_waitcnt lgkmcnt(14)
	v_mul_f32_e32 v210, v83, v145
	v_mul_f32_e32 v211, v85, v146
	s_waitcnt vmcnt(61) lgkmcnt(13)
	v_mul_f32_e32 v212, v87, v147
	s_waitcnt vmcnt(60)
	v_mul_f32_e32 v213, v89, v148
	s_waitcnt vmcnt(59) lgkmcnt(12)
	v_mul_f32_e32 v214, v91, v149
	s_waitcnt vmcnt(58)
	;; [unrolled: 4-line block ×13, first 2 shown]
	v_mul_f32_e32 v237, v137, v172
	s_waitcnt vmcnt(33)
	v_fma_f32 v79, v79, v175, -v143
	v_fmac_f32_e32 v78, v80, v175
	v_mul_f32_e32 v80, v84, v145
	s_waitcnt vmcnt(32)
	v_fma_f32 v81, v81, v176, -v144
	v_fmac_f32_e32 v209, v82, v176
	v_add_f32_e32 v79, 0, v79
	v_add_f32_e32 v78, 0, v78
	v_mul_f32_e32 v82, v86, v146
	s_waitcnt vmcnt(31)
	v_fma_f32 v80, v83, v177, -v80
	v_fmac_f32_e32 v210, v84, v177
	v_add_f32_e32 v79, v79, v81
	v_add_f32_e32 v78, v78, v209
	;; [unrolled: 6-line block ×28, first 2 shown]
	s_waitcnt lgkmcnt(0)
	v_mul_f32_e32 v82, v140, v173
	s_waitcnt vmcnt(4)
	v_fma_f32 v80, v137, v204, -v80
	v_mul_f32_e32 v238, v139, v173
	v_add_f32_e32 v79, v79, v81
	v_fmac_f32_e32 v237, v138, v204
	v_add_f32_e32 v78, v78, v236
	v_mul_f32_e32 v81, v142, v174
	s_waitcnt vmcnt(3)
	v_fma_f32 v82, v139, v205, -v82
	v_add_f32_e32 v79, v79, v80
	v_mul_f32_e32 v239, v141, v174
	v_fmac_f32_e32 v238, v140, v205
	v_add_f32_e32 v78, v78, v237
	s_waitcnt vmcnt(2)
	v_fma_f32 v80, v141, v206, -v81
	v_add_f32_e32 v79, v79, v82
	v_fmac_f32_e32 v239, v142, v206
	v_add_f32_e32 v78, v78, v238
	v_add_f32_e32 v79, v79, v80
	;; [unrolled: 1-line block ×3, first 2 shown]
	s_waitcnt vmcnt(1)
	v_sub_f32_e32 v79, v207, v79
	s_waitcnt vmcnt(0)
	v_sub_f32_e32 v78, v208, v78
	buffer_store_dword v79, off, s[0:3], 0 offset:40
	buffer_store_dword v78, off, s[0:3], 0 offset:44
	v_cmpx_lt_u32_e32 4, v0
	s_cbranch_execz .LBB101_233
; %bb.232:
	s_clause 0x1
	buffer_load_dword v78, off, s[0:3], 0 offset:32
	buffer_load_dword v79, off, s[0:3], 0 offset:36
	v_mov_b32_e32 v80, 0
	buffer_store_dword v80, off, s[0:3], 0 offset:32
	buffer_store_dword v80, off, s[0:3], 0 offset:36
	s_waitcnt vmcnt(0)
	ds_write_b64 v77, v[78:79]
.LBB101_233:
	s_or_b32 exec_lo, exec_lo, s4
	s_waitcnt lgkmcnt(0)
	s_waitcnt_vscnt null, 0x0
	s_barrier
	buffer_gl0_inv
	s_clause 0x3e
	buffer_load_dword v145, off, s[0:3], 0 offset:44
	buffer_load_dword v146, off, s[0:3], 0 offset:52
	;; [unrolled: 1-line block ×63, first 2 shown]
	s_clause 0x4
	buffer_load_dword v208, off, s[0:3], 0 offset:280
	buffer_load_dword v209, off, s[0:3], 0 offset:288
	;; [unrolled: 1-line block ×5, first 2 shown]
	v_mov_b32_e32 v78, 0
	ds_read2_b64 v[79:82], v78 offset0:43 offset1:44
	ds_read2_b64 v[83:86], v78 offset0:45 offset1:46
	;; [unrolled: 1-line block ×16, first 2 shown]
	ds_read_b64 v[143:144], v78 offset:600
	s_mov_b32 s4, exec_lo
	s_waitcnt vmcnt(62) lgkmcnt(16)
	v_mul_f32_e32 v213, v79, v145
	v_mul_f32_e32 v145, v80, v145
	;; [unrolled: 1-line block ×4, first 2 shown]
	s_waitcnt lgkmcnt(15)
	v_mul_f32_e32 v215, v83, v147
	v_mul_f32_e32 v216, v85, v148
	s_waitcnt lgkmcnt(14)
	v_mul_f32_e32 v217, v87, v149
	v_mul_f32_e32 v218, v89, v150
	s_waitcnt vmcnt(61) lgkmcnt(13)
	v_mul_f32_e32 v219, v91, v151
	s_waitcnt vmcnt(60)
	v_mul_f32_e32 v220, v93, v152
	s_waitcnt vmcnt(59) lgkmcnt(12)
	v_mul_f32_e32 v221, v95, v153
	s_waitcnt vmcnt(58)
	;; [unrolled: 4-line block ×13, first 2 shown]
	v_fma_f32 v79, v79, v178, -v145
	v_fmac_f32_e32 v213, v80, v178
	v_mul_f32_e32 v80, v84, v147
	s_waitcnt vmcnt(33)
	v_fma_f32 v81, v81, v179, -v146
	v_fmac_f32_e32 v214, v82, v179
	v_add_f32_e32 v79, 0, v79
	v_add_f32_e32 v82, 0, v213
	v_mul_f32_e32 v145, v86, v148
	s_waitcnt vmcnt(32)
	v_fma_f32 v80, v83, v180, -v80
	v_fmac_f32_e32 v215, v84, v180
	v_add_f32_e32 v79, v79, v81
	v_add_f32_e32 v81, v82, v214
	v_mul_f32_e32 v82, v88, v149
	s_waitcnt vmcnt(31)
	v_fma_f32 v83, v85, v181, -v145
	v_fmac_f32_e32 v216, v86, v181
	v_add_f32_e32 v79, v79, v80
	v_add_f32_e32 v80, v81, v215
	v_mul_f32_e32 v81, v90, v150
	s_waitcnt vmcnt(30)
	v_fma_f32 v82, v87, v182, -v82
	v_fmac_f32_e32 v217, v88, v182
	v_add_f32_e32 v79, v79, v83
	v_add_f32_e32 v80, v80, v216
	v_mul_f32_e32 v83, v92, v151
	s_waitcnt vmcnt(29)
	v_fma_f32 v81, v89, v183, -v81
	v_fmac_f32_e32 v218, v90, v183
	v_add_f32_e32 v79, v79, v82
	v_add_f32_e32 v80, v80, v217
	v_mul_f32_e32 v82, v94, v152
	s_waitcnt vmcnt(28)
	v_fma_f32 v83, v91, v184, -v83
	v_fmac_f32_e32 v219, v92, v184
	v_add_f32_e32 v79, v79, v81
	v_add_f32_e32 v80, v80, v218
	v_mul_f32_e32 v81, v96, v153
	s_waitcnt vmcnt(27)
	v_fma_f32 v82, v93, v185, -v82
	v_fmac_f32_e32 v220, v94, v185
	v_add_f32_e32 v79, v79, v83
	v_add_f32_e32 v80, v80, v219
	v_mul_f32_e32 v83, v98, v154
	s_waitcnt vmcnt(26)
	v_fma_f32 v81, v95, v186, -v81
	v_fmac_f32_e32 v221, v96, v186
	v_add_f32_e32 v79, v79, v82
	v_add_f32_e32 v80, v80, v220
	v_mul_f32_e32 v82, v100, v155
	s_waitcnt vmcnt(25)
	v_fma_f32 v83, v97, v187, -v83
	v_fmac_f32_e32 v222, v98, v187
	v_add_f32_e32 v79, v79, v81
	v_add_f32_e32 v80, v80, v221
	v_mul_f32_e32 v81, v102, v156
	s_waitcnt vmcnt(24)
	v_fma_f32 v82, v99, v188, -v82
	v_fmac_f32_e32 v223, v100, v188
	v_add_f32_e32 v79, v79, v83
	v_add_f32_e32 v80, v80, v222
	v_mul_f32_e32 v83, v104, v157
	s_waitcnt vmcnt(23)
	v_fma_f32 v81, v101, v189, -v81
	v_fmac_f32_e32 v224, v102, v189
	v_add_f32_e32 v79, v79, v82
	v_add_f32_e32 v80, v80, v223
	v_mul_f32_e32 v82, v106, v158
	s_waitcnt vmcnt(22)
	v_fma_f32 v83, v103, v190, -v83
	v_fmac_f32_e32 v225, v104, v190
	v_add_f32_e32 v79, v79, v81
	v_add_f32_e32 v80, v80, v224
	v_mul_f32_e32 v81, v108, v159
	s_waitcnt vmcnt(21)
	v_fma_f32 v82, v105, v191, -v82
	v_fmac_f32_e32 v226, v106, v191
	v_add_f32_e32 v79, v79, v83
	v_add_f32_e32 v80, v80, v225
	v_mul_f32_e32 v83, v110, v160
	s_waitcnt vmcnt(20)
	v_fma_f32 v81, v107, v192, -v81
	v_fmac_f32_e32 v227, v108, v192
	v_add_f32_e32 v79, v79, v82
	v_add_f32_e32 v80, v80, v226
	v_mul_f32_e32 v82, v112, v161
	s_waitcnt vmcnt(19)
	v_fma_f32 v83, v109, v193, -v83
	v_fmac_f32_e32 v228, v110, v193
	v_add_f32_e32 v79, v79, v81
	v_add_f32_e32 v80, v80, v227
	v_mul_f32_e32 v81, v114, v162
	s_waitcnt vmcnt(18)
	v_fma_f32 v82, v111, v194, -v82
	v_fmac_f32_e32 v229, v112, v194
	v_add_f32_e32 v79, v79, v83
	v_add_f32_e32 v80, v80, v228
	v_mul_f32_e32 v83, v116, v163
	s_waitcnt vmcnt(17)
	v_fma_f32 v81, v113, v195, -v81
	v_fmac_f32_e32 v230, v114, v195
	v_add_f32_e32 v79, v79, v82
	v_add_f32_e32 v80, v80, v229
	v_mul_f32_e32 v82, v118, v164
	s_waitcnt vmcnt(16)
	v_fma_f32 v83, v115, v196, -v83
	v_fmac_f32_e32 v231, v116, v196
	v_add_f32_e32 v79, v79, v81
	v_add_f32_e32 v80, v80, v230
	v_mul_f32_e32 v81, v120, v165
	s_waitcnt vmcnt(15)
	v_fma_f32 v82, v117, v197, -v82
	v_fmac_f32_e32 v232, v118, v197
	v_add_f32_e32 v79, v79, v83
	v_add_f32_e32 v80, v80, v231
	v_mul_f32_e32 v83, v122, v166
	s_waitcnt vmcnt(14)
	v_fma_f32 v81, v119, v198, -v81
	v_fmac_f32_e32 v233, v120, v198
	v_add_f32_e32 v79, v79, v82
	v_add_f32_e32 v80, v80, v232
	v_mul_f32_e32 v82, v124, v167
	s_waitcnt vmcnt(13)
	v_fma_f32 v83, v121, v199, -v83
	v_fmac_f32_e32 v234, v122, v199
	v_add_f32_e32 v79, v79, v81
	v_add_f32_e32 v80, v80, v233
	v_mul_f32_e32 v81, v126, v168
	s_waitcnt vmcnt(12)
	v_fma_f32 v82, v123, v200, -v82
	v_fmac_f32_e32 v235, v124, v200
	v_add_f32_e32 v79, v79, v83
	v_add_f32_e32 v80, v80, v234
	v_mul_f32_e32 v83, v128, v169
	s_waitcnt vmcnt(11)
	v_fma_f32 v81, v125, v201, -v81
	v_fmac_f32_e32 v236, v126, v201
	v_add_f32_e32 v79, v79, v82
	v_add_f32_e32 v80, v80, v235
	v_mul_f32_e32 v82, v130, v170
	s_waitcnt vmcnt(10)
	v_fma_f32 v83, v127, v202, -v83
	v_fmac_f32_e32 v237, v128, v202
	v_add_f32_e32 v79, v79, v81
	v_add_f32_e32 v80, v80, v236
	v_mul_f32_e32 v81, v132, v171
	s_waitcnt vmcnt(9)
	v_fma_f32 v82, v129, v203, -v82
	v_fmac_f32_e32 v238, v130, v203
	v_add_f32_e32 v79, v79, v83
	v_add_f32_e32 v80, v80, v237
	v_mul_f32_e32 v83, v134, v172
	s_waitcnt vmcnt(8)
	v_fma_f32 v81, v131, v204, -v81
	v_fmac_f32_e32 v239, v132, v204
	v_add_f32_e32 v79, v79, v82
	v_add_f32_e32 v80, v80, v238
	v_mul_f32_e32 v82, v136, v173
	s_waitcnt vmcnt(7)
	v_fma_f32 v83, v133, v205, -v83
	v_fmac_f32_e32 v240, v134, v205
	v_add_f32_e32 v79, v79, v81
	v_add_f32_e32 v80, v80, v239
	v_mul_f32_e32 v81, v138, v174
	s_waitcnt vmcnt(6)
	v_fma_f32 v82, v135, v206, -v82
	v_fmac_f32_e32 v241, v136, v206
	v_add_f32_e32 v79, v79, v83
	v_add_f32_e32 v80, v80, v240
	v_mul_f32_e32 v83, v140, v175
	s_waitcnt vmcnt(5)
	v_fma_f32 v81, v137, v207, -v81
	v_fmac_f32_e32 v242, v138, v207
	v_add_f32_e32 v79, v79, v82
	v_add_f32_e32 v80, v80, v241
	v_mul_f32_e32 v82, v142, v176
	s_waitcnt vmcnt(4)
	v_fma_f32 v83, v139, v208, -v83
	v_mul_f32_e32 v244, v141, v176
	v_add_f32_e32 v79, v79, v81
	v_fmac_f32_e32 v243, v140, v208
	v_add_f32_e32 v80, v80, v242
	s_waitcnt lgkmcnt(0)
	v_mul_f32_e32 v81, v144, v177
	s_waitcnt vmcnt(3)
	v_fma_f32 v82, v141, v209, -v82
	v_add_f32_e32 v79, v79, v83
	v_mul_f32_e32 v245, v143, v177
	v_fmac_f32_e32 v244, v142, v209
	v_add_f32_e32 v80, v80, v243
	s_waitcnt vmcnt(2)
	v_fma_f32 v81, v143, v210, -v81
	v_add_f32_e32 v79, v79, v82
	v_fmac_f32_e32 v245, v144, v210
	v_add_f32_e32 v80, v80, v244
	v_add_f32_e32 v79, v79, v81
	;; [unrolled: 1-line block ×3, first 2 shown]
	s_waitcnt vmcnt(1)
	v_sub_f32_e32 v79, v211, v79
	s_waitcnt vmcnt(0)
	v_sub_f32_e32 v80, v212, v80
	buffer_store_dword v79, off, s[0:3], 0 offset:32
	buffer_store_dword v80, off, s[0:3], 0 offset:36
	v_cmpx_lt_u32_e32 3, v0
	s_cbranch_execz .LBB101_235
; %bb.234:
	s_clause 0x1
	buffer_load_dword v79, off, s[0:3], 0 offset:24
	buffer_load_dword v80, off, s[0:3], 0 offset:28
	buffer_store_dword v78, off, s[0:3], 0 offset:24
	buffer_store_dword v78, off, s[0:3], 0 offset:28
	s_waitcnt vmcnt(0)
	ds_write_b64 v77, v[79:80]
.LBB101_235:
	s_or_b32 exec_lo, exec_lo, s4
	s_waitcnt lgkmcnt(0)
	s_waitcnt_vscnt null, 0x0
	s_barrier
	buffer_gl0_inv
	s_clause 0x3e
	buffer_load_dword v147, off, s[0:3], 0 offset:36
	buffer_load_dword v148, off, s[0:3], 0 offset:44
	;; [unrolled: 1-line block ×63, first 2 shown]
	s_clause 0x6
	buffer_load_dword v210, off, s[0:3], 0 offset:264
	buffer_load_dword v211, off, s[0:3], 0 offset:272
	;; [unrolled: 1-line block ×7, first 2 shown]
	ds_read_b128 v[79:82], v78 offset:336
	ds_read_b128 v[83:86], v78 offset:352
	;; [unrolled: 1-line block ×17, first 2 shown]
	s_mov_b32 s4, exec_lo
	s_waitcnt vmcnt(62) lgkmcnt(16)
	v_mul_f32_e32 v78, v79, v147
	v_mul_f32_e32 v147, v80, v147
	;; [unrolled: 1-line block ×4, first 2 shown]
	s_waitcnt lgkmcnt(15)
	v_mul_f32_e32 v218, v83, v149
	v_mul_f32_e32 v219, v85, v150
	s_waitcnt lgkmcnt(14)
	v_mul_f32_e32 v220, v87, v151
	v_mul_f32_e32 v221, v89, v152
	;; [unrolled: 3-line block ×3, first 2 shown]
	s_waitcnt vmcnt(61) lgkmcnt(12)
	v_mul_f32_e32 v224, v95, v155
	s_waitcnt vmcnt(60)
	v_mul_f32_e32 v225, v97, v156
	s_waitcnt vmcnt(59) lgkmcnt(11)
	v_mul_f32_e32 v226, v99, v157
	s_waitcnt vmcnt(58)
	v_mul_f32_e32 v227, v101, v158
	;; [unrolled: 4-line block ×12, first 2 shown]
	s_waitcnt vmcnt(35)
	v_fma_f32 v79, v79, v181, -v147
	v_fmac_f32_e32 v78, v80, v181
	v_mul_f32_e32 v80, v84, v149
	s_waitcnt vmcnt(34)
	v_fma_f32 v81, v81, v182, -v148
	v_fmac_f32_e32 v217, v82, v182
	v_add_f32_e32 v79, 0, v79
	v_add_f32_e32 v78, 0, v78
	v_mul_f32_e32 v82, v86, v150
	s_waitcnt vmcnt(33)
	v_fma_f32 v80, v83, v183, -v80
	v_fmac_f32_e32 v218, v84, v183
	v_add_f32_e32 v79, v79, v81
	v_add_f32_e32 v78, v78, v217
	;; [unrolled: 6-line block ×30, first 2 shown]
	s_waitcnt lgkmcnt(0)
	v_mul_f32_e32 v80, v144, v179
	s_waitcnt vmcnt(4)
	v_fma_f32 v81, v141, v212, -v81
	v_mul_f32_e32 v248, v143, v179
	v_add_f32_e32 v79, v79, v82
	v_fmac_f32_e32 v247, v142, v212
	v_add_f32_e32 v78, v78, v246
	v_mul_f32_e32 v82, v146, v180
	s_waitcnt vmcnt(3)
	v_fma_f32 v80, v143, v213, -v80
	v_add_f32_e32 v79, v79, v81
	v_mul_f32_e32 v249, v145, v180
	v_fmac_f32_e32 v248, v144, v213
	v_add_f32_e32 v78, v78, v247
	s_waitcnt vmcnt(2)
	v_fma_f32 v81, v145, v214, -v82
	v_add_f32_e32 v79, v79, v80
	v_fmac_f32_e32 v249, v146, v214
	v_add_f32_e32 v78, v78, v248
	v_add_f32_e32 v79, v79, v81
	;; [unrolled: 1-line block ×3, first 2 shown]
	s_waitcnt vmcnt(1)
	v_sub_f32_e32 v79, v215, v79
	s_waitcnt vmcnt(0)
	v_sub_f32_e32 v78, v216, v78
	buffer_store_dword v79, off, s[0:3], 0 offset:24
	buffer_store_dword v78, off, s[0:3], 0 offset:28
	v_cmpx_lt_u32_e32 2, v0
	s_cbranch_execz .LBB101_237
; %bb.236:
	s_clause 0x1
	buffer_load_dword v78, off, s[0:3], 0 offset:16
	buffer_load_dword v79, off, s[0:3], 0 offset:20
	v_mov_b32_e32 v80, 0
	buffer_store_dword v80, off, s[0:3], 0 offset:16
	buffer_store_dword v80, off, s[0:3], 0 offset:20
	s_waitcnt vmcnt(0)
	ds_write_b64 v77, v[78:79]
.LBB101_237:
	s_or_b32 exec_lo, exec_lo, s4
	s_waitcnt lgkmcnt(0)
	s_waitcnt_vscnt null, 0x0
	s_barrier
	buffer_gl0_inv
	s_clause 0x2a
	buffer_load_dword v84, off, s[0:3], 0 offset:28
	buffer_load_dword v85, off, s[0:3], 0 offset:36
	;; [unrolled: 1-line block ×43, first 2 shown]
	v_mov_b32_e32 v78, 0
	ds_read2_b64 v[118:121], v78 offset0:41 offset1:42
	ds_read2_b64 v[122:125], v78 offset0:43 offset1:44
	;; [unrolled: 1-line block ×3, first 2 shown]
	buffer_load_dword v136, off, s[0:3], 0 offset:20
	s_mov_b32 s4, exec_lo
	s_waitcnt vmcnt(43) lgkmcnt(2)
	v_mul_f32_e32 v134, v118, v84
	s_waitcnt vmcnt(42)
	v_mul_f32_e32 v135, v120, v85
	v_mul_f32_e32 v84, v119, v84
	;; [unrolled: 1-line block ×3, first 2 shown]
	s_waitcnt vmcnt(39)
	v_fmac_f32_e32 v134, v119, v83
	v_fmac_f32_e32 v135, v121, v82
	v_fma_f32 v137, v118, v83, -v84
	v_fma_f32 v138, v120, v82, -v85
	ds_read2_b64 v[82:85], v78 offset0:47 offset1:48
	ds_read2_b64 v[118:121], v78 offset0:49 offset1:50
	s_waitcnt vmcnt(38) lgkmcnt(3)
	v_mul_f32_e32 v139, v122, v80
	v_mul_f32_e32 v80, v123, v80
	s_waitcnt vmcnt(37)
	v_mul_f32_e32 v140, v124, v81
	v_mul_f32_e32 v81, v125, v81
	s_waitcnt vmcnt(32) lgkmcnt(2)
	v_mul_f32_e32 v142, v126, v93
	v_fmac_f32_e32 v139, v123, v79
	v_fma_f32 v141, v122, v79, -v80
	v_mul_f32_e32 v79, v127, v93
	s_waitcnt vmcnt(31)
	v_mul_f32_e32 v80, v129, v92
	v_fmac_f32_e32 v140, v125, v94
	v_fma_f32 v94, v124, v94, -v81
	ds_read2_b64 v[122:125], v78 offset0:51 offset1:52
	v_mul_f32_e32 v93, v128, v92
	v_fmac_f32_e32 v142, v127, v89
	v_fma_f32 v92, v126, v89, -v79
	v_fma_f32 v127, v128, v87, -v80
	v_fmac_f32_e32 v93, v129, v87
	s_waitcnt vmcnt(30) lgkmcnt(2)
	v_mul_f32_e32 v126, v82, v90
	v_mul_f32_e32 v79, v83, v90
	s_waitcnt vmcnt(29)
	v_mul_f32_e32 v128, v84, v88
	v_mul_f32_e32 v80, v85, v88
	s_waitcnt vmcnt(23) lgkmcnt(1)
	v_mul_f32_e32 v144, v120, v100
	v_fmac_f32_e32 v126, v83, v86
	v_fma_f32 v129, v82, v86, -v79
	v_fmac_f32_e32 v128, v85, v101
	v_fma_f32 v101, v84, v101, -v80
	v_mul_f32_e32 v83, v119, v91
	v_mul_f32_e32 v84, v121, v100
	ds_read2_b64 v[79:82], v78 offset0:53 offset1:54
	v_mul_f32_e32 v143, v118, v91
	v_fmac_f32_e32 v144, v121, v96
	v_fma_f32 v91, v118, v99, -v83
	v_fma_f32 v96, v120, v96, -v84
	ds_read2_b64 v[83:86], v78 offset0:55 offset1:56
	v_fmac_f32_e32 v143, v119, v99
	s_waitcnt vmcnt(22) lgkmcnt(2)
	v_mul_f32_e32 v99, v122, v98
	v_mul_f32_e32 v87, v123, v98
	s_waitcnt vmcnt(21)
	v_mul_f32_e32 v98, v124, v97
	v_mul_f32_e32 v88, v125, v97
	buffer_load_dword v97, off, s[0:3], 0 offset:188
	v_fmac_f32_e32 v99, v123, v95
	v_fma_f32 v95, v122, v95, -v87
	s_waitcnt vmcnt(18)
	v_fmac_f32_e32 v98, v125, v109
	v_fma_f32 v100, v124, v109, -v88
	s_waitcnt vmcnt(17) lgkmcnt(1)
	v_mul_f32_e32 v109, v79, v107
	s_waitcnt vmcnt(16)
	v_mul_f32_e32 v118, v81, v108
	v_mul_f32_e32 v87, v80, v107
	;; [unrolled: 1-line block ×3, first 2 shown]
	v_fmac_f32_e32 v109, v80, v104
	v_fmac_f32_e32 v118, v82, v103
	v_fma_f32 v104, v79, v104, -v87
	v_fma_f32 v103, v81, v103, -v88
	ds_read2_b64 v[79:82], v78 offset0:57 offset1:58
	s_waitcnt vmcnt(15) lgkmcnt(1)
	v_mul_f32_e32 v107, v83, v106
	v_mul_f32_e32 v89, v84, v106
	s_waitcnt vmcnt(14)
	v_mul_f32_e32 v106, v85, v105
	v_mul_f32_e32 v105, v86, v105
	v_fmac_f32_e32 v107, v84, v102
	v_fma_f32 v102, v83, v102, -v89
	ds_read2_b64 v[87:90], v78 offset0:59 offset1:60
	s_waitcnt vmcnt(10)
	v_fmac_f32_e32 v106, v86, v117
	v_fma_f32 v105, v85, v117, -v105
	s_clause 0x1
	buffer_load_dword v108, off, s[0:3], 0 offset:196
	buffer_load_dword v117, off, s[0:3], 0 offset:204
	s_waitcnt vmcnt(11) lgkmcnt(1)
	v_mul_f32_e32 v119, v79, v116
	v_mul_f32_e32 v83, v80, v116
	buffer_load_dword v116, off, s[0:3], 0 offset:212
	s_waitcnt vmcnt(11)
	v_mul_f32_e32 v120, v81, v115
	v_mul_f32_e32 v84, v82, v115
	v_fmac_f32_e32 v119, v80, v113
	v_fma_f32 v113, v79, v113, -v83
	s_waitcnt vmcnt(10) lgkmcnt(0)
	v_mul_f32_e32 v115, v87, v114
	v_mul_f32_e32 v79, v88, v114
	s_clause 0x3
	buffer_load_dword v114, off, s[0:3], 0 offset:232
	buffer_load_dword v121, off, s[0:3], 0 offset:224
	;; [unrolled: 1-line block ×4, first 2 shown]
	s_waitcnt vmcnt(13)
	v_mul_f32_e32 v124, v89, v112
	v_mul_f32_e32 v80, v90, v112
	v_fmac_f32_e32 v115, v88, v110
	v_fma_f32 v110, v87, v110, -v79
	buffer_load_dword v112, off, s[0:3], 0 offset:220
	v_add_f32_e32 v79, 0, v134
	s_waitcnt vmcnt(10)
	v_fmac_f32_e32 v124, v90, v133
	v_fma_f32 v125, v89, v133, -v80
	s_clause 0x1
	buffer_load_dword v133, off, s[0:3], 0 offset:228
	buffer_load_dword v134, off, s[0:3], 0 offset:236
	v_add_f32_e32 v79, v79, v135
	v_add_f32_e32 v80, 0, v137
	s_clause 0x3
	buffer_load_dword v135, off, s[0:3], 0 offset:244
	buffer_load_dword v137, off, s[0:3], 0 offset:252
	;; [unrolled: 1-line block ×4, first 2 shown]
	v_fmac_f32_e32 v120, v82, v111
	v_fma_f32 v111, v81, v111, -v84
	v_add_f32_e32 v79, v79, v139
	v_add_f32_e32 v80, v80, v138
	s_clause 0x1
	buffer_load_dword v138, off, s[0:3], 0 offset:276
	buffer_load_dword v139, off, s[0:3], 0 offset:284
	v_add_f32_e32 v79, v79, v140
	v_add_f32_e32 v80, v80, v141
	s_clause 0x1
	buffer_load_dword v140, off, s[0:3], 0 offset:292
	buffer_load_dword v141, off, s[0:3], 0 offset:300
	v_add_f32_e32 v79, v79, v142
	s_clause 0x3
	buffer_load_dword v142, off, s[0:3], 0 offset:264
	buffer_load_dword v147, off, s[0:3], 0 offset:256
	;; [unrolled: 1-line block ×4, first 2 shown]
	v_add_f32_e32 v80, v80, v94
	v_add_f32_e32 v79, v79, v93
	v_add_f32_e32 v80, v80, v92
	v_add_f32_e32 v79, v79, v126
	v_add_f32_e32 v80, v80, v127
	v_add_f32_e32 v79, v79, v128
	v_add_f32_e32 v80, v80, v129
	s_clause 0x3
	buffer_load_dword v126, off, s[0:3], 0 offset:296
	buffer_load_dword v127, off, s[0:3], 0 offset:288
	;; [unrolled: 1-line block ×4, first 2 shown]
	v_add_f32_e32 v79, v79, v143
	v_add_f32_e32 v80, v80, v101
	buffer_load_dword v101, off, s[0:3], 0 offset:16
	v_add_f32_e32 v83, v79, v144
	v_add_f32_e32 v80, v80, v91
	;; [unrolled: 1-line block ×4, first 2 shown]
	ds_read2_b64 v[79:82], v78 offset0:61 offset1:62
	v_add_f32_e32 v87, v83, v98
	v_add_f32_e32 v84, v84, v95
	;; [unrolled: 1-line block ×6, first 2 shown]
	ds_read2_b64 v[83:86], v78 offset0:63 offset1:64
	v_add_f32_e32 v91, v87, v107
	v_add_f32_e32 v88, v88, v103
	;; [unrolled: 1-line block ×4, first 2 shown]
	s_waitcnt vmcnt(27) lgkmcnt(1)
	v_mul_f32_e32 v104, v79, v97
	v_mul_f32_e32 v89, v80, v97
	v_fmac_f32_e32 v104, v80, v132
	v_add_f32_e32 v80, v88, v102
	v_fma_f32 v102, v79, v132, -v89
	v_add_f32_e32 v95, v80, v105
	v_add_f32_e32 v95, v95, v113
	;; [unrolled: 1-line block ×3, first 2 shown]
	s_waitcnt vmcnt(26)
	v_mul_f32_e32 v103, v81, v108
	s_waitcnt vmcnt(25) lgkmcnt(0)
	v_mul_f32_e32 v97, v84, v117
	v_mul_f32_e32 v105, v83, v117
	;; [unrolled: 1-line block ×3, first 2 shown]
	v_fmac_f32_e32 v103, v82, v131
	v_fma_f32 v108, v83, v130, -v97
	v_add_f32_e32 v83, v96, v120
	v_fmac_f32_e32 v105, v84, v130
	v_add_f32_e32 v84, v95, v110
	v_fma_f32 v107, v81, v131, -v90
	ds_read2_b64 v[79:82], v78 offset0:65 offset1:66
	ds_read2_b64 v[87:90], v78 offset0:67 offset1:68
	v_add_f32_e32 v110, v83, v115
	s_waitcnt vmcnt(24)
	v_mul_f32_e32 v99, v86, v116
	v_add_f32_e32 v111, v84, v125
	v_mul_f32_e32 v106, v85, v116
	ds_read2_b64 v[91:94], v78 offset0:69 offset1:70
	ds_read2_b64 v[95:98], v78 offset0:71 offset1:72
	v_add_f32_e32 v110, v110, v124
	v_add_f32_e32 v102, v111, v102
	s_waitcnt vmcnt(20)
	v_fma_f32 v109, v85, v123, -v99
	v_fmac_f32_e32 v106, v86, v123
	ds_read2_b64 v[83:86], v78 offset0:73 offset1:74
	ds_read_b64 v[99:100], v78 offset:600
	v_add_f32_e32 v104, v110, v104
	v_add_f32_e32 v102, v102, v107
	;; [unrolled: 1-line block ×4, first 2 shown]
	s_waitcnt vmcnt(19) lgkmcnt(5)
	v_mul_f32_e32 v111, v80, v112
	v_mul_f32_e32 v113, v79, v112
	s_waitcnt vmcnt(18)
	v_mul_f32_e32 v112, v82, v133
	v_add_f32_e32 v103, v103, v105
	v_add_f32_e32 v102, v102, v109
	v_fma_f32 v79, v79, v122, -v111
	v_mul_f32_e32 v115, v81, v133
	v_fmac_f32_e32 v113, v80, v122
	v_add_f32_e32 v103, v103, v106
	s_waitcnt vmcnt(17) lgkmcnt(4)
	v_mul_f32_e32 v111, v88, v134
	v_fma_f32 v81, v81, v121, -v112
	v_add_f32_e32 v79, v102, v79
	v_mul_f32_e32 v110, v87, v134
	v_fmac_f32_e32 v115, v82, v121
	v_add_f32_e32 v82, v103, v113
	s_waitcnt vmcnt(16)
	v_mul_f32_e32 v102, v90, v135
	v_fma_f32 v87, v87, v114, -v111
	v_add_f32_e32 v79, v79, v81
	v_mul_f32_e32 v107, v89, v135
	v_fmac_f32_e32 v110, v88, v114
	v_add_f32_e32 v81, v82, v115
	s_waitcnt vmcnt(15) lgkmcnt(3)
	v_mul_f32_e32 v82, v92, v137
	s_waitcnt vmcnt(5)
	v_fma_f32 v88, v89, v149, -v102
	v_add_f32_e32 v79, v79, v87
	v_mul_f32_e32 v116, v91, v137
	v_fmac_f32_e32 v107, v90, v149
	v_add_f32_e32 v81, v81, v110
	v_mul_f32_e32 v87, v94, v145
	v_fma_f32 v82, v91, v148, -v82
	v_add_f32_e32 v79, v79, v88
	v_mul_f32_e32 v104, v93, v145
	v_fmac_f32_e32 v116, v92, v148
	v_add_f32_e32 v81, v81, v107
	s_waitcnt lgkmcnt(2)
	v_mul_f32_e32 v88, v96, v146
	v_fma_f32 v87, v93, v147, -v87
	v_add_f32_e32 v79, v79, v82
	v_mul_f32_e32 v108, v95, v146
	v_fmac_f32_e32 v104, v94, v147
	v_add_f32_e32 v81, v81, v116
	v_mul_f32_e32 v82, v98, v138
	v_fma_f32 v88, v95, v142, -v88
	v_add_f32_e32 v79, v79, v87
	v_mul_f32_e32 v80, v97, v138
	v_fmac_f32_e32 v108, v96, v142
	v_add_f32_e32 v81, v81, v104
	s_waitcnt lgkmcnt(1)
	v_mul_f32_e32 v87, v84, v139
	s_waitcnt vmcnt(1)
	v_fma_f32 v82, v97, v129, -v82
	v_add_f32_e32 v79, v79, v88
	v_mul_f32_e32 v105, v83, v139
	v_fmac_f32_e32 v80, v98, v129
	v_add_f32_e32 v81, v81, v108
	v_mul_f32_e32 v88, v86, v140
	v_fma_f32 v83, v83, v128, -v87
	v_add_f32_e32 v79, v79, v82
	v_mul_f32_e32 v109, v85, v140
	v_fmac_f32_e32 v105, v84, v128
	v_add_f32_e32 v80, v81, v80
	s_waitcnt lgkmcnt(0)
	v_mul_f32_e32 v81, v100, v141
	v_fma_f32 v82, v85, v127, -v88
	v_add_f32_e32 v79, v79, v83
	v_mul_f32_e32 v106, v99, v141
	v_fmac_f32_e32 v109, v86, v127
	v_add_f32_e32 v80, v80, v105
	v_fma_f32 v81, v99, v126, -v81
	v_add_f32_e32 v79, v79, v82
	v_fmac_f32_e32 v106, v100, v126
	v_add_f32_e32 v80, v80, v109
	v_add_f32_e32 v79, v79, v81
	;; [unrolled: 1-line block ×3, first 2 shown]
	s_waitcnt vmcnt(0)
	v_sub_f32_e32 v79, v101, v79
	v_sub_f32_e32 v80, v136, v80
	buffer_store_dword v79, off, s[0:3], 0 offset:16
	buffer_store_dword v80, off, s[0:3], 0 offset:20
	v_cmpx_lt_u32_e32 1, v0
	s_cbranch_execz .LBB101_239
; %bb.238:
	s_clause 0x1
	buffer_load_dword v79, off, s[0:3], 0 offset:8
	buffer_load_dword v80, off, s[0:3], 0 offset:12
	buffer_store_dword v78, off, s[0:3], 0 offset:8
	buffer_store_dword v78, off, s[0:3], 0 offset:12
	s_waitcnt vmcnt(0)
	ds_write_b64 v77, v[79:80]
.LBB101_239:
	s_or_b32 exec_lo, exec_lo, s4
	s_waitcnt lgkmcnt(0)
	s_waitcnt_vscnt null, 0x0
	s_barrier
	buffer_gl0_inv
	s_clause 0x2a
	buffer_load_dword v85, off, s[0:3], 0 offset:20
	buffer_load_dword v86, off, s[0:3], 0 offset:28
	;; [unrolled: 1-line block ×43, first 2 shown]
	ds_read_b128 v[118:121], v78 offset:320
	ds_read_b128 v[122:125], v78 offset:336
	;; [unrolled: 1-line block ×3, first 2 shown]
	buffer_load_dword v136, off, s[0:3], 0 offset:12
	s_mov_b32 s4, exec_lo
	s_waitcnt vmcnt(43) lgkmcnt(2)
	v_mul_f32_e32 v134, v118, v85
	s_waitcnt vmcnt(42)
	v_mul_f32_e32 v135, v120, v86
	v_mul_f32_e32 v85, v119, v85
	;; [unrolled: 1-line block ×3, first 2 shown]
	s_waitcnt vmcnt(39)
	v_fmac_f32_e32 v134, v119, v83
	v_fmac_f32_e32 v135, v121, v82
	v_fma_f32 v137, v118, v83, -v85
	v_fma_f32 v138, v120, v82, -v86
	ds_read_b128 v[118:121], v78 offset:368
	s_waitcnt vmcnt(38) lgkmcnt(2)
	v_mul_f32_e32 v139, v122, v80
	s_waitcnt vmcnt(37)
	v_mul_f32_e32 v140, v124, v81
	v_mul_f32_e32 v80, v123, v80
	;; [unrolled: 1-line block ×3, first 2 shown]
	s_waitcnt vmcnt(32) lgkmcnt(1)
	v_mul_f32_e32 v83, v127, v91
	v_fmac_f32_e32 v139, v123, v79
	v_fmac_f32_e32 v140, v125, v93
	v_fma_f32 v122, v122, v79, -v80
	v_fma_f32 v123, v124, v93, -v81
	ds_read_b128 v[79:82], v78 offset:384
	v_mul_f32_e32 v124, v126, v91
	s_waitcnt vmcnt(31)
	v_mul_f32_e32 v125, v128, v92
	v_mul_f32_e32 v85, v129, v92
	v_fma_f32 v126, v126, v90, -v83
	v_fmac_f32_e32 v124, v127, v90
	v_fmac_f32_e32 v125, v129, v87
	v_fma_f32 v127, v128, v87, -v85
	ds_read_b128 v[90:93], v78 offset:400
	s_waitcnt vmcnt(30) lgkmcnt(2)
	v_mul_f32_e32 v128, v118, v88
	s_waitcnt vmcnt(29)
	v_mul_f32_e32 v129, v120, v89
	v_mul_f32_e32 v83, v119, v88
	;; [unrolled: 1-line block ×3, first 2 shown]
	v_fmac_f32_e32 v128, v119, v84
	s_waitcnt vmcnt(25)
	v_fmac_f32_e32 v129, v121, v101
	v_fma_f32 v118, v118, v84, -v83
	v_fma_f32 v101, v120, v101, -v85
	ds_read_b128 v[83:86], v78 offset:416
	s_waitcnt vmcnt(24) lgkmcnt(2)
	v_mul_f32_e32 v119, v79, v99
	s_waitcnt vmcnt(23)
	v_mul_f32_e32 v120, v81, v100
	v_mul_f32_e32 v87, v80, v99
	;; [unrolled: 1-line block ×3, first 2 shown]
	v_fmac_f32_e32 v119, v80, v98
	v_fmac_f32_e32 v120, v82, v95
	v_fma_f32 v98, v79, v98, -v87
	v_fma_f32 v95, v81, v95, -v88
	ds_read_b128 v[79:82], v78 offset:432
	s_waitcnt vmcnt(22) lgkmcnt(2)
	v_mul_f32_e32 v99, v90, v96
	v_mul_f32_e32 v87, v91, v96
	s_waitcnt vmcnt(21)
	v_mul_f32_e32 v100, v92, v97
	v_mul_f32_e32 v88, v93, v97
	v_fmac_f32_e32 v99, v91, v94
	v_fma_f32 v91, v90, v94, -v87
	s_waitcnt vmcnt(17)
	v_fmac_f32_e32 v100, v93, v109
	v_fma_f32 v92, v92, v109, -v88
	s_waitcnt vmcnt(15) lgkmcnt(1)
	v_mul_f32_e32 v94, v85, v108
	v_mul_f32_e32 v96, v84, v107
	;; [unrolled: 1-line block ×3, first 2 shown]
	ds_read_b128 v[87:90], v78 offset:448
	v_mul_f32_e32 v93, v83, v107
	v_fmac_f32_e32 v94, v86, v103
	v_fma_f32 v83, v83, v106, -v96
	v_fma_f32 v96, v85, v103, -v97
	s_clause 0x1
	buffer_load_dword v97, off, s[0:3], 0 offset:180
	buffer_load_dword v103, off, s[0:3], 0 offset:188
	v_fmac_f32_e32 v93, v84, v106
	s_waitcnt vmcnt(16) lgkmcnt(1)
	v_mul_f32_e32 v106, v79, v104
	s_waitcnt vmcnt(15)
	v_mul_f32_e32 v107, v81, v105
	v_mul_f32_e32 v84, v80, v104
	;; [unrolled: 1-line block ×3, first 2 shown]
	buffer_load_dword v105, off, s[0:3], 0 offset:196
	v_fmac_f32_e32 v106, v80, v102
	s_waitcnt vmcnt(12)
	v_fmac_f32_e32 v107, v82, v117
	v_fma_f32 v102, v79, v102, -v84
	v_fma_f32 v104, v81, v117, -v85
	ds_read_b128 v[79:82], v78 offset:464
	s_waitcnt vmcnt(11) lgkmcnt(1)
	v_mul_f32_e32 v108, v87, v115
	s_waitcnt vmcnt(10)
	v_mul_f32_e32 v109, v89, v116
	v_mul_f32_e32 v84, v88, v115
	;; [unrolled: 1-line block ×3, first 2 shown]
	s_clause 0x5
	buffer_load_dword v115, off, s[0:3], 0 offset:204
	buffer_load_dword v116, off, s[0:3], 0 offset:224
	;; [unrolled: 1-line block ×6, first 2 shown]
	v_fmac_f32_e32 v108, v88, v114
	v_fma_f32 v114, v87, v114, -v84
	v_fmac_f32_e32 v109, v90, v113
	v_fma_f32 v113, v89, v113, -v85
	s_waitcnt vmcnt(15) lgkmcnt(0)
	v_mul_f32_e32 v142, v79, v112
	v_mul_f32_e32 v84, v80, v112
	s_waitcnt vmcnt(14)
	v_mul_f32_e32 v112, v81, v111
	v_fmac_f32_e32 v142, v80, v110
	v_add_f32_e32 v80, 0, v134
	v_fma_f32 v110, v79, v110, -v84
	v_add_f32_e32 v79, 0, v137
	v_mul_f32_e32 v84, v82, v111
	s_clause 0x1
	buffer_load_dword v111, off, s[0:3], 0 offset:220
	buffer_load_dword v134, off, s[0:3], 0 offset:228
	v_add_f32_e32 v80, v80, v135
	v_add_f32_e32 v79, v79, v138
	buffer_load_dword v135, off, s[0:3], 0 offset:236
	s_waitcnt vmcnt(13)
	v_fmac_f32_e32 v112, v82, v133
	v_fma_f32 v133, v81, v133, -v84
	v_add_f32_e32 v80, v80, v139
	v_add_f32_e32 v79, v79, v122
	s_clause 0x2
	buffer_load_dword v122, off, s[0:3], 0 offset:244
	buffer_load_dword v137, off, s[0:3], 0 offset:252
	;; [unrolled: 1-line block ×3, first 2 shown]
	v_add_f32_e32 v80, v80, v140
	v_add_f32_e32 v79, v79, v123
	s_clause 0x3
	buffer_load_dword v123, off, s[0:3], 0 offset:268
	buffer_load_dword v139, off, s[0:3], 0 offset:276
	;; [unrolled: 1-line block ×4, first 2 shown]
	v_add_f32_e32 v80, v80, v124
	v_add_f32_e32 v79, v79, v126
	buffer_load_dword v124, off, s[0:3], 0 offset:300
	v_add_f32_e32 v80, v80, v125
	v_add_f32_e32 v79, v79, v127
	s_clause 0x3
	buffer_load_dword v125, off, s[0:3], 0 offset:256
	buffer_load_dword v126, off, s[0:3], 0 offset:248
	;; [unrolled: 1-line block ×4, first 2 shown]
	v_add_f32_e32 v80, v80, v128
	v_add_f32_e32 v79, v79, v118
	;; [unrolled: 1-line block ×3, first 2 shown]
	s_clause 0x4
	buffer_load_dword v118, off, s[0:3], 0 offset:288
	buffer_load_dword v128, off, s[0:3], 0 offset:280
	;; [unrolled: 1-line block ×5, first 2 shown]
	v_add_f32_e32 v79, v79, v101
	v_add_f32_e32 v80, v80, v119
	buffer_load_dword v119, off, s[0:3], 0 offset:296
	v_add_f32_e32 v79, v79, v98
	v_add_f32_e32 v80, v80, v120
	;; [unrolled: 1-line block ×5, first 2 shown]
	ds_read_b128 v[79:82], v78 offset:480
	v_add_f32_e32 v84, v84, v100
	v_add_f32_e32 v85, v85, v92
	v_add_f32_e32 v87, v84, v93
	v_add_f32_e32 v88, v85, v83
	ds_read_b128 v[83:86], v78 offset:496
	v_add_f32_e32 v87, v87, v94
	v_add_f32_e32 v88, v88, v96
	;; [unrolled: 1-line block ×11, first 2 shown]
	s_waitcnt vmcnt(29) lgkmcnt(1)
	v_mul_f32_e32 v99, v79, v97
	v_mul_f32_e32 v89, v80, v97
	s_waitcnt vmcnt(28)
	v_mul_f32_e32 v120, v81, v103
	v_mul_f32_e32 v90, v82, v103
	v_fmac_f32_e32 v99, v80, v132
	v_fma_f32 v103, v79, v132, -v89
	v_fmac_f32_e32 v120, v82, v131
	v_fma_f32 v106, v81, v131, -v90
	ds_read_b128 v[79:82], v78 offset:512
	ds_read_b128 v[87:90], v78 offset:528
	s_waitcnt vmcnt(27) lgkmcnt(2)
	v_mul_f32_e32 v107, v83, v105
	v_mul_f32_e32 v93, v84, v105
	v_fmac_f32_e32 v107, v84, v130
	v_add_f32_e32 v84, v92, v109
	v_fma_f32 v105, v83, v130, -v93
	s_waitcnt vmcnt(26)
	v_mul_f32_e32 v104, v85, v115
	v_mul_f32_e32 v94, v86, v115
	v_add_f32_e32 v96, v84, v142
	s_waitcnt vmcnt(22)
	v_fmac_f32_e32 v104, v86, v141
	v_fma_f32 v108, v85, v141, -v94
	v_add_f32_e32 v102, v96, v112
	ds_read_b128 v[83:86], v78 offset:544
	ds_read_b128 v[91:94], v78 offset:560
	s_waitcnt vmcnt(21) lgkmcnt(3)
	v_mul_f32_e32 v109, v79, v143
	v_mul_f32_e32 v101, v80, v143
	ds_read_b128 v[95:98], v78 offset:576
	v_fmac_f32_e32 v109, v80, v121
	v_fma_f32 v79, v79, v121, -v101
	v_add_f32_e32 v80, v102, v99
	ds_read_b128 v[99:102], v78 offset:592
	v_add_f32_e32 v78, v110, v103
	v_add_f32_e32 v80, v80, v120
	s_waitcnt vmcnt(20)
	v_mul_f32_e32 v110, v82, v111
	v_add_f32_e32 v78, v78, v106
	v_mul_f32_e32 v103, v81, v111
	s_waitcnt vmcnt(19) lgkmcnt(4)
	v_mul_f32_e32 v112, v88, v134
	v_add_f32_e32 v80, v80, v107
	v_fma_f32 v81, v81, v117, -v110
	v_add_f32_e32 v78, v78, v105
	v_mul_f32_e32 v111, v87, v134
	v_fmac_f32_e32 v103, v82, v117
	v_add_f32_e32 v80, v80, v104
	s_waitcnt vmcnt(18)
	v_mul_f32_e32 v104, v90, v135
	v_add_f32_e32 v78, v78, v108
	v_fma_f32 v87, v87, v116, -v112
	v_mul_f32_e32 v106, v89, v135
	v_fmac_f32_e32 v111, v88, v116
	s_waitcnt vmcnt(17) lgkmcnt(3)
	v_mul_f32_e32 v82, v83, v122
	v_add_f32_e32 v78, v78, v79
	v_add_f32_e32 v79, v80, v109
	s_waitcnt vmcnt(16)
	v_mul_f32_e32 v110, v85, v137
	s_waitcnt vmcnt(15) lgkmcnt(2)
	v_mul_f32_e32 v105, v91, v138
	s_waitcnt vmcnt(14)
	v_mul_f32_e32 v107, v93, v123
	v_add_f32_e32 v78, v78, v81
	v_add_f32_e32 v79, v79, v103
	v_mul_f32_e32 v81, v84, v122
	s_waitcnt vmcnt(6)
	v_fma_f32 v88, v89, v145, -v104
	v_fmac_f32_e32 v106, v90, v145
	v_add_f32_e32 v78, v78, v87
	v_add_f32_e32 v79, v79, v111
	v_mul_f32_e32 v87, v86, v137
	v_fma_f32 v81, v83, v127, -v81
	v_fmac_f32_e32 v82, v84, v127
	v_add_f32_e32 v78, v78, v88
	v_add_f32_e32 v79, v79, v106
	v_mul_f32_e32 v83, v92, v138
	;; [unrolled: 5-line block ×3, first 2 shown]
	v_fma_f32 v82, v91, v125, -v83
	v_fmac_f32_e32 v105, v92, v125
	v_add_f32_e32 v78, v78, v84
	v_add_f32_e32 v79, v79, v110
	s_waitcnt lgkmcnt(1)
	v_mul_f32_e32 v83, v96, v139
	s_waitcnt vmcnt(2)
	v_fma_f32 v81, v93, v146, -v81
	v_mul_f32_e32 v113, v95, v139
	v_add_f32_e32 v78, v78, v82
	v_fmac_f32_e32 v107, v94, v146
	v_add_f32_e32 v79, v79, v105
	v_mul_f32_e32 v82, v98, v140
	v_fma_f32 v83, v95, v129, -v83
	v_add_f32_e32 v78, v78, v81
	v_mul_f32_e32 v108, v97, v140
	v_fmac_f32_e32 v113, v96, v129
	v_add_f32_e32 v79, v79, v107
	s_waitcnt lgkmcnt(0)
	v_mul_f32_e32 v81, v100, v144
	v_fma_f32 v82, v97, v128, -v82
	v_add_f32_e32 v78, v78, v83
	v_mul_f32_e32 v114, v99, v144
	v_fmac_f32_e32 v108, v98, v128
	v_add_f32_e32 v79, v79, v113
	v_mul_f32_e32 v83, v102, v124
	v_fma_f32 v81, v99, v118, -v81
	v_add_f32_e32 v78, v78, v82
	v_mul_f32_e32 v80, v101, v124
	v_fmac_f32_e32 v114, v100, v118
	v_add_f32_e32 v79, v79, v108
	s_waitcnt vmcnt(0)
	v_fma_f32 v82, v101, v119, -v83
	v_add_f32_e32 v78, v78, v81
	v_fmac_f32_e32 v80, v102, v119
	v_add_f32_e32 v79, v79, v114
	v_add_f32_e32 v78, v78, v82
	;; [unrolled: 1-line block ×3, first 2 shown]
	v_sub_f32_e32 v78, v147, v78
	v_sub_f32_e32 v79, v136, v79
	buffer_store_dword v78, off, s[0:3], 0 offset:8
	buffer_store_dword v79, off, s[0:3], 0 offset:12
	v_cmpx_ne_u32_e32 0, v0
	s_cbranch_execz .LBB101_241
; %bb.240:
	s_clause 0x1
	buffer_load_dword v78, off, s[0:3], 0
	buffer_load_dword v79, off, s[0:3], 0 offset:4
	v_mov_b32_e32 v0, 0
	buffer_store_dword v0, off, s[0:3], 0
	buffer_store_dword v0, off, s[0:3], 0 offset:4
	s_waitcnt vmcnt(0)
	ds_write_b64 v77, v[78:79]
.LBB101_241:
	s_or_b32 exec_lo, exec_lo, s4
	s_waitcnt lgkmcnt(0)
	s_waitcnt_vscnt null, 0x0
	s_barrier
	buffer_gl0_inv
	s_clause 0x2b
	buffer_load_dword v114, off, s[0:3], 0 offset:12
	buffer_load_dword v115, off, s[0:3], 0 offset:20
	;; [unrolled: 1-line block ×44, first 2 shown]
	v_mov_b32_e32 v112, 0
	ds_read2_b64 v[116:119], v112 offset0:39 offset1:40
	ds_read2_b64 v[120:123], v112 offset0:41 offset1:42
	;; [unrolled: 1-line block ×3, first 2 shown]
	buffer_load_dword v135, off, s[0:3], 0 offset:4
	s_and_b32 vcc_lo, exec_lo, s16
	s_waitcnt vmcnt(44) lgkmcnt(2)
	v_mul_f32_e32 v133, v116, v114
	v_mul_f32_e32 v114, v117, v114
	s_waitcnt vmcnt(43)
	v_mul_f32_e32 v134, v118, v115
	v_mul_f32_e32 v115, v119, v115
	s_waitcnt vmcnt(40)
	v_fmac_f32_e32 v133, v117, v84
	v_fma_f32 v136, v116, v84, -v114
	s_waitcnt vmcnt(39) lgkmcnt(1)
	v_mul_f32_e32 v138, v120, v78
	v_fma_f32 v137, v118, v81, -v115
	ds_read2_b64 v[114:117], v112 offset0:45 offset1:46
	s_waitcnt vmcnt(38)
	v_mul_f32_e32 v139, v122, v79
	v_mul_f32_e32 v78, v121, v78
	;; [unrolled: 1-line block ×3, first 2 shown]
	v_fmac_f32_e32 v134, v119, v81
	v_fmac_f32_e32 v138, v121, v0
	s_waitcnt vmcnt(34)
	v_fmac_f32_e32 v139, v123, v87
	v_fma_f32 v0, v120, v0, -v78
	v_fma_f32 v87, v122, v87, -v79
	ds_read2_b64 v[118:121], v112 offset0:47 offset1:48
	s_waitcnt vmcnt(33) lgkmcnt(2)
	v_mul_f32_e32 v122, v124, v86
	v_mul_f32_e32 v78, v125, v86
	s_waitcnt vmcnt(32)
	v_mul_f32_e32 v86, v126, v85
	v_mul_f32_e32 v79, v127, v85
	v_fmac_f32_e32 v122, v125, v83
	v_fma_f32 v123, v124, v83, -v78
	v_fmac_f32_e32 v86, v127, v80
	v_fma_f32 v124, v126, v80, -v79
	ds_read2_b64 v[78:81], v112 offset0:49 offset1:50
	s_waitcnt vmcnt(31) lgkmcnt(2)
	v_mul_f32_e32 v125, v114, v82
	v_mul_f32_e32 v82, v115, v82
	s_waitcnt vmcnt(30)
	v_mul_f32_e32 v126, v116, v88
	v_mul_f32_e32 v83, v117, v88
	v_fmac_f32_e32 v125, v115, v77
	v_fma_f32 v88, v114, v77, -v82
	s_waitcnt vmcnt(26)
	v_fmac_f32_e32 v126, v117, v96
	v_fma_f32 v96, v116, v96, -v83
	ds_read2_b64 v[82:85], v112 offset0:51 offset1:52
	s_waitcnt vmcnt(25) lgkmcnt(2)
	v_mul_f32_e32 v127, v118, v94
	v_mul_f32_e32 v77, v119, v94
	s_waitcnt vmcnt(24)
	v_mul_f32_e32 v94, v120, v93
	v_mul_f32_e32 v93, v121, v93
	ds_read2_b64 v[114:117], v112 offset0:53 offset1:54
	v_fmac_f32_e32 v127, v119, v92
	v_fma_f32 v92, v118, v92, -v77
	v_fmac_f32_e32 v94, v121, v90
	v_fma_f32 v90, v120, v90, -v93
	s_waitcnt vmcnt(23) lgkmcnt(2)
	v_mul_f32_e32 v93, v78, v91
	v_mul_f32_e32 v77, v79, v91
	s_waitcnt vmcnt(22)
	v_mul_f32_e32 v91, v80, v95
	v_mul_f32_e32 v95, v81, v95
	v_fmac_f32_e32 v93, v79, v89
	v_fma_f32 v89, v78, v89, -v77
	s_waitcnt vmcnt(17)
	v_fmac_f32_e32 v91, v81, v104
	v_fma_f32 v95, v80, v104, -v95
	s_waitcnt lgkmcnt(1)
	v_mul_f32_e32 v118, v82, v97
	v_mul_f32_e32 v77, v83, v97
	buffer_load_dword v97, off, s[0:3], 0 offset:180
	s_waitcnt vmcnt(17)
	v_mul_f32_e32 v104, v84, v103
	v_mul_f32_e32 v81, v85, v103
	v_fmac_f32_e32 v118, v83, v102
	v_fma_f32 v102, v82, v102, -v77
	ds_read2_b64 v[77:80], v112 offset0:55 offset1:56
	v_fmac_f32_e32 v104, v85, v99
	v_fma_f32 v85, v84, v99, -v81
	s_waitcnt vmcnt(16) lgkmcnt(1)
	v_mul_f32_e32 v99, v114, v100
	v_mul_f32_e32 v81, v115, v100
	s_waitcnt vmcnt(15)
	v_mul_f32_e32 v100, v116, v105
	v_mul_f32_e32 v82, v117, v105
	buffer_load_dword v103, off, s[0:3], 0 offset:188
	v_fmac_f32_e32 v99, v115, v98
	v_fma_f32 v98, v114, v98, -v81
	v_add_f32_e32 v81, 0, v133
	s_waitcnt vmcnt(12)
	v_fmac_f32_e32 v100, v117, v113
	v_fma_f32 v105, v116, v113, -v82
	s_clause 0x4
	buffer_load_dword v114, off, s[0:3], 0 offset:196
	buffer_load_dword v115, off, s[0:3], 0 offset:216
	;; [unrolled: 1-line block ×5, first 2 shown]
	v_add_f32_e32 v113, 0, v136
	v_add_f32_e32 v120, v81, v134
	ds_read2_b64 v[81:84], v112 offset0:57 offset1:58
	v_add_f32_e32 v113, v113, v137
	s_waitcnt vmcnt(16) lgkmcnt(1)
	v_mul_f32_e32 v121, v77, v111
	v_mul_f32_e32 v111, v78, v111
	v_add_f32_e32 v0, v113, v0
	v_fmac_f32_e32 v121, v78, v110
	v_fma_f32 v110, v77, v110, -v111
	v_add_f32_e32 v77, v120, v138
	s_clause 0x1
	buffer_load_dword v111, off, s[0:3], 0 offset:204
	buffer_load_dword v120, off, s[0:3], 0 offset:212
	v_add_f32_e32 v0, v0, v87
	s_waitcnt vmcnt(17)
	v_mul_f32_e32 v113, v79, v109
	v_mul_f32_e32 v78, v80, v109
	v_add_f32_e32 v77, v77, v139
	buffer_load_dword v109, off, s[0:3], 0 offset:220
	v_add_f32_e32 v0, v0, v123
	v_fmac_f32_e32 v113, v80, v107
	s_waitcnt vmcnt(17) lgkmcnt(0)
	v_mul_f32_e32 v123, v81, v106
	v_add_f32_e32 v87, v77, v122
	s_clause 0x3
	buffer_load_dword v122, off, s[0:3], 0 offset:228
	buffer_load_dword v133, off, s[0:3], 0 offset:236
	;; [unrolled: 1-line block ×4, first 2 shown]
	v_fma_f32 v107, v79, v107, -v78
	ds_read2_b64 v[77:80], v112 offset0:59 offset1:60
	v_fmac_f32_e32 v123, v82, v101
	v_add_f32_e32 v86, v87, v86
	v_mul_f32_e32 v87, v82, v106
	s_waitcnt vmcnt(20)
	v_mul_f32_e32 v106, v83, v108
	v_mul_f32_e32 v108, v84, v108
	v_add_f32_e32 v0, v0, v124
	v_add_f32_e32 v86, v86, v125
	v_fma_f32 v101, v81, v101, -v87
	s_waitcnt vmcnt(16)
	v_fmac_f32_e32 v106, v84, v131
	v_fma_f32 v108, v83, v131, -v108
	v_add_f32_e32 v0, v0, v88
	v_add_f32_e32 v81, v86, v126
	s_clause 0x4
	buffer_load_dword v124, off, s[0:3], 0 offset:260
	buffer_load_dword v125, off, s[0:3], 0 offset:268
	;; [unrolled: 1-line block ×5, first 2 shown]
	v_add_f32_e32 v0, v0, v96
	v_add_f32_e32 v81, v81, v127
	s_clause 0x4
	buffer_load_dword v127, off, s[0:3], 0 offset:248
	buffer_load_dword v138, off, s[0:3], 0 offset:240
	;; [unrolled: 1-line block ×5, first 2 shown]
	s_waitcnt vmcnt(25) lgkmcnt(0)
	v_mul_f32_e32 v142, v77, v132
	v_add_f32_e32 v0, v0, v92
	v_add_f32_e32 v86, v81, v94
	ds_read2_b64 v[81:84], v112 offset0:61 offset1:62
	v_mul_f32_e32 v87, v78, v132
	s_clause 0x3
	buffer_load_dword v132, off, s[0:3], 0 offset:280
	buffer_load_dword v143, off, s[0:3], 0 offset:272
	;; [unrolled: 1-line block ×4, first 2 shown]
	v_add_f32_e32 v0, v0, v90
	v_add_f32_e32 v86, v86, v93
	v_fmac_f32_e32 v142, v78, v130
	v_fma_f32 v130, v77, v130, -v87
	v_add_f32_e32 v0, v0, v89
	v_add_f32_e32 v77, v86, v91
	;; [unrolled: 1-line block ×5, first 2 shown]
	s_clause 0x1
	buffer_load_dword v102, off, s[0:3], 0 offset:296
	buffer_load_dword v118, off, s[0:3], 0 offset:288
	v_add_f32_e32 v86, v77, v104
	buffer_load_dword v104, off, s[0:3], 0
	v_add_f32_e32 v0, v0, v85
	v_add_f32_e32 v85, v86, v99
	;; [unrolled: 1-line block ×4, first 2 shown]
	ds_read2_b64 v[85:88], v112 offset0:65 offset1:66
	v_add_f32_e32 v0, v0, v105
	v_add_f32_e32 v93, v90, v121
	;; [unrolled: 1-line block ×9, first 2 shown]
	s_waitcnt vmcnt(30)
	v_mul_f32_e32 v146, v79, v97
	v_mul_f32_e32 v77, v80, v97
	v_fmac_f32_e32 v146, v80, v129
	v_fma_f32 v129, v79, v129, -v77
	ds_read2_b64 v[77:80], v112 offset0:63 offset1:64
	v_add_f32_e32 v0, v0, v129
	s_waitcnt vmcnt(29) lgkmcnt(2)
	v_mul_f32_e32 v89, v82, v103
	v_mul_f32_e32 v99, v81, v103
	s_waitcnt vmcnt(28)
	v_mul_f32_e32 v91, v84, v114
	v_mul_f32_e32 v103, v83, v114
	v_fma_f32 v100, v81, v128, -v89
	v_fmac_f32_e32 v99, v82, v128
	s_waitcnt vmcnt(24)
	v_fma_f32 v105, v83, v119, -v91
	v_fmac_f32_e32 v103, v84, v119
	ds_read2_b64 v[81:84], v112 offset0:67 offset1:68
	ds_read2_b64 v[89:92], v112 offset0:69 offset1:70
	v_add_f32_e32 v0, v0, v100
	v_add_f32_e32 v0, v0, v105
	s_waitcnt vmcnt(23) lgkmcnt(2)
	v_mul_f32_e32 v94, v78, v111
	v_mul_f32_e32 v107, v77, v111
	s_waitcnt vmcnt(22)
	v_mul_f32_e32 v97, v80, v120
	v_mul_f32_e32 v101, v79, v120
	v_fma_f32 v108, v77, v117, -v94
	v_add_f32_e32 v77, v93, v106
	v_fmac_f32_e32 v107, v78, v117
	v_fma_f32 v106, v79, v116, -v97
	s_waitcnt vmcnt(21)
	v_mul_f32_e32 v111, v85, v109
	v_mul_f32_e32 v109, v86, v109
	v_add_f32_e32 v110, v77, v142
	v_add_f32_e32 v0, v0, v108
	v_fmac_f32_e32 v101, v80, v116
	s_waitcnt vmcnt(20)
	v_mul_f32_e32 v100, v88, v122
	v_fma_f32 v85, v85, v115, -v109
	v_add_f32_e32 v110, v110, v146
	v_add_f32_e32 v0, v0, v106
	v_mul_f32_e32 v113, v87, v122
	v_fmac_f32_e32 v111, v86, v115
	ds_read2_b64 v[93:96], v112 offset0:71 offset1:72
	v_add_f32_e32 v99, v110, v99
	s_waitcnt vmcnt(19) lgkmcnt(2)
	v_mul_f32_e32 v109, v82, v133
	v_add_f32_e32 v0, v0, v85
	v_mul_f32_e32 v110, v81, v133
	s_waitcnt vmcnt(18)
	v_mul_f32_e32 v114, v83, v134
	v_add_f32_e32 v99, v99, v103
	ds_read2_b64 v[77:80], v112 offset0:73 offset1:74
	ds_read_b64 v[97:98], v112 offset:600
	s_waitcnt vmcnt(17) lgkmcnt(3)
	v_mul_f32_e32 v105, v89, v136
	s_waitcnt vmcnt(9)
	v_fma_f32 v81, v81, v139, -v109
	s_waitcnt vmcnt(8)
	v_fma_f32 v87, v87, v140, -v100
	v_add_f32_e32 v99, v99, v107
	v_fmac_f32_e32 v113, v88, v140
	v_mul_f32_e32 v88, v84, v134
	v_fmac_f32_e32 v110, v82, v139
	v_add_f32_e32 v0, v0, v87
	v_add_f32_e32 v99, v99, v101
	v_fmac_f32_e32 v114, v84, v138
	v_fma_f32 v83, v83, v138, -v88
	v_mul_f32_e32 v103, v91, v124
	v_add_f32_e32 v0, v0, v81
	v_add_f32_e32 v85, v99, v111
	v_fmac_f32_e32 v105, v90, v127
	s_waitcnt lgkmcnt(2)
	v_mul_f32_e32 v116, v93, v125
	s_waitcnt vmcnt(3)
	v_fmac_f32_e32 v103, v92, v145
	v_add_f32_e32 v0, v0, v83
	v_add_f32_e32 v82, v85, v113
	v_mul_f32_e32 v85, v90, v136
	v_mul_f32_e32 v83, v94, v125
	;; [unrolled: 1-line block ×3, first 2 shown]
	v_fmac_f32_e32 v116, v94, v144
	v_add_f32_e32 v81, v82, v110
	v_mul_f32_e32 v82, v92, v124
	v_fma_f32 v84, v89, v127, -v85
	v_fma_f32 v83, v93, v144, -v83
	s_waitcnt lgkmcnt(1)
	v_mul_f32_e32 v107, v77, v137
	v_add_f32_e32 v81, v81, v114
	v_fma_f32 v82, v91, v145, -v82
	v_add_f32_e32 v0, v0, v84
	v_mul_f32_e32 v84, v96, v126
	v_fmac_f32_e32 v108, v96, v143
	v_add_f32_e32 v81, v81, v105
	v_mul_f32_e32 v86, v79, v131
	v_add_f32_e32 v0, v0, v82
	v_mul_f32_e32 v82, v78, v137
	v_fma_f32 v84, v95, v143, -v84
	v_add_f32_e32 v81, v81, v103
	v_fmac_f32_e32 v107, v78, v132
	v_add_f32_e32 v0, v0, v83
	v_mul_f32_e32 v83, v80, v131
	v_fma_f32 v77, v77, v132, -v82
	v_add_f32_e32 v81, v81, v116
	s_waitcnt lgkmcnt(0)
	v_mul_f32_e32 v101, v97, v141
	v_add_f32_e32 v0, v0, v84
	s_waitcnt vmcnt(1)
	v_fma_f32 v79, v79, v118, -v83
	v_fmac_f32_e32 v86, v80, v118
	v_add_f32_e32 v78, v81, v108
	v_mul_f32_e32 v81, v98, v141
	v_add_f32_e32 v0, v0, v77
	v_fmac_f32_e32 v101, v98, v102
	v_add_f32_e32 v77, v78, v107
	v_fma_f32 v78, v97, v102, -v81
	v_add_f32_e32 v0, v0, v79
	v_add_f32_e32 v77, v77, v86
	;; [unrolled: 1-line block ×4, first 2 shown]
	s_waitcnt vmcnt(0)
	v_sub_f32_e32 v0, v104, v0
	v_sub_f32_e32 v77, v135, v77
	buffer_store_dword v0, off, s[0:3], 0
	buffer_store_dword v77, off, s[0:3], 0 offset:4
	s_cbranch_vccz .LBB101_316
; %bb.242:
	global_load_dword v0, v112, s[12:13] offset:144
	s_waitcnt vmcnt(0)
	v_add_nc_u32_e32 v0, -1, v0
	v_cmp_ne_u32_e32 vcc_lo, 36, v0
	s_cbranch_vccz .LBB101_244
; %bb.243:
	v_lshlrev_b32_e32 v0, 3, v0
	s_clause 0x3
	buffer_load_dword v77, v0, s[0:3], 0 offen
	buffer_load_dword v78, v0, s[0:3], 0 offen offset:4
	buffer_load_dword v79, off, s[0:3], 0 offset:292
	buffer_load_dword v80, off, s[0:3], 0 offset:288
	s_waitcnt vmcnt(3)
	buffer_store_dword v77, off, s[0:3], 0 offset:288
	s_waitcnt vmcnt(2)
	buffer_store_dword v78, off, s[0:3], 0 offset:292
	s_waitcnt vmcnt(1)
	buffer_store_dword v79, v0, s[0:3], 0 offen offset:4
	s_waitcnt vmcnt(0)
	buffer_store_dword v80, v0, s[0:3], 0 offen
.LBB101_244:
	v_mov_b32_e32 v0, 0
	global_load_dword v77, v0, s[12:13] offset:140
	s_waitcnt vmcnt(0)
	v_add_nc_u32_e32 v77, -1, v77
	v_cmp_eq_u32_e32 vcc_lo, 35, v77
	s_cbranch_vccnz .LBB101_246
; %bb.245:
	v_lshlrev_b32_e32 v77, 3, v77
	s_clause 0x3
	buffer_load_dword v78, v77, s[0:3], 0 offen
	buffer_load_dword v79, v77, s[0:3], 0 offen offset:4
	buffer_load_dword v80, off, s[0:3], 0 offset:280
	buffer_load_dword v81, off, s[0:3], 0 offset:284
	s_waitcnt vmcnt(3)
	buffer_store_dword v78, off, s[0:3], 0 offset:280
	s_waitcnt vmcnt(2)
	buffer_store_dword v79, off, s[0:3], 0 offset:284
	s_waitcnt vmcnt(1)
	buffer_store_dword v80, v77, s[0:3], 0 offen
	s_waitcnt vmcnt(0)
	buffer_store_dword v81, v77, s[0:3], 0 offen offset:4
.LBB101_246:
	global_load_dword v0, v0, s[12:13] offset:136
	s_waitcnt vmcnt(0)
	v_add_nc_u32_e32 v0, -1, v0
	v_cmp_eq_u32_e32 vcc_lo, 34, v0
	s_cbranch_vccnz .LBB101_248
; %bb.247:
	v_lshlrev_b32_e32 v0, 3, v0
	s_clause 0x3
	buffer_load_dword v77, v0, s[0:3], 0 offen
	buffer_load_dword v78, v0, s[0:3], 0 offen offset:4
	buffer_load_dword v79, off, s[0:3], 0 offset:276
	buffer_load_dword v80, off, s[0:3], 0 offset:272
	s_waitcnt vmcnt(3)
	buffer_store_dword v77, off, s[0:3], 0 offset:272
	s_waitcnt vmcnt(2)
	buffer_store_dword v78, off, s[0:3], 0 offset:276
	s_waitcnt vmcnt(1)
	buffer_store_dword v79, v0, s[0:3], 0 offen offset:4
	s_waitcnt vmcnt(0)
	buffer_store_dword v80, v0, s[0:3], 0 offen
.LBB101_248:
	v_mov_b32_e32 v0, 0
	global_load_dword v77, v0, s[12:13] offset:132
	s_waitcnt vmcnt(0)
	v_add_nc_u32_e32 v77, -1, v77
	v_cmp_eq_u32_e32 vcc_lo, 33, v77
	s_cbranch_vccnz .LBB101_250
; %bb.249:
	v_lshlrev_b32_e32 v77, 3, v77
	s_clause 0x3
	buffer_load_dword v78, v77, s[0:3], 0 offen
	buffer_load_dword v79, v77, s[0:3], 0 offen offset:4
	buffer_load_dword v80, off, s[0:3], 0 offset:264
	buffer_load_dword v81, off, s[0:3], 0 offset:268
	s_waitcnt vmcnt(3)
	buffer_store_dword v78, off, s[0:3], 0 offset:264
	s_waitcnt vmcnt(2)
	buffer_store_dword v79, off, s[0:3], 0 offset:268
	s_waitcnt vmcnt(1)
	buffer_store_dword v80, v77, s[0:3], 0 offen
	s_waitcnt vmcnt(0)
	buffer_store_dword v81, v77, s[0:3], 0 offen offset:4
.LBB101_250:
	global_load_dword v0, v0, s[12:13] offset:128
	s_waitcnt vmcnt(0)
	v_add_nc_u32_e32 v0, -1, v0
	v_cmp_eq_u32_e32 vcc_lo, 32, v0
	s_cbranch_vccnz .LBB101_252
; %bb.251:
	v_lshlrev_b32_e32 v0, 3, v0
	s_clause 0x3
	buffer_load_dword v77, v0, s[0:3], 0 offen
	buffer_load_dword v78, v0, s[0:3], 0 offen offset:4
	buffer_load_dword v79, off, s[0:3], 0 offset:260
	buffer_load_dword v80, off, s[0:3], 0 offset:256
	s_waitcnt vmcnt(3)
	buffer_store_dword v77, off, s[0:3], 0 offset:256
	s_waitcnt vmcnt(2)
	buffer_store_dword v78, off, s[0:3], 0 offset:260
	s_waitcnt vmcnt(1)
	buffer_store_dword v79, v0, s[0:3], 0 offen offset:4
	s_waitcnt vmcnt(0)
	buffer_store_dword v80, v0, s[0:3], 0 offen
.LBB101_252:
	;; [unrolled: 43-line block ×17, first 2 shown]
	v_mov_b32_e32 v0, 0
	global_load_dword v77, v0, s[12:13] offset:4
	s_waitcnt vmcnt(0)
	v_add_nc_u32_e32 v77, -1, v77
	v_cmp_eq_u32_e32 vcc_lo, 1, v77
	s_cbranch_vccnz .LBB101_314
; %bb.313:
	v_lshlrev_b32_e32 v77, 3, v77
	s_clause 0x3
	buffer_load_dword v78, v77, s[0:3], 0 offen
	buffer_load_dword v79, v77, s[0:3], 0 offen offset:4
	buffer_load_dword v80, off, s[0:3], 0 offset:8
	buffer_load_dword v81, off, s[0:3], 0 offset:12
	s_waitcnt vmcnt(3)
	buffer_store_dword v78, off, s[0:3], 0 offset:8
	s_waitcnt vmcnt(2)
	buffer_store_dword v79, off, s[0:3], 0 offset:12
	s_waitcnt vmcnt(1)
	buffer_store_dword v80, v77, s[0:3], 0 offen
	s_waitcnt vmcnt(0)
	buffer_store_dword v81, v77, s[0:3], 0 offen offset:4
.LBB101_314:
	global_load_dword v0, v0, s[12:13]
	s_waitcnt vmcnt(0)
	v_add_nc_u32_e32 v0, -1, v0
	v_cmp_eq_u32_e32 vcc_lo, 0, v0
	s_cbranch_vccnz .LBB101_316
; %bb.315:
	v_lshlrev_b32_e32 v0, 3, v0
	s_clause 0x3
	buffer_load_dword v77, v0, s[0:3], 0 offen
	buffer_load_dword v78, v0, s[0:3], 0 offen offset:4
	buffer_load_dword v79, off, s[0:3], 0 offset:4
	buffer_load_dword v80, off, s[0:3], 0
	s_waitcnt vmcnt(3)
	buffer_store_dword v77, off, s[0:3], 0
	s_waitcnt vmcnt(2)
	buffer_store_dword v78, off, s[0:3], 0 offset:4
	s_waitcnt vmcnt(1)
	buffer_store_dword v79, v0, s[0:3], 0 offen offset:4
	s_waitcnt vmcnt(0)
	buffer_store_dword v80, v0, s[0:3], 0 offen
.LBB101_316:
	s_clause 0x1
	buffer_load_dword v77, off, s[0:3], 0
	buffer_load_dword v78, off, s[0:3], 0 offset:4
	s_waitcnt vmcnt(0)
	flat_store_dwordx2 v[1:2], v[77:78]
	s_clause 0x1
	buffer_load_dword v0, off, s[0:3], 0 offset:8
	buffer_load_dword v1, off, s[0:3], 0 offset:12
	s_waitcnt vmcnt(0)
	flat_store_dwordx2 v[3:4], v[0:1]
	s_clause 0x1
	buffer_load_dword v0, off, s[0:3], 0 offset:16
	;; [unrolled: 5-line block ×37, first 2 shown]
	buffer_load_dword v1, off, s[0:3], 0 offset:300
	s_waitcnt vmcnt(0)
	flat_store_dwordx2 v[75:76], v[0:1]
	s_endpgm
	.section	.rodata,"a",@progbits
	.p2align	6, 0x0
	.amdhsa_kernel _ZN9rocsolver6v33100L18getri_kernel_smallILi38E19rocblas_complex_numIfEPKPS3_EEvT1_iilPiilS8_bb
		.amdhsa_group_segment_fixed_size 612
		.amdhsa_private_segment_fixed_size 320
		.amdhsa_kernarg_size 60
		.amdhsa_user_sgpr_count 6
		.amdhsa_user_sgpr_private_segment_buffer 1
		.amdhsa_user_sgpr_dispatch_ptr 0
		.amdhsa_user_sgpr_queue_ptr 0
		.amdhsa_user_sgpr_kernarg_segment_ptr 1
		.amdhsa_user_sgpr_dispatch_id 0
		.amdhsa_user_sgpr_flat_scratch_init 0
		.amdhsa_user_sgpr_private_segment_size 0
		.amdhsa_wavefront_size32 1
		.amdhsa_uses_dynamic_stack 0
		.amdhsa_system_sgpr_private_segment_wavefront_offset 1
		.amdhsa_system_sgpr_workgroup_id_x 1
		.amdhsa_system_sgpr_workgroup_id_y 0
		.amdhsa_system_sgpr_workgroup_id_z 0
		.amdhsa_system_sgpr_workgroup_info 0
		.amdhsa_system_vgpr_workitem_id 0
		.amdhsa_next_free_vgpr 250
		.amdhsa_next_free_sgpr 20
		.amdhsa_reserve_vcc 1
		.amdhsa_reserve_flat_scratch 0
		.amdhsa_float_round_mode_32 0
		.amdhsa_float_round_mode_16_64 0
		.amdhsa_float_denorm_mode_32 3
		.amdhsa_float_denorm_mode_16_64 3
		.amdhsa_dx10_clamp 1
		.amdhsa_ieee_mode 1
		.amdhsa_fp16_overflow 0
		.amdhsa_workgroup_processor_mode 1
		.amdhsa_memory_ordered 1
		.amdhsa_forward_progress 1
		.amdhsa_shared_vgpr_count 0
		.amdhsa_exception_fp_ieee_invalid_op 0
		.amdhsa_exception_fp_denorm_src 0
		.amdhsa_exception_fp_ieee_div_zero 0
		.amdhsa_exception_fp_ieee_overflow 0
		.amdhsa_exception_fp_ieee_underflow 0
		.amdhsa_exception_fp_ieee_inexact 0
		.amdhsa_exception_int_div_zero 0
	.end_amdhsa_kernel
	.section	.text._ZN9rocsolver6v33100L18getri_kernel_smallILi38E19rocblas_complex_numIfEPKPS3_EEvT1_iilPiilS8_bb,"axG",@progbits,_ZN9rocsolver6v33100L18getri_kernel_smallILi38E19rocblas_complex_numIfEPKPS3_EEvT1_iilPiilS8_bb,comdat
.Lfunc_end101:
	.size	_ZN9rocsolver6v33100L18getri_kernel_smallILi38E19rocblas_complex_numIfEPKPS3_EEvT1_iilPiilS8_bb, .Lfunc_end101-_ZN9rocsolver6v33100L18getri_kernel_smallILi38E19rocblas_complex_numIfEPKPS3_EEvT1_iilPiilS8_bb
                                        ; -- End function
	.set _ZN9rocsolver6v33100L18getri_kernel_smallILi38E19rocblas_complex_numIfEPKPS3_EEvT1_iilPiilS8_bb.num_vgpr, 250
	.set _ZN9rocsolver6v33100L18getri_kernel_smallILi38E19rocblas_complex_numIfEPKPS3_EEvT1_iilPiilS8_bb.num_agpr, 0
	.set _ZN9rocsolver6v33100L18getri_kernel_smallILi38E19rocblas_complex_numIfEPKPS3_EEvT1_iilPiilS8_bb.numbered_sgpr, 20
	.set _ZN9rocsolver6v33100L18getri_kernel_smallILi38E19rocblas_complex_numIfEPKPS3_EEvT1_iilPiilS8_bb.num_named_barrier, 0
	.set _ZN9rocsolver6v33100L18getri_kernel_smallILi38E19rocblas_complex_numIfEPKPS3_EEvT1_iilPiilS8_bb.private_seg_size, 320
	.set _ZN9rocsolver6v33100L18getri_kernel_smallILi38E19rocblas_complex_numIfEPKPS3_EEvT1_iilPiilS8_bb.uses_vcc, 1
	.set _ZN9rocsolver6v33100L18getri_kernel_smallILi38E19rocblas_complex_numIfEPKPS3_EEvT1_iilPiilS8_bb.uses_flat_scratch, 0
	.set _ZN9rocsolver6v33100L18getri_kernel_smallILi38E19rocblas_complex_numIfEPKPS3_EEvT1_iilPiilS8_bb.has_dyn_sized_stack, 0
	.set _ZN9rocsolver6v33100L18getri_kernel_smallILi38E19rocblas_complex_numIfEPKPS3_EEvT1_iilPiilS8_bb.has_recursion, 0
	.set _ZN9rocsolver6v33100L18getri_kernel_smallILi38E19rocblas_complex_numIfEPKPS3_EEvT1_iilPiilS8_bb.has_indirect_call, 0
	.section	.AMDGPU.csdata,"",@progbits
; Kernel info:
; codeLenInByte = 62340
; TotalNumSgprs: 22
; NumVgprs: 250
; ScratchSize: 320
; MemoryBound: 0
; FloatMode: 240
; IeeeMode: 1
; LDSByteSize: 612 bytes/workgroup (compile time only)
; SGPRBlocks: 0
; VGPRBlocks: 31
; NumSGPRsForWavesPerEU: 22
; NumVGPRsForWavesPerEU: 250
; Occupancy: 4
; WaveLimiterHint : 1
; COMPUTE_PGM_RSRC2:SCRATCH_EN: 1
; COMPUTE_PGM_RSRC2:USER_SGPR: 6
; COMPUTE_PGM_RSRC2:TRAP_HANDLER: 0
; COMPUTE_PGM_RSRC2:TGID_X_EN: 1
; COMPUTE_PGM_RSRC2:TGID_Y_EN: 0
; COMPUTE_PGM_RSRC2:TGID_Z_EN: 0
; COMPUTE_PGM_RSRC2:TIDIG_COMP_CNT: 0
	.section	.text._ZN9rocsolver6v33100L18getri_kernel_smallILi39E19rocblas_complex_numIfEPKPS3_EEvT1_iilPiilS8_bb,"axG",@progbits,_ZN9rocsolver6v33100L18getri_kernel_smallILi39E19rocblas_complex_numIfEPKPS3_EEvT1_iilPiilS8_bb,comdat
	.globl	_ZN9rocsolver6v33100L18getri_kernel_smallILi39E19rocblas_complex_numIfEPKPS3_EEvT1_iilPiilS8_bb ; -- Begin function _ZN9rocsolver6v33100L18getri_kernel_smallILi39E19rocblas_complex_numIfEPKPS3_EEvT1_iilPiilS8_bb
	.p2align	8
	.type	_ZN9rocsolver6v33100L18getri_kernel_smallILi39E19rocblas_complex_numIfEPKPS3_EEvT1_iilPiilS8_bb,@function
_ZN9rocsolver6v33100L18getri_kernel_smallILi39E19rocblas_complex_numIfEPKPS3_EEvT1_iilPiilS8_bb: ; @_ZN9rocsolver6v33100L18getri_kernel_smallILi39E19rocblas_complex_numIfEPKPS3_EEvT1_iilPiilS8_bb
; %bb.0:
	s_add_u32 s0, s0, s7
	s_addc_u32 s1, s1, 0
	s_mov_b32 s7, exec_lo
	v_cmpx_gt_u32_e32 39, v0
	s_cbranch_execz .LBB102_170
; %bb.1:
	s_clause 0x2
	s_load_dword s17, s[4:5], 0x38
	s_load_dwordx2 s[12:13], s[4:5], 0x0
	s_load_dwordx4 s[8:11], s[4:5], 0x28
	s_waitcnt lgkmcnt(0)
	s_bitcmp1_b32 s17, 8
	s_cselect_b32 s16, -1, 0
	s_ashr_i32 s7, s6, 31
	s_lshl_b64 s[14:15], s[6:7], 3
	s_add_u32 s12, s12, s14
	s_addc_u32 s13, s13, s15
	s_load_dwordx2 s[14:15], s[12:13], 0x0
	s_bfe_u32 s12, s17, 0x10008
	s_cmp_eq_u32 s12, 0
                                        ; implicit-def: $sgpr12_sgpr13
	s_cbranch_scc1 .LBB102_3
; %bb.2:
	s_clause 0x1
	s_load_dword s12, s[4:5], 0x20
	s_load_dwordx2 s[18:19], s[4:5], 0x18
	s_mul_i32 s13, s8, s7
	s_mul_hi_u32 s17, s8, s6
	s_mul_i32 s9, s9, s6
	s_add_i32 s13, s17, s13
	s_mul_i32 s8, s8, s6
	s_add_i32 s9, s13, s9
	s_lshl_b64 s[8:9], s[8:9], 2
	s_waitcnt lgkmcnt(0)
	s_ashr_i32 s13, s12, 31
	s_add_u32 s17, s18, s8
	s_addc_u32 s18, s19, s9
	s_lshl_b64 s[8:9], s[12:13], 2
	s_add_u32 s12, s17, s8
	s_addc_u32 s13, s18, s9
.LBB102_3:
	s_clause 0x1
	s_load_dwordx2 s[8:9], s[4:5], 0x8
	s_load_dword s17, s[4:5], 0x38
	v_lshlrev_b32_e32 v81, 3, v0
	s_waitcnt lgkmcnt(0)
	s_ashr_i32 s5, s8, 31
	s_mov_b32 s4, s8
	v_add3_u32 v9, s9, s9, v0
	s_lshl_b64 s[4:5], s[4:5], 3
	s_add_u32 s4, s14, s4
	s_addc_u32 s5, s15, s5
	v_add_co_u32 v1, s8, s4, v81
	v_add_co_ci_u32_e64 v2, null, s5, 0, s8
	s_mov_b32 s14, s9
	s_ashr_i32 s15, s9, 31
	v_ashrrev_i32_e32 v10, 31, v9
	flat_load_dwordx2 v[5:6], v[1:2]
	s_lshl_b64 s[14:15], s[14:15], 3
	v_add_nc_u32_e32 v12, s9, v9
	v_add_co_u32 v3, vcc_lo, v1, s14
	v_add_co_ci_u32_e64 v4, null, s15, v2, vcc_lo
	v_ashrrev_i32_e32 v13, 31, v12
	s_bitcmp0_b32 s17, 0
	s_waitcnt vmcnt(0) lgkmcnt(0)
	buffer_store_dword v6, off, s[0:3], 0 offset:4
	buffer_store_dword v5, off, s[0:3], 0
	flat_load_dwordx2 v[7:8], v[3:4]
	v_lshlrev_b64 v[5:6], 3, v[9:10]
	s_waitcnt vmcnt(0) lgkmcnt(0)
	buffer_store_dword v8, off, s[0:3], 0 offset:12
	buffer_store_dword v7, off, s[0:3], 0 offset:8
	v_add_co_u32 v5, vcc_lo, s4, v5
	v_add_co_ci_u32_e64 v6, null, s5, v6, vcc_lo
	v_lshlrev_b64 v[7:8], 3, v[12:13]
	flat_load_dwordx2 v[10:11], v[5:6]
	s_waitcnt vmcnt(0) lgkmcnt(0)
	buffer_store_dword v11, off, s[0:3], 0 offset:20
	buffer_store_dword v10, off, s[0:3], 0 offset:16
	v_add_co_u32 v7, vcc_lo, s4, v7
	v_add_co_ci_u32_e64 v8, null, s5, v8, vcc_lo
	v_add_nc_u32_e32 v11, s9, v12
	flat_load_dwordx2 v[13:14], v[7:8]
	s_waitcnt vmcnt(0) lgkmcnt(0)
	buffer_store_dword v14, off, s[0:3], 0 offset:28
	buffer_store_dword v13, off, s[0:3], 0 offset:24
	v_ashrrev_i32_e32 v12, 31, v11
	v_add_nc_u32_e32 v15, s9, v11
	v_lshlrev_b64 v[9:10], 3, v[11:12]
	v_ashrrev_i32_e32 v16, 31, v15
	v_add_nc_u32_e32 v18, s9, v15
	v_add_co_u32 v9, vcc_lo, s4, v9
	v_add_co_ci_u32_e64 v10, null, s5, v10, vcc_lo
	v_lshlrev_b64 v[11:12], 3, v[15:16]
	v_ashrrev_i32_e32 v19, 31, v18
	flat_load_dwordx2 v[13:14], v[9:10]
	s_waitcnt vmcnt(0) lgkmcnt(0)
	buffer_store_dword v14, off, s[0:3], 0 offset:36
	buffer_store_dword v13, off, s[0:3], 0 offset:32
	v_add_co_u32 v11, vcc_lo, s4, v11
	v_add_co_ci_u32_e64 v12, null, s5, v12, vcc_lo
	v_lshlrev_b64 v[13:14], 3, v[18:19]
	flat_load_dwordx2 v[16:17], v[11:12]
	s_waitcnt vmcnt(0) lgkmcnt(0)
	buffer_store_dword v17, off, s[0:3], 0 offset:44
	buffer_store_dword v16, off, s[0:3], 0 offset:40
	v_add_co_u32 v13, vcc_lo, s4, v13
	v_add_co_ci_u32_e64 v14, null, s5, v14, vcc_lo
	v_add_nc_u32_e32 v17, s9, v18
	flat_load_dwordx2 v[19:20], v[13:14]
	s_waitcnt vmcnt(0) lgkmcnt(0)
	buffer_store_dword v20, off, s[0:3], 0 offset:52
	buffer_store_dword v19, off, s[0:3], 0 offset:48
	v_ashrrev_i32_e32 v18, 31, v17
	v_add_nc_u32_e32 v21, s9, v17
	v_lshlrev_b64 v[15:16], 3, v[17:18]
	v_ashrrev_i32_e32 v22, 31, v21
	v_add_nc_u32_e32 v24, s9, v21
	v_add_co_u32 v15, vcc_lo, s4, v15
	v_add_co_ci_u32_e64 v16, null, s5, v16, vcc_lo
	v_lshlrev_b64 v[17:18], 3, v[21:22]
	v_ashrrev_i32_e32 v25, 31, v24
	flat_load_dwordx2 v[19:20], v[15:16]
	;; [unrolled: 27-line block ×11, first 2 shown]
	s_waitcnt vmcnt(0) lgkmcnt(0)
	buffer_store_dword v74, off, s[0:3], 0 offset:276
	buffer_store_dword v73, off, s[0:3], 0 offset:272
	v_add_co_u32 v71, vcc_lo, s4, v71
	v_add_co_ci_u32_e64 v72, null, s5, v72, vcc_lo
	v_lshlrev_b64 v[73:74], 3, v[78:79]
	flat_load_dwordx2 v[76:77], v[71:72]
	s_waitcnt vmcnt(0) lgkmcnt(0)
	buffer_store_dword v77, off, s[0:3], 0 offset:284
	buffer_store_dword v76, off, s[0:3], 0 offset:280
	v_add_co_u32 v73, vcc_lo, s4, v73
	v_add_co_ci_u32_e64 v74, null, s5, v74, vcc_lo
	v_add_nc_u32_e32 v77, s9, v78
	flat_load_dwordx2 v[79:80], v[73:74]
	s_waitcnt vmcnt(0) lgkmcnt(0)
	buffer_store_dword v80, off, s[0:3], 0 offset:292
	buffer_store_dword v79, off, s[0:3], 0 offset:288
	v_ashrrev_i32_e32 v78, 31, v77
	v_lshlrev_b64 v[75:76], 3, v[77:78]
	v_add_nc_u32_e32 v77, s9, v77
	v_add_co_u32 v75, vcc_lo, s4, v75
	v_add_co_ci_u32_e64 v76, null, s5, v76, vcc_lo
	v_ashrrev_i32_e32 v78, 31, v77
	flat_load_dwordx2 v[79:80], v[75:76]
	s_waitcnt vmcnt(0) lgkmcnt(0)
	buffer_store_dword v80, off, s[0:3], 0 offset:300
	buffer_store_dword v79, off, s[0:3], 0 offset:296
	v_lshlrev_b64 v[77:78], 3, v[77:78]
	v_add_co_u32 v77, vcc_lo, s4, v77
	v_add_co_ci_u32_e64 v78, null, s5, v78, vcc_lo
	s_mov_b32 s5, -1
	flat_load_dwordx2 v[79:80], v[77:78]
	s_waitcnt vmcnt(0) lgkmcnt(0)
	buffer_store_dword v80, off, s[0:3], 0 offset:308
	buffer_store_dword v79, off, s[0:3], 0 offset:304
	s_cbranch_scc1 .LBB102_168
; %bb.4:
	v_cmp_eq_u32_e64 s4, 0, v0
	s_and_saveexec_b32 s5, s4
; %bb.5:
	v_mov_b32_e32 v79, 0
	ds_write_b32 v79, v79 offset:312
; %bb.6:
	s_or_b32 exec_lo, exec_lo, s5
	v_lshl_add_u32 v83, v0, 3, 0
	s_waitcnt lgkmcnt(0)
	s_waitcnt_vscnt null, 0x0
	s_barrier
	buffer_gl0_inv
	s_clause 0x1
	buffer_load_dword v79, v83, s[0:3], 0 offen
	buffer_load_dword v80, v83, s[0:3], 0 offen offset:4
	s_waitcnt vmcnt(1)
	v_cmp_eq_f32_e32 vcc_lo, 0, v79
	s_waitcnt vmcnt(0)
	v_cmp_eq_f32_e64 s5, 0, v80
	s_and_b32 s5, vcc_lo, s5
	s_and_saveexec_b32 s8, s5
	s_cbranch_execz .LBB102_10
; %bb.7:
	v_mov_b32_e32 v79, 0
	s_mov_b32 s9, 0
	ds_read_b32 v80, v79 offset:312
	s_waitcnt lgkmcnt(0)
	v_readfirstlane_b32 s5, v80
	v_add_nc_u32_e32 v80, 1, v0
	s_cmp_eq_u32 s5, 0
	v_cmp_gt_i32_e32 vcc_lo, s5, v80
	s_cselect_b32 s14, -1, 0
	s_or_b32 s14, s14, vcc_lo
	s_and_b32 exec_lo, exec_lo, s14
	s_cbranch_execz .LBB102_10
; %bb.8:
	v_mov_b32_e32 v82, s5
.LBB102_9:                              ; =>This Inner Loop Header: Depth=1
	ds_cmpst_rtn_b32 v82, v79, v82, v80 offset:312
	s_waitcnt lgkmcnt(0)
	v_cmp_ne_u32_e32 vcc_lo, 0, v82
	v_cmp_le_i32_e64 s5, v82, v80
	s_and_b32 s5, vcc_lo, s5
	s_and_b32 s5, exec_lo, s5
	s_or_b32 s9, s5, s9
	s_andn2_b32 exec_lo, exec_lo, s9
	s_cbranch_execnz .LBB102_9
.LBB102_10:
	s_or_b32 exec_lo, exec_lo, s8
	v_mov_b32_e32 v79, 0
	s_barrier
	buffer_gl0_inv
	ds_read_b32 v80, v79 offset:312
	s_and_saveexec_b32 s5, s4
	s_cbranch_execz .LBB102_12
; %bb.11:
	s_lshl_b64 s[8:9], s[6:7], 2
	s_add_u32 s8, s10, s8
	s_addc_u32 s9, s11, s9
	s_waitcnt lgkmcnt(0)
	global_store_dword v79, v80, s[8:9]
.LBB102_12:
	s_or_b32 exec_lo, exec_lo, s5
	s_waitcnt lgkmcnt(0)
	v_cmp_ne_u32_e32 vcc_lo, 0, v80
	s_mov_b32 s5, 0
	s_cbranch_vccnz .LBB102_168
; %bb.13:
	s_clause 0x1
	buffer_load_dword v80, v83, s[0:3], 0 offen
	buffer_load_dword v82, v83, s[0:3], 0 offen offset:4
                                        ; implicit-def: $vgpr85
                                        ; implicit-def: $vgpr84
                                        ; implicit-def: $vgpr79
	s_waitcnt vmcnt(0)
	v_cmp_ngt_f32_e64 s5, |v80|, |v82|
	s_and_saveexec_b32 s8, s5
	s_xor_b32 s5, exec_lo, s8
	s_cbranch_execz .LBB102_15
; %bb.14:
	v_div_scale_f32 v79, null, v82, v82, v80
	v_div_scale_f32 v86, vcc_lo, v80, v82, v80
	v_rcp_f32_e32 v84, v79
	v_fma_f32 v85, -v79, v84, 1.0
	v_fmac_f32_e32 v84, v85, v84
	v_mul_f32_e32 v85, v86, v84
	v_fma_f32 v87, -v79, v85, v86
	v_fmac_f32_e32 v85, v87, v84
	v_fma_f32 v79, -v79, v85, v86
	v_div_fmas_f32 v79, v79, v84, v85
	v_div_fixup_f32 v79, v79, v82, v80
	v_fmac_f32_e32 v82, v80, v79
	v_div_scale_f32 v80, null, v82, v82, 1.0
	v_rcp_f32_e32 v84, v80
	v_fma_f32 v85, -v80, v84, 1.0
	v_fmac_f32_e32 v84, v85, v84
	v_div_scale_f32 v85, vcc_lo, 1.0, v82, 1.0
	v_mul_f32_e32 v86, v85, v84
	v_fma_f32 v87, -v80, v86, v85
	v_fmac_f32_e32 v86, v87, v84
	v_fma_f32 v80, -v80, v86, v85
	v_div_fmas_f32 v80, v80, v84, v86
	v_div_fixup_f32 v80, v80, v82, 1.0
                                        ; implicit-def: $vgpr82
	v_mul_f32_e32 v85, v79, v80
	v_xor_b32_e32 v84, 0x80000000, v80
                                        ; implicit-def: $vgpr80
	v_xor_b32_e32 v79, 0x80000000, v85
.LBB102_15:
	s_andn2_saveexec_b32 s5, s5
	s_cbranch_execz .LBB102_17
; %bb.16:
	v_div_scale_f32 v79, null, v80, v80, v82
	v_div_scale_f32 v86, vcc_lo, v82, v80, v82
	v_rcp_f32_e32 v84, v79
	v_fma_f32 v85, -v79, v84, 1.0
	v_fmac_f32_e32 v84, v85, v84
	v_mul_f32_e32 v85, v86, v84
	v_fma_f32 v87, -v79, v85, v86
	v_fmac_f32_e32 v85, v87, v84
	v_fma_f32 v79, -v79, v85, v86
	v_div_fmas_f32 v79, v79, v84, v85
	v_div_fixup_f32 v84, v79, v80, v82
	v_fmac_f32_e32 v80, v82, v84
	v_div_scale_f32 v79, null, v80, v80, 1.0
	v_div_scale_f32 v86, vcc_lo, 1.0, v80, 1.0
	v_rcp_f32_e32 v82, v79
	v_fma_f32 v85, -v79, v82, 1.0
	v_fmac_f32_e32 v82, v85, v82
	v_mul_f32_e32 v85, v86, v82
	v_fma_f32 v87, -v79, v85, v86
	v_fmac_f32_e32 v85, v87, v82
	v_fma_f32 v79, -v79, v85, v86
	v_div_fmas_f32 v79, v79, v82, v85
	v_div_fixup_f32 v85, v79, v80, 1.0
	v_xor_b32_e32 v79, 0x80000000, v85
	v_mul_f32_e64 v84, v84, -v85
.LBB102_17:
	s_or_b32 exec_lo, exec_lo, s5
	buffer_store_dword v85, v83, s[0:3], 0 offen
	buffer_store_dword v84, v83, s[0:3], 0 offen offset:4
	s_clause 0x1
	buffer_load_dword v86, off, s[0:3], 0 offset:12
	buffer_load_dword v85, off, s[0:3], 0 offset:8
	v_xor_b32_e32 v80, 0x80000000, v84
	v_add_nc_u32_e32 v82, 0x140, v81
	s_waitcnt vmcnt(0)
	ds_write2_b64 v81, v[79:80], v[85:86] offset1:40
	s_waitcnt lgkmcnt(0)
	s_waitcnt_vscnt null, 0x0
	s_barrier
	buffer_gl0_inv
	s_and_saveexec_b32 s5, s4
	s_cbranch_execz .LBB102_19
; %bb.18:
	s_clause 0x1
	buffer_load_dword v86, v83, s[0:3], 0 offen offset:4
	buffer_load_dword v87, v83, s[0:3], 0 offen
	ds_read_b64 v[79:80], v82
	v_mov_b32_e32 v84, 0
	ds_read_b64 v[84:85], v84 offset:8
	s_waitcnt vmcnt(1) lgkmcnt(1)
	v_mul_f32_e32 v88, v79, v86
	v_mul_f32_e32 v86, v80, v86
	s_waitcnt vmcnt(0)
	v_fmac_f32_e32 v88, v80, v87
	v_fma_f32 v79, v79, v87, -v86
	v_add_f32_e32 v80, 0, v88
	v_add_f32_e32 v79, 0, v79
	s_waitcnt lgkmcnt(0)
	v_mul_f32_e32 v86, v80, v85
	v_mul_f32_e32 v85, v79, v85
	v_fma_f32 v79, v79, v84, -v86
	v_fmac_f32_e32 v85, v80, v84
	buffer_store_dword v79, off, s[0:3], 0 offset:8
	buffer_store_dword v85, off, s[0:3], 0 offset:12
.LBB102_19:
	s_or_b32 exec_lo, exec_lo, s5
	s_waitcnt_vscnt null, 0x0
	s_barrier
	buffer_gl0_inv
	s_clause 0x1
	buffer_load_dword v79, off, s[0:3], 0 offset:16
	buffer_load_dword v80, off, s[0:3], 0 offset:20
	s_mov_b32 s5, exec_lo
	s_waitcnt vmcnt(0)
	ds_write_b64 v82, v[79:80]
	s_waitcnt lgkmcnt(0)
	s_barrier
	buffer_gl0_inv
	v_cmpx_gt_u32_e32 2, v0
	s_cbranch_execz .LBB102_23
; %bb.20:
	s_clause 0x1
	buffer_load_dword v84, v83, s[0:3], 0 offen offset:4
	buffer_load_dword v83, v83, s[0:3], 0 offen
	ds_read_b64 v[79:80], v82
	s_waitcnt vmcnt(1) lgkmcnt(0)
	v_mul_f32_e32 v85, v80, v84
	v_mul_f32_e32 v84, v79, v84
	s_waitcnt vmcnt(0)
	v_fma_f32 v79, v79, v83, -v85
	v_fmac_f32_e32 v84, v80, v83
	v_add_f32_e32 v80, 0, v79
	v_add_f32_e32 v79, 0, v84
	s_and_saveexec_b32 s8, s4
	s_cbranch_execz .LBB102_22
; %bb.21:
	s_clause 0x1
	buffer_load_dword v85, off, s[0:3], 0 offset:12
	buffer_load_dword v86, off, s[0:3], 0 offset:8
	v_mov_b32_e32 v83, 0
	ds_read_b64 v[83:84], v83 offset:328
	s_waitcnt vmcnt(1) lgkmcnt(0)
	v_mul_f32_e32 v87, v83, v85
	v_mul_f32_e32 v85, v84, v85
	s_waitcnt vmcnt(0)
	v_fmac_f32_e32 v87, v84, v86
	v_fma_f32 v83, v83, v86, -v85
	v_add_f32_e32 v79, v79, v87
	v_add_f32_e32 v80, v80, v83
.LBB102_22:
	s_or_b32 exec_lo, exec_lo, s8
	v_mov_b32_e32 v83, 0
	ds_read_b64 v[83:84], v83 offset:16
	s_waitcnt lgkmcnt(0)
	v_mul_f32_e32 v85, v79, v84
	v_mul_f32_e32 v84, v80, v84
	v_fma_f32 v80, v80, v83, -v85
	v_fmac_f32_e32 v84, v79, v83
	buffer_store_dword v80, off, s[0:3], 0 offset:16
	buffer_store_dword v84, off, s[0:3], 0 offset:20
.LBB102_23:
	s_or_b32 exec_lo, exec_lo, s5
	s_waitcnt_vscnt null, 0x0
	s_barrier
	buffer_gl0_inv
	s_clause 0x1
	buffer_load_dword v83, off, s[0:3], 0 offset:24
	buffer_load_dword v84, off, s[0:3], 0 offset:28
	v_add_nc_u32_e32 v79, -1, v0
	s_mov_b32 s4, exec_lo
	s_waitcnt vmcnt(0)
	ds_write_b64 v82, v[83:84]
	s_waitcnt lgkmcnt(0)
	s_barrier
	buffer_gl0_inv
	v_cmpx_gt_u32_e32 3, v0
	s_cbranch_execz .LBB102_27
; %bb.24:
	v_add_nc_u32_e32 v83, -1, v0
	v_add_nc_u32_e32 v84, 0x140, v81
	v_mov_b32_e32 v85, v81
	v_mov_b32_e32 v80, 0
	;; [unrolled: 1-line block ×3, first 2 shown]
	s_mov_b32 s5, 0
	.p2align	6
.LBB102_25:                             ; =>This Inner Loop Header: Depth=1
	s_clause 0x1
	buffer_load_dword v89, v85, s[0:3], 0 offen offset:4
	buffer_load_dword v90, v85, s[0:3], 0 offen
	ds_read_b64 v[87:88], v84
	v_add_nc_u32_e32 v83, 1, v83
	v_add_nc_u32_e32 v84, 8, v84
	;; [unrolled: 1-line block ×3, first 2 shown]
	v_cmp_lt_u32_e32 vcc_lo, 1, v83
	s_or_b32 s5, vcc_lo, s5
	s_waitcnt vmcnt(1) lgkmcnt(0)
	v_mul_f32_e32 v91, v88, v89
	v_mul_f32_e32 v89, v87, v89
	s_waitcnt vmcnt(0)
	v_fma_f32 v87, v87, v90, -v91
	v_fmac_f32_e32 v89, v88, v90
	v_add_f32_e32 v86, v86, v87
	v_add_f32_e32 v80, v80, v89
	s_andn2_b32 exec_lo, exec_lo, s5
	s_cbranch_execnz .LBB102_25
; %bb.26:
	s_or_b32 exec_lo, exec_lo, s5
	v_mov_b32_e32 v83, 0
	ds_read_b64 v[83:84], v83 offset:24
	s_waitcnt lgkmcnt(0)
	v_mul_f32_e32 v85, v80, v84
	v_mul_f32_e32 v84, v86, v84
	v_fma_f32 v85, v86, v83, -v85
	v_fmac_f32_e32 v84, v80, v83
	buffer_store_dword v85, off, s[0:3], 0 offset:24
	buffer_store_dword v84, off, s[0:3], 0 offset:28
.LBB102_27:
	s_or_b32 exec_lo, exec_lo, s4
	s_waitcnt_vscnt null, 0x0
	s_barrier
	buffer_gl0_inv
	s_clause 0x1
	buffer_load_dword v83, off, s[0:3], 0 offset:32
	buffer_load_dword v84, off, s[0:3], 0 offset:36
	s_mov_b32 s4, exec_lo
	s_waitcnt vmcnt(0)
	ds_write_b64 v82, v[83:84]
	s_waitcnt lgkmcnt(0)
	s_barrier
	buffer_gl0_inv
	v_cmpx_gt_u32_e32 4, v0
	s_cbranch_execz .LBB102_31
; %bb.28:
	v_add_nc_u32_e32 v83, -1, v0
	v_add_nc_u32_e32 v84, 0x140, v81
	v_mov_b32_e32 v85, v81
	v_mov_b32_e32 v80, 0
	v_mov_b32_e32 v86, 0
	s_mov_b32 s5, 0
	.p2align	6
.LBB102_29:                             ; =>This Inner Loop Header: Depth=1
	s_clause 0x1
	buffer_load_dword v89, v85, s[0:3], 0 offen offset:4
	buffer_load_dword v90, v85, s[0:3], 0 offen
	ds_read_b64 v[87:88], v84
	v_add_nc_u32_e32 v83, 1, v83
	v_add_nc_u32_e32 v84, 8, v84
	;; [unrolled: 1-line block ×3, first 2 shown]
	v_cmp_lt_u32_e32 vcc_lo, 2, v83
	s_or_b32 s5, vcc_lo, s5
	s_waitcnt vmcnt(1) lgkmcnt(0)
	v_mul_f32_e32 v91, v88, v89
	v_mul_f32_e32 v89, v87, v89
	s_waitcnt vmcnt(0)
	v_fma_f32 v87, v87, v90, -v91
	v_fmac_f32_e32 v89, v88, v90
	v_add_f32_e32 v86, v86, v87
	v_add_f32_e32 v80, v80, v89
	s_andn2_b32 exec_lo, exec_lo, s5
	s_cbranch_execnz .LBB102_29
; %bb.30:
	s_or_b32 exec_lo, exec_lo, s5
	v_mov_b32_e32 v83, 0
	ds_read_b64 v[83:84], v83 offset:32
	s_waitcnt lgkmcnt(0)
	v_mul_f32_e32 v85, v80, v84
	v_mul_f32_e32 v84, v86, v84
	v_fma_f32 v85, v86, v83, -v85
	v_fmac_f32_e32 v84, v80, v83
	buffer_store_dword v85, off, s[0:3], 0 offset:32
	buffer_store_dword v84, off, s[0:3], 0 offset:36
.LBB102_31:
	s_or_b32 exec_lo, exec_lo, s4
	s_waitcnt_vscnt null, 0x0
	s_barrier
	buffer_gl0_inv
	s_clause 0x1
	buffer_load_dword v83, off, s[0:3], 0 offset:40
	buffer_load_dword v84, off, s[0:3], 0 offset:44
	s_mov_b32 s4, exec_lo
	s_waitcnt vmcnt(0)
	ds_write_b64 v82, v[83:84]
	s_waitcnt lgkmcnt(0)
	s_barrier
	buffer_gl0_inv
	v_cmpx_gt_u32_e32 5, v0
	s_cbranch_execz .LBB102_35
; %bb.32:
	v_add_nc_u32_e32 v83, -1, v0
	v_add_nc_u32_e32 v84, 0x140, v81
	v_mov_b32_e32 v85, v81
	v_mov_b32_e32 v80, 0
	;; [unrolled: 1-line block ×3, first 2 shown]
	s_mov_b32 s5, 0
	.p2align	6
.LBB102_33:                             ; =>This Inner Loop Header: Depth=1
	s_clause 0x1
	buffer_load_dword v89, v85, s[0:3], 0 offen offset:4
	buffer_load_dword v90, v85, s[0:3], 0 offen
	ds_read_b64 v[87:88], v84
	v_add_nc_u32_e32 v83, 1, v83
	v_add_nc_u32_e32 v84, 8, v84
	;; [unrolled: 1-line block ×3, first 2 shown]
	v_cmp_lt_u32_e32 vcc_lo, 3, v83
	s_or_b32 s5, vcc_lo, s5
	s_waitcnt vmcnt(1) lgkmcnt(0)
	v_mul_f32_e32 v91, v88, v89
	v_mul_f32_e32 v89, v87, v89
	s_waitcnt vmcnt(0)
	v_fma_f32 v87, v87, v90, -v91
	v_fmac_f32_e32 v89, v88, v90
	v_add_f32_e32 v86, v86, v87
	v_add_f32_e32 v80, v80, v89
	s_andn2_b32 exec_lo, exec_lo, s5
	s_cbranch_execnz .LBB102_33
; %bb.34:
	s_or_b32 exec_lo, exec_lo, s5
	v_mov_b32_e32 v83, 0
	ds_read_b64 v[83:84], v83 offset:40
	s_waitcnt lgkmcnt(0)
	v_mul_f32_e32 v85, v80, v84
	v_mul_f32_e32 v84, v86, v84
	v_fma_f32 v85, v86, v83, -v85
	v_fmac_f32_e32 v84, v80, v83
	buffer_store_dword v85, off, s[0:3], 0 offset:40
	buffer_store_dword v84, off, s[0:3], 0 offset:44
.LBB102_35:
	s_or_b32 exec_lo, exec_lo, s4
	s_waitcnt_vscnt null, 0x0
	s_barrier
	buffer_gl0_inv
	s_clause 0x1
	buffer_load_dword v83, off, s[0:3], 0 offset:48
	buffer_load_dword v84, off, s[0:3], 0 offset:52
	s_mov_b32 s4, exec_lo
	s_waitcnt vmcnt(0)
	ds_write_b64 v82, v[83:84]
	s_waitcnt lgkmcnt(0)
	s_barrier
	buffer_gl0_inv
	v_cmpx_gt_u32_e32 6, v0
	s_cbranch_execz .LBB102_39
; %bb.36:
	v_add_nc_u32_e32 v83, -1, v0
	v_add_nc_u32_e32 v84, 0x140, v81
	v_mov_b32_e32 v85, v81
	v_mov_b32_e32 v80, 0
	;; [unrolled: 1-line block ×3, first 2 shown]
	s_mov_b32 s5, 0
	.p2align	6
.LBB102_37:                             ; =>This Inner Loop Header: Depth=1
	s_clause 0x1
	buffer_load_dword v89, v85, s[0:3], 0 offen offset:4
	buffer_load_dword v90, v85, s[0:3], 0 offen
	ds_read_b64 v[87:88], v84
	v_add_nc_u32_e32 v83, 1, v83
	v_add_nc_u32_e32 v84, 8, v84
	;; [unrolled: 1-line block ×3, first 2 shown]
	v_cmp_lt_u32_e32 vcc_lo, 4, v83
	s_or_b32 s5, vcc_lo, s5
	s_waitcnt vmcnt(1) lgkmcnt(0)
	v_mul_f32_e32 v91, v88, v89
	v_mul_f32_e32 v89, v87, v89
	s_waitcnt vmcnt(0)
	v_fma_f32 v87, v87, v90, -v91
	v_fmac_f32_e32 v89, v88, v90
	v_add_f32_e32 v86, v86, v87
	v_add_f32_e32 v80, v80, v89
	s_andn2_b32 exec_lo, exec_lo, s5
	s_cbranch_execnz .LBB102_37
; %bb.38:
	s_or_b32 exec_lo, exec_lo, s5
	v_mov_b32_e32 v83, 0
	ds_read_b64 v[83:84], v83 offset:48
	s_waitcnt lgkmcnt(0)
	v_mul_f32_e32 v85, v80, v84
	v_mul_f32_e32 v84, v86, v84
	v_fma_f32 v85, v86, v83, -v85
	v_fmac_f32_e32 v84, v80, v83
	buffer_store_dword v85, off, s[0:3], 0 offset:48
	buffer_store_dword v84, off, s[0:3], 0 offset:52
.LBB102_39:
	s_or_b32 exec_lo, exec_lo, s4
	s_waitcnt_vscnt null, 0x0
	s_barrier
	buffer_gl0_inv
	s_clause 0x1
	buffer_load_dword v83, off, s[0:3], 0 offset:56
	buffer_load_dword v84, off, s[0:3], 0 offset:60
	s_mov_b32 s4, exec_lo
	s_waitcnt vmcnt(0)
	ds_write_b64 v82, v[83:84]
	s_waitcnt lgkmcnt(0)
	s_barrier
	buffer_gl0_inv
	v_cmpx_gt_u32_e32 7, v0
	s_cbranch_execz .LBB102_43
; %bb.40:
	v_add_nc_u32_e32 v83, -1, v0
	v_add_nc_u32_e32 v84, 0x140, v81
	v_mov_b32_e32 v85, v81
	v_mov_b32_e32 v80, 0
	;; [unrolled: 1-line block ×3, first 2 shown]
	s_mov_b32 s5, 0
	.p2align	6
.LBB102_41:                             ; =>This Inner Loop Header: Depth=1
	s_clause 0x1
	buffer_load_dword v89, v85, s[0:3], 0 offen offset:4
	buffer_load_dword v90, v85, s[0:3], 0 offen
	ds_read_b64 v[87:88], v84
	v_add_nc_u32_e32 v83, 1, v83
	v_add_nc_u32_e32 v84, 8, v84
	;; [unrolled: 1-line block ×3, first 2 shown]
	v_cmp_lt_u32_e32 vcc_lo, 5, v83
	s_or_b32 s5, vcc_lo, s5
	s_waitcnt vmcnt(1) lgkmcnt(0)
	v_mul_f32_e32 v91, v88, v89
	v_mul_f32_e32 v89, v87, v89
	s_waitcnt vmcnt(0)
	v_fma_f32 v87, v87, v90, -v91
	v_fmac_f32_e32 v89, v88, v90
	v_add_f32_e32 v86, v86, v87
	v_add_f32_e32 v80, v80, v89
	s_andn2_b32 exec_lo, exec_lo, s5
	s_cbranch_execnz .LBB102_41
; %bb.42:
	s_or_b32 exec_lo, exec_lo, s5
	v_mov_b32_e32 v83, 0
	ds_read_b64 v[83:84], v83 offset:56
	s_waitcnt lgkmcnt(0)
	v_mul_f32_e32 v85, v80, v84
	v_mul_f32_e32 v84, v86, v84
	v_fma_f32 v85, v86, v83, -v85
	v_fmac_f32_e32 v84, v80, v83
	buffer_store_dword v85, off, s[0:3], 0 offset:56
	buffer_store_dword v84, off, s[0:3], 0 offset:60
.LBB102_43:
	s_or_b32 exec_lo, exec_lo, s4
	s_waitcnt_vscnt null, 0x0
	s_barrier
	buffer_gl0_inv
	s_clause 0x1
	buffer_load_dword v83, off, s[0:3], 0 offset:64
	buffer_load_dword v84, off, s[0:3], 0 offset:68
	s_mov_b32 s4, exec_lo
	s_waitcnt vmcnt(0)
	ds_write_b64 v82, v[83:84]
	s_waitcnt lgkmcnt(0)
	s_barrier
	buffer_gl0_inv
	v_cmpx_gt_u32_e32 8, v0
	s_cbranch_execz .LBB102_47
; %bb.44:
	v_add_nc_u32_e32 v83, -1, v0
	v_add_nc_u32_e32 v84, 0x140, v81
	v_mov_b32_e32 v85, v81
	v_mov_b32_e32 v80, 0
	v_mov_b32_e32 v86, 0
	s_mov_b32 s5, 0
	.p2align	6
.LBB102_45:                             ; =>This Inner Loop Header: Depth=1
	s_clause 0x1
	buffer_load_dword v89, v85, s[0:3], 0 offen offset:4
	buffer_load_dword v90, v85, s[0:3], 0 offen
	ds_read_b64 v[87:88], v84
	v_add_nc_u32_e32 v83, 1, v83
	v_add_nc_u32_e32 v84, 8, v84
	;; [unrolled: 1-line block ×3, first 2 shown]
	v_cmp_lt_u32_e32 vcc_lo, 6, v83
	s_or_b32 s5, vcc_lo, s5
	s_waitcnt vmcnt(1) lgkmcnt(0)
	v_mul_f32_e32 v91, v88, v89
	v_mul_f32_e32 v89, v87, v89
	s_waitcnt vmcnt(0)
	v_fma_f32 v87, v87, v90, -v91
	v_fmac_f32_e32 v89, v88, v90
	v_add_f32_e32 v86, v86, v87
	v_add_f32_e32 v80, v80, v89
	s_andn2_b32 exec_lo, exec_lo, s5
	s_cbranch_execnz .LBB102_45
; %bb.46:
	s_or_b32 exec_lo, exec_lo, s5
	v_mov_b32_e32 v83, 0
	ds_read_b64 v[83:84], v83 offset:64
	s_waitcnt lgkmcnt(0)
	v_mul_f32_e32 v85, v80, v84
	v_mul_f32_e32 v84, v86, v84
	v_fma_f32 v85, v86, v83, -v85
	v_fmac_f32_e32 v84, v80, v83
	buffer_store_dword v85, off, s[0:3], 0 offset:64
	buffer_store_dword v84, off, s[0:3], 0 offset:68
.LBB102_47:
	s_or_b32 exec_lo, exec_lo, s4
	s_waitcnt_vscnt null, 0x0
	s_barrier
	buffer_gl0_inv
	s_clause 0x1
	buffer_load_dword v83, off, s[0:3], 0 offset:72
	buffer_load_dword v84, off, s[0:3], 0 offset:76
	s_mov_b32 s4, exec_lo
	s_waitcnt vmcnt(0)
	ds_write_b64 v82, v[83:84]
	s_waitcnt lgkmcnt(0)
	s_barrier
	buffer_gl0_inv
	v_cmpx_gt_u32_e32 9, v0
	s_cbranch_execz .LBB102_51
; %bb.48:
	v_add_nc_u32_e32 v83, -1, v0
	v_add_nc_u32_e32 v84, 0x140, v81
	v_mov_b32_e32 v85, v81
	v_mov_b32_e32 v80, 0
	;; [unrolled: 1-line block ×3, first 2 shown]
	s_mov_b32 s5, 0
	.p2align	6
.LBB102_49:                             ; =>This Inner Loop Header: Depth=1
	s_clause 0x1
	buffer_load_dword v89, v85, s[0:3], 0 offen offset:4
	buffer_load_dword v90, v85, s[0:3], 0 offen
	ds_read_b64 v[87:88], v84
	v_add_nc_u32_e32 v83, 1, v83
	v_add_nc_u32_e32 v84, 8, v84
	;; [unrolled: 1-line block ×3, first 2 shown]
	v_cmp_lt_u32_e32 vcc_lo, 7, v83
	s_or_b32 s5, vcc_lo, s5
	s_waitcnt vmcnt(1) lgkmcnt(0)
	v_mul_f32_e32 v91, v88, v89
	v_mul_f32_e32 v89, v87, v89
	s_waitcnt vmcnt(0)
	v_fma_f32 v87, v87, v90, -v91
	v_fmac_f32_e32 v89, v88, v90
	v_add_f32_e32 v86, v86, v87
	v_add_f32_e32 v80, v80, v89
	s_andn2_b32 exec_lo, exec_lo, s5
	s_cbranch_execnz .LBB102_49
; %bb.50:
	s_or_b32 exec_lo, exec_lo, s5
	v_mov_b32_e32 v83, 0
	ds_read_b64 v[83:84], v83 offset:72
	s_waitcnt lgkmcnt(0)
	v_mul_f32_e32 v85, v80, v84
	v_mul_f32_e32 v84, v86, v84
	v_fma_f32 v85, v86, v83, -v85
	v_fmac_f32_e32 v84, v80, v83
	buffer_store_dword v85, off, s[0:3], 0 offset:72
	buffer_store_dword v84, off, s[0:3], 0 offset:76
.LBB102_51:
	s_or_b32 exec_lo, exec_lo, s4
	s_waitcnt_vscnt null, 0x0
	s_barrier
	buffer_gl0_inv
	s_clause 0x1
	buffer_load_dword v83, off, s[0:3], 0 offset:80
	buffer_load_dword v84, off, s[0:3], 0 offset:84
	s_mov_b32 s4, exec_lo
	s_waitcnt vmcnt(0)
	ds_write_b64 v82, v[83:84]
	s_waitcnt lgkmcnt(0)
	s_barrier
	buffer_gl0_inv
	v_cmpx_gt_u32_e32 10, v0
	s_cbranch_execz .LBB102_55
; %bb.52:
	v_add_nc_u32_e32 v83, -1, v0
	v_add_nc_u32_e32 v84, 0x140, v81
	v_mov_b32_e32 v85, v81
	v_mov_b32_e32 v80, 0
	;; [unrolled: 1-line block ×3, first 2 shown]
	s_mov_b32 s5, 0
	.p2align	6
.LBB102_53:                             ; =>This Inner Loop Header: Depth=1
	s_clause 0x1
	buffer_load_dword v89, v85, s[0:3], 0 offen offset:4
	buffer_load_dword v90, v85, s[0:3], 0 offen
	ds_read_b64 v[87:88], v84
	v_add_nc_u32_e32 v83, 1, v83
	v_add_nc_u32_e32 v84, 8, v84
	;; [unrolled: 1-line block ×3, first 2 shown]
	v_cmp_lt_u32_e32 vcc_lo, 8, v83
	s_or_b32 s5, vcc_lo, s5
	s_waitcnt vmcnt(1) lgkmcnt(0)
	v_mul_f32_e32 v91, v88, v89
	v_mul_f32_e32 v89, v87, v89
	s_waitcnt vmcnt(0)
	v_fma_f32 v87, v87, v90, -v91
	v_fmac_f32_e32 v89, v88, v90
	v_add_f32_e32 v86, v86, v87
	v_add_f32_e32 v80, v80, v89
	s_andn2_b32 exec_lo, exec_lo, s5
	s_cbranch_execnz .LBB102_53
; %bb.54:
	s_or_b32 exec_lo, exec_lo, s5
	v_mov_b32_e32 v83, 0
	ds_read_b64 v[83:84], v83 offset:80
	s_waitcnt lgkmcnt(0)
	v_mul_f32_e32 v85, v80, v84
	v_mul_f32_e32 v84, v86, v84
	v_fma_f32 v85, v86, v83, -v85
	v_fmac_f32_e32 v84, v80, v83
	buffer_store_dword v85, off, s[0:3], 0 offset:80
	buffer_store_dword v84, off, s[0:3], 0 offset:84
.LBB102_55:
	s_or_b32 exec_lo, exec_lo, s4
	s_waitcnt_vscnt null, 0x0
	s_barrier
	buffer_gl0_inv
	s_clause 0x1
	buffer_load_dword v83, off, s[0:3], 0 offset:88
	buffer_load_dword v84, off, s[0:3], 0 offset:92
	s_mov_b32 s4, exec_lo
	s_waitcnt vmcnt(0)
	ds_write_b64 v82, v[83:84]
	s_waitcnt lgkmcnt(0)
	s_barrier
	buffer_gl0_inv
	v_cmpx_gt_u32_e32 11, v0
	s_cbranch_execz .LBB102_59
; %bb.56:
	v_add_nc_u32_e32 v83, -1, v0
	v_add_nc_u32_e32 v84, 0x140, v81
	v_mov_b32_e32 v85, v81
	v_mov_b32_e32 v80, 0
	;; [unrolled: 1-line block ×3, first 2 shown]
	s_mov_b32 s5, 0
	.p2align	6
.LBB102_57:                             ; =>This Inner Loop Header: Depth=1
	s_clause 0x1
	buffer_load_dword v89, v85, s[0:3], 0 offen offset:4
	buffer_load_dword v90, v85, s[0:3], 0 offen
	ds_read_b64 v[87:88], v84
	v_add_nc_u32_e32 v83, 1, v83
	v_add_nc_u32_e32 v84, 8, v84
	;; [unrolled: 1-line block ×3, first 2 shown]
	v_cmp_lt_u32_e32 vcc_lo, 9, v83
	s_or_b32 s5, vcc_lo, s5
	s_waitcnt vmcnt(1) lgkmcnt(0)
	v_mul_f32_e32 v91, v88, v89
	v_mul_f32_e32 v89, v87, v89
	s_waitcnt vmcnt(0)
	v_fma_f32 v87, v87, v90, -v91
	v_fmac_f32_e32 v89, v88, v90
	v_add_f32_e32 v86, v86, v87
	v_add_f32_e32 v80, v80, v89
	s_andn2_b32 exec_lo, exec_lo, s5
	s_cbranch_execnz .LBB102_57
; %bb.58:
	s_or_b32 exec_lo, exec_lo, s5
	v_mov_b32_e32 v83, 0
	ds_read_b64 v[83:84], v83 offset:88
	s_waitcnt lgkmcnt(0)
	v_mul_f32_e32 v85, v80, v84
	v_mul_f32_e32 v84, v86, v84
	v_fma_f32 v85, v86, v83, -v85
	v_fmac_f32_e32 v84, v80, v83
	buffer_store_dword v85, off, s[0:3], 0 offset:88
	buffer_store_dword v84, off, s[0:3], 0 offset:92
.LBB102_59:
	s_or_b32 exec_lo, exec_lo, s4
	s_waitcnt_vscnt null, 0x0
	s_barrier
	buffer_gl0_inv
	s_clause 0x1
	buffer_load_dword v83, off, s[0:3], 0 offset:96
	buffer_load_dword v84, off, s[0:3], 0 offset:100
	s_mov_b32 s4, exec_lo
	s_waitcnt vmcnt(0)
	ds_write_b64 v82, v[83:84]
	s_waitcnt lgkmcnt(0)
	s_barrier
	buffer_gl0_inv
	v_cmpx_gt_u32_e32 12, v0
	s_cbranch_execz .LBB102_63
; %bb.60:
	v_add_nc_u32_e32 v83, -1, v0
	v_add_nc_u32_e32 v84, 0x140, v81
	v_mov_b32_e32 v85, v81
	v_mov_b32_e32 v80, 0
	;; [unrolled: 1-line block ×3, first 2 shown]
	s_mov_b32 s5, 0
	.p2align	6
.LBB102_61:                             ; =>This Inner Loop Header: Depth=1
	s_clause 0x1
	buffer_load_dword v89, v85, s[0:3], 0 offen offset:4
	buffer_load_dword v90, v85, s[0:3], 0 offen
	ds_read_b64 v[87:88], v84
	v_add_nc_u32_e32 v83, 1, v83
	v_add_nc_u32_e32 v84, 8, v84
	;; [unrolled: 1-line block ×3, first 2 shown]
	v_cmp_lt_u32_e32 vcc_lo, 10, v83
	s_or_b32 s5, vcc_lo, s5
	s_waitcnt vmcnt(1) lgkmcnt(0)
	v_mul_f32_e32 v91, v88, v89
	v_mul_f32_e32 v89, v87, v89
	s_waitcnt vmcnt(0)
	v_fma_f32 v87, v87, v90, -v91
	v_fmac_f32_e32 v89, v88, v90
	v_add_f32_e32 v86, v86, v87
	v_add_f32_e32 v80, v80, v89
	s_andn2_b32 exec_lo, exec_lo, s5
	s_cbranch_execnz .LBB102_61
; %bb.62:
	s_or_b32 exec_lo, exec_lo, s5
	v_mov_b32_e32 v83, 0
	ds_read_b64 v[83:84], v83 offset:96
	s_waitcnt lgkmcnt(0)
	v_mul_f32_e32 v85, v80, v84
	v_mul_f32_e32 v84, v86, v84
	v_fma_f32 v85, v86, v83, -v85
	v_fmac_f32_e32 v84, v80, v83
	buffer_store_dword v85, off, s[0:3], 0 offset:96
	buffer_store_dword v84, off, s[0:3], 0 offset:100
.LBB102_63:
	s_or_b32 exec_lo, exec_lo, s4
	s_waitcnt_vscnt null, 0x0
	s_barrier
	buffer_gl0_inv
	s_clause 0x1
	buffer_load_dword v83, off, s[0:3], 0 offset:104
	buffer_load_dword v84, off, s[0:3], 0 offset:108
	s_mov_b32 s4, exec_lo
	s_waitcnt vmcnt(0)
	ds_write_b64 v82, v[83:84]
	s_waitcnt lgkmcnt(0)
	s_barrier
	buffer_gl0_inv
	v_cmpx_gt_u32_e32 13, v0
	s_cbranch_execz .LBB102_67
; %bb.64:
	v_add_nc_u32_e32 v83, -1, v0
	v_add_nc_u32_e32 v84, 0x140, v81
	v_mov_b32_e32 v85, v81
	v_mov_b32_e32 v80, 0
	;; [unrolled: 1-line block ×3, first 2 shown]
	s_mov_b32 s5, 0
	.p2align	6
.LBB102_65:                             ; =>This Inner Loop Header: Depth=1
	s_clause 0x1
	buffer_load_dword v89, v85, s[0:3], 0 offen offset:4
	buffer_load_dword v90, v85, s[0:3], 0 offen
	ds_read_b64 v[87:88], v84
	v_add_nc_u32_e32 v83, 1, v83
	v_add_nc_u32_e32 v84, 8, v84
	;; [unrolled: 1-line block ×3, first 2 shown]
	v_cmp_lt_u32_e32 vcc_lo, 11, v83
	s_or_b32 s5, vcc_lo, s5
	s_waitcnt vmcnt(1) lgkmcnt(0)
	v_mul_f32_e32 v91, v88, v89
	v_mul_f32_e32 v89, v87, v89
	s_waitcnt vmcnt(0)
	v_fma_f32 v87, v87, v90, -v91
	v_fmac_f32_e32 v89, v88, v90
	v_add_f32_e32 v86, v86, v87
	v_add_f32_e32 v80, v80, v89
	s_andn2_b32 exec_lo, exec_lo, s5
	s_cbranch_execnz .LBB102_65
; %bb.66:
	s_or_b32 exec_lo, exec_lo, s5
	v_mov_b32_e32 v83, 0
	ds_read_b64 v[83:84], v83 offset:104
	s_waitcnt lgkmcnt(0)
	v_mul_f32_e32 v85, v80, v84
	v_mul_f32_e32 v84, v86, v84
	v_fma_f32 v85, v86, v83, -v85
	v_fmac_f32_e32 v84, v80, v83
	buffer_store_dword v85, off, s[0:3], 0 offset:104
	buffer_store_dword v84, off, s[0:3], 0 offset:108
.LBB102_67:
	s_or_b32 exec_lo, exec_lo, s4
	s_waitcnt_vscnt null, 0x0
	s_barrier
	buffer_gl0_inv
	s_clause 0x1
	buffer_load_dword v83, off, s[0:3], 0 offset:112
	buffer_load_dword v84, off, s[0:3], 0 offset:116
	s_mov_b32 s4, exec_lo
	s_waitcnt vmcnt(0)
	ds_write_b64 v82, v[83:84]
	s_waitcnt lgkmcnt(0)
	s_barrier
	buffer_gl0_inv
	v_cmpx_gt_u32_e32 14, v0
	s_cbranch_execz .LBB102_71
; %bb.68:
	v_add_nc_u32_e32 v83, -1, v0
	v_add_nc_u32_e32 v84, 0x140, v81
	v_mov_b32_e32 v85, v81
	v_mov_b32_e32 v80, 0
	;; [unrolled: 1-line block ×3, first 2 shown]
	s_mov_b32 s5, 0
	.p2align	6
.LBB102_69:                             ; =>This Inner Loop Header: Depth=1
	s_clause 0x1
	buffer_load_dword v89, v85, s[0:3], 0 offen offset:4
	buffer_load_dword v90, v85, s[0:3], 0 offen
	ds_read_b64 v[87:88], v84
	v_add_nc_u32_e32 v83, 1, v83
	v_add_nc_u32_e32 v84, 8, v84
	;; [unrolled: 1-line block ×3, first 2 shown]
	v_cmp_lt_u32_e32 vcc_lo, 12, v83
	s_or_b32 s5, vcc_lo, s5
	s_waitcnt vmcnt(1) lgkmcnt(0)
	v_mul_f32_e32 v91, v88, v89
	v_mul_f32_e32 v89, v87, v89
	s_waitcnt vmcnt(0)
	v_fma_f32 v87, v87, v90, -v91
	v_fmac_f32_e32 v89, v88, v90
	v_add_f32_e32 v86, v86, v87
	v_add_f32_e32 v80, v80, v89
	s_andn2_b32 exec_lo, exec_lo, s5
	s_cbranch_execnz .LBB102_69
; %bb.70:
	s_or_b32 exec_lo, exec_lo, s5
	v_mov_b32_e32 v83, 0
	ds_read_b64 v[83:84], v83 offset:112
	s_waitcnt lgkmcnt(0)
	v_mul_f32_e32 v85, v80, v84
	v_mul_f32_e32 v84, v86, v84
	v_fma_f32 v85, v86, v83, -v85
	v_fmac_f32_e32 v84, v80, v83
	buffer_store_dword v85, off, s[0:3], 0 offset:112
	buffer_store_dword v84, off, s[0:3], 0 offset:116
.LBB102_71:
	s_or_b32 exec_lo, exec_lo, s4
	s_waitcnt_vscnt null, 0x0
	s_barrier
	buffer_gl0_inv
	s_clause 0x1
	buffer_load_dword v83, off, s[0:3], 0 offset:120
	buffer_load_dword v84, off, s[0:3], 0 offset:124
	s_mov_b32 s4, exec_lo
	s_waitcnt vmcnt(0)
	ds_write_b64 v82, v[83:84]
	s_waitcnt lgkmcnt(0)
	s_barrier
	buffer_gl0_inv
	v_cmpx_gt_u32_e32 15, v0
	s_cbranch_execz .LBB102_75
; %bb.72:
	v_add_nc_u32_e32 v83, -1, v0
	v_add_nc_u32_e32 v84, 0x140, v81
	v_mov_b32_e32 v85, v81
	v_mov_b32_e32 v80, 0
	;; [unrolled: 1-line block ×3, first 2 shown]
	s_mov_b32 s5, 0
	.p2align	6
.LBB102_73:                             ; =>This Inner Loop Header: Depth=1
	s_clause 0x1
	buffer_load_dword v89, v85, s[0:3], 0 offen offset:4
	buffer_load_dword v90, v85, s[0:3], 0 offen
	ds_read_b64 v[87:88], v84
	v_add_nc_u32_e32 v83, 1, v83
	v_add_nc_u32_e32 v84, 8, v84
	;; [unrolled: 1-line block ×3, first 2 shown]
	v_cmp_lt_u32_e32 vcc_lo, 13, v83
	s_or_b32 s5, vcc_lo, s5
	s_waitcnt vmcnt(1) lgkmcnt(0)
	v_mul_f32_e32 v91, v88, v89
	v_mul_f32_e32 v89, v87, v89
	s_waitcnt vmcnt(0)
	v_fma_f32 v87, v87, v90, -v91
	v_fmac_f32_e32 v89, v88, v90
	v_add_f32_e32 v86, v86, v87
	v_add_f32_e32 v80, v80, v89
	s_andn2_b32 exec_lo, exec_lo, s5
	s_cbranch_execnz .LBB102_73
; %bb.74:
	s_or_b32 exec_lo, exec_lo, s5
	v_mov_b32_e32 v83, 0
	ds_read_b64 v[83:84], v83 offset:120
	s_waitcnt lgkmcnt(0)
	v_mul_f32_e32 v85, v80, v84
	v_mul_f32_e32 v84, v86, v84
	v_fma_f32 v85, v86, v83, -v85
	v_fmac_f32_e32 v84, v80, v83
	buffer_store_dword v85, off, s[0:3], 0 offset:120
	buffer_store_dword v84, off, s[0:3], 0 offset:124
.LBB102_75:
	s_or_b32 exec_lo, exec_lo, s4
	s_waitcnt_vscnt null, 0x0
	s_barrier
	buffer_gl0_inv
	s_clause 0x1
	buffer_load_dword v83, off, s[0:3], 0 offset:128
	buffer_load_dword v84, off, s[0:3], 0 offset:132
	s_mov_b32 s4, exec_lo
	s_waitcnt vmcnt(0)
	ds_write_b64 v82, v[83:84]
	s_waitcnt lgkmcnt(0)
	s_barrier
	buffer_gl0_inv
	v_cmpx_gt_u32_e32 16, v0
	s_cbranch_execz .LBB102_79
; %bb.76:
	v_add_nc_u32_e32 v83, -1, v0
	v_add_nc_u32_e32 v84, 0x140, v81
	v_mov_b32_e32 v85, v81
	v_mov_b32_e32 v80, 0
	;; [unrolled: 1-line block ×3, first 2 shown]
	s_mov_b32 s5, 0
	.p2align	6
.LBB102_77:                             ; =>This Inner Loop Header: Depth=1
	s_clause 0x1
	buffer_load_dword v89, v85, s[0:3], 0 offen offset:4
	buffer_load_dword v90, v85, s[0:3], 0 offen
	ds_read_b64 v[87:88], v84
	v_add_nc_u32_e32 v83, 1, v83
	v_add_nc_u32_e32 v84, 8, v84
	;; [unrolled: 1-line block ×3, first 2 shown]
	v_cmp_lt_u32_e32 vcc_lo, 14, v83
	s_or_b32 s5, vcc_lo, s5
	s_waitcnt vmcnt(1) lgkmcnt(0)
	v_mul_f32_e32 v91, v88, v89
	v_mul_f32_e32 v89, v87, v89
	s_waitcnt vmcnt(0)
	v_fma_f32 v87, v87, v90, -v91
	v_fmac_f32_e32 v89, v88, v90
	v_add_f32_e32 v86, v86, v87
	v_add_f32_e32 v80, v80, v89
	s_andn2_b32 exec_lo, exec_lo, s5
	s_cbranch_execnz .LBB102_77
; %bb.78:
	s_or_b32 exec_lo, exec_lo, s5
	v_mov_b32_e32 v83, 0
	ds_read_b64 v[83:84], v83 offset:128
	s_waitcnt lgkmcnt(0)
	v_mul_f32_e32 v85, v80, v84
	v_mul_f32_e32 v84, v86, v84
	v_fma_f32 v85, v86, v83, -v85
	v_fmac_f32_e32 v84, v80, v83
	buffer_store_dword v85, off, s[0:3], 0 offset:128
	buffer_store_dword v84, off, s[0:3], 0 offset:132
.LBB102_79:
	s_or_b32 exec_lo, exec_lo, s4
	s_waitcnt_vscnt null, 0x0
	s_barrier
	buffer_gl0_inv
	s_clause 0x1
	buffer_load_dword v83, off, s[0:3], 0 offset:136
	buffer_load_dword v84, off, s[0:3], 0 offset:140
	s_mov_b32 s4, exec_lo
	s_waitcnt vmcnt(0)
	ds_write_b64 v82, v[83:84]
	s_waitcnt lgkmcnt(0)
	s_barrier
	buffer_gl0_inv
	v_cmpx_gt_u32_e32 17, v0
	s_cbranch_execz .LBB102_83
; %bb.80:
	v_add_nc_u32_e32 v83, -1, v0
	v_add_nc_u32_e32 v84, 0x140, v81
	v_mov_b32_e32 v85, v81
	v_mov_b32_e32 v80, 0
	;; [unrolled: 1-line block ×3, first 2 shown]
	s_mov_b32 s5, 0
	.p2align	6
.LBB102_81:                             ; =>This Inner Loop Header: Depth=1
	s_clause 0x1
	buffer_load_dword v89, v85, s[0:3], 0 offen offset:4
	buffer_load_dword v90, v85, s[0:3], 0 offen
	ds_read_b64 v[87:88], v84
	v_add_nc_u32_e32 v83, 1, v83
	v_add_nc_u32_e32 v84, 8, v84
	;; [unrolled: 1-line block ×3, first 2 shown]
	v_cmp_lt_u32_e32 vcc_lo, 15, v83
	s_or_b32 s5, vcc_lo, s5
	s_waitcnt vmcnt(1) lgkmcnt(0)
	v_mul_f32_e32 v91, v88, v89
	v_mul_f32_e32 v89, v87, v89
	s_waitcnt vmcnt(0)
	v_fma_f32 v87, v87, v90, -v91
	v_fmac_f32_e32 v89, v88, v90
	v_add_f32_e32 v86, v86, v87
	v_add_f32_e32 v80, v80, v89
	s_andn2_b32 exec_lo, exec_lo, s5
	s_cbranch_execnz .LBB102_81
; %bb.82:
	s_or_b32 exec_lo, exec_lo, s5
	v_mov_b32_e32 v83, 0
	ds_read_b64 v[83:84], v83 offset:136
	s_waitcnt lgkmcnt(0)
	v_mul_f32_e32 v85, v80, v84
	v_mul_f32_e32 v84, v86, v84
	v_fma_f32 v85, v86, v83, -v85
	v_fmac_f32_e32 v84, v80, v83
	buffer_store_dword v85, off, s[0:3], 0 offset:136
	buffer_store_dword v84, off, s[0:3], 0 offset:140
.LBB102_83:
	s_or_b32 exec_lo, exec_lo, s4
	s_waitcnt_vscnt null, 0x0
	s_barrier
	buffer_gl0_inv
	s_clause 0x1
	buffer_load_dword v83, off, s[0:3], 0 offset:144
	buffer_load_dword v84, off, s[0:3], 0 offset:148
	s_mov_b32 s4, exec_lo
	s_waitcnt vmcnt(0)
	ds_write_b64 v82, v[83:84]
	s_waitcnt lgkmcnt(0)
	s_barrier
	buffer_gl0_inv
	v_cmpx_gt_u32_e32 18, v0
	s_cbranch_execz .LBB102_87
; %bb.84:
	v_add_nc_u32_e32 v83, -1, v0
	v_add_nc_u32_e32 v84, 0x140, v81
	v_mov_b32_e32 v85, v81
	v_mov_b32_e32 v80, 0
	;; [unrolled: 1-line block ×3, first 2 shown]
	s_mov_b32 s5, 0
	.p2align	6
.LBB102_85:                             ; =>This Inner Loop Header: Depth=1
	s_clause 0x1
	buffer_load_dword v89, v85, s[0:3], 0 offen offset:4
	buffer_load_dword v90, v85, s[0:3], 0 offen
	ds_read_b64 v[87:88], v84
	v_add_nc_u32_e32 v83, 1, v83
	v_add_nc_u32_e32 v84, 8, v84
	;; [unrolled: 1-line block ×3, first 2 shown]
	v_cmp_lt_u32_e32 vcc_lo, 16, v83
	s_or_b32 s5, vcc_lo, s5
	s_waitcnt vmcnt(1) lgkmcnt(0)
	v_mul_f32_e32 v91, v88, v89
	v_mul_f32_e32 v89, v87, v89
	s_waitcnt vmcnt(0)
	v_fma_f32 v87, v87, v90, -v91
	v_fmac_f32_e32 v89, v88, v90
	v_add_f32_e32 v86, v86, v87
	v_add_f32_e32 v80, v80, v89
	s_andn2_b32 exec_lo, exec_lo, s5
	s_cbranch_execnz .LBB102_85
; %bb.86:
	s_or_b32 exec_lo, exec_lo, s5
	v_mov_b32_e32 v83, 0
	ds_read_b64 v[83:84], v83 offset:144
	s_waitcnt lgkmcnt(0)
	v_mul_f32_e32 v85, v80, v84
	v_mul_f32_e32 v84, v86, v84
	v_fma_f32 v85, v86, v83, -v85
	v_fmac_f32_e32 v84, v80, v83
	buffer_store_dword v85, off, s[0:3], 0 offset:144
	buffer_store_dword v84, off, s[0:3], 0 offset:148
.LBB102_87:
	s_or_b32 exec_lo, exec_lo, s4
	s_waitcnt_vscnt null, 0x0
	s_barrier
	buffer_gl0_inv
	s_clause 0x1
	buffer_load_dword v83, off, s[0:3], 0 offset:152
	buffer_load_dword v84, off, s[0:3], 0 offset:156
	s_mov_b32 s4, exec_lo
	s_waitcnt vmcnt(0)
	ds_write_b64 v82, v[83:84]
	s_waitcnt lgkmcnt(0)
	s_barrier
	buffer_gl0_inv
	v_cmpx_gt_u32_e32 19, v0
	s_cbranch_execz .LBB102_91
; %bb.88:
	v_add_nc_u32_e32 v83, -1, v0
	v_add_nc_u32_e32 v84, 0x140, v81
	v_mov_b32_e32 v85, v81
	v_mov_b32_e32 v80, 0
	;; [unrolled: 1-line block ×3, first 2 shown]
	s_mov_b32 s5, 0
	.p2align	6
.LBB102_89:                             ; =>This Inner Loop Header: Depth=1
	s_clause 0x1
	buffer_load_dword v89, v85, s[0:3], 0 offen offset:4
	buffer_load_dword v90, v85, s[0:3], 0 offen
	ds_read_b64 v[87:88], v84
	v_add_nc_u32_e32 v83, 1, v83
	v_add_nc_u32_e32 v84, 8, v84
	;; [unrolled: 1-line block ×3, first 2 shown]
	v_cmp_lt_u32_e32 vcc_lo, 17, v83
	s_or_b32 s5, vcc_lo, s5
	s_waitcnt vmcnt(1) lgkmcnt(0)
	v_mul_f32_e32 v91, v88, v89
	v_mul_f32_e32 v89, v87, v89
	s_waitcnt vmcnt(0)
	v_fma_f32 v87, v87, v90, -v91
	v_fmac_f32_e32 v89, v88, v90
	v_add_f32_e32 v86, v86, v87
	v_add_f32_e32 v80, v80, v89
	s_andn2_b32 exec_lo, exec_lo, s5
	s_cbranch_execnz .LBB102_89
; %bb.90:
	s_or_b32 exec_lo, exec_lo, s5
	v_mov_b32_e32 v83, 0
	ds_read_b64 v[83:84], v83 offset:152
	s_waitcnt lgkmcnt(0)
	v_mul_f32_e32 v85, v80, v84
	v_mul_f32_e32 v84, v86, v84
	v_fma_f32 v85, v86, v83, -v85
	v_fmac_f32_e32 v84, v80, v83
	buffer_store_dword v85, off, s[0:3], 0 offset:152
	buffer_store_dword v84, off, s[0:3], 0 offset:156
.LBB102_91:
	s_or_b32 exec_lo, exec_lo, s4
	s_waitcnt_vscnt null, 0x0
	s_barrier
	buffer_gl0_inv
	s_clause 0x1
	buffer_load_dword v83, off, s[0:3], 0 offset:160
	buffer_load_dword v84, off, s[0:3], 0 offset:164
	s_mov_b32 s4, exec_lo
	s_waitcnt vmcnt(0)
	ds_write_b64 v82, v[83:84]
	s_waitcnt lgkmcnt(0)
	s_barrier
	buffer_gl0_inv
	v_cmpx_gt_u32_e32 20, v0
	s_cbranch_execz .LBB102_95
; %bb.92:
	v_add_nc_u32_e32 v83, -1, v0
	v_add_nc_u32_e32 v84, 0x140, v81
	v_mov_b32_e32 v85, v81
	v_mov_b32_e32 v80, 0
	;; [unrolled: 1-line block ×3, first 2 shown]
	s_mov_b32 s5, 0
	.p2align	6
.LBB102_93:                             ; =>This Inner Loop Header: Depth=1
	s_clause 0x1
	buffer_load_dword v89, v85, s[0:3], 0 offen offset:4
	buffer_load_dword v90, v85, s[0:3], 0 offen
	ds_read_b64 v[87:88], v84
	v_add_nc_u32_e32 v83, 1, v83
	v_add_nc_u32_e32 v84, 8, v84
	;; [unrolled: 1-line block ×3, first 2 shown]
	v_cmp_lt_u32_e32 vcc_lo, 18, v83
	s_or_b32 s5, vcc_lo, s5
	s_waitcnt vmcnt(1) lgkmcnt(0)
	v_mul_f32_e32 v91, v88, v89
	v_mul_f32_e32 v89, v87, v89
	s_waitcnt vmcnt(0)
	v_fma_f32 v87, v87, v90, -v91
	v_fmac_f32_e32 v89, v88, v90
	v_add_f32_e32 v86, v86, v87
	v_add_f32_e32 v80, v80, v89
	s_andn2_b32 exec_lo, exec_lo, s5
	s_cbranch_execnz .LBB102_93
; %bb.94:
	s_or_b32 exec_lo, exec_lo, s5
	v_mov_b32_e32 v83, 0
	ds_read_b64 v[83:84], v83 offset:160
	s_waitcnt lgkmcnt(0)
	v_mul_f32_e32 v85, v80, v84
	v_mul_f32_e32 v84, v86, v84
	v_fma_f32 v85, v86, v83, -v85
	v_fmac_f32_e32 v84, v80, v83
	buffer_store_dword v85, off, s[0:3], 0 offset:160
	buffer_store_dword v84, off, s[0:3], 0 offset:164
.LBB102_95:
	s_or_b32 exec_lo, exec_lo, s4
	s_waitcnt_vscnt null, 0x0
	s_barrier
	buffer_gl0_inv
	s_clause 0x1
	buffer_load_dword v83, off, s[0:3], 0 offset:168
	buffer_load_dword v84, off, s[0:3], 0 offset:172
	s_mov_b32 s4, exec_lo
	s_waitcnt vmcnt(0)
	ds_write_b64 v82, v[83:84]
	s_waitcnt lgkmcnt(0)
	s_barrier
	buffer_gl0_inv
	v_cmpx_gt_u32_e32 21, v0
	s_cbranch_execz .LBB102_99
; %bb.96:
	v_add_nc_u32_e32 v83, -1, v0
	v_add_nc_u32_e32 v84, 0x140, v81
	v_mov_b32_e32 v85, v81
	v_mov_b32_e32 v80, 0
	;; [unrolled: 1-line block ×3, first 2 shown]
	s_mov_b32 s5, 0
	.p2align	6
.LBB102_97:                             ; =>This Inner Loop Header: Depth=1
	s_clause 0x1
	buffer_load_dword v89, v85, s[0:3], 0 offen offset:4
	buffer_load_dword v90, v85, s[0:3], 0 offen
	ds_read_b64 v[87:88], v84
	v_add_nc_u32_e32 v83, 1, v83
	v_add_nc_u32_e32 v84, 8, v84
	;; [unrolled: 1-line block ×3, first 2 shown]
	v_cmp_lt_u32_e32 vcc_lo, 19, v83
	s_or_b32 s5, vcc_lo, s5
	s_waitcnt vmcnt(1) lgkmcnt(0)
	v_mul_f32_e32 v91, v88, v89
	v_mul_f32_e32 v89, v87, v89
	s_waitcnt vmcnt(0)
	v_fma_f32 v87, v87, v90, -v91
	v_fmac_f32_e32 v89, v88, v90
	v_add_f32_e32 v86, v86, v87
	v_add_f32_e32 v80, v80, v89
	s_andn2_b32 exec_lo, exec_lo, s5
	s_cbranch_execnz .LBB102_97
; %bb.98:
	s_or_b32 exec_lo, exec_lo, s5
	v_mov_b32_e32 v83, 0
	ds_read_b64 v[83:84], v83 offset:168
	s_waitcnt lgkmcnt(0)
	v_mul_f32_e32 v85, v80, v84
	v_mul_f32_e32 v84, v86, v84
	v_fma_f32 v85, v86, v83, -v85
	v_fmac_f32_e32 v84, v80, v83
	buffer_store_dword v85, off, s[0:3], 0 offset:168
	buffer_store_dword v84, off, s[0:3], 0 offset:172
.LBB102_99:
	s_or_b32 exec_lo, exec_lo, s4
	s_waitcnt_vscnt null, 0x0
	s_barrier
	buffer_gl0_inv
	s_clause 0x1
	buffer_load_dword v83, off, s[0:3], 0 offset:176
	buffer_load_dword v84, off, s[0:3], 0 offset:180
	s_mov_b32 s4, exec_lo
	s_waitcnt vmcnt(0)
	ds_write_b64 v82, v[83:84]
	s_waitcnt lgkmcnt(0)
	s_barrier
	buffer_gl0_inv
	v_cmpx_gt_u32_e32 22, v0
	s_cbranch_execz .LBB102_103
; %bb.100:
	v_add_nc_u32_e32 v83, -1, v0
	v_add_nc_u32_e32 v84, 0x140, v81
	v_mov_b32_e32 v85, v81
	v_mov_b32_e32 v80, 0
	;; [unrolled: 1-line block ×3, first 2 shown]
	s_mov_b32 s5, 0
	.p2align	6
.LBB102_101:                            ; =>This Inner Loop Header: Depth=1
	s_clause 0x1
	buffer_load_dword v89, v85, s[0:3], 0 offen offset:4
	buffer_load_dword v90, v85, s[0:3], 0 offen
	ds_read_b64 v[87:88], v84
	v_add_nc_u32_e32 v83, 1, v83
	v_add_nc_u32_e32 v84, 8, v84
	v_add_nc_u32_e32 v85, 8, v85
	v_cmp_lt_u32_e32 vcc_lo, 20, v83
	s_or_b32 s5, vcc_lo, s5
	s_waitcnt vmcnt(1) lgkmcnt(0)
	v_mul_f32_e32 v91, v88, v89
	v_mul_f32_e32 v89, v87, v89
	s_waitcnt vmcnt(0)
	v_fma_f32 v87, v87, v90, -v91
	v_fmac_f32_e32 v89, v88, v90
	v_add_f32_e32 v86, v86, v87
	v_add_f32_e32 v80, v80, v89
	s_andn2_b32 exec_lo, exec_lo, s5
	s_cbranch_execnz .LBB102_101
; %bb.102:
	s_or_b32 exec_lo, exec_lo, s5
	v_mov_b32_e32 v83, 0
	ds_read_b64 v[83:84], v83 offset:176
	s_waitcnt lgkmcnt(0)
	v_mul_f32_e32 v85, v80, v84
	v_mul_f32_e32 v84, v86, v84
	v_fma_f32 v85, v86, v83, -v85
	v_fmac_f32_e32 v84, v80, v83
	buffer_store_dword v85, off, s[0:3], 0 offset:176
	buffer_store_dword v84, off, s[0:3], 0 offset:180
.LBB102_103:
	s_or_b32 exec_lo, exec_lo, s4
	s_waitcnt_vscnt null, 0x0
	s_barrier
	buffer_gl0_inv
	s_clause 0x1
	buffer_load_dword v83, off, s[0:3], 0 offset:184
	buffer_load_dword v84, off, s[0:3], 0 offset:188
	s_mov_b32 s4, exec_lo
	s_waitcnt vmcnt(0)
	ds_write_b64 v82, v[83:84]
	s_waitcnt lgkmcnt(0)
	s_barrier
	buffer_gl0_inv
	v_cmpx_gt_u32_e32 23, v0
	s_cbranch_execz .LBB102_107
; %bb.104:
	v_add_nc_u32_e32 v83, -1, v0
	v_add_nc_u32_e32 v84, 0x140, v81
	v_mov_b32_e32 v85, v81
	v_mov_b32_e32 v80, 0
	;; [unrolled: 1-line block ×3, first 2 shown]
	s_mov_b32 s5, 0
	.p2align	6
.LBB102_105:                            ; =>This Inner Loop Header: Depth=1
	s_clause 0x1
	buffer_load_dword v89, v85, s[0:3], 0 offen offset:4
	buffer_load_dword v90, v85, s[0:3], 0 offen
	ds_read_b64 v[87:88], v84
	v_add_nc_u32_e32 v83, 1, v83
	v_add_nc_u32_e32 v84, 8, v84
	;; [unrolled: 1-line block ×3, first 2 shown]
	v_cmp_lt_u32_e32 vcc_lo, 21, v83
	s_or_b32 s5, vcc_lo, s5
	s_waitcnt vmcnt(1) lgkmcnt(0)
	v_mul_f32_e32 v91, v88, v89
	v_mul_f32_e32 v89, v87, v89
	s_waitcnt vmcnt(0)
	v_fma_f32 v87, v87, v90, -v91
	v_fmac_f32_e32 v89, v88, v90
	v_add_f32_e32 v86, v86, v87
	v_add_f32_e32 v80, v80, v89
	s_andn2_b32 exec_lo, exec_lo, s5
	s_cbranch_execnz .LBB102_105
; %bb.106:
	s_or_b32 exec_lo, exec_lo, s5
	v_mov_b32_e32 v83, 0
	ds_read_b64 v[83:84], v83 offset:184
	s_waitcnt lgkmcnt(0)
	v_mul_f32_e32 v85, v80, v84
	v_mul_f32_e32 v84, v86, v84
	v_fma_f32 v85, v86, v83, -v85
	v_fmac_f32_e32 v84, v80, v83
	buffer_store_dword v85, off, s[0:3], 0 offset:184
	buffer_store_dword v84, off, s[0:3], 0 offset:188
.LBB102_107:
	s_or_b32 exec_lo, exec_lo, s4
	s_waitcnt_vscnt null, 0x0
	s_barrier
	buffer_gl0_inv
	s_clause 0x1
	buffer_load_dword v83, off, s[0:3], 0 offset:192
	buffer_load_dword v84, off, s[0:3], 0 offset:196
	s_mov_b32 s4, exec_lo
	s_waitcnt vmcnt(0)
	ds_write_b64 v82, v[83:84]
	s_waitcnt lgkmcnt(0)
	s_barrier
	buffer_gl0_inv
	v_cmpx_gt_u32_e32 24, v0
	s_cbranch_execz .LBB102_111
; %bb.108:
	v_add_nc_u32_e32 v83, -1, v0
	v_add_nc_u32_e32 v84, 0x140, v81
	v_mov_b32_e32 v85, v81
	v_mov_b32_e32 v80, 0
	;; [unrolled: 1-line block ×3, first 2 shown]
	s_mov_b32 s5, 0
	.p2align	6
.LBB102_109:                            ; =>This Inner Loop Header: Depth=1
	s_clause 0x1
	buffer_load_dword v89, v85, s[0:3], 0 offen offset:4
	buffer_load_dword v90, v85, s[0:3], 0 offen
	ds_read_b64 v[87:88], v84
	v_add_nc_u32_e32 v83, 1, v83
	v_add_nc_u32_e32 v84, 8, v84
	;; [unrolled: 1-line block ×3, first 2 shown]
	v_cmp_lt_u32_e32 vcc_lo, 22, v83
	s_or_b32 s5, vcc_lo, s5
	s_waitcnt vmcnt(1) lgkmcnt(0)
	v_mul_f32_e32 v91, v88, v89
	v_mul_f32_e32 v89, v87, v89
	s_waitcnt vmcnt(0)
	v_fma_f32 v87, v87, v90, -v91
	v_fmac_f32_e32 v89, v88, v90
	v_add_f32_e32 v86, v86, v87
	v_add_f32_e32 v80, v80, v89
	s_andn2_b32 exec_lo, exec_lo, s5
	s_cbranch_execnz .LBB102_109
; %bb.110:
	s_or_b32 exec_lo, exec_lo, s5
	v_mov_b32_e32 v83, 0
	ds_read_b64 v[83:84], v83 offset:192
	s_waitcnt lgkmcnt(0)
	v_mul_f32_e32 v85, v80, v84
	v_mul_f32_e32 v84, v86, v84
	v_fma_f32 v85, v86, v83, -v85
	v_fmac_f32_e32 v84, v80, v83
	buffer_store_dword v85, off, s[0:3], 0 offset:192
	buffer_store_dword v84, off, s[0:3], 0 offset:196
.LBB102_111:
	s_or_b32 exec_lo, exec_lo, s4
	s_waitcnt_vscnt null, 0x0
	s_barrier
	buffer_gl0_inv
	s_clause 0x1
	buffer_load_dword v83, off, s[0:3], 0 offset:200
	buffer_load_dword v84, off, s[0:3], 0 offset:204
	s_mov_b32 s4, exec_lo
	s_waitcnt vmcnt(0)
	ds_write_b64 v82, v[83:84]
	s_waitcnt lgkmcnt(0)
	s_barrier
	buffer_gl0_inv
	v_cmpx_gt_u32_e32 25, v0
	s_cbranch_execz .LBB102_115
; %bb.112:
	v_add_nc_u32_e32 v83, -1, v0
	v_add_nc_u32_e32 v84, 0x140, v81
	v_mov_b32_e32 v85, v81
	v_mov_b32_e32 v80, 0
	;; [unrolled: 1-line block ×3, first 2 shown]
	s_mov_b32 s5, 0
	.p2align	6
.LBB102_113:                            ; =>This Inner Loop Header: Depth=1
	s_clause 0x1
	buffer_load_dword v89, v85, s[0:3], 0 offen offset:4
	buffer_load_dword v90, v85, s[0:3], 0 offen
	ds_read_b64 v[87:88], v84
	v_add_nc_u32_e32 v83, 1, v83
	v_add_nc_u32_e32 v84, 8, v84
	;; [unrolled: 1-line block ×3, first 2 shown]
	v_cmp_lt_u32_e32 vcc_lo, 23, v83
	s_or_b32 s5, vcc_lo, s5
	s_waitcnt vmcnt(1) lgkmcnt(0)
	v_mul_f32_e32 v91, v88, v89
	v_mul_f32_e32 v89, v87, v89
	s_waitcnt vmcnt(0)
	v_fma_f32 v87, v87, v90, -v91
	v_fmac_f32_e32 v89, v88, v90
	v_add_f32_e32 v86, v86, v87
	v_add_f32_e32 v80, v80, v89
	s_andn2_b32 exec_lo, exec_lo, s5
	s_cbranch_execnz .LBB102_113
; %bb.114:
	s_or_b32 exec_lo, exec_lo, s5
	v_mov_b32_e32 v83, 0
	ds_read_b64 v[83:84], v83 offset:200
	s_waitcnt lgkmcnt(0)
	v_mul_f32_e32 v85, v80, v84
	v_mul_f32_e32 v84, v86, v84
	v_fma_f32 v85, v86, v83, -v85
	v_fmac_f32_e32 v84, v80, v83
	buffer_store_dword v85, off, s[0:3], 0 offset:200
	buffer_store_dword v84, off, s[0:3], 0 offset:204
.LBB102_115:
	s_or_b32 exec_lo, exec_lo, s4
	s_waitcnt_vscnt null, 0x0
	s_barrier
	buffer_gl0_inv
	s_clause 0x1
	buffer_load_dword v83, off, s[0:3], 0 offset:208
	buffer_load_dword v84, off, s[0:3], 0 offset:212
	s_mov_b32 s4, exec_lo
	s_waitcnt vmcnt(0)
	ds_write_b64 v82, v[83:84]
	s_waitcnt lgkmcnt(0)
	s_barrier
	buffer_gl0_inv
	v_cmpx_gt_u32_e32 26, v0
	s_cbranch_execz .LBB102_119
; %bb.116:
	v_add_nc_u32_e32 v83, -1, v0
	v_add_nc_u32_e32 v84, 0x140, v81
	v_mov_b32_e32 v85, v81
	v_mov_b32_e32 v80, 0
	;; [unrolled: 1-line block ×3, first 2 shown]
	s_mov_b32 s5, 0
	.p2align	6
.LBB102_117:                            ; =>This Inner Loop Header: Depth=1
	s_clause 0x1
	buffer_load_dword v89, v85, s[0:3], 0 offen offset:4
	buffer_load_dword v90, v85, s[0:3], 0 offen
	ds_read_b64 v[87:88], v84
	v_add_nc_u32_e32 v83, 1, v83
	v_add_nc_u32_e32 v84, 8, v84
	;; [unrolled: 1-line block ×3, first 2 shown]
	v_cmp_lt_u32_e32 vcc_lo, 24, v83
	s_or_b32 s5, vcc_lo, s5
	s_waitcnt vmcnt(1) lgkmcnt(0)
	v_mul_f32_e32 v91, v88, v89
	v_mul_f32_e32 v89, v87, v89
	s_waitcnt vmcnt(0)
	v_fma_f32 v87, v87, v90, -v91
	v_fmac_f32_e32 v89, v88, v90
	v_add_f32_e32 v86, v86, v87
	v_add_f32_e32 v80, v80, v89
	s_andn2_b32 exec_lo, exec_lo, s5
	s_cbranch_execnz .LBB102_117
; %bb.118:
	s_or_b32 exec_lo, exec_lo, s5
	v_mov_b32_e32 v83, 0
	ds_read_b64 v[83:84], v83 offset:208
	s_waitcnt lgkmcnt(0)
	v_mul_f32_e32 v85, v80, v84
	v_mul_f32_e32 v84, v86, v84
	v_fma_f32 v85, v86, v83, -v85
	v_fmac_f32_e32 v84, v80, v83
	buffer_store_dword v85, off, s[0:3], 0 offset:208
	buffer_store_dword v84, off, s[0:3], 0 offset:212
.LBB102_119:
	s_or_b32 exec_lo, exec_lo, s4
	s_waitcnt_vscnt null, 0x0
	s_barrier
	buffer_gl0_inv
	s_clause 0x1
	buffer_load_dword v83, off, s[0:3], 0 offset:216
	buffer_load_dword v84, off, s[0:3], 0 offset:220
	s_mov_b32 s4, exec_lo
	s_waitcnt vmcnt(0)
	ds_write_b64 v82, v[83:84]
	s_waitcnt lgkmcnt(0)
	s_barrier
	buffer_gl0_inv
	v_cmpx_gt_u32_e32 27, v0
	s_cbranch_execz .LBB102_123
; %bb.120:
	v_add_nc_u32_e32 v83, -1, v0
	v_add_nc_u32_e32 v84, 0x140, v81
	v_mov_b32_e32 v85, v81
	v_mov_b32_e32 v80, 0
	;; [unrolled: 1-line block ×3, first 2 shown]
	s_mov_b32 s5, 0
	.p2align	6
.LBB102_121:                            ; =>This Inner Loop Header: Depth=1
	s_clause 0x1
	buffer_load_dword v89, v85, s[0:3], 0 offen offset:4
	buffer_load_dword v90, v85, s[0:3], 0 offen
	ds_read_b64 v[87:88], v84
	v_add_nc_u32_e32 v83, 1, v83
	v_add_nc_u32_e32 v84, 8, v84
	;; [unrolled: 1-line block ×3, first 2 shown]
	v_cmp_lt_u32_e32 vcc_lo, 25, v83
	s_or_b32 s5, vcc_lo, s5
	s_waitcnt vmcnt(1) lgkmcnt(0)
	v_mul_f32_e32 v91, v88, v89
	v_mul_f32_e32 v89, v87, v89
	s_waitcnt vmcnt(0)
	v_fma_f32 v87, v87, v90, -v91
	v_fmac_f32_e32 v89, v88, v90
	v_add_f32_e32 v86, v86, v87
	v_add_f32_e32 v80, v80, v89
	s_andn2_b32 exec_lo, exec_lo, s5
	s_cbranch_execnz .LBB102_121
; %bb.122:
	s_or_b32 exec_lo, exec_lo, s5
	v_mov_b32_e32 v83, 0
	ds_read_b64 v[83:84], v83 offset:216
	s_waitcnt lgkmcnt(0)
	v_mul_f32_e32 v85, v80, v84
	v_mul_f32_e32 v84, v86, v84
	v_fma_f32 v85, v86, v83, -v85
	v_fmac_f32_e32 v84, v80, v83
	buffer_store_dword v85, off, s[0:3], 0 offset:216
	buffer_store_dword v84, off, s[0:3], 0 offset:220
.LBB102_123:
	s_or_b32 exec_lo, exec_lo, s4
	s_waitcnt_vscnt null, 0x0
	s_barrier
	buffer_gl0_inv
	s_clause 0x1
	buffer_load_dword v83, off, s[0:3], 0 offset:224
	buffer_load_dword v84, off, s[0:3], 0 offset:228
	s_mov_b32 s4, exec_lo
	s_waitcnt vmcnt(0)
	ds_write_b64 v82, v[83:84]
	s_waitcnt lgkmcnt(0)
	s_barrier
	buffer_gl0_inv
	v_cmpx_gt_u32_e32 28, v0
	s_cbranch_execz .LBB102_127
; %bb.124:
	v_add_nc_u32_e32 v83, -1, v0
	v_add_nc_u32_e32 v84, 0x140, v81
	v_mov_b32_e32 v85, v81
	v_mov_b32_e32 v80, 0
	v_mov_b32_e32 v86, 0
	s_mov_b32 s5, 0
	.p2align	6
.LBB102_125:                            ; =>This Inner Loop Header: Depth=1
	s_clause 0x1
	buffer_load_dword v89, v85, s[0:3], 0 offen offset:4
	buffer_load_dword v90, v85, s[0:3], 0 offen
	ds_read_b64 v[87:88], v84
	v_add_nc_u32_e32 v83, 1, v83
	v_add_nc_u32_e32 v84, 8, v84
	;; [unrolled: 1-line block ×3, first 2 shown]
	v_cmp_lt_u32_e32 vcc_lo, 26, v83
	s_or_b32 s5, vcc_lo, s5
	s_waitcnt vmcnt(1) lgkmcnt(0)
	v_mul_f32_e32 v91, v88, v89
	v_mul_f32_e32 v89, v87, v89
	s_waitcnt vmcnt(0)
	v_fma_f32 v87, v87, v90, -v91
	v_fmac_f32_e32 v89, v88, v90
	v_add_f32_e32 v86, v86, v87
	v_add_f32_e32 v80, v80, v89
	s_andn2_b32 exec_lo, exec_lo, s5
	s_cbranch_execnz .LBB102_125
; %bb.126:
	s_or_b32 exec_lo, exec_lo, s5
	v_mov_b32_e32 v83, 0
	ds_read_b64 v[83:84], v83 offset:224
	s_waitcnt lgkmcnt(0)
	v_mul_f32_e32 v85, v80, v84
	v_mul_f32_e32 v84, v86, v84
	v_fma_f32 v85, v86, v83, -v85
	v_fmac_f32_e32 v84, v80, v83
	buffer_store_dword v85, off, s[0:3], 0 offset:224
	buffer_store_dword v84, off, s[0:3], 0 offset:228
.LBB102_127:
	s_or_b32 exec_lo, exec_lo, s4
	s_waitcnt_vscnt null, 0x0
	s_barrier
	buffer_gl0_inv
	s_clause 0x1
	buffer_load_dword v83, off, s[0:3], 0 offset:232
	buffer_load_dword v84, off, s[0:3], 0 offset:236
	s_mov_b32 s4, exec_lo
	s_waitcnt vmcnt(0)
	ds_write_b64 v82, v[83:84]
	s_waitcnt lgkmcnt(0)
	s_barrier
	buffer_gl0_inv
	v_cmpx_gt_u32_e32 29, v0
	s_cbranch_execz .LBB102_131
; %bb.128:
	v_add_nc_u32_e32 v83, -1, v0
	v_add_nc_u32_e32 v84, 0x140, v81
	v_mov_b32_e32 v85, v81
	v_mov_b32_e32 v80, 0
	;; [unrolled: 1-line block ×3, first 2 shown]
	s_mov_b32 s5, 0
	.p2align	6
.LBB102_129:                            ; =>This Inner Loop Header: Depth=1
	s_clause 0x1
	buffer_load_dword v89, v85, s[0:3], 0 offen offset:4
	buffer_load_dword v90, v85, s[0:3], 0 offen
	ds_read_b64 v[87:88], v84
	v_add_nc_u32_e32 v83, 1, v83
	v_add_nc_u32_e32 v84, 8, v84
	;; [unrolled: 1-line block ×3, first 2 shown]
	v_cmp_lt_u32_e32 vcc_lo, 27, v83
	s_or_b32 s5, vcc_lo, s5
	s_waitcnt vmcnt(1) lgkmcnt(0)
	v_mul_f32_e32 v91, v88, v89
	v_mul_f32_e32 v89, v87, v89
	s_waitcnt vmcnt(0)
	v_fma_f32 v87, v87, v90, -v91
	v_fmac_f32_e32 v89, v88, v90
	v_add_f32_e32 v86, v86, v87
	v_add_f32_e32 v80, v80, v89
	s_andn2_b32 exec_lo, exec_lo, s5
	s_cbranch_execnz .LBB102_129
; %bb.130:
	s_or_b32 exec_lo, exec_lo, s5
	v_mov_b32_e32 v83, 0
	ds_read_b64 v[83:84], v83 offset:232
	s_waitcnt lgkmcnt(0)
	v_mul_f32_e32 v85, v80, v84
	v_mul_f32_e32 v84, v86, v84
	v_fma_f32 v85, v86, v83, -v85
	v_fmac_f32_e32 v84, v80, v83
	buffer_store_dword v85, off, s[0:3], 0 offset:232
	buffer_store_dword v84, off, s[0:3], 0 offset:236
.LBB102_131:
	s_or_b32 exec_lo, exec_lo, s4
	s_waitcnt_vscnt null, 0x0
	s_barrier
	buffer_gl0_inv
	s_clause 0x1
	buffer_load_dword v83, off, s[0:3], 0 offset:240
	buffer_load_dword v84, off, s[0:3], 0 offset:244
	s_mov_b32 s4, exec_lo
	s_waitcnt vmcnt(0)
	ds_write_b64 v82, v[83:84]
	s_waitcnt lgkmcnt(0)
	s_barrier
	buffer_gl0_inv
	v_cmpx_gt_u32_e32 30, v0
	s_cbranch_execz .LBB102_135
; %bb.132:
	v_add_nc_u32_e32 v83, -1, v0
	v_add_nc_u32_e32 v84, 0x140, v81
	v_mov_b32_e32 v85, v81
	v_mov_b32_e32 v80, 0
	;; [unrolled: 1-line block ×3, first 2 shown]
	s_mov_b32 s5, 0
	.p2align	6
.LBB102_133:                            ; =>This Inner Loop Header: Depth=1
	s_clause 0x1
	buffer_load_dword v89, v85, s[0:3], 0 offen offset:4
	buffer_load_dword v90, v85, s[0:3], 0 offen
	ds_read_b64 v[87:88], v84
	v_add_nc_u32_e32 v83, 1, v83
	v_add_nc_u32_e32 v84, 8, v84
	;; [unrolled: 1-line block ×3, first 2 shown]
	v_cmp_lt_u32_e32 vcc_lo, 28, v83
	s_or_b32 s5, vcc_lo, s5
	s_waitcnt vmcnt(1) lgkmcnt(0)
	v_mul_f32_e32 v91, v88, v89
	v_mul_f32_e32 v89, v87, v89
	s_waitcnt vmcnt(0)
	v_fma_f32 v87, v87, v90, -v91
	v_fmac_f32_e32 v89, v88, v90
	v_add_f32_e32 v86, v86, v87
	v_add_f32_e32 v80, v80, v89
	s_andn2_b32 exec_lo, exec_lo, s5
	s_cbranch_execnz .LBB102_133
; %bb.134:
	s_or_b32 exec_lo, exec_lo, s5
	v_mov_b32_e32 v83, 0
	ds_read_b64 v[83:84], v83 offset:240
	s_waitcnt lgkmcnt(0)
	v_mul_f32_e32 v85, v80, v84
	v_mul_f32_e32 v84, v86, v84
	v_fma_f32 v85, v86, v83, -v85
	v_fmac_f32_e32 v84, v80, v83
	buffer_store_dword v85, off, s[0:3], 0 offset:240
	buffer_store_dword v84, off, s[0:3], 0 offset:244
.LBB102_135:
	s_or_b32 exec_lo, exec_lo, s4
	s_waitcnt_vscnt null, 0x0
	s_barrier
	buffer_gl0_inv
	s_clause 0x1
	buffer_load_dword v83, off, s[0:3], 0 offset:248
	buffer_load_dword v84, off, s[0:3], 0 offset:252
	s_mov_b32 s4, exec_lo
	s_waitcnt vmcnt(0)
	ds_write_b64 v82, v[83:84]
	s_waitcnt lgkmcnt(0)
	s_barrier
	buffer_gl0_inv
	v_cmpx_gt_u32_e32 31, v0
	s_cbranch_execz .LBB102_139
; %bb.136:
	v_add_nc_u32_e32 v83, -1, v0
	v_add_nc_u32_e32 v84, 0x140, v81
	v_mov_b32_e32 v85, v81
	v_mov_b32_e32 v80, 0
	;; [unrolled: 1-line block ×3, first 2 shown]
	s_mov_b32 s5, 0
	.p2align	6
.LBB102_137:                            ; =>This Inner Loop Header: Depth=1
	s_clause 0x1
	buffer_load_dword v89, v85, s[0:3], 0 offen offset:4
	buffer_load_dword v90, v85, s[0:3], 0 offen
	ds_read_b64 v[87:88], v84
	v_add_nc_u32_e32 v83, 1, v83
	v_add_nc_u32_e32 v84, 8, v84
	;; [unrolled: 1-line block ×3, first 2 shown]
	v_cmp_lt_u32_e32 vcc_lo, 29, v83
	s_or_b32 s5, vcc_lo, s5
	s_waitcnt vmcnt(1) lgkmcnt(0)
	v_mul_f32_e32 v91, v88, v89
	v_mul_f32_e32 v89, v87, v89
	s_waitcnt vmcnt(0)
	v_fma_f32 v87, v87, v90, -v91
	v_fmac_f32_e32 v89, v88, v90
	v_add_f32_e32 v86, v86, v87
	v_add_f32_e32 v80, v80, v89
	s_andn2_b32 exec_lo, exec_lo, s5
	s_cbranch_execnz .LBB102_137
; %bb.138:
	s_or_b32 exec_lo, exec_lo, s5
	v_mov_b32_e32 v83, 0
	ds_read_b64 v[83:84], v83 offset:248
	s_waitcnt lgkmcnt(0)
	v_mul_f32_e32 v85, v80, v84
	v_mul_f32_e32 v84, v86, v84
	v_fma_f32 v85, v86, v83, -v85
	v_fmac_f32_e32 v84, v80, v83
	buffer_store_dword v85, off, s[0:3], 0 offset:248
	buffer_store_dword v84, off, s[0:3], 0 offset:252
.LBB102_139:
	s_or_b32 exec_lo, exec_lo, s4
	s_waitcnt_vscnt null, 0x0
	s_barrier
	buffer_gl0_inv
	s_clause 0x1
	buffer_load_dword v83, off, s[0:3], 0 offset:256
	buffer_load_dword v84, off, s[0:3], 0 offset:260
	s_mov_b32 s4, exec_lo
	s_waitcnt vmcnt(0)
	ds_write_b64 v82, v[83:84]
	s_waitcnt lgkmcnt(0)
	s_barrier
	buffer_gl0_inv
	v_cmpx_gt_u32_e32 32, v0
	s_cbranch_execz .LBB102_143
; %bb.140:
	v_add_nc_u32_e32 v83, -1, v0
	v_add_nc_u32_e32 v84, 0x140, v81
	v_mov_b32_e32 v85, v81
	v_mov_b32_e32 v80, 0
	;; [unrolled: 1-line block ×3, first 2 shown]
	s_mov_b32 s5, 0
	.p2align	6
.LBB102_141:                            ; =>This Inner Loop Header: Depth=1
	s_clause 0x1
	buffer_load_dword v89, v85, s[0:3], 0 offen offset:4
	buffer_load_dword v90, v85, s[0:3], 0 offen
	ds_read_b64 v[87:88], v84
	v_add_nc_u32_e32 v83, 1, v83
	v_add_nc_u32_e32 v84, 8, v84
	v_add_nc_u32_e32 v85, 8, v85
	v_cmp_lt_u32_e32 vcc_lo, 30, v83
	s_or_b32 s5, vcc_lo, s5
	s_waitcnt vmcnt(1) lgkmcnt(0)
	v_mul_f32_e32 v91, v88, v89
	v_mul_f32_e32 v89, v87, v89
	s_waitcnt vmcnt(0)
	v_fma_f32 v87, v87, v90, -v91
	v_fmac_f32_e32 v89, v88, v90
	v_add_f32_e32 v86, v86, v87
	v_add_f32_e32 v80, v80, v89
	s_andn2_b32 exec_lo, exec_lo, s5
	s_cbranch_execnz .LBB102_141
; %bb.142:
	s_or_b32 exec_lo, exec_lo, s5
	v_mov_b32_e32 v83, 0
	ds_read_b64 v[83:84], v83 offset:256
	s_waitcnt lgkmcnt(0)
	v_mul_f32_e32 v85, v80, v84
	v_mul_f32_e32 v84, v86, v84
	v_fma_f32 v85, v86, v83, -v85
	v_fmac_f32_e32 v84, v80, v83
	buffer_store_dword v85, off, s[0:3], 0 offset:256
	buffer_store_dword v84, off, s[0:3], 0 offset:260
.LBB102_143:
	s_or_b32 exec_lo, exec_lo, s4
	s_waitcnt_vscnt null, 0x0
	s_barrier
	buffer_gl0_inv
	s_clause 0x1
	buffer_load_dword v83, off, s[0:3], 0 offset:264
	buffer_load_dword v84, off, s[0:3], 0 offset:268
	s_mov_b32 s4, exec_lo
	s_waitcnt vmcnt(0)
	ds_write_b64 v82, v[83:84]
	s_waitcnt lgkmcnt(0)
	s_barrier
	buffer_gl0_inv
	v_cmpx_gt_u32_e32 33, v0
	s_cbranch_execz .LBB102_147
; %bb.144:
	v_add_nc_u32_e32 v83, -1, v0
	v_add_nc_u32_e32 v84, 0x140, v81
	v_mov_b32_e32 v85, v81
	v_mov_b32_e32 v80, 0
	;; [unrolled: 1-line block ×3, first 2 shown]
	s_mov_b32 s5, 0
	.p2align	6
.LBB102_145:                            ; =>This Inner Loop Header: Depth=1
	s_clause 0x1
	buffer_load_dword v89, v85, s[0:3], 0 offen offset:4
	buffer_load_dword v90, v85, s[0:3], 0 offen
	ds_read_b64 v[87:88], v84
	v_add_nc_u32_e32 v83, 1, v83
	v_add_nc_u32_e32 v84, 8, v84
	;; [unrolled: 1-line block ×3, first 2 shown]
	v_cmp_lt_u32_e32 vcc_lo, 31, v83
	s_or_b32 s5, vcc_lo, s5
	s_waitcnt vmcnt(1) lgkmcnt(0)
	v_mul_f32_e32 v91, v88, v89
	v_mul_f32_e32 v89, v87, v89
	s_waitcnt vmcnt(0)
	v_fma_f32 v87, v87, v90, -v91
	v_fmac_f32_e32 v89, v88, v90
	v_add_f32_e32 v86, v86, v87
	v_add_f32_e32 v80, v80, v89
	s_andn2_b32 exec_lo, exec_lo, s5
	s_cbranch_execnz .LBB102_145
; %bb.146:
	s_or_b32 exec_lo, exec_lo, s5
	v_mov_b32_e32 v83, 0
	ds_read_b64 v[83:84], v83 offset:264
	s_waitcnt lgkmcnt(0)
	v_mul_f32_e32 v85, v80, v84
	v_mul_f32_e32 v84, v86, v84
	v_fma_f32 v85, v86, v83, -v85
	v_fmac_f32_e32 v84, v80, v83
	buffer_store_dword v85, off, s[0:3], 0 offset:264
	buffer_store_dword v84, off, s[0:3], 0 offset:268
.LBB102_147:
	s_or_b32 exec_lo, exec_lo, s4
	s_waitcnt_vscnt null, 0x0
	s_barrier
	buffer_gl0_inv
	s_clause 0x1
	buffer_load_dword v83, off, s[0:3], 0 offset:272
	buffer_load_dword v84, off, s[0:3], 0 offset:276
	s_mov_b32 s4, exec_lo
	s_waitcnt vmcnt(0)
	ds_write_b64 v82, v[83:84]
	s_waitcnt lgkmcnt(0)
	s_barrier
	buffer_gl0_inv
	v_cmpx_gt_u32_e32 34, v0
	s_cbranch_execz .LBB102_151
; %bb.148:
	v_add_nc_u32_e32 v83, -1, v0
	v_add_nc_u32_e32 v84, 0x140, v81
	v_mov_b32_e32 v85, v81
	v_mov_b32_e32 v80, 0
	;; [unrolled: 1-line block ×3, first 2 shown]
	s_mov_b32 s5, 0
	.p2align	6
.LBB102_149:                            ; =>This Inner Loop Header: Depth=1
	s_clause 0x1
	buffer_load_dword v89, v85, s[0:3], 0 offen offset:4
	buffer_load_dword v90, v85, s[0:3], 0 offen
	ds_read_b64 v[87:88], v84
	v_add_nc_u32_e32 v83, 1, v83
	v_add_nc_u32_e32 v84, 8, v84
	;; [unrolled: 1-line block ×3, first 2 shown]
	v_cmp_lt_u32_e32 vcc_lo, 32, v83
	s_or_b32 s5, vcc_lo, s5
	s_waitcnt vmcnt(1) lgkmcnt(0)
	v_mul_f32_e32 v91, v88, v89
	v_mul_f32_e32 v89, v87, v89
	s_waitcnt vmcnt(0)
	v_fma_f32 v87, v87, v90, -v91
	v_fmac_f32_e32 v89, v88, v90
	v_add_f32_e32 v86, v86, v87
	v_add_f32_e32 v80, v80, v89
	s_andn2_b32 exec_lo, exec_lo, s5
	s_cbranch_execnz .LBB102_149
; %bb.150:
	s_or_b32 exec_lo, exec_lo, s5
	v_mov_b32_e32 v83, 0
	ds_read_b64 v[83:84], v83 offset:272
	s_waitcnt lgkmcnt(0)
	v_mul_f32_e32 v85, v80, v84
	v_mul_f32_e32 v84, v86, v84
	v_fma_f32 v85, v86, v83, -v85
	v_fmac_f32_e32 v84, v80, v83
	buffer_store_dword v85, off, s[0:3], 0 offset:272
	buffer_store_dword v84, off, s[0:3], 0 offset:276
.LBB102_151:
	s_or_b32 exec_lo, exec_lo, s4
	s_waitcnt_vscnt null, 0x0
	s_barrier
	buffer_gl0_inv
	s_clause 0x1
	buffer_load_dword v83, off, s[0:3], 0 offset:280
	buffer_load_dword v84, off, s[0:3], 0 offset:284
	s_mov_b32 s4, exec_lo
	s_waitcnt vmcnt(0)
	ds_write_b64 v82, v[83:84]
	s_waitcnt lgkmcnt(0)
	s_barrier
	buffer_gl0_inv
	v_cmpx_gt_u32_e32 35, v0
	s_cbranch_execz .LBB102_155
; %bb.152:
	v_add_nc_u32_e32 v83, -1, v0
	v_add_nc_u32_e32 v84, 0x140, v81
	v_mov_b32_e32 v85, v81
	v_mov_b32_e32 v80, 0
	;; [unrolled: 1-line block ×3, first 2 shown]
	s_mov_b32 s5, 0
	.p2align	6
.LBB102_153:                            ; =>This Inner Loop Header: Depth=1
	s_clause 0x1
	buffer_load_dword v89, v85, s[0:3], 0 offen offset:4
	buffer_load_dword v90, v85, s[0:3], 0 offen
	ds_read_b64 v[87:88], v84
	v_add_nc_u32_e32 v83, 1, v83
	v_add_nc_u32_e32 v84, 8, v84
	v_add_nc_u32_e32 v85, 8, v85
	v_cmp_lt_u32_e32 vcc_lo, 33, v83
	s_or_b32 s5, vcc_lo, s5
	s_waitcnt vmcnt(1) lgkmcnt(0)
	v_mul_f32_e32 v91, v88, v89
	v_mul_f32_e32 v89, v87, v89
	s_waitcnt vmcnt(0)
	v_fma_f32 v87, v87, v90, -v91
	v_fmac_f32_e32 v89, v88, v90
	v_add_f32_e32 v86, v86, v87
	v_add_f32_e32 v80, v80, v89
	s_andn2_b32 exec_lo, exec_lo, s5
	s_cbranch_execnz .LBB102_153
; %bb.154:
	s_or_b32 exec_lo, exec_lo, s5
	v_mov_b32_e32 v83, 0
	ds_read_b64 v[83:84], v83 offset:280
	s_waitcnt lgkmcnt(0)
	v_mul_f32_e32 v85, v80, v84
	v_mul_f32_e32 v84, v86, v84
	v_fma_f32 v85, v86, v83, -v85
	v_fmac_f32_e32 v84, v80, v83
	buffer_store_dword v85, off, s[0:3], 0 offset:280
	buffer_store_dword v84, off, s[0:3], 0 offset:284
.LBB102_155:
	s_or_b32 exec_lo, exec_lo, s4
	s_waitcnt_vscnt null, 0x0
	s_barrier
	buffer_gl0_inv
	s_clause 0x1
	buffer_load_dword v83, off, s[0:3], 0 offset:288
	buffer_load_dword v84, off, s[0:3], 0 offset:292
	s_mov_b32 s4, exec_lo
	s_waitcnt vmcnt(0)
	ds_write_b64 v82, v[83:84]
	s_waitcnt lgkmcnt(0)
	s_barrier
	buffer_gl0_inv
	v_cmpx_gt_u32_e32 36, v0
	s_cbranch_execz .LBB102_159
; %bb.156:
	v_add_nc_u32_e32 v83, -1, v0
	v_add_nc_u32_e32 v84, 0x140, v81
	v_mov_b32_e32 v85, v81
	v_mov_b32_e32 v80, 0
	;; [unrolled: 1-line block ×3, first 2 shown]
	s_mov_b32 s5, 0
	.p2align	6
.LBB102_157:                            ; =>This Inner Loop Header: Depth=1
	s_clause 0x1
	buffer_load_dword v89, v85, s[0:3], 0 offen offset:4
	buffer_load_dword v90, v85, s[0:3], 0 offen
	ds_read_b64 v[87:88], v84
	v_add_nc_u32_e32 v83, 1, v83
	v_add_nc_u32_e32 v84, 8, v84
	;; [unrolled: 1-line block ×3, first 2 shown]
	v_cmp_lt_u32_e32 vcc_lo, 34, v83
	s_or_b32 s5, vcc_lo, s5
	s_waitcnt vmcnt(1) lgkmcnt(0)
	v_mul_f32_e32 v91, v88, v89
	v_mul_f32_e32 v89, v87, v89
	s_waitcnt vmcnt(0)
	v_fma_f32 v87, v87, v90, -v91
	v_fmac_f32_e32 v89, v88, v90
	v_add_f32_e32 v86, v86, v87
	v_add_f32_e32 v80, v80, v89
	s_andn2_b32 exec_lo, exec_lo, s5
	s_cbranch_execnz .LBB102_157
; %bb.158:
	s_or_b32 exec_lo, exec_lo, s5
	v_mov_b32_e32 v83, 0
	ds_read_b64 v[83:84], v83 offset:288
	s_waitcnt lgkmcnt(0)
	v_mul_f32_e32 v85, v80, v84
	v_mul_f32_e32 v84, v86, v84
	v_fma_f32 v85, v86, v83, -v85
	v_fmac_f32_e32 v84, v80, v83
	buffer_store_dword v85, off, s[0:3], 0 offset:288
	buffer_store_dword v84, off, s[0:3], 0 offset:292
.LBB102_159:
	s_or_b32 exec_lo, exec_lo, s4
	s_waitcnt_vscnt null, 0x0
	s_barrier
	buffer_gl0_inv
	s_clause 0x1
	buffer_load_dword v83, off, s[0:3], 0 offset:296
	buffer_load_dword v84, off, s[0:3], 0 offset:300
	s_mov_b32 s4, exec_lo
	s_waitcnt vmcnt(0)
	ds_write_b64 v82, v[83:84]
	s_waitcnt lgkmcnt(0)
	s_barrier
	buffer_gl0_inv
	v_cmpx_gt_u32_e32 37, v0
	s_cbranch_execz .LBB102_163
; %bb.160:
	v_add_nc_u32_e32 v83, -1, v0
	v_add_nc_u32_e32 v84, 0x140, v81
	v_mov_b32_e32 v85, v81
	v_mov_b32_e32 v80, 0
	;; [unrolled: 1-line block ×3, first 2 shown]
	s_mov_b32 s5, 0
	.p2align	6
.LBB102_161:                            ; =>This Inner Loop Header: Depth=1
	s_clause 0x1
	buffer_load_dword v89, v85, s[0:3], 0 offen offset:4
	buffer_load_dword v90, v85, s[0:3], 0 offen
	ds_read_b64 v[87:88], v84
	v_add_nc_u32_e32 v83, 1, v83
	v_add_nc_u32_e32 v84, 8, v84
	;; [unrolled: 1-line block ×3, first 2 shown]
	v_cmp_lt_u32_e32 vcc_lo, 35, v83
	s_or_b32 s5, vcc_lo, s5
	s_waitcnt vmcnt(1) lgkmcnt(0)
	v_mul_f32_e32 v91, v88, v89
	v_mul_f32_e32 v89, v87, v89
	s_waitcnt vmcnt(0)
	v_fma_f32 v87, v87, v90, -v91
	v_fmac_f32_e32 v89, v88, v90
	v_add_f32_e32 v86, v86, v87
	v_add_f32_e32 v80, v80, v89
	s_andn2_b32 exec_lo, exec_lo, s5
	s_cbranch_execnz .LBB102_161
; %bb.162:
	s_or_b32 exec_lo, exec_lo, s5
	v_mov_b32_e32 v83, 0
	ds_read_b64 v[83:84], v83 offset:296
	s_waitcnt lgkmcnt(0)
	v_mul_f32_e32 v85, v80, v84
	v_mul_f32_e32 v84, v86, v84
	v_fma_f32 v85, v86, v83, -v85
	v_fmac_f32_e32 v84, v80, v83
	buffer_store_dword v85, off, s[0:3], 0 offset:296
	buffer_store_dword v84, off, s[0:3], 0 offset:300
.LBB102_163:
	s_or_b32 exec_lo, exec_lo, s4
	s_waitcnt_vscnt null, 0x0
	s_barrier
	buffer_gl0_inv
	s_clause 0x1
	buffer_load_dword v83, off, s[0:3], 0 offset:304
	buffer_load_dword v84, off, s[0:3], 0 offset:308
	s_mov_b32 s4, exec_lo
	s_waitcnt vmcnt(0)
	ds_write_b64 v82, v[83:84]
	s_waitcnt lgkmcnt(0)
	s_barrier
	buffer_gl0_inv
	v_cmpx_ne_u32_e32 38, v0
	s_cbranch_execz .LBB102_167
; %bb.164:
	v_mov_b32_e32 v80, 0
	v_mov_b32_e32 v83, 0
	s_mov_b32 s5, 0
	.p2align	6
.LBB102_165:                            ; =>This Inner Loop Header: Depth=1
	s_clause 0x1
	buffer_load_dword v86, v81, s[0:3], 0 offen offset:4
	buffer_load_dword v87, v81, s[0:3], 0 offen
	ds_read_b64 v[84:85], v82
	v_add_nc_u32_e32 v79, 1, v79
	v_add_nc_u32_e32 v82, 8, v82
	;; [unrolled: 1-line block ×3, first 2 shown]
	v_cmp_lt_u32_e32 vcc_lo, 36, v79
	s_or_b32 s5, vcc_lo, s5
	s_waitcnt vmcnt(1) lgkmcnt(0)
	v_mul_f32_e32 v88, v85, v86
	v_mul_f32_e32 v86, v84, v86
	s_waitcnt vmcnt(0)
	v_fma_f32 v84, v84, v87, -v88
	v_fmac_f32_e32 v86, v85, v87
	v_add_f32_e32 v83, v83, v84
	v_add_f32_e32 v80, v80, v86
	s_andn2_b32 exec_lo, exec_lo, s5
	s_cbranch_execnz .LBB102_165
; %bb.166:
	s_or_b32 exec_lo, exec_lo, s5
	v_mov_b32_e32 v79, 0
	ds_read_b64 v[81:82], v79 offset:304
	s_waitcnt lgkmcnt(0)
	v_mul_f32_e32 v79, v80, v82
	v_mul_f32_e32 v82, v83, v82
	v_fma_f32 v79, v83, v81, -v79
	v_fmac_f32_e32 v82, v80, v81
	buffer_store_dword v79, off, s[0:3], 0 offset:304
	buffer_store_dword v82, off, s[0:3], 0 offset:308
.LBB102_167:
	s_or_b32 exec_lo, exec_lo, s4
	s_mov_b32 s5, -1
	s_waitcnt_vscnt null, 0x0
	s_barrier
	buffer_gl0_inv
.LBB102_168:
	s_and_b32 vcc_lo, exec_lo, s5
	s_cbranch_vccz .LBB102_170
; %bb.169:
	s_lshl_b64 s[4:5], s[6:7], 2
	v_mov_b32_e32 v79, 0
	s_add_u32 s4, s10, s4
	s_addc_u32 s5, s11, s5
	global_load_dword v79, v79, s[4:5]
	s_waitcnt vmcnt(0)
	v_cmp_ne_u32_e32 vcc_lo, 0, v79
	s_cbranch_vccz .LBB102_171
.LBB102_170:
	s_endpgm
.LBB102_171:
	v_lshl_add_u32 v79, v0, 3, 0x140
	s_mov_b32 s4, exec_lo
	v_cmpx_eq_u32_e32 38, v0
	s_cbranch_execz .LBB102_173
; %bb.172:
	s_clause 0x1
	buffer_load_dword v80, off, s[0:3], 0 offset:296
	buffer_load_dword v81, off, s[0:3], 0 offset:300
	v_mov_b32_e32 v82, 0
	buffer_store_dword v82, off, s[0:3], 0 offset:296
	buffer_store_dword v82, off, s[0:3], 0 offset:300
	s_waitcnt vmcnt(0)
	ds_write_b64 v79, v[80:81]
.LBB102_173:
	s_or_b32 exec_lo, exec_lo, s4
	s_waitcnt lgkmcnt(0)
	s_waitcnt_vscnt null, 0x0
	s_barrier
	buffer_gl0_inv
	s_clause 0x3
	buffer_load_dword v83, off, s[0:3], 0 offset:308
	buffer_load_dword v84, off, s[0:3], 0 offset:304
	;; [unrolled: 1-line block ×4, first 2 shown]
	v_mov_b32_e32 v80, 0
	s_mov_b32 s4, exec_lo
	ds_read_b64 v[81:82], v80 offset:624
	s_waitcnt vmcnt(3) lgkmcnt(0)
	v_mul_f32_e32 v87, v82, v83
	v_mul_f32_e32 v83, v81, v83
	s_waitcnt vmcnt(2)
	v_fma_f32 v81, v81, v84, -v87
	v_fmac_f32_e32 v83, v82, v84
	v_add_f32_e32 v81, 0, v81
	v_add_f32_e32 v82, 0, v83
	s_waitcnt vmcnt(1)
	v_sub_f32_e32 v81, v85, v81
	s_waitcnt vmcnt(0)
	v_sub_f32_e32 v82, v86, v82
	buffer_store_dword v81, off, s[0:3], 0 offset:296
	buffer_store_dword v82, off, s[0:3], 0 offset:300
	v_cmpx_lt_u32_e32 36, v0
	s_cbranch_execz .LBB102_175
; %bb.174:
	s_clause 0x1
	buffer_load_dword v81, off, s[0:3], 0 offset:288
	buffer_load_dword v82, off, s[0:3], 0 offset:292
	buffer_store_dword v80, off, s[0:3], 0 offset:288
	buffer_store_dword v80, off, s[0:3], 0 offset:292
	s_waitcnt vmcnt(0)
	ds_write_b64 v79, v[81:82]
.LBB102_175:
	s_or_b32 exec_lo, exec_lo, s4
	s_waitcnt lgkmcnt(0)
	s_waitcnt_vscnt null, 0x0
	s_barrier
	buffer_gl0_inv
	s_clause 0x5
	buffer_load_dword v84, off, s[0:3], 0 offset:300
	buffer_load_dword v85, off, s[0:3], 0 offset:308
	;; [unrolled: 1-line block ×6, first 2 shown]
	ds_read2_b64 v[80:83], v80 offset0:77 offset1:78
	s_mov_b32 s4, exec_lo
	s_waitcnt vmcnt(5) lgkmcnt(0)
	v_mul_f32_e32 v90, v81, v84
	v_mul_f32_e32 v84, v80, v84
	s_waitcnt vmcnt(4)
	v_mul_f32_e32 v91, v82, v85
	v_mul_f32_e32 v85, v83, v85
	s_waitcnt vmcnt(3)
	v_fma_f32 v80, v80, v86, -v90
	v_fmac_f32_e32 v84, v81, v86
	s_waitcnt vmcnt(2)
	v_fmac_f32_e32 v91, v83, v87
	v_fma_f32 v81, v82, v87, -v85
	v_add_f32_e32 v80, 0, v80
	v_add_f32_e32 v82, 0, v84
	;; [unrolled: 1-line block ×4, first 2 shown]
	s_waitcnt vmcnt(1)
	v_sub_f32_e32 v80, v88, v80
	s_waitcnt vmcnt(0)
	v_sub_f32_e32 v81, v89, v81
	buffer_store_dword v80, off, s[0:3], 0 offset:288
	buffer_store_dword v81, off, s[0:3], 0 offset:292
	v_cmpx_lt_u32_e32 35, v0
	s_cbranch_execz .LBB102_177
; %bb.176:
	s_clause 0x1
	buffer_load_dword v80, off, s[0:3], 0 offset:280
	buffer_load_dword v81, off, s[0:3], 0 offset:284
	v_mov_b32_e32 v82, 0
	buffer_store_dword v82, off, s[0:3], 0 offset:280
	buffer_store_dword v82, off, s[0:3], 0 offset:284
	s_waitcnt vmcnt(0)
	ds_write_b64 v79, v[80:81]
.LBB102_177:
	s_or_b32 exec_lo, exec_lo, s4
	s_waitcnt lgkmcnt(0)
	s_waitcnt_vscnt null, 0x0
	s_barrier
	buffer_gl0_inv
	s_clause 0x7
	buffer_load_dword v87, off, s[0:3], 0 offset:292
	buffer_load_dword v88, off, s[0:3], 0 offset:300
	;; [unrolled: 1-line block ×8, first 2 shown]
	v_mov_b32_e32 v80, 0
	ds_read_b128 v[81:84], v80 offset:608
	ds_read_b64 v[85:86], v80 offset:624
	s_mov_b32 s4, exec_lo
	s_waitcnt vmcnt(7) lgkmcnt(1)
	v_mul_f32_e32 v95, v82, v87
	v_mul_f32_e32 v87, v81, v87
	s_waitcnt vmcnt(6)
	v_mul_f32_e32 v96, v83, v88
	v_mul_f32_e32 v88, v84, v88
	s_waitcnt vmcnt(5) lgkmcnt(0)
	v_mul_f32_e32 v97, v85, v89
	s_waitcnt vmcnt(4)
	v_fma_f32 v81, v81, v90, -v95
	v_fmac_f32_e32 v87, v82, v90
	v_mul_f32_e32 v82, v86, v89
	s_waitcnt vmcnt(3)
	v_fma_f32 v83, v83, v91, -v88
	v_fmac_f32_e32 v96, v84, v91
	v_add_f32_e32 v81, 0, v81
	v_add_f32_e32 v84, 0, v87
	s_waitcnt vmcnt(2)
	v_fma_f32 v82, v85, v92, -v82
	v_fmac_f32_e32 v97, v86, v92
	v_add_f32_e32 v81, v81, v83
	v_add_f32_e32 v83, v84, v96
	;; [unrolled: 1-line block ×4, first 2 shown]
	s_waitcnt vmcnt(1)
	v_sub_f32_e32 v81, v93, v81
	s_waitcnt vmcnt(0)
	v_sub_f32_e32 v82, v94, v82
	buffer_store_dword v81, off, s[0:3], 0 offset:280
	buffer_store_dword v82, off, s[0:3], 0 offset:284
	v_cmpx_lt_u32_e32 34, v0
	s_cbranch_execz .LBB102_179
; %bb.178:
	s_clause 0x1
	buffer_load_dword v81, off, s[0:3], 0 offset:272
	buffer_load_dword v82, off, s[0:3], 0 offset:276
	buffer_store_dword v80, off, s[0:3], 0 offset:272
	buffer_store_dword v80, off, s[0:3], 0 offset:276
	s_waitcnt vmcnt(0)
	ds_write_b64 v79, v[81:82]
.LBB102_179:
	s_or_b32 exec_lo, exec_lo, s4
	s_waitcnt lgkmcnt(0)
	s_waitcnt_vscnt null, 0x0
	s_barrier
	buffer_gl0_inv
	s_clause 0x9
	buffer_load_dword v89, off, s[0:3], 0 offset:284
	buffer_load_dword v90, off, s[0:3], 0 offset:292
	;; [unrolled: 1-line block ×10, first 2 shown]
	ds_read2_b64 v[81:84], v80 offset0:75 offset1:76
	ds_read2_b64 v[85:88], v80 offset0:77 offset1:78
	s_mov_b32 s4, exec_lo
	s_waitcnt vmcnt(9) lgkmcnt(1)
	v_mul_f32_e32 v80, v81, v89
	v_mul_f32_e32 v89, v82, v89
	s_waitcnt vmcnt(8)
	v_mul_f32_e32 v99, v83, v90
	v_mul_f32_e32 v90, v84, v90
	s_waitcnt vmcnt(7) lgkmcnt(0)
	v_mul_f32_e32 v100, v85, v91
	s_waitcnt vmcnt(5)
	v_fmac_f32_e32 v80, v82, v93
	v_fma_f32 v81, v81, v93, -v89
	v_mul_f32_e32 v82, v86, v91
	s_waitcnt vmcnt(4)
	v_fma_f32 v83, v83, v94, -v90
	v_fmac_f32_e32 v99, v84, v94
	v_add_f32_e32 v80, 0, v80
	v_add_f32_e32 v81, 0, v81
	v_mul_f32_e32 v84, v88, v92
	s_waitcnt vmcnt(3)
	v_fma_f32 v82, v85, v95, -v82
	v_mul_f32_e32 v101, v87, v92
	v_fmac_f32_e32 v100, v86, v95
	v_add_f32_e32 v81, v81, v83
	v_add_f32_e32 v80, v80, v99
	s_waitcnt vmcnt(2)
	v_fma_f32 v83, v87, v96, -v84
	v_fmac_f32_e32 v101, v88, v96
	v_add_f32_e32 v81, v81, v82
	v_add_f32_e32 v80, v80, v100
	;; [unrolled: 1-line block ×4, first 2 shown]
	s_waitcnt vmcnt(1)
	v_sub_f32_e32 v81, v97, v81
	s_waitcnt vmcnt(0)
	v_sub_f32_e32 v80, v98, v80
	buffer_store_dword v81, off, s[0:3], 0 offset:272
	buffer_store_dword v80, off, s[0:3], 0 offset:276
	v_cmpx_lt_u32_e32 33, v0
	s_cbranch_execz .LBB102_181
; %bb.180:
	s_clause 0x1
	buffer_load_dword v80, off, s[0:3], 0 offset:264
	buffer_load_dword v81, off, s[0:3], 0 offset:268
	v_mov_b32_e32 v82, 0
	buffer_store_dword v82, off, s[0:3], 0 offset:264
	buffer_store_dword v82, off, s[0:3], 0 offset:268
	s_waitcnt vmcnt(0)
	ds_write_b64 v79, v[80:81]
.LBB102_181:
	s_or_b32 exec_lo, exec_lo, s4
	s_waitcnt lgkmcnt(0)
	s_waitcnt_vscnt null, 0x0
	s_barrier
	buffer_gl0_inv
	s_clause 0xb
	buffer_load_dword v91, off, s[0:3], 0 offset:276
	buffer_load_dword v92, off, s[0:3], 0 offset:284
	;; [unrolled: 1-line block ×12, first 2 shown]
	v_mov_b32_e32 v80, 0
	ds_read_b128 v[81:84], v80 offset:592
	ds_read_b128 v[85:88], v80 offset:608
	ds_read_b64 v[89:90], v80 offset:624
	s_mov_b32 s4, exec_lo
	s_waitcnt vmcnt(11) lgkmcnt(2)
	v_mul_f32_e32 v103, v81, v91
	v_mul_f32_e32 v91, v82, v91
	s_waitcnt vmcnt(10)
	v_mul_f32_e32 v104, v83, v92
	v_mul_f32_e32 v92, v84, v92
	s_waitcnt vmcnt(9) lgkmcnt(1)
	v_mul_f32_e32 v105, v85, v93
	s_waitcnt vmcnt(6)
	v_fmac_f32_e32 v103, v82, v96
	v_fma_f32 v81, v81, v96, -v91
	v_mul_f32_e32 v82, v86, v93
	s_waitcnt vmcnt(5)
	v_fma_f32 v83, v83, v97, -v92
	v_fmac_f32_e32 v104, v84, v97
	v_add_f32_e32 v84, 0, v103
	v_add_f32_e32 v81, 0, v81
	v_mul_f32_e32 v91, v88, v94
	s_waitcnt vmcnt(4)
	v_fma_f32 v82, v85, v98, -v82
	v_mul_f32_e32 v106, v87, v94
	v_fmac_f32_e32 v105, v86, v98
	v_add_f32_e32 v81, v81, v83
	v_add_f32_e32 v83, v84, v104
	s_waitcnt lgkmcnt(0)
	v_mul_f32_e32 v84, v90, v95
	s_waitcnt vmcnt(3)
	v_fma_f32 v85, v87, v99, -v91
	v_mul_f32_e32 v107, v89, v95
	v_add_f32_e32 v81, v81, v82
	v_fmac_f32_e32 v106, v88, v99
	v_add_f32_e32 v82, v83, v105
	s_waitcnt vmcnt(2)
	v_fma_f32 v83, v89, v100, -v84
	v_fmac_f32_e32 v107, v90, v100
	v_add_f32_e32 v81, v81, v85
	v_add_f32_e32 v82, v82, v106
	;; [unrolled: 1-line block ×4, first 2 shown]
	s_waitcnt vmcnt(1)
	v_sub_f32_e32 v81, v101, v81
	s_waitcnt vmcnt(0)
	v_sub_f32_e32 v82, v102, v82
	buffer_store_dword v81, off, s[0:3], 0 offset:264
	buffer_store_dword v82, off, s[0:3], 0 offset:268
	v_cmpx_lt_u32_e32 32, v0
	s_cbranch_execz .LBB102_183
; %bb.182:
	s_clause 0x1
	buffer_load_dword v81, off, s[0:3], 0 offset:256
	buffer_load_dword v82, off, s[0:3], 0 offset:260
	buffer_store_dword v80, off, s[0:3], 0 offset:256
	buffer_store_dword v80, off, s[0:3], 0 offset:260
	s_waitcnt vmcnt(0)
	ds_write_b64 v79, v[81:82]
.LBB102_183:
	s_or_b32 exec_lo, exec_lo, s4
	s_waitcnt lgkmcnt(0)
	s_waitcnt_vscnt null, 0x0
	s_barrier
	buffer_gl0_inv
	s_clause 0xd
	buffer_load_dword v93, off, s[0:3], 0 offset:268
	buffer_load_dword v94, off, s[0:3], 0 offset:276
	;; [unrolled: 1-line block ×14, first 2 shown]
	ds_read2_b64 v[81:84], v80 offset0:73 offset1:74
	ds_read2_b64 v[85:88], v80 offset0:75 offset1:76
	;; [unrolled: 1-line block ×3, first 2 shown]
	s_mov_b32 s4, exec_lo
	s_waitcnt vmcnt(13) lgkmcnt(2)
	v_mul_f32_e32 v80, v81, v93
	v_mul_f32_e32 v93, v82, v93
	s_waitcnt vmcnt(12)
	v_mul_f32_e32 v107, v83, v94
	v_mul_f32_e32 v94, v84, v94
	s_waitcnt vmcnt(11) lgkmcnt(1)
	v_mul_f32_e32 v108, v85, v95
	s_waitcnt vmcnt(10)
	v_mul_f32_e32 v109, v87, v96
	s_waitcnt vmcnt(7)
	v_fma_f32 v81, v81, v99, -v93
	v_fmac_f32_e32 v80, v82, v99
	v_mul_f32_e32 v82, v86, v95
	s_waitcnt vmcnt(6)
	v_fma_f32 v83, v83, v100, -v94
	v_fmac_f32_e32 v107, v84, v100
	v_add_f32_e32 v81, 0, v81
	v_add_f32_e32 v80, 0, v80
	v_mul_f32_e32 v84, v88, v96
	s_waitcnt vmcnt(5)
	v_fma_f32 v82, v85, v101, -v82
	v_fmac_f32_e32 v108, v86, v101
	v_add_f32_e32 v81, v81, v83
	v_add_f32_e32 v80, v80, v107
	s_waitcnt lgkmcnt(0)
	v_mul_f32_e32 v83, v90, v97
	s_waitcnt vmcnt(4)
	v_fma_f32 v84, v87, v102, -v84
	v_mul_f32_e32 v110, v89, v97
	v_add_f32_e32 v81, v81, v82
	v_fmac_f32_e32 v109, v88, v102
	v_add_f32_e32 v80, v80, v108
	v_mul_f32_e32 v82, v92, v98
	s_waitcnt vmcnt(3)
	v_fma_f32 v83, v89, v103, -v83
	v_add_f32_e32 v81, v81, v84
	v_mul_f32_e32 v111, v91, v98
	v_fmac_f32_e32 v110, v90, v103
	v_add_f32_e32 v80, v80, v109
	s_waitcnt vmcnt(2)
	v_fma_f32 v82, v91, v104, -v82
	v_add_f32_e32 v81, v81, v83
	v_fmac_f32_e32 v111, v92, v104
	v_add_f32_e32 v80, v80, v110
	v_add_f32_e32 v81, v81, v82
	;; [unrolled: 1-line block ×3, first 2 shown]
	s_waitcnt vmcnt(1)
	v_sub_f32_e32 v81, v105, v81
	s_waitcnt vmcnt(0)
	v_sub_f32_e32 v80, v106, v80
	buffer_store_dword v81, off, s[0:3], 0 offset:256
	buffer_store_dword v80, off, s[0:3], 0 offset:260
	v_cmpx_lt_u32_e32 31, v0
	s_cbranch_execz .LBB102_185
; %bb.184:
	s_clause 0x1
	buffer_load_dword v80, off, s[0:3], 0 offset:248
	buffer_load_dword v81, off, s[0:3], 0 offset:252
	v_mov_b32_e32 v82, 0
	buffer_store_dword v82, off, s[0:3], 0 offset:248
	buffer_store_dword v82, off, s[0:3], 0 offset:252
	s_waitcnt vmcnt(0)
	ds_write_b64 v79, v[80:81]
.LBB102_185:
	s_or_b32 exec_lo, exec_lo, s4
	s_waitcnt lgkmcnt(0)
	s_waitcnt_vscnt null, 0x0
	s_barrier
	buffer_gl0_inv
	s_clause 0xf
	buffer_load_dword v95, off, s[0:3], 0 offset:260
	buffer_load_dword v96, off, s[0:3], 0 offset:268
	;; [unrolled: 1-line block ×16, first 2 shown]
	v_mov_b32_e32 v80, 0
	ds_read_b128 v[81:84], v80 offset:576
	ds_read_b128 v[85:88], v80 offset:592
	ds_read_b128 v[89:92], v80 offset:608
	ds_read_b64 v[93:94], v80 offset:624
	s_mov_b32 s4, exec_lo
	s_waitcnt vmcnt(15) lgkmcnt(3)
	v_mul_f32_e32 v111, v81, v95
	v_mul_f32_e32 v95, v82, v95
	s_waitcnt vmcnt(14)
	v_mul_f32_e32 v112, v83, v96
	v_mul_f32_e32 v96, v84, v96
	s_waitcnt vmcnt(13) lgkmcnt(2)
	v_mul_f32_e32 v113, v85, v97
	s_waitcnt vmcnt(12)
	v_mul_f32_e32 v114, v87, v98
	s_waitcnt vmcnt(11) lgkmcnt(1)
	v_mul_f32_e32 v115, v89, v99
	s_waitcnt vmcnt(8)
	v_fma_f32 v81, v81, v102, -v95
	v_fmac_f32_e32 v111, v82, v102
	v_mul_f32_e32 v82, v86, v97
	s_waitcnt vmcnt(7)
	v_fma_f32 v83, v83, v103, -v96
	v_fmac_f32_e32 v112, v84, v103
	v_add_f32_e32 v81, 0, v81
	v_add_f32_e32 v84, 0, v111
	v_mul_f32_e32 v95, v88, v98
	s_waitcnt vmcnt(6)
	v_fma_f32 v82, v85, v104, -v82
	v_fmac_f32_e32 v113, v86, v104
	v_add_f32_e32 v81, v81, v83
	v_add_f32_e32 v83, v84, v112
	;; [unrolled: 6-line block ×3, first 2 shown]
	v_mul_f32_e32 v83, v92, v100
	s_waitcnt vmcnt(4)
	v_fma_f32 v84, v89, v106, -v84
	v_mul_f32_e32 v116, v91, v100
	v_add_f32_e32 v81, v81, v85
	v_fmac_f32_e32 v115, v90, v106
	v_add_f32_e32 v82, v82, v114
	s_waitcnt lgkmcnt(0)
	v_mul_f32_e32 v85, v94, v101
	s_waitcnt vmcnt(3)
	v_fma_f32 v83, v91, v107, -v83
	v_add_f32_e32 v81, v81, v84
	v_mul_f32_e32 v117, v93, v101
	v_fmac_f32_e32 v116, v92, v107
	v_add_f32_e32 v82, v82, v115
	s_waitcnt vmcnt(2)
	v_fma_f32 v84, v93, v108, -v85
	v_add_f32_e32 v81, v81, v83
	v_fmac_f32_e32 v117, v94, v108
	v_add_f32_e32 v82, v82, v116
	v_add_f32_e32 v81, v81, v84
	;; [unrolled: 1-line block ×3, first 2 shown]
	s_waitcnt vmcnt(1)
	v_sub_f32_e32 v81, v109, v81
	s_waitcnt vmcnt(0)
	v_sub_f32_e32 v82, v110, v82
	buffer_store_dword v81, off, s[0:3], 0 offset:248
	buffer_store_dword v82, off, s[0:3], 0 offset:252
	v_cmpx_lt_u32_e32 30, v0
	s_cbranch_execz .LBB102_187
; %bb.186:
	s_clause 0x1
	buffer_load_dword v81, off, s[0:3], 0 offset:240
	buffer_load_dword v82, off, s[0:3], 0 offset:244
	buffer_store_dword v80, off, s[0:3], 0 offset:240
	buffer_store_dword v80, off, s[0:3], 0 offset:244
	s_waitcnt vmcnt(0)
	ds_write_b64 v79, v[81:82]
.LBB102_187:
	s_or_b32 exec_lo, exec_lo, s4
	s_waitcnt lgkmcnt(0)
	s_waitcnt_vscnt null, 0x0
	s_barrier
	buffer_gl0_inv
	s_clause 0x11
	buffer_load_dword v97, off, s[0:3], 0 offset:252
	buffer_load_dword v98, off, s[0:3], 0 offset:260
	;; [unrolled: 1-line block ×18, first 2 shown]
	ds_read2_b64 v[81:84], v80 offset0:71 offset1:72
	ds_read2_b64 v[85:88], v80 offset0:73 offset1:74
	;; [unrolled: 1-line block ×4, first 2 shown]
	s_mov_b32 s4, exec_lo
	s_waitcnt vmcnt(17) lgkmcnt(3)
	v_mul_f32_e32 v80, v81, v97
	v_mul_f32_e32 v97, v82, v97
	s_waitcnt vmcnt(16)
	v_mul_f32_e32 v115, v83, v98
	v_mul_f32_e32 v98, v84, v98
	s_waitcnt vmcnt(15) lgkmcnt(2)
	v_mul_f32_e32 v116, v85, v99
	s_waitcnt vmcnt(14)
	v_mul_f32_e32 v117, v87, v100
	s_waitcnt vmcnt(13) lgkmcnt(1)
	v_mul_f32_e32 v118, v89, v101
	s_waitcnt vmcnt(12)
	v_mul_f32_e32 v119, v91, v102
	s_waitcnt vmcnt(9)
	v_fma_f32 v81, v81, v105, -v97
	v_fmac_f32_e32 v80, v82, v105
	v_mul_f32_e32 v82, v86, v99
	s_waitcnt vmcnt(8)
	v_fma_f32 v83, v83, v106, -v98
	v_fmac_f32_e32 v115, v84, v106
	v_add_f32_e32 v81, 0, v81
	v_add_f32_e32 v80, 0, v80
	v_mul_f32_e32 v84, v88, v100
	s_waitcnt vmcnt(7)
	v_fma_f32 v82, v85, v107, -v82
	v_fmac_f32_e32 v116, v86, v107
	v_add_f32_e32 v81, v81, v83
	v_add_f32_e32 v80, v80, v115
	;; [unrolled: 6-line block ×4, first 2 shown]
	s_waitcnt lgkmcnt(0)
	v_mul_f32_e32 v84, v94, v103
	s_waitcnt vmcnt(4)
	v_fma_f32 v82, v91, v110, -v82
	v_mul_f32_e32 v120, v93, v103
	v_add_f32_e32 v81, v81, v83
	v_fmac_f32_e32 v119, v92, v110
	v_add_f32_e32 v80, v80, v118
	v_mul_f32_e32 v83, v96, v104
	s_waitcnt vmcnt(3)
	v_fma_f32 v84, v93, v111, -v84
	v_add_f32_e32 v81, v81, v82
	v_mul_f32_e32 v121, v95, v104
	v_fmac_f32_e32 v120, v94, v111
	v_add_f32_e32 v80, v80, v119
	s_waitcnt vmcnt(2)
	v_fma_f32 v82, v95, v112, -v83
	v_add_f32_e32 v81, v81, v84
	v_fmac_f32_e32 v121, v96, v112
	v_add_f32_e32 v80, v80, v120
	v_add_f32_e32 v81, v81, v82
	;; [unrolled: 1-line block ×3, first 2 shown]
	s_waitcnt vmcnt(1)
	v_sub_f32_e32 v81, v113, v81
	s_waitcnt vmcnt(0)
	v_sub_f32_e32 v80, v114, v80
	buffer_store_dword v81, off, s[0:3], 0 offset:240
	buffer_store_dword v80, off, s[0:3], 0 offset:244
	v_cmpx_lt_u32_e32 29, v0
	s_cbranch_execz .LBB102_189
; %bb.188:
	s_clause 0x1
	buffer_load_dword v80, off, s[0:3], 0 offset:232
	buffer_load_dword v81, off, s[0:3], 0 offset:236
	v_mov_b32_e32 v82, 0
	buffer_store_dword v82, off, s[0:3], 0 offset:232
	buffer_store_dword v82, off, s[0:3], 0 offset:236
	s_waitcnt vmcnt(0)
	ds_write_b64 v79, v[80:81]
.LBB102_189:
	s_or_b32 exec_lo, exec_lo, s4
	s_waitcnt lgkmcnt(0)
	s_waitcnt_vscnt null, 0x0
	s_barrier
	buffer_gl0_inv
	s_clause 0x13
	buffer_load_dword v99, off, s[0:3], 0 offset:244
	buffer_load_dword v100, off, s[0:3], 0 offset:252
	;; [unrolled: 1-line block ×20, first 2 shown]
	v_mov_b32_e32 v80, 0
	ds_read_b128 v[81:84], v80 offset:560
	ds_read_b128 v[85:88], v80 offset:576
	;; [unrolled: 1-line block ×4, first 2 shown]
	ds_read_b64 v[97:98], v80 offset:624
	s_mov_b32 s4, exec_lo
	s_waitcnt vmcnt(19) lgkmcnt(4)
	v_mul_f32_e32 v119, v81, v99
	v_mul_f32_e32 v99, v82, v99
	s_waitcnt vmcnt(18)
	v_mul_f32_e32 v120, v83, v100
	v_mul_f32_e32 v100, v84, v100
	s_waitcnt vmcnt(17) lgkmcnt(3)
	v_mul_f32_e32 v121, v85, v101
	s_waitcnt vmcnt(16)
	v_mul_f32_e32 v122, v87, v102
	s_waitcnt vmcnt(15) lgkmcnt(2)
	v_mul_f32_e32 v123, v89, v103
	s_waitcnt vmcnt(14)
	;; [unrolled: 4-line block ×3, first 2 shown]
	v_fma_f32 v81, v81, v108, -v99
	v_fmac_f32_e32 v119, v82, v108
	v_mul_f32_e32 v82, v86, v101
	s_waitcnt vmcnt(9)
	v_fma_f32 v83, v83, v109, -v100
	v_fmac_f32_e32 v120, v84, v109
	v_add_f32_e32 v81, 0, v81
	v_add_f32_e32 v84, 0, v119
	v_mul_f32_e32 v99, v88, v102
	s_waitcnt vmcnt(8)
	v_fma_f32 v82, v85, v110, -v82
	v_fmac_f32_e32 v121, v86, v110
	v_add_f32_e32 v81, v81, v83
	v_add_f32_e32 v83, v84, v120
	;; [unrolled: 6-line block ×5, first 2 shown]
	v_mul_f32_e32 v84, v96, v106
	s_waitcnt vmcnt(4)
	v_fma_f32 v85, v93, v114, -v85
	v_mul_f32_e32 v126, v95, v106
	v_add_f32_e32 v81, v81, v83
	v_fmac_f32_e32 v125, v94, v114
	v_add_f32_e32 v82, v82, v124
	s_waitcnt lgkmcnt(0)
	v_mul_f32_e32 v83, v98, v107
	s_waitcnt vmcnt(3)
	v_fma_f32 v84, v95, v115, -v84
	v_add_f32_e32 v81, v81, v85
	v_mul_f32_e32 v127, v97, v107
	v_fmac_f32_e32 v126, v96, v115
	v_add_f32_e32 v82, v82, v125
	s_waitcnt vmcnt(2)
	v_fma_f32 v83, v97, v116, -v83
	v_add_f32_e32 v81, v81, v84
	v_fmac_f32_e32 v127, v98, v116
	v_add_f32_e32 v82, v82, v126
	v_add_f32_e32 v81, v81, v83
	;; [unrolled: 1-line block ×3, first 2 shown]
	s_waitcnt vmcnt(1)
	v_sub_f32_e32 v81, v117, v81
	s_waitcnt vmcnt(0)
	v_sub_f32_e32 v82, v118, v82
	buffer_store_dword v81, off, s[0:3], 0 offset:232
	buffer_store_dword v82, off, s[0:3], 0 offset:236
	v_cmpx_lt_u32_e32 28, v0
	s_cbranch_execz .LBB102_191
; %bb.190:
	s_clause 0x1
	buffer_load_dword v81, off, s[0:3], 0 offset:224
	buffer_load_dword v82, off, s[0:3], 0 offset:228
	buffer_store_dword v80, off, s[0:3], 0 offset:224
	buffer_store_dword v80, off, s[0:3], 0 offset:228
	s_waitcnt vmcnt(0)
	ds_write_b64 v79, v[81:82]
.LBB102_191:
	s_or_b32 exec_lo, exec_lo, s4
	s_waitcnt lgkmcnt(0)
	s_waitcnt_vscnt null, 0x0
	s_barrier
	buffer_gl0_inv
	s_clause 0x15
	buffer_load_dword v101, off, s[0:3], 0 offset:236
	buffer_load_dword v102, off, s[0:3], 0 offset:244
	;; [unrolled: 1-line block ×22, first 2 shown]
	ds_read2_b64 v[81:84], v80 offset0:69 offset1:70
	ds_read2_b64 v[85:88], v80 offset0:71 offset1:72
	;; [unrolled: 1-line block ×5, first 2 shown]
	s_mov_b32 s4, exec_lo
	s_waitcnt vmcnt(21) lgkmcnt(4)
	v_mul_f32_e32 v80, v81, v101
	v_mul_f32_e32 v101, v82, v101
	s_waitcnt vmcnt(20)
	v_mul_f32_e32 v123, v83, v102
	v_mul_f32_e32 v102, v84, v102
	s_waitcnt vmcnt(19) lgkmcnt(3)
	v_mul_f32_e32 v124, v85, v103
	s_waitcnt vmcnt(18)
	v_mul_f32_e32 v125, v87, v104
	s_waitcnt vmcnt(17) lgkmcnt(2)
	v_mul_f32_e32 v126, v89, v105
	s_waitcnt vmcnt(16)
	;; [unrolled: 4-line block ×3, first 2 shown]
	v_mul_f32_e32 v129, v95, v108
	s_waitcnt vmcnt(11)
	v_fma_f32 v81, v81, v111, -v101
	v_fmac_f32_e32 v80, v82, v111
	v_mul_f32_e32 v82, v86, v103
	s_waitcnt vmcnt(10)
	v_fma_f32 v83, v83, v112, -v102
	v_fmac_f32_e32 v123, v84, v112
	v_add_f32_e32 v81, 0, v81
	v_add_f32_e32 v80, 0, v80
	v_mul_f32_e32 v84, v88, v104
	s_waitcnt vmcnt(9)
	v_fma_f32 v82, v85, v113, -v82
	v_fmac_f32_e32 v124, v86, v113
	v_add_f32_e32 v81, v81, v83
	v_add_f32_e32 v80, v80, v123
	;; [unrolled: 6-line block ×6, first 2 shown]
	s_waitcnt lgkmcnt(0)
	v_mul_f32_e32 v82, v98, v109
	s_waitcnt vmcnt(4)
	v_fma_f32 v83, v95, v118, -v83
	v_mul_f32_e32 v130, v97, v109
	v_add_f32_e32 v81, v81, v84
	v_fmac_f32_e32 v129, v96, v118
	v_add_f32_e32 v80, v80, v128
	v_mul_f32_e32 v84, v100, v110
	s_waitcnt vmcnt(3)
	v_fma_f32 v82, v97, v119, -v82
	v_add_f32_e32 v81, v81, v83
	v_mul_f32_e32 v131, v99, v110
	v_fmac_f32_e32 v130, v98, v119
	v_add_f32_e32 v80, v80, v129
	s_waitcnt vmcnt(2)
	v_fma_f32 v83, v99, v120, -v84
	v_add_f32_e32 v81, v81, v82
	v_fmac_f32_e32 v131, v100, v120
	v_add_f32_e32 v80, v80, v130
	v_add_f32_e32 v81, v81, v83
	;; [unrolled: 1-line block ×3, first 2 shown]
	s_waitcnt vmcnt(1)
	v_sub_f32_e32 v81, v121, v81
	s_waitcnt vmcnt(0)
	v_sub_f32_e32 v80, v122, v80
	buffer_store_dword v81, off, s[0:3], 0 offset:224
	buffer_store_dword v80, off, s[0:3], 0 offset:228
	v_cmpx_lt_u32_e32 27, v0
	s_cbranch_execz .LBB102_193
; %bb.192:
	s_clause 0x1
	buffer_load_dword v80, off, s[0:3], 0 offset:216
	buffer_load_dword v81, off, s[0:3], 0 offset:220
	v_mov_b32_e32 v82, 0
	buffer_store_dword v82, off, s[0:3], 0 offset:216
	buffer_store_dword v82, off, s[0:3], 0 offset:220
	s_waitcnt vmcnt(0)
	ds_write_b64 v79, v[80:81]
.LBB102_193:
	s_or_b32 exec_lo, exec_lo, s4
	s_waitcnt lgkmcnt(0)
	s_waitcnt_vscnt null, 0x0
	s_barrier
	buffer_gl0_inv
	s_clause 0x17
	buffer_load_dword v103, off, s[0:3], 0 offset:228
	buffer_load_dword v104, off, s[0:3], 0 offset:236
	buffer_load_dword v105, off, s[0:3], 0 offset:244
	buffer_load_dword v106, off, s[0:3], 0 offset:252
	buffer_load_dword v107, off, s[0:3], 0 offset:260
	buffer_load_dword v108, off, s[0:3], 0 offset:268
	buffer_load_dword v109, off, s[0:3], 0 offset:276
	buffer_load_dword v110, off, s[0:3], 0 offset:284
	buffer_load_dword v111, off, s[0:3], 0 offset:292
	buffer_load_dword v112, off, s[0:3], 0 offset:300
	buffer_load_dword v113, off, s[0:3], 0 offset:308
	buffer_load_dword v114, off, s[0:3], 0 offset:224
	buffer_load_dword v115, off, s[0:3], 0 offset:232
	buffer_load_dword v116, off, s[0:3], 0 offset:240
	buffer_load_dword v117, off, s[0:3], 0 offset:248
	buffer_load_dword v118, off, s[0:3], 0 offset:256
	buffer_load_dword v119, off, s[0:3], 0 offset:264
	buffer_load_dword v120, off, s[0:3], 0 offset:272
	buffer_load_dword v121, off, s[0:3], 0 offset:280
	buffer_load_dword v122, off, s[0:3], 0 offset:288
	buffer_load_dword v123, off, s[0:3], 0 offset:296
	buffer_load_dword v124, off, s[0:3], 0 offset:304
	buffer_load_dword v125, off, s[0:3], 0 offset:216
	buffer_load_dword v126, off, s[0:3], 0 offset:220
	v_mov_b32_e32 v80, 0
	ds_read_b128 v[81:84], v80 offset:544
	ds_read_b128 v[85:88], v80 offset:560
	;; [unrolled: 1-line block ×5, first 2 shown]
	ds_read_b64 v[101:102], v80 offset:624
	s_mov_b32 s4, exec_lo
	s_waitcnt vmcnt(23) lgkmcnt(5)
	v_mul_f32_e32 v127, v81, v103
	v_mul_f32_e32 v103, v82, v103
	s_waitcnt vmcnt(22)
	v_mul_f32_e32 v128, v83, v104
	v_mul_f32_e32 v104, v84, v104
	s_waitcnt vmcnt(21) lgkmcnt(4)
	v_mul_f32_e32 v129, v85, v105
	s_waitcnt vmcnt(20)
	v_mul_f32_e32 v130, v87, v106
	s_waitcnt vmcnt(19) lgkmcnt(3)
	v_mul_f32_e32 v131, v89, v107
	s_waitcnt vmcnt(18)
	v_mul_f32_e32 v132, v91, v108
	s_waitcnt vmcnt(17) lgkmcnt(2)
	v_mul_f32_e32 v133, v93, v109
	s_waitcnt vmcnt(16)
	v_mul_f32_e32 v134, v95, v110
	s_waitcnt vmcnt(15) lgkmcnt(1)
	v_mul_f32_e32 v135, v97, v111
	s_waitcnt vmcnt(12)
	v_fma_f32 v81, v81, v114, -v103
	v_fmac_f32_e32 v127, v82, v114
	v_mul_f32_e32 v82, v86, v105
	s_waitcnt vmcnt(11)
	v_fma_f32 v83, v83, v115, -v104
	v_fmac_f32_e32 v128, v84, v115
	v_add_f32_e32 v81, 0, v81
	v_add_f32_e32 v84, 0, v127
	v_mul_f32_e32 v103, v88, v106
	s_waitcnt vmcnt(10)
	v_fma_f32 v82, v85, v116, -v82
	v_fmac_f32_e32 v129, v86, v116
	v_add_f32_e32 v81, v81, v83
	v_add_f32_e32 v83, v84, v128
	;; [unrolled: 6-line block ×7, first 2 shown]
	v_mul_f32_e32 v85, v100, v112
	s_waitcnt vmcnt(4)
	v_fma_f32 v83, v97, v122, -v83
	v_mul_f32_e32 v136, v99, v112
	v_add_f32_e32 v81, v81, v84
	v_fmac_f32_e32 v135, v98, v122
	v_add_f32_e32 v82, v82, v134
	s_waitcnt lgkmcnt(0)
	v_mul_f32_e32 v84, v102, v113
	s_waitcnt vmcnt(3)
	v_fma_f32 v85, v99, v123, -v85
	v_add_f32_e32 v81, v81, v83
	v_mul_f32_e32 v137, v101, v113
	v_fmac_f32_e32 v136, v100, v123
	v_add_f32_e32 v82, v82, v135
	s_waitcnt vmcnt(2)
	v_fma_f32 v83, v101, v124, -v84
	v_add_f32_e32 v81, v81, v85
	v_fmac_f32_e32 v137, v102, v124
	v_add_f32_e32 v82, v82, v136
	v_add_f32_e32 v81, v81, v83
	;; [unrolled: 1-line block ×3, first 2 shown]
	s_waitcnt vmcnt(1)
	v_sub_f32_e32 v81, v125, v81
	s_waitcnt vmcnt(0)
	v_sub_f32_e32 v82, v126, v82
	buffer_store_dword v81, off, s[0:3], 0 offset:216
	buffer_store_dword v82, off, s[0:3], 0 offset:220
	v_cmpx_lt_u32_e32 26, v0
	s_cbranch_execz .LBB102_195
; %bb.194:
	s_clause 0x1
	buffer_load_dword v81, off, s[0:3], 0 offset:208
	buffer_load_dword v82, off, s[0:3], 0 offset:212
	buffer_store_dword v80, off, s[0:3], 0 offset:208
	buffer_store_dword v80, off, s[0:3], 0 offset:212
	s_waitcnt vmcnt(0)
	ds_write_b64 v79, v[81:82]
.LBB102_195:
	s_or_b32 exec_lo, exec_lo, s4
	s_waitcnt lgkmcnt(0)
	s_waitcnt_vscnt null, 0x0
	s_barrier
	buffer_gl0_inv
	s_clause 0x19
	buffer_load_dword v105, off, s[0:3], 0 offset:220
	buffer_load_dword v106, off, s[0:3], 0 offset:228
	;; [unrolled: 1-line block ×26, first 2 shown]
	ds_read2_b64 v[81:84], v80 offset0:67 offset1:68
	ds_read2_b64 v[85:88], v80 offset0:69 offset1:70
	;; [unrolled: 1-line block ×6, first 2 shown]
	s_mov_b32 s4, exec_lo
	s_waitcnt vmcnt(25) lgkmcnt(5)
	v_mul_f32_e32 v80, v81, v105
	v_mul_f32_e32 v105, v82, v105
	s_waitcnt vmcnt(24)
	v_mul_f32_e32 v131, v83, v106
	v_mul_f32_e32 v106, v84, v106
	s_waitcnt vmcnt(23) lgkmcnt(4)
	v_mul_f32_e32 v132, v85, v107
	s_waitcnt vmcnt(22)
	v_mul_f32_e32 v133, v87, v108
	s_waitcnt vmcnt(21) lgkmcnt(3)
	v_mul_f32_e32 v134, v89, v109
	s_waitcnt vmcnt(20)
	;; [unrolled: 4-line block ×4, first 2 shown]
	v_mul_f32_e32 v139, v99, v114
	s_waitcnt vmcnt(13)
	v_fma_f32 v81, v81, v117, -v105
	v_fmac_f32_e32 v80, v82, v117
	v_mul_f32_e32 v82, v86, v107
	s_waitcnt vmcnt(12)
	v_fma_f32 v83, v83, v118, -v106
	v_fmac_f32_e32 v131, v84, v118
	v_add_f32_e32 v81, 0, v81
	v_add_f32_e32 v80, 0, v80
	v_mul_f32_e32 v84, v88, v108
	s_waitcnt vmcnt(11)
	v_fma_f32 v82, v85, v119, -v82
	v_fmac_f32_e32 v132, v86, v119
	v_add_f32_e32 v81, v81, v83
	v_add_f32_e32 v80, v80, v131
	;; [unrolled: 6-line block ×8, first 2 shown]
	s_waitcnt lgkmcnt(0)
	v_mul_f32_e32 v83, v102, v115
	s_waitcnt vmcnt(4)
	v_fma_f32 v84, v99, v126, -v84
	v_mul_f32_e32 v140, v101, v115
	v_add_f32_e32 v81, v81, v82
	v_fmac_f32_e32 v139, v100, v126
	v_add_f32_e32 v80, v80, v138
	v_mul_f32_e32 v82, v104, v116
	s_waitcnt vmcnt(3)
	v_fma_f32 v83, v101, v127, -v83
	v_add_f32_e32 v81, v81, v84
	v_mul_f32_e32 v141, v103, v116
	v_fmac_f32_e32 v140, v102, v127
	v_add_f32_e32 v80, v80, v139
	s_waitcnt vmcnt(2)
	v_fma_f32 v82, v103, v128, -v82
	v_add_f32_e32 v81, v81, v83
	v_fmac_f32_e32 v141, v104, v128
	v_add_f32_e32 v80, v80, v140
	v_add_f32_e32 v81, v81, v82
	;; [unrolled: 1-line block ×3, first 2 shown]
	s_waitcnt vmcnt(1)
	v_sub_f32_e32 v81, v129, v81
	s_waitcnt vmcnt(0)
	v_sub_f32_e32 v80, v130, v80
	buffer_store_dword v81, off, s[0:3], 0 offset:208
	buffer_store_dword v80, off, s[0:3], 0 offset:212
	v_cmpx_lt_u32_e32 25, v0
	s_cbranch_execz .LBB102_197
; %bb.196:
	s_clause 0x1
	buffer_load_dword v80, off, s[0:3], 0 offset:200
	buffer_load_dword v81, off, s[0:3], 0 offset:204
	v_mov_b32_e32 v82, 0
	buffer_store_dword v82, off, s[0:3], 0 offset:200
	buffer_store_dword v82, off, s[0:3], 0 offset:204
	s_waitcnt vmcnt(0)
	ds_write_b64 v79, v[80:81]
.LBB102_197:
	s_or_b32 exec_lo, exec_lo, s4
	s_waitcnt lgkmcnt(0)
	s_waitcnt_vscnt null, 0x0
	s_barrier
	buffer_gl0_inv
	s_clause 0x1b
	buffer_load_dword v107, off, s[0:3], 0 offset:212
	buffer_load_dword v108, off, s[0:3], 0 offset:220
	;; [unrolled: 1-line block ×28, first 2 shown]
	v_mov_b32_e32 v80, 0
	ds_read_b128 v[81:84], v80 offset:528
	ds_read_b128 v[85:88], v80 offset:544
	;; [unrolled: 1-line block ×6, first 2 shown]
	ds_read_b64 v[105:106], v80 offset:624
	s_mov_b32 s4, exec_lo
	s_waitcnt vmcnt(27) lgkmcnt(6)
	v_mul_f32_e32 v135, v81, v107
	v_mul_f32_e32 v107, v82, v107
	s_waitcnt vmcnt(26)
	v_mul_f32_e32 v136, v83, v108
	v_mul_f32_e32 v108, v84, v108
	s_waitcnt vmcnt(25) lgkmcnt(5)
	v_mul_f32_e32 v137, v85, v109
	s_waitcnt vmcnt(24)
	v_mul_f32_e32 v138, v87, v110
	s_waitcnt vmcnt(23) lgkmcnt(4)
	v_mul_f32_e32 v139, v89, v111
	s_waitcnt vmcnt(22)
	;; [unrolled: 4-line block ×5, first 2 shown]
	v_fma_f32 v81, v81, v120, -v107
	v_fmac_f32_e32 v135, v82, v120
	v_mul_f32_e32 v82, v86, v109
	s_waitcnt vmcnt(13)
	v_fma_f32 v83, v83, v121, -v108
	v_fmac_f32_e32 v136, v84, v121
	v_add_f32_e32 v81, 0, v81
	v_add_f32_e32 v84, 0, v135
	v_mul_f32_e32 v107, v88, v110
	s_waitcnt vmcnt(12)
	v_fma_f32 v82, v85, v122, -v82
	v_fmac_f32_e32 v137, v86, v122
	v_add_f32_e32 v81, v81, v83
	v_add_f32_e32 v83, v84, v136
	;; [unrolled: 6-line block ×9, first 2 shown]
	v_mul_f32_e32 v83, v104, v118
	s_waitcnt vmcnt(4)
	v_fma_f32 v84, v101, v130, -v84
	v_mul_f32_e32 v146, v103, v118
	v_add_f32_e32 v81, v81, v85
	v_fmac_f32_e32 v145, v102, v130
	v_add_f32_e32 v82, v82, v144
	s_waitcnt lgkmcnt(0)
	v_mul_f32_e32 v85, v106, v119
	s_waitcnt vmcnt(3)
	v_fma_f32 v83, v103, v131, -v83
	v_add_f32_e32 v81, v81, v84
	v_mul_f32_e32 v147, v105, v119
	v_fmac_f32_e32 v146, v104, v131
	v_add_f32_e32 v82, v82, v145
	s_waitcnt vmcnt(2)
	v_fma_f32 v84, v105, v132, -v85
	v_add_f32_e32 v81, v81, v83
	v_fmac_f32_e32 v147, v106, v132
	v_add_f32_e32 v82, v82, v146
	v_add_f32_e32 v81, v81, v84
	;; [unrolled: 1-line block ×3, first 2 shown]
	s_waitcnt vmcnt(1)
	v_sub_f32_e32 v81, v133, v81
	s_waitcnt vmcnt(0)
	v_sub_f32_e32 v82, v134, v82
	buffer_store_dword v81, off, s[0:3], 0 offset:200
	buffer_store_dword v82, off, s[0:3], 0 offset:204
	v_cmpx_lt_u32_e32 24, v0
	s_cbranch_execz .LBB102_199
; %bb.198:
	s_clause 0x1
	buffer_load_dword v81, off, s[0:3], 0 offset:192
	buffer_load_dword v82, off, s[0:3], 0 offset:196
	buffer_store_dword v80, off, s[0:3], 0 offset:192
	buffer_store_dword v80, off, s[0:3], 0 offset:196
	s_waitcnt vmcnt(0)
	ds_write_b64 v79, v[81:82]
.LBB102_199:
	s_or_b32 exec_lo, exec_lo, s4
	s_waitcnt lgkmcnt(0)
	s_waitcnt_vscnt null, 0x0
	s_barrier
	buffer_gl0_inv
	s_clause 0x1d
	buffer_load_dword v109, off, s[0:3], 0 offset:204
	buffer_load_dword v110, off, s[0:3], 0 offset:212
	;; [unrolled: 1-line block ×30, first 2 shown]
	ds_read2_b64 v[81:84], v80 offset0:65 offset1:66
	ds_read2_b64 v[85:88], v80 offset0:67 offset1:68
	ds_read2_b64 v[89:92], v80 offset0:69 offset1:70
	ds_read2_b64 v[93:96], v80 offset0:71 offset1:72
	ds_read2_b64 v[97:100], v80 offset0:73 offset1:74
	ds_read2_b64 v[101:104], v80 offset0:75 offset1:76
	ds_read2_b64 v[105:108], v80 offset0:77 offset1:78
	s_mov_b32 s4, exec_lo
	s_waitcnt vmcnt(29) lgkmcnt(6)
	v_mul_f32_e32 v80, v81, v109
	v_mul_f32_e32 v109, v82, v109
	s_waitcnt vmcnt(28)
	v_mul_f32_e32 v139, v83, v110
	v_mul_f32_e32 v110, v84, v110
	s_waitcnt vmcnt(27) lgkmcnt(5)
	v_mul_f32_e32 v140, v85, v111
	s_waitcnt vmcnt(26)
	v_mul_f32_e32 v141, v87, v112
	s_waitcnt vmcnt(25) lgkmcnt(4)
	v_mul_f32_e32 v142, v89, v113
	s_waitcnt vmcnt(24)
	;; [unrolled: 4-line block ×5, first 2 shown]
	v_mul_f32_e32 v149, v103, v120
	s_waitcnt vmcnt(15)
	v_fma_f32 v81, v81, v123, -v109
	v_fmac_f32_e32 v80, v82, v123
	v_mul_f32_e32 v82, v86, v111
	s_waitcnt vmcnt(14)
	v_fma_f32 v83, v83, v124, -v110
	v_fmac_f32_e32 v139, v84, v124
	v_add_f32_e32 v81, 0, v81
	v_add_f32_e32 v80, 0, v80
	v_mul_f32_e32 v84, v88, v112
	s_waitcnt vmcnt(13)
	v_fma_f32 v82, v85, v125, -v82
	v_fmac_f32_e32 v140, v86, v125
	v_add_f32_e32 v81, v81, v83
	v_add_f32_e32 v80, v80, v139
	;; [unrolled: 6-line block ×10, first 2 shown]
	s_waitcnt lgkmcnt(0)
	v_mul_f32_e32 v84, v106, v121
	s_waitcnt vmcnt(4)
	v_fma_f32 v82, v103, v134, -v82
	v_mul_f32_e32 v150, v105, v121
	v_add_f32_e32 v81, v81, v83
	v_fmac_f32_e32 v149, v104, v134
	v_add_f32_e32 v80, v80, v148
	v_mul_f32_e32 v83, v108, v122
	s_waitcnt vmcnt(3)
	v_fma_f32 v84, v105, v135, -v84
	v_add_f32_e32 v81, v81, v82
	v_mul_f32_e32 v151, v107, v122
	v_fmac_f32_e32 v150, v106, v135
	v_add_f32_e32 v80, v80, v149
	s_waitcnt vmcnt(2)
	v_fma_f32 v82, v107, v136, -v83
	v_add_f32_e32 v81, v81, v84
	v_fmac_f32_e32 v151, v108, v136
	v_add_f32_e32 v80, v80, v150
	v_add_f32_e32 v81, v81, v82
	;; [unrolled: 1-line block ×3, first 2 shown]
	s_waitcnt vmcnt(1)
	v_sub_f32_e32 v81, v137, v81
	s_waitcnt vmcnt(0)
	v_sub_f32_e32 v80, v138, v80
	buffer_store_dword v81, off, s[0:3], 0 offset:192
	buffer_store_dword v80, off, s[0:3], 0 offset:196
	v_cmpx_lt_u32_e32 23, v0
	s_cbranch_execz .LBB102_201
; %bb.200:
	s_clause 0x1
	buffer_load_dword v80, off, s[0:3], 0 offset:184
	buffer_load_dword v81, off, s[0:3], 0 offset:188
	v_mov_b32_e32 v82, 0
	buffer_store_dword v82, off, s[0:3], 0 offset:184
	buffer_store_dword v82, off, s[0:3], 0 offset:188
	s_waitcnt vmcnt(0)
	ds_write_b64 v79, v[80:81]
.LBB102_201:
	s_or_b32 exec_lo, exec_lo, s4
	s_waitcnt lgkmcnt(0)
	s_waitcnt_vscnt null, 0x0
	s_barrier
	buffer_gl0_inv
	s_clause 0x1f
	buffer_load_dword v111, off, s[0:3], 0 offset:196
	buffer_load_dword v112, off, s[0:3], 0 offset:204
	;; [unrolled: 1-line block ×32, first 2 shown]
	v_mov_b32_e32 v80, 0
	ds_read_b128 v[81:84], v80 offset:512
	ds_read_b128 v[85:88], v80 offset:528
	;; [unrolled: 1-line block ×7, first 2 shown]
	ds_read_b64 v[109:110], v80 offset:624
	s_mov_b32 s4, exec_lo
	s_waitcnt vmcnt(31) lgkmcnt(7)
	v_mul_f32_e32 v143, v81, v111
	v_mul_f32_e32 v111, v82, v111
	s_waitcnt vmcnt(30)
	v_mul_f32_e32 v144, v83, v112
	v_mul_f32_e32 v112, v84, v112
	s_waitcnt vmcnt(29) lgkmcnt(6)
	v_mul_f32_e32 v145, v85, v113
	s_waitcnt vmcnt(28)
	v_mul_f32_e32 v146, v87, v114
	s_waitcnt vmcnt(27) lgkmcnt(5)
	v_mul_f32_e32 v147, v89, v115
	s_waitcnt vmcnt(26)
	;; [unrolled: 4-line block ×6, first 2 shown]
	v_fma_f32 v81, v81, v126, -v111
	v_fmac_f32_e32 v143, v82, v126
	v_mul_f32_e32 v82, v86, v113
	s_waitcnt vmcnt(15)
	v_fma_f32 v83, v83, v127, -v112
	v_fmac_f32_e32 v144, v84, v127
	v_add_f32_e32 v81, 0, v81
	v_add_f32_e32 v84, 0, v143
	v_mul_f32_e32 v111, v88, v114
	s_waitcnt vmcnt(14)
	v_fma_f32 v82, v85, v128, -v82
	v_fmac_f32_e32 v145, v86, v128
	v_add_f32_e32 v81, v81, v83
	v_add_f32_e32 v83, v84, v144
	;; [unrolled: 6-line block ×11, first 2 shown]
	v_mul_f32_e32 v84, v108, v124
	s_waitcnt vmcnt(4)
	v_fma_f32 v85, v105, v138, -v85
	v_mul_f32_e32 v156, v107, v124
	v_add_f32_e32 v81, v81, v83
	v_fmac_f32_e32 v155, v106, v138
	v_add_f32_e32 v82, v82, v154
	s_waitcnt lgkmcnt(0)
	v_mul_f32_e32 v83, v110, v125
	s_waitcnt vmcnt(3)
	v_fma_f32 v84, v107, v139, -v84
	v_add_f32_e32 v81, v81, v85
	v_mul_f32_e32 v157, v109, v125
	v_fmac_f32_e32 v156, v108, v139
	v_add_f32_e32 v82, v82, v155
	s_waitcnt vmcnt(2)
	v_fma_f32 v83, v109, v140, -v83
	v_add_f32_e32 v81, v81, v84
	v_fmac_f32_e32 v157, v110, v140
	v_add_f32_e32 v82, v82, v156
	v_add_f32_e32 v81, v81, v83
	;; [unrolled: 1-line block ×3, first 2 shown]
	s_waitcnt vmcnt(1)
	v_sub_f32_e32 v81, v141, v81
	s_waitcnt vmcnt(0)
	v_sub_f32_e32 v82, v142, v82
	buffer_store_dword v81, off, s[0:3], 0 offset:184
	buffer_store_dword v82, off, s[0:3], 0 offset:188
	v_cmpx_lt_u32_e32 22, v0
	s_cbranch_execz .LBB102_203
; %bb.202:
	s_clause 0x1
	buffer_load_dword v81, off, s[0:3], 0 offset:176
	buffer_load_dword v82, off, s[0:3], 0 offset:180
	buffer_store_dword v80, off, s[0:3], 0 offset:176
	buffer_store_dword v80, off, s[0:3], 0 offset:180
	s_waitcnt vmcnt(0)
	ds_write_b64 v79, v[81:82]
.LBB102_203:
	s_or_b32 exec_lo, exec_lo, s4
	s_waitcnt lgkmcnt(0)
	s_waitcnt_vscnt null, 0x0
	s_barrier
	buffer_gl0_inv
	s_clause 0x21
	buffer_load_dword v113, off, s[0:3], 0 offset:188
	buffer_load_dword v114, off, s[0:3], 0 offset:196
	;; [unrolled: 1-line block ×34, first 2 shown]
	ds_read2_b64 v[81:84], v80 offset0:63 offset1:64
	ds_read2_b64 v[85:88], v80 offset0:65 offset1:66
	;; [unrolled: 1-line block ×8, first 2 shown]
	s_mov_b32 s4, exec_lo
	s_waitcnt vmcnt(33) lgkmcnt(7)
	v_mul_f32_e32 v80, v81, v113
	v_mul_f32_e32 v113, v82, v113
	s_waitcnt vmcnt(32)
	v_mul_f32_e32 v147, v83, v114
	v_mul_f32_e32 v114, v84, v114
	s_waitcnt vmcnt(31) lgkmcnt(6)
	v_mul_f32_e32 v148, v85, v115
	s_waitcnt vmcnt(30)
	v_mul_f32_e32 v149, v87, v116
	s_waitcnt vmcnt(29) lgkmcnt(5)
	v_mul_f32_e32 v150, v89, v117
	s_waitcnt vmcnt(28)
	;; [unrolled: 4-line block ×6, first 2 shown]
	v_mul_f32_e32 v159, v107, v126
	s_waitcnt vmcnt(17)
	v_fma_f32 v81, v81, v129, -v113
	v_fmac_f32_e32 v80, v82, v129
	v_mul_f32_e32 v82, v86, v115
	s_waitcnt vmcnt(16)
	v_fma_f32 v83, v83, v130, -v114
	v_fmac_f32_e32 v147, v84, v130
	v_add_f32_e32 v81, 0, v81
	v_add_f32_e32 v80, 0, v80
	v_mul_f32_e32 v84, v88, v116
	s_waitcnt vmcnt(15)
	v_fma_f32 v82, v85, v131, -v82
	v_fmac_f32_e32 v148, v86, v131
	v_add_f32_e32 v81, v81, v83
	v_add_f32_e32 v80, v80, v147
	;; [unrolled: 6-line block ×12, first 2 shown]
	s_waitcnt lgkmcnt(0)
	v_mul_f32_e32 v82, v110, v127
	s_waitcnt vmcnt(4)
	v_fma_f32 v83, v107, v142, -v83
	v_mul_f32_e32 v160, v109, v127
	v_add_f32_e32 v81, v81, v84
	v_fmac_f32_e32 v159, v108, v142
	v_add_f32_e32 v80, v80, v158
	v_mul_f32_e32 v84, v112, v128
	s_waitcnt vmcnt(3)
	v_fma_f32 v82, v109, v143, -v82
	v_add_f32_e32 v81, v81, v83
	v_mul_f32_e32 v161, v111, v128
	v_fmac_f32_e32 v160, v110, v143
	v_add_f32_e32 v80, v80, v159
	s_waitcnt vmcnt(2)
	v_fma_f32 v83, v111, v144, -v84
	v_add_f32_e32 v81, v81, v82
	v_fmac_f32_e32 v161, v112, v144
	v_add_f32_e32 v80, v80, v160
	v_add_f32_e32 v81, v81, v83
	;; [unrolled: 1-line block ×3, first 2 shown]
	s_waitcnt vmcnt(1)
	v_sub_f32_e32 v81, v145, v81
	s_waitcnt vmcnt(0)
	v_sub_f32_e32 v80, v146, v80
	buffer_store_dword v81, off, s[0:3], 0 offset:176
	buffer_store_dword v80, off, s[0:3], 0 offset:180
	v_cmpx_lt_u32_e32 21, v0
	s_cbranch_execz .LBB102_205
; %bb.204:
	s_clause 0x1
	buffer_load_dword v80, off, s[0:3], 0 offset:168
	buffer_load_dword v81, off, s[0:3], 0 offset:172
	v_mov_b32_e32 v82, 0
	buffer_store_dword v82, off, s[0:3], 0 offset:168
	buffer_store_dword v82, off, s[0:3], 0 offset:172
	s_waitcnt vmcnt(0)
	ds_write_b64 v79, v[80:81]
.LBB102_205:
	s_or_b32 exec_lo, exec_lo, s4
	s_waitcnt lgkmcnt(0)
	s_waitcnt_vscnt null, 0x0
	s_barrier
	buffer_gl0_inv
	s_clause 0x23
	buffer_load_dword v115, off, s[0:3], 0 offset:180
	buffer_load_dword v116, off, s[0:3], 0 offset:188
	;; [unrolled: 1-line block ×36, first 2 shown]
	v_mov_b32_e32 v80, 0
	ds_read_b128 v[81:84], v80 offset:496
	ds_read_b128 v[85:88], v80 offset:512
	;; [unrolled: 1-line block ×8, first 2 shown]
	ds_read_b64 v[113:114], v80 offset:624
	s_mov_b32 s4, exec_lo
	s_waitcnt vmcnt(35) lgkmcnt(8)
	v_mul_f32_e32 v151, v81, v115
	v_mul_f32_e32 v115, v82, v115
	s_waitcnt vmcnt(34)
	v_mul_f32_e32 v152, v83, v116
	v_mul_f32_e32 v116, v84, v116
	s_waitcnt vmcnt(33) lgkmcnt(7)
	v_mul_f32_e32 v153, v85, v117
	s_waitcnt vmcnt(32)
	v_mul_f32_e32 v154, v87, v118
	s_waitcnt vmcnt(31) lgkmcnt(6)
	v_mul_f32_e32 v155, v89, v119
	s_waitcnt vmcnt(30)
	v_mul_f32_e32 v156, v91, v120
	s_waitcnt vmcnt(29) lgkmcnt(5)
	v_mul_f32_e32 v157, v93, v121
	s_waitcnt vmcnt(28)
	v_mul_f32_e32 v158, v95, v122
	s_waitcnt vmcnt(27) lgkmcnt(4)
	v_mul_f32_e32 v159, v97, v123
	s_waitcnt vmcnt(26)
	v_mul_f32_e32 v160, v99, v124
	s_waitcnt vmcnt(25) lgkmcnt(3)
	v_mul_f32_e32 v161, v101, v125
	s_waitcnt vmcnt(24)
	v_mul_f32_e32 v162, v103, v126
	s_waitcnt vmcnt(23) lgkmcnt(2)
	v_mul_f32_e32 v163, v105, v127
	s_waitcnt vmcnt(22)
	v_mul_f32_e32 v164, v107, v128
	s_waitcnt vmcnt(21) lgkmcnt(1)
	v_mul_f32_e32 v165, v109, v129
	s_waitcnt vmcnt(18)
	v_fma_f32 v81, v81, v132, -v115
	v_fmac_f32_e32 v151, v82, v132
	v_mul_f32_e32 v82, v86, v117
	s_waitcnt vmcnt(17)
	v_fma_f32 v83, v83, v133, -v116
	v_fmac_f32_e32 v152, v84, v133
	v_add_f32_e32 v81, 0, v81
	v_add_f32_e32 v84, 0, v151
	v_mul_f32_e32 v115, v88, v118
	s_waitcnt vmcnt(16)
	v_fma_f32 v82, v85, v134, -v82
	v_fmac_f32_e32 v153, v86, v134
	v_add_f32_e32 v81, v81, v83
	v_add_f32_e32 v83, v84, v152
	;; [unrolled: 6-line block ×13, first 2 shown]
	v_mul_f32_e32 v85, v112, v130
	s_waitcnt vmcnt(4)
	v_fma_f32 v83, v109, v146, -v83
	v_mul_f32_e32 v166, v111, v130
	v_add_f32_e32 v81, v81, v84
	v_fmac_f32_e32 v165, v110, v146
	v_add_f32_e32 v82, v82, v164
	s_waitcnt lgkmcnt(0)
	v_mul_f32_e32 v84, v114, v131
	s_waitcnt vmcnt(3)
	v_fma_f32 v85, v111, v147, -v85
	v_add_f32_e32 v81, v81, v83
	v_mul_f32_e32 v167, v113, v131
	v_fmac_f32_e32 v166, v112, v147
	v_add_f32_e32 v82, v82, v165
	s_waitcnt vmcnt(2)
	v_fma_f32 v83, v113, v148, -v84
	v_add_f32_e32 v81, v81, v85
	v_fmac_f32_e32 v167, v114, v148
	v_add_f32_e32 v82, v82, v166
	v_add_f32_e32 v81, v81, v83
	;; [unrolled: 1-line block ×3, first 2 shown]
	s_waitcnt vmcnt(1)
	v_sub_f32_e32 v81, v149, v81
	s_waitcnt vmcnt(0)
	v_sub_f32_e32 v82, v150, v82
	buffer_store_dword v81, off, s[0:3], 0 offset:168
	buffer_store_dword v82, off, s[0:3], 0 offset:172
	v_cmpx_lt_u32_e32 20, v0
	s_cbranch_execz .LBB102_207
; %bb.206:
	s_clause 0x1
	buffer_load_dword v81, off, s[0:3], 0 offset:160
	buffer_load_dword v82, off, s[0:3], 0 offset:164
	buffer_store_dword v80, off, s[0:3], 0 offset:160
	buffer_store_dword v80, off, s[0:3], 0 offset:164
	s_waitcnt vmcnt(0)
	ds_write_b64 v79, v[81:82]
.LBB102_207:
	s_or_b32 exec_lo, exec_lo, s4
	s_waitcnt lgkmcnt(0)
	s_waitcnt_vscnt null, 0x0
	s_barrier
	buffer_gl0_inv
	s_clause 0x25
	buffer_load_dword v117, off, s[0:3], 0 offset:172
	buffer_load_dword v118, off, s[0:3], 0 offset:180
	;; [unrolled: 1-line block ×38, first 2 shown]
	ds_read2_b64 v[81:84], v80 offset0:61 offset1:62
	ds_read2_b64 v[85:88], v80 offset0:63 offset1:64
	;; [unrolled: 1-line block ×9, first 2 shown]
	s_mov_b32 s4, exec_lo
	s_waitcnt vmcnt(37) lgkmcnt(8)
	v_mul_f32_e32 v80, v81, v117
	v_mul_f32_e32 v117, v82, v117
	s_waitcnt vmcnt(36)
	v_mul_f32_e32 v155, v83, v118
	v_mul_f32_e32 v118, v84, v118
	s_waitcnt vmcnt(35) lgkmcnt(7)
	v_mul_f32_e32 v156, v85, v119
	s_waitcnt vmcnt(34)
	v_mul_f32_e32 v157, v87, v120
	s_waitcnt vmcnt(33) lgkmcnt(6)
	v_mul_f32_e32 v158, v89, v121
	s_waitcnt vmcnt(32)
	;; [unrolled: 4-line block ×7, first 2 shown]
	v_mul_f32_e32 v169, v111, v132
	s_waitcnt vmcnt(19)
	v_fma_f32 v81, v81, v135, -v117
	v_fmac_f32_e32 v80, v82, v135
	v_mul_f32_e32 v82, v86, v119
	s_waitcnt vmcnt(18)
	v_fma_f32 v83, v83, v136, -v118
	v_fmac_f32_e32 v155, v84, v136
	v_add_f32_e32 v81, 0, v81
	v_add_f32_e32 v80, 0, v80
	v_mul_f32_e32 v84, v88, v120
	s_waitcnt vmcnt(17)
	v_fma_f32 v82, v85, v137, -v82
	v_fmac_f32_e32 v156, v86, v137
	v_add_f32_e32 v81, v81, v83
	v_add_f32_e32 v80, v80, v155
	;; [unrolled: 6-line block ×14, first 2 shown]
	s_waitcnt lgkmcnt(0)
	v_mul_f32_e32 v83, v114, v133
	s_waitcnt vmcnt(4)
	v_fma_f32 v84, v111, v150, -v84
	v_mul_f32_e32 v170, v113, v133
	v_add_f32_e32 v81, v81, v82
	v_fmac_f32_e32 v169, v112, v150
	v_add_f32_e32 v80, v80, v168
	v_mul_f32_e32 v82, v116, v134
	s_waitcnt vmcnt(3)
	v_fma_f32 v83, v113, v151, -v83
	v_add_f32_e32 v81, v81, v84
	v_mul_f32_e32 v171, v115, v134
	v_fmac_f32_e32 v170, v114, v151
	v_add_f32_e32 v80, v80, v169
	s_waitcnt vmcnt(2)
	v_fma_f32 v82, v115, v152, -v82
	v_add_f32_e32 v81, v81, v83
	v_fmac_f32_e32 v171, v116, v152
	v_add_f32_e32 v80, v80, v170
	v_add_f32_e32 v81, v81, v82
	;; [unrolled: 1-line block ×3, first 2 shown]
	s_waitcnt vmcnt(1)
	v_sub_f32_e32 v81, v153, v81
	s_waitcnt vmcnt(0)
	v_sub_f32_e32 v80, v154, v80
	buffer_store_dword v81, off, s[0:3], 0 offset:160
	buffer_store_dword v80, off, s[0:3], 0 offset:164
	v_cmpx_lt_u32_e32 19, v0
	s_cbranch_execz .LBB102_209
; %bb.208:
	s_clause 0x1
	buffer_load_dword v80, off, s[0:3], 0 offset:152
	buffer_load_dword v81, off, s[0:3], 0 offset:156
	v_mov_b32_e32 v82, 0
	buffer_store_dword v82, off, s[0:3], 0 offset:152
	buffer_store_dword v82, off, s[0:3], 0 offset:156
	s_waitcnt vmcnt(0)
	ds_write_b64 v79, v[80:81]
.LBB102_209:
	s_or_b32 exec_lo, exec_lo, s4
	s_waitcnt lgkmcnt(0)
	s_waitcnt_vscnt null, 0x0
	s_barrier
	buffer_gl0_inv
	s_clause 0x27
	buffer_load_dword v119, off, s[0:3], 0 offset:164
	buffer_load_dword v120, off, s[0:3], 0 offset:172
	;; [unrolled: 1-line block ×40, first 2 shown]
	v_mov_b32_e32 v80, 0
	ds_read_b128 v[81:84], v80 offset:480
	ds_read_b128 v[85:88], v80 offset:496
	;; [unrolled: 1-line block ×9, first 2 shown]
	ds_read_b64 v[117:118], v80 offset:624
	s_mov_b32 s4, exec_lo
	s_waitcnt vmcnt(39) lgkmcnt(9)
	v_mul_f32_e32 v159, v81, v119
	v_mul_f32_e32 v119, v82, v119
	s_waitcnt vmcnt(38)
	v_mul_f32_e32 v160, v83, v120
	v_mul_f32_e32 v120, v84, v120
	s_waitcnt vmcnt(37) lgkmcnt(8)
	v_mul_f32_e32 v161, v85, v121
	s_waitcnt vmcnt(36)
	v_mul_f32_e32 v162, v87, v122
	s_waitcnt vmcnt(35) lgkmcnt(7)
	v_mul_f32_e32 v163, v89, v123
	s_waitcnt vmcnt(34)
	;; [unrolled: 4-line block ×8, first 2 shown]
	v_fma_f32 v81, v81, v138, -v119
	v_fmac_f32_e32 v159, v82, v138
	v_mul_f32_e32 v82, v86, v121
	s_waitcnt vmcnt(19)
	v_fma_f32 v83, v83, v139, -v120
	v_fmac_f32_e32 v160, v84, v139
	v_add_f32_e32 v81, 0, v81
	v_add_f32_e32 v84, 0, v159
	v_mul_f32_e32 v119, v88, v122
	s_waitcnt vmcnt(18)
	v_fma_f32 v82, v85, v140, -v82
	v_fmac_f32_e32 v161, v86, v140
	v_add_f32_e32 v81, v81, v83
	v_add_f32_e32 v83, v84, v160
	;; [unrolled: 6-line block ×15, first 2 shown]
	v_mul_f32_e32 v83, v116, v136
	s_waitcnt vmcnt(4)
	v_fma_f32 v84, v113, v154, -v84
	v_mul_f32_e32 v176, v115, v136
	v_add_f32_e32 v81, v81, v85
	v_fmac_f32_e32 v175, v114, v154
	v_add_f32_e32 v82, v82, v174
	s_waitcnt lgkmcnt(0)
	v_mul_f32_e32 v85, v118, v137
	s_waitcnt vmcnt(3)
	v_fma_f32 v83, v115, v155, -v83
	v_add_f32_e32 v81, v81, v84
	v_mul_f32_e32 v177, v117, v137
	v_fmac_f32_e32 v176, v116, v155
	v_add_f32_e32 v82, v82, v175
	s_waitcnt vmcnt(2)
	v_fma_f32 v84, v117, v156, -v85
	v_add_f32_e32 v81, v81, v83
	v_fmac_f32_e32 v177, v118, v156
	v_add_f32_e32 v82, v82, v176
	v_add_f32_e32 v81, v81, v84
	;; [unrolled: 1-line block ×3, first 2 shown]
	s_waitcnt vmcnt(1)
	v_sub_f32_e32 v81, v157, v81
	s_waitcnt vmcnt(0)
	v_sub_f32_e32 v82, v158, v82
	buffer_store_dword v81, off, s[0:3], 0 offset:152
	buffer_store_dword v82, off, s[0:3], 0 offset:156
	v_cmpx_lt_u32_e32 18, v0
	s_cbranch_execz .LBB102_211
; %bb.210:
	s_clause 0x1
	buffer_load_dword v81, off, s[0:3], 0 offset:144
	buffer_load_dword v82, off, s[0:3], 0 offset:148
	buffer_store_dword v80, off, s[0:3], 0 offset:144
	buffer_store_dword v80, off, s[0:3], 0 offset:148
	s_waitcnt vmcnt(0)
	ds_write_b64 v79, v[81:82]
.LBB102_211:
	s_or_b32 exec_lo, exec_lo, s4
	s_waitcnt lgkmcnt(0)
	s_waitcnt_vscnt null, 0x0
	s_barrier
	buffer_gl0_inv
	s_clause 0x29
	buffer_load_dword v121, off, s[0:3], 0 offset:156
	buffer_load_dword v122, off, s[0:3], 0 offset:164
	;; [unrolled: 1-line block ×42, first 2 shown]
	ds_read2_b64 v[81:84], v80 offset0:59 offset1:60
	ds_read2_b64 v[85:88], v80 offset0:61 offset1:62
	;; [unrolled: 1-line block ×10, first 2 shown]
	s_mov_b32 s4, exec_lo
	s_waitcnt vmcnt(41) lgkmcnt(9)
	v_mul_f32_e32 v80, v81, v121
	v_mul_f32_e32 v121, v82, v121
	s_waitcnt vmcnt(40)
	v_mul_f32_e32 v163, v83, v122
	v_mul_f32_e32 v122, v84, v122
	s_waitcnt vmcnt(39) lgkmcnt(8)
	v_mul_f32_e32 v164, v85, v123
	s_waitcnt vmcnt(38)
	v_mul_f32_e32 v165, v87, v124
	s_waitcnt vmcnt(37) lgkmcnt(7)
	v_mul_f32_e32 v166, v89, v125
	s_waitcnt vmcnt(36)
	;; [unrolled: 4-line block ×8, first 2 shown]
	v_mul_f32_e32 v179, v115, v138
	s_waitcnt vmcnt(21)
	v_fma_f32 v81, v81, v141, -v121
	v_fmac_f32_e32 v80, v82, v141
	v_mul_f32_e32 v82, v86, v123
	s_waitcnt vmcnt(20)
	v_fma_f32 v83, v83, v142, -v122
	v_fmac_f32_e32 v163, v84, v142
	v_add_f32_e32 v81, 0, v81
	v_add_f32_e32 v80, 0, v80
	v_mul_f32_e32 v84, v88, v124
	s_waitcnt vmcnt(19)
	v_fma_f32 v82, v85, v143, -v82
	v_fmac_f32_e32 v164, v86, v143
	v_add_f32_e32 v81, v81, v83
	v_add_f32_e32 v80, v80, v163
	;; [unrolled: 6-line block ×16, first 2 shown]
	s_waitcnt lgkmcnt(0)
	v_mul_f32_e32 v84, v118, v139
	s_waitcnt vmcnt(4)
	v_fma_f32 v82, v115, v158, -v82
	v_mul_f32_e32 v180, v117, v139
	v_add_f32_e32 v81, v81, v83
	v_fmac_f32_e32 v179, v116, v158
	v_add_f32_e32 v80, v80, v178
	v_mul_f32_e32 v83, v120, v140
	s_waitcnt vmcnt(3)
	v_fma_f32 v84, v117, v159, -v84
	v_add_f32_e32 v81, v81, v82
	v_mul_f32_e32 v181, v119, v140
	v_fmac_f32_e32 v180, v118, v159
	v_add_f32_e32 v80, v80, v179
	s_waitcnt vmcnt(2)
	v_fma_f32 v82, v119, v160, -v83
	v_add_f32_e32 v81, v81, v84
	v_fmac_f32_e32 v181, v120, v160
	v_add_f32_e32 v80, v80, v180
	v_add_f32_e32 v81, v81, v82
	;; [unrolled: 1-line block ×3, first 2 shown]
	s_waitcnt vmcnt(1)
	v_sub_f32_e32 v81, v161, v81
	s_waitcnt vmcnt(0)
	v_sub_f32_e32 v80, v162, v80
	buffer_store_dword v81, off, s[0:3], 0 offset:144
	buffer_store_dword v80, off, s[0:3], 0 offset:148
	v_cmpx_lt_u32_e32 17, v0
	s_cbranch_execz .LBB102_213
; %bb.212:
	s_clause 0x1
	buffer_load_dword v80, off, s[0:3], 0 offset:136
	buffer_load_dword v81, off, s[0:3], 0 offset:140
	v_mov_b32_e32 v82, 0
	buffer_store_dword v82, off, s[0:3], 0 offset:136
	buffer_store_dword v82, off, s[0:3], 0 offset:140
	s_waitcnt vmcnt(0)
	ds_write_b64 v79, v[80:81]
.LBB102_213:
	s_or_b32 exec_lo, exec_lo, s4
	s_waitcnt lgkmcnt(0)
	s_waitcnt_vscnt null, 0x0
	s_barrier
	buffer_gl0_inv
	s_clause 0x2b
	buffer_load_dword v123, off, s[0:3], 0 offset:148
	buffer_load_dword v124, off, s[0:3], 0 offset:156
	;; [unrolled: 1-line block ×44, first 2 shown]
	v_mov_b32_e32 v80, 0
	ds_read_b128 v[81:84], v80 offset:464
	ds_read_b128 v[85:88], v80 offset:480
	;; [unrolled: 1-line block ×10, first 2 shown]
	ds_read_b64 v[121:122], v80 offset:624
	s_mov_b32 s4, exec_lo
	s_waitcnt vmcnt(43) lgkmcnt(10)
	v_mul_f32_e32 v167, v81, v123
	v_mul_f32_e32 v123, v82, v123
	s_waitcnt vmcnt(42)
	v_mul_f32_e32 v168, v83, v124
	v_mul_f32_e32 v124, v84, v124
	s_waitcnt vmcnt(41) lgkmcnt(9)
	v_mul_f32_e32 v169, v85, v125
	s_waitcnt vmcnt(40)
	v_mul_f32_e32 v170, v87, v126
	s_waitcnt vmcnt(39) lgkmcnt(8)
	v_mul_f32_e32 v171, v89, v127
	s_waitcnt vmcnt(38)
	;; [unrolled: 4-line block ×9, first 2 shown]
	v_fma_f32 v81, v81, v144, -v123
	v_fmac_f32_e32 v167, v82, v144
	v_mul_f32_e32 v82, v86, v125
	s_waitcnt vmcnt(21)
	v_fma_f32 v83, v83, v145, -v124
	v_fmac_f32_e32 v168, v84, v145
	v_add_f32_e32 v81, 0, v81
	v_add_f32_e32 v84, 0, v167
	v_mul_f32_e32 v123, v88, v126
	s_waitcnt vmcnt(20)
	v_fma_f32 v82, v85, v146, -v82
	v_fmac_f32_e32 v169, v86, v146
	v_add_f32_e32 v81, v81, v83
	v_add_f32_e32 v83, v84, v168
	;; [unrolled: 6-line block ×17, first 2 shown]
	v_mul_f32_e32 v84, v120, v142
	s_waitcnt vmcnt(4)
	v_fma_f32 v85, v117, v162, -v85
	v_mul_f32_e32 v186, v119, v142
	v_add_f32_e32 v81, v81, v83
	v_fmac_f32_e32 v185, v118, v162
	v_add_f32_e32 v82, v82, v184
	s_waitcnt lgkmcnt(0)
	v_mul_f32_e32 v83, v122, v143
	s_waitcnt vmcnt(3)
	v_fma_f32 v84, v119, v163, -v84
	v_add_f32_e32 v81, v81, v85
	v_mul_f32_e32 v187, v121, v143
	v_fmac_f32_e32 v186, v120, v163
	v_add_f32_e32 v82, v82, v185
	s_waitcnt vmcnt(2)
	v_fma_f32 v83, v121, v164, -v83
	v_add_f32_e32 v81, v81, v84
	v_fmac_f32_e32 v187, v122, v164
	v_add_f32_e32 v82, v82, v186
	v_add_f32_e32 v81, v81, v83
	;; [unrolled: 1-line block ×3, first 2 shown]
	s_waitcnt vmcnt(1)
	v_sub_f32_e32 v81, v165, v81
	s_waitcnt vmcnt(0)
	v_sub_f32_e32 v82, v166, v82
	buffer_store_dword v81, off, s[0:3], 0 offset:136
	buffer_store_dword v82, off, s[0:3], 0 offset:140
	v_cmpx_lt_u32_e32 16, v0
	s_cbranch_execz .LBB102_215
; %bb.214:
	s_clause 0x1
	buffer_load_dword v81, off, s[0:3], 0 offset:128
	buffer_load_dword v82, off, s[0:3], 0 offset:132
	buffer_store_dword v80, off, s[0:3], 0 offset:128
	buffer_store_dword v80, off, s[0:3], 0 offset:132
	s_waitcnt vmcnt(0)
	ds_write_b64 v79, v[81:82]
.LBB102_215:
	s_or_b32 exec_lo, exec_lo, s4
	s_waitcnt lgkmcnt(0)
	s_waitcnt_vscnt null, 0x0
	s_barrier
	buffer_gl0_inv
	s_clause 0x2d
	buffer_load_dword v125, off, s[0:3], 0 offset:140
	buffer_load_dword v126, off, s[0:3], 0 offset:148
	;; [unrolled: 1-line block ×46, first 2 shown]
	ds_read2_b64 v[81:84], v80 offset0:57 offset1:58
	ds_read2_b64 v[85:88], v80 offset0:59 offset1:60
	;; [unrolled: 1-line block ×11, first 2 shown]
	s_mov_b32 s4, exec_lo
	s_waitcnt vmcnt(45) lgkmcnt(10)
	v_mul_f32_e32 v80, v81, v125
	v_mul_f32_e32 v125, v82, v125
	s_waitcnt vmcnt(44)
	v_mul_f32_e32 v171, v83, v126
	v_mul_f32_e32 v126, v84, v126
	s_waitcnt vmcnt(43) lgkmcnt(9)
	v_mul_f32_e32 v172, v85, v127
	s_waitcnt vmcnt(42)
	v_mul_f32_e32 v173, v87, v128
	s_waitcnt vmcnt(41) lgkmcnt(8)
	v_mul_f32_e32 v174, v89, v129
	s_waitcnt vmcnt(40)
	;; [unrolled: 4-line block ×9, first 2 shown]
	v_mul_f32_e32 v189, v119, v144
	s_waitcnt vmcnt(23)
	v_fma_f32 v81, v81, v147, -v125
	v_fmac_f32_e32 v80, v82, v147
	v_mul_f32_e32 v82, v86, v127
	s_waitcnt vmcnt(22)
	v_fma_f32 v83, v83, v148, -v126
	v_fmac_f32_e32 v171, v84, v148
	v_add_f32_e32 v81, 0, v81
	v_add_f32_e32 v80, 0, v80
	v_mul_f32_e32 v84, v88, v128
	s_waitcnt vmcnt(21)
	v_fma_f32 v82, v85, v149, -v82
	v_fmac_f32_e32 v172, v86, v149
	v_add_f32_e32 v81, v81, v83
	v_add_f32_e32 v80, v80, v171
	;; [unrolled: 6-line block ×18, first 2 shown]
	s_waitcnt lgkmcnt(0)
	v_mul_f32_e32 v82, v122, v145
	s_waitcnt vmcnt(4)
	v_fma_f32 v83, v119, v166, -v83
	v_mul_f32_e32 v190, v121, v145
	v_add_f32_e32 v81, v81, v84
	v_fmac_f32_e32 v189, v120, v166
	v_add_f32_e32 v80, v80, v188
	v_mul_f32_e32 v84, v124, v146
	s_waitcnt vmcnt(3)
	v_fma_f32 v82, v121, v167, -v82
	v_add_f32_e32 v81, v81, v83
	v_mul_f32_e32 v191, v123, v146
	v_fmac_f32_e32 v190, v122, v167
	v_add_f32_e32 v80, v80, v189
	s_waitcnt vmcnt(2)
	v_fma_f32 v83, v123, v168, -v84
	v_add_f32_e32 v81, v81, v82
	v_fmac_f32_e32 v191, v124, v168
	v_add_f32_e32 v80, v80, v190
	v_add_f32_e32 v81, v81, v83
	;; [unrolled: 1-line block ×3, first 2 shown]
	s_waitcnt vmcnt(1)
	v_sub_f32_e32 v81, v169, v81
	s_waitcnt vmcnt(0)
	v_sub_f32_e32 v80, v170, v80
	buffer_store_dword v81, off, s[0:3], 0 offset:128
	buffer_store_dword v80, off, s[0:3], 0 offset:132
	v_cmpx_lt_u32_e32 15, v0
	s_cbranch_execz .LBB102_217
; %bb.216:
	s_clause 0x1
	buffer_load_dword v80, off, s[0:3], 0 offset:120
	buffer_load_dword v81, off, s[0:3], 0 offset:124
	v_mov_b32_e32 v82, 0
	buffer_store_dword v82, off, s[0:3], 0 offset:120
	buffer_store_dword v82, off, s[0:3], 0 offset:124
	s_waitcnt vmcnt(0)
	ds_write_b64 v79, v[80:81]
.LBB102_217:
	s_or_b32 exec_lo, exec_lo, s4
	s_waitcnt lgkmcnt(0)
	s_waitcnt_vscnt null, 0x0
	s_barrier
	buffer_gl0_inv
	s_clause 0x2f
	buffer_load_dword v127, off, s[0:3], 0 offset:132
	buffer_load_dword v128, off, s[0:3], 0 offset:140
	;; [unrolled: 1-line block ×48, first 2 shown]
	v_mov_b32_e32 v80, 0
	ds_read_b128 v[81:84], v80 offset:448
	ds_read_b128 v[85:88], v80 offset:464
	;; [unrolled: 1-line block ×11, first 2 shown]
	ds_read_b64 v[125:126], v80 offset:624
	s_mov_b32 s4, exec_lo
	s_waitcnt vmcnt(47) lgkmcnt(11)
	v_mul_f32_e32 v175, v81, v127
	v_mul_f32_e32 v127, v82, v127
	s_waitcnt vmcnt(46)
	v_mul_f32_e32 v176, v83, v128
	v_mul_f32_e32 v128, v84, v128
	s_waitcnt vmcnt(45) lgkmcnt(10)
	v_mul_f32_e32 v177, v85, v129
	s_waitcnt vmcnt(44)
	v_mul_f32_e32 v178, v87, v130
	s_waitcnt vmcnt(43) lgkmcnt(9)
	v_mul_f32_e32 v179, v89, v131
	s_waitcnt vmcnt(42)
	;; [unrolled: 4-line block ×10, first 2 shown]
	v_fma_f32 v81, v81, v150, -v127
	v_fmac_f32_e32 v175, v82, v150
	v_mul_f32_e32 v82, v86, v129
	s_waitcnt vmcnt(23)
	v_fma_f32 v83, v83, v151, -v128
	v_fmac_f32_e32 v176, v84, v151
	v_add_f32_e32 v81, 0, v81
	v_add_f32_e32 v84, 0, v175
	v_mul_f32_e32 v127, v88, v130
	s_waitcnt vmcnt(22)
	v_fma_f32 v82, v85, v152, -v82
	v_fmac_f32_e32 v177, v86, v152
	v_add_f32_e32 v81, v81, v83
	v_add_f32_e32 v83, v84, v176
	;; [unrolled: 6-line block ×19, first 2 shown]
	v_mul_f32_e32 v85, v124, v148
	s_waitcnt vmcnt(4)
	v_fma_f32 v83, v121, v170, -v83
	v_mul_f32_e32 v196, v123, v148
	v_add_f32_e32 v81, v81, v84
	v_fmac_f32_e32 v195, v122, v170
	v_add_f32_e32 v82, v82, v194
	s_waitcnt lgkmcnt(0)
	v_mul_f32_e32 v84, v126, v149
	s_waitcnt vmcnt(3)
	v_fma_f32 v85, v123, v171, -v85
	v_add_f32_e32 v81, v81, v83
	v_mul_f32_e32 v197, v125, v149
	v_fmac_f32_e32 v196, v124, v171
	v_add_f32_e32 v82, v82, v195
	s_waitcnt vmcnt(2)
	v_fma_f32 v83, v125, v172, -v84
	v_add_f32_e32 v81, v81, v85
	v_fmac_f32_e32 v197, v126, v172
	v_add_f32_e32 v82, v82, v196
	v_add_f32_e32 v81, v81, v83
	;; [unrolled: 1-line block ×3, first 2 shown]
	s_waitcnt vmcnt(1)
	v_sub_f32_e32 v81, v173, v81
	s_waitcnt vmcnt(0)
	v_sub_f32_e32 v82, v174, v82
	buffer_store_dword v81, off, s[0:3], 0 offset:120
	buffer_store_dword v82, off, s[0:3], 0 offset:124
	v_cmpx_lt_u32_e32 14, v0
	s_cbranch_execz .LBB102_219
; %bb.218:
	s_clause 0x1
	buffer_load_dword v81, off, s[0:3], 0 offset:112
	buffer_load_dword v82, off, s[0:3], 0 offset:116
	buffer_store_dword v80, off, s[0:3], 0 offset:112
	buffer_store_dword v80, off, s[0:3], 0 offset:116
	s_waitcnt vmcnt(0)
	ds_write_b64 v79, v[81:82]
.LBB102_219:
	s_or_b32 exec_lo, exec_lo, s4
	s_waitcnt lgkmcnt(0)
	s_waitcnt_vscnt null, 0x0
	s_barrier
	buffer_gl0_inv
	s_clause 0x31
	buffer_load_dword v129, off, s[0:3], 0 offset:124
	buffer_load_dword v130, off, s[0:3], 0 offset:132
	buffer_load_dword v131, off, s[0:3], 0 offset:140
	buffer_load_dword v132, off, s[0:3], 0 offset:148
	buffer_load_dword v133, off, s[0:3], 0 offset:156
	buffer_load_dword v134, off, s[0:3], 0 offset:164
	buffer_load_dword v135, off, s[0:3], 0 offset:172
	buffer_load_dword v136, off, s[0:3], 0 offset:180
	buffer_load_dword v137, off, s[0:3], 0 offset:188
	buffer_load_dword v138, off, s[0:3], 0 offset:196
	buffer_load_dword v139, off, s[0:3], 0 offset:204
	buffer_load_dword v140, off, s[0:3], 0 offset:212
	buffer_load_dword v141, off, s[0:3], 0 offset:220
	buffer_load_dword v142, off, s[0:3], 0 offset:228
	buffer_load_dword v143, off, s[0:3], 0 offset:236
	buffer_load_dword v144, off, s[0:3], 0 offset:244
	buffer_load_dword v145, off, s[0:3], 0 offset:252
	buffer_load_dword v146, off, s[0:3], 0 offset:260
	buffer_load_dword v147, off, s[0:3], 0 offset:268
	buffer_load_dword v148, off, s[0:3], 0 offset:276
	buffer_load_dword v149, off, s[0:3], 0 offset:284
	buffer_load_dword v150, off, s[0:3], 0 offset:292
	buffer_load_dword v151, off, s[0:3], 0 offset:300
	buffer_load_dword v152, off, s[0:3], 0 offset:308
	buffer_load_dword v153, off, s[0:3], 0 offset:120
	buffer_load_dword v154, off, s[0:3], 0 offset:128
	buffer_load_dword v155, off, s[0:3], 0 offset:136
	buffer_load_dword v156, off, s[0:3], 0 offset:144
	buffer_load_dword v157, off, s[0:3], 0 offset:152
	buffer_load_dword v158, off, s[0:3], 0 offset:160
	buffer_load_dword v159, off, s[0:3], 0 offset:168
	buffer_load_dword v160, off, s[0:3], 0 offset:176
	buffer_load_dword v161, off, s[0:3], 0 offset:184
	buffer_load_dword v162, off, s[0:3], 0 offset:192
	buffer_load_dword v163, off, s[0:3], 0 offset:200
	buffer_load_dword v164, off, s[0:3], 0 offset:208
	buffer_load_dword v165, off, s[0:3], 0 offset:216
	buffer_load_dword v166, off, s[0:3], 0 offset:224
	buffer_load_dword v167, off, s[0:3], 0 offset:232
	buffer_load_dword v168, off, s[0:3], 0 offset:240
	buffer_load_dword v169, off, s[0:3], 0 offset:248
	buffer_load_dword v170, off, s[0:3], 0 offset:256
	buffer_load_dword v171, off, s[0:3], 0 offset:264
	buffer_load_dword v172, off, s[0:3], 0 offset:272
	buffer_load_dword v173, off, s[0:3], 0 offset:280
	buffer_load_dword v174, off, s[0:3], 0 offset:288
	buffer_load_dword v175, off, s[0:3], 0 offset:296
	buffer_load_dword v176, off, s[0:3], 0 offset:304
	buffer_load_dword v177, off, s[0:3], 0 offset:112
	buffer_load_dword v178, off, s[0:3], 0 offset:116
	ds_read2_b64 v[81:84], v80 offset0:55 offset1:56
	ds_read2_b64 v[85:88], v80 offset0:57 offset1:58
	;; [unrolled: 1-line block ×12, first 2 shown]
	s_mov_b32 s4, exec_lo
	s_waitcnt vmcnt(49) lgkmcnt(11)
	v_mul_f32_e32 v80, v81, v129
	v_mul_f32_e32 v129, v82, v129
	s_waitcnt vmcnt(48)
	v_mul_f32_e32 v179, v83, v130
	v_mul_f32_e32 v130, v84, v130
	s_waitcnt vmcnt(47) lgkmcnt(10)
	v_mul_f32_e32 v180, v85, v131
	s_waitcnt vmcnt(46)
	v_mul_f32_e32 v181, v87, v132
	s_waitcnt vmcnt(45) lgkmcnt(9)
	v_mul_f32_e32 v182, v89, v133
	s_waitcnt vmcnt(44)
	v_mul_f32_e32 v183, v91, v134
	s_waitcnt vmcnt(43) lgkmcnt(8)
	v_mul_f32_e32 v184, v93, v135
	s_waitcnt vmcnt(42)
	v_mul_f32_e32 v185, v95, v136
	s_waitcnt vmcnt(41) lgkmcnt(7)
	v_mul_f32_e32 v186, v97, v137
	s_waitcnt vmcnt(40)
	v_mul_f32_e32 v187, v99, v138
	s_waitcnt vmcnt(39) lgkmcnt(6)
	v_mul_f32_e32 v188, v101, v139
	s_waitcnt vmcnt(38)
	v_mul_f32_e32 v189, v103, v140
	s_waitcnt vmcnt(37) lgkmcnt(5)
	v_mul_f32_e32 v190, v105, v141
	s_waitcnt vmcnt(36)
	v_mul_f32_e32 v191, v107, v142
	s_waitcnt vmcnt(35) lgkmcnt(4)
	v_mul_f32_e32 v192, v109, v143
	s_waitcnt vmcnt(34)
	v_mul_f32_e32 v193, v111, v144
	s_waitcnt vmcnt(33) lgkmcnt(3)
	v_mul_f32_e32 v194, v113, v145
	s_waitcnt vmcnt(32)
	v_mul_f32_e32 v195, v115, v146
	s_waitcnt vmcnt(31) lgkmcnt(2)
	v_mul_f32_e32 v196, v117, v147
	s_waitcnt vmcnt(30)
	v_mul_f32_e32 v197, v119, v148
	s_waitcnt vmcnt(29) lgkmcnt(1)
	v_mul_f32_e32 v198, v121, v149
	s_waitcnt vmcnt(28)
	v_mul_f32_e32 v199, v123, v150
	s_waitcnt vmcnt(25)
	v_fma_f32 v81, v81, v153, -v129
	v_fmac_f32_e32 v80, v82, v153
	v_mul_f32_e32 v82, v86, v131
	s_waitcnt vmcnt(24)
	v_fma_f32 v83, v83, v154, -v130
	v_fmac_f32_e32 v179, v84, v154
	v_add_f32_e32 v81, 0, v81
	v_add_f32_e32 v80, 0, v80
	v_mul_f32_e32 v84, v88, v132
	s_waitcnt vmcnt(23)
	v_fma_f32 v82, v85, v155, -v82
	v_fmac_f32_e32 v180, v86, v155
	v_add_f32_e32 v81, v81, v83
	v_add_f32_e32 v80, v80, v179
	;; [unrolled: 6-line block ×20, first 2 shown]
	s_waitcnt lgkmcnt(0)
	v_mul_f32_e32 v83, v126, v151
	s_waitcnt vmcnt(4)
	v_fma_f32 v84, v123, v174, -v84
	v_mul_f32_e32 v200, v125, v151
	v_add_f32_e32 v81, v81, v82
	v_fmac_f32_e32 v199, v124, v174
	v_add_f32_e32 v80, v80, v198
	v_mul_f32_e32 v82, v128, v152
	s_waitcnt vmcnt(3)
	v_fma_f32 v83, v125, v175, -v83
	v_add_f32_e32 v81, v81, v84
	v_mul_f32_e32 v201, v127, v152
	v_fmac_f32_e32 v200, v126, v175
	v_add_f32_e32 v80, v80, v199
	s_waitcnt vmcnt(2)
	v_fma_f32 v82, v127, v176, -v82
	v_add_f32_e32 v81, v81, v83
	v_fmac_f32_e32 v201, v128, v176
	v_add_f32_e32 v80, v80, v200
	v_add_f32_e32 v81, v81, v82
	;; [unrolled: 1-line block ×3, first 2 shown]
	s_waitcnt vmcnt(1)
	v_sub_f32_e32 v81, v177, v81
	s_waitcnt vmcnt(0)
	v_sub_f32_e32 v80, v178, v80
	buffer_store_dword v81, off, s[0:3], 0 offset:112
	buffer_store_dword v80, off, s[0:3], 0 offset:116
	v_cmpx_lt_u32_e32 13, v0
	s_cbranch_execz .LBB102_221
; %bb.220:
	s_clause 0x1
	buffer_load_dword v80, off, s[0:3], 0 offset:104
	buffer_load_dword v81, off, s[0:3], 0 offset:108
	v_mov_b32_e32 v82, 0
	buffer_store_dword v82, off, s[0:3], 0 offset:104
	buffer_store_dword v82, off, s[0:3], 0 offset:108
	s_waitcnt vmcnt(0)
	ds_write_b64 v79, v[80:81]
.LBB102_221:
	s_or_b32 exec_lo, exec_lo, s4
	s_waitcnt lgkmcnt(0)
	s_waitcnt_vscnt null, 0x0
	s_barrier
	buffer_gl0_inv
	s_clause 0x33
	buffer_load_dword v131, off, s[0:3], 0 offset:116
	buffer_load_dword v132, off, s[0:3], 0 offset:124
	;; [unrolled: 1-line block ×52, first 2 shown]
	v_mov_b32_e32 v80, 0
	ds_read_b128 v[81:84], v80 offset:432
	ds_read_b128 v[85:88], v80 offset:448
	;; [unrolled: 1-line block ×12, first 2 shown]
	ds_read_b64 v[129:130], v80 offset:624
	s_mov_b32 s4, exec_lo
	s_waitcnt vmcnt(51) lgkmcnt(12)
	v_mul_f32_e32 v183, v81, v131
	v_mul_f32_e32 v131, v82, v131
	s_waitcnt vmcnt(50)
	v_mul_f32_e32 v184, v83, v132
	v_mul_f32_e32 v132, v84, v132
	s_waitcnt vmcnt(49) lgkmcnt(11)
	v_mul_f32_e32 v185, v85, v133
	s_waitcnt vmcnt(48)
	v_mul_f32_e32 v186, v87, v134
	s_waitcnt vmcnt(47) lgkmcnt(10)
	v_mul_f32_e32 v187, v89, v135
	s_waitcnt vmcnt(46)
	;; [unrolled: 4-line block ×11, first 2 shown]
	v_fma_f32 v81, v81, v156, -v131
	v_fmac_f32_e32 v183, v82, v156
	v_mul_f32_e32 v82, v86, v133
	s_waitcnt vmcnt(25)
	v_fma_f32 v83, v83, v157, -v132
	v_fmac_f32_e32 v184, v84, v157
	v_add_f32_e32 v81, 0, v81
	v_add_f32_e32 v84, 0, v183
	v_mul_f32_e32 v131, v88, v134
	s_waitcnt vmcnt(24)
	v_fma_f32 v82, v85, v158, -v82
	v_fmac_f32_e32 v185, v86, v158
	v_add_f32_e32 v81, v81, v83
	v_add_f32_e32 v83, v84, v184
	v_mul_f32_e32 v84, v90, v135
	s_waitcnt vmcnt(23)
	v_fma_f32 v85, v87, v159, -v131
	v_fmac_f32_e32 v186, v88, v159
	v_add_f32_e32 v81, v81, v82
	v_add_f32_e32 v82, v83, v185
	v_mul_f32_e32 v83, v92, v136
	s_waitcnt vmcnt(22)
	v_fma_f32 v84, v89, v160, -v84
	v_fmac_f32_e32 v187, v90, v160
	v_add_f32_e32 v81, v81, v85
	v_add_f32_e32 v82, v82, v186
	v_mul_f32_e32 v85, v94, v137
	s_waitcnt vmcnt(21)
	v_fma_f32 v83, v91, v161, -v83
	v_fmac_f32_e32 v188, v92, v161
	v_add_f32_e32 v81, v81, v84
	v_add_f32_e32 v82, v82, v187
	v_mul_f32_e32 v84, v96, v138
	s_waitcnt vmcnt(20)
	v_fma_f32 v85, v93, v162, -v85
	v_fmac_f32_e32 v189, v94, v162
	v_add_f32_e32 v81, v81, v83
	v_add_f32_e32 v82, v82, v188
	v_mul_f32_e32 v83, v98, v139
	s_waitcnt vmcnt(19)
	v_fma_f32 v84, v95, v163, -v84
	v_fmac_f32_e32 v190, v96, v163
	v_add_f32_e32 v81, v81, v85
	v_add_f32_e32 v82, v82, v189
	v_mul_f32_e32 v85, v100, v140
	s_waitcnt vmcnt(18)
	v_fma_f32 v83, v97, v164, -v83
	v_fmac_f32_e32 v191, v98, v164
	v_add_f32_e32 v81, v81, v84
	v_add_f32_e32 v82, v82, v190
	v_mul_f32_e32 v84, v102, v141
	s_waitcnt vmcnt(17)
	v_fma_f32 v85, v99, v165, -v85
	v_fmac_f32_e32 v192, v100, v165
	v_add_f32_e32 v81, v81, v83
	v_add_f32_e32 v82, v82, v191
	v_mul_f32_e32 v83, v104, v142
	s_waitcnt vmcnt(16)
	v_fma_f32 v84, v101, v166, -v84
	v_fmac_f32_e32 v193, v102, v166
	v_add_f32_e32 v81, v81, v85
	v_add_f32_e32 v82, v82, v192
	v_mul_f32_e32 v85, v106, v143
	s_waitcnt vmcnt(15)
	v_fma_f32 v83, v103, v167, -v83
	v_fmac_f32_e32 v194, v104, v167
	v_add_f32_e32 v81, v81, v84
	v_add_f32_e32 v82, v82, v193
	v_mul_f32_e32 v84, v108, v144
	s_waitcnt vmcnt(14)
	v_fma_f32 v85, v105, v168, -v85
	v_fmac_f32_e32 v195, v106, v168
	v_add_f32_e32 v81, v81, v83
	v_add_f32_e32 v82, v82, v194
	v_mul_f32_e32 v83, v110, v145
	s_waitcnt vmcnt(13)
	v_fma_f32 v84, v107, v169, -v84
	v_fmac_f32_e32 v196, v108, v169
	v_add_f32_e32 v81, v81, v85
	v_add_f32_e32 v82, v82, v195
	v_mul_f32_e32 v85, v112, v146
	s_waitcnt vmcnt(12)
	v_fma_f32 v83, v109, v170, -v83
	v_fmac_f32_e32 v197, v110, v170
	v_add_f32_e32 v81, v81, v84
	v_add_f32_e32 v82, v82, v196
	v_mul_f32_e32 v84, v114, v147
	s_waitcnt vmcnt(11)
	v_fma_f32 v85, v111, v171, -v85
	v_fmac_f32_e32 v198, v112, v171
	v_add_f32_e32 v81, v81, v83
	v_add_f32_e32 v82, v82, v197
	v_mul_f32_e32 v83, v116, v148
	s_waitcnt vmcnt(10)
	v_fma_f32 v84, v113, v172, -v84
	v_fmac_f32_e32 v199, v114, v172
	v_add_f32_e32 v81, v81, v85
	v_add_f32_e32 v82, v82, v198
	v_mul_f32_e32 v85, v118, v149
	s_waitcnt vmcnt(9)
	v_fma_f32 v83, v115, v173, -v83
	v_fmac_f32_e32 v200, v116, v173
	v_add_f32_e32 v81, v81, v84
	v_add_f32_e32 v82, v82, v199
	v_mul_f32_e32 v84, v120, v150
	s_waitcnt vmcnt(8)
	v_fma_f32 v85, v117, v174, -v85
	v_fmac_f32_e32 v201, v118, v174
	v_add_f32_e32 v81, v81, v83
	v_add_f32_e32 v82, v82, v200
	v_mul_f32_e32 v83, v122, v151
	s_waitcnt vmcnt(7)
	v_fma_f32 v84, v119, v175, -v84
	v_fmac_f32_e32 v202, v120, v175
	v_add_f32_e32 v81, v81, v85
	v_add_f32_e32 v82, v82, v201
	v_mul_f32_e32 v85, v124, v152
	s_waitcnt vmcnt(6)
	v_fma_f32 v83, v121, v176, -v83
	v_fmac_f32_e32 v203, v122, v176
	v_add_f32_e32 v81, v81, v84
	v_add_f32_e32 v82, v82, v202
	v_mul_f32_e32 v84, v126, v153
	s_waitcnt vmcnt(5)
	v_fma_f32 v85, v123, v177, -v85
	v_fmac_f32_e32 v204, v124, v177
	v_add_f32_e32 v81, v81, v83
	v_add_f32_e32 v82, v82, v203
	v_mul_f32_e32 v83, v128, v154
	s_waitcnt vmcnt(4)
	v_fma_f32 v84, v125, v178, -v84
	v_mul_f32_e32 v206, v127, v154
	v_add_f32_e32 v81, v81, v85
	v_fmac_f32_e32 v205, v126, v178
	v_add_f32_e32 v82, v82, v204
	s_waitcnt lgkmcnt(0)
	v_mul_f32_e32 v85, v130, v155
	s_waitcnt vmcnt(3)
	v_fma_f32 v83, v127, v179, -v83
	v_add_f32_e32 v81, v81, v84
	v_mul_f32_e32 v207, v129, v155
	v_fmac_f32_e32 v206, v128, v179
	v_add_f32_e32 v82, v82, v205
	s_waitcnt vmcnt(2)
	v_fma_f32 v84, v129, v180, -v85
	v_add_f32_e32 v81, v81, v83
	v_fmac_f32_e32 v207, v130, v180
	v_add_f32_e32 v82, v82, v206
	v_add_f32_e32 v81, v81, v84
	;; [unrolled: 1-line block ×3, first 2 shown]
	s_waitcnt vmcnt(1)
	v_sub_f32_e32 v81, v181, v81
	s_waitcnt vmcnt(0)
	v_sub_f32_e32 v82, v182, v82
	buffer_store_dword v81, off, s[0:3], 0 offset:104
	buffer_store_dword v82, off, s[0:3], 0 offset:108
	v_cmpx_lt_u32_e32 12, v0
	s_cbranch_execz .LBB102_223
; %bb.222:
	s_clause 0x1
	buffer_load_dword v81, off, s[0:3], 0 offset:96
	buffer_load_dword v82, off, s[0:3], 0 offset:100
	buffer_store_dword v80, off, s[0:3], 0 offset:96
	buffer_store_dword v80, off, s[0:3], 0 offset:100
	s_waitcnt vmcnt(0)
	ds_write_b64 v79, v[81:82]
.LBB102_223:
	s_or_b32 exec_lo, exec_lo, s4
	s_waitcnt lgkmcnt(0)
	s_waitcnt_vscnt null, 0x0
	s_barrier
	buffer_gl0_inv
	s_clause 0x35
	buffer_load_dword v133, off, s[0:3], 0 offset:108
	buffer_load_dword v134, off, s[0:3], 0 offset:116
	;; [unrolled: 1-line block ×54, first 2 shown]
	ds_read2_b64 v[81:84], v80 offset0:53 offset1:54
	ds_read2_b64 v[85:88], v80 offset0:55 offset1:56
	;; [unrolled: 1-line block ×13, first 2 shown]
	s_mov_b32 s4, exec_lo
	s_waitcnt vmcnt(53) lgkmcnt(12)
	v_mul_f32_e32 v80, v81, v133
	v_mul_f32_e32 v133, v82, v133
	s_waitcnt vmcnt(52)
	v_mul_f32_e32 v187, v83, v134
	v_mul_f32_e32 v134, v84, v134
	s_waitcnt vmcnt(51) lgkmcnt(11)
	v_mul_f32_e32 v188, v85, v135
	s_waitcnt vmcnt(50)
	v_mul_f32_e32 v189, v87, v136
	s_waitcnt vmcnt(49) lgkmcnt(10)
	v_mul_f32_e32 v190, v89, v137
	s_waitcnt vmcnt(48)
	;; [unrolled: 4-line block ×11, first 2 shown]
	v_mul_f32_e32 v209, v127, v156
	s_waitcnt vmcnt(27)
	v_fma_f32 v81, v81, v159, -v133
	v_fmac_f32_e32 v80, v82, v159
	v_mul_f32_e32 v82, v86, v135
	s_waitcnt vmcnt(26)
	v_fma_f32 v83, v83, v160, -v134
	v_fmac_f32_e32 v187, v84, v160
	v_add_f32_e32 v81, 0, v81
	v_add_f32_e32 v80, 0, v80
	v_mul_f32_e32 v84, v88, v136
	s_waitcnt vmcnt(25)
	v_fma_f32 v82, v85, v161, -v82
	v_fmac_f32_e32 v188, v86, v161
	v_add_f32_e32 v81, v81, v83
	v_add_f32_e32 v80, v80, v187
	;; [unrolled: 6-line block ×22, first 2 shown]
	s_waitcnt lgkmcnt(0)
	v_mul_f32_e32 v84, v130, v157
	s_waitcnt vmcnt(4)
	v_fma_f32 v82, v127, v182, -v82
	v_mul_f32_e32 v210, v129, v157
	v_add_f32_e32 v81, v81, v83
	v_fmac_f32_e32 v209, v128, v182
	v_add_f32_e32 v80, v80, v208
	v_mul_f32_e32 v83, v132, v158
	s_waitcnt vmcnt(3)
	v_fma_f32 v84, v129, v183, -v84
	v_add_f32_e32 v81, v81, v82
	v_mul_f32_e32 v211, v131, v158
	v_fmac_f32_e32 v210, v130, v183
	v_add_f32_e32 v80, v80, v209
	s_waitcnt vmcnt(2)
	v_fma_f32 v82, v131, v184, -v83
	v_add_f32_e32 v81, v81, v84
	v_fmac_f32_e32 v211, v132, v184
	v_add_f32_e32 v80, v80, v210
	v_add_f32_e32 v81, v81, v82
	;; [unrolled: 1-line block ×3, first 2 shown]
	s_waitcnt vmcnt(1)
	v_sub_f32_e32 v81, v185, v81
	s_waitcnt vmcnt(0)
	v_sub_f32_e32 v80, v186, v80
	buffer_store_dword v81, off, s[0:3], 0 offset:96
	buffer_store_dword v80, off, s[0:3], 0 offset:100
	v_cmpx_lt_u32_e32 11, v0
	s_cbranch_execz .LBB102_225
; %bb.224:
	s_clause 0x1
	buffer_load_dword v80, off, s[0:3], 0 offset:88
	buffer_load_dword v81, off, s[0:3], 0 offset:92
	v_mov_b32_e32 v82, 0
	buffer_store_dword v82, off, s[0:3], 0 offset:88
	buffer_store_dword v82, off, s[0:3], 0 offset:92
	s_waitcnt vmcnt(0)
	ds_write_b64 v79, v[80:81]
.LBB102_225:
	s_or_b32 exec_lo, exec_lo, s4
	s_waitcnt lgkmcnt(0)
	s_waitcnt_vscnt null, 0x0
	s_barrier
	buffer_gl0_inv
	s_clause 0x37
	buffer_load_dword v135, off, s[0:3], 0 offset:100
	buffer_load_dword v136, off, s[0:3], 0 offset:108
	;; [unrolled: 1-line block ×56, first 2 shown]
	v_mov_b32_e32 v80, 0
	ds_read_b128 v[81:84], v80 offset:416
	ds_read_b128 v[85:88], v80 offset:432
	;; [unrolled: 1-line block ×13, first 2 shown]
	ds_read_b64 v[133:134], v80 offset:624
	s_mov_b32 s4, exec_lo
	s_waitcnt vmcnt(55) lgkmcnt(13)
	v_mul_f32_e32 v191, v81, v135
	v_mul_f32_e32 v135, v82, v135
	s_waitcnt vmcnt(54)
	v_mul_f32_e32 v192, v83, v136
	v_mul_f32_e32 v136, v84, v136
	s_waitcnt vmcnt(53) lgkmcnt(12)
	v_mul_f32_e32 v193, v85, v137
	s_waitcnt vmcnt(52)
	v_mul_f32_e32 v194, v87, v138
	s_waitcnt vmcnt(51) lgkmcnt(11)
	v_mul_f32_e32 v195, v89, v139
	s_waitcnt vmcnt(50)
	v_mul_f32_e32 v196, v91, v140
	s_waitcnt vmcnt(49) lgkmcnt(10)
	v_mul_f32_e32 v197, v93, v141
	s_waitcnt vmcnt(48)
	v_mul_f32_e32 v198, v95, v142
	s_waitcnt vmcnt(47) lgkmcnt(9)
	v_mul_f32_e32 v199, v97, v143
	s_waitcnt vmcnt(46)
	v_mul_f32_e32 v200, v99, v144
	s_waitcnt vmcnt(45) lgkmcnt(8)
	v_mul_f32_e32 v201, v101, v145
	s_waitcnt vmcnt(44)
	v_mul_f32_e32 v202, v103, v146
	s_waitcnt vmcnt(43) lgkmcnt(7)
	v_mul_f32_e32 v203, v105, v147
	s_waitcnt vmcnt(42)
	v_mul_f32_e32 v204, v107, v148
	s_waitcnt vmcnt(41) lgkmcnt(6)
	v_mul_f32_e32 v205, v109, v149
	s_waitcnt vmcnt(40)
	v_mul_f32_e32 v206, v111, v150
	s_waitcnt vmcnt(39) lgkmcnt(5)
	v_mul_f32_e32 v207, v113, v151
	s_waitcnt vmcnt(38)
	v_mul_f32_e32 v208, v115, v152
	s_waitcnt vmcnt(37) lgkmcnt(4)
	v_mul_f32_e32 v209, v117, v153
	s_waitcnt vmcnt(36)
	v_mul_f32_e32 v210, v119, v154
	s_waitcnt vmcnt(35) lgkmcnt(3)
	v_mul_f32_e32 v211, v121, v155
	s_waitcnt vmcnt(34)
	v_mul_f32_e32 v212, v123, v156
	s_waitcnt vmcnt(33) lgkmcnt(2)
	v_mul_f32_e32 v213, v125, v157
	s_waitcnt vmcnt(32)
	v_mul_f32_e32 v214, v127, v158
	s_waitcnt vmcnt(31) lgkmcnt(1)
	v_mul_f32_e32 v215, v129, v159
	s_waitcnt vmcnt(28)
	v_fma_f32 v81, v81, v162, -v135
	v_fmac_f32_e32 v191, v82, v162
	v_mul_f32_e32 v82, v86, v137
	s_waitcnt vmcnt(27)
	v_fma_f32 v83, v83, v163, -v136
	v_fmac_f32_e32 v192, v84, v163
	v_add_f32_e32 v81, 0, v81
	v_add_f32_e32 v84, 0, v191
	v_mul_f32_e32 v135, v88, v138
	s_waitcnt vmcnt(26)
	v_fma_f32 v82, v85, v164, -v82
	v_fmac_f32_e32 v193, v86, v164
	v_add_f32_e32 v81, v81, v83
	v_add_f32_e32 v83, v84, v192
	;; [unrolled: 6-line block ×23, first 2 shown]
	v_mul_f32_e32 v84, v132, v160
	s_waitcnt vmcnt(4)
	v_fma_f32 v85, v129, v186, -v85
	v_mul_f32_e32 v216, v131, v160
	v_add_f32_e32 v81, v81, v83
	v_fmac_f32_e32 v215, v130, v186
	v_add_f32_e32 v82, v82, v214
	s_waitcnt lgkmcnt(0)
	v_mul_f32_e32 v83, v134, v161
	s_waitcnt vmcnt(3)
	v_fma_f32 v84, v131, v187, -v84
	v_add_f32_e32 v81, v81, v85
	v_mul_f32_e32 v217, v133, v161
	v_fmac_f32_e32 v216, v132, v187
	v_add_f32_e32 v82, v82, v215
	s_waitcnt vmcnt(2)
	v_fma_f32 v83, v133, v188, -v83
	v_add_f32_e32 v81, v81, v84
	v_fmac_f32_e32 v217, v134, v188
	v_add_f32_e32 v82, v82, v216
	v_add_f32_e32 v81, v81, v83
	;; [unrolled: 1-line block ×3, first 2 shown]
	s_waitcnt vmcnt(1)
	v_sub_f32_e32 v81, v189, v81
	s_waitcnt vmcnt(0)
	v_sub_f32_e32 v82, v190, v82
	buffer_store_dword v81, off, s[0:3], 0 offset:88
	buffer_store_dword v82, off, s[0:3], 0 offset:92
	v_cmpx_lt_u32_e32 10, v0
	s_cbranch_execz .LBB102_227
; %bb.226:
	s_clause 0x1
	buffer_load_dword v81, off, s[0:3], 0 offset:80
	buffer_load_dword v82, off, s[0:3], 0 offset:84
	buffer_store_dword v80, off, s[0:3], 0 offset:80
	buffer_store_dword v80, off, s[0:3], 0 offset:84
	s_waitcnt vmcnt(0)
	ds_write_b64 v79, v[81:82]
.LBB102_227:
	s_or_b32 exec_lo, exec_lo, s4
	s_waitcnt lgkmcnt(0)
	s_waitcnt_vscnt null, 0x0
	s_barrier
	buffer_gl0_inv
	s_clause 0x39
	buffer_load_dword v137, off, s[0:3], 0 offset:92
	buffer_load_dword v138, off, s[0:3], 0 offset:100
	;; [unrolled: 1-line block ×58, first 2 shown]
	ds_read2_b64 v[81:84], v80 offset0:51 offset1:52
	ds_read2_b64 v[85:88], v80 offset0:53 offset1:54
	;; [unrolled: 1-line block ×14, first 2 shown]
	s_mov_b32 s4, exec_lo
	s_waitcnt vmcnt(57) lgkmcnt(13)
	v_mul_f32_e32 v80, v81, v137
	v_mul_f32_e32 v137, v82, v137
	s_waitcnt vmcnt(56)
	v_mul_f32_e32 v195, v83, v138
	v_mul_f32_e32 v138, v84, v138
	s_waitcnt vmcnt(55) lgkmcnt(12)
	v_mul_f32_e32 v196, v85, v139
	s_waitcnt vmcnt(54)
	v_mul_f32_e32 v197, v87, v140
	s_waitcnt vmcnt(53) lgkmcnt(11)
	v_mul_f32_e32 v198, v89, v141
	s_waitcnt vmcnt(52)
	;; [unrolled: 4-line block ×12, first 2 shown]
	v_mul_f32_e32 v219, v131, v162
	s_waitcnt vmcnt(29)
	v_fma_f32 v81, v81, v165, -v137
	v_fmac_f32_e32 v80, v82, v165
	v_mul_f32_e32 v82, v86, v139
	s_waitcnt vmcnt(28)
	v_fma_f32 v83, v83, v166, -v138
	v_fmac_f32_e32 v195, v84, v166
	v_add_f32_e32 v81, 0, v81
	v_add_f32_e32 v80, 0, v80
	v_mul_f32_e32 v84, v88, v140
	s_waitcnt vmcnt(27)
	v_fma_f32 v82, v85, v167, -v82
	v_fmac_f32_e32 v196, v86, v167
	v_add_f32_e32 v81, v81, v83
	v_add_f32_e32 v80, v80, v195
	;; [unrolled: 6-line block ×24, first 2 shown]
	s_waitcnt lgkmcnt(0)
	v_mul_f32_e32 v82, v134, v163
	s_waitcnt vmcnt(4)
	v_fma_f32 v83, v131, v190, -v83
	v_mul_f32_e32 v220, v133, v163
	v_add_f32_e32 v81, v81, v84
	v_fmac_f32_e32 v219, v132, v190
	v_add_f32_e32 v80, v80, v218
	v_mul_f32_e32 v84, v136, v164
	s_waitcnt vmcnt(3)
	v_fma_f32 v82, v133, v191, -v82
	v_add_f32_e32 v81, v81, v83
	v_mul_f32_e32 v221, v135, v164
	v_fmac_f32_e32 v220, v134, v191
	v_add_f32_e32 v80, v80, v219
	s_waitcnt vmcnt(2)
	v_fma_f32 v83, v135, v192, -v84
	v_add_f32_e32 v81, v81, v82
	v_fmac_f32_e32 v221, v136, v192
	v_add_f32_e32 v80, v80, v220
	v_add_f32_e32 v81, v81, v83
	;; [unrolled: 1-line block ×3, first 2 shown]
	s_waitcnt vmcnt(1)
	v_sub_f32_e32 v81, v193, v81
	s_waitcnt vmcnt(0)
	v_sub_f32_e32 v80, v194, v80
	buffer_store_dword v81, off, s[0:3], 0 offset:80
	buffer_store_dword v80, off, s[0:3], 0 offset:84
	v_cmpx_lt_u32_e32 9, v0
	s_cbranch_execz .LBB102_229
; %bb.228:
	s_clause 0x1
	buffer_load_dword v80, off, s[0:3], 0 offset:72
	buffer_load_dword v81, off, s[0:3], 0 offset:76
	v_mov_b32_e32 v82, 0
	buffer_store_dword v82, off, s[0:3], 0 offset:72
	buffer_store_dword v82, off, s[0:3], 0 offset:76
	s_waitcnt vmcnt(0)
	ds_write_b64 v79, v[80:81]
.LBB102_229:
	s_or_b32 exec_lo, exec_lo, s4
	s_waitcnt lgkmcnt(0)
	s_waitcnt_vscnt null, 0x0
	s_barrier
	buffer_gl0_inv
	s_clause 0x3b
	buffer_load_dword v139, off, s[0:3], 0 offset:84
	buffer_load_dword v140, off, s[0:3], 0 offset:92
	;; [unrolled: 1-line block ×60, first 2 shown]
	v_mov_b32_e32 v80, 0
	ds_read_b128 v[81:84], v80 offset:400
	ds_read_b128 v[85:88], v80 offset:416
	;; [unrolled: 1-line block ×14, first 2 shown]
	ds_read_b64 v[137:138], v80 offset:624
	s_mov_b32 s4, exec_lo
	s_waitcnt vmcnt(59) lgkmcnt(14)
	v_mul_f32_e32 v199, v81, v139
	v_mul_f32_e32 v139, v82, v139
	s_waitcnt vmcnt(58)
	v_mul_f32_e32 v200, v83, v140
	v_mul_f32_e32 v140, v84, v140
	s_waitcnt vmcnt(57) lgkmcnt(13)
	v_mul_f32_e32 v201, v85, v141
	s_waitcnt vmcnt(56)
	v_mul_f32_e32 v202, v87, v142
	s_waitcnt vmcnt(55) lgkmcnt(12)
	v_mul_f32_e32 v203, v89, v143
	s_waitcnt vmcnt(54)
	;; [unrolled: 4-line block ×13, first 2 shown]
	v_fma_f32 v81, v81, v168, -v139
	v_fmac_f32_e32 v199, v82, v168
	v_mul_f32_e32 v82, v86, v141
	s_waitcnt vmcnt(29)
	v_fma_f32 v83, v83, v169, -v140
	v_fmac_f32_e32 v200, v84, v169
	v_add_f32_e32 v81, 0, v81
	v_add_f32_e32 v84, 0, v199
	v_mul_f32_e32 v139, v88, v142
	s_waitcnt vmcnt(28)
	v_fma_f32 v82, v85, v170, -v82
	v_fmac_f32_e32 v201, v86, v170
	v_add_f32_e32 v81, v81, v83
	v_add_f32_e32 v83, v84, v200
	;; [unrolled: 6-line block ×25, first 2 shown]
	v_mul_f32_e32 v85, v136, v166
	s_waitcnt vmcnt(4)
	v_fma_f32 v83, v133, v194, -v83
	v_mul_f32_e32 v226, v135, v166
	v_add_f32_e32 v81, v81, v84
	v_fmac_f32_e32 v225, v134, v194
	v_add_f32_e32 v82, v82, v224
	s_waitcnt lgkmcnt(0)
	v_mul_f32_e32 v84, v138, v167
	s_waitcnt vmcnt(3)
	v_fma_f32 v85, v135, v195, -v85
	v_add_f32_e32 v81, v81, v83
	v_mul_f32_e32 v227, v137, v167
	v_fmac_f32_e32 v226, v136, v195
	v_add_f32_e32 v82, v82, v225
	s_waitcnt vmcnt(2)
	v_fma_f32 v83, v137, v196, -v84
	v_add_f32_e32 v81, v81, v85
	v_fmac_f32_e32 v227, v138, v196
	v_add_f32_e32 v82, v82, v226
	v_add_f32_e32 v81, v81, v83
	;; [unrolled: 1-line block ×3, first 2 shown]
	s_waitcnt vmcnt(1)
	v_sub_f32_e32 v81, v197, v81
	s_waitcnt vmcnt(0)
	v_sub_f32_e32 v82, v198, v82
	buffer_store_dword v81, off, s[0:3], 0 offset:72
	buffer_store_dword v82, off, s[0:3], 0 offset:76
	v_cmpx_lt_u32_e32 8, v0
	s_cbranch_execz .LBB102_231
; %bb.230:
	s_clause 0x1
	buffer_load_dword v81, off, s[0:3], 0 offset:64
	buffer_load_dword v82, off, s[0:3], 0 offset:68
	buffer_store_dword v80, off, s[0:3], 0 offset:64
	buffer_store_dword v80, off, s[0:3], 0 offset:68
	s_waitcnt vmcnt(0)
	ds_write_b64 v79, v[81:82]
.LBB102_231:
	s_or_b32 exec_lo, exec_lo, s4
	s_waitcnt lgkmcnt(0)
	s_waitcnt_vscnt null, 0x0
	s_barrier
	buffer_gl0_inv
	s_clause 0x3d
	buffer_load_dword v141, off, s[0:3], 0 offset:76
	buffer_load_dword v142, off, s[0:3], 0 offset:84
	;; [unrolled: 1-line block ×62, first 2 shown]
	ds_read2_b64 v[81:84], v80 offset0:49 offset1:50
	ds_read2_b64 v[85:88], v80 offset0:51 offset1:52
	;; [unrolled: 1-line block ×15, first 2 shown]
	s_mov_b32 s4, exec_lo
	s_waitcnt vmcnt(61) lgkmcnt(14)
	v_mul_f32_e32 v80, v81, v141
	v_mul_f32_e32 v141, v82, v141
	s_waitcnt vmcnt(60)
	v_mul_f32_e32 v203, v83, v142
	v_mul_f32_e32 v142, v84, v142
	s_waitcnt vmcnt(59) lgkmcnt(13)
	v_mul_f32_e32 v204, v85, v143
	s_waitcnt vmcnt(58)
	v_mul_f32_e32 v205, v87, v144
	s_waitcnt vmcnt(57) lgkmcnt(12)
	v_mul_f32_e32 v206, v89, v145
	s_waitcnt vmcnt(56)
	v_mul_f32_e32 v207, v91, v146
	s_waitcnt vmcnt(55) lgkmcnt(11)
	v_mul_f32_e32 v208, v93, v147
	s_waitcnt vmcnt(54)
	v_mul_f32_e32 v209, v95, v148
	s_waitcnt vmcnt(53) lgkmcnt(10)
	v_mul_f32_e32 v210, v97, v149
	s_waitcnt vmcnt(52)
	v_mul_f32_e32 v211, v99, v150
	s_waitcnt vmcnt(51) lgkmcnt(9)
	v_mul_f32_e32 v212, v101, v151
	s_waitcnt vmcnt(50)
	v_mul_f32_e32 v213, v103, v152
	s_waitcnt vmcnt(49) lgkmcnt(8)
	v_mul_f32_e32 v214, v105, v153
	s_waitcnt vmcnt(48)
	v_mul_f32_e32 v215, v107, v154
	s_waitcnt vmcnt(47) lgkmcnt(7)
	v_mul_f32_e32 v216, v109, v155
	s_waitcnt vmcnt(46)
	v_mul_f32_e32 v217, v111, v156
	s_waitcnt vmcnt(45) lgkmcnt(6)
	v_mul_f32_e32 v218, v113, v157
	s_waitcnt vmcnt(44)
	v_mul_f32_e32 v219, v115, v158
	s_waitcnt vmcnt(43) lgkmcnt(5)
	v_mul_f32_e32 v220, v117, v159
	s_waitcnt vmcnt(42)
	v_mul_f32_e32 v221, v119, v160
	s_waitcnt vmcnt(41) lgkmcnt(4)
	v_mul_f32_e32 v222, v121, v161
	s_waitcnt vmcnt(40)
	v_mul_f32_e32 v223, v123, v162
	s_waitcnt vmcnt(39) lgkmcnt(3)
	v_mul_f32_e32 v224, v125, v163
	s_waitcnt vmcnt(38)
	v_mul_f32_e32 v225, v127, v164
	s_waitcnt vmcnt(37) lgkmcnt(2)
	v_mul_f32_e32 v226, v129, v165
	s_waitcnt vmcnt(36)
	v_mul_f32_e32 v227, v131, v166
	s_waitcnt vmcnt(35) lgkmcnt(1)
	v_mul_f32_e32 v228, v133, v167
	s_waitcnt vmcnt(34)
	v_mul_f32_e32 v229, v135, v168
	s_waitcnt vmcnt(31)
	v_fma_f32 v81, v81, v171, -v141
	v_fmac_f32_e32 v80, v82, v171
	v_mul_f32_e32 v82, v86, v143
	s_waitcnt vmcnt(30)
	v_fma_f32 v83, v83, v172, -v142
	v_fmac_f32_e32 v203, v84, v172
	v_add_f32_e32 v81, 0, v81
	v_add_f32_e32 v80, 0, v80
	v_mul_f32_e32 v84, v88, v144
	s_waitcnt vmcnt(29)
	v_fma_f32 v82, v85, v173, -v82
	v_fmac_f32_e32 v204, v86, v173
	v_add_f32_e32 v81, v81, v83
	v_add_f32_e32 v80, v80, v203
	;; [unrolled: 6-line block ×26, first 2 shown]
	s_waitcnt lgkmcnt(0)
	v_mul_f32_e32 v83, v138, v169
	s_waitcnt vmcnt(4)
	v_fma_f32 v84, v135, v198, -v84
	v_mul_f32_e32 v230, v137, v169
	v_add_f32_e32 v81, v81, v82
	v_fmac_f32_e32 v229, v136, v198
	v_add_f32_e32 v80, v80, v228
	v_mul_f32_e32 v82, v140, v170
	s_waitcnt vmcnt(3)
	v_fma_f32 v83, v137, v199, -v83
	v_add_f32_e32 v81, v81, v84
	v_mul_f32_e32 v231, v139, v170
	v_fmac_f32_e32 v230, v138, v199
	v_add_f32_e32 v80, v80, v229
	s_waitcnt vmcnt(2)
	v_fma_f32 v82, v139, v200, -v82
	v_add_f32_e32 v81, v81, v83
	v_fmac_f32_e32 v231, v140, v200
	v_add_f32_e32 v80, v80, v230
	v_add_f32_e32 v81, v81, v82
	;; [unrolled: 1-line block ×3, first 2 shown]
	s_waitcnt vmcnt(1)
	v_sub_f32_e32 v81, v201, v81
	s_waitcnt vmcnt(0)
	v_sub_f32_e32 v80, v202, v80
	buffer_store_dword v81, off, s[0:3], 0 offset:64
	buffer_store_dword v80, off, s[0:3], 0 offset:68
	v_cmpx_lt_u32_e32 7, v0
	s_cbranch_execz .LBB102_233
; %bb.232:
	s_clause 0x1
	buffer_load_dword v80, off, s[0:3], 0 offset:56
	buffer_load_dword v81, off, s[0:3], 0 offset:60
	v_mov_b32_e32 v82, 0
	buffer_store_dword v82, off, s[0:3], 0 offset:56
	buffer_store_dword v82, off, s[0:3], 0 offset:60
	s_waitcnt vmcnt(0)
	ds_write_b64 v79, v[80:81]
.LBB102_233:
	s_or_b32 exec_lo, exec_lo, s4
	s_waitcnt lgkmcnt(0)
	s_waitcnt_vscnt null, 0x0
	s_barrier
	buffer_gl0_inv
	s_clause 0x3e
	buffer_load_dword v143, off, s[0:3], 0 offset:68
	buffer_load_dword v144, off, s[0:3], 0 offset:76
	;; [unrolled: 1-line block ×64, first 2 shown]
	v_mov_b32_e32 v80, 0
	ds_read_b128 v[81:84], v80 offset:384
	ds_read_b128 v[85:88], v80 offset:400
	;; [unrolled: 1-line block ×15, first 2 shown]
	ds_read_b64 v[141:142], v80 offset:624
	s_mov_b32 s4, exec_lo
	s_waitcnt vmcnt(62) lgkmcnt(15)
	v_mul_f32_e32 v207, v81, v143
	v_mul_f32_e32 v143, v82, v143
	;; [unrolled: 1-line block ×4, first 2 shown]
	s_waitcnt vmcnt(61) lgkmcnt(14)
	v_mul_f32_e32 v209, v85, v145
	s_waitcnt vmcnt(60)
	v_mul_f32_e32 v210, v87, v146
	s_waitcnt vmcnt(59) lgkmcnt(13)
	v_mul_f32_e32 v211, v89, v147
	s_waitcnt vmcnt(58)
	v_mul_f32_e32 v212, v91, v148
	;; [unrolled: 4-line block ×13, first 2 shown]
	s_waitcnt vmcnt(35) lgkmcnt(1)
	v_mul_f32_e32 v235, v137, v171
	s_waitcnt vmcnt(32)
	v_fma_f32 v81, v81, v174, -v143
	v_fmac_f32_e32 v207, v82, v174
	v_mul_f32_e32 v82, v86, v145
	s_waitcnt vmcnt(31)
	v_fma_f32 v83, v83, v175, -v144
	v_fmac_f32_e32 v208, v84, v175
	v_add_f32_e32 v81, 0, v81
	v_add_f32_e32 v84, 0, v207
	v_mul_f32_e32 v143, v88, v146
	s_waitcnt vmcnt(30)
	v_fma_f32 v82, v85, v176, -v82
	v_fmac_f32_e32 v209, v86, v176
	v_add_f32_e32 v81, v81, v83
	v_add_f32_e32 v83, v84, v208
	;; [unrolled: 6-line block ×27, first 2 shown]
	v_mul_f32_e32 v83, v140, v172
	s_waitcnt vmcnt(4)
	v_fma_f32 v84, v137, v202, -v84
	v_mul_f32_e32 v236, v139, v172
	v_add_f32_e32 v81, v81, v85
	v_fmac_f32_e32 v235, v138, v202
	v_add_f32_e32 v82, v82, v234
	s_waitcnt lgkmcnt(0)
	v_mul_f32_e32 v85, v142, v173
	s_waitcnt vmcnt(3)
	v_fma_f32 v83, v139, v203, -v83
	v_add_f32_e32 v81, v81, v84
	v_mul_f32_e32 v237, v141, v173
	v_fmac_f32_e32 v236, v140, v203
	v_add_f32_e32 v82, v82, v235
	s_waitcnt vmcnt(2)
	v_fma_f32 v84, v141, v204, -v85
	v_add_f32_e32 v81, v81, v83
	v_fmac_f32_e32 v237, v142, v204
	v_add_f32_e32 v82, v82, v236
	v_add_f32_e32 v81, v81, v84
	;; [unrolled: 1-line block ×3, first 2 shown]
	s_waitcnt vmcnt(1)
	v_sub_f32_e32 v81, v205, v81
	s_waitcnt vmcnt(0)
	v_sub_f32_e32 v82, v206, v82
	buffer_store_dword v81, off, s[0:3], 0 offset:56
	buffer_store_dword v82, off, s[0:3], 0 offset:60
	v_cmpx_lt_u32_e32 6, v0
	s_cbranch_execz .LBB102_235
; %bb.234:
	s_clause 0x1
	buffer_load_dword v81, off, s[0:3], 0 offset:48
	buffer_load_dword v82, off, s[0:3], 0 offset:52
	buffer_store_dword v80, off, s[0:3], 0 offset:48
	buffer_store_dword v80, off, s[0:3], 0 offset:52
	s_waitcnt vmcnt(0)
	ds_write_b64 v79, v[81:82]
.LBB102_235:
	s_or_b32 exec_lo, exec_lo, s4
	s_waitcnt lgkmcnt(0)
	s_waitcnt_vscnt null, 0x0
	s_barrier
	buffer_gl0_inv
	s_clause 0x3e
	buffer_load_dword v145, off, s[0:3], 0 offset:60
	buffer_load_dword v146, off, s[0:3], 0 offset:68
	;; [unrolled: 1-line block ×63, first 2 shown]
	s_clause 0x2
	buffer_load_dword v208, off, s[0:3], 0 offset:304
	buffer_load_dword v209, off, s[0:3], 0 offset:48
	;; [unrolled: 1-line block ×3, first 2 shown]
	ds_read2_b64 v[81:84], v80 offset0:47 offset1:48
	ds_read2_b64 v[85:88], v80 offset0:49 offset1:50
	;; [unrolled: 1-line block ×16, first 2 shown]
	s_mov_b32 s4, exec_lo
	s_waitcnt vmcnt(62) lgkmcnt(15)
	v_mul_f32_e32 v80, v81, v145
	v_mul_f32_e32 v145, v82, v145
	;; [unrolled: 1-line block ×4, first 2 shown]
	s_waitcnt lgkmcnt(14)
	v_mul_f32_e32 v212, v85, v147
	v_mul_f32_e32 v213, v87, v148
	s_waitcnt vmcnt(61) lgkmcnt(13)
	v_mul_f32_e32 v214, v89, v149
	s_waitcnt vmcnt(60)
	v_mul_f32_e32 v215, v91, v150
	s_waitcnt vmcnt(59) lgkmcnt(12)
	v_mul_f32_e32 v216, v93, v151
	s_waitcnt vmcnt(58)
	v_mul_f32_e32 v217, v95, v152
	s_waitcnt vmcnt(57) lgkmcnt(11)
	v_mul_f32_e32 v218, v97, v153
	s_waitcnt vmcnt(56)
	v_mul_f32_e32 v219, v99, v154
	s_waitcnt vmcnt(55) lgkmcnt(10)
	v_mul_f32_e32 v220, v101, v155
	s_waitcnt vmcnt(54)
	v_mul_f32_e32 v221, v103, v156
	s_waitcnt vmcnt(53) lgkmcnt(9)
	v_mul_f32_e32 v222, v105, v157
	s_waitcnt vmcnt(52)
	v_mul_f32_e32 v223, v107, v158
	s_waitcnt vmcnt(51) lgkmcnt(8)
	v_mul_f32_e32 v224, v109, v159
	s_waitcnt vmcnt(50)
	v_mul_f32_e32 v225, v111, v160
	s_waitcnt vmcnt(49) lgkmcnt(7)
	v_mul_f32_e32 v226, v113, v161
	s_waitcnt vmcnt(48)
	v_mul_f32_e32 v227, v115, v162
	s_waitcnt vmcnt(47) lgkmcnt(6)
	v_mul_f32_e32 v228, v117, v163
	s_waitcnt vmcnt(46)
	v_mul_f32_e32 v229, v119, v164
	s_waitcnt vmcnt(45) lgkmcnt(5)
	v_mul_f32_e32 v230, v121, v165
	s_waitcnt vmcnt(44)
	v_mul_f32_e32 v231, v123, v166
	s_waitcnt vmcnt(43) lgkmcnt(4)
	v_mul_f32_e32 v232, v125, v167
	s_waitcnt vmcnt(42)
	v_mul_f32_e32 v233, v127, v168
	s_waitcnt vmcnt(41) lgkmcnt(3)
	v_mul_f32_e32 v234, v129, v169
	s_waitcnt vmcnt(40)
	v_mul_f32_e32 v235, v131, v170
	s_waitcnt vmcnt(39) lgkmcnt(2)
	v_mul_f32_e32 v236, v133, v171
	s_waitcnt vmcnt(38)
	v_mul_f32_e32 v237, v135, v172
	s_waitcnt vmcnt(37) lgkmcnt(1)
	v_mul_f32_e32 v238, v137, v173
	s_waitcnt vmcnt(36)
	v_mul_f32_e32 v239, v139, v174
	s_waitcnt vmcnt(33)
	v_fma_f32 v81, v81, v177, -v145
	v_fmac_f32_e32 v80, v82, v177
	v_mul_f32_e32 v82, v86, v147
	s_waitcnt vmcnt(32)
	v_fma_f32 v83, v83, v178, -v146
	v_fmac_f32_e32 v211, v84, v178
	v_add_f32_e32 v81, 0, v81
	v_add_f32_e32 v80, 0, v80
	v_mul_f32_e32 v84, v88, v148
	s_waitcnt vmcnt(31)
	v_fma_f32 v82, v85, v179, -v82
	v_fmac_f32_e32 v212, v86, v179
	v_add_f32_e32 v81, v81, v83
	v_add_f32_e32 v80, v80, v211
	;; [unrolled: 6-line block ×28, first 2 shown]
	s_waitcnt lgkmcnt(0)
	v_mul_f32_e32 v84, v142, v175
	s_waitcnt vmcnt(4)
	v_fma_f32 v82, v139, v206, -v82
	v_mul_f32_e32 v240, v141, v175
	v_add_f32_e32 v81, v81, v83
	v_fmac_f32_e32 v239, v140, v206
	v_add_f32_e32 v80, v80, v238
	v_mul_f32_e32 v83, v144, v176
	s_waitcnt vmcnt(3)
	v_fma_f32 v84, v141, v207, -v84
	v_add_f32_e32 v81, v81, v82
	v_mul_f32_e32 v241, v143, v176
	v_fmac_f32_e32 v240, v142, v207
	v_add_f32_e32 v80, v80, v239
	s_waitcnt vmcnt(2)
	v_fma_f32 v82, v143, v208, -v83
	v_add_f32_e32 v81, v81, v84
	v_fmac_f32_e32 v241, v144, v208
	v_add_f32_e32 v80, v80, v240
	v_add_f32_e32 v81, v81, v82
	;; [unrolled: 1-line block ×3, first 2 shown]
	s_waitcnt vmcnt(1)
	v_sub_f32_e32 v81, v209, v81
	s_waitcnt vmcnt(0)
	v_sub_f32_e32 v80, v210, v80
	buffer_store_dword v81, off, s[0:3], 0 offset:48
	buffer_store_dword v80, off, s[0:3], 0 offset:52
	v_cmpx_lt_u32_e32 5, v0
	s_cbranch_execz .LBB102_237
; %bb.236:
	s_clause 0x1
	buffer_load_dword v80, off, s[0:3], 0 offset:40
	buffer_load_dword v81, off, s[0:3], 0 offset:44
	v_mov_b32_e32 v82, 0
	buffer_store_dword v82, off, s[0:3], 0 offset:40
	buffer_store_dword v82, off, s[0:3], 0 offset:44
	s_waitcnt vmcnt(0)
	ds_write_b64 v79, v[80:81]
.LBB102_237:
	s_or_b32 exec_lo, exec_lo, s4
	s_waitcnt lgkmcnt(0)
	s_waitcnt_vscnt null, 0x0
	s_barrier
	buffer_gl0_inv
	s_clause 0x3e
	buffer_load_dword v147, off, s[0:3], 0 offset:52
	buffer_load_dword v148, off, s[0:3], 0 offset:60
	;; [unrolled: 1-line block ×63, first 2 shown]
	s_clause 0x4
	buffer_load_dword v210, off, s[0:3], 0 offset:288
	buffer_load_dword v211, off, s[0:3], 0 offset:296
	;; [unrolled: 1-line block ×5, first 2 shown]
	v_mov_b32_e32 v80, 0
	ds_read_b128 v[81:84], v80 offset:368
	ds_read_b128 v[85:88], v80 offset:384
	;; [unrolled: 1-line block ×16, first 2 shown]
	ds_read_b64 v[145:146], v80 offset:624
	s_mov_b32 s4, exec_lo
	s_waitcnt vmcnt(62) lgkmcnt(16)
	v_mul_f32_e32 v215, v81, v147
	v_mul_f32_e32 v147, v82, v147
	;; [unrolled: 1-line block ×4, first 2 shown]
	s_waitcnt lgkmcnt(15)
	v_mul_f32_e32 v217, v85, v149
	v_mul_f32_e32 v218, v87, v150
	s_waitcnt lgkmcnt(14)
	v_mul_f32_e32 v219, v89, v151
	v_mul_f32_e32 v220, v91, v152
	s_waitcnt vmcnt(61) lgkmcnt(13)
	v_mul_f32_e32 v221, v93, v153
	s_waitcnt vmcnt(60)
	v_mul_f32_e32 v222, v95, v154
	s_waitcnt vmcnt(59) lgkmcnt(12)
	v_mul_f32_e32 v223, v97, v155
	s_waitcnt vmcnt(58)
	v_mul_f32_e32 v224, v99, v156
	s_waitcnt vmcnt(57) lgkmcnt(11)
	v_mul_f32_e32 v225, v101, v157
	s_waitcnt vmcnt(56)
	v_mul_f32_e32 v226, v103, v158
	s_waitcnt vmcnt(55) lgkmcnt(10)
	v_mul_f32_e32 v227, v105, v159
	s_waitcnt vmcnt(54)
	v_mul_f32_e32 v228, v107, v160
	s_waitcnt vmcnt(53) lgkmcnt(9)
	v_mul_f32_e32 v229, v109, v161
	s_waitcnt vmcnt(52)
	v_mul_f32_e32 v230, v111, v162
	s_waitcnt vmcnt(51) lgkmcnt(8)
	v_mul_f32_e32 v231, v113, v163
	s_waitcnt vmcnt(50)
	v_mul_f32_e32 v232, v115, v164
	s_waitcnt vmcnt(49) lgkmcnt(7)
	v_mul_f32_e32 v233, v117, v165
	s_waitcnt vmcnt(48)
	v_mul_f32_e32 v234, v119, v166
	s_waitcnt vmcnt(47) lgkmcnt(6)
	v_mul_f32_e32 v235, v121, v167
	s_waitcnt vmcnt(46)
	v_mul_f32_e32 v236, v123, v168
	s_waitcnt vmcnt(45) lgkmcnt(5)
	v_mul_f32_e32 v237, v125, v169
	s_waitcnt vmcnt(44)
	v_mul_f32_e32 v238, v127, v170
	s_waitcnt vmcnt(43) lgkmcnt(4)
	v_mul_f32_e32 v239, v129, v171
	s_waitcnt vmcnt(42)
	v_mul_f32_e32 v240, v131, v172
	s_waitcnt vmcnt(41) lgkmcnt(3)
	v_mul_f32_e32 v241, v133, v173
	s_waitcnt vmcnt(40)
	v_mul_f32_e32 v242, v135, v174
	s_waitcnt vmcnt(39) lgkmcnt(2)
	v_mul_f32_e32 v243, v137, v175
	s_waitcnt vmcnt(38)
	v_mul_f32_e32 v244, v139, v176
	s_waitcnt vmcnt(37) lgkmcnt(1)
	v_mul_f32_e32 v245, v141, v177
	s_waitcnt vmcnt(34)
	v_fma_f32 v81, v81, v180, -v147
	v_fmac_f32_e32 v215, v82, v180
	v_mul_f32_e32 v82, v86, v149
	s_waitcnt vmcnt(33)
	v_fma_f32 v83, v83, v181, -v148
	v_fmac_f32_e32 v216, v84, v181
	v_add_f32_e32 v81, 0, v81
	v_add_f32_e32 v84, 0, v215
	v_mul_f32_e32 v147, v88, v150
	s_waitcnt vmcnt(32)
	v_fma_f32 v82, v85, v182, -v82
	v_fmac_f32_e32 v217, v86, v182
	v_add_f32_e32 v81, v81, v83
	v_add_f32_e32 v83, v84, v216
	;; [unrolled: 6-line block ×29, first 2 shown]
	v_mul_f32_e32 v84, v144, v178
	s_waitcnt vmcnt(4)
	v_fma_f32 v85, v141, v210, -v85
	v_mul_f32_e32 v246, v143, v178
	v_add_f32_e32 v81, v81, v83
	v_fmac_f32_e32 v245, v142, v210
	v_add_f32_e32 v82, v82, v244
	s_waitcnt lgkmcnt(0)
	v_mul_f32_e32 v83, v146, v179
	s_waitcnt vmcnt(3)
	v_fma_f32 v84, v143, v211, -v84
	v_add_f32_e32 v81, v81, v85
	v_mul_f32_e32 v247, v145, v179
	v_fmac_f32_e32 v246, v144, v211
	v_add_f32_e32 v82, v82, v245
	s_waitcnt vmcnt(2)
	v_fma_f32 v83, v145, v212, -v83
	v_add_f32_e32 v81, v81, v84
	v_fmac_f32_e32 v247, v146, v212
	v_add_f32_e32 v82, v82, v246
	v_add_f32_e32 v81, v81, v83
	;; [unrolled: 1-line block ×3, first 2 shown]
	s_waitcnt vmcnt(1)
	v_sub_f32_e32 v81, v213, v81
	s_waitcnt vmcnt(0)
	v_sub_f32_e32 v82, v214, v82
	buffer_store_dword v81, off, s[0:3], 0 offset:40
	buffer_store_dword v82, off, s[0:3], 0 offset:44
	v_cmpx_lt_u32_e32 4, v0
	s_cbranch_execz .LBB102_239
; %bb.238:
	s_clause 0x1
	buffer_load_dword v81, off, s[0:3], 0 offset:32
	buffer_load_dword v82, off, s[0:3], 0 offset:36
	buffer_store_dword v80, off, s[0:3], 0 offset:32
	buffer_store_dword v80, off, s[0:3], 0 offset:36
	s_waitcnt vmcnt(0)
	ds_write_b64 v79, v[81:82]
.LBB102_239:
	s_or_b32 exec_lo, exec_lo, s4
	s_waitcnt lgkmcnt(0)
	s_waitcnt_vscnt null, 0x0
	s_barrier
	buffer_gl0_inv
	s_clause 0x3e
	buffer_load_dword v149, off, s[0:3], 0 offset:44
	buffer_load_dword v150, off, s[0:3], 0 offset:52
	buffer_load_dword v151, off, s[0:3], 0 offset:60
	buffer_load_dword v152, off, s[0:3], 0 offset:68
	buffer_load_dword v153, off, s[0:3], 0 offset:76
	buffer_load_dword v154, off, s[0:3], 0 offset:84
	buffer_load_dword v155, off, s[0:3], 0 offset:92
	buffer_load_dword v156, off, s[0:3], 0 offset:100
	buffer_load_dword v157, off, s[0:3], 0 offset:108
	buffer_load_dword v158, off, s[0:3], 0 offset:116
	buffer_load_dword v159, off, s[0:3], 0 offset:124
	buffer_load_dword v160, off, s[0:3], 0 offset:132
	buffer_load_dword v161, off, s[0:3], 0 offset:140
	buffer_load_dword v162, off, s[0:3], 0 offset:148
	buffer_load_dword v163, off, s[0:3], 0 offset:156
	buffer_load_dword v164, off, s[0:3], 0 offset:164
	buffer_load_dword v165, off, s[0:3], 0 offset:172
	buffer_load_dword v166, off, s[0:3], 0 offset:180
	buffer_load_dword v167, off, s[0:3], 0 offset:188
	buffer_load_dword v168, off, s[0:3], 0 offset:196
	buffer_load_dword v169, off, s[0:3], 0 offset:204
	buffer_load_dword v170, off, s[0:3], 0 offset:212
	buffer_load_dword v171, off, s[0:3], 0 offset:220
	buffer_load_dword v172, off, s[0:3], 0 offset:228
	buffer_load_dword v173, off, s[0:3], 0 offset:236
	buffer_load_dword v174, off, s[0:3], 0 offset:244
	buffer_load_dword v175, off, s[0:3], 0 offset:252
	buffer_load_dword v176, off, s[0:3], 0 offset:260
	buffer_load_dword v177, off, s[0:3], 0 offset:268
	buffer_load_dword v178, off, s[0:3], 0 offset:276
	buffer_load_dword v179, off, s[0:3], 0 offset:284
	buffer_load_dword v180, off, s[0:3], 0 offset:292
	buffer_load_dword v181, off, s[0:3], 0 offset:300
	buffer_load_dword v182, off, s[0:3], 0 offset:308
	buffer_load_dword v183, off, s[0:3], 0 offset:40
	buffer_load_dword v184, off, s[0:3], 0 offset:48
	buffer_load_dword v185, off, s[0:3], 0 offset:56
	buffer_load_dword v186, off, s[0:3], 0 offset:64
	buffer_load_dword v187, off, s[0:3], 0 offset:72
	buffer_load_dword v188, off, s[0:3], 0 offset:80
	buffer_load_dword v189, off, s[0:3], 0 offset:88
	buffer_load_dword v190, off, s[0:3], 0 offset:96
	buffer_load_dword v191, off, s[0:3], 0 offset:104
	buffer_load_dword v192, off, s[0:3], 0 offset:112
	buffer_load_dword v193, off, s[0:3], 0 offset:120
	buffer_load_dword v194, off, s[0:3], 0 offset:128
	buffer_load_dword v195, off, s[0:3], 0 offset:136
	buffer_load_dword v196, off, s[0:3], 0 offset:144
	buffer_load_dword v197, off, s[0:3], 0 offset:152
	buffer_load_dword v198, off, s[0:3], 0 offset:160
	buffer_load_dword v199, off, s[0:3], 0 offset:168
	buffer_load_dword v200, off, s[0:3], 0 offset:176
	buffer_load_dword v201, off, s[0:3], 0 offset:184
	buffer_load_dword v202, off, s[0:3], 0 offset:192
	buffer_load_dword v203, off, s[0:3], 0 offset:200
	buffer_load_dword v204, off, s[0:3], 0 offset:208
	buffer_load_dword v205, off, s[0:3], 0 offset:216
	buffer_load_dword v206, off, s[0:3], 0 offset:224
	buffer_load_dword v207, off, s[0:3], 0 offset:232
	buffer_load_dword v208, off, s[0:3], 0 offset:240
	buffer_load_dword v209, off, s[0:3], 0 offset:248
	buffer_load_dword v210, off, s[0:3], 0 offset:256
	buffer_load_dword v211, off, s[0:3], 0 offset:264
	s_clause 0x6
	buffer_load_dword v212, off, s[0:3], 0 offset:272
	buffer_load_dword v213, off, s[0:3], 0 offset:280
	;; [unrolled: 1-line block ×7, first 2 shown]
	ds_read2_b64 v[81:84], v80 offset0:45 offset1:46
	ds_read2_b64 v[85:88], v80 offset0:47 offset1:48
	;; [unrolled: 1-line block ×17, first 2 shown]
	s_mov_b32 s4, exec_lo
	s_waitcnt vmcnt(62) lgkmcnt(16)
	v_mul_f32_e32 v80, v81, v149
	v_mul_f32_e32 v149, v82, v149
	;; [unrolled: 1-line block ×4, first 2 shown]
	s_waitcnt lgkmcnt(15)
	v_mul_f32_e32 v220, v85, v151
	v_mul_f32_e32 v221, v87, v152
	s_waitcnt lgkmcnt(14)
	v_mul_f32_e32 v222, v89, v153
	v_mul_f32_e32 v223, v91, v154
	;; [unrolled: 3-line block ×3, first 2 shown]
	s_waitcnt vmcnt(61) lgkmcnt(12)
	v_mul_f32_e32 v226, v97, v157
	s_waitcnt vmcnt(60)
	v_mul_f32_e32 v227, v99, v158
	s_waitcnt vmcnt(59) lgkmcnt(11)
	v_mul_f32_e32 v228, v101, v159
	s_waitcnt vmcnt(58)
	v_mul_f32_e32 v229, v103, v160
	;; [unrolled: 4-line block ×12, first 2 shown]
	s_waitcnt vmcnt(35)
	v_fma_f32 v81, v81, v183, -v149
	v_fmac_f32_e32 v80, v82, v183
	v_mul_f32_e32 v82, v86, v151
	s_waitcnt vmcnt(34)
	v_fma_f32 v83, v83, v184, -v150
	v_fmac_f32_e32 v219, v84, v184
	v_add_f32_e32 v81, 0, v81
	v_add_f32_e32 v80, 0, v80
	v_mul_f32_e32 v84, v88, v152
	s_waitcnt vmcnt(33)
	v_fma_f32 v82, v85, v185, -v82
	v_fmac_f32_e32 v220, v86, v185
	v_add_f32_e32 v81, v81, v83
	v_add_f32_e32 v80, v80, v219
	v_mul_f32_e32 v83, v90, v153
	s_waitcnt vmcnt(32)
	v_fma_f32 v84, v87, v186, -v84
	v_fmac_f32_e32 v221, v88, v186
	v_add_f32_e32 v81, v81, v82
	v_add_f32_e32 v80, v80, v220
	v_mul_f32_e32 v82, v92, v154
	s_waitcnt vmcnt(31)
	v_fma_f32 v83, v89, v187, -v83
	v_fmac_f32_e32 v222, v90, v187
	v_add_f32_e32 v81, v81, v84
	v_add_f32_e32 v80, v80, v221
	v_mul_f32_e32 v84, v94, v155
	s_waitcnt vmcnt(30)
	v_fma_f32 v82, v91, v188, -v82
	v_fmac_f32_e32 v223, v92, v188
	v_add_f32_e32 v81, v81, v83
	v_add_f32_e32 v80, v80, v222
	v_mul_f32_e32 v83, v96, v156
	s_waitcnt vmcnt(29)
	v_fma_f32 v84, v93, v189, -v84
	v_fmac_f32_e32 v224, v94, v189
	v_add_f32_e32 v81, v81, v82
	v_add_f32_e32 v80, v80, v223
	v_mul_f32_e32 v82, v98, v157
	s_waitcnt vmcnt(28)
	v_fma_f32 v83, v95, v190, -v83
	v_fmac_f32_e32 v225, v96, v190
	v_add_f32_e32 v81, v81, v84
	v_add_f32_e32 v80, v80, v224
	v_mul_f32_e32 v84, v100, v158
	s_waitcnt vmcnt(27)
	v_fma_f32 v82, v97, v191, -v82
	v_fmac_f32_e32 v226, v98, v191
	v_add_f32_e32 v81, v81, v83
	v_add_f32_e32 v80, v80, v225
	v_mul_f32_e32 v83, v102, v159
	s_waitcnt vmcnt(26)
	v_fma_f32 v84, v99, v192, -v84
	v_fmac_f32_e32 v227, v100, v192
	v_add_f32_e32 v81, v81, v82
	v_add_f32_e32 v80, v80, v226
	v_mul_f32_e32 v82, v104, v160
	s_waitcnt vmcnt(25)
	v_fma_f32 v83, v101, v193, -v83
	v_fmac_f32_e32 v228, v102, v193
	v_add_f32_e32 v81, v81, v84
	v_add_f32_e32 v80, v80, v227
	v_mul_f32_e32 v84, v106, v161
	s_waitcnt vmcnt(24)
	v_fma_f32 v82, v103, v194, -v82
	v_fmac_f32_e32 v229, v104, v194
	v_add_f32_e32 v81, v81, v83
	v_add_f32_e32 v80, v80, v228
	v_mul_f32_e32 v83, v108, v162
	s_waitcnt vmcnt(23)
	v_fma_f32 v84, v105, v195, -v84
	v_fmac_f32_e32 v230, v106, v195
	v_add_f32_e32 v81, v81, v82
	v_add_f32_e32 v80, v80, v229
	v_mul_f32_e32 v82, v110, v163
	s_waitcnt vmcnt(22)
	v_fma_f32 v83, v107, v196, -v83
	v_fmac_f32_e32 v231, v108, v196
	v_add_f32_e32 v81, v81, v84
	v_add_f32_e32 v80, v80, v230
	v_mul_f32_e32 v84, v112, v164
	s_waitcnt vmcnt(21)
	v_fma_f32 v82, v109, v197, -v82
	v_fmac_f32_e32 v232, v110, v197
	v_add_f32_e32 v81, v81, v83
	v_add_f32_e32 v80, v80, v231
	v_mul_f32_e32 v83, v114, v165
	s_waitcnt vmcnt(20)
	v_fma_f32 v84, v111, v198, -v84
	v_fmac_f32_e32 v233, v112, v198
	v_add_f32_e32 v81, v81, v82
	v_add_f32_e32 v80, v80, v232
	v_mul_f32_e32 v82, v116, v166
	s_waitcnt vmcnt(19)
	v_fma_f32 v83, v113, v199, -v83
	v_fmac_f32_e32 v234, v114, v199
	v_add_f32_e32 v81, v81, v84
	v_add_f32_e32 v80, v80, v233
	v_mul_f32_e32 v84, v118, v167
	s_waitcnt vmcnt(18)
	v_fma_f32 v82, v115, v200, -v82
	v_fmac_f32_e32 v235, v116, v200
	v_add_f32_e32 v81, v81, v83
	v_add_f32_e32 v80, v80, v234
	v_mul_f32_e32 v83, v120, v168
	s_waitcnt vmcnt(17)
	v_fma_f32 v84, v117, v201, -v84
	v_fmac_f32_e32 v236, v118, v201
	v_add_f32_e32 v81, v81, v82
	v_add_f32_e32 v80, v80, v235
	v_mul_f32_e32 v82, v122, v169
	s_waitcnt vmcnt(16)
	v_fma_f32 v83, v119, v202, -v83
	v_fmac_f32_e32 v237, v120, v202
	v_add_f32_e32 v81, v81, v84
	v_add_f32_e32 v80, v80, v236
	v_mul_f32_e32 v84, v124, v170
	s_waitcnt vmcnt(15)
	v_fma_f32 v82, v121, v203, -v82
	v_fmac_f32_e32 v238, v122, v203
	v_add_f32_e32 v81, v81, v83
	v_add_f32_e32 v80, v80, v237
	v_mul_f32_e32 v83, v126, v171
	s_waitcnt vmcnt(14)
	v_fma_f32 v84, v123, v204, -v84
	v_fmac_f32_e32 v239, v124, v204
	v_add_f32_e32 v81, v81, v82
	v_add_f32_e32 v80, v80, v238
	v_mul_f32_e32 v82, v128, v172
	s_waitcnt vmcnt(13)
	v_fma_f32 v83, v125, v205, -v83
	v_fmac_f32_e32 v240, v126, v205
	v_add_f32_e32 v81, v81, v84
	v_add_f32_e32 v80, v80, v239
	v_mul_f32_e32 v84, v130, v173
	s_waitcnt vmcnt(12)
	v_fma_f32 v82, v127, v206, -v82
	v_fmac_f32_e32 v241, v128, v206
	v_add_f32_e32 v81, v81, v83
	v_add_f32_e32 v80, v80, v240
	v_mul_f32_e32 v83, v132, v174
	s_waitcnt vmcnt(11)
	v_fma_f32 v84, v129, v207, -v84
	v_fmac_f32_e32 v242, v130, v207
	v_add_f32_e32 v81, v81, v82
	v_add_f32_e32 v80, v80, v241
	v_mul_f32_e32 v82, v134, v175
	s_waitcnt vmcnt(10)
	v_fma_f32 v83, v131, v208, -v83
	v_fmac_f32_e32 v243, v132, v208
	v_add_f32_e32 v81, v81, v84
	v_add_f32_e32 v80, v80, v242
	v_mul_f32_e32 v84, v136, v176
	s_waitcnt vmcnt(9)
	v_fma_f32 v82, v133, v209, -v82
	v_fmac_f32_e32 v244, v134, v209
	v_add_f32_e32 v81, v81, v83
	v_add_f32_e32 v80, v80, v243
	v_mul_f32_e32 v83, v138, v177
	s_waitcnt vmcnt(8)
	v_fma_f32 v84, v135, v210, -v84
	v_fmac_f32_e32 v245, v136, v210
	v_add_f32_e32 v81, v81, v82
	v_add_f32_e32 v80, v80, v244
	v_mul_f32_e32 v82, v140, v178
	s_waitcnt vmcnt(7)
	v_fma_f32 v83, v137, v211, -v83
	v_fmac_f32_e32 v246, v138, v211
	v_add_f32_e32 v81, v81, v84
	v_add_f32_e32 v80, v80, v245
	v_mul_f32_e32 v84, v142, v179
	s_waitcnt vmcnt(6)
	v_fma_f32 v82, v139, v212, -v82
	v_fmac_f32_e32 v247, v140, v212
	v_add_f32_e32 v81, v81, v83
	v_add_f32_e32 v80, v80, v246
	v_mul_f32_e32 v83, v144, v180
	s_waitcnt vmcnt(5)
	v_fma_f32 v84, v141, v213, -v84
	v_fmac_f32_e32 v248, v142, v213
	v_add_f32_e32 v81, v81, v82
	v_add_f32_e32 v80, v80, v247
	s_waitcnt lgkmcnt(0)
	v_mul_f32_e32 v82, v146, v181
	s_waitcnt vmcnt(4)
	v_fma_f32 v83, v143, v214, -v83
	v_mul_f32_e32 v250, v145, v181
	v_add_f32_e32 v81, v81, v84
	v_fmac_f32_e32 v249, v144, v214
	v_add_f32_e32 v80, v80, v248
	v_mul_f32_e32 v84, v148, v182
	s_waitcnt vmcnt(3)
	v_fma_f32 v82, v145, v215, -v82
	v_add_f32_e32 v81, v81, v83
	v_mul_f32_e32 v251, v147, v182
	v_fmac_f32_e32 v250, v146, v215
	v_add_f32_e32 v80, v80, v249
	s_waitcnt vmcnt(2)
	v_fma_f32 v83, v147, v216, -v84
	v_add_f32_e32 v81, v81, v82
	v_fmac_f32_e32 v251, v148, v216
	v_add_f32_e32 v80, v80, v250
	v_add_f32_e32 v81, v81, v83
	;; [unrolled: 1-line block ×3, first 2 shown]
	s_waitcnt vmcnt(1)
	v_sub_f32_e32 v81, v217, v81
	s_waitcnt vmcnt(0)
	v_sub_f32_e32 v80, v218, v80
	buffer_store_dword v81, off, s[0:3], 0 offset:32
	buffer_store_dword v80, off, s[0:3], 0 offset:36
	v_cmpx_lt_u32_e32 3, v0
	s_cbranch_execz .LBB102_241
; %bb.240:
	s_clause 0x1
	buffer_load_dword v80, off, s[0:3], 0 offset:24
	buffer_load_dword v81, off, s[0:3], 0 offset:28
	v_mov_b32_e32 v82, 0
	buffer_store_dword v82, off, s[0:3], 0 offset:24
	buffer_store_dword v82, off, s[0:3], 0 offset:28
	s_waitcnt vmcnt(0)
	ds_write_b64 v79, v[80:81]
.LBB102_241:
	s_or_b32 exec_lo, exec_lo, s4
	s_waitcnt lgkmcnt(0)
	s_waitcnt_vscnt null, 0x0
	s_barrier
	buffer_gl0_inv
	s_clause 0x2a
	buffer_load_dword v86, off, s[0:3], 0 offset:36
	buffer_load_dword v87, off, s[0:3], 0 offset:44
	;; [unrolled: 1-line block ×43, first 2 shown]
	v_mov_b32_e32 v80, 0
	ds_read_b128 v[120:123], v80 offset:352
	ds_read_b128 v[124:127], v80 offset:368
	;; [unrolled: 1-line block ×3, first 2 shown]
	buffer_load_dword v138, off, s[0:3], 0 offset:28
	s_mov_b32 s4, exec_lo
	s_waitcnt vmcnt(43) lgkmcnt(2)
	v_mul_f32_e32 v136, v120, v86
	s_waitcnt vmcnt(42)
	v_mul_f32_e32 v137, v122, v87
	v_mul_f32_e32 v86, v121, v86
	;; [unrolled: 1-line block ×3, first 2 shown]
	s_waitcnt vmcnt(39)
	v_fmac_f32_e32 v136, v121, v85
	v_fmac_f32_e32 v137, v123, v84
	v_fma_f32 v139, v120, v85, -v86
	v_fma_f32 v140, v122, v84, -v87
	ds_read_b128 v[84:87], v80 offset:400
	ds_read_b128 v[120:123], v80 offset:416
	s_waitcnt vmcnt(38) lgkmcnt(3)
	v_mul_f32_e32 v141, v124, v82
	v_mul_f32_e32 v82, v125, v82
	s_waitcnt vmcnt(37)
	v_mul_f32_e32 v142, v126, v83
	v_mul_f32_e32 v83, v127, v83
	s_waitcnt vmcnt(32) lgkmcnt(2)
	v_mul_f32_e32 v144, v128, v95
	v_fmac_f32_e32 v141, v125, v81
	v_fma_f32 v143, v124, v81, -v82
	v_mul_f32_e32 v81, v129, v95
	s_waitcnt vmcnt(31)
	v_mul_f32_e32 v82, v131, v94
	v_fmac_f32_e32 v142, v127, v96
	v_fma_f32 v96, v126, v96, -v83
	ds_read_b128 v[124:127], v80 offset:432
	v_mul_f32_e32 v95, v130, v94
	v_fmac_f32_e32 v144, v129, v91
	v_fma_f32 v94, v128, v91, -v81
	v_fma_f32 v129, v130, v89, -v82
	v_fmac_f32_e32 v95, v131, v89
	s_waitcnt vmcnt(30) lgkmcnt(2)
	v_mul_f32_e32 v128, v84, v92
	v_mul_f32_e32 v81, v85, v92
	s_waitcnt vmcnt(29)
	v_mul_f32_e32 v130, v86, v90
	v_mul_f32_e32 v82, v87, v90
	s_waitcnt vmcnt(23) lgkmcnt(1)
	v_mul_f32_e32 v146, v122, v102
	v_fmac_f32_e32 v128, v85, v88
	v_fma_f32 v131, v84, v88, -v81
	v_fmac_f32_e32 v130, v87, v103
	v_fma_f32 v103, v86, v103, -v82
	v_mul_f32_e32 v85, v121, v93
	v_mul_f32_e32 v86, v123, v102
	ds_read_b128 v[81:84], v80 offset:448
	v_mul_f32_e32 v145, v120, v93
	v_fmac_f32_e32 v146, v123, v98
	v_fma_f32 v93, v120, v101, -v85
	v_fma_f32 v98, v122, v98, -v86
	ds_read_b128 v[85:88], v80 offset:464
	v_fmac_f32_e32 v145, v121, v101
	s_waitcnt vmcnt(22) lgkmcnt(2)
	v_mul_f32_e32 v101, v124, v100
	v_mul_f32_e32 v89, v125, v100
	s_waitcnt vmcnt(21)
	v_mul_f32_e32 v100, v126, v99
	v_mul_f32_e32 v90, v127, v99
	buffer_load_dword v99, off, s[0:3], 0 offset:196
	v_fmac_f32_e32 v101, v125, v97
	v_fma_f32 v97, v124, v97, -v89
	s_waitcnt vmcnt(18)
	v_fmac_f32_e32 v100, v127, v111
	v_fma_f32 v102, v126, v111, -v90
	s_waitcnt vmcnt(17) lgkmcnt(1)
	v_mul_f32_e32 v111, v81, v109
	s_waitcnt vmcnt(16)
	v_mul_f32_e32 v120, v83, v110
	v_mul_f32_e32 v89, v82, v109
	;; [unrolled: 1-line block ×3, first 2 shown]
	v_fmac_f32_e32 v111, v82, v106
	v_fmac_f32_e32 v120, v84, v105
	v_fma_f32 v106, v81, v106, -v89
	v_fma_f32 v105, v83, v105, -v90
	ds_read_b128 v[81:84], v80 offset:480
	s_waitcnt vmcnt(15) lgkmcnt(1)
	v_mul_f32_e32 v109, v85, v108
	v_mul_f32_e32 v91, v86, v108
	s_waitcnt vmcnt(14)
	v_mul_f32_e32 v108, v87, v107
	v_mul_f32_e32 v107, v88, v107
	v_fmac_f32_e32 v109, v86, v104
	v_fma_f32 v104, v85, v104, -v91
	ds_read_b128 v[89:92], v80 offset:496
	s_waitcnt vmcnt(10)
	v_fmac_f32_e32 v108, v88, v119
	v_fma_f32 v107, v87, v119, -v107
	s_clause 0x1
	buffer_load_dword v110, off, s[0:3], 0 offset:204
	buffer_load_dword v119, off, s[0:3], 0 offset:212
	s_waitcnt vmcnt(11) lgkmcnt(1)
	v_mul_f32_e32 v121, v81, v118
	v_mul_f32_e32 v85, v82, v118
	buffer_load_dword v118, off, s[0:3], 0 offset:220
	s_waitcnt vmcnt(11)
	v_mul_f32_e32 v122, v83, v117
	v_mul_f32_e32 v86, v84, v117
	v_fmac_f32_e32 v121, v82, v115
	v_fma_f32 v115, v81, v115, -v85
	s_waitcnt vmcnt(10) lgkmcnt(0)
	v_mul_f32_e32 v117, v89, v116
	v_mul_f32_e32 v81, v90, v116
	s_clause 0x3
	buffer_load_dword v116, off, s[0:3], 0 offset:240
	buffer_load_dword v123, off, s[0:3], 0 offset:232
	;; [unrolled: 1-line block ×4, first 2 shown]
	s_waitcnt vmcnt(13)
	v_mul_f32_e32 v126, v91, v114
	v_mul_f32_e32 v82, v92, v114
	v_fmac_f32_e32 v117, v90, v112
	v_fma_f32 v112, v89, v112, -v81
	buffer_load_dword v114, off, s[0:3], 0 offset:228
	v_add_f32_e32 v81, 0, v136
	s_waitcnt vmcnt(10)
	v_fmac_f32_e32 v126, v92, v135
	v_fma_f32 v127, v91, v135, -v82
	s_clause 0x1
	buffer_load_dword v135, off, s[0:3], 0 offset:236
	buffer_load_dword v136, off, s[0:3], 0 offset:244
	v_add_f32_e32 v81, v81, v137
	v_add_f32_e32 v82, 0, v139
	s_clause 0x3
	buffer_load_dword v137, off, s[0:3], 0 offset:252
	buffer_load_dword v139, off, s[0:3], 0 offset:260
	;; [unrolled: 1-line block ×4, first 2 shown]
	v_fmac_f32_e32 v122, v84, v113
	v_fma_f32 v113, v83, v113, -v86
	v_add_f32_e32 v81, v81, v141
	v_add_f32_e32 v82, v82, v140
	s_clause 0x1
	buffer_load_dword v140, off, s[0:3], 0 offset:284
	buffer_load_dword v141, off, s[0:3], 0 offset:292
	v_add_f32_e32 v81, v81, v142
	v_add_f32_e32 v82, v82, v143
	s_clause 0x1
	buffer_load_dword v142, off, s[0:3], 0 offset:300
	buffer_load_dword v143, off, s[0:3], 0 offset:308
	v_add_f32_e32 v81, v81, v144
	s_clause 0x3
	buffer_load_dword v144, off, s[0:3], 0 offset:272
	buffer_load_dword v149, off, s[0:3], 0 offset:264
	buffer_load_dword v150, off, s[0:3], 0 offset:256
	buffer_load_dword v151, off, s[0:3], 0 offset:248
	v_add_f32_e32 v82, v82, v96
	v_add_f32_e32 v81, v81, v95
	v_add_f32_e32 v82, v82, v94
	v_add_f32_e32 v81, v81, v128
	v_add_f32_e32 v82, v82, v129
	v_add_f32_e32 v81, v81, v130
	v_add_f32_e32 v82, v82, v131
	s_clause 0x3
	buffer_load_dword v128, off, s[0:3], 0 offset:304
	buffer_load_dword v129, off, s[0:3], 0 offset:296
	;; [unrolled: 1-line block ×4, first 2 shown]
	v_add_f32_e32 v81, v81, v145
	v_add_f32_e32 v82, v82, v103
	buffer_load_dword v103, off, s[0:3], 0 offset:24
	v_add_f32_e32 v85, v81, v146
	v_add_f32_e32 v82, v82, v93
	;; [unrolled: 1-line block ×4, first 2 shown]
	ds_read_b128 v[81:84], v80 offset:512
	v_add_f32_e32 v89, v85, v100
	v_add_f32_e32 v86, v86, v97
	;; [unrolled: 1-line block ×6, first 2 shown]
	ds_read_b128 v[85:88], v80 offset:528
	v_add_f32_e32 v93, v89, v109
	v_add_f32_e32 v90, v90, v105
	;; [unrolled: 1-line block ×4, first 2 shown]
	s_waitcnt vmcnt(27) lgkmcnt(1)
	v_mul_f32_e32 v106, v81, v99
	v_mul_f32_e32 v91, v82, v99
	v_fmac_f32_e32 v106, v82, v134
	v_add_f32_e32 v82, v90, v104
	v_fma_f32 v104, v81, v134, -v91
	v_add_f32_e32 v97, v82, v107
	v_add_f32_e32 v97, v97, v115
	;; [unrolled: 1-line block ×3, first 2 shown]
	s_waitcnt vmcnt(26)
	v_mul_f32_e32 v105, v83, v110
	s_waitcnt vmcnt(25) lgkmcnt(0)
	v_mul_f32_e32 v99, v86, v119
	v_mul_f32_e32 v107, v85, v119
	;; [unrolled: 1-line block ×3, first 2 shown]
	v_fmac_f32_e32 v105, v84, v133
	v_fma_f32 v110, v85, v132, -v99
	v_add_f32_e32 v85, v98, v122
	v_fmac_f32_e32 v107, v86, v132
	v_add_f32_e32 v86, v97, v112
	v_fma_f32 v109, v83, v133, -v92
	ds_read_b128 v[81:84], v80 offset:544
	ds_read_b128 v[89:92], v80 offset:560
	v_add_f32_e32 v112, v85, v117
	s_waitcnt vmcnt(24)
	v_mul_f32_e32 v101, v88, v118
	v_add_f32_e32 v113, v86, v127
	v_mul_f32_e32 v108, v87, v118
	ds_read_b128 v[93:96], v80 offset:576
	ds_read_b128 v[97:100], v80 offset:592
	v_add_f32_e32 v112, v112, v126
	v_add_f32_e32 v104, v113, v104
	s_waitcnt vmcnt(20)
	v_fma_f32 v111, v87, v125, -v101
	v_fmac_f32_e32 v108, v88, v125
	ds_read_b128 v[85:88], v80 offset:608
	ds_read_b64 v[101:102], v80 offset:624
	v_add_f32_e32 v106, v112, v106
	v_add_f32_e32 v104, v104, v109
	;; [unrolled: 1-line block ×4, first 2 shown]
	s_waitcnt vmcnt(19) lgkmcnt(5)
	v_mul_f32_e32 v113, v82, v114
	v_mul_f32_e32 v115, v81, v114
	s_waitcnt vmcnt(18)
	v_mul_f32_e32 v114, v84, v135
	v_add_f32_e32 v105, v105, v107
	v_add_f32_e32 v104, v104, v111
	v_fma_f32 v81, v81, v124, -v113
	v_mul_f32_e32 v117, v83, v135
	v_fmac_f32_e32 v115, v82, v124
	v_add_f32_e32 v105, v105, v108
	s_waitcnt vmcnt(17) lgkmcnt(4)
	v_mul_f32_e32 v113, v90, v136
	v_fma_f32 v83, v83, v123, -v114
	v_add_f32_e32 v81, v104, v81
	v_mul_f32_e32 v112, v89, v136
	v_fmac_f32_e32 v117, v84, v123
	v_add_f32_e32 v84, v105, v115
	s_waitcnt vmcnt(16)
	v_mul_f32_e32 v104, v92, v137
	v_fma_f32 v89, v89, v116, -v113
	v_add_f32_e32 v81, v81, v83
	v_mul_f32_e32 v109, v91, v137
	v_fmac_f32_e32 v112, v90, v116
	v_add_f32_e32 v83, v84, v117
	s_waitcnt vmcnt(15) lgkmcnt(3)
	v_mul_f32_e32 v84, v94, v139
	s_waitcnt vmcnt(5)
	v_fma_f32 v90, v91, v151, -v104
	v_add_f32_e32 v81, v81, v89
	v_mul_f32_e32 v118, v93, v139
	v_fmac_f32_e32 v109, v92, v151
	v_add_f32_e32 v83, v83, v112
	v_mul_f32_e32 v89, v96, v147
	v_fma_f32 v84, v93, v150, -v84
	v_add_f32_e32 v81, v81, v90
	v_mul_f32_e32 v106, v95, v147
	v_fmac_f32_e32 v118, v94, v150
	v_add_f32_e32 v83, v83, v109
	s_waitcnt lgkmcnt(2)
	v_mul_f32_e32 v90, v98, v148
	v_fma_f32 v89, v95, v149, -v89
	v_add_f32_e32 v81, v81, v84
	v_mul_f32_e32 v110, v97, v148
	v_fmac_f32_e32 v106, v96, v149
	v_add_f32_e32 v83, v83, v118
	v_mul_f32_e32 v84, v100, v140
	v_fma_f32 v90, v97, v144, -v90
	v_add_f32_e32 v81, v81, v89
	v_mul_f32_e32 v82, v99, v140
	v_fmac_f32_e32 v110, v98, v144
	v_add_f32_e32 v83, v83, v106
	s_waitcnt lgkmcnt(1)
	v_mul_f32_e32 v89, v86, v141
	s_waitcnt vmcnt(1)
	v_fma_f32 v84, v99, v131, -v84
	v_add_f32_e32 v81, v81, v90
	v_mul_f32_e32 v107, v85, v141
	v_fmac_f32_e32 v82, v100, v131
	v_add_f32_e32 v83, v83, v110
	v_mul_f32_e32 v90, v88, v142
	v_fma_f32 v85, v85, v130, -v89
	v_add_f32_e32 v81, v81, v84
	v_mul_f32_e32 v111, v87, v142
	v_fmac_f32_e32 v107, v86, v130
	v_add_f32_e32 v82, v83, v82
	s_waitcnt lgkmcnt(0)
	v_mul_f32_e32 v83, v102, v143
	v_fma_f32 v84, v87, v129, -v90
	v_add_f32_e32 v81, v81, v85
	v_mul_f32_e32 v108, v101, v143
	v_fmac_f32_e32 v111, v88, v129
	v_add_f32_e32 v82, v82, v107
	v_fma_f32 v83, v101, v128, -v83
	v_add_f32_e32 v81, v81, v84
	v_fmac_f32_e32 v108, v102, v128
	v_add_f32_e32 v82, v82, v111
	v_add_f32_e32 v81, v81, v83
	;; [unrolled: 1-line block ×3, first 2 shown]
	s_waitcnt vmcnt(0)
	v_sub_f32_e32 v81, v103, v81
	v_sub_f32_e32 v82, v138, v82
	buffer_store_dword v81, off, s[0:3], 0 offset:24
	buffer_store_dword v82, off, s[0:3], 0 offset:28
	v_cmpx_lt_u32_e32 2, v0
	s_cbranch_execz .LBB102_243
; %bb.242:
	s_clause 0x1
	buffer_load_dword v81, off, s[0:3], 0 offset:16
	buffer_load_dword v82, off, s[0:3], 0 offset:20
	buffer_store_dword v80, off, s[0:3], 0 offset:16
	buffer_store_dword v80, off, s[0:3], 0 offset:20
	s_waitcnt vmcnt(0)
	ds_write_b64 v79, v[81:82]
.LBB102_243:
	s_or_b32 exec_lo, exec_lo, s4
	s_waitcnt lgkmcnt(0)
	s_waitcnt_vscnt null, 0x0
	s_barrier
	buffer_gl0_inv
	s_clause 0x2a
	buffer_load_dword v86, off, s[0:3], 0 offset:28
	buffer_load_dword v87, off, s[0:3], 0 offset:36
	;; [unrolled: 1-line block ×43, first 2 shown]
	ds_read2_b64 v[120:123], v80 offset0:43 offset1:44
	ds_read2_b64 v[124:127], v80 offset0:45 offset1:46
	;; [unrolled: 1-line block ×3, first 2 shown]
	buffer_load_dword v138, off, s[0:3], 0 offset:20
	s_mov_b32 s4, exec_lo
	s_waitcnt vmcnt(43) lgkmcnt(2)
	v_mul_f32_e32 v136, v120, v86
	s_waitcnt vmcnt(42)
	v_mul_f32_e32 v137, v122, v87
	v_mul_f32_e32 v86, v121, v86
	v_mul_f32_e32 v87, v123, v87
	s_waitcnt vmcnt(39)
	v_fmac_f32_e32 v136, v121, v85
	v_fmac_f32_e32 v137, v123, v84
	v_fma_f32 v139, v120, v85, -v86
	v_fma_f32 v140, v122, v84, -v87
	ds_read2_b64 v[84:87], v80 offset0:49 offset1:50
	ds_read2_b64 v[120:123], v80 offset0:51 offset1:52
	s_waitcnt vmcnt(38) lgkmcnt(3)
	v_mul_f32_e32 v141, v124, v82
	s_waitcnt vmcnt(37)
	v_mul_f32_e32 v142, v126, v83
	v_mul_f32_e32 v82, v125, v82
	;; [unrolled: 1-line block ×3, first 2 shown]
	v_fmac_f32_e32 v141, v125, v81
	s_waitcnt vmcnt(33)
	v_fmac_f32_e32 v142, v127, v95
	v_fma_f32 v124, v124, v81, -v82
	v_fma_f32 v125, v126, v95, -v83
	s_waitcnt vmcnt(32) lgkmcnt(2)
	v_mul_f32_e32 v126, v128, v93
	s_waitcnt vmcnt(31)
	v_mul_f32_e32 v127, v130, v94
	v_mul_f32_e32 v81, v129, v93
	;; [unrolled: 1-line block ×3, first 2 shown]
	v_fmac_f32_e32 v126, v129, v92
	v_fmac_f32_e32 v127, v131, v89
	v_fma_f32 v128, v128, v92, -v81
	v_fma_f32 v129, v130, v89, -v82
	ds_read2_b64 v[92:95], v80 offset0:53 offset1:54
	s_waitcnt vmcnt(29) lgkmcnt(2)
	v_mul_f32_e32 v131, v86, v91
	v_mul_f32_e32 v81, v85, v90
	;; [unrolled: 1-line block ×4, first 2 shown]
	s_waitcnt vmcnt(24) lgkmcnt(1)
	v_mul_f32_e32 v144, v120, v101
	v_fmac_f32_e32 v131, v87, v103
	v_fma_f32 v143, v84, v88, -v81
	v_fma_f32 v103, v86, v103, -v82
	ds_read2_b64 v[81:84], v80 offset0:55 offset1:56
	v_fmac_f32_e32 v130, v85, v88
	s_waitcnt vmcnt(23)
	v_mul_f32_e32 v145, v122, v102
	v_mul_f32_e32 v85, v121, v101
	;; [unrolled: 1-line block ×3, first 2 shown]
	v_fmac_f32_e32 v144, v121, v100
	v_fmac_f32_e32 v145, v123, v97
	v_fma_f32 v100, v120, v100, -v85
	v_fma_f32 v97, v122, v97, -v86
	ds_read2_b64 v[85:88], v80 offset0:57 offset1:58
	s_waitcnt vmcnt(22) lgkmcnt(2)
	v_mul_f32_e32 v101, v92, v98
	s_waitcnt vmcnt(21)
	v_mul_f32_e32 v102, v94, v99
	v_mul_f32_e32 v89, v93, v98
	;; [unrolled: 1-line block ×3, first 2 shown]
	v_fmac_f32_e32 v101, v93, v96
	s_waitcnt vmcnt(17)
	v_fmac_f32_e32 v102, v95, v111
	v_fma_f32 v93, v92, v96, -v89
	v_fma_f32 v94, v94, v111, -v90
	s_waitcnt vmcnt(16) lgkmcnt(1)
	v_mul_f32_e32 v95, v81, v109
	s_waitcnt vmcnt(15)
	v_mul_f32_e32 v96, v83, v110
	v_mul_f32_e32 v98, v82, v109
	;; [unrolled: 1-line block ×3, first 2 shown]
	ds_read2_b64 v[89:92], v80 offset0:59 offset1:60
	v_fmac_f32_e32 v95, v82, v108
	v_fmac_f32_e32 v96, v84, v105
	v_fma_f32 v98, v81, v108, -v98
	v_fma_f32 v99, v83, v105, -v99
	s_clause 0x1
	buffer_load_dword v105, off, s[0:3], 0 offset:188
	buffer_load_dword v108, off, s[0:3], 0 offset:196
	s_waitcnt vmcnt(16) lgkmcnt(1)
	v_mul_f32_e32 v109, v85, v106
	v_mul_f32_e32 v81, v86, v106
	s_waitcnt vmcnt(15)
	v_mul_f32_e32 v82, v88, v107
	v_mul_f32_e32 v110, v87, v107
	buffer_load_dword v107, off, s[0:3], 0 offset:204
	v_fmac_f32_e32 v109, v86, v104
	v_fma_f32 v104, v85, v104, -v81
	s_waitcnt vmcnt(12)
	v_fma_f32 v106, v87, v119, -v82
	ds_read2_b64 v[81:84], v80 offset0:61 offset1:62
	v_fmac_f32_e32 v110, v88, v119
	s_waitcnt vmcnt(11) lgkmcnt(1)
	v_mul_f32_e32 v111, v89, v117
	s_waitcnt vmcnt(10)
	v_mul_f32_e32 v119, v91, v118
	v_mul_f32_e32 v85, v90, v117
	;; [unrolled: 1-line block ×3, first 2 shown]
	s_clause 0x5
	buffer_load_dword v117, off, s[0:3], 0 offset:212
	buffer_load_dword v118, off, s[0:3], 0 offset:232
	;; [unrolled: 1-line block ×6, first 2 shown]
	v_fmac_f32_e32 v111, v90, v116
	v_fma_f32 v116, v89, v116, -v85
	v_fmac_f32_e32 v119, v92, v115
	v_fma_f32 v115, v91, v115, -v86
	s_waitcnt vmcnt(15) lgkmcnt(0)
	v_mul_f32_e32 v123, v81, v114
	v_mul_f32_e32 v85, v82, v114
	s_waitcnt vmcnt(14)
	v_mul_f32_e32 v114, v83, v113
	v_fmac_f32_e32 v123, v82, v112
	v_add_f32_e32 v82, 0, v136
	v_fma_f32 v112, v81, v112, -v85
	v_add_f32_e32 v81, 0, v139
	v_mul_f32_e32 v85, v84, v113
	s_clause 0x1
	buffer_load_dword v113, off, s[0:3], 0 offset:228
	buffer_load_dword v136, off, s[0:3], 0 offset:236
	v_add_f32_e32 v82, v82, v137
	v_add_f32_e32 v81, v81, v140
	buffer_load_dword v137, off, s[0:3], 0 offset:244
	s_waitcnt vmcnt(13)
	v_fmac_f32_e32 v114, v84, v135
	v_fma_f32 v135, v83, v135, -v85
	v_add_f32_e32 v82, v82, v141
	v_add_f32_e32 v81, v81, v124
	s_clause 0x2
	buffer_load_dword v124, off, s[0:3], 0 offset:252
	buffer_load_dword v139, off, s[0:3], 0 offset:260
	;; [unrolled: 1-line block ×3, first 2 shown]
	v_add_f32_e32 v82, v82, v142
	v_add_f32_e32 v81, v81, v125
	s_clause 0x3
	buffer_load_dword v125, off, s[0:3], 0 offset:276
	buffer_load_dword v141, off, s[0:3], 0 offset:284
	;; [unrolled: 1-line block ×4, first 2 shown]
	v_add_f32_e32 v82, v82, v126
	v_add_f32_e32 v81, v81, v128
	buffer_load_dword v126, off, s[0:3], 0 offset:308
	v_add_f32_e32 v82, v82, v127
	v_add_f32_e32 v81, v81, v129
	s_clause 0x3
	buffer_load_dword v127, off, s[0:3], 0 offset:264
	buffer_load_dword v128, off, s[0:3], 0 offset:256
	;; [unrolled: 1-line block ×4, first 2 shown]
	v_add_f32_e32 v82, v82, v130
	v_add_f32_e32 v81, v81, v143
	;; [unrolled: 1-line block ×3, first 2 shown]
	s_clause 0x4
	buffer_load_dword v130, off, s[0:3], 0 offset:296
	buffer_load_dword v131, off, s[0:3], 0 offset:288
	;; [unrolled: 1-line block ×5, first 2 shown]
	v_add_f32_e32 v81, v81, v103
	v_add_f32_e32 v82, v82, v144
	buffer_load_dword v144, off, s[0:3], 0 offset:304
	v_add_f32_e32 v81, v81, v100
	v_add_f32_e32 v82, v82, v145
	;; [unrolled: 1-line block ×5, first 2 shown]
	ds_read2_b64 v[81:84], v80 offset0:63 offset1:64
	v_add_f32_e32 v85, v85, v102
	v_add_f32_e32 v86, v86, v94
	;; [unrolled: 1-line block ×4, first 2 shown]
	ds_read2_b64 v[85:88], v80 offset0:65 offset1:66
	v_add_f32_e32 v89, v89, v96
	v_add_f32_e32 v90, v90, v99
	;; [unrolled: 1-line block ×10, first 2 shown]
	s_waitcnt vmcnt(29) lgkmcnt(1)
	v_mul_f32_e32 v101, v81, v105
	v_mul_f32_e32 v91, v82, v105
	s_waitcnt vmcnt(28)
	v_mul_f32_e32 v105, v83, v108
	v_mul_f32_e32 v92, v84, v108
	v_fmac_f32_e32 v101, v82, v134
	v_fma_f32 v108, v81, v134, -v91
	v_fmac_f32_e32 v105, v84, v133
	v_fma_f32 v109, v83, v133, -v92
	ds_read2_b64 v[81:84], v80 offset0:67 offset1:68
	ds_read2_b64 v[89:92], v80 offset0:69 offset1:70
	s_waitcnt vmcnt(27) lgkmcnt(2)
	v_mul_f32_e32 v110, v85, v107
	v_mul_f32_e32 v95, v86, v107
	v_fmac_f32_e32 v110, v86, v132
	v_add_f32_e32 v86, v94, v119
	v_fma_f32 v107, v85, v132, -v95
	s_waitcnt vmcnt(26)
	v_mul_f32_e32 v106, v87, v117
	v_mul_f32_e32 v96, v88, v117
	v_add_f32_e32 v98, v86, v123
	s_waitcnt vmcnt(22)
	v_fmac_f32_e32 v106, v88, v122
	v_fma_f32 v111, v87, v122, -v96
	v_add_f32_e32 v104, v98, v114
	v_add_f32_e32 v114, v102, v135
	s_waitcnt vmcnt(21) lgkmcnt(1)
	v_mul_f32_e32 v112, v81, v146
	v_mul_f32_e32 v103, v82, v146
	ds_read2_b64 v[85:88], v80 offset0:71 offset1:72
	ds_read2_b64 v[93:96], v80 offset0:73 offset1:74
	;; [unrolled: 1-line block ×3, first 2 shown]
	v_fmac_f32_e32 v112, v82, v121
	v_fma_f32 v81, v81, v121, -v103
	v_add_f32_e32 v82, v104, v101
	ds_read2_b64 v[101:104], v80 offset0:77 offset1:78
	v_add_f32_e32 v80, v114, v108
	s_waitcnt vmcnt(20)
	v_mul_f32_e32 v108, v83, v113
	v_add_f32_e32 v82, v82, v105
	v_mul_f32_e32 v113, v84, v113
	v_add_f32_e32 v80, v80, v109
	s_waitcnt vmcnt(19) lgkmcnt(4)
	v_mul_f32_e32 v114, v90, v136
	v_mul_f32_e32 v105, v89, v136
	v_add_f32_e32 v82, v82, v110
	v_fma_f32 v83, v83, v120, -v113
	v_add_f32_e32 v80, v80, v107
	v_fmac_f32_e32 v108, v84, v120
	v_fma_f32 v89, v89, v118, -v114
	v_add_f32_e32 v82, v82, v106
	s_waitcnt vmcnt(18)
	v_mul_f32_e32 v106, v92, v137
	v_add_f32_e32 v80, v80, v111
	v_mul_f32_e32 v109, v91, v137
	v_fmac_f32_e32 v105, v90, v118
	s_waitcnt vmcnt(17) lgkmcnt(3)
	v_mul_f32_e32 v84, v85, v124
	s_waitcnt vmcnt(16)
	v_mul_f32_e32 v113, v87, v139
	v_add_f32_e32 v80, v80, v81
	v_add_f32_e32 v81, v82, v112
	s_waitcnt vmcnt(15) lgkmcnt(2)
	v_mul_f32_e32 v107, v93, v140
	s_waitcnt vmcnt(14)
	v_mul_f32_e32 v110, v95, v125
	s_waitcnt vmcnt(8)
	v_fmac_f32_e32 v113, v88, v128
	v_add_f32_e32 v80, v80, v83
	v_add_f32_e32 v81, v81, v108
	v_mul_f32_e32 v83, v86, v124
	s_waitcnt vmcnt(6)
	v_fma_f32 v90, v91, v148, -v106
	v_fmac_f32_e32 v109, v92, v148
	v_add_f32_e32 v80, v80, v89
	v_add_f32_e32 v81, v81, v105
	v_mul_f32_e32 v89, v88, v139
	v_fma_f32 v83, v85, v129, -v83
	v_fmac_f32_e32 v84, v86, v129
	v_add_f32_e32 v80, v80, v90
	v_add_f32_e32 v81, v81, v109
	v_mul_f32_e32 v85, v94, v140
	;; [unrolled: 5-line block ×3, first 2 shown]
	v_fma_f32 v84, v93, v127, -v85
	s_waitcnt lgkmcnt(1)
	v_mul_f32_e32 v85, v98, v141
	v_add_f32_e32 v80, v80, v86
	v_add_f32_e32 v81, v81, v113
	s_waitcnt vmcnt(2)
	v_fma_f32 v83, v95, v149, -v83
	v_mul_f32_e32 v115, v97, v141
	v_fmac_f32_e32 v110, v96, v149
	v_add_f32_e32 v80, v80, v84
	v_add_f32_e32 v81, v81, v107
	v_mul_f32_e32 v84, v100, v142
	v_fma_f32 v85, v97, v143, -v85
	v_mul_f32_e32 v111, v99, v142
	v_add_f32_e32 v80, v80, v83
	v_fmac_f32_e32 v115, v98, v143
	v_add_f32_e32 v81, v81, v110
	s_waitcnt lgkmcnt(0)
	v_mul_f32_e32 v83, v102, v147
	v_fma_f32 v84, v99, v131, -v84
	v_add_f32_e32 v80, v80, v85
	v_mul_f32_e32 v116, v101, v147
	v_fmac_f32_e32 v111, v100, v131
	v_add_f32_e32 v81, v81, v115
	v_mul_f32_e32 v85, v104, v126
	v_fma_f32 v83, v101, v130, -v83
	v_add_f32_e32 v80, v80, v84
	v_mul_f32_e32 v82, v103, v126
	v_fmac_f32_e32 v116, v102, v130
	v_add_f32_e32 v81, v81, v111
	s_waitcnt vmcnt(0)
	v_fma_f32 v84, v103, v144, -v85
	v_add_f32_e32 v80, v80, v83
	v_fmac_f32_e32 v82, v104, v144
	v_add_f32_e32 v81, v81, v116
	v_add_f32_e32 v80, v80, v84
	v_add_f32_e32 v81, v81, v82
	v_sub_f32_e32 v80, v150, v80
	v_sub_f32_e32 v81, v138, v81
	buffer_store_dword v80, off, s[0:3], 0 offset:16
	buffer_store_dword v81, off, s[0:3], 0 offset:20
	v_cmpx_lt_u32_e32 1, v0
	s_cbranch_execz .LBB102_245
; %bb.244:
	s_clause 0x1
	buffer_load_dword v80, off, s[0:3], 0 offset:8
	buffer_load_dword v81, off, s[0:3], 0 offset:12
	v_mov_b32_e32 v82, 0
	buffer_store_dword v82, off, s[0:3], 0 offset:8
	buffer_store_dword v82, off, s[0:3], 0 offset:12
	s_waitcnt vmcnt(0)
	ds_write_b64 v79, v[80:81]
.LBB102_245:
	s_or_b32 exec_lo, exec_lo, s4
	s_waitcnt lgkmcnt(0)
	s_waitcnt_vscnt null, 0x0
	s_barrier
	buffer_gl0_inv
	s_clause 0x2b
	buffer_load_dword v119, off, s[0:3], 0 offset:20
	buffer_load_dword v81, off, s[0:3], 0 offset:32
	;; [unrolled: 1-line block ×44, first 2 shown]
	v_mov_b32_e32 v80, 0
	ds_read_b128 v[120:123], v80 offset:336
	ds_read_b128 v[124:127], v80 offset:352
	;; [unrolled: 1-line block ×3, first 2 shown]
	buffer_load_dword v138, off, s[0:3], 0 offset:12
	s_mov_b32 s4, exec_lo
	s_waitcnt vmcnt(44) lgkmcnt(2)
	v_mul_f32_e32 v137, v120, v119
	v_mul_f32_e32 v119, v121, v119
	s_waitcnt vmcnt(40)
	v_mul_f32_e32 v140, v122, v88
	v_mul_f32_e32 v88, v123, v88
	v_fmac_f32_e32 v137, v121, v89
	v_fma_f32 v139, v120, v89, -v119
	s_waitcnt vmcnt(39) lgkmcnt(1)
	v_mul_f32_e32 v142, v124, v86
	v_fmac_f32_e32 v140, v123, v84
	v_fma_f32 v141, v122, v84, -v88
	v_mul_f32_e32 v84, v125, v86
	ds_read_b128 v[119:122], v80 offset:384
	v_fmac_f32_e32 v142, v125, v81
	s_waitcnt vmcnt(38)
	v_mul_f32_e32 v144, v126, v83
	s_waitcnt vmcnt(33) lgkmcnt(1)
	v_mul_f32_e32 v145, v128, v92
	v_fma_f32 v143, v124, v81, -v84
	v_mul_f32_e32 v81, v127, v83
	v_fmac_f32_e32 v144, v127, v93
	v_fmac_f32_e32 v145, v129, v90
	v_fma_f32 v127, v126, v93, -v81
	v_mul_f32_e32 v81, v129, v92
	ds_read_b128 v[123:126], v80 offset:400
	s_waitcnt vmcnt(32)
	v_mul_f32_e32 v129, v130, v91
	v_fma_f32 v128, v128, v90, -v81
	v_mul_f32_e32 v81, v131, v91
	v_fmac_f32_e32 v129, v131, v85
	s_waitcnt vmcnt(31) lgkmcnt(1)
	v_mul_f32_e32 v131, v119, v87
	v_fma_f32 v130, v130, v85, -v81
	v_mul_f32_e32 v81, v120, v87
	ds_read_b128 v[83:86], v80 offset:416
	v_fmac_f32_e32 v131, v120, v82
	s_waitcnt vmcnt(30)
	v_mul_f32_e32 v120, v121, v94
	ds_read_b128 v[87:90], v80 offset:432
	v_fma_f32 v119, v119, v82, -v81
	v_mul_f32_e32 v81, v122, v94
	ds_read_b128 v[91:94], v80 offset:448
	s_waitcnt vmcnt(26)
	v_fmac_f32_e32 v120, v122, v102
	v_fma_f32 v102, v121, v102, -v81
	s_waitcnt vmcnt(25) lgkmcnt(3)
	v_mul_f32_e32 v121, v123, v101
	v_mul_f32_e32 v81, v124, v101
	s_waitcnt vmcnt(24)
	v_mul_f32_e32 v101, v125, v99
	v_fmac_f32_e32 v121, v124, v98
	v_fma_f32 v98, v123, v98, -v81
	v_mul_f32_e32 v81, v126, v99
	v_fmac_f32_e32 v101, v126, v96
	s_waitcnt vmcnt(23) lgkmcnt(2)
	v_mul_f32_e32 v99, v83, v97
	v_fma_f32 v96, v125, v96, -v81
	v_mul_f32_e32 v81, v84, v97
	v_fmac_f32_e32 v99, v84, v95
	s_waitcnt vmcnt(22)
	v_mul_f32_e32 v97, v85, v100
	v_fma_f32 v95, v83, v95, -v81
	v_mul_f32_e32 v81, v86, v100
	s_waitcnt vmcnt(18)
	v_fmac_f32_e32 v97, v86, v111
	s_waitcnt vmcnt(14) lgkmcnt(0)
	v_mul_f32_e32 v86, v94, v108
	v_fma_f32 v100, v85, v111, -v81
	v_mul_f32_e32 v111, v87, v110
	v_mul_f32_e32 v81, v88, v110
	;; [unrolled: 1-line block ×5, first 2 shown]
	v_fmac_f32_e32 v111, v88, v107
	v_fma_f32 v107, v87, v107, -v81
	ds_read_b128 v[81:84], v80 offset:464
	v_fmac_f32_e32 v110, v90, v104
	v_fma_f32 v89, v89, v104, -v85
	s_clause 0x2
	buffer_load_dword v90, off, s[0:3], 0 offset:188
	buffer_load_dword v104, off, s[0:3], 0 offset:196
	;; [unrolled: 1-line block ×3, first 2 shown]
	v_mul_f32_e32 v85, v92, v105
	v_mul_f32_e32 v105, v93, v108
	v_add_f32_e32 v87, 0, v137
	v_fmac_f32_e32 v109, v92, v103
	s_waitcnt vmcnt(13)
	v_fma_f32 v92, v93, v118, -v86
	v_fma_f32 v91, v91, v103, -v85
	v_fmac_f32_e32 v105, v94, v118
	v_add_f32_e32 v94, v87, v140
	ds_read_b128 v[85:88], v80 offset:480
	v_add_f32_e32 v93, 0, v139
	v_add_f32_e32 v94, v94, v142
	;; [unrolled: 1-line block ×3, first 2 shown]
	s_waitcnt vmcnt(12) lgkmcnt(1)
	v_mul_f32_e32 v103, v81, v117
	v_mul_f32_e32 v108, v82, v117
	s_clause 0x3
	buffer_load_dword v117, off, s[0:3], 0 offset:224
	buffer_load_dword v118, off, s[0:3], 0 offset:216
	;; [unrolled: 1-line block ×4, first 2 shown]
	v_fmac_f32_e32 v103, v82, v116
	v_fma_f32 v108, v81, v116, -v108
	s_clause 0x1
	buffer_load_dword v116, off, s[0:3], 0 offset:212
	buffer_load_dword v125, off, s[0:3], 0 offset:220
	v_add_f32_e32 v81, v93, v143
	v_add_f32_e32 v82, v94, v144
	s_waitcnt vmcnt(17)
	v_mul_f32_e32 v93, v83, v115
	v_mul_f32_e32 v94, v84, v115
	buffer_load_dword v115, off, s[0:3], 0 offset:228
	v_add_f32_e32 v81, v81, v127
	v_add_f32_e32 v82, v82, v145
	v_fmac_f32_e32 v93, v84, v113
	v_fma_f32 v94, v83, v113, -v94
	v_add_f32_e32 v113, v81, v128
	v_add_f32_e32 v129, v82, v129
	s_clause 0x3
	buffer_load_dword v126, off, s[0:3], 0 offset:236
	buffer_load_dword v127, off, s[0:3], 0 offset:244
	;; [unrolled: 1-line block ×4, first 2 shown]
	ds_read_b128 v[81:84], v80 offset:496
	v_add_f32_e32 v113, v113, v130
	s_waitcnt vmcnt(21) lgkmcnt(1)
	v_mul_f32_e32 v130, v85, v112
	v_mul_f32_e32 v112, v86, v112
	v_add_f32_e32 v129, v129, v131
	s_waitcnt vmcnt(20)
	v_mul_f32_e32 v131, v87, v114
	v_add_f32_e32 v113, v113, v119
	v_fmac_f32_e32 v130, v86, v106
	v_fma_f32 v106, v85, v106, -v112
	v_add_f32_e32 v85, v129, v120
	v_mul_f32_e32 v114, v88, v114
	v_add_f32_e32 v86, v113, v102
	s_clause 0x3
	buffer_load_dword v112, off, s[0:3], 0 offset:268
	buffer_load_dword v113, off, s[0:3], 0 offset:276
	;; [unrolled: 1-line block ×4, first 2 shown]
	s_waitcnt vmcnt(20)
	v_fmac_f32_e32 v131, v88, v135
	v_add_f32_e32 v85, v85, v121
	v_fma_f32 v102, v87, v135, -v114
	s_clause 0x5
	buffer_load_dword v114, off, s[0:3], 0 offset:300
	buffer_load_dword v121, off, s[0:3], 0 offset:256
	;; [unrolled: 1-line block ×6, first 2 shown]
	v_add_f32_e32 v86, v86, v98
	v_add_f32_e32 v85, v85, v101
	s_waitcnt vmcnt(25) lgkmcnt(0)
	v_mul_f32_e32 v101, v81, v136
	v_add_f32_e32 v96, v86, v96
	v_add_f32_e32 v98, v85, v99
	ds_read_b128 v[85:88], v80 offset:512
	v_fmac_f32_e32 v101, v82, v134
	v_add_f32_e32 v95, v96, v95
	v_mul_f32_e32 v96, v82, v136
	v_add_f32_e32 v97, v98, v97
	v_fma_f32 v98, v81, v134, -v96
	v_add_f32_e32 v82, v97, v111
	s_clause 0x3
	buffer_load_dword v111, off, s[0:3], 0 offset:288
	buffer_load_dword v134, off, s[0:3], 0 offset:280
	;; [unrolled: 1-line block ×4, first 2 shown]
	v_add_f32_e32 v81, v95, v100
	v_add_f32_e32 v82, v82, v110
	;; [unrolled: 1-line block ×3, first 2 shown]
	s_clause 0x2
	buffer_load_dword v107, off, s[0:3], 0 offset:304
	buffer_load_dword v110, off, s[0:3], 0 offset:296
	;; [unrolled: 1-line block ×3, first 2 shown]
	v_add_f32_e32 v81, v81, v89
	v_add_f32_e32 v89, v82, v109
	;; [unrolled: 1-line block ×4, first 2 shown]
	s_waitcnt vmcnt(30)
	v_mul_f32_e32 v109, v83, v90
	v_mul_f32_e32 v82, v84, v90
	v_add_f32_e32 v90, v81, v91
	s_waitcnt vmcnt(28) lgkmcnt(0)
	v_mul_f32_e32 v99, v88, v122
	v_mul_f32_e32 v105, v85, v104
	v_fmac_f32_e32 v109, v84, v133
	v_fma_f32 v133, v83, v133, -v82
	ds_read_b128 v[81:84], v80 offset:528
	v_add_f32_e32 v90, v90, v92
	v_mul_f32_e32 v95, v86, v104
	v_mul_f32_e32 v104, v87, v122
	v_fmac_f32_e32 v105, v86, v132
	v_add_f32_e32 v97, v90, v108
	ds_read_b128 v[89:92], v80 offset:544
	v_fma_f32 v103, v85, v132, -v95
	v_add_f32_e32 v97, v97, v94
	s_waitcnt vmcnt(24)
	v_fma_f32 v108, v87, v124, -v99
	v_add_f32_e32 v99, v96, v93
	v_fmac_f32_e32 v104, v88, v124
	v_add_f32_e32 v97, v97, v106
	ds_read_b128 v[85:88], v80 offset:560
	ds_read_b128 v[93:96], v80 offset:576
	v_add_f32_e32 v99, v99, v130
	s_waitcnt vmcnt(23) lgkmcnt(3)
	v_mul_f32_e32 v100, v82, v116
	v_mul_f32_e32 v106, v81, v116
	v_add_f32_e32 v97, v97, v102
	s_waitcnt vmcnt(22)
	v_mul_f32_e32 v116, v83, v125
	v_mul_f32_e32 v102, v84, v125
	v_fma_f32 v122, v81, v123, -v100
	v_add_f32_e32 v81, v99, v131
	v_fmac_f32_e32 v106, v82, v123
	v_add_f32_e32 v123, v97, v98
	v_fmac_f32_e32 v116, v84, v118
	v_fma_f32 v118, v83, v118, -v102
	v_add_f32_e32 v124, v81, v101
	s_waitcnt vmcnt(21) lgkmcnt(2)
	v_mul_f32_e32 v125, v89, v115
	v_add_f32_e32 v123, v123, v133
	v_mul_f32_e32 v115, v90, v115
	ds_read_b128 v[97:100], v80 offset:592
	ds_read_b128 v[81:84], v80 offset:608
	v_add_f32_e32 v109, v124, v109
	v_add_f32_e32 v103, v123, v103
	s_waitcnt vmcnt(20)
	v_mul_f32_e32 v123, v92, v126
	v_fma_f32 v89, v89, v117, -v115
	v_mul_f32_e32 v124, v91, v126
	v_add_f32_e32 v105, v109, v105
	v_add_f32_e32 v103, v103, v108
	v_fmac_f32_e32 v125, v90, v117
	s_waitcnt vmcnt(19) lgkmcnt(3)
	v_mul_f32_e32 v109, v85, v127
	v_mul_f32_e32 v117, v86, v127
	v_add_f32_e32 v104, v105, v104
	v_add_f32_e32 v103, v103, v122
	s_waitcnt vmcnt(8)
	v_fma_f32 v91, v91, v139, -v123
	v_fmac_f32_e32 v124, v92, v139
	v_fmac_f32_e32 v109, v86, v135
	v_add_f32_e32 v104, v104, v106
	v_add_f32_e32 v103, v103, v118
	v_fma_f32 v85, v85, v135, -v117
	v_mul_f32_e32 v108, v87, v128
	s_waitcnt lgkmcnt(2)
	v_mul_f32_e32 v126, v93, v137
	v_add_f32_e32 v104, v104, v116
	v_add_f32_e32 v89, v103, v89
	v_mul_f32_e32 v103, v88, v128
	v_fmac_f32_e32 v108, v88, v129
	v_mul_f32_e32 v88, v96, v112
	v_add_f32_e32 v92, v104, v125
	v_add_f32_e32 v86, v89, v91
	v_mul_f32_e32 v91, v94, v137
	v_fma_f32 v87, v87, v129, -v103
	v_mul_f32_e32 v105, v95, v112
	v_add_f32_e32 v89, v92, v124
	v_add_f32_e32 v85, v86, v85
	v_fmac_f32_e32 v126, v94, v121
	ds_read_b64 v[101:102], v80 offset:624
	s_waitcnt vmcnt(3)
	v_fma_f32 v88, v95, v141, -v88
	v_add_f32_e32 v86, v89, v109
	v_fma_f32 v89, v93, v121, -v91
	v_add_f32_e32 v85, v85, v87
	s_waitcnt lgkmcnt(2)
	v_mul_f32_e32 v87, v98, v113
	v_mul_f32_e32 v122, v97, v113
	v_add_f32_e32 v86, v86, v108
	v_fmac_f32_e32 v105, v96, v141
	v_add_f32_e32 v85, v85, v89
	v_mul_f32_e32 v89, v100, v119
	v_fma_f32 v87, v97, v136, -v87
	v_add_f32_e32 v86, v86, v126
	v_mul_f32_e32 v90, v99, v119
	v_add_f32_e32 v85, v85, v88
	v_fmac_f32_e32 v122, v98, v136
	s_waitcnt lgkmcnt(1)
	v_mul_f32_e32 v106, v81, v120
	v_add_f32_e32 v86, v86, v105
	v_mul_f32_e32 v88, v82, v120
	v_fma_f32 v89, v99, v134, -v89
	v_add_f32_e32 v85, v85, v87
	v_fmac_f32_e32 v90, v100, v134
	v_add_f32_e32 v86, v86, v122
	v_mul_f32_e32 v87, v84, v114
	v_fmac_f32_e32 v106, v82, v111
	v_fma_f32 v81, v81, v111, -v88
	v_add_f32_e32 v82, v85, v89
	v_mul_f32_e32 v115, v83, v114
	v_add_f32_e32 v85, v86, v90
	s_waitcnt lgkmcnt(0)
	v_mul_f32_e32 v86, v102, v140
	s_waitcnt vmcnt(1)
	v_fma_f32 v83, v83, v110, -v87
	v_add_f32_e32 v81, v82, v81
	v_mul_f32_e32 v116, v101, v140
	v_fmac_f32_e32 v115, v84, v110
	v_add_f32_e32 v82, v85, v106
	v_fma_f32 v84, v101, v107, -v86
	v_add_f32_e32 v81, v81, v83
	v_fmac_f32_e32 v116, v102, v107
	v_add_f32_e32 v82, v82, v115
	v_add_f32_e32 v81, v81, v84
	;; [unrolled: 1-line block ×3, first 2 shown]
	s_waitcnt vmcnt(0)
	v_sub_f32_e32 v81, v142, v81
	v_sub_f32_e32 v82, v138, v82
	buffer_store_dword v81, off, s[0:3], 0 offset:8
	buffer_store_dword v82, off, s[0:3], 0 offset:12
	v_cmpx_ne_u32_e32 0, v0
	s_cbranch_execz .LBB102_247
; %bb.246:
	s_clause 0x1
	buffer_load_dword v81, off, s[0:3], 0
	buffer_load_dword v82, off, s[0:3], 0 offset:4
	buffer_store_dword v80, off, s[0:3], 0
	buffer_store_dword v80, off, s[0:3], 0 offset:4
	s_waitcnt vmcnt(0)
	ds_write_b64 v79, v[81:82]
.LBB102_247:
	s_or_b32 exec_lo, exec_lo, s4
	s_waitcnt lgkmcnt(0)
	s_waitcnt_vscnt null, 0x0
	s_barrier
	buffer_gl0_inv
	s_clause 0x2b
	buffer_load_dword v116, off, s[0:3], 0 offset:12
	buffer_load_dword v117, off, s[0:3], 0 offset:20
	;; [unrolled: 1-line block ×44, first 2 shown]
	ds_read2_b64 v[118:121], v80 offset0:41 offset1:42
	ds_read2_b64 v[122:125], v80 offset0:43 offset1:44
	ds_read2_b64 v[126:129], v80 offset0:45 offset1:46
	buffer_load_dword v137, off, s[0:3], 0 offset:4
	s_and_b32 vcc_lo, exec_lo, s16
	s_waitcnt vmcnt(44) lgkmcnt(2)
	v_mul_f32_e32 v135, v118, v116
	v_mul_f32_e32 v116, v119, v116
	s_waitcnt vmcnt(43)
	v_mul_f32_e32 v136, v120, v117
	v_mul_f32_e32 v117, v121, v117
	s_waitcnt vmcnt(40)
	v_fmac_f32_e32 v135, v119, v86
	v_fma_f32 v138, v118, v86, -v116
	s_waitcnt vmcnt(39) lgkmcnt(1)
	v_mul_f32_e32 v140, v122, v82
	v_fma_f32 v139, v120, v84, -v117
	ds_read2_b64 v[116:119], v80 offset0:47 offset1:48
	v_mul_f32_e32 v82, v123, v82
	s_waitcnt vmcnt(38)
	v_mul_f32_e32 v141, v124, v83
	v_mul_f32_e32 v83, v125, v83
	v_fmac_f32_e32 v136, v121, v84
	v_fmac_f32_e32 v140, v123, v0
	v_fma_f32 v0, v122, v0, -v82
	ds_read2_b64 v[120:123], v80 offset0:49 offset1:50
	s_waitcnt vmcnt(34)
	v_fma_f32 v124, v124, v90, -v83
	s_waitcnt vmcnt(33) lgkmcnt(2)
	v_mul_f32_e32 v82, v127, v89
	s_waitcnt vmcnt(32)
	v_mul_f32_e32 v142, v128, v88
	v_mul_f32_e32 v83, v129, v88
	v_fmac_f32_e32 v141, v125, v90
	v_mul_f32_e32 v125, v126, v89
	v_fma_f32 v126, v126, v85, -v82
	v_fmac_f32_e32 v142, v129, v81
	v_fma_f32 v128, v128, v81, -v83
	ds_read2_b64 v[81:84], v80 offset0:51 offset1:52
	v_fmac_f32_e32 v125, v127, v85
	s_waitcnt vmcnt(31) lgkmcnt(2)
	v_mul_f32_e32 v127, v116, v87
	v_mul_f32_e32 v85, v117, v87
	s_waitcnt vmcnt(30)
	v_mul_f32_e32 v129, v118, v91
	v_mul_f32_e32 v86, v119, v91
	v_fmac_f32_e32 v127, v117, v79
	v_fma_f32 v79, v116, v79, -v85
	s_waitcnt vmcnt(29) lgkmcnt(1)
	v_mul_f32_e32 v116, v120, v92
	v_mul_f32_e32 v89, v121, v92
	s_waitcnt vmcnt(25)
	v_fmac_f32_e32 v129, v119, v98
	v_fma_f32 v98, v118, v98, -v86
	s_waitcnt vmcnt(24)
	v_mul_f32_e32 v117, v122, v97
	v_mul_f32_e32 v90, v123, v97
	ds_read2_b64 v[85:88], v80 offset0:53 offset1:54
	v_fmac_f32_e32 v116, v121, v96
	v_fma_f32 v96, v120, v96, -v89
	v_fmac_f32_e32 v117, v123, v94
	v_fma_f32 v94, v122, v94, -v90
	ds_read2_b64 v[89:92], v80 offset0:55 offset1:56
	s_waitcnt vmcnt(23) lgkmcnt(2)
	v_mul_f32_e32 v97, v81, v95
	v_mul_f32_e32 v95, v82, v95
	s_waitcnt vmcnt(22)
	v_mul_f32_e32 v118, v83, v99
	v_mul_f32_e32 v99, v84, v99
	v_fmac_f32_e32 v97, v82, v93
	v_fma_f32 v93, v81, v93, -v95
	s_waitcnt vmcnt(18)
	v_fmac_f32_e32 v118, v84, v109
	v_fma_f32 v95, v83, v109, -v99
	s_clause 0x2
	buffer_load_dword v99, off, s[0:3], 0 offset:180
	buffer_load_dword v109, off, s[0:3], 0 offset:188
	;; [unrolled: 1-line block ×3, first 2 shown]
	s_waitcnt vmcnt(20) lgkmcnt(1)
	v_mul_f32_e32 v120, v85, v107
	v_mul_f32_e32 v81, v86, v107
	s_waitcnt vmcnt(19)
	v_mul_f32_e32 v107, v87, v106
	v_mul_f32_e32 v82, v88, v106
	s_waitcnt vmcnt(18) lgkmcnt(0)
	v_mul_f32_e32 v106, v89, v104
	v_fmac_f32_e32 v120, v86, v103
	v_fma_f32 v103, v85, v103, -v81
	s_waitcnt vmcnt(17)
	v_mul_f32_e32 v85, v92, v110
	v_fmac_f32_e32 v107, v88, v101
	v_fma_f32 v101, v87, v101, -v82
	ds_read2_b64 v[81:84], v80 offset0:57 offset1:58
	v_mul_f32_e32 v104, v90, v104
	v_mul_f32_e32 v121, v91, v110
	v_fmac_f32_e32 v106, v90, v100
	s_waitcnt vmcnt(13)
	v_fma_f32 v90, v91, v115, -v85
	v_add_f32_e32 v85, 0, v135
	v_fma_f32 v89, v89, v100, -v104
	v_fmac_f32_e32 v121, v92, v115
	s_clause 0x3
	buffer_load_dword v110, off, s[0:3], 0 offset:216
	buffer_load_dword v100, off, s[0:3], 0 offset:208
	;; [unrolled: 1-line block ×4, first 2 shown]
	v_add_f32_e32 v86, 0, v138
	v_add_f32_e32 v85, v85, v136
	s_clause 0x2
	buffer_load_dword v122, off, s[0:3], 0 offset:204
	buffer_load_dword v123, off, s[0:3], 0 offset:212
	;; [unrolled: 1-line block ×3, first 2 shown]
	v_add_f32_e32 v86, v86, v139
	v_add_f32_e32 v91, v85, v140
	;; [unrolled: 1-line block ×4, first 2 shown]
	s_waitcnt vmcnt(19) lgkmcnt(0)
	v_mul_f32_e32 v92, v81, v114
	ds_read2_b64 v[85:88], v80 offset0:59 offset1:60
	v_mul_f32_e32 v114, v82, v114
	v_add_f32_e32 v0, v0, v124
	s_waitcnt vmcnt(18)
	v_mul_f32_e32 v124, v83, v113
	v_mul_f32_e32 v113, v84, v113
	v_fmac_f32_e32 v92, v82, v112
	v_add_f32_e32 v82, v91, v125
	v_fma_f32 v91, v81, v112, -v114
	v_fmac_f32_e32 v124, v84, v111
	v_fma_f32 v111, v83, v111, -v113
	v_add_f32_e32 v0, v0, v126
	v_add_f32_e32 v81, v82, v142
	s_clause 0x7
	buffer_load_dword v112, off, s[0:3], 0 offset:228
	buffer_load_dword v113, off, s[0:3], 0 offset:236
	;; [unrolled: 1-line block ×8, first 2 shown]
	v_add_f32_e32 v0, v0, v128
	v_add_f32_e32 v81, v81, v127
	buffer_load_dword v127, off, s[0:3], 0 offset:260
	v_add_f32_e32 v0, v0, v79
	v_add_f32_e32 v79, v81, v129
	s_waitcnt vmcnt(26) lgkmcnt(0)
	v_mul_f32_e32 v128, v85, v108
	v_mul_f32_e32 v82, v86, v108
	s_waitcnt vmcnt(25)
	v_mul_f32_e32 v81, v88, v105
	v_add_f32_e32 v0, v0, v98
	v_add_f32_e32 v79, v79, v116
	v_mul_f32_e32 v98, v87, v105
	s_clause 0x2
	buffer_load_dword v108, off, s[0:3], 0 offset:268
	buffer_load_dword v129, off, s[0:3], 0 offset:276
	buffer_load_dword v140, off, s[0:3], 0 offset:284
	v_fmac_f32_e32 v128, v86, v102
	v_fma_f32 v102, v85, v102, -v82
	s_clause 0x2
	buffer_load_dword v141, off, s[0:3], 0 offset:292
	buffer_load_dword v142, off, s[0:3], 0 offset:300
	;; [unrolled: 1-line block ×3, first 2 shown]
	s_waitcnt vmcnt(27)
	v_fmac_f32_e32 v98, v88, v133
	v_fma_f32 v116, v87, v133, -v81
	ds_read2_b64 v[81:84], v80 offset0:61 offset1:62
	v_add_f32_e32 v79, v79, v117
	s_clause 0x3
	buffer_load_dword v117, off, s[0:3], 0 offset:280
	buffer_load_dword v133, off, s[0:3], 0 offset:272
	;; [unrolled: 1-line block ×4, first 2 shown]
	ds_read2_b64 v[85:88], v80 offset0:63 offset1:64
	v_add_f32_e32 v0, v0, v96
	v_add_f32_e32 v79, v79, v97
	;; [unrolled: 1-line block ×7, first 2 shown]
	s_waitcnt vmcnt(30) lgkmcnt(1)
	v_mul_f32_e32 v93, v82, v134
	v_add_f32_e32 v79, v79, v107
	s_clause 0x2
	buffer_load_dword v107, off, s[0:3], 0 offset:304
	buffer_load_dword v118, off, s[0:3], 0 offset:296
	;; [unrolled: 1-line block ×3, first 2 shown]
	v_mul_f32_e32 v97, v81, v134
	v_add_f32_e32 v0, v0, v103
	v_fma_f32 v103, v81, v132, -v93
	v_add_f32_e32 v79, v79, v106
	buffer_load_dword v106, off, s[0:3], 0
	v_fmac_f32_e32 v97, v82, v132
	v_add_f32_e32 v0, v0, v101
	v_add_f32_e32 v79, v79, v121
	;; [unrolled: 1-line block ×7, first 2 shown]
	ds_read2_b64 v[89:92], v80 offset0:67 offset1:68
	v_add_f32_e32 v79, v79, v128
	v_add_f32_e32 v0, v0, v111
	;; [unrolled: 1-line block ×7, first 2 shown]
	s_waitcnt vmcnt(32)
	v_mul_f32_e32 v101, v83, v99
	v_mul_f32_e32 v81, v84, v99
	s_waitcnt vmcnt(31) lgkmcnt(1)
	v_mul_f32_e32 v93, v86, v109
	s_waitcnt vmcnt(30)
	v_mul_f32_e32 v94, v88, v119
	v_fmac_f32_e32 v101, v84, v131
	v_fma_f32 v121, v83, v131, -v81
	ds_read2_b64 v[81:84], v80 offset0:65 offset1:66
	v_mul_f32_e32 v131, v85, v109
	v_mul_f32_e32 v109, v87, v119
	v_fma_f32 v119, v85, v130, -v93
	v_add_f32_e32 v0, v0, v121
	v_add_f32_e32 v79, v79, v101
	v_fmac_f32_e32 v131, v86, v130
	v_add_f32_e32 v0, v0, v119
	v_add_f32_e32 v79, v79, v131
	s_waitcnt vmcnt(26)
	v_fma_f32 v111, v87, v115, -v94
	v_fmac_f32_e32 v109, v88, v115
	ds_read2_b64 v[85:88], v80 offset0:69 offset1:70
	ds_read2_b64 v[93:96], v80 offset0:71 offset1:72
	s_waitcnt vmcnt(25) lgkmcnt(2)
	v_mul_f32_e32 v98, v82, v122
	v_mul_f32_e32 v115, v81, v122
	s_waitcnt vmcnt(24)
	v_mul_f32_e32 v99, v84, v123
	v_add_f32_e32 v0, v0, v111
	v_mul_f32_e32 v124, v83, v123
	v_fma_f32 v116, v81, v104, -v98
	v_fmac_f32_e32 v115, v82, v104
	v_add_f32_e32 v79, v79, v109
	v_fma_f32 v122, v83, v100, -v99
	s_waitcnt vmcnt(23)
	v_mul_f32_e32 v121, v90, v135
	v_add_f32_e32 v0, v0, v116
	v_fmac_f32_e32 v124, v84, v100
	ds_read2_b64 v[81:84], v80 offset0:73 offset1:74
	ds_read2_b64 v[97:100], v80 offset0:75 offset1:76
	;; [unrolled: 1-line block ×3, first 2 shown]
	v_mul_f32_e32 v80, v89, v135
	v_add_f32_e32 v79, v79, v115
	s_waitcnt vmcnt(22)
	v_mul_f32_e32 v119, v91, v112
	v_mul_f32_e32 v112, v92, v112
	v_fma_f32 v89, v89, v110, -v121
	v_add_f32_e32 v0, v0, v122
	v_fmac_f32_e32 v80, v90, v110
	v_add_f32_e32 v79, v79, v124
	s_waitcnt vmcnt(21) lgkmcnt(4)
	v_mul_f32_e32 v109, v85, v113
	v_mul_f32_e32 v113, v86, v113
	s_waitcnt vmcnt(15)
	v_fma_f32 v91, v91, v139, -v112
	v_add_f32_e32 v0, v0, v89
	v_fmac_f32_e32 v119, v92, v139
	v_add_f32_e32 v79, v79, v80
	v_mul_f32_e32 v90, v87, v114
	v_mul_f32_e32 v114, v88, v114
	v_fma_f32 v85, v85, v138, -v113
	v_add_f32_e32 v0, v0, v91
	v_fmac_f32_e32 v109, v86, v138
	v_add_f32_e32 v79, v79, v119
	s_waitcnt lgkmcnt(3)
	v_mul_f32_e32 v86, v94, v125
	v_fma_f32 v87, v87, v136, -v114
	v_add_f32_e32 v0, v0, v85
	v_mul_f32_e32 v110, v93, v125
	v_fmac_f32_e32 v90, v88, v136
	v_add_f32_e32 v79, v79, v109
	s_waitcnt vmcnt(14)
	v_mul_f32_e32 v85, v96, v127
	v_fma_f32 v86, v93, v126, -v86
	v_add_f32_e32 v0, v0, v87
	v_mul_f32_e32 v111, v95, v127
	v_fmac_f32_e32 v110, v94, v126
	v_add_f32_e32 v79, v79, v90
	s_waitcnt vmcnt(13) lgkmcnt(2)
	v_mul_f32_e32 v87, v82, v108
	v_add_f32_e32 v0, v0, v86
	s_waitcnt vmcnt(4)
	v_fma_f32 v85, v95, v144, -v85
	v_mul_f32_e32 v115, v81, v108
	v_fmac_f32_e32 v111, v96, v144
	v_add_f32_e32 v79, v79, v110
	v_mul_f32_e32 v86, v84, v129
	v_fma_f32 v81, v81, v143, -v87
	v_add_f32_e32 v0, v0, v85
	v_mul_f32_e32 v92, v83, v129
	v_fmac_f32_e32 v115, v82, v143
	v_add_f32_e32 v79, v79, v111
	s_waitcnt lgkmcnt(1)
	v_mul_f32_e32 v82, v98, v140
	v_fma_f32 v83, v83, v133, -v86
	v_add_f32_e32 v0, v0, v81
	v_mul_f32_e32 v112, v97, v140
	v_fmac_f32_e32 v92, v84, v133
	v_add_f32_e32 v79, v79, v115
	v_mul_f32_e32 v81, v100, v141
	v_fma_f32 v82, v97, v117, -v82
	v_add_f32_e32 v0, v0, v83
	v_mul_f32_e32 v116, v99, v141
	v_fmac_f32_e32 v112, v98, v117
	v_add_f32_e32 v79, v79, v92
	s_waitcnt lgkmcnt(0)
	v_mul_f32_e32 v83, v102, v142
	s_waitcnt vmcnt(1)
	v_fma_f32 v81, v99, v120, -v81
	v_add_f32_e32 v0, v0, v82
	v_mul_f32_e32 v121, v101, v142
	v_fmac_f32_e32 v116, v100, v120
	v_add_f32_e32 v79, v79, v112
	v_mul_f32_e32 v82, v104, v105
	v_fma_f32 v83, v101, v118, -v83
	v_add_f32_e32 v0, v0, v81
	v_mul_f32_e32 v80, v103, v105
	v_fmac_f32_e32 v121, v102, v118
	v_add_f32_e32 v79, v79, v116
	v_fma_f32 v81, v103, v107, -v82
	v_add_f32_e32 v0, v0, v83
	v_fmac_f32_e32 v80, v104, v107
	v_add_f32_e32 v79, v79, v121
	v_add_f32_e32 v0, v0, v81
	;; [unrolled: 1-line block ×3, first 2 shown]
	s_waitcnt vmcnt(0)
	v_sub_f32_e32 v0, v106, v0
	v_sub_f32_e32 v79, v137, v79
	buffer_store_dword v0, off, s[0:3], 0
	buffer_store_dword v79, off, s[0:3], 0 offset:4
	s_cbranch_vccz .LBB102_324
; %bb.248:
	v_mov_b32_e32 v0, 0
	global_load_dword v79, v0, s[12:13] offset:148
	s_waitcnt vmcnt(0)
	v_add_nc_u32_e32 v79, -1, v79
	v_cmp_ne_u32_e32 vcc_lo, 37, v79
	s_cbranch_vccz .LBB102_250
; %bb.249:
	v_lshlrev_b32_e32 v79, 3, v79
	s_clause 0x3
	buffer_load_dword v80, v79, s[0:3], 0 offen
	buffer_load_dword v81, v79, s[0:3], 0 offen offset:4
	buffer_load_dword v82, off, s[0:3], 0 offset:296
	buffer_load_dword v83, off, s[0:3], 0 offset:300
	s_waitcnt vmcnt(3)
	buffer_store_dword v80, off, s[0:3], 0 offset:296
	s_waitcnt vmcnt(2)
	buffer_store_dword v81, off, s[0:3], 0 offset:300
	s_waitcnt vmcnt(1)
	buffer_store_dword v82, v79, s[0:3], 0 offen
	s_waitcnt vmcnt(0)
	buffer_store_dword v83, v79, s[0:3], 0 offen offset:4
.LBB102_250:
	global_load_dword v0, v0, s[12:13] offset:144
	s_waitcnt vmcnt(0)
	v_add_nc_u32_e32 v0, -1, v0
	v_cmp_eq_u32_e32 vcc_lo, 36, v0
	s_cbranch_vccnz .LBB102_252
; %bb.251:
	v_lshlrev_b32_e32 v0, 3, v0
	s_clause 0x3
	buffer_load_dword v79, v0, s[0:3], 0 offen
	buffer_load_dword v80, v0, s[0:3], 0 offen offset:4
	buffer_load_dword v81, off, s[0:3], 0 offset:292
	buffer_load_dword v82, off, s[0:3], 0 offset:288
	s_waitcnt vmcnt(3)
	buffer_store_dword v79, off, s[0:3], 0 offset:288
	s_waitcnt vmcnt(2)
	buffer_store_dword v80, off, s[0:3], 0 offset:292
	s_waitcnt vmcnt(1)
	buffer_store_dword v81, v0, s[0:3], 0 offen offset:4
	s_waitcnt vmcnt(0)
	buffer_store_dword v82, v0, s[0:3], 0 offen
.LBB102_252:
	v_mov_b32_e32 v0, 0
	global_load_dword v79, v0, s[12:13] offset:140
	s_waitcnt vmcnt(0)
	v_add_nc_u32_e32 v79, -1, v79
	v_cmp_eq_u32_e32 vcc_lo, 35, v79
	s_cbranch_vccnz .LBB102_254
; %bb.253:
	v_lshlrev_b32_e32 v79, 3, v79
	s_clause 0x3
	buffer_load_dword v80, v79, s[0:3], 0 offen
	buffer_load_dword v81, v79, s[0:3], 0 offen offset:4
	buffer_load_dword v82, off, s[0:3], 0 offset:280
	buffer_load_dword v83, off, s[0:3], 0 offset:284
	s_waitcnt vmcnt(3)
	buffer_store_dword v80, off, s[0:3], 0 offset:280
	s_waitcnt vmcnt(2)
	buffer_store_dword v81, off, s[0:3], 0 offset:284
	s_waitcnt vmcnt(1)
	buffer_store_dword v82, v79, s[0:3], 0 offen
	s_waitcnt vmcnt(0)
	buffer_store_dword v83, v79, s[0:3], 0 offen offset:4
.LBB102_254:
	global_load_dword v0, v0, s[12:13] offset:136
	s_waitcnt vmcnt(0)
	v_add_nc_u32_e32 v0, -1, v0
	v_cmp_eq_u32_e32 vcc_lo, 34, v0
	s_cbranch_vccnz .LBB102_256
; %bb.255:
	v_lshlrev_b32_e32 v0, 3, v0
	s_clause 0x3
	buffer_load_dword v79, v0, s[0:3], 0 offen
	buffer_load_dword v80, v0, s[0:3], 0 offen offset:4
	buffer_load_dword v81, off, s[0:3], 0 offset:276
	buffer_load_dword v82, off, s[0:3], 0 offset:272
	s_waitcnt vmcnt(3)
	buffer_store_dword v79, off, s[0:3], 0 offset:272
	s_waitcnt vmcnt(2)
	buffer_store_dword v80, off, s[0:3], 0 offset:276
	s_waitcnt vmcnt(1)
	buffer_store_dword v81, v0, s[0:3], 0 offen offset:4
	s_waitcnt vmcnt(0)
	buffer_store_dword v82, v0, s[0:3], 0 offen
.LBB102_256:
	v_mov_b32_e32 v0, 0
	global_load_dword v79, v0, s[12:13] offset:132
	s_waitcnt vmcnt(0)
	v_add_nc_u32_e32 v79, -1, v79
	v_cmp_eq_u32_e32 vcc_lo, 33, v79
	s_cbranch_vccnz .LBB102_258
; %bb.257:
	v_lshlrev_b32_e32 v79, 3, v79
	s_clause 0x3
	buffer_load_dword v80, v79, s[0:3], 0 offen
	buffer_load_dword v81, v79, s[0:3], 0 offen offset:4
	buffer_load_dword v82, off, s[0:3], 0 offset:264
	buffer_load_dword v83, off, s[0:3], 0 offset:268
	s_waitcnt vmcnt(3)
	buffer_store_dword v80, off, s[0:3], 0 offset:264
	s_waitcnt vmcnt(2)
	buffer_store_dword v81, off, s[0:3], 0 offset:268
	s_waitcnt vmcnt(1)
	buffer_store_dword v82, v79, s[0:3], 0 offen
	s_waitcnt vmcnt(0)
	buffer_store_dword v83, v79, s[0:3], 0 offen offset:4
.LBB102_258:
	;; [unrolled: 43-line block ×18, first 2 shown]
	global_load_dword v0, v0, s[12:13]
	s_waitcnt vmcnt(0)
	v_add_nc_u32_e32 v0, -1, v0
	v_cmp_eq_u32_e32 vcc_lo, 0, v0
	s_cbranch_vccnz .LBB102_324
; %bb.323:
	v_lshlrev_b32_e32 v0, 3, v0
	s_clause 0x3
	buffer_load_dword v79, v0, s[0:3], 0 offen
	buffer_load_dword v80, v0, s[0:3], 0 offen offset:4
	buffer_load_dword v81, off, s[0:3], 0 offset:4
	buffer_load_dword v82, off, s[0:3], 0
	s_waitcnt vmcnt(3)
	buffer_store_dword v79, off, s[0:3], 0
	s_waitcnt vmcnt(2)
	buffer_store_dword v80, off, s[0:3], 0 offset:4
	s_waitcnt vmcnt(1)
	buffer_store_dword v81, v0, s[0:3], 0 offen offset:4
	s_waitcnt vmcnt(0)
	buffer_store_dword v82, v0, s[0:3], 0 offen
.LBB102_324:
	s_clause 0x1
	buffer_load_dword v79, off, s[0:3], 0
	buffer_load_dword v80, off, s[0:3], 0 offset:4
	s_waitcnt vmcnt(0)
	flat_store_dwordx2 v[1:2], v[79:80]
	s_clause 0x1
	buffer_load_dword v0, off, s[0:3], 0 offset:8
	buffer_load_dword v1, off, s[0:3], 0 offset:12
	s_waitcnt vmcnt(0)
	flat_store_dwordx2 v[3:4], v[0:1]
	s_clause 0x1
	buffer_load_dword v0, off, s[0:3], 0 offset:16
	;; [unrolled: 5-line block ×38, first 2 shown]
	buffer_load_dword v1, off, s[0:3], 0 offset:308
	s_waitcnt vmcnt(0)
	flat_store_dwordx2 v[77:78], v[0:1]
	s_endpgm
	.section	.rodata,"a",@progbits
	.p2align	6, 0x0
	.amdhsa_kernel _ZN9rocsolver6v33100L18getri_kernel_smallILi39E19rocblas_complex_numIfEPKPS3_EEvT1_iilPiilS8_bb
		.amdhsa_group_segment_fixed_size 632
		.amdhsa_private_segment_fixed_size 320
		.amdhsa_kernarg_size 60
		.amdhsa_user_sgpr_count 6
		.amdhsa_user_sgpr_private_segment_buffer 1
		.amdhsa_user_sgpr_dispatch_ptr 0
		.amdhsa_user_sgpr_queue_ptr 0
		.amdhsa_user_sgpr_kernarg_segment_ptr 1
		.amdhsa_user_sgpr_dispatch_id 0
		.amdhsa_user_sgpr_flat_scratch_init 0
		.amdhsa_user_sgpr_private_segment_size 0
		.amdhsa_wavefront_size32 1
		.amdhsa_uses_dynamic_stack 0
		.amdhsa_system_sgpr_private_segment_wavefront_offset 1
		.amdhsa_system_sgpr_workgroup_id_x 1
		.amdhsa_system_sgpr_workgroup_id_y 0
		.amdhsa_system_sgpr_workgroup_id_z 0
		.amdhsa_system_sgpr_workgroup_info 0
		.amdhsa_system_vgpr_workitem_id 0
		.amdhsa_next_free_vgpr 252
		.amdhsa_next_free_sgpr 20
		.amdhsa_reserve_vcc 1
		.amdhsa_reserve_flat_scratch 0
		.amdhsa_float_round_mode_32 0
		.amdhsa_float_round_mode_16_64 0
		.amdhsa_float_denorm_mode_32 3
		.amdhsa_float_denorm_mode_16_64 3
		.amdhsa_dx10_clamp 1
		.amdhsa_ieee_mode 1
		.amdhsa_fp16_overflow 0
		.amdhsa_workgroup_processor_mode 1
		.amdhsa_memory_ordered 1
		.amdhsa_forward_progress 1
		.amdhsa_shared_vgpr_count 0
		.amdhsa_exception_fp_ieee_invalid_op 0
		.amdhsa_exception_fp_denorm_src 0
		.amdhsa_exception_fp_ieee_div_zero 0
		.amdhsa_exception_fp_ieee_overflow 0
		.amdhsa_exception_fp_ieee_underflow 0
		.amdhsa_exception_fp_ieee_inexact 0
		.amdhsa_exception_int_div_zero 0
	.end_amdhsa_kernel
	.section	.text._ZN9rocsolver6v33100L18getri_kernel_smallILi39E19rocblas_complex_numIfEPKPS3_EEvT1_iilPiilS8_bb,"axG",@progbits,_ZN9rocsolver6v33100L18getri_kernel_smallILi39E19rocblas_complex_numIfEPKPS3_EEvT1_iilPiilS8_bb,comdat
.Lfunc_end102:
	.size	_ZN9rocsolver6v33100L18getri_kernel_smallILi39E19rocblas_complex_numIfEPKPS3_EEvT1_iilPiilS8_bb, .Lfunc_end102-_ZN9rocsolver6v33100L18getri_kernel_smallILi39E19rocblas_complex_numIfEPKPS3_EEvT1_iilPiilS8_bb
                                        ; -- End function
	.set _ZN9rocsolver6v33100L18getri_kernel_smallILi39E19rocblas_complex_numIfEPKPS3_EEvT1_iilPiilS8_bb.num_vgpr, 252
	.set _ZN9rocsolver6v33100L18getri_kernel_smallILi39E19rocblas_complex_numIfEPKPS3_EEvT1_iilPiilS8_bb.num_agpr, 0
	.set _ZN9rocsolver6v33100L18getri_kernel_smallILi39E19rocblas_complex_numIfEPKPS3_EEvT1_iilPiilS8_bb.numbered_sgpr, 20
	.set _ZN9rocsolver6v33100L18getri_kernel_smallILi39E19rocblas_complex_numIfEPKPS3_EEvT1_iilPiilS8_bb.num_named_barrier, 0
	.set _ZN9rocsolver6v33100L18getri_kernel_smallILi39E19rocblas_complex_numIfEPKPS3_EEvT1_iilPiilS8_bb.private_seg_size, 320
	.set _ZN9rocsolver6v33100L18getri_kernel_smallILi39E19rocblas_complex_numIfEPKPS3_EEvT1_iilPiilS8_bb.uses_vcc, 1
	.set _ZN9rocsolver6v33100L18getri_kernel_smallILi39E19rocblas_complex_numIfEPKPS3_EEvT1_iilPiilS8_bb.uses_flat_scratch, 0
	.set _ZN9rocsolver6v33100L18getri_kernel_smallILi39E19rocblas_complex_numIfEPKPS3_EEvT1_iilPiilS8_bb.has_dyn_sized_stack, 0
	.set _ZN9rocsolver6v33100L18getri_kernel_smallILi39E19rocblas_complex_numIfEPKPS3_EEvT1_iilPiilS8_bb.has_recursion, 0
	.set _ZN9rocsolver6v33100L18getri_kernel_smallILi39E19rocblas_complex_numIfEPKPS3_EEvT1_iilPiilS8_bb.has_indirect_call, 0
	.section	.AMDGPU.csdata,"",@progbits
; Kernel info:
; codeLenInByte = 64948
; TotalNumSgprs: 22
; NumVgprs: 252
; ScratchSize: 320
; MemoryBound: 0
; FloatMode: 240
; IeeeMode: 1
; LDSByteSize: 632 bytes/workgroup (compile time only)
; SGPRBlocks: 0
; VGPRBlocks: 31
; NumSGPRsForWavesPerEU: 22
; NumVGPRsForWavesPerEU: 252
; Occupancy: 4
; WaveLimiterHint : 1
; COMPUTE_PGM_RSRC2:SCRATCH_EN: 1
; COMPUTE_PGM_RSRC2:USER_SGPR: 6
; COMPUTE_PGM_RSRC2:TRAP_HANDLER: 0
; COMPUTE_PGM_RSRC2:TGID_X_EN: 1
; COMPUTE_PGM_RSRC2:TGID_Y_EN: 0
; COMPUTE_PGM_RSRC2:TGID_Z_EN: 0
; COMPUTE_PGM_RSRC2:TIDIG_COMP_CNT: 0
	.section	.text._ZN9rocsolver6v33100L18getri_kernel_smallILi40E19rocblas_complex_numIfEPKPS3_EEvT1_iilPiilS8_bb,"axG",@progbits,_ZN9rocsolver6v33100L18getri_kernel_smallILi40E19rocblas_complex_numIfEPKPS3_EEvT1_iilPiilS8_bb,comdat
	.globl	_ZN9rocsolver6v33100L18getri_kernel_smallILi40E19rocblas_complex_numIfEPKPS3_EEvT1_iilPiilS8_bb ; -- Begin function _ZN9rocsolver6v33100L18getri_kernel_smallILi40E19rocblas_complex_numIfEPKPS3_EEvT1_iilPiilS8_bb
	.p2align	8
	.type	_ZN9rocsolver6v33100L18getri_kernel_smallILi40E19rocblas_complex_numIfEPKPS3_EEvT1_iilPiilS8_bb,@function
_ZN9rocsolver6v33100L18getri_kernel_smallILi40E19rocblas_complex_numIfEPKPS3_EEvT1_iilPiilS8_bb: ; @_ZN9rocsolver6v33100L18getri_kernel_smallILi40E19rocblas_complex_numIfEPKPS3_EEvT1_iilPiilS8_bb
; %bb.0:
	s_add_u32 s0, s0, s7
	s_addc_u32 s1, s1, 0
	s_mov_b32 s7, exec_lo
	v_cmpx_gt_u32_e32 40, v0
	s_cbranch_execz .LBB103_174
; %bb.1:
	s_clause 0x2
	s_load_dword s17, s[4:5], 0x38
	s_load_dwordx2 s[12:13], s[4:5], 0x0
	s_load_dwordx4 s[8:11], s[4:5], 0x28
	s_waitcnt lgkmcnt(0)
	s_bitcmp1_b32 s17, 8
	s_cselect_b32 s16, -1, 0
	s_ashr_i32 s7, s6, 31
	s_lshl_b64 s[14:15], s[6:7], 3
	s_add_u32 s12, s12, s14
	s_addc_u32 s13, s13, s15
	s_load_dwordx2 s[14:15], s[12:13], 0x0
	s_bfe_u32 s12, s17, 0x10008
	s_cmp_eq_u32 s12, 0
                                        ; implicit-def: $sgpr12_sgpr13
	s_cbranch_scc1 .LBB103_3
; %bb.2:
	s_clause 0x1
	s_load_dword s12, s[4:5], 0x20
	s_load_dwordx2 s[18:19], s[4:5], 0x18
	s_mul_i32 s13, s8, s7
	s_mul_hi_u32 s17, s8, s6
	s_mul_i32 s9, s9, s6
	s_add_i32 s13, s17, s13
	s_mul_i32 s8, s8, s6
	s_add_i32 s9, s13, s9
	s_lshl_b64 s[8:9], s[8:9], 2
	s_waitcnt lgkmcnt(0)
	s_ashr_i32 s13, s12, 31
	s_add_u32 s17, s18, s8
	s_addc_u32 s18, s19, s9
	s_lshl_b64 s[8:9], s[12:13], 2
	s_add_u32 s12, s17, s8
	s_addc_u32 s13, s18, s9
.LBB103_3:
	s_clause 0x1
	s_load_dwordx2 s[8:9], s[4:5], 0x8
	s_load_dword s17, s[4:5], 0x38
	v_lshlrev_b32_e32 v83, 3, v0
	s_waitcnt lgkmcnt(0)
	s_ashr_i32 s5, s8, 31
	s_mov_b32 s4, s8
	v_add3_u32 v9, s9, s9, v0
	s_lshl_b64 s[4:5], s[4:5], 3
	s_add_u32 s4, s14, s4
	s_addc_u32 s5, s15, s5
	v_add_co_u32 v1, s8, s4, v83
	v_add_co_ci_u32_e64 v2, null, s5, 0, s8
	s_mov_b32 s14, s9
	s_ashr_i32 s15, s9, 31
	v_ashrrev_i32_e32 v10, 31, v9
	flat_load_dwordx2 v[5:6], v[1:2]
	s_lshl_b64 s[14:15], s[14:15], 3
	v_add_nc_u32_e32 v12, s9, v9
	v_add_co_u32 v3, vcc_lo, v1, s14
	v_add_co_ci_u32_e64 v4, null, s15, v2, vcc_lo
	v_ashrrev_i32_e32 v13, 31, v12
	s_bitcmp0_b32 s17, 0
	s_waitcnt vmcnt(0) lgkmcnt(0)
	buffer_store_dword v6, off, s[0:3], 0 offset:4
	buffer_store_dword v5, off, s[0:3], 0
	flat_load_dwordx2 v[7:8], v[3:4]
	v_lshlrev_b64 v[5:6], 3, v[9:10]
	s_waitcnt vmcnt(0) lgkmcnt(0)
	buffer_store_dword v8, off, s[0:3], 0 offset:12
	buffer_store_dword v7, off, s[0:3], 0 offset:8
	v_add_co_u32 v5, vcc_lo, s4, v5
	v_add_co_ci_u32_e64 v6, null, s5, v6, vcc_lo
	v_lshlrev_b64 v[7:8], 3, v[12:13]
	flat_load_dwordx2 v[10:11], v[5:6]
	s_waitcnt vmcnt(0) lgkmcnt(0)
	buffer_store_dword v11, off, s[0:3], 0 offset:20
	buffer_store_dword v10, off, s[0:3], 0 offset:16
	v_add_co_u32 v7, vcc_lo, s4, v7
	v_add_co_ci_u32_e64 v8, null, s5, v8, vcc_lo
	v_add_nc_u32_e32 v11, s9, v12
	flat_load_dwordx2 v[13:14], v[7:8]
	s_waitcnt vmcnt(0) lgkmcnt(0)
	buffer_store_dword v14, off, s[0:3], 0 offset:28
	buffer_store_dword v13, off, s[0:3], 0 offset:24
	v_ashrrev_i32_e32 v12, 31, v11
	v_add_nc_u32_e32 v15, s9, v11
	v_lshlrev_b64 v[9:10], 3, v[11:12]
	v_ashrrev_i32_e32 v16, 31, v15
	v_add_nc_u32_e32 v18, s9, v15
	v_add_co_u32 v9, vcc_lo, s4, v9
	v_add_co_ci_u32_e64 v10, null, s5, v10, vcc_lo
	v_lshlrev_b64 v[11:12], 3, v[15:16]
	v_ashrrev_i32_e32 v19, 31, v18
	flat_load_dwordx2 v[13:14], v[9:10]
	s_waitcnt vmcnt(0) lgkmcnt(0)
	buffer_store_dword v14, off, s[0:3], 0 offset:36
	buffer_store_dword v13, off, s[0:3], 0 offset:32
	v_add_co_u32 v11, vcc_lo, s4, v11
	v_add_co_ci_u32_e64 v12, null, s5, v12, vcc_lo
	v_lshlrev_b64 v[13:14], 3, v[18:19]
	flat_load_dwordx2 v[16:17], v[11:12]
	s_waitcnt vmcnt(0) lgkmcnt(0)
	buffer_store_dword v17, off, s[0:3], 0 offset:44
	buffer_store_dword v16, off, s[0:3], 0 offset:40
	v_add_co_u32 v13, vcc_lo, s4, v13
	v_add_co_ci_u32_e64 v14, null, s5, v14, vcc_lo
	v_add_nc_u32_e32 v17, s9, v18
	flat_load_dwordx2 v[19:20], v[13:14]
	s_waitcnt vmcnt(0) lgkmcnt(0)
	buffer_store_dword v20, off, s[0:3], 0 offset:52
	buffer_store_dword v19, off, s[0:3], 0 offset:48
	v_ashrrev_i32_e32 v18, 31, v17
	v_add_nc_u32_e32 v21, s9, v17
	v_lshlrev_b64 v[15:16], 3, v[17:18]
	v_ashrrev_i32_e32 v22, 31, v21
	v_add_nc_u32_e32 v24, s9, v21
	v_add_co_u32 v15, vcc_lo, s4, v15
	v_add_co_ci_u32_e64 v16, null, s5, v16, vcc_lo
	v_lshlrev_b64 v[17:18], 3, v[21:22]
	v_ashrrev_i32_e32 v25, 31, v24
	flat_load_dwordx2 v[19:20], v[15:16]
	s_waitcnt vmcnt(0) lgkmcnt(0)
	buffer_store_dword v20, off, s[0:3], 0 offset:60
	buffer_store_dword v19, off, s[0:3], 0 offset:56
	v_add_co_u32 v17, vcc_lo, s4, v17
	v_add_co_ci_u32_e64 v18, null, s5, v18, vcc_lo
	v_lshlrev_b64 v[19:20], 3, v[24:25]
	flat_load_dwordx2 v[22:23], v[17:18]
	s_waitcnt vmcnt(0) lgkmcnt(0)
	buffer_store_dword v23, off, s[0:3], 0 offset:68
	buffer_store_dword v22, off, s[0:3], 0 offset:64
	v_add_co_u32 v19, vcc_lo, s4, v19
	v_add_co_ci_u32_e64 v20, null, s5, v20, vcc_lo
	v_add_nc_u32_e32 v23, s9, v24
	flat_load_dwordx2 v[25:26], v[19:20]
	s_waitcnt vmcnt(0) lgkmcnt(0)
	buffer_store_dword v26, off, s[0:3], 0 offset:76
	buffer_store_dword v25, off, s[0:3], 0 offset:72
	v_ashrrev_i32_e32 v24, 31, v23
	v_add_nc_u32_e32 v27, s9, v23
	v_lshlrev_b64 v[21:22], 3, v[23:24]
	v_ashrrev_i32_e32 v28, 31, v27
	v_add_nc_u32_e32 v30, s9, v27
	v_add_co_u32 v21, vcc_lo, s4, v21
	v_add_co_ci_u32_e64 v22, null, s5, v22, vcc_lo
	v_lshlrev_b64 v[23:24], 3, v[27:28]
	v_ashrrev_i32_e32 v31, 31, v30
	flat_load_dwordx2 v[25:26], v[21:22]
	s_waitcnt vmcnt(0) lgkmcnt(0)
	buffer_store_dword v26, off, s[0:3], 0 offset:84
	buffer_store_dword v25, off, s[0:3], 0 offset:80
	v_add_co_u32 v23, vcc_lo, s4, v23
	v_add_co_ci_u32_e64 v24, null, s5, v24, vcc_lo
	v_lshlrev_b64 v[25:26], 3, v[30:31]
	flat_load_dwordx2 v[28:29], v[23:24]
	s_waitcnt vmcnt(0) lgkmcnt(0)
	buffer_store_dword v29, off, s[0:3], 0 offset:92
	buffer_store_dword v28, off, s[0:3], 0 offset:88
	v_add_co_u32 v25, vcc_lo, s4, v25
	v_add_co_ci_u32_e64 v26, null, s5, v26, vcc_lo
	v_add_nc_u32_e32 v29, s9, v30
	flat_load_dwordx2 v[31:32], v[25:26]
	s_waitcnt vmcnt(0) lgkmcnt(0)
	buffer_store_dword v32, off, s[0:3], 0 offset:100
	buffer_store_dword v31, off, s[0:3], 0 offset:96
	v_ashrrev_i32_e32 v30, 31, v29
	v_add_nc_u32_e32 v33, s9, v29
	v_lshlrev_b64 v[27:28], 3, v[29:30]
	v_ashrrev_i32_e32 v34, 31, v33
	v_add_nc_u32_e32 v36, s9, v33
	v_add_co_u32 v27, vcc_lo, s4, v27
	v_add_co_ci_u32_e64 v28, null, s5, v28, vcc_lo
	v_lshlrev_b64 v[29:30], 3, v[33:34]
	v_ashrrev_i32_e32 v37, 31, v36
	flat_load_dwordx2 v[31:32], v[27:28]
	s_waitcnt vmcnt(0) lgkmcnt(0)
	buffer_store_dword v32, off, s[0:3], 0 offset:108
	buffer_store_dword v31, off, s[0:3], 0 offset:104
	v_add_co_u32 v29, vcc_lo, s4, v29
	v_add_co_ci_u32_e64 v30, null, s5, v30, vcc_lo
	v_lshlrev_b64 v[31:32], 3, v[36:37]
	flat_load_dwordx2 v[34:35], v[29:30]
	s_waitcnt vmcnt(0) lgkmcnt(0)
	buffer_store_dword v35, off, s[0:3], 0 offset:116
	buffer_store_dword v34, off, s[0:3], 0 offset:112
	v_add_co_u32 v31, vcc_lo, s4, v31
	v_add_co_ci_u32_e64 v32, null, s5, v32, vcc_lo
	v_add_nc_u32_e32 v35, s9, v36
	flat_load_dwordx2 v[37:38], v[31:32]
	s_waitcnt vmcnt(0) lgkmcnt(0)
	buffer_store_dword v38, off, s[0:3], 0 offset:124
	buffer_store_dword v37, off, s[0:3], 0 offset:120
	v_ashrrev_i32_e32 v36, 31, v35
	v_add_nc_u32_e32 v39, s9, v35
	v_lshlrev_b64 v[33:34], 3, v[35:36]
	v_ashrrev_i32_e32 v40, 31, v39
	v_add_nc_u32_e32 v42, s9, v39
	v_add_co_u32 v33, vcc_lo, s4, v33
	v_add_co_ci_u32_e64 v34, null, s5, v34, vcc_lo
	v_lshlrev_b64 v[35:36], 3, v[39:40]
	v_ashrrev_i32_e32 v43, 31, v42
	flat_load_dwordx2 v[37:38], v[33:34]
	s_waitcnt vmcnt(0) lgkmcnt(0)
	buffer_store_dword v38, off, s[0:3], 0 offset:132
	buffer_store_dword v37, off, s[0:3], 0 offset:128
	v_add_co_u32 v35, vcc_lo, s4, v35
	v_add_co_ci_u32_e64 v36, null, s5, v36, vcc_lo
	v_lshlrev_b64 v[37:38], 3, v[42:43]
	flat_load_dwordx2 v[40:41], v[35:36]
	s_waitcnt vmcnt(0) lgkmcnt(0)
	buffer_store_dword v41, off, s[0:3], 0 offset:140
	buffer_store_dword v40, off, s[0:3], 0 offset:136
	v_add_co_u32 v37, vcc_lo, s4, v37
	v_add_co_ci_u32_e64 v38, null, s5, v38, vcc_lo
	v_add_nc_u32_e32 v41, s9, v42
	flat_load_dwordx2 v[43:44], v[37:38]
	s_waitcnt vmcnt(0) lgkmcnt(0)
	buffer_store_dword v44, off, s[0:3], 0 offset:148
	buffer_store_dword v43, off, s[0:3], 0 offset:144
	v_ashrrev_i32_e32 v42, 31, v41
	v_add_nc_u32_e32 v45, s9, v41
	v_lshlrev_b64 v[39:40], 3, v[41:42]
	v_ashrrev_i32_e32 v46, 31, v45
	v_add_nc_u32_e32 v48, s9, v45
	v_add_co_u32 v39, vcc_lo, s4, v39
	v_add_co_ci_u32_e64 v40, null, s5, v40, vcc_lo
	v_lshlrev_b64 v[41:42], 3, v[45:46]
	v_ashrrev_i32_e32 v49, 31, v48
	flat_load_dwordx2 v[43:44], v[39:40]
	s_waitcnt vmcnt(0) lgkmcnt(0)
	buffer_store_dword v44, off, s[0:3], 0 offset:156
	buffer_store_dword v43, off, s[0:3], 0 offset:152
	v_add_co_u32 v41, vcc_lo, s4, v41
	v_add_co_ci_u32_e64 v42, null, s5, v42, vcc_lo
	v_lshlrev_b64 v[43:44], 3, v[48:49]
	flat_load_dwordx2 v[46:47], v[41:42]
	s_waitcnt vmcnt(0) lgkmcnt(0)
	buffer_store_dword v47, off, s[0:3], 0 offset:164
	buffer_store_dword v46, off, s[0:3], 0 offset:160
	v_add_co_u32 v43, vcc_lo, s4, v43
	v_add_co_ci_u32_e64 v44, null, s5, v44, vcc_lo
	v_add_nc_u32_e32 v47, s9, v48
	flat_load_dwordx2 v[49:50], v[43:44]
	s_waitcnt vmcnt(0) lgkmcnt(0)
	buffer_store_dword v50, off, s[0:3], 0 offset:172
	buffer_store_dword v49, off, s[0:3], 0 offset:168
	v_ashrrev_i32_e32 v48, 31, v47
	v_add_nc_u32_e32 v51, s9, v47
	v_lshlrev_b64 v[45:46], 3, v[47:48]
	v_ashrrev_i32_e32 v52, 31, v51
	v_add_nc_u32_e32 v54, s9, v51
	v_add_co_u32 v45, vcc_lo, s4, v45
	v_add_co_ci_u32_e64 v46, null, s5, v46, vcc_lo
	v_lshlrev_b64 v[47:48], 3, v[51:52]
	v_ashrrev_i32_e32 v55, 31, v54
	flat_load_dwordx2 v[49:50], v[45:46]
	s_waitcnt vmcnt(0) lgkmcnt(0)
	buffer_store_dword v50, off, s[0:3], 0 offset:180
	buffer_store_dword v49, off, s[0:3], 0 offset:176
	v_add_co_u32 v47, vcc_lo, s4, v47
	v_add_co_ci_u32_e64 v48, null, s5, v48, vcc_lo
	v_lshlrev_b64 v[49:50], 3, v[54:55]
	flat_load_dwordx2 v[52:53], v[47:48]
	s_waitcnt vmcnt(0) lgkmcnt(0)
	buffer_store_dword v53, off, s[0:3], 0 offset:188
	buffer_store_dword v52, off, s[0:3], 0 offset:184
	v_add_co_u32 v49, vcc_lo, s4, v49
	v_add_co_ci_u32_e64 v50, null, s5, v50, vcc_lo
	v_add_nc_u32_e32 v53, s9, v54
	flat_load_dwordx2 v[55:56], v[49:50]
	s_waitcnt vmcnt(0) lgkmcnt(0)
	buffer_store_dword v56, off, s[0:3], 0 offset:196
	buffer_store_dword v55, off, s[0:3], 0 offset:192
	v_ashrrev_i32_e32 v54, 31, v53
	v_add_nc_u32_e32 v57, s9, v53
	v_lshlrev_b64 v[51:52], 3, v[53:54]
	v_ashrrev_i32_e32 v58, 31, v57
	v_add_nc_u32_e32 v60, s9, v57
	v_add_co_u32 v51, vcc_lo, s4, v51
	v_add_co_ci_u32_e64 v52, null, s5, v52, vcc_lo
	v_lshlrev_b64 v[53:54], 3, v[57:58]
	v_ashrrev_i32_e32 v61, 31, v60
	flat_load_dwordx2 v[55:56], v[51:52]
	s_waitcnt vmcnt(0) lgkmcnt(0)
	buffer_store_dword v56, off, s[0:3], 0 offset:204
	buffer_store_dword v55, off, s[0:3], 0 offset:200
	v_add_co_u32 v53, vcc_lo, s4, v53
	v_add_co_ci_u32_e64 v54, null, s5, v54, vcc_lo
	v_lshlrev_b64 v[55:56], 3, v[60:61]
	flat_load_dwordx2 v[58:59], v[53:54]
	s_waitcnt vmcnt(0) lgkmcnt(0)
	buffer_store_dword v59, off, s[0:3], 0 offset:212
	buffer_store_dword v58, off, s[0:3], 0 offset:208
	v_add_co_u32 v55, vcc_lo, s4, v55
	v_add_co_ci_u32_e64 v56, null, s5, v56, vcc_lo
	v_add_nc_u32_e32 v59, s9, v60
	flat_load_dwordx2 v[61:62], v[55:56]
	s_waitcnt vmcnt(0) lgkmcnt(0)
	buffer_store_dword v62, off, s[0:3], 0 offset:220
	buffer_store_dword v61, off, s[0:3], 0 offset:216
	v_ashrrev_i32_e32 v60, 31, v59
	v_add_nc_u32_e32 v63, s9, v59
	v_lshlrev_b64 v[57:58], 3, v[59:60]
	v_ashrrev_i32_e32 v64, 31, v63
	v_add_nc_u32_e32 v66, s9, v63
	v_add_co_u32 v57, vcc_lo, s4, v57
	v_add_co_ci_u32_e64 v58, null, s5, v58, vcc_lo
	v_lshlrev_b64 v[59:60], 3, v[63:64]
	v_ashrrev_i32_e32 v67, 31, v66
	flat_load_dwordx2 v[61:62], v[57:58]
	s_waitcnt vmcnt(0) lgkmcnt(0)
	buffer_store_dword v62, off, s[0:3], 0 offset:228
	buffer_store_dword v61, off, s[0:3], 0 offset:224
	v_add_co_u32 v59, vcc_lo, s4, v59
	v_add_co_ci_u32_e64 v60, null, s5, v60, vcc_lo
	v_lshlrev_b64 v[61:62], 3, v[66:67]
	flat_load_dwordx2 v[64:65], v[59:60]
	s_waitcnt vmcnt(0) lgkmcnt(0)
	buffer_store_dword v65, off, s[0:3], 0 offset:236
	buffer_store_dword v64, off, s[0:3], 0 offset:232
	v_add_co_u32 v61, vcc_lo, s4, v61
	v_add_co_ci_u32_e64 v62, null, s5, v62, vcc_lo
	v_add_nc_u32_e32 v65, s9, v66
	flat_load_dwordx2 v[67:68], v[61:62]
	s_waitcnt vmcnt(0) lgkmcnt(0)
	buffer_store_dword v68, off, s[0:3], 0 offset:244
	buffer_store_dword v67, off, s[0:3], 0 offset:240
	v_ashrrev_i32_e32 v66, 31, v65
	v_add_nc_u32_e32 v69, s9, v65
	v_lshlrev_b64 v[63:64], 3, v[65:66]
	v_ashrrev_i32_e32 v70, 31, v69
	v_add_nc_u32_e32 v72, s9, v69
	v_add_co_u32 v63, vcc_lo, s4, v63
	v_add_co_ci_u32_e64 v64, null, s5, v64, vcc_lo
	v_lshlrev_b64 v[65:66], 3, v[69:70]
	v_ashrrev_i32_e32 v73, 31, v72
	flat_load_dwordx2 v[67:68], v[63:64]
	s_waitcnt vmcnt(0) lgkmcnt(0)
	buffer_store_dword v68, off, s[0:3], 0 offset:252
	buffer_store_dword v67, off, s[0:3], 0 offset:248
	v_add_co_u32 v65, vcc_lo, s4, v65
	v_add_co_ci_u32_e64 v66, null, s5, v66, vcc_lo
	v_lshlrev_b64 v[67:68], 3, v[72:73]
	flat_load_dwordx2 v[70:71], v[65:66]
	s_waitcnt vmcnt(0) lgkmcnt(0)
	buffer_store_dword v71, off, s[0:3], 0 offset:260
	buffer_store_dword v70, off, s[0:3], 0 offset:256
	v_add_co_u32 v67, vcc_lo, s4, v67
	v_add_co_ci_u32_e64 v68, null, s5, v68, vcc_lo
	v_add_nc_u32_e32 v71, s9, v72
	flat_load_dwordx2 v[73:74], v[67:68]
	s_waitcnt vmcnt(0) lgkmcnt(0)
	buffer_store_dword v74, off, s[0:3], 0 offset:268
	buffer_store_dword v73, off, s[0:3], 0 offset:264
	v_ashrrev_i32_e32 v72, 31, v71
	v_add_nc_u32_e32 v75, s9, v71
	v_lshlrev_b64 v[69:70], 3, v[71:72]
	v_ashrrev_i32_e32 v76, 31, v75
	v_add_nc_u32_e32 v78, s9, v75
	v_add_co_u32 v69, vcc_lo, s4, v69
	v_add_co_ci_u32_e64 v70, null, s5, v70, vcc_lo
	v_lshlrev_b64 v[71:72], 3, v[75:76]
	v_ashrrev_i32_e32 v79, 31, v78
	flat_load_dwordx2 v[73:74], v[69:70]
	s_waitcnt vmcnt(0) lgkmcnt(0)
	buffer_store_dword v74, off, s[0:3], 0 offset:276
	buffer_store_dword v73, off, s[0:3], 0 offset:272
	v_add_co_u32 v71, vcc_lo, s4, v71
	v_add_co_ci_u32_e64 v72, null, s5, v72, vcc_lo
	v_lshlrev_b64 v[73:74], 3, v[78:79]
	flat_load_dwordx2 v[76:77], v[71:72]
	s_waitcnt vmcnt(0) lgkmcnt(0)
	buffer_store_dword v77, off, s[0:3], 0 offset:284
	buffer_store_dword v76, off, s[0:3], 0 offset:280
	v_add_co_u32 v73, vcc_lo, s4, v73
	v_add_co_ci_u32_e64 v74, null, s5, v74, vcc_lo
	v_add_nc_u32_e32 v77, s9, v78
	flat_load_dwordx2 v[79:80], v[73:74]
	s_waitcnt vmcnt(0) lgkmcnt(0)
	buffer_store_dword v80, off, s[0:3], 0 offset:292
	buffer_store_dword v79, off, s[0:3], 0 offset:288
	v_ashrrev_i32_e32 v78, 31, v77
	v_add_nc_u32_e32 v81, s9, v77
	v_lshlrev_b64 v[75:76], 3, v[77:78]
	v_ashrrev_i32_e32 v82, 31, v81
	v_add_co_u32 v75, vcc_lo, s4, v75
	v_add_co_ci_u32_e64 v76, null, s5, v76, vcc_lo
	v_lshlrev_b64 v[77:78], 3, v[81:82]
	flat_load_dwordx2 v[79:80], v[75:76]
	s_waitcnt vmcnt(0) lgkmcnt(0)
	buffer_store_dword v80, off, s[0:3], 0 offset:300
	buffer_store_dword v79, off, s[0:3], 0 offset:296
	v_add_co_u32 v77, vcc_lo, s4, v77
	v_add_co_ci_u32_e64 v78, null, s5, v78, vcc_lo
	v_add_nc_u32_e32 v79, s9, v81
	flat_load_dwordx2 v[84:85], v[77:78]
	s_waitcnt vmcnt(0) lgkmcnt(0)
	buffer_store_dword v85, off, s[0:3], 0 offset:308
	buffer_store_dword v84, off, s[0:3], 0 offset:304
	v_ashrrev_i32_e32 v80, 31, v79
	v_lshlrev_b64 v[79:80], 3, v[79:80]
	v_add_co_u32 v79, vcc_lo, s4, v79
	v_add_co_ci_u32_e64 v80, null, s5, v80, vcc_lo
	s_mov_b32 s5, -1
	flat_load_dwordx2 v[81:82], v[79:80]
	s_waitcnt vmcnt(0) lgkmcnt(0)
	buffer_store_dword v82, off, s[0:3], 0 offset:316
	buffer_store_dword v81, off, s[0:3], 0 offset:312
	s_cbranch_scc1 .LBB103_172
; %bb.4:
	v_cmp_eq_u32_e64 s4, 0, v0
	s_and_saveexec_b32 s5, s4
; %bb.5:
	v_mov_b32_e32 v81, 0
	ds_write_b32 v81, v81 offset:640
; %bb.6:
	s_or_b32 exec_lo, exec_lo, s5
	v_lshl_add_u32 v85, v0, 3, 0
	s_waitcnt lgkmcnt(0)
	s_waitcnt_vscnt null, 0x0
	s_barrier
	buffer_gl0_inv
	s_clause 0x1
	buffer_load_dword v81, v85, s[0:3], 0 offen
	buffer_load_dword v82, v85, s[0:3], 0 offen offset:4
	s_waitcnt vmcnt(1)
	v_cmp_eq_f32_e32 vcc_lo, 0, v81
	s_waitcnt vmcnt(0)
	v_cmp_eq_f32_e64 s5, 0, v82
	s_and_b32 s5, vcc_lo, s5
	s_and_saveexec_b32 s8, s5
	s_cbranch_execz .LBB103_10
; %bb.7:
	v_mov_b32_e32 v81, 0
	s_mov_b32 s9, 0
	ds_read_b32 v82, v81 offset:640
	s_waitcnt lgkmcnt(0)
	v_readfirstlane_b32 s5, v82
	v_add_nc_u32_e32 v82, 1, v0
	s_cmp_eq_u32 s5, 0
	v_cmp_gt_i32_e32 vcc_lo, s5, v82
	s_cselect_b32 s14, -1, 0
	s_or_b32 s14, s14, vcc_lo
	s_and_b32 exec_lo, exec_lo, s14
	s_cbranch_execz .LBB103_10
; %bb.8:
	v_mov_b32_e32 v84, s5
.LBB103_9:                              ; =>This Inner Loop Header: Depth=1
	ds_cmpst_rtn_b32 v84, v81, v84, v82 offset:640
	s_waitcnt lgkmcnt(0)
	v_cmp_ne_u32_e32 vcc_lo, 0, v84
	v_cmp_le_i32_e64 s5, v84, v82
	s_and_b32 s5, vcc_lo, s5
	s_and_b32 s5, exec_lo, s5
	s_or_b32 s9, s5, s9
	s_andn2_b32 exec_lo, exec_lo, s9
	s_cbranch_execnz .LBB103_9
.LBB103_10:
	s_or_b32 exec_lo, exec_lo, s8
	v_mov_b32_e32 v81, 0
	s_barrier
	buffer_gl0_inv
	ds_read_b32 v82, v81 offset:640
	s_and_saveexec_b32 s5, s4
	s_cbranch_execz .LBB103_12
; %bb.11:
	s_lshl_b64 s[8:9], s[6:7], 2
	s_add_u32 s8, s10, s8
	s_addc_u32 s9, s11, s9
	s_waitcnt lgkmcnt(0)
	global_store_dword v81, v82, s[8:9]
.LBB103_12:
	s_or_b32 exec_lo, exec_lo, s5
	s_waitcnt lgkmcnt(0)
	v_cmp_ne_u32_e32 vcc_lo, 0, v82
	s_mov_b32 s5, 0
	s_cbranch_vccnz .LBB103_172
; %bb.13:
	s_clause 0x1
	buffer_load_dword v82, v85, s[0:3], 0 offen
	buffer_load_dword v84, v85, s[0:3], 0 offen offset:4
                                        ; implicit-def: $vgpr87
                                        ; implicit-def: $vgpr86
                                        ; implicit-def: $vgpr81
	s_waitcnt vmcnt(0)
	v_cmp_ngt_f32_e64 s5, |v82|, |v84|
	s_and_saveexec_b32 s8, s5
	s_xor_b32 s5, exec_lo, s8
	s_cbranch_execz .LBB103_15
; %bb.14:
	v_div_scale_f32 v81, null, v84, v84, v82
	v_div_scale_f32 v88, vcc_lo, v82, v84, v82
	v_rcp_f32_e32 v86, v81
	v_fma_f32 v87, -v81, v86, 1.0
	v_fmac_f32_e32 v86, v87, v86
	v_mul_f32_e32 v87, v88, v86
	v_fma_f32 v89, -v81, v87, v88
	v_fmac_f32_e32 v87, v89, v86
	v_fma_f32 v81, -v81, v87, v88
	v_div_fmas_f32 v81, v81, v86, v87
	v_div_fixup_f32 v81, v81, v84, v82
	v_fmac_f32_e32 v84, v82, v81
	v_div_scale_f32 v82, null, v84, v84, 1.0
	v_rcp_f32_e32 v86, v82
	v_fma_f32 v87, -v82, v86, 1.0
	v_fmac_f32_e32 v86, v87, v86
	v_div_scale_f32 v87, vcc_lo, 1.0, v84, 1.0
	v_mul_f32_e32 v88, v87, v86
	v_fma_f32 v89, -v82, v88, v87
	v_fmac_f32_e32 v88, v89, v86
	v_fma_f32 v82, -v82, v88, v87
	v_div_fmas_f32 v82, v82, v86, v88
	v_div_fixup_f32 v82, v82, v84, 1.0
                                        ; implicit-def: $vgpr84
	v_mul_f32_e32 v87, v81, v82
	v_xor_b32_e32 v86, 0x80000000, v82
                                        ; implicit-def: $vgpr82
	v_xor_b32_e32 v81, 0x80000000, v87
.LBB103_15:
	s_andn2_saveexec_b32 s5, s5
	s_cbranch_execz .LBB103_17
; %bb.16:
	v_div_scale_f32 v81, null, v82, v82, v84
	v_div_scale_f32 v88, vcc_lo, v84, v82, v84
	v_rcp_f32_e32 v86, v81
	v_fma_f32 v87, -v81, v86, 1.0
	v_fmac_f32_e32 v86, v87, v86
	v_mul_f32_e32 v87, v88, v86
	v_fma_f32 v89, -v81, v87, v88
	v_fmac_f32_e32 v87, v89, v86
	v_fma_f32 v81, -v81, v87, v88
	v_div_fmas_f32 v81, v81, v86, v87
	v_div_fixup_f32 v86, v81, v82, v84
	v_fmac_f32_e32 v82, v84, v86
	v_div_scale_f32 v81, null, v82, v82, 1.0
	v_div_scale_f32 v88, vcc_lo, 1.0, v82, 1.0
	v_rcp_f32_e32 v84, v81
	v_fma_f32 v87, -v81, v84, 1.0
	v_fmac_f32_e32 v84, v87, v84
	v_mul_f32_e32 v87, v88, v84
	v_fma_f32 v89, -v81, v87, v88
	v_fmac_f32_e32 v87, v89, v84
	v_fma_f32 v81, -v81, v87, v88
	v_div_fmas_f32 v81, v81, v84, v87
	v_div_fixup_f32 v87, v81, v82, 1.0
	v_xor_b32_e32 v81, 0x80000000, v87
	v_mul_f32_e64 v86, v86, -v87
.LBB103_17:
	s_or_b32 exec_lo, exec_lo, s5
	buffer_store_dword v87, v85, s[0:3], 0 offen
	buffer_store_dword v86, v85, s[0:3], 0 offen offset:4
	s_clause 0x1
	buffer_load_dword v88, off, s[0:3], 0 offset:12
	buffer_load_dword v87, off, s[0:3], 0 offset:8
	v_xor_b32_e32 v82, 0x80000000, v86
	v_add_nc_u32_e32 v84, 0x140, v83
	s_waitcnt vmcnt(0)
	ds_write2_b64 v83, v[81:82], v[87:88] offset1:40
	s_waitcnt lgkmcnt(0)
	s_waitcnt_vscnt null, 0x0
	s_barrier
	buffer_gl0_inv
	s_and_saveexec_b32 s5, s4
	s_cbranch_execz .LBB103_19
; %bb.18:
	s_clause 0x1
	buffer_load_dword v88, v85, s[0:3], 0 offen offset:4
	buffer_load_dword v89, v85, s[0:3], 0 offen
	ds_read_b64 v[81:82], v84
	v_mov_b32_e32 v86, 0
	ds_read_b64 v[86:87], v86 offset:8
	s_waitcnt vmcnt(1) lgkmcnt(1)
	v_mul_f32_e32 v90, v81, v88
	v_mul_f32_e32 v88, v82, v88
	s_waitcnt vmcnt(0)
	v_fmac_f32_e32 v90, v82, v89
	v_fma_f32 v81, v81, v89, -v88
	v_add_f32_e32 v82, 0, v90
	v_add_f32_e32 v81, 0, v81
	s_waitcnt lgkmcnt(0)
	v_mul_f32_e32 v88, v82, v87
	v_mul_f32_e32 v87, v81, v87
	v_fma_f32 v81, v81, v86, -v88
	v_fmac_f32_e32 v87, v82, v86
	buffer_store_dword v81, off, s[0:3], 0 offset:8
	buffer_store_dword v87, off, s[0:3], 0 offset:12
.LBB103_19:
	s_or_b32 exec_lo, exec_lo, s5
	s_waitcnt_vscnt null, 0x0
	s_barrier
	buffer_gl0_inv
	s_clause 0x1
	buffer_load_dword v81, off, s[0:3], 0 offset:16
	buffer_load_dword v82, off, s[0:3], 0 offset:20
	s_mov_b32 s5, exec_lo
	s_waitcnt vmcnt(0)
	ds_write_b64 v84, v[81:82]
	s_waitcnt lgkmcnt(0)
	s_barrier
	buffer_gl0_inv
	v_cmpx_gt_u32_e32 2, v0
	s_cbranch_execz .LBB103_23
; %bb.20:
	s_clause 0x1
	buffer_load_dword v86, v85, s[0:3], 0 offen offset:4
	buffer_load_dword v85, v85, s[0:3], 0 offen
	ds_read_b64 v[81:82], v84
	s_waitcnt vmcnt(1) lgkmcnt(0)
	v_mul_f32_e32 v87, v82, v86
	v_mul_f32_e32 v86, v81, v86
	s_waitcnt vmcnt(0)
	v_fma_f32 v81, v81, v85, -v87
	v_fmac_f32_e32 v86, v82, v85
	v_add_f32_e32 v82, 0, v81
	v_add_f32_e32 v81, 0, v86
	s_and_saveexec_b32 s8, s4
	s_cbranch_execz .LBB103_22
; %bb.21:
	s_clause 0x1
	buffer_load_dword v87, off, s[0:3], 0 offset:12
	buffer_load_dword v88, off, s[0:3], 0 offset:8
	v_mov_b32_e32 v85, 0
	ds_read_b64 v[85:86], v85 offset:328
	s_waitcnt vmcnt(1) lgkmcnt(0)
	v_mul_f32_e32 v89, v85, v87
	v_mul_f32_e32 v87, v86, v87
	s_waitcnt vmcnt(0)
	v_fmac_f32_e32 v89, v86, v88
	v_fma_f32 v85, v85, v88, -v87
	v_add_f32_e32 v81, v81, v89
	v_add_f32_e32 v82, v82, v85
.LBB103_22:
	s_or_b32 exec_lo, exec_lo, s8
	v_mov_b32_e32 v85, 0
	ds_read_b64 v[85:86], v85 offset:16
	s_waitcnt lgkmcnt(0)
	v_mul_f32_e32 v87, v81, v86
	v_mul_f32_e32 v86, v82, v86
	v_fma_f32 v82, v82, v85, -v87
	v_fmac_f32_e32 v86, v81, v85
	buffer_store_dword v82, off, s[0:3], 0 offset:16
	buffer_store_dword v86, off, s[0:3], 0 offset:20
.LBB103_23:
	s_or_b32 exec_lo, exec_lo, s5
	s_waitcnt_vscnt null, 0x0
	s_barrier
	buffer_gl0_inv
	s_clause 0x1
	buffer_load_dword v85, off, s[0:3], 0 offset:24
	buffer_load_dword v86, off, s[0:3], 0 offset:28
	v_add_nc_u32_e32 v81, -1, v0
	s_mov_b32 s4, exec_lo
	s_waitcnt vmcnt(0)
	ds_write_b64 v84, v[85:86]
	s_waitcnt lgkmcnt(0)
	s_barrier
	buffer_gl0_inv
	v_cmpx_gt_u32_e32 3, v0
	s_cbranch_execz .LBB103_27
; %bb.24:
	v_add_nc_u32_e32 v85, -1, v0
	v_add_nc_u32_e32 v86, 0x140, v83
	v_mov_b32_e32 v87, v83
	v_mov_b32_e32 v82, 0
	;; [unrolled: 1-line block ×3, first 2 shown]
	s_mov_b32 s5, 0
	.p2align	6
.LBB103_25:                             ; =>This Inner Loop Header: Depth=1
	s_clause 0x1
	buffer_load_dword v91, v87, s[0:3], 0 offen offset:4
	buffer_load_dword v92, v87, s[0:3], 0 offen
	ds_read_b64 v[89:90], v86
	v_add_nc_u32_e32 v85, 1, v85
	v_add_nc_u32_e32 v86, 8, v86
	;; [unrolled: 1-line block ×3, first 2 shown]
	v_cmp_lt_u32_e32 vcc_lo, 1, v85
	s_or_b32 s5, vcc_lo, s5
	s_waitcnt vmcnt(1) lgkmcnt(0)
	v_mul_f32_e32 v93, v90, v91
	v_mul_f32_e32 v91, v89, v91
	s_waitcnt vmcnt(0)
	v_fma_f32 v89, v89, v92, -v93
	v_fmac_f32_e32 v91, v90, v92
	v_add_f32_e32 v88, v88, v89
	v_add_f32_e32 v82, v82, v91
	s_andn2_b32 exec_lo, exec_lo, s5
	s_cbranch_execnz .LBB103_25
; %bb.26:
	s_or_b32 exec_lo, exec_lo, s5
	v_mov_b32_e32 v85, 0
	ds_read_b64 v[85:86], v85 offset:24
	s_waitcnt lgkmcnt(0)
	v_mul_f32_e32 v87, v82, v86
	v_mul_f32_e32 v86, v88, v86
	v_fma_f32 v87, v88, v85, -v87
	v_fmac_f32_e32 v86, v82, v85
	buffer_store_dword v87, off, s[0:3], 0 offset:24
	buffer_store_dword v86, off, s[0:3], 0 offset:28
.LBB103_27:
	s_or_b32 exec_lo, exec_lo, s4
	s_waitcnt_vscnt null, 0x0
	s_barrier
	buffer_gl0_inv
	s_clause 0x1
	buffer_load_dword v85, off, s[0:3], 0 offset:32
	buffer_load_dword v86, off, s[0:3], 0 offset:36
	s_mov_b32 s4, exec_lo
	s_waitcnt vmcnt(0)
	ds_write_b64 v84, v[85:86]
	s_waitcnt lgkmcnt(0)
	s_barrier
	buffer_gl0_inv
	v_cmpx_gt_u32_e32 4, v0
	s_cbranch_execz .LBB103_31
; %bb.28:
	v_add_nc_u32_e32 v85, -1, v0
	v_add_nc_u32_e32 v86, 0x140, v83
	v_mov_b32_e32 v87, v83
	v_mov_b32_e32 v82, 0
	;; [unrolled: 1-line block ×3, first 2 shown]
	s_mov_b32 s5, 0
	.p2align	6
.LBB103_29:                             ; =>This Inner Loop Header: Depth=1
	s_clause 0x1
	buffer_load_dword v91, v87, s[0:3], 0 offen offset:4
	buffer_load_dword v92, v87, s[0:3], 0 offen
	ds_read_b64 v[89:90], v86
	v_add_nc_u32_e32 v85, 1, v85
	v_add_nc_u32_e32 v86, 8, v86
	;; [unrolled: 1-line block ×3, first 2 shown]
	v_cmp_lt_u32_e32 vcc_lo, 2, v85
	s_or_b32 s5, vcc_lo, s5
	s_waitcnt vmcnt(1) lgkmcnt(0)
	v_mul_f32_e32 v93, v90, v91
	v_mul_f32_e32 v91, v89, v91
	s_waitcnt vmcnt(0)
	v_fma_f32 v89, v89, v92, -v93
	v_fmac_f32_e32 v91, v90, v92
	v_add_f32_e32 v88, v88, v89
	v_add_f32_e32 v82, v82, v91
	s_andn2_b32 exec_lo, exec_lo, s5
	s_cbranch_execnz .LBB103_29
; %bb.30:
	s_or_b32 exec_lo, exec_lo, s5
	v_mov_b32_e32 v85, 0
	ds_read_b64 v[85:86], v85 offset:32
	s_waitcnt lgkmcnt(0)
	v_mul_f32_e32 v87, v82, v86
	v_mul_f32_e32 v86, v88, v86
	v_fma_f32 v87, v88, v85, -v87
	v_fmac_f32_e32 v86, v82, v85
	buffer_store_dword v87, off, s[0:3], 0 offset:32
	buffer_store_dword v86, off, s[0:3], 0 offset:36
.LBB103_31:
	s_or_b32 exec_lo, exec_lo, s4
	s_waitcnt_vscnt null, 0x0
	s_barrier
	buffer_gl0_inv
	s_clause 0x1
	buffer_load_dword v85, off, s[0:3], 0 offset:40
	buffer_load_dword v86, off, s[0:3], 0 offset:44
	s_mov_b32 s4, exec_lo
	s_waitcnt vmcnt(0)
	ds_write_b64 v84, v[85:86]
	s_waitcnt lgkmcnt(0)
	s_barrier
	buffer_gl0_inv
	v_cmpx_gt_u32_e32 5, v0
	s_cbranch_execz .LBB103_35
; %bb.32:
	v_add_nc_u32_e32 v85, -1, v0
	v_add_nc_u32_e32 v86, 0x140, v83
	v_mov_b32_e32 v87, v83
	v_mov_b32_e32 v82, 0
	;; [unrolled: 1-line block ×3, first 2 shown]
	s_mov_b32 s5, 0
	.p2align	6
.LBB103_33:                             ; =>This Inner Loop Header: Depth=1
	s_clause 0x1
	buffer_load_dword v91, v87, s[0:3], 0 offen offset:4
	buffer_load_dword v92, v87, s[0:3], 0 offen
	ds_read_b64 v[89:90], v86
	v_add_nc_u32_e32 v85, 1, v85
	v_add_nc_u32_e32 v86, 8, v86
	;; [unrolled: 1-line block ×3, first 2 shown]
	v_cmp_lt_u32_e32 vcc_lo, 3, v85
	s_or_b32 s5, vcc_lo, s5
	s_waitcnt vmcnt(1) lgkmcnt(0)
	v_mul_f32_e32 v93, v90, v91
	v_mul_f32_e32 v91, v89, v91
	s_waitcnt vmcnt(0)
	v_fma_f32 v89, v89, v92, -v93
	v_fmac_f32_e32 v91, v90, v92
	v_add_f32_e32 v88, v88, v89
	v_add_f32_e32 v82, v82, v91
	s_andn2_b32 exec_lo, exec_lo, s5
	s_cbranch_execnz .LBB103_33
; %bb.34:
	s_or_b32 exec_lo, exec_lo, s5
	v_mov_b32_e32 v85, 0
	ds_read_b64 v[85:86], v85 offset:40
	s_waitcnt lgkmcnt(0)
	v_mul_f32_e32 v87, v82, v86
	v_mul_f32_e32 v86, v88, v86
	v_fma_f32 v87, v88, v85, -v87
	v_fmac_f32_e32 v86, v82, v85
	buffer_store_dword v87, off, s[0:3], 0 offset:40
	buffer_store_dword v86, off, s[0:3], 0 offset:44
.LBB103_35:
	s_or_b32 exec_lo, exec_lo, s4
	s_waitcnt_vscnt null, 0x0
	s_barrier
	buffer_gl0_inv
	s_clause 0x1
	buffer_load_dword v85, off, s[0:3], 0 offset:48
	buffer_load_dword v86, off, s[0:3], 0 offset:52
	s_mov_b32 s4, exec_lo
	s_waitcnt vmcnt(0)
	ds_write_b64 v84, v[85:86]
	s_waitcnt lgkmcnt(0)
	s_barrier
	buffer_gl0_inv
	v_cmpx_gt_u32_e32 6, v0
	s_cbranch_execz .LBB103_39
; %bb.36:
	v_add_nc_u32_e32 v85, -1, v0
	v_add_nc_u32_e32 v86, 0x140, v83
	v_mov_b32_e32 v87, v83
	v_mov_b32_e32 v82, 0
	v_mov_b32_e32 v88, 0
	s_mov_b32 s5, 0
	.p2align	6
.LBB103_37:                             ; =>This Inner Loop Header: Depth=1
	s_clause 0x1
	buffer_load_dword v91, v87, s[0:3], 0 offen offset:4
	buffer_load_dword v92, v87, s[0:3], 0 offen
	ds_read_b64 v[89:90], v86
	v_add_nc_u32_e32 v85, 1, v85
	v_add_nc_u32_e32 v86, 8, v86
	;; [unrolled: 1-line block ×3, first 2 shown]
	v_cmp_lt_u32_e32 vcc_lo, 4, v85
	s_or_b32 s5, vcc_lo, s5
	s_waitcnt vmcnt(1) lgkmcnt(0)
	v_mul_f32_e32 v93, v90, v91
	v_mul_f32_e32 v91, v89, v91
	s_waitcnt vmcnt(0)
	v_fma_f32 v89, v89, v92, -v93
	v_fmac_f32_e32 v91, v90, v92
	v_add_f32_e32 v88, v88, v89
	v_add_f32_e32 v82, v82, v91
	s_andn2_b32 exec_lo, exec_lo, s5
	s_cbranch_execnz .LBB103_37
; %bb.38:
	s_or_b32 exec_lo, exec_lo, s5
	v_mov_b32_e32 v85, 0
	ds_read_b64 v[85:86], v85 offset:48
	s_waitcnt lgkmcnt(0)
	v_mul_f32_e32 v87, v82, v86
	v_mul_f32_e32 v86, v88, v86
	v_fma_f32 v87, v88, v85, -v87
	v_fmac_f32_e32 v86, v82, v85
	buffer_store_dword v87, off, s[0:3], 0 offset:48
	buffer_store_dword v86, off, s[0:3], 0 offset:52
.LBB103_39:
	s_or_b32 exec_lo, exec_lo, s4
	s_waitcnt_vscnt null, 0x0
	s_barrier
	buffer_gl0_inv
	s_clause 0x1
	buffer_load_dword v85, off, s[0:3], 0 offset:56
	buffer_load_dword v86, off, s[0:3], 0 offset:60
	s_mov_b32 s4, exec_lo
	s_waitcnt vmcnt(0)
	ds_write_b64 v84, v[85:86]
	s_waitcnt lgkmcnt(0)
	s_barrier
	buffer_gl0_inv
	v_cmpx_gt_u32_e32 7, v0
	s_cbranch_execz .LBB103_43
; %bb.40:
	v_add_nc_u32_e32 v85, -1, v0
	v_add_nc_u32_e32 v86, 0x140, v83
	v_mov_b32_e32 v87, v83
	v_mov_b32_e32 v82, 0
	;; [unrolled: 1-line block ×3, first 2 shown]
	s_mov_b32 s5, 0
	.p2align	6
.LBB103_41:                             ; =>This Inner Loop Header: Depth=1
	s_clause 0x1
	buffer_load_dword v91, v87, s[0:3], 0 offen offset:4
	buffer_load_dword v92, v87, s[0:3], 0 offen
	ds_read_b64 v[89:90], v86
	v_add_nc_u32_e32 v85, 1, v85
	v_add_nc_u32_e32 v86, 8, v86
	;; [unrolled: 1-line block ×3, first 2 shown]
	v_cmp_lt_u32_e32 vcc_lo, 5, v85
	s_or_b32 s5, vcc_lo, s5
	s_waitcnt vmcnt(1) lgkmcnt(0)
	v_mul_f32_e32 v93, v90, v91
	v_mul_f32_e32 v91, v89, v91
	s_waitcnt vmcnt(0)
	v_fma_f32 v89, v89, v92, -v93
	v_fmac_f32_e32 v91, v90, v92
	v_add_f32_e32 v88, v88, v89
	v_add_f32_e32 v82, v82, v91
	s_andn2_b32 exec_lo, exec_lo, s5
	s_cbranch_execnz .LBB103_41
; %bb.42:
	s_or_b32 exec_lo, exec_lo, s5
	v_mov_b32_e32 v85, 0
	ds_read_b64 v[85:86], v85 offset:56
	s_waitcnt lgkmcnt(0)
	v_mul_f32_e32 v87, v82, v86
	v_mul_f32_e32 v86, v88, v86
	v_fma_f32 v87, v88, v85, -v87
	v_fmac_f32_e32 v86, v82, v85
	buffer_store_dword v87, off, s[0:3], 0 offset:56
	buffer_store_dword v86, off, s[0:3], 0 offset:60
.LBB103_43:
	s_or_b32 exec_lo, exec_lo, s4
	s_waitcnt_vscnt null, 0x0
	s_barrier
	buffer_gl0_inv
	s_clause 0x1
	buffer_load_dword v85, off, s[0:3], 0 offset:64
	buffer_load_dword v86, off, s[0:3], 0 offset:68
	s_mov_b32 s4, exec_lo
	s_waitcnt vmcnt(0)
	ds_write_b64 v84, v[85:86]
	s_waitcnt lgkmcnt(0)
	s_barrier
	buffer_gl0_inv
	v_cmpx_gt_u32_e32 8, v0
	s_cbranch_execz .LBB103_47
; %bb.44:
	v_add_nc_u32_e32 v85, -1, v0
	v_add_nc_u32_e32 v86, 0x140, v83
	v_mov_b32_e32 v87, v83
	v_mov_b32_e32 v82, 0
	v_mov_b32_e32 v88, 0
	s_mov_b32 s5, 0
	.p2align	6
.LBB103_45:                             ; =>This Inner Loop Header: Depth=1
	s_clause 0x1
	buffer_load_dword v91, v87, s[0:3], 0 offen offset:4
	buffer_load_dword v92, v87, s[0:3], 0 offen
	ds_read_b64 v[89:90], v86
	v_add_nc_u32_e32 v85, 1, v85
	v_add_nc_u32_e32 v86, 8, v86
	;; [unrolled: 1-line block ×3, first 2 shown]
	v_cmp_lt_u32_e32 vcc_lo, 6, v85
	s_or_b32 s5, vcc_lo, s5
	s_waitcnt vmcnt(1) lgkmcnt(0)
	v_mul_f32_e32 v93, v90, v91
	v_mul_f32_e32 v91, v89, v91
	s_waitcnt vmcnt(0)
	v_fma_f32 v89, v89, v92, -v93
	v_fmac_f32_e32 v91, v90, v92
	v_add_f32_e32 v88, v88, v89
	v_add_f32_e32 v82, v82, v91
	s_andn2_b32 exec_lo, exec_lo, s5
	s_cbranch_execnz .LBB103_45
; %bb.46:
	s_or_b32 exec_lo, exec_lo, s5
	v_mov_b32_e32 v85, 0
	ds_read_b64 v[85:86], v85 offset:64
	s_waitcnt lgkmcnt(0)
	v_mul_f32_e32 v87, v82, v86
	v_mul_f32_e32 v86, v88, v86
	v_fma_f32 v87, v88, v85, -v87
	v_fmac_f32_e32 v86, v82, v85
	buffer_store_dword v87, off, s[0:3], 0 offset:64
	buffer_store_dword v86, off, s[0:3], 0 offset:68
.LBB103_47:
	s_or_b32 exec_lo, exec_lo, s4
	s_waitcnt_vscnt null, 0x0
	s_barrier
	buffer_gl0_inv
	s_clause 0x1
	buffer_load_dword v85, off, s[0:3], 0 offset:72
	buffer_load_dword v86, off, s[0:3], 0 offset:76
	s_mov_b32 s4, exec_lo
	s_waitcnt vmcnt(0)
	ds_write_b64 v84, v[85:86]
	s_waitcnt lgkmcnt(0)
	s_barrier
	buffer_gl0_inv
	v_cmpx_gt_u32_e32 9, v0
	s_cbranch_execz .LBB103_51
; %bb.48:
	v_add_nc_u32_e32 v85, -1, v0
	v_add_nc_u32_e32 v86, 0x140, v83
	v_mov_b32_e32 v87, v83
	v_mov_b32_e32 v82, 0
	;; [unrolled: 1-line block ×3, first 2 shown]
	s_mov_b32 s5, 0
	.p2align	6
.LBB103_49:                             ; =>This Inner Loop Header: Depth=1
	s_clause 0x1
	buffer_load_dword v91, v87, s[0:3], 0 offen offset:4
	buffer_load_dword v92, v87, s[0:3], 0 offen
	ds_read_b64 v[89:90], v86
	v_add_nc_u32_e32 v85, 1, v85
	v_add_nc_u32_e32 v86, 8, v86
	v_add_nc_u32_e32 v87, 8, v87
	v_cmp_lt_u32_e32 vcc_lo, 7, v85
	s_or_b32 s5, vcc_lo, s5
	s_waitcnt vmcnt(1) lgkmcnt(0)
	v_mul_f32_e32 v93, v90, v91
	v_mul_f32_e32 v91, v89, v91
	s_waitcnt vmcnt(0)
	v_fma_f32 v89, v89, v92, -v93
	v_fmac_f32_e32 v91, v90, v92
	v_add_f32_e32 v88, v88, v89
	v_add_f32_e32 v82, v82, v91
	s_andn2_b32 exec_lo, exec_lo, s5
	s_cbranch_execnz .LBB103_49
; %bb.50:
	s_or_b32 exec_lo, exec_lo, s5
	v_mov_b32_e32 v85, 0
	ds_read_b64 v[85:86], v85 offset:72
	s_waitcnt lgkmcnt(0)
	v_mul_f32_e32 v87, v82, v86
	v_mul_f32_e32 v86, v88, v86
	v_fma_f32 v87, v88, v85, -v87
	v_fmac_f32_e32 v86, v82, v85
	buffer_store_dword v87, off, s[0:3], 0 offset:72
	buffer_store_dword v86, off, s[0:3], 0 offset:76
.LBB103_51:
	s_or_b32 exec_lo, exec_lo, s4
	s_waitcnt_vscnt null, 0x0
	s_barrier
	buffer_gl0_inv
	s_clause 0x1
	buffer_load_dword v85, off, s[0:3], 0 offset:80
	buffer_load_dword v86, off, s[0:3], 0 offset:84
	s_mov_b32 s4, exec_lo
	s_waitcnt vmcnt(0)
	ds_write_b64 v84, v[85:86]
	s_waitcnt lgkmcnt(0)
	s_barrier
	buffer_gl0_inv
	v_cmpx_gt_u32_e32 10, v0
	s_cbranch_execz .LBB103_55
; %bb.52:
	v_add_nc_u32_e32 v85, -1, v0
	v_add_nc_u32_e32 v86, 0x140, v83
	v_mov_b32_e32 v87, v83
	v_mov_b32_e32 v82, 0
	;; [unrolled: 1-line block ×3, first 2 shown]
	s_mov_b32 s5, 0
	.p2align	6
.LBB103_53:                             ; =>This Inner Loop Header: Depth=1
	s_clause 0x1
	buffer_load_dword v91, v87, s[0:3], 0 offen offset:4
	buffer_load_dword v92, v87, s[0:3], 0 offen
	ds_read_b64 v[89:90], v86
	v_add_nc_u32_e32 v85, 1, v85
	v_add_nc_u32_e32 v86, 8, v86
	;; [unrolled: 1-line block ×3, first 2 shown]
	v_cmp_lt_u32_e32 vcc_lo, 8, v85
	s_or_b32 s5, vcc_lo, s5
	s_waitcnt vmcnt(1) lgkmcnt(0)
	v_mul_f32_e32 v93, v90, v91
	v_mul_f32_e32 v91, v89, v91
	s_waitcnt vmcnt(0)
	v_fma_f32 v89, v89, v92, -v93
	v_fmac_f32_e32 v91, v90, v92
	v_add_f32_e32 v88, v88, v89
	v_add_f32_e32 v82, v82, v91
	s_andn2_b32 exec_lo, exec_lo, s5
	s_cbranch_execnz .LBB103_53
; %bb.54:
	s_or_b32 exec_lo, exec_lo, s5
	v_mov_b32_e32 v85, 0
	ds_read_b64 v[85:86], v85 offset:80
	s_waitcnt lgkmcnt(0)
	v_mul_f32_e32 v87, v82, v86
	v_mul_f32_e32 v86, v88, v86
	v_fma_f32 v87, v88, v85, -v87
	v_fmac_f32_e32 v86, v82, v85
	buffer_store_dword v87, off, s[0:3], 0 offset:80
	buffer_store_dword v86, off, s[0:3], 0 offset:84
.LBB103_55:
	s_or_b32 exec_lo, exec_lo, s4
	s_waitcnt_vscnt null, 0x0
	s_barrier
	buffer_gl0_inv
	s_clause 0x1
	buffer_load_dword v85, off, s[0:3], 0 offset:88
	buffer_load_dword v86, off, s[0:3], 0 offset:92
	s_mov_b32 s4, exec_lo
	s_waitcnt vmcnt(0)
	ds_write_b64 v84, v[85:86]
	s_waitcnt lgkmcnt(0)
	s_barrier
	buffer_gl0_inv
	v_cmpx_gt_u32_e32 11, v0
	s_cbranch_execz .LBB103_59
; %bb.56:
	v_add_nc_u32_e32 v85, -1, v0
	v_add_nc_u32_e32 v86, 0x140, v83
	v_mov_b32_e32 v87, v83
	v_mov_b32_e32 v82, 0
	;; [unrolled: 1-line block ×3, first 2 shown]
	s_mov_b32 s5, 0
	.p2align	6
.LBB103_57:                             ; =>This Inner Loop Header: Depth=1
	s_clause 0x1
	buffer_load_dword v91, v87, s[0:3], 0 offen offset:4
	buffer_load_dword v92, v87, s[0:3], 0 offen
	ds_read_b64 v[89:90], v86
	v_add_nc_u32_e32 v85, 1, v85
	v_add_nc_u32_e32 v86, 8, v86
	;; [unrolled: 1-line block ×3, first 2 shown]
	v_cmp_lt_u32_e32 vcc_lo, 9, v85
	s_or_b32 s5, vcc_lo, s5
	s_waitcnt vmcnt(1) lgkmcnt(0)
	v_mul_f32_e32 v93, v90, v91
	v_mul_f32_e32 v91, v89, v91
	s_waitcnt vmcnt(0)
	v_fma_f32 v89, v89, v92, -v93
	v_fmac_f32_e32 v91, v90, v92
	v_add_f32_e32 v88, v88, v89
	v_add_f32_e32 v82, v82, v91
	s_andn2_b32 exec_lo, exec_lo, s5
	s_cbranch_execnz .LBB103_57
; %bb.58:
	s_or_b32 exec_lo, exec_lo, s5
	v_mov_b32_e32 v85, 0
	ds_read_b64 v[85:86], v85 offset:88
	s_waitcnt lgkmcnt(0)
	v_mul_f32_e32 v87, v82, v86
	v_mul_f32_e32 v86, v88, v86
	v_fma_f32 v87, v88, v85, -v87
	v_fmac_f32_e32 v86, v82, v85
	buffer_store_dword v87, off, s[0:3], 0 offset:88
	buffer_store_dword v86, off, s[0:3], 0 offset:92
.LBB103_59:
	s_or_b32 exec_lo, exec_lo, s4
	s_waitcnt_vscnt null, 0x0
	s_barrier
	buffer_gl0_inv
	s_clause 0x1
	buffer_load_dword v85, off, s[0:3], 0 offset:96
	buffer_load_dword v86, off, s[0:3], 0 offset:100
	s_mov_b32 s4, exec_lo
	s_waitcnt vmcnt(0)
	ds_write_b64 v84, v[85:86]
	s_waitcnt lgkmcnt(0)
	s_barrier
	buffer_gl0_inv
	v_cmpx_gt_u32_e32 12, v0
	s_cbranch_execz .LBB103_63
; %bb.60:
	v_add_nc_u32_e32 v85, -1, v0
	v_add_nc_u32_e32 v86, 0x140, v83
	v_mov_b32_e32 v87, v83
	v_mov_b32_e32 v82, 0
	;; [unrolled: 1-line block ×3, first 2 shown]
	s_mov_b32 s5, 0
	.p2align	6
.LBB103_61:                             ; =>This Inner Loop Header: Depth=1
	s_clause 0x1
	buffer_load_dword v91, v87, s[0:3], 0 offen offset:4
	buffer_load_dword v92, v87, s[0:3], 0 offen
	ds_read_b64 v[89:90], v86
	v_add_nc_u32_e32 v85, 1, v85
	v_add_nc_u32_e32 v86, 8, v86
	;; [unrolled: 1-line block ×3, first 2 shown]
	v_cmp_lt_u32_e32 vcc_lo, 10, v85
	s_or_b32 s5, vcc_lo, s5
	s_waitcnt vmcnt(1) lgkmcnt(0)
	v_mul_f32_e32 v93, v90, v91
	v_mul_f32_e32 v91, v89, v91
	s_waitcnt vmcnt(0)
	v_fma_f32 v89, v89, v92, -v93
	v_fmac_f32_e32 v91, v90, v92
	v_add_f32_e32 v88, v88, v89
	v_add_f32_e32 v82, v82, v91
	s_andn2_b32 exec_lo, exec_lo, s5
	s_cbranch_execnz .LBB103_61
; %bb.62:
	s_or_b32 exec_lo, exec_lo, s5
	v_mov_b32_e32 v85, 0
	ds_read_b64 v[85:86], v85 offset:96
	s_waitcnt lgkmcnt(0)
	v_mul_f32_e32 v87, v82, v86
	v_mul_f32_e32 v86, v88, v86
	v_fma_f32 v87, v88, v85, -v87
	v_fmac_f32_e32 v86, v82, v85
	buffer_store_dword v87, off, s[0:3], 0 offset:96
	buffer_store_dword v86, off, s[0:3], 0 offset:100
.LBB103_63:
	s_or_b32 exec_lo, exec_lo, s4
	s_waitcnt_vscnt null, 0x0
	s_barrier
	buffer_gl0_inv
	s_clause 0x1
	buffer_load_dword v85, off, s[0:3], 0 offset:104
	buffer_load_dword v86, off, s[0:3], 0 offset:108
	s_mov_b32 s4, exec_lo
	s_waitcnt vmcnt(0)
	ds_write_b64 v84, v[85:86]
	s_waitcnt lgkmcnt(0)
	s_barrier
	buffer_gl0_inv
	v_cmpx_gt_u32_e32 13, v0
	s_cbranch_execz .LBB103_67
; %bb.64:
	v_add_nc_u32_e32 v85, -1, v0
	v_add_nc_u32_e32 v86, 0x140, v83
	v_mov_b32_e32 v87, v83
	v_mov_b32_e32 v82, 0
	;; [unrolled: 1-line block ×3, first 2 shown]
	s_mov_b32 s5, 0
	.p2align	6
.LBB103_65:                             ; =>This Inner Loop Header: Depth=1
	s_clause 0x1
	buffer_load_dword v91, v87, s[0:3], 0 offen offset:4
	buffer_load_dword v92, v87, s[0:3], 0 offen
	ds_read_b64 v[89:90], v86
	v_add_nc_u32_e32 v85, 1, v85
	v_add_nc_u32_e32 v86, 8, v86
	;; [unrolled: 1-line block ×3, first 2 shown]
	v_cmp_lt_u32_e32 vcc_lo, 11, v85
	s_or_b32 s5, vcc_lo, s5
	s_waitcnt vmcnt(1) lgkmcnt(0)
	v_mul_f32_e32 v93, v90, v91
	v_mul_f32_e32 v91, v89, v91
	s_waitcnt vmcnt(0)
	v_fma_f32 v89, v89, v92, -v93
	v_fmac_f32_e32 v91, v90, v92
	v_add_f32_e32 v88, v88, v89
	v_add_f32_e32 v82, v82, v91
	s_andn2_b32 exec_lo, exec_lo, s5
	s_cbranch_execnz .LBB103_65
; %bb.66:
	s_or_b32 exec_lo, exec_lo, s5
	v_mov_b32_e32 v85, 0
	ds_read_b64 v[85:86], v85 offset:104
	s_waitcnt lgkmcnt(0)
	v_mul_f32_e32 v87, v82, v86
	v_mul_f32_e32 v86, v88, v86
	v_fma_f32 v87, v88, v85, -v87
	v_fmac_f32_e32 v86, v82, v85
	buffer_store_dword v87, off, s[0:3], 0 offset:104
	buffer_store_dword v86, off, s[0:3], 0 offset:108
.LBB103_67:
	s_or_b32 exec_lo, exec_lo, s4
	s_waitcnt_vscnt null, 0x0
	s_barrier
	buffer_gl0_inv
	s_clause 0x1
	buffer_load_dword v85, off, s[0:3], 0 offset:112
	buffer_load_dword v86, off, s[0:3], 0 offset:116
	s_mov_b32 s4, exec_lo
	s_waitcnt vmcnt(0)
	ds_write_b64 v84, v[85:86]
	s_waitcnt lgkmcnt(0)
	s_barrier
	buffer_gl0_inv
	v_cmpx_gt_u32_e32 14, v0
	s_cbranch_execz .LBB103_71
; %bb.68:
	v_add_nc_u32_e32 v85, -1, v0
	v_add_nc_u32_e32 v86, 0x140, v83
	v_mov_b32_e32 v87, v83
	v_mov_b32_e32 v82, 0
	;; [unrolled: 1-line block ×3, first 2 shown]
	s_mov_b32 s5, 0
	.p2align	6
.LBB103_69:                             ; =>This Inner Loop Header: Depth=1
	s_clause 0x1
	buffer_load_dword v91, v87, s[0:3], 0 offen offset:4
	buffer_load_dword v92, v87, s[0:3], 0 offen
	ds_read_b64 v[89:90], v86
	v_add_nc_u32_e32 v85, 1, v85
	v_add_nc_u32_e32 v86, 8, v86
	;; [unrolled: 1-line block ×3, first 2 shown]
	v_cmp_lt_u32_e32 vcc_lo, 12, v85
	s_or_b32 s5, vcc_lo, s5
	s_waitcnt vmcnt(1) lgkmcnt(0)
	v_mul_f32_e32 v93, v90, v91
	v_mul_f32_e32 v91, v89, v91
	s_waitcnt vmcnt(0)
	v_fma_f32 v89, v89, v92, -v93
	v_fmac_f32_e32 v91, v90, v92
	v_add_f32_e32 v88, v88, v89
	v_add_f32_e32 v82, v82, v91
	s_andn2_b32 exec_lo, exec_lo, s5
	s_cbranch_execnz .LBB103_69
; %bb.70:
	s_or_b32 exec_lo, exec_lo, s5
	v_mov_b32_e32 v85, 0
	ds_read_b64 v[85:86], v85 offset:112
	s_waitcnt lgkmcnt(0)
	v_mul_f32_e32 v87, v82, v86
	v_mul_f32_e32 v86, v88, v86
	v_fma_f32 v87, v88, v85, -v87
	v_fmac_f32_e32 v86, v82, v85
	buffer_store_dword v87, off, s[0:3], 0 offset:112
	buffer_store_dword v86, off, s[0:3], 0 offset:116
.LBB103_71:
	s_or_b32 exec_lo, exec_lo, s4
	s_waitcnt_vscnt null, 0x0
	s_barrier
	buffer_gl0_inv
	s_clause 0x1
	buffer_load_dword v85, off, s[0:3], 0 offset:120
	buffer_load_dword v86, off, s[0:3], 0 offset:124
	s_mov_b32 s4, exec_lo
	s_waitcnt vmcnt(0)
	ds_write_b64 v84, v[85:86]
	s_waitcnt lgkmcnt(0)
	s_barrier
	buffer_gl0_inv
	v_cmpx_gt_u32_e32 15, v0
	s_cbranch_execz .LBB103_75
; %bb.72:
	v_add_nc_u32_e32 v85, -1, v0
	v_add_nc_u32_e32 v86, 0x140, v83
	v_mov_b32_e32 v87, v83
	v_mov_b32_e32 v82, 0
	;; [unrolled: 1-line block ×3, first 2 shown]
	s_mov_b32 s5, 0
	.p2align	6
.LBB103_73:                             ; =>This Inner Loop Header: Depth=1
	s_clause 0x1
	buffer_load_dword v91, v87, s[0:3], 0 offen offset:4
	buffer_load_dword v92, v87, s[0:3], 0 offen
	ds_read_b64 v[89:90], v86
	v_add_nc_u32_e32 v85, 1, v85
	v_add_nc_u32_e32 v86, 8, v86
	;; [unrolled: 1-line block ×3, first 2 shown]
	v_cmp_lt_u32_e32 vcc_lo, 13, v85
	s_or_b32 s5, vcc_lo, s5
	s_waitcnt vmcnt(1) lgkmcnt(0)
	v_mul_f32_e32 v93, v90, v91
	v_mul_f32_e32 v91, v89, v91
	s_waitcnt vmcnt(0)
	v_fma_f32 v89, v89, v92, -v93
	v_fmac_f32_e32 v91, v90, v92
	v_add_f32_e32 v88, v88, v89
	v_add_f32_e32 v82, v82, v91
	s_andn2_b32 exec_lo, exec_lo, s5
	s_cbranch_execnz .LBB103_73
; %bb.74:
	s_or_b32 exec_lo, exec_lo, s5
	v_mov_b32_e32 v85, 0
	ds_read_b64 v[85:86], v85 offset:120
	s_waitcnt lgkmcnt(0)
	v_mul_f32_e32 v87, v82, v86
	v_mul_f32_e32 v86, v88, v86
	v_fma_f32 v87, v88, v85, -v87
	v_fmac_f32_e32 v86, v82, v85
	buffer_store_dword v87, off, s[0:3], 0 offset:120
	buffer_store_dword v86, off, s[0:3], 0 offset:124
.LBB103_75:
	s_or_b32 exec_lo, exec_lo, s4
	s_waitcnt_vscnt null, 0x0
	s_barrier
	buffer_gl0_inv
	s_clause 0x1
	buffer_load_dword v85, off, s[0:3], 0 offset:128
	buffer_load_dword v86, off, s[0:3], 0 offset:132
	s_mov_b32 s4, exec_lo
	s_waitcnt vmcnt(0)
	ds_write_b64 v84, v[85:86]
	s_waitcnt lgkmcnt(0)
	s_barrier
	buffer_gl0_inv
	v_cmpx_gt_u32_e32 16, v0
	s_cbranch_execz .LBB103_79
; %bb.76:
	v_add_nc_u32_e32 v85, -1, v0
	v_add_nc_u32_e32 v86, 0x140, v83
	v_mov_b32_e32 v87, v83
	v_mov_b32_e32 v82, 0
	;; [unrolled: 1-line block ×3, first 2 shown]
	s_mov_b32 s5, 0
	.p2align	6
.LBB103_77:                             ; =>This Inner Loop Header: Depth=1
	s_clause 0x1
	buffer_load_dword v91, v87, s[0:3], 0 offen offset:4
	buffer_load_dword v92, v87, s[0:3], 0 offen
	ds_read_b64 v[89:90], v86
	v_add_nc_u32_e32 v85, 1, v85
	v_add_nc_u32_e32 v86, 8, v86
	;; [unrolled: 1-line block ×3, first 2 shown]
	v_cmp_lt_u32_e32 vcc_lo, 14, v85
	s_or_b32 s5, vcc_lo, s5
	s_waitcnt vmcnt(1) lgkmcnt(0)
	v_mul_f32_e32 v93, v90, v91
	v_mul_f32_e32 v91, v89, v91
	s_waitcnt vmcnt(0)
	v_fma_f32 v89, v89, v92, -v93
	v_fmac_f32_e32 v91, v90, v92
	v_add_f32_e32 v88, v88, v89
	v_add_f32_e32 v82, v82, v91
	s_andn2_b32 exec_lo, exec_lo, s5
	s_cbranch_execnz .LBB103_77
; %bb.78:
	s_or_b32 exec_lo, exec_lo, s5
	v_mov_b32_e32 v85, 0
	ds_read_b64 v[85:86], v85 offset:128
	s_waitcnt lgkmcnt(0)
	v_mul_f32_e32 v87, v82, v86
	v_mul_f32_e32 v86, v88, v86
	v_fma_f32 v87, v88, v85, -v87
	v_fmac_f32_e32 v86, v82, v85
	buffer_store_dword v87, off, s[0:3], 0 offset:128
	buffer_store_dword v86, off, s[0:3], 0 offset:132
.LBB103_79:
	s_or_b32 exec_lo, exec_lo, s4
	s_waitcnt_vscnt null, 0x0
	s_barrier
	buffer_gl0_inv
	s_clause 0x1
	buffer_load_dword v85, off, s[0:3], 0 offset:136
	buffer_load_dword v86, off, s[0:3], 0 offset:140
	s_mov_b32 s4, exec_lo
	s_waitcnt vmcnt(0)
	ds_write_b64 v84, v[85:86]
	s_waitcnt lgkmcnt(0)
	s_barrier
	buffer_gl0_inv
	v_cmpx_gt_u32_e32 17, v0
	s_cbranch_execz .LBB103_83
; %bb.80:
	v_add_nc_u32_e32 v85, -1, v0
	v_add_nc_u32_e32 v86, 0x140, v83
	v_mov_b32_e32 v87, v83
	v_mov_b32_e32 v82, 0
	;; [unrolled: 1-line block ×3, first 2 shown]
	s_mov_b32 s5, 0
	.p2align	6
.LBB103_81:                             ; =>This Inner Loop Header: Depth=1
	s_clause 0x1
	buffer_load_dword v91, v87, s[0:3], 0 offen offset:4
	buffer_load_dword v92, v87, s[0:3], 0 offen
	ds_read_b64 v[89:90], v86
	v_add_nc_u32_e32 v85, 1, v85
	v_add_nc_u32_e32 v86, 8, v86
	;; [unrolled: 1-line block ×3, first 2 shown]
	v_cmp_lt_u32_e32 vcc_lo, 15, v85
	s_or_b32 s5, vcc_lo, s5
	s_waitcnt vmcnt(1) lgkmcnt(0)
	v_mul_f32_e32 v93, v90, v91
	v_mul_f32_e32 v91, v89, v91
	s_waitcnt vmcnt(0)
	v_fma_f32 v89, v89, v92, -v93
	v_fmac_f32_e32 v91, v90, v92
	v_add_f32_e32 v88, v88, v89
	v_add_f32_e32 v82, v82, v91
	s_andn2_b32 exec_lo, exec_lo, s5
	s_cbranch_execnz .LBB103_81
; %bb.82:
	s_or_b32 exec_lo, exec_lo, s5
	v_mov_b32_e32 v85, 0
	ds_read_b64 v[85:86], v85 offset:136
	s_waitcnt lgkmcnt(0)
	v_mul_f32_e32 v87, v82, v86
	v_mul_f32_e32 v86, v88, v86
	v_fma_f32 v87, v88, v85, -v87
	v_fmac_f32_e32 v86, v82, v85
	buffer_store_dword v87, off, s[0:3], 0 offset:136
	buffer_store_dword v86, off, s[0:3], 0 offset:140
.LBB103_83:
	s_or_b32 exec_lo, exec_lo, s4
	s_waitcnt_vscnt null, 0x0
	s_barrier
	buffer_gl0_inv
	s_clause 0x1
	buffer_load_dword v85, off, s[0:3], 0 offset:144
	buffer_load_dword v86, off, s[0:3], 0 offset:148
	s_mov_b32 s4, exec_lo
	s_waitcnt vmcnt(0)
	ds_write_b64 v84, v[85:86]
	s_waitcnt lgkmcnt(0)
	s_barrier
	buffer_gl0_inv
	v_cmpx_gt_u32_e32 18, v0
	s_cbranch_execz .LBB103_87
; %bb.84:
	v_add_nc_u32_e32 v85, -1, v0
	v_add_nc_u32_e32 v86, 0x140, v83
	v_mov_b32_e32 v87, v83
	v_mov_b32_e32 v82, 0
	;; [unrolled: 1-line block ×3, first 2 shown]
	s_mov_b32 s5, 0
	.p2align	6
.LBB103_85:                             ; =>This Inner Loop Header: Depth=1
	s_clause 0x1
	buffer_load_dword v91, v87, s[0:3], 0 offen offset:4
	buffer_load_dword v92, v87, s[0:3], 0 offen
	ds_read_b64 v[89:90], v86
	v_add_nc_u32_e32 v85, 1, v85
	v_add_nc_u32_e32 v86, 8, v86
	v_add_nc_u32_e32 v87, 8, v87
	v_cmp_lt_u32_e32 vcc_lo, 16, v85
	s_or_b32 s5, vcc_lo, s5
	s_waitcnt vmcnt(1) lgkmcnt(0)
	v_mul_f32_e32 v93, v90, v91
	v_mul_f32_e32 v91, v89, v91
	s_waitcnt vmcnt(0)
	v_fma_f32 v89, v89, v92, -v93
	v_fmac_f32_e32 v91, v90, v92
	v_add_f32_e32 v88, v88, v89
	v_add_f32_e32 v82, v82, v91
	s_andn2_b32 exec_lo, exec_lo, s5
	s_cbranch_execnz .LBB103_85
; %bb.86:
	s_or_b32 exec_lo, exec_lo, s5
	v_mov_b32_e32 v85, 0
	ds_read_b64 v[85:86], v85 offset:144
	s_waitcnt lgkmcnt(0)
	v_mul_f32_e32 v87, v82, v86
	v_mul_f32_e32 v86, v88, v86
	v_fma_f32 v87, v88, v85, -v87
	v_fmac_f32_e32 v86, v82, v85
	buffer_store_dword v87, off, s[0:3], 0 offset:144
	buffer_store_dword v86, off, s[0:3], 0 offset:148
.LBB103_87:
	s_or_b32 exec_lo, exec_lo, s4
	s_waitcnt_vscnt null, 0x0
	s_barrier
	buffer_gl0_inv
	s_clause 0x1
	buffer_load_dword v85, off, s[0:3], 0 offset:152
	buffer_load_dword v86, off, s[0:3], 0 offset:156
	s_mov_b32 s4, exec_lo
	s_waitcnt vmcnt(0)
	ds_write_b64 v84, v[85:86]
	s_waitcnt lgkmcnt(0)
	s_barrier
	buffer_gl0_inv
	v_cmpx_gt_u32_e32 19, v0
	s_cbranch_execz .LBB103_91
; %bb.88:
	v_add_nc_u32_e32 v85, -1, v0
	v_add_nc_u32_e32 v86, 0x140, v83
	v_mov_b32_e32 v87, v83
	v_mov_b32_e32 v82, 0
	;; [unrolled: 1-line block ×3, first 2 shown]
	s_mov_b32 s5, 0
	.p2align	6
.LBB103_89:                             ; =>This Inner Loop Header: Depth=1
	s_clause 0x1
	buffer_load_dword v91, v87, s[0:3], 0 offen offset:4
	buffer_load_dword v92, v87, s[0:3], 0 offen
	ds_read_b64 v[89:90], v86
	v_add_nc_u32_e32 v85, 1, v85
	v_add_nc_u32_e32 v86, 8, v86
	;; [unrolled: 1-line block ×3, first 2 shown]
	v_cmp_lt_u32_e32 vcc_lo, 17, v85
	s_or_b32 s5, vcc_lo, s5
	s_waitcnt vmcnt(1) lgkmcnt(0)
	v_mul_f32_e32 v93, v90, v91
	v_mul_f32_e32 v91, v89, v91
	s_waitcnt vmcnt(0)
	v_fma_f32 v89, v89, v92, -v93
	v_fmac_f32_e32 v91, v90, v92
	v_add_f32_e32 v88, v88, v89
	v_add_f32_e32 v82, v82, v91
	s_andn2_b32 exec_lo, exec_lo, s5
	s_cbranch_execnz .LBB103_89
; %bb.90:
	s_or_b32 exec_lo, exec_lo, s5
	v_mov_b32_e32 v85, 0
	ds_read_b64 v[85:86], v85 offset:152
	s_waitcnt lgkmcnt(0)
	v_mul_f32_e32 v87, v82, v86
	v_mul_f32_e32 v86, v88, v86
	v_fma_f32 v87, v88, v85, -v87
	v_fmac_f32_e32 v86, v82, v85
	buffer_store_dword v87, off, s[0:3], 0 offset:152
	buffer_store_dword v86, off, s[0:3], 0 offset:156
.LBB103_91:
	s_or_b32 exec_lo, exec_lo, s4
	s_waitcnt_vscnt null, 0x0
	s_barrier
	buffer_gl0_inv
	s_clause 0x1
	buffer_load_dword v85, off, s[0:3], 0 offset:160
	buffer_load_dword v86, off, s[0:3], 0 offset:164
	s_mov_b32 s4, exec_lo
	s_waitcnt vmcnt(0)
	ds_write_b64 v84, v[85:86]
	s_waitcnt lgkmcnt(0)
	s_barrier
	buffer_gl0_inv
	v_cmpx_gt_u32_e32 20, v0
	s_cbranch_execz .LBB103_95
; %bb.92:
	v_add_nc_u32_e32 v85, -1, v0
	v_add_nc_u32_e32 v86, 0x140, v83
	v_mov_b32_e32 v87, v83
	v_mov_b32_e32 v82, 0
	;; [unrolled: 1-line block ×3, first 2 shown]
	s_mov_b32 s5, 0
	.p2align	6
.LBB103_93:                             ; =>This Inner Loop Header: Depth=1
	s_clause 0x1
	buffer_load_dword v91, v87, s[0:3], 0 offen offset:4
	buffer_load_dword v92, v87, s[0:3], 0 offen
	ds_read_b64 v[89:90], v86
	v_add_nc_u32_e32 v85, 1, v85
	v_add_nc_u32_e32 v86, 8, v86
	v_add_nc_u32_e32 v87, 8, v87
	v_cmp_lt_u32_e32 vcc_lo, 18, v85
	s_or_b32 s5, vcc_lo, s5
	s_waitcnt vmcnt(1) lgkmcnt(0)
	v_mul_f32_e32 v93, v90, v91
	v_mul_f32_e32 v91, v89, v91
	s_waitcnt vmcnt(0)
	v_fma_f32 v89, v89, v92, -v93
	v_fmac_f32_e32 v91, v90, v92
	v_add_f32_e32 v88, v88, v89
	v_add_f32_e32 v82, v82, v91
	s_andn2_b32 exec_lo, exec_lo, s5
	s_cbranch_execnz .LBB103_93
; %bb.94:
	s_or_b32 exec_lo, exec_lo, s5
	v_mov_b32_e32 v85, 0
	ds_read_b64 v[85:86], v85 offset:160
	s_waitcnt lgkmcnt(0)
	v_mul_f32_e32 v87, v82, v86
	v_mul_f32_e32 v86, v88, v86
	v_fma_f32 v87, v88, v85, -v87
	v_fmac_f32_e32 v86, v82, v85
	buffer_store_dword v87, off, s[0:3], 0 offset:160
	buffer_store_dword v86, off, s[0:3], 0 offset:164
.LBB103_95:
	s_or_b32 exec_lo, exec_lo, s4
	s_waitcnt_vscnt null, 0x0
	s_barrier
	buffer_gl0_inv
	s_clause 0x1
	buffer_load_dword v85, off, s[0:3], 0 offset:168
	buffer_load_dword v86, off, s[0:3], 0 offset:172
	s_mov_b32 s4, exec_lo
	s_waitcnt vmcnt(0)
	ds_write_b64 v84, v[85:86]
	s_waitcnt lgkmcnt(0)
	s_barrier
	buffer_gl0_inv
	v_cmpx_gt_u32_e32 21, v0
	s_cbranch_execz .LBB103_99
; %bb.96:
	v_add_nc_u32_e32 v85, -1, v0
	v_add_nc_u32_e32 v86, 0x140, v83
	v_mov_b32_e32 v87, v83
	v_mov_b32_e32 v82, 0
	;; [unrolled: 1-line block ×3, first 2 shown]
	s_mov_b32 s5, 0
	.p2align	6
.LBB103_97:                             ; =>This Inner Loop Header: Depth=1
	s_clause 0x1
	buffer_load_dword v91, v87, s[0:3], 0 offen offset:4
	buffer_load_dword v92, v87, s[0:3], 0 offen
	ds_read_b64 v[89:90], v86
	v_add_nc_u32_e32 v85, 1, v85
	v_add_nc_u32_e32 v86, 8, v86
	;; [unrolled: 1-line block ×3, first 2 shown]
	v_cmp_lt_u32_e32 vcc_lo, 19, v85
	s_or_b32 s5, vcc_lo, s5
	s_waitcnt vmcnt(1) lgkmcnt(0)
	v_mul_f32_e32 v93, v90, v91
	v_mul_f32_e32 v91, v89, v91
	s_waitcnt vmcnt(0)
	v_fma_f32 v89, v89, v92, -v93
	v_fmac_f32_e32 v91, v90, v92
	v_add_f32_e32 v88, v88, v89
	v_add_f32_e32 v82, v82, v91
	s_andn2_b32 exec_lo, exec_lo, s5
	s_cbranch_execnz .LBB103_97
; %bb.98:
	s_or_b32 exec_lo, exec_lo, s5
	v_mov_b32_e32 v85, 0
	ds_read_b64 v[85:86], v85 offset:168
	s_waitcnt lgkmcnt(0)
	v_mul_f32_e32 v87, v82, v86
	v_mul_f32_e32 v86, v88, v86
	v_fma_f32 v87, v88, v85, -v87
	v_fmac_f32_e32 v86, v82, v85
	buffer_store_dword v87, off, s[0:3], 0 offset:168
	buffer_store_dword v86, off, s[0:3], 0 offset:172
.LBB103_99:
	s_or_b32 exec_lo, exec_lo, s4
	s_waitcnt_vscnt null, 0x0
	s_barrier
	buffer_gl0_inv
	s_clause 0x1
	buffer_load_dword v85, off, s[0:3], 0 offset:176
	buffer_load_dword v86, off, s[0:3], 0 offset:180
	s_mov_b32 s4, exec_lo
	s_waitcnt vmcnt(0)
	ds_write_b64 v84, v[85:86]
	s_waitcnt lgkmcnt(0)
	s_barrier
	buffer_gl0_inv
	v_cmpx_gt_u32_e32 22, v0
	s_cbranch_execz .LBB103_103
; %bb.100:
	v_add_nc_u32_e32 v85, -1, v0
	v_add_nc_u32_e32 v86, 0x140, v83
	v_mov_b32_e32 v87, v83
	v_mov_b32_e32 v82, 0
	;; [unrolled: 1-line block ×3, first 2 shown]
	s_mov_b32 s5, 0
	.p2align	6
.LBB103_101:                            ; =>This Inner Loop Header: Depth=1
	s_clause 0x1
	buffer_load_dword v91, v87, s[0:3], 0 offen offset:4
	buffer_load_dword v92, v87, s[0:3], 0 offen
	ds_read_b64 v[89:90], v86
	v_add_nc_u32_e32 v85, 1, v85
	v_add_nc_u32_e32 v86, 8, v86
	;; [unrolled: 1-line block ×3, first 2 shown]
	v_cmp_lt_u32_e32 vcc_lo, 20, v85
	s_or_b32 s5, vcc_lo, s5
	s_waitcnt vmcnt(1) lgkmcnt(0)
	v_mul_f32_e32 v93, v90, v91
	v_mul_f32_e32 v91, v89, v91
	s_waitcnt vmcnt(0)
	v_fma_f32 v89, v89, v92, -v93
	v_fmac_f32_e32 v91, v90, v92
	v_add_f32_e32 v88, v88, v89
	v_add_f32_e32 v82, v82, v91
	s_andn2_b32 exec_lo, exec_lo, s5
	s_cbranch_execnz .LBB103_101
; %bb.102:
	s_or_b32 exec_lo, exec_lo, s5
	v_mov_b32_e32 v85, 0
	ds_read_b64 v[85:86], v85 offset:176
	s_waitcnt lgkmcnt(0)
	v_mul_f32_e32 v87, v82, v86
	v_mul_f32_e32 v86, v88, v86
	v_fma_f32 v87, v88, v85, -v87
	v_fmac_f32_e32 v86, v82, v85
	buffer_store_dword v87, off, s[0:3], 0 offset:176
	buffer_store_dword v86, off, s[0:3], 0 offset:180
.LBB103_103:
	s_or_b32 exec_lo, exec_lo, s4
	s_waitcnt_vscnt null, 0x0
	s_barrier
	buffer_gl0_inv
	s_clause 0x1
	buffer_load_dword v85, off, s[0:3], 0 offset:184
	buffer_load_dword v86, off, s[0:3], 0 offset:188
	s_mov_b32 s4, exec_lo
	s_waitcnt vmcnt(0)
	ds_write_b64 v84, v[85:86]
	s_waitcnt lgkmcnt(0)
	s_barrier
	buffer_gl0_inv
	v_cmpx_gt_u32_e32 23, v0
	s_cbranch_execz .LBB103_107
; %bb.104:
	v_add_nc_u32_e32 v85, -1, v0
	v_add_nc_u32_e32 v86, 0x140, v83
	v_mov_b32_e32 v87, v83
	v_mov_b32_e32 v82, 0
	;; [unrolled: 1-line block ×3, first 2 shown]
	s_mov_b32 s5, 0
	.p2align	6
.LBB103_105:                            ; =>This Inner Loop Header: Depth=1
	s_clause 0x1
	buffer_load_dword v91, v87, s[0:3], 0 offen offset:4
	buffer_load_dword v92, v87, s[0:3], 0 offen
	ds_read_b64 v[89:90], v86
	v_add_nc_u32_e32 v85, 1, v85
	v_add_nc_u32_e32 v86, 8, v86
	;; [unrolled: 1-line block ×3, first 2 shown]
	v_cmp_lt_u32_e32 vcc_lo, 21, v85
	s_or_b32 s5, vcc_lo, s5
	s_waitcnt vmcnt(1) lgkmcnt(0)
	v_mul_f32_e32 v93, v90, v91
	v_mul_f32_e32 v91, v89, v91
	s_waitcnt vmcnt(0)
	v_fma_f32 v89, v89, v92, -v93
	v_fmac_f32_e32 v91, v90, v92
	v_add_f32_e32 v88, v88, v89
	v_add_f32_e32 v82, v82, v91
	s_andn2_b32 exec_lo, exec_lo, s5
	s_cbranch_execnz .LBB103_105
; %bb.106:
	s_or_b32 exec_lo, exec_lo, s5
	v_mov_b32_e32 v85, 0
	ds_read_b64 v[85:86], v85 offset:184
	s_waitcnt lgkmcnt(0)
	v_mul_f32_e32 v87, v82, v86
	v_mul_f32_e32 v86, v88, v86
	v_fma_f32 v87, v88, v85, -v87
	v_fmac_f32_e32 v86, v82, v85
	buffer_store_dword v87, off, s[0:3], 0 offset:184
	buffer_store_dword v86, off, s[0:3], 0 offset:188
.LBB103_107:
	s_or_b32 exec_lo, exec_lo, s4
	s_waitcnt_vscnt null, 0x0
	s_barrier
	buffer_gl0_inv
	s_clause 0x1
	buffer_load_dword v85, off, s[0:3], 0 offset:192
	buffer_load_dword v86, off, s[0:3], 0 offset:196
	s_mov_b32 s4, exec_lo
	s_waitcnt vmcnt(0)
	ds_write_b64 v84, v[85:86]
	s_waitcnt lgkmcnt(0)
	s_barrier
	buffer_gl0_inv
	v_cmpx_gt_u32_e32 24, v0
	s_cbranch_execz .LBB103_111
; %bb.108:
	v_add_nc_u32_e32 v85, -1, v0
	v_add_nc_u32_e32 v86, 0x140, v83
	v_mov_b32_e32 v87, v83
	v_mov_b32_e32 v82, 0
	v_mov_b32_e32 v88, 0
	s_mov_b32 s5, 0
	.p2align	6
.LBB103_109:                            ; =>This Inner Loop Header: Depth=1
	s_clause 0x1
	buffer_load_dword v91, v87, s[0:3], 0 offen offset:4
	buffer_load_dword v92, v87, s[0:3], 0 offen
	ds_read_b64 v[89:90], v86
	v_add_nc_u32_e32 v85, 1, v85
	v_add_nc_u32_e32 v86, 8, v86
	;; [unrolled: 1-line block ×3, first 2 shown]
	v_cmp_lt_u32_e32 vcc_lo, 22, v85
	s_or_b32 s5, vcc_lo, s5
	s_waitcnt vmcnt(1) lgkmcnt(0)
	v_mul_f32_e32 v93, v90, v91
	v_mul_f32_e32 v91, v89, v91
	s_waitcnt vmcnt(0)
	v_fma_f32 v89, v89, v92, -v93
	v_fmac_f32_e32 v91, v90, v92
	v_add_f32_e32 v88, v88, v89
	v_add_f32_e32 v82, v82, v91
	s_andn2_b32 exec_lo, exec_lo, s5
	s_cbranch_execnz .LBB103_109
; %bb.110:
	s_or_b32 exec_lo, exec_lo, s5
	v_mov_b32_e32 v85, 0
	ds_read_b64 v[85:86], v85 offset:192
	s_waitcnt lgkmcnt(0)
	v_mul_f32_e32 v87, v82, v86
	v_mul_f32_e32 v86, v88, v86
	v_fma_f32 v87, v88, v85, -v87
	v_fmac_f32_e32 v86, v82, v85
	buffer_store_dword v87, off, s[0:3], 0 offset:192
	buffer_store_dword v86, off, s[0:3], 0 offset:196
.LBB103_111:
	s_or_b32 exec_lo, exec_lo, s4
	s_waitcnt_vscnt null, 0x0
	s_barrier
	buffer_gl0_inv
	s_clause 0x1
	buffer_load_dword v85, off, s[0:3], 0 offset:200
	buffer_load_dword v86, off, s[0:3], 0 offset:204
	s_mov_b32 s4, exec_lo
	s_waitcnt vmcnt(0)
	ds_write_b64 v84, v[85:86]
	s_waitcnt lgkmcnt(0)
	s_barrier
	buffer_gl0_inv
	v_cmpx_gt_u32_e32 25, v0
	s_cbranch_execz .LBB103_115
; %bb.112:
	v_add_nc_u32_e32 v85, -1, v0
	v_add_nc_u32_e32 v86, 0x140, v83
	v_mov_b32_e32 v87, v83
	v_mov_b32_e32 v82, 0
	;; [unrolled: 1-line block ×3, first 2 shown]
	s_mov_b32 s5, 0
	.p2align	6
.LBB103_113:                            ; =>This Inner Loop Header: Depth=1
	s_clause 0x1
	buffer_load_dword v91, v87, s[0:3], 0 offen offset:4
	buffer_load_dword v92, v87, s[0:3], 0 offen
	ds_read_b64 v[89:90], v86
	v_add_nc_u32_e32 v85, 1, v85
	v_add_nc_u32_e32 v86, 8, v86
	;; [unrolled: 1-line block ×3, first 2 shown]
	v_cmp_lt_u32_e32 vcc_lo, 23, v85
	s_or_b32 s5, vcc_lo, s5
	s_waitcnt vmcnt(1) lgkmcnt(0)
	v_mul_f32_e32 v93, v90, v91
	v_mul_f32_e32 v91, v89, v91
	s_waitcnt vmcnt(0)
	v_fma_f32 v89, v89, v92, -v93
	v_fmac_f32_e32 v91, v90, v92
	v_add_f32_e32 v88, v88, v89
	v_add_f32_e32 v82, v82, v91
	s_andn2_b32 exec_lo, exec_lo, s5
	s_cbranch_execnz .LBB103_113
; %bb.114:
	s_or_b32 exec_lo, exec_lo, s5
	v_mov_b32_e32 v85, 0
	ds_read_b64 v[85:86], v85 offset:200
	s_waitcnt lgkmcnt(0)
	v_mul_f32_e32 v87, v82, v86
	v_mul_f32_e32 v86, v88, v86
	v_fma_f32 v87, v88, v85, -v87
	v_fmac_f32_e32 v86, v82, v85
	buffer_store_dword v87, off, s[0:3], 0 offset:200
	buffer_store_dword v86, off, s[0:3], 0 offset:204
.LBB103_115:
	s_or_b32 exec_lo, exec_lo, s4
	s_waitcnt_vscnt null, 0x0
	s_barrier
	buffer_gl0_inv
	s_clause 0x1
	buffer_load_dword v85, off, s[0:3], 0 offset:208
	buffer_load_dword v86, off, s[0:3], 0 offset:212
	s_mov_b32 s4, exec_lo
	s_waitcnt vmcnt(0)
	ds_write_b64 v84, v[85:86]
	s_waitcnt lgkmcnt(0)
	s_barrier
	buffer_gl0_inv
	v_cmpx_gt_u32_e32 26, v0
	s_cbranch_execz .LBB103_119
; %bb.116:
	v_add_nc_u32_e32 v85, -1, v0
	v_add_nc_u32_e32 v86, 0x140, v83
	v_mov_b32_e32 v87, v83
	v_mov_b32_e32 v82, 0
	;; [unrolled: 1-line block ×3, first 2 shown]
	s_mov_b32 s5, 0
	.p2align	6
.LBB103_117:                            ; =>This Inner Loop Header: Depth=1
	s_clause 0x1
	buffer_load_dword v91, v87, s[0:3], 0 offen offset:4
	buffer_load_dword v92, v87, s[0:3], 0 offen
	ds_read_b64 v[89:90], v86
	v_add_nc_u32_e32 v85, 1, v85
	v_add_nc_u32_e32 v86, 8, v86
	;; [unrolled: 1-line block ×3, first 2 shown]
	v_cmp_lt_u32_e32 vcc_lo, 24, v85
	s_or_b32 s5, vcc_lo, s5
	s_waitcnt vmcnt(1) lgkmcnt(0)
	v_mul_f32_e32 v93, v90, v91
	v_mul_f32_e32 v91, v89, v91
	s_waitcnt vmcnt(0)
	v_fma_f32 v89, v89, v92, -v93
	v_fmac_f32_e32 v91, v90, v92
	v_add_f32_e32 v88, v88, v89
	v_add_f32_e32 v82, v82, v91
	s_andn2_b32 exec_lo, exec_lo, s5
	s_cbranch_execnz .LBB103_117
; %bb.118:
	s_or_b32 exec_lo, exec_lo, s5
	v_mov_b32_e32 v85, 0
	ds_read_b64 v[85:86], v85 offset:208
	s_waitcnt lgkmcnt(0)
	v_mul_f32_e32 v87, v82, v86
	v_mul_f32_e32 v86, v88, v86
	v_fma_f32 v87, v88, v85, -v87
	v_fmac_f32_e32 v86, v82, v85
	buffer_store_dword v87, off, s[0:3], 0 offset:208
	buffer_store_dword v86, off, s[0:3], 0 offset:212
.LBB103_119:
	s_or_b32 exec_lo, exec_lo, s4
	s_waitcnt_vscnt null, 0x0
	s_barrier
	buffer_gl0_inv
	s_clause 0x1
	buffer_load_dword v85, off, s[0:3], 0 offset:216
	buffer_load_dword v86, off, s[0:3], 0 offset:220
	s_mov_b32 s4, exec_lo
	s_waitcnt vmcnt(0)
	ds_write_b64 v84, v[85:86]
	s_waitcnt lgkmcnt(0)
	s_barrier
	buffer_gl0_inv
	v_cmpx_gt_u32_e32 27, v0
	s_cbranch_execz .LBB103_123
; %bb.120:
	v_add_nc_u32_e32 v85, -1, v0
	v_add_nc_u32_e32 v86, 0x140, v83
	v_mov_b32_e32 v87, v83
	v_mov_b32_e32 v82, 0
	;; [unrolled: 1-line block ×3, first 2 shown]
	s_mov_b32 s5, 0
	.p2align	6
.LBB103_121:                            ; =>This Inner Loop Header: Depth=1
	s_clause 0x1
	buffer_load_dword v91, v87, s[0:3], 0 offen offset:4
	buffer_load_dword v92, v87, s[0:3], 0 offen
	ds_read_b64 v[89:90], v86
	v_add_nc_u32_e32 v85, 1, v85
	v_add_nc_u32_e32 v86, 8, v86
	;; [unrolled: 1-line block ×3, first 2 shown]
	v_cmp_lt_u32_e32 vcc_lo, 25, v85
	s_or_b32 s5, vcc_lo, s5
	s_waitcnt vmcnt(1) lgkmcnt(0)
	v_mul_f32_e32 v93, v90, v91
	v_mul_f32_e32 v91, v89, v91
	s_waitcnt vmcnt(0)
	v_fma_f32 v89, v89, v92, -v93
	v_fmac_f32_e32 v91, v90, v92
	v_add_f32_e32 v88, v88, v89
	v_add_f32_e32 v82, v82, v91
	s_andn2_b32 exec_lo, exec_lo, s5
	s_cbranch_execnz .LBB103_121
; %bb.122:
	s_or_b32 exec_lo, exec_lo, s5
	v_mov_b32_e32 v85, 0
	ds_read_b64 v[85:86], v85 offset:216
	s_waitcnt lgkmcnt(0)
	v_mul_f32_e32 v87, v82, v86
	v_mul_f32_e32 v86, v88, v86
	v_fma_f32 v87, v88, v85, -v87
	v_fmac_f32_e32 v86, v82, v85
	buffer_store_dword v87, off, s[0:3], 0 offset:216
	buffer_store_dword v86, off, s[0:3], 0 offset:220
.LBB103_123:
	s_or_b32 exec_lo, exec_lo, s4
	s_waitcnt_vscnt null, 0x0
	s_barrier
	buffer_gl0_inv
	s_clause 0x1
	buffer_load_dword v85, off, s[0:3], 0 offset:224
	buffer_load_dword v86, off, s[0:3], 0 offset:228
	s_mov_b32 s4, exec_lo
	s_waitcnt vmcnt(0)
	ds_write_b64 v84, v[85:86]
	s_waitcnt lgkmcnt(0)
	s_barrier
	buffer_gl0_inv
	v_cmpx_gt_u32_e32 28, v0
	s_cbranch_execz .LBB103_127
; %bb.124:
	v_add_nc_u32_e32 v85, -1, v0
	v_add_nc_u32_e32 v86, 0x140, v83
	v_mov_b32_e32 v87, v83
	v_mov_b32_e32 v82, 0
	;; [unrolled: 1-line block ×3, first 2 shown]
	s_mov_b32 s5, 0
	.p2align	6
.LBB103_125:                            ; =>This Inner Loop Header: Depth=1
	s_clause 0x1
	buffer_load_dword v91, v87, s[0:3], 0 offen offset:4
	buffer_load_dword v92, v87, s[0:3], 0 offen
	ds_read_b64 v[89:90], v86
	v_add_nc_u32_e32 v85, 1, v85
	v_add_nc_u32_e32 v86, 8, v86
	;; [unrolled: 1-line block ×3, first 2 shown]
	v_cmp_lt_u32_e32 vcc_lo, 26, v85
	s_or_b32 s5, vcc_lo, s5
	s_waitcnt vmcnt(1) lgkmcnt(0)
	v_mul_f32_e32 v93, v90, v91
	v_mul_f32_e32 v91, v89, v91
	s_waitcnt vmcnt(0)
	v_fma_f32 v89, v89, v92, -v93
	v_fmac_f32_e32 v91, v90, v92
	v_add_f32_e32 v88, v88, v89
	v_add_f32_e32 v82, v82, v91
	s_andn2_b32 exec_lo, exec_lo, s5
	s_cbranch_execnz .LBB103_125
; %bb.126:
	s_or_b32 exec_lo, exec_lo, s5
	v_mov_b32_e32 v85, 0
	ds_read_b64 v[85:86], v85 offset:224
	s_waitcnt lgkmcnt(0)
	v_mul_f32_e32 v87, v82, v86
	v_mul_f32_e32 v86, v88, v86
	v_fma_f32 v87, v88, v85, -v87
	v_fmac_f32_e32 v86, v82, v85
	buffer_store_dword v87, off, s[0:3], 0 offset:224
	buffer_store_dword v86, off, s[0:3], 0 offset:228
.LBB103_127:
	s_or_b32 exec_lo, exec_lo, s4
	s_waitcnt_vscnt null, 0x0
	s_barrier
	buffer_gl0_inv
	s_clause 0x1
	buffer_load_dword v85, off, s[0:3], 0 offset:232
	buffer_load_dword v86, off, s[0:3], 0 offset:236
	s_mov_b32 s4, exec_lo
	s_waitcnt vmcnt(0)
	ds_write_b64 v84, v[85:86]
	s_waitcnt lgkmcnt(0)
	s_barrier
	buffer_gl0_inv
	v_cmpx_gt_u32_e32 29, v0
	s_cbranch_execz .LBB103_131
; %bb.128:
	v_add_nc_u32_e32 v85, -1, v0
	v_add_nc_u32_e32 v86, 0x140, v83
	v_mov_b32_e32 v87, v83
	v_mov_b32_e32 v82, 0
	;; [unrolled: 1-line block ×3, first 2 shown]
	s_mov_b32 s5, 0
	.p2align	6
.LBB103_129:                            ; =>This Inner Loop Header: Depth=1
	s_clause 0x1
	buffer_load_dword v91, v87, s[0:3], 0 offen offset:4
	buffer_load_dword v92, v87, s[0:3], 0 offen
	ds_read_b64 v[89:90], v86
	v_add_nc_u32_e32 v85, 1, v85
	v_add_nc_u32_e32 v86, 8, v86
	;; [unrolled: 1-line block ×3, first 2 shown]
	v_cmp_lt_u32_e32 vcc_lo, 27, v85
	s_or_b32 s5, vcc_lo, s5
	s_waitcnt vmcnt(1) lgkmcnt(0)
	v_mul_f32_e32 v93, v90, v91
	v_mul_f32_e32 v91, v89, v91
	s_waitcnt vmcnt(0)
	v_fma_f32 v89, v89, v92, -v93
	v_fmac_f32_e32 v91, v90, v92
	v_add_f32_e32 v88, v88, v89
	v_add_f32_e32 v82, v82, v91
	s_andn2_b32 exec_lo, exec_lo, s5
	s_cbranch_execnz .LBB103_129
; %bb.130:
	s_or_b32 exec_lo, exec_lo, s5
	v_mov_b32_e32 v85, 0
	ds_read_b64 v[85:86], v85 offset:232
	s_waitcnt lgkmcnt(0)
	v_mul_f32_e32 v87, v82, v86
	v_mul_f32_e32 v86, v88, v86
	v_fma_f32 v87, v88, v85, -v87
	v_fmac_f32_e32 v86, v82, v85
	buffer_store_dword v87, off, s[0:3], 0 offset:232
	buffer_store_dword v86, off, s[0:3], 0 offset:236
.LBB103_131:
	s_or_b32 exec_lo, exec_lo, s4
	s_waitcnt_vscnt null, 0x0
	s_barrier
	buffer_gl0_inv
	s_clause 0x1
	buffer_load_dword v85, off, s[0:3], 0 offset:240
	buffer_load_dword v86, off, s[0:3], 0 offset:244
	s_mov_b32 s4, exec_lo
	s_waitcnt vmcnt(0)
	ds_write_b64 v84, v[85:86]
	s_waitcnt lgkmcnt(0)
	s_barrier
	buffer_gl0_inv
	v_cmpx_gt_u32_e32 30, v0
	s_cbranch_execz .LBB103_135
; %bb.132:
	v_add_nc_u32_e32 v85, -1, v0
	v_add_nc_u32_e32 v86, 0x140, v83
	v_mov_b32_e32 v87, v83
	v_mov_b32_e32 v82, 0
	;; [unrolled: 1-line block ×3, first 2 shown]
	s_mov_b32 s5, 0
	.p2align	6
.LBB103_133:                            ; =>This Inner Loop Header: Depth=1
	s_clause 0x1
	buffer_load_dword v91, v87, s[0:3], 0 offen offset:4
	buffer_load_dword v92, v87, s[0:3], 0 offen
	ds_read_b64 v[89:90], v86
	v_add_nc_u32_e32 v85, 1, v85
	v_add_nc_u32_e32 v86, 8, v86
	;; [unrolled: 1-line block ×3, first 2 shown]
	v_cmp_lt_u32_e32 vcc_lo, 28, v85
	s_or_b32 s5, vcc_lo, s5
	s_waitcnt vmcnt(1) lgkmcnt(0)
	v_mul_f32_e32 v93, v90, v91
	v_mul_f32_e32 v91, v89, v91
	s_waitcnt vmcnt(0)
	v_fma_f32 v89, v89, v92, -v93
	v_fmac_f32_e32 v91, v90, v92
	v_add_f32_e32 v88, v88, v89
	v_add_f32_e32 v82, v82, v91
	s_andn2_b32 exec_lo, exec_lo, s5
	s_cbranch_execnz .LBB103_133
; %bb.134:
	s_or_b32 exec_lo, exec_lo, s5
	v_mov_b32_e32 v85, 0
	ds_read_b64 v[85:86], v85 offset:240
	s_waitcnt lgkmcnt(0)
	v_mul_f32_e32 v87, v82, v86
	v_mul_f32_e32 v86, v88, v86
	v_fma_f32 v87, v88, v85, -v87
	v_fmac_f32_e32 v86, v82, v85
	buffer_store_dword v87, off, s[0:3], 0 offset:240
	buffer_store_dword v86, off, s[0:3], 0 offset:244
.LBB103_135:
	s_or_b32 exec_lo, exec_lo, s4
	s_waitcnt_vscnt null, 0x0
	s_barrier
	buffer_gl0_inv
	s_clause 0x1
	buffer_load_dword v85, off, s[0:3], 0 offset:248
	buffer_load_dword v86, off, s[0:3], 0 offset:252
	s_mov_b32 s4, exec_lo
	s_waitcnt vmcnt(0)
	ds_write_b64 v84, v[85:86]
	s_waitcnt lgkmcnt(0)
	s_barrier
	buffer_gl0_inv
	v_cmpx_gt_u32_e32 31, v0
	s_cbranch_execz .LBB103_139
; %bb.136:
	v_add_nc_u32_e32 v85, -1, v0
	v_add_nc_u32_e32 v86, 0x140, v83
	v_mov_b32_e32 v87, v83
	v_mov_b32_e32 v82, 0
	;; [unrolled: 1-line block ×3, first 2 shown]
	s_mov_b32 s5, 0
	.p2align	6
.LBB103_137:                            ; =>This Inner Loop Header: Depth=1
	s_clause 0x1
	buffer_load_dword v91, v87, s[0:3], 0 offen offset:4
	buffer_load_dword v92, v87, s[0:3], 0 offen
	ds_read_b64 v[89:90], v86
	v_add_nc_u32_e32 v85, 1, v85
	v_add_nc_u32_e32 v86, 8, v86
	;; [unrolled: 1-line block ×3, first 2 shown]
	v_cmp_lt_u32_e32 vcc_lo, 29, v85
	s_or_b32 s5, vcc_lo, s5
	s_waitcnt vmcnt(1) lgkmcnt(0)
	v_mul_f32_e32 v93, v90, v91
	v_mul_f32_e32 v91, v89, v91
	s_waitcnt vmcnt(0)
	v_fma_f32 v89, v89, v92, -v93
	v_fmac_f32_e32 v91, v90, v92
	v_add_f32_e32 v88, v88, v89
	v_add_f32_e32 v82, v82, v91
	s_andn2_b32 exec_lo, exec_lo, s5
	s_cbranch_execnz .LBB103_137
; %bb.138:
	s_or_b32 exec_lo, exec_lo, s5
	v_mov_b32_e32 v85, 0
	ds_read_b64 v[85:86], v85 offset:248
	s_waitcnt lgkmcnt(0)
	v_mul_f32_e32 v87, v82, v86
	v_mul_f32_e32 v86, v88, v86
	v_fma_f32 v87, v88, v85, -v87
	v_fmac_f32_e32 v86, v82, v85
	buffer_store_dword v87, off, s[0:3], 0 offset:248
	buffer_store_dword v86, off, s[0:3], 0 offset:252
.LBB103_139:
	s_or_b32 exec_lo, exec_lo, s4
	s_waitcnt_vscnt null, 0x0
	s_barrier
	buffer_gl0_inv
	s_clause 0x1
	buffer_load_dword v85, off, s[0:3], 0 offset:256
	buffer_load_dword v86, off, s[0:3], 0 offset:260
	s_mov_b32 s4, exec_lo
	s_waitcnt vmcnt(0)
	ds_write_b64 v84, v[85:86]
	s_waitcnt lgkmcnt(0)
	s_barrier
	buffer_gl0_inv
	v_cmpx_gt_u32_e32 32, v0
	s_cbranch_execz .LBB103_143
; %bb.140:
	v_add_nc_u32_e32 v85, -1, v0
	v_add_nc_u32_e32 v86, 0x140, v83
	v_mov_b32_e32 v87, v83
	v_mov_b32_e32 v82, 0
	;; [unrolled: 1-line block ×3, first 2 shown]
	s_mov_b32 s5, 0
	.p2align	6
.LBB103_141:                            ; =>This Inner Loop Header: Depth=1
	s_clause 0x1
	buffer_load_dword v91, v87, s[0:3], 0 offen offset:4
	buffer_load_dword v92, v87, s[0:3], 0 offen
	ds_read_b64 v[89:90], v86
	v_add_nc_u32_e32 v85, 1, v85
	v_add_nc_u32_e32 v86, 8, v86
	;; [unrolled: 1-line block ×3, first 2 shown]
	v_cmp_lt_u32_e32 vcc_lo, 30, v85
	s_or_b32 s5, vcc_lo, s5
	s_waitcnt vmcnt(1) lgkmcnt(0)
	v_mul_f32_e32 v93, v90, v91
	v_mul_f32_e32 v91, v89, v91
	s_waitcnt vmcnt(0)
	v_fma_f32 v89, v89, v92, -v93
	v_fmac_f32_e32 v91, v90, v92
	v_add_f32_e32 v88, v88, v89
	v_add_f32_e32 v82, v82, v91
	s_andn2_b32 exec_lo, exec_lo, s5
	s_cbranch_execnz .LBB103_141
; %bb.142:
	s_or_b32 exec_lo, exec_lo, s5
	v_mov_b32_e32 v85, 0
	ds_read_b64 v[85:86], v85 offset:256
	s_waitcnt lgkmcnt(0)
	v_mul_f32_e32 v87, v82, v86
	v_mul_f32_e32 v86, v88, v86
	v_fma_f32 v87, v88, v85, -v87
	v_fmac_f32_e32 v86, v82, v85
	buffer_store_dword v87, off, s[0:3], 0 offset:256
	buffer_store_dword v86, off, s[0:3], 0 offset:260
.LBB103_143:
	s_or_b32 exec_lo, exec_lo, s4
	s_waitcnt_vscnt null, 0x0
	s_barrier
	buffer_gl0_inv
	s_clause 0x1
	buffer_load_dword v85, off, s[0:3], 0 offset:264
	buffer_load_dword v86, off, s[0:3], 0 offset:268
	s_mov_b32 s4, exec_lo
	s_waitcnt vmcnt(0)
	ds_write_b64 v84, v[85:86]
	s_waitcnt lgkmcnt(0)
	s_barrier
	buffer_gl0_inv
	v_cmpx_gt_u32_e32 33, v0
	s_cbranch_execz .LBB103_147
; %bb.144:
	v_add_nc_u32_e32 v85, -1, v0
	v_add_nc_u32_e32 v86, 0x140, v83
	v_mov_b32_e32 v87, v83
	v_mov_b32_e32 v82, 0
	;; [unrolled: 1-line block ×3, first 2 shown]
	s_mov_b32 s5, 0
	.p2align	6
.LBB103_145:                            ; =>This Inner Loop Header: Depth=1
	s_clause 0x1
	buffer_load_dword v91, v87, s[0:3], 0 offen offset:4
	buffer_load_dword v92, v87, s[0:3], 0 offen
	ds_read_b64 v[89:90], v86
	v_add_nc_u32_e32 v85, 1, v85
	v_add_nc_u32_e32 v86, 8, v86
	;; [unrolled: 1-line block ×3, first 2 shown]
	v_cmp_lt_u32_e32 vcc_lo, 31, v85
	s_or_b32 s5, vcc_lo, s5
	s_waitcnt vmcnt(1) lgkmcnt(0)
	v_mul_f32_e32 v93, v90, v91
	v_mul_f32_e32 v91, v89, v91
	s_waitcnt vmcnt(0)
	v_fma_f32 v89, v89, v92, -v93
	v_fmac_f32_e32 v91, v90, v92
	v_add_f32_e32 v88, v88, v89
	v_add_f32_e32 v82, v82, v91
	s_andn2_b32 exec_lo, exec_lo, s5
	s_cbranch_execnz .LBB103_145
; %bb.146:
	s_or_b32 exec_lo, exec_lo, s5
	v_mov_b32_e32 v85, 0
	ds_read_b64 v[85:86], v85 offset:264
	s_waitcnt lgkmcnt(0)
	v_mul_f32_e32 v87, v82, v86
	v_mul_f32_e32 v86, v88, v86
	v_fma_f32 v87, v88, v85, -v87
	v_fmac_f32_e32 v86, v82, v85
	buffer_store_dword v87, off, s[0:3], 0 offset:264
	buffer_store_dword v86, off, s[0:3], 0 offset:268
.LBB103_147:
	s_or_b32 exec_lo, exec_lo, s4
	s_waitcnt_vscnt null, 0x0
	s_barrier
	buffer_gl0_inv
	s_clause 0x1
	buffer_load_dword v85, off, s[0:3], 0 offset:272
	buffer_load_dword v86, off, s[0:3], 0 offset:276
	s_mov_b32 s4, exec_lo
	s_waitcnt vmcnt(0)
	ds_write_b64 v84, v[85:86]
	s_waitcnt lgkmcnt(0)
	s_barrier
	buffer_gl0_inv
	v_cmpx_gt_u32_e32 34, v0
	s_cbranch_execz .LBB103_151
; %bb.148:
	v_add_nc_u32_e32 v85, -1, v0
	v_add_nc_u32_e32 v86, 0x140, v83
	v_mov_b32_e32 v87, v83
	v_mov_b32_e32 v82, 0
	;; [unrolled: 1-line block ×3, first 2 shown]
	s_mov_b32 s5, 0
	.p2align	6
.LBB103_149:                            ; =>This Inner Loop Header: Depth=1
	s_clause 0x1
	buffer_load_dword v91, v87, s[0:3], 0 offen offset:4
	buffer_load_dword v92, v87, s[0:3], 0 offen
	ds_read_b64 v[89:90], v86
	v_add_nc_u32_e32 v85, 1, v85
	v_add_nc_u32_e32 v86, 8, v86
	;; [unrolled: 1-line block ×3, first 2 shown]
	v_cmp_lt_u32_e32 vcc_lo, 32, v85
	s_or_b32 s5, vcc_lo, s5
	s_waitcnt vmcnt(1) lgkmcnt(0)
	v_mul_f32_e32 v93, v90, v91
	v_mul_f32_e32 v91, v89, v91
	s_waitcnt vmcnt(0)
	v_fma_f32 v89, v89, v92, -v93
	v_fmac_f32_e32 v91, v90, v92
	v_add_f32_e32 v88, v88, v89
	v_add_f32_e32 v82, v82, v91
	s_andn2_b32 exec_lo, exec_lo, s5
	s_cbranch_execnz .LBB103_149
; %bb.150:
	s_or_b32 exec_lo, exec_lo, s5
	v_mov_b32_e32 v85, 0
	ds_read_b64 v[85:86], v85 offset:272
	s_waitcnt lgkmcnt(0)
	v_mul_f32_e32 v87, v82, v86
	v_mul_f32_e32 v86, v88, v86
	v_fma_f32 v87, v88, v85, -v87
	v_fmac_f32_e32 v86, v82, v85
	buffer_store_dword v87, off, s[0:3], 0 offset:272
	buffer_store_dword v86, off, s[0:3], 0 offset:276
.LBB103_151:
	s_or_b32 exec_lo, exec_lo, s4
	s_waitcnt_vscnt null, 0x0
	s_barrier
	buffer_gl0_inv
	s_clause 0x1
	buffer_load_dword v85, off, s[0:3], 0 offset:280
	buffer_load_dword v86, off, s[0:3], 0 offset:284
	s_mov_b32 s4, exec_lo
	s_waitcnt vmcnt(0)
	ds_write_b64 v84, v[85:86]
	s_waitcnt lgkmcnt(0)
	s_barrier
	buffer_gl0_inv
	v_cmpx_gt_u32_e32 35, v0
	s_cbranch_execz .LBB103_155
; %bb.152:
	v_add_nc_u32_e32 v85, -1, v0
	v_add_nc_u32_e32 v86, 0x140, v83
	v_mov_b32_e32 v87, v83
	v_mov_b32_e32 v82, 0
	;; [unrolled: 1-line block ×3, first 2 shown]
	s_mov_b32 s5, 0
	.p2align	6
.LBB103_153:                            ; =>This Inner Loop Header: Depth=1
	s_clause 0x1
	buffer_load_dword v91, v87, s[0:3], 0 offen offset:4
	buffer_load_dword v92, v87, s[0:3], 0 offen
	ds_read_b64 v[89:90], v86
	v_add_nc_u32_e32 v85, 1, v85
	v_add_nc_u32_e32 v86, 8, v86
	;; [unrolled: 1-line block ×3, first 2 shown]
	v_cmp_lt_u32_e32 vcc_lo, 33, v85
	s_or_b32 s5, vcc_lo, s5
	s_waitcnt vmcnt(1) lgkmcnt(0)
	v_mul_f32_e32 v93, v90, v91
	v_mul_f32_e32 v91, v89, v91
	s_waitcnt vmcnt(0)
	v_fma_f32 v89, v89, v92, -v93
	v_fmac_f32_e32 v91, v90, v92
	v_add_f32_e32 v88, v88, v89
	v_add_f32_e32 v82, v82, v91
	s_andn2_b32 exec_lo, exec_lo, s5
	s_cbranch_execnz .LBB103_153
; %bb.154:
	s_or_b32 exec_lo, exec_lo, s5
	v_mov_b32_e32 v85, 0
	ds_read_b64 v[85:86], v85 offset:280
	s_waitcnt lgkmcnt(0)
	v_mul_f32_e32 v87, v82, v86
	v_mul_f32_e32 v86, v88, v86
	v_fma_f32 v87, v88, v85, -v87
	v_fmac_f32_e32 v86, v82, v85
	buffer_store_dword v87, off, s[0:3], 0 offset:280
	buffer_store_dword v86, off, s[0:3], 0 offset:284
.LBB103_155:
	s_or_b32 exec_lo, exec_lo, s4
	s_waitcnt_vscnt null, 0x0
	s_barrier
	buffer_gl0_inv
	s_clause 0x1
	buffer_load_dword v85, off, s[0:3], 0 offset:288
	buffer_load_dword v86, off, s[0:3], 0 offset:292
	s_mov_b32 s4, exec_lo
	s_waitcnt vmcnt(0)
	ds_write_b64 v84, v[85:86]
	s_waitcnt lgkmcnt(0)
	s_barrier
	buffer_gl0_inv
	v_cmpx_gt_u32_e32 36, v0
	s_cbranch_execz .LBB103_159
; %bb.156:
	v_add_nc_u32_e32 v85, -1, v0
	v_add_nc_u32_e32 v86, 0x140, v83
	v_mov_b32_e32 v87, v83
	v_mov_b32_e32 v82, 0
	;; [unrolled: 1-line block ×3, first 2 shown]
	s_mov_b32 s5, 0
	.p2align	6
.LBB103_157:                            ; =>This Inner Loop Header: Depth=1
	s_clause 0x1
	buffer_load_dword v91, v87, s[0:3], 0 offen offset:4
	buffer_load_dword v92, v87, s[0:3], 0 offen
	ds_read_b64 v[89:90], v86
	v_add_nc_u32_e32 v85, 1, v85
	v_add_nc_u32_e32 v86, 8, v86
	v_add_nc_u32_e32 v87, 8, v87
	v_cmp_lt_u32_e32 vcc_lo, 34, v85
	s_or_b32 s5, vcc_lo, s5
	s_waitcnt vmcnt(1) lgkmcnt(0)
	v_mul_f32_e32 v93, v90, v91
	v_mul_f32_e32 v91, v89, v91
	s_waitcnt vmcnt(0)
	v_fma_f32 v89, v89, v92, -v93
	v_fmac_f32_e32 v91, v90, v92
	v_add_f32_e32 v88, v88, v89
	v_add_f32_e32 v82, v82, v91
	s_andn2_b32 exec_lo, exec_lo, s5
	s_cbranch_execnz .LBB103_157
; %bb.158:
	s_or_b32 exec_lo, exec_lo, s5
	v_mov_b32_e32 v85, 0
	ds_read_b64 v[85:86], v85 offset:288
	s_waitcnt lgkmcnt(0)
	v_mul_f32_e32 v87, v82, v86
	v_mul_f32_e32 v86, v88, v86
	v_fma_f32 v87, v88, v85, -v87
	v_fmac_f32_e32 v86, v82, v85
	buffer_store_dword v87, off, s[0:3], 0 offset:288
	buffer_store_dword v86, off, s[0:3], 0 offset:292
.LBB103_159:
	s_or_b32 exec_lo, exec_lo, s4
	s_waitcnt_vscnt null, 0x0
	s_barrier
	buffer_gl0_inv
	s_clause 0x1
	buffer_load_dword v85, off, s[0:3], 0 offset:296
	buffer_load_dword v86, off, s[0:3], 0 offset:300
	s_mov_b32 s4, exec_lo
	s_waitcnt vmcnt(0)
	ds_write_b64 v84, v[85:86]
	s_waitcnt lgkmcnt(0)
	s_barrier
	buffer_gl0_inv
	v_cmpx_gt_u32_e32 37, v0
	s_cbranch_execz .LBB103_163
; %bb.160:
	v_add_nc_u32_e32 v85, -1, v0
	v_add_nc_u32_e32 v86, 0x140, v83
	v_mov_b32_e32 v87, v83
	v_mov_b32_e32 v82, 0
	;; [unrolled: 1-line block ×3, first 2 shown]
	s_mov_b32 s5, 0
	.p2align	6
.LBB103_161:                            ; =>This Inner Loop Header: Depth=1
	s_clause 0x1
	buffer_load_dword v91, v87, s[0:3], 0 offen offset:4
	buffer_load_dword v92, v87, s[0:3], 0 offen
	ds_read_b64 v[89:90], v86
	v_add_nc_u32_e32 v85, 1, v85
	v_add_nc_u32_e32 v86, 8, v86
	;; [unrolled: 1-line block ×3, first 2 shown]
	v_cmp_lt_u32_e32 vcc_lo, 35, v85
	s_or_b32 s5, vcc_lo, s5
	s_waitcnt vmcnt(1) lgkmcnt(0)
	v_mul_f32_e32 v93, v90, v91
	v_mul_f32_e32 v91, v89, v91
	s_waitcnt vmcnt(0)
	v_fma_f32 v89, v89, v92, -v93
	v_fmac_f32_e32 v91, v90, v92
	v_add_f32_e32 v88, v88, v89
	v_add_f32_e32 v82, v82, v91
	s_andn2_b32 exec_lo, exec_lo, s5
	s_cbranch_execnz .LBB103_161
; %bb.162:
	s_or_b32 exec_lo, exec_lo, s5
	v_mov_b32_e32 v85, 0
	ds_read_b64 v[85:86], v85 offset:296
	s_waitcnt lgkmcnt(0)
	v_mul_f32_e32 v87, v82, v86
	v_mul_f32_e32 v86, v88, v86
	v_fma_f32 v87, v88, v85, -v87
	v_fmac_f32_e32 v86, v82, v85
	buffer_store_dword v87, off, s[0:3], 0 offset:296
	buffer_store_dword v86, off, s[0:3], 0 offset:300
.LBB103_163:
	s_or_b32 exec_lo, exec_lo, s4
	s_waitcnt_vscnt null, 0x0
	s_barrier
	buffer_gl0_inv
	s_clause 0x1
	buffer_load_dword v85, off, s[0:3], 0 offset:304
	buffer_load_dword v86, off, s[0:3], 0 offset:308
	s_mov_b32 s4, exec_lo
	s_waitcnt vmcnt(0)
	ds_write_b64 v84, v[85:86]
	s_waitcnt lgkmcnt(0)
	s_barrier
	buffer_gl0_inv
	v_cmpx_gt_u32_e32 38, v0
	s_cbranch_execz .LBB103_167
; %bb.164:
	v_add_nc_u32_e32 v85, -1, v0
	v_add_nc_u32_e32 v86, 0x140, v83
	v_mov_b32_e32 v87, v83
	v_mov_b32_e32 v82, 0
	;; [unrolled: 1-line block ×3, first 2 shown]
	s_mov_b32 s5, 0
	.p2align	6
.LBB103_165:                            ; =>This Inner Loop Header: Depth=1
	s_clause 0x1
	buffer_load_dword v91, v87, s[0:3], 0 offen offset:4
	buffer_load_dword v92, v87, s[0:3], 0 offen
	ds_read_b64 v[89:90], v86
	v_add_nc_u32_e32 v85, 1, v85
	v_add_nc_u32_e32 v86, 8, v86
	;; [unrolled: 1-line block ×3, first 2 shown]
	v_cmp_lt_u32_e32 vcc_lo, 36, v85
	s_or_b32 s5, vcc_lo, s5
	s_waitcnt vmcnt(1) lgkmcnt(0)
	v_mul_f32_e32 v93, v90, v91
	v_mul_f32_e32 v91, v89, v91
	s_waitcnt vmcnt(0)
	v_fma_f32 v89, v89, v92, -v93
	v_fmac_f32_e32 v91, v90, v92
	v_add_f32_e32 v88, v88, v89
	v_add_f32_e32 v82, v82, v91
	s_andn2_b32 exec_lo, exec_lo, s5
	s_cbranch_execnz .LBB103_165
; %bb.166:
	s_or_b32 exec_lo, exec_lo, s5
	v_mov_b32_e32 v85, 0
	ds_read_b64 v[85:86], v85 offset:304
	s_waitcnt lgkmcnt(0)
	v_mul_f32_e32 v87, v82, v86
	v_mul_f32_e32 v86, v88, v86
	v_fma_f32 v87, v88, v85, -v87
	v_fmac_f32_e32 v86, v82, v85
	buffer_store_dword v87, off, s[0:3], 0 offset:304
	buffer_store_dword v86, off, s[0:3], 0 offset:308
.LBB103_167:
	s_or_b32 exec_lo, exec_lo, s4
	s_waitcnt_vscnt null, 0x0
	s_barrier
	buffer_gl0_inv
	s_clause 0x1
	buffer_load_dword v85, off, s[0:3], 0 offset:312
	buffer_load_dword v86, off, s[0:3], 0 offset:316
	s_mov_b32 s4, exec_lo
	s_waitcnt vmcnt(0)
	ds_write_b64 v84, v[85:86]
	s_waitcnt lgkmcnt(0)
	s_barrier
	buffer_gl0_inv
	v_cmpx_ne_u32_e32 39, v0
	s_cbranch_execz .LBB103_171
; %bb.168:
	v_mov_b32_e32 v82, 0
	v_mov_b32_e32 v85, 0
	s_mov_b32 s5, 0
	.p2align	6
.LBB103_169:                            ; =>This Inner Loop Header: Depth=1
	s_clause 0x1
	buffer_load_dword v88, v83, s[0:3], 0 offen offset:4
	buffer_load_dword v89, v83, s[0:3], 0 offen
	ds_read_b64 v[86:87], v84
	v_add_nc_u32_e32 v81, 1, v81
	v_add_nc_u32_e32 v84, 8, v84
	;; [unrolled: 1-line block ×3, first 2 shown]
	v_cmp_lt_u32_e32 vcc_lo, 37, v81
	s_or_b32 s5, vcc_lo, s5
	s_waitcnt vmcnt(1) lgkmcnt(0)
	v_mul_f32_e32 v90, v87, v88
	v_mul_f32_e32 v88, v86, v88
	s_waitcnt vmcnt(0)
	v_fma_f32 v86, v86, v89, -v90
	v_fmac_f32_e32 v88, v87, v89
	v_add_f32_e32 v85, v85, v86
	v_add_f32_e32 v82, v82, v88
	s_andn2_b32 exec_lo, exec_lo, s5
	s_cbranch_execnz .LBB103_169
; %bb.170:
	s_or_b32 exec_lo, exec_lo, s5
	v_mov_b32_e32 v81, 0
	ds_read_b64 v[83:84], v81 offset:312
	s_waitcnt lgkmcnt(0)
	v_mul_f32_e32 v81, v82, v84
	v_mul_f32_e32 v84, v85, v84
	v_fma_f32 v81, v85, v83, -v81
	v_fmac_f32_e32 v84, v82, v83
	buffer_store_dword v81, off, s[0:3], 0 offset:312
	buffer_store_dword v84, off, s[0:3], 0 offset:316
.LBB103_171:
	s_or_b32 exec_lo, exec_lo, s4
	s_mov_b32 s5, -1
	s_waitcnt_vscnt null, 0x0
	s_barrier
	buffer_gl0_inv
.LBB103_172:
	s_and_b32 vcc_lo, exec_lo, s5
	s_cbranch_vccz .LBB103_174
; %bb.173:
	s_lshl_b64 s[4:5], s[6:7], 2
	v_mov_b32_e32 v81, 0
	s_add_u32 s4, s10, s4
	s_addc_u32 s5, s11, s5
	global_load_dword v81, v81, s[4:5]
	s_waitcnt vmcnt(0)
	v_cmp_ne_u32_e32 vcc_lo, 0, v81
	s_cbranch_vccz .LBB103_175
.LBB103_174:
	s_endpgm
.LBB103_175:
	v_lshl_add_u32 v81, v0, 3, 0x140
	s_mov_b32 s4, exec_lo
	v_cmpx_eq_u32_e32 39, v0
	s_cbranch_execz .LBB103_177
; %bb.176:
	s_clause 0x1
	buffer_load_dword v82, off, s[0:3], 0 offset:304
	buffer_load_dword v83, off, s[0:3], 0 offset:308
	v_mov_b32_e32 v84, 0
	buffer_store_dword v84, off, s[0:3], 0 offset:304
	buffer_store_dword v84, off, s[0:3], 0 offset:308
	s_waitcnt vmcnt(0)
	ds_write_b64 v81, v[82:83]
.LBB103_177:
	s_or_b32 exec_lo, exec_lo, s4
	s_waitcnt lgkmcnt(0)
	s_waitcnt_vscnt null, 0x0
	s_barrier
	buffer_gl0_inv
	s_clause 0x3
	buffer_load_dword v85, off, s[0:3], 0 offset:316
	buffer_load_dword v86, off, s[0:3], 0 offset:312
	;; [unrolled: 1-line block ×4, first 2 shown]
	v_mov_b32_e32 v82, 0
	s_mov_b32 s4, exec_lo
	ds_read_b64 v[83:84], v82 offset:632
	s_waitcnt vmcnt(3) lgkmcnt(0)
	v_mul_f32_e32 v89, v84, v85
	v_mul_f32_e32 v85, v83, v85
	s_waitcnt vmcnt(2)
	v_fma_f32 v83, v83, v86, -v89
	v_fmac_f32_e32 v85, v84, v86
	v_add_f32_e32 v83, 0, v83
	v_add_f32_e32 v84, 0, v85
	s_waitcnt vmcnt(1)
	v_sub_f32_e32 v83, v87, v83
	s_waitcnt vmcnt(0)
	v_sub_f32_e32 v84, v88, v84
	buffer_store_dword v83, off, s[0:3], 0 offset:304
	buffer_store_dword v84, off, s[0:3], 0 offset:308
	v_cmpx_lt_u32_e32 37, v0
	s_cbranch_execz .LBB103_179
; %bb.178:
	s_clause 0x1
	buffer_load_dword v83, off, s[0:3], 0 offset:296
	buffer_load_dword v84, off, s[0:3], 0 offset:300
	buffer_store_dword v82, off, s[0:3], 0 offset:296
	buffer_store_dword v82, off, s[0:3], 0 offset:300
	s_waitcnt vmcnt(0)
	ds_write_b64 v81, v[83:84]
.LBB103_179:
	s_or_b32 exec_lo, exec_lo, s4
	s_waitcnt lgkmcnt(0)
	s_waitcnt_vscnt null, 0x0
	s_barrier
	buffer_gl0_inv
	s_clause 0x5
	buffer_load_dword v86, off, s[0:3], 0 offset:308
	buffer_load_dword v87, off, s[0:3], 0 offset:316
	;; [unrolled: 1-line block ×6, first 2 shown]
	ds_read_b128 v[82:85], v82 offset:624
	s_mov_b32 s4, exec_lo
	s_waitcnt vmcnt(5) lgkmcnt(0)
	v_mul_f32_e32 v92, v83, v86
	v_mul_f32_e32 v86, v82, v86
	s_waitcnt vmcnt(4)
	v_mul_f32_e32 v93, v84, v87
	v_mul_f32_e32 v87, v85, v87
	s_waitcnt vmcnt(3)
	v_fma_f32 v82, v82, v88, -v92
	v_fmac_f32_e32 v86, v83, v88
	s_waitcnt vmcnt(2)
	v_fmac_f32_e32 v93, v85, v89
	v_fma_f32 v83, v84, v89, -v87
	v_add_f32_e32 v82, 0, v82
	v_add_f32_e32 v84, 0, v86
	;; [unrolled: 1-line block ×4, first 2 shown]
	s_waitcnt vmcnt(1)
	v_sub_f32_e32 v82, v90, v82
	s_waitcnt vmcnt(0)
	v_sub_f32_e32 v83, v91, v83
	buffer_store_dword v82, off, s[0:3], 0 offset:296
	buffer_store_dword v83, off, s[0:3], 0 offset:300
	v_cmpx_lt_u32_e32 36, v0
	s_cbranch_execz .LBB103_181
; %bb.180:
	s_clause 0x1
	buffer_load_dword v82, off, s[0:3], 0 offset:288
	buffer_load_dword v83, off, s[0:3], 0 offset:292
	v_mov_b32_e32 v84, 0
	buffer_store_dword v84, off, s[0:3], 0 offset:288
	buffer_store_dword v84, off, s[0:3], 0 offset:292
	s_waitcnt vmcnt(0)
	ds_write_b64 v81, v[82:83]
.LBB103_181:
	s_or_b32 exec_lo, exec_lo, s4
	s_waitcnt lgkmcnt(0)
	s_waitcnt_vscnt null, 0x0
	s_barrier
	buffer_gl0_inv
	s_clause 0x7
	buffer_load_dword v89, off, s[0:3], 0 offset:300
	buffer_load_dword v90, off, s[0:3], 0 offset:308
	;; [unrolled: 1-line block ×8, first 2 shown]
	v_mov_b32_e32 v82, 0
	ds_read2_b64 v[83:86], v82 offset0:77 offset1:78
	ds_read_b64 v[87:88], v82 offset:632
	s_mov_b32 s4, exec_lo
	s_waitcnt vmcnt(7) lgkmcnt(1)
	v_mul_f32_e32 v97, v84, v89
	v_mul_f32_e32 v89, v83, v89
	s_waitcnt vmcnt(6)
	v_mul_f32_e32 v98, v85, v90
	v_mul_f32_e32 v90, v86, v90
	s_waitcnt vmcnt(5) lgkmcnt(0)
	v_mul_f32_e32 v99, v87, v91
	s_waitcnt vmcnt(4)
	v_fma_f32 v83, v83, v92, -v97
	v_fmac_f32_e32 v89, v84, v92
	v_mul_f32_e32 v84, v88, v91
	s_waitcnt vmcnt(3)
	v_fma_f32 v85, v85, v93, -v90
	v_fmac_f32_e32 v98, v86, v93
	v_add_f32_e32 v83, 0, v83
	v_add_f32_e32 v86, 0, v89
	s_waitcnt vmcnt(2)
	v_fma_f32 v84, v87, v94, -v84
	v_fmac_f32_e32 v99, v88, v94
	v_add_f32_e32 v83, v83, v85
	v_add_f32_e32 v85, v86, v98
	;; [unrolled: 1-line block ×4, first 2 shown]
	s_waitcnt vmcnt(1)
	v_sub_f32_e32 v83, v95, v83
	s_waitcnt vmcnt(0)
	v_sub_f32_e32 v84, v96, v84
	buffer_store_dword v83, off, s[0:3], 0 offset:288
	buffer_store_dword v84, off, s[0:3], 0 offset:292
	v_cmpx_lt_u32_e32 35, v0
	s_cbranch_execz .LBB103_183
; %bb.182:
	s_clause 0x1
	buffer_load_dword v83, off, s[0:3], 0 offset:280
	buffer_load_dword v84, off, s[0:3], 0 offset:284
	buffer_store_dword v82, off, s[0:3], 0 offset:280
	buffer_store_dword v82, off, s[0:3], 0 offset:284
	s_waitcnt vmcnt(0)
	ds_write_b64 v81, v[83:84]
.LBB103_183:
	s_or_b32 exec_lo, exec_lo, s4
	s_waitcnt lgkmcnt(0)
	s_waitcnt_vscnt null, 0x0
	s_barrier
	buffer_gl0_inv
	s_clause 0x9
	buffer_load_dword v91, off, s[0:3], 0 offset:292
	buffer_load_dword v92, off, s[0:3], 0 offset:300
	buffer_load_dword v93, off, s[0:3], 0 offset:308
	buffer_load_dword v94, off, s[0:3], 0 offset:316
	buffer_load_dword v95, off, s[0:3], 0 offset:288
	buffer_load_dword v96, off, s[0:3], 0 offset:296
	buffer_load_dword v97, off, s[0:3], 0 offset:304
	buffer_load_dword v98, off, s[0:3], 0 offset:312
	buffer_load_dword v99, off, s[0:3], 0 offset:280
	buffer_load_dword v100, off, s[0:3], 0 offset:284
	ds_read_b128 v[83:86], v82 offset:608
	ds_read_b128 v[87:90], v82 offset:624
	s_mov_b32 s4, exec_lo
	s_waitcnt vmcnt(9) lgkmcnt(1)
	v_mul_f32_e32 v82, v83, v91
	v_mul_f32_e32 v91, v84, v91
	s_waitcnt vmcnt(8)
	v_mul_f32_e32 v101, v85, v92
	v_mul_f32_e32 v92, v86, v92
	s_waitcnt vmcnt(7) lgkmcnt(0)
	v_mul_f32_e32 v102, v87, v93
	s_waitcnt vmcnt(5)
	v_fmac_f32_e32 v82, v84, v95
	v_fma_f32 v83, v83, v95, -v91
	v_mul_f32_e32 v84, v88, v93
	s_waitcnt vmcnt(4)
	v_fma_f32 v85, v85, v96, -v92
	v_fmac_f32_e32 v101, v86, v96
	v_add_f32_e32 v82, 0, v82
	v_add_f32_e32 v83, 0, v83
	v_mul_f32_e32 v86, v90, v94
	s_waitcnt vmcnt(3)
	v_fma_f32 v84, v87, v97, -v84
	v_mul_f32_e32 v103, v89, v94
	v_fmac_f32_e32 v102, v88, v97
	v_add_f32_e32 v83, v83, v85
	v_add_f32_e32 v82, v82, v101
	s_waitcnt vmcnt(2)
	v_fma_f32 v85, v89, v98, -v86
	v_fmac_f32_e32 v103, v90, v98
	v_add_f32_e32 v83, v83, v84
	v_add_f32_e32 v82, v82, v102
	;; [unrolled: 1-line block ×4, first 2 shown]
	s_waitcnt vmcnt(1)
	v_sub_f32_e32 v83, v99, v83
	s_waitcnt vmcnt(0)
	v_sub_f32_e32 v82, v100, v82
	buffer_store_dword v83, off, s[0:3], 0 offset:280
	buffer_store_dword v82, off, s[0:3], 0 offset:284
	v_cmpx_lt_u32_e32 34, v0
	s_cbranch_execz .LBB103_185
; %bb.184:
	s_clause 0x1
	buffer_load_dword v82, off, s[0:3], 0 offset:272
	buffer_load_dword v83, off, s[0:3], 0 offset:276
	v_mov_b32_e32 v84, 0
	buffer_store_dword v84, off, s[0:3], 0 offset:272
	buffer_store_dword v84, off, s[0:3], 0 offset:276
	s_waitcnt vmcnt(0)
	ds_write_b64 v81, v[82:83]
.LBB103_185:
	s_or_b32 exec_lo, exec_lo, s4
	s_waitcnt lgkmcnt(0)
	s_waitcnt_vscnt null, 0x0
	s_barrier
	buffer_gl0_inv
	s_clause 0xb
	buffer_load_dword v93, off, s[0:3], 0 offset:284
	buffer_load_dword v94, off, s[0:3], 0 offset:292
	;; [unrolled: 1-line block ×12, first 2 shown]
	v_mov_b32_e32 v82, 0
	ds_read2_b64 v[83:86], v82 offset0:75 offset1:76
	ds_read2_b64 v[87:90], v82 offset0:77 offset1:78
	ds_read_b64 v[91:92], v82 offset:632
	s_mov_b32 s4, exec_lo
	s_waitcnt vmcnt(11) lgkmcnt(2)
	v_mul_f32_e32 v105, v83, v93
	v_mul_f32_e32 v93, v84, v93
	s_waitcnt vmcnt(10)
	v_mul_f32_e32 v106, v85, v94
	v_mul_f32_e32 v94, v86, v94
	s_waitcnt vmcnt(9) lgkmcnt(1)
	v_mul_f32_e32 v107, v87, v95
	s_waitcnt vmcnt(6)
	v_fmac_f32_e32 v105, v84, v98
	v_fma_f32 v83, v83, v98, -v93
	v_mul_f32_e32 v84, v88, v95
	s_waitcnt vmcnt(5)
	v_fma_f32 v85, v85, v99, -v94
	v_fmac_f32_e32 v106, v86, v99
	v_add_f32_e32 v86, 0, v105
	v_add_f32_e32 v83, 0, v83
	v_mul_f32_e32 v93, v90, v96
	s_waitcnt vmcnt(4)
	v_fma_f32 v84, v87, v100, -v84
	v_mul_f32_e32 v108, v89, v96
	v_fmac_f32_e32 v107, v88, v100
	v_add_f32_e32 v83, v83, v85
	v_add_f32_e32 v85, v86, v106
	s_waitcnt lgkmcnt(0)
	v_mul_f32_e32 v86, v92, v97
	s_waitcnt vmcnt(3)
	v_fma_f32 v87, v89, v101, -v93
	v_mul_f32_e32 v109, v91, v97
	v_add_f32_e32 v83, v83, v84
	v_fmac_f32_e32 v108, v90, v101
	v_add_f32_e32 v84, v85, v107
	s_waitcnt vmcnt(2)
	v_fma_f32 v85, v91, v102, -v86
	v_fmac_f32_e32 v109, v92, v102
	v_add_f32_e32 v83, v83, v87
	v_add_f32_e32 v84, v84, v108
	;; [unrolled: 1-line block ×4, first 2 shown]
	s_waitcnt vmcnt(1)
	v_sub_f32_e32 v83, v103, v83
	s_waitcnt vmcnt(0)
	v_sub_f32_e32 v84, v104, v84
	buffer_store_dword v83, off, s[0:3], 0 offset:272
	buffer_store_dword v84, off, s[0:3], 0 offset:276
	v_cmpx_lt_u32_e32 33, v0
	s_cbranch_execz .LBB103_187
; %bb.186:
	s_clause 0x1
	buffer_load_dword v83, off, s[0:3], 0 offset:264
	buffer_load_dword v84, off, s[0:3], 0 offset:268
	buffer_store_dword v82, off, s[0:3], 0 offset:264
	buffer_store_dword v82, off, s[0:3], 0 offset:268
	s_waitcnt vmcnt(0)
	ds_write_b64 v81, v[83:84]
.LBB103_187:
	s_or_b32 exec_lo, exec_lo, s4
	s_waitcnt lgkmcnt(0)
	s_waitcnt_vscnt null, 0x0
	s_barrier
	buffer_gl0_inv
	s_clause 0xd
	buffer_load_dword v95, off, s[0:3], 0 offset:276
	buffer_load_dword v96, off, s[0:3], 0 offset:284
	;; [unrolled: 1-line block ×14, first 2 shown]
	ds_read_b128 v[83:86], v82 offset:592
	ds_read_b128 v[87:90], v82 offset:608
	;; [unrolled: 1-line block ×3, first 2 shown]
	s_mov_b32 s4, exec_lo
	s_waitcnt vmcnt(13) lgkmcnt(2)
	v_mul_f32_e32 v82, v83, v95
	v_mul_f32_e32 v95, v84, v95
	s_waitcnt vmcnt(12)
	v_mul_f32_e32 v109, v85, v96
	v_mul_f32_e32 v96, v86, v96
	s_waitcnt vmcnt(11) lgkmcnt(1)
	v_mul_f32_e32 v110, v87, v97
	s_waitcnt vmcnt(10)
	v_mul_f32_e32 v111, v89, v98
	s_waitcnt vmcnt(7)
	v_fma_f32 v83, v83, v101, -v95
	v_fmac_f32_e32 v82, v84, v101
	v_mul_f32_e32 v84, v88, v97
	s_waitcnt vmcnt(6)
	v_fma_f32 v85, v85, v102, -v96
	v_fmac_f32_e32 v109, v86, v102
	v_add_f32_e32 v83, 0, v83
	v_add_f32_e32 v82, 0, v82
	v_mul_f32_e32 v86, v90, v98
	s_waitcnt vmcnt(5)
	v_fma_f32 v84, v87, v103, -v84
	v_fmac_f32_e32 v110, v88, v103
	v_add_f32_e32 v83, v83, v85
	v_add_f32_e32 v82, v82, v109
	s_waitcnt lgkmcnt(0)
	v_mul_f32_e32 v85, v92, v99
	s_waitcnt vmcnt(4)
	v_fma_f32 v86, v89, v104, -v86
	v_mul_f32_e32 v112, v91, v99
	v_add_f32_e32 v83, v83, v84
	v_fmac_f32_e32 v111, v90, v104
	v_add_f32_e32 v82, v82, v110
	v_mul_f32_e32 v84, v94, v100
	s_waitcnt vmcnt(3)
	v_fma_f32 v85, v91, v105, -v85
	v_add_f32_e32 v83, v83, v86
	v_mul_f32_e32 v113, v93, v100
	v_fmac_f32_e32 v112, v92, v105
	v_add_f32_e32 v82, v82, v111
	s_waitcnt vmcnt(2)
	v_fma_f32 v84, v93, v106, -v84
	v_add_f32_e32 v83, v83, v85
	v_fmac_f32_e32 v113, v94, v106
	v_add_f32_e32 v82, v82, v112
	v_add_f32_e32 v83, v83, v84
	;; [unrolled: 1-line block ×3, first 2 shown]
	s_waitcnt vmcnt(1)
	v_sub_f32_e32 v83, v107, v83
	s_waitcnt vmcnt(0)
	v_sub_f32_e32 v82, v108, v82
	buffer_store_dword v83, off, s[0:3], 0 offset:264
	buffer_store_dword v82, off, s[0:3], 0 offset:268
	v_cmpx_lt_u32_e32 32, v0
	s_cbranch_execz .LBB103_189
; %bb.188:
	s_clause 0x1
	buffer_load_dword v82, off, s[0:3], 0 offset:256
	buffer_load_dword v83, off, s[0:3], 0 offset:260
	v_mov_b32_e32 v84, 0
	buffer_store_dword v84, off, s[0:3], 0 offset:256
	buffer_store_dword v84, off, s[0:3], 0 offset:260
	s_waitcnt vmcnt(0)
	ds_write_b64 v81, v[82:83]
.LBB103_189:
	s_or_b32 exec_lo, exec_lo, s4
	s_waitcnt lgkmcnt(0)
	s_waitcnt_vscnt null, 0x0
	s_barrier
	buffer_gl0_inv
	s_clause 0xf
	buffer_load_dword v97, off, s[0:3], 0 offset:268
	buffer_load_dword v98, off, s[0:3], 0 offset:276
	;; [unrolled: 1-line block ×16, first 2 shown]
	v_mov_b32_e32 v82, 0
	ds_read2_b64 v[83:86], v82 offset0:73 offset1:74
	ds_read2_b64 v[87:90], v82 offset0:75 offset1:76
	;; [unrolled: 1-line block ×3, first 2 shown]
	ds_read_b64 v[95:96], v82 offset:632
	s_mov_b32 s4, exec_lo
	s_waitcnt vmcnt(15) lgkmcnt(3)
	v_mul_f32_e32 v113, v83, v97
	v_mul_f32_e32 v97, v84, v97
	s_waitcnt vmcnt(14)
	v_mul_f32_e32 v114, v85, v98
	v_mul_f32_e32 v98, v86, v98
	s_waitcnt vmcnt(13) lgkmcnt(2)
	v_mul_f32_e32 v115, v87, v99
	s_waitcnt vmcnt(12)
	v_mul_f32_e32 v116, v89, v100
	s_waitcnt vmcnt(11) lgkmcnt(1)
	v_mul_f32_e32 v117, v91, v101
	s_waitcnt vmcnt(8)
	v_fma_f32 v83, v83, v104, -v97
	v_fmac_f32_e32 v113, v84, v104
	v_mul_f32_e32 v84, v88, v99
	s_waitcnt vmcnt(7)
	v_fma_f32 v85, v85, v105, -v98
	v_fmac_f32_e32 v114, v86, v105
	v_add_f32_e32 v83, 0, v83
	v_add_f32_e32 v86, 0, v113
	v_mul_f32_e32 v97, v90, v100
	s_waitcnt vmcnt(6)
	v_fma_f32 v84, v87, v106, -v84
	v_fmac_f32_e32 v115, v88, v106
	v_add_f32_e32 v83, v83, v85
	v_add_f32_e32 v85, v86, v114
	;; [unrolled: 6-line block ×3, first 2 shown]
	v_mul_f32_e32 v85, v94, v102
	s_waitcnt vmcnt(4)
	v_fma_f32 v86, v91, v108, -v86
	v_mul_f32_e32 v118, v93, v102
	v_add_f32_e32 v83, v83, v87
	v_fmac_f32_e32 v117, v92, v108
	v_add_f32_e32 v84, v84, v116
	s_waitcnt lgkmcnt(0)
	v_mul_f32_e32 v87, v96, v103
	s_waitcnt vmcnt(3)
	v_fma_f32 v85, v93, v109, -v85
	v_add_f32_e32 v83, v83, v86
	v_mul_f32_e32 v119, v95, v103
	v_fmac_f32_e32 v118, v94, v109
	v_add_f32_e32 v84, v84, v117
	s_waitcnt vmcnt(2)
	v_fma_f32 v86, v95, v110, -v87
	v_add_f32_e32 v83, v83, v85
	v_fmac_f32_e32 v119, v96, v110
	v_add_f32_e32 v84, v84, v118
	v_add_f32_e32 v83, v83, v86
	;; [unrolled: 1-line block ×3, first 2 shown]
	s_waitcnt vmcnt(1)
	v_sub_f32_e32 v83, v111, v83
	s_waitcnt vmcnt(0)
	v_sub_f32_e32 v84, v112, v84
	buffer_store_dword v83, off, s[0:3], 0 offset:256
	buffer_store_dword v84, off, s[0:3], 0 offset:260
	v_cmpx_lt_u32_e32 31, v0
	s_cbranch_execz .LBB103_191
; %bb.190:
	s_clause 0x1
	buffer_load_dword v83, off, s[0:3], 0 offset:248
	buffer_load_dword v84, off, s[0:3], 0 offset:252
	buffer_store_dword v82, off, s[0:3], 0 offset:248
	buffer_store_dword v82, off, s[0:3], 0 offset:252
	s_waitcnt vmcnt(0)
	ds_write_b64 v81, v[83:84]
.LBB103_191:
	s_or_b32 exec_lo, exec_lo, s4
	s_waitcnt lgkmcnt(0)
	s_waitcnt_vscnt null, 0x0
	s_barrier
	buffer_gl0_inv
	s_clause 0x11
	buffer_load_dword v99, off, s[0:3], 0 offset:260
	buffer_load_dword v100, off, s[0:3], 0 offset:268
	;; [unrolled: 1-line block ×18, first 2 shown]
	ds_read_b128 v[83:86], v82 offset:576
	ds_read_b128 v[87:90], v82 offset:592
	ds_read_b128 v[91:94], v82 offset:608
	ds_read_b128 v[95:98], v82 offset:624
	s_mov_b32 s4, exec_lo
	s_waitcnt vmcnt(17) lgkmcnt(3)
	v_mul_f32_e32 v82, v83, v99
	v_mul_f32_e32 v99, v84, v99
	s_waitcnt vmcnt(16)
	v_mul_f32_e32 v117, v85, v100
	v_mul_f32_e32 v100, v86, v100
	s_waitcnt vmcnt(15) lgkmcnt(2)
	v_mul_f32_e32 v118, v87, v101
	s_waitcnt vmcnt(14)
	v_mul_f32_e32 v119, v89, v102
	s_waitcnt vmcnt(13) lgkmcnt(1)
	v_mul_f32_e32 v120, v91, v103
	s_waitcnt vmcnt(12)
	v_mul_f32_e32 v121, v93, v104
	s_waitcnt vmcnt(9)
	v_fma_f32 v83, v83, v107, -v99
	v_fmac_f32_e32 v82, v84, v107
	v_mul_f32_e32 v84, v88, v101
	s_waitcnt vmcnt(8)
	v_fma_f32 v85, v85, v108, -v100
	v_fmac_f32_e32 v117, v86, v108
	v_add_f32_e32 v83, 0, v83
	v_add_f32_e32 v82, 0, v82
	v_mul_f32_e32 v86, v90, v102
	s_waitcnt vmcnt(7)
	v_fma_f32 v84, v87, v109, -v84
	v_fmac_f32_e32 v118, v88, v109
	v_add_f32_e32 v83, v83, v85
	v_add_f32_e32 v82, v82, v117
	;; [unrolled: 6-line block ×4, first 2 shown]
	s_waitcnt lgkmcnt(0)
	v_mul_f32_e32 v86, v96, v105
	s_waitcnt vmcnt(4)
	v_fma_f32 v84, v93, v112, -v84
	v_mul_f32_e32 v122, v95, v105
	v_add_f32_e32 v83, v83, v85
	v_fmac_f32_e32 v121, v94, v112
	v_add_f32_e32 v82, v82, v120
	v_mul_f32_e32 v85, v98, v106
	s_waitcnt vmcnt(3)
	v_fma_f32 v86, v95, v113, -v86
	v_add_f32_e32 v83, v83, v84
	v_mul_f32_e32 v123, v97, v106
	v_fmac_f32_e32 v122, v96, v113
	v_add_f32_e32 v82, v82, v121
	s_waitcnt vmcnt(2)
	v_fma_f32 v84, v97, v114, -v85
	v_add_f32_e32 v83, v83, v86
	v_fmac_f32_e32 v123, v98, v114
	v_add_f32_e32 v82, v82, v122
	v_add_f32_e32 v83, v83, v84
	v_add_f32_e32 v82, v82, v123
	s_waitcnt vmcnt(1)
	v_sub_f32_e32 v83, v115, v83
	s_waitcnt vmcnt(0)
	v_sub_f32_e32 v82, v116, v82
	buffer_store_dword v83, off, s[0:3], 0 offset:248
	buffer_store_dword v82, off, s[0:3], 0 offset:252
	v_cmpx_lt_u32_e32 30, v0
	s_cbranch_execz .LBB103_193
; %bb.192:
	s_clause 0x1
	buffer_load_dword v82, off, s[0:3], 0 offset:240
	buffer_load_dword v83, off, s[0:3], 0 offset:244
	v_mov_b32_e32 v84, 0
	buffer_store_dword v84, off, s[0:3], 0 offset:240
	buffer_store_dword v84, off, s[0:3], 0 offset:244
	s_waitcnt vmcnt(0)
	ds_write_b64 v81, v[82:83]
.LBB103_193:
	s_or_b32 exec_lo, exec_lo, s4
	s_waitcnt lgkmcnt(0)
	s_waitcnt_vscnt null, 0x0
	s_barrier
	buffer_gl0_inv
	s_clause 0x13
	buffer_load_dword v101, off, s[0:3], 0 offset:252
	buffer_load_dword v102, off, s[0:3], 0 offset:260
	buffer_load_dword v103, off, s[0:3], 0 offset:268
	buffer_load_dword v104, off, s[0:3], 0 offset:276
	buffer_load_dword v105, off, s[0:3], 0 offset:284
	buffer_load_dword v106, off, s[0:3], 0 offset:292
	buffer_load_dword v107, off, s[0:3], 0 offset:300
	buffer_load_dword v108, off, s[0:3], 0 offset:308
	buffer_load_dword v109, off, s[0:3], 0 offset:316
	buffer_load_dword v110, off, s[0:3], 0 offset:248
	buffer_load_dword v111, off, s[0:3], 0 offset:256
	buffer_load_dword v112, off, s[0:3], 0 offset:264
	buffer_load_dword v113, off, s[0:3], 0 offset:272
	buffer_load_dword v114, off, s[0:3], 0 offset:280
	buffer_load_dword v115, off, s[0:3], 0 offset:288
	buffer_load_dword v116, off, s[0:3], 0 offset:296
	buffer_load_dword v117, off, s[0:3], 0 offset:304
	buffer_load_dword v118, off, s[0:3], 0 offset:312
	buffer_load_dword v119, off, s[0:3], 0 offset:240
	buffer_load_dword v120, off, s[0:3], 0 offset:244
	v_mov_b32_e32 v82, 0
	ds_read2_b64 v[83:86], v82 offset0:71 offset1:72
	ds_read2_b64 v[87:90], v82 offset0:73 offset1:74
	;; [unrolled: 1-line block ×4, first 2 shown]
	ds_read_b64 v[99:100], v82 offset:632
	s_mov_b32 s4, exec_lo
	s_waitcnt vmcnt(19) lgkmcnt(4)
	v_mul_f32_e32 v121, v83, v101
	v_mul_f32_e32 v101, v84, v101
	s_waitcnt vmcnt(18)
	v_mul_f32_e32 v122, v85, v102
	v_mul_f32_e32 v102, v86, v102
	s_waitcnt vmcnt(17) lgkmcnt(3)
	v_mul_f32_e32 v123, v87, v103
	s_waitcnt vmcnt(16)
	v_mul_f32_e32 v124, v89, v104
	s_waitcnt vmcnt(15) lgkmcnt(2)
	v_mul_f32_e32 v125, v91, v105
	s_waitcnt vmcnt(14)
	v_mul_f32_e32 v126, v93, v106
	s_waitcnt vmcnt(13) lgkmcnt(1)
	v_mul_f32_e32 v127, v95, v107
	s_waitcnt vmcnt(10)
	v_fma_f32 v83, v83, v110, -v101
	v_fmac_f32_e32 v121, v84, v110
	v_mul_f32_e32 v84, v88, v103
	s_waitcnt vmcnt(9)
	v_fma_f32 v85, v85, v111, -v102
	v_fmac_f32_e32 v122, v86, v111
	v_add_f32_e32 v83, 0, v83
	v_add_f32_e32 v86, 0, v121
	v_mul_f32_e32 v101, v90, v104
	s_waitcnt vmcnt(8)
	v_fma_f32 v84, v87, v112, -v84
	v_fmac_f32_e32 v123, v88, v112
	v_add_f32_e32 v83, v83, v85
	v_add_f32_e32 v85, v86, v122
	;; [unrolled: 6-line block ×5, first 2 shown]
	v_mul_f32_e32 v86, v98, v108
	s_waitcnt vmcnt(4)
	v_fma_f32 v87, v95, v116, -v87
	v_mul_f32_e32 v128, v97, v108
	v_add_f32_e32 v83, v83, v85
	v_fmac_f32_e32 v127, v96, v116
	v_add_f32_e32 v84, v84, v126
	s_waitcnt lgkmcnt(0)
	v_mul_f32_e32 v85, v100, v109
	s_waitcnt vmcnt(3)
	v_fma_f32 v86, v97, v117, -v86
	v_add_f32_e32 v83, v83, v87
	v_mul_f32_e32 v129, v99, v109
	v_fmac_f32_e32 v128, v98, v117
	v_add_f32_e32 v84, v84, v127
	s_waitcnt vmcnt(2)
	v_fma_f32 v85, v99, v118, -v85
	v_add_f32_e32 v83, v83, v86
	v_fmac_f32_e32 v129, v100, v118
	v_add_f32_e32 v84, v84, v128
	v_add_f32_e32 v83, v83, v85
	v_add_f32_e32 v84, v84, v129
	s_waitcnt vmcnt(1)
	v_sub_f32_e32 v83, v119, v83
	s_waitcnt vmcnt(0)
	v_sub_f32_e32 v84, v120, v84
	buffer_store_dword v83, off, s[0:3], 0 offset:240
	buffer_store_dword v84, off, s[0:3], 0 offset:244
	v_cmpx_lt_u32_e32 29, v0
	s_cbranch_execz .LBB103_195
; %bb.194:
	s_clause 0x1
	buffer_load_dword v83, off, s[0:3], 0 offset:232
	buffer_load_dword v84, off, s[0:3], 0 offset:236
	buffer_store_dword v82, off, s[0:3], 0 offset:232
	buffer_store_dword v82, off, s[0:3], 0 offset:236
	s_waitcnt vmcnt(0)
	ds_write_b64 v81, v[83:84]
.LBB103_195:
	s_or_b32 exec_lo, exec_lo, s4
	s_waitcnt lgkmcnt(0)
	s_waitcnt_vscnt null, 0x0
	s_barrier
	buffer_gl0_inv
	s_clause 0x15
	buffer_load_dword v103, off, s[0:3], 0 offset:244
	buffer_load_dword v104, off, s[0:3], 0 offset:252
	;; [unrolled: 1-line block ×22, first 2 shown]
	ds_read_b128 v[83:86], v82 offset:560
	ds_read_b128 v[87:90], v82 offset:576
	;; [unrolled: 1-line block ×5, first 2 shown]
	s_mov_b32 s4, exec_lo
	s_waitcnt vmcnt(21) lgkmcnt(4)
	v_mul_f32_e32 v82, v83, v103
	v_mul_f32_e32 v103, v84, v103
	s_waitcnt vmcnt(20)
	v_mul_f32_e32 v125, v85, v104
	v_mul_f32_e32 v104, v86, v104
	s_waitcnt vmcnt(19) lgkmcnt(3)
	v_mul_f32_e32 v126, v87, v105
	s_waitcnt vmcnt(18)
	v_mul_f32_e32 v127, v89, v106
	s_waitcnt vmcnt(17) lgkmcnt(2)
	v_mul_f32_e32 v128, v91, v107
	s_waitcnt vmcnt(16)
	;; [unrolled: 4-line block ×3, first 2 shown]
	v_mul_f32_e32 v131, v97, v110
	s_waitcnt vmcnt(11)
	v_fma_f32 v83, v83, v113, -v103
	v_fmac_f32_e32 v82, v84, v113
	v_mul_f32_e32 v84, v88, v105
	s_waitcnt vmcnt(10)
	v_fma_f32 v85, v85, v114, -v104
	v_fmac_f32_e32 v125, v86, v114
	v_add_f32_e32 v83, 0, v83
	v_add_f32_e32 v82, 0, v82
	v_mul_f32_e32 v86, v90, v106
	s_waitcnt vmcnt(9)
	v_fma_f32 v84, v87, v115, -v84
	v_fmac_f32_e32 v126, v88, v115
	v_add_f32_e32 v83, v83, v85
	v_add_f32_e32 v82, v82, v125
	;; [unrolled: 6-line block ×6, first 2 shown]
	s_waitcnt lgkmcnt(0)
	v_mul_f32_e32 v84, v100, v111
	s_waitcnt vmcnt(4)
	v_fma_f32 v85, v97, v120, -v85
	v_mul_f32_e32 v132, v99, v111
	v_add_f32_e32 v83, v83, v86
	v_fmac_f32_e32 v131, v98, v120
	v_add_f32_e32 v82, v82, v130
	v_mul_f32_e32 v86, v102, v112
	s_waitcnt vmcnt(3)
	v_fma_f32 v84, v99, v121, -v84
	v_add_f32_e32 v83, v83, v85
	v_mul_f32_e32 v133, v101, v112
	v_fmac_f32_e32 v132, v100, v121
	v_add_f32_e32 v82, v82, v131
	s_waitcnt vmcnt(2)
	v_fma_f32 v85, v101, v122, -v86
	v_add_f32_e32 v83, v83, v84
	v_fmac_f32_e32 v133, v102, v122
	v_add_f32_e32 v82, v82, v132
	v_add_f32_e32 v83, v83, v85
	;; [unrolled: 1-line block ×3, first 2 shown]
	s_waitcnt vmcnt(1)
	v_sub_f32_e32 v83, v123, v83
	s_waitcnt vmcnt(0)
	v_sub_f32_e32 v82, v124, v82
	buffer_store_dword v83, off, s[0:3], 0 offset:232
	buffer_store_dword v82, off, s[0:3], 0 offset:236
	v_cmpx_lt_u32_e32 28, v0
	s_cbranch_execz .LBB103_197
; %bb.196:
	s_clause 0x1
	buffer_load_dword v82, off, s[0:3], 0 offset:224
	buffer_load_dword v83, off, s[0:3], 0 offset:228
	v_mov_b32_e32 v84, 0
	buffer_store_dword v84, off, s[0:3], 0 offset:224
	buffer_store_dword v84, off, s[0:3], 0 offset:228
	s_waitcnt vmcnt(0)
	ds_write_b64 v81, v[82:83]
.LBB103_197:
	s_or_b32 exec_lo, exec_lo, s4
	s_waitcnt lgkmcnt(0)
	s_waitcnt_vscnt null, 0x0
	s_barrier
	buffer_gl0_inv
	s_clause 0x17
	buffer_load_dword v105, off, s[0:3], 0 offset:236
	buffer_load_dword v106, off, s[0:3], 0 offset:244
	;; [unrolled: 1-line block ×24, first 2 shown]
	v_mov_b32_e32 v82, 0
	ds_read2_b64 v[83:86], v82 offset0:69 offset1:70
	ds_read2_b64 v[87:90], v82 offset0:71 offset1:72
	;; [unrolled: 1-line block ×5, first 2 shown]
	ds_read_b64 v[103:104], v82 offset:632
	s_mov_b32 s4, exec_lo
	s_waitcnt vmcnt(23) lgkmcnt(5)
	v_mul_f32_e32 v129, v83, v105
	v_mul_f32_e32 v105, v84, v105
	s_waitcnt vmcnt(22)
	v_mul_f32_e32 v130, v85, v106
	v_mul_f32_e32 v106, v86, v106
	s_waitcnt vmcnt(21) lgkmcnt(4)
	v_mul_f32_e32 v131, v87, v107
	s_waitcnt vmcnt(20)
	v_mul_f32_e32 v132, v89, v108
	s_waitcnt vmcnt(19) lgkmcnt(3)
	v_mul_f32_e32 v133, v91, v109
	s_waitcnt vmcnt(18)
	;; [unrolled: 4-line block ×4, first 2 shown]
	v_fma_f32 v83, v83, v116, -v105
	v_fmac_f32_e32 v129, v84, v116
	v_mul_f32_e32 v84, v88, v107
	s_waitcnt vmcnt(11)
	v_fma_f32 v85, v85, v117, -v106
	v_fmac_f32_e32 v130, v86, v117
	v_add_f32_e32 v83, 0, v83
	v_add_f32_e32 v86, 0, v129
	v_mul_f32_e32 v105, v90, v108
	s_waitcnt vmcnt(10)
	v_fma_f32 v84, v87, v118, -v84
	v_fmac_f32_e32 v131, v88, v118
	v_add_f32_e32 v83, v83, v85
	v_add_f32_e32 v85, v86, v130
	;; [unrolled: 6-line block ×7, first 2 shown]
	v_mul_f32_e32 v87, v102, v114
	s_waitcnt vmcnt(4)
	v_fma_f32 v85, v99, v124, -v85
	v_mul_f32_e32 v138, v101, v114
	v_add_f32_e32 v83, v83, v86
	v_fmac_f32_e32 v137, v100, v124
	v_add_f32_e32 v84, v84, v136
	s_waitcnt lgkmcnt(0)
	v_mul_f32_e32 v86, v104, v115
	s_waitcnt vmcnt(3)
	v_fma_f32 v87, v101, v125, -v87
	v_add_f32_e32 v83, v83, v85
	v_mul_f32_e32 v139, v103, v115
	v_fmac_f32_e32 v138, v102, v125
	v_add_f32_e32 v84, v84, v137
	s_waitcnt vmcnt(2)
	v_fma_f32 v85, v103, v126, -v86
	v_add_f32_e32 v83, v83, v87
	v_fmac_f32_e32 v139, v104, v126
	v_add_f32_e32 v84, v84, v138
	v_add_f32_e32 v83, v83, v85
	v_add_f32_e32 v84, v84, v139
	s_waitcnt vmcnt(1)
	v_sub_f32_e32 v83, v127, v83
	s_waitcnt vmcnt(0)
	v_sub_f32_e32 v84, v128, v84
	buffer_store_dword v83, off, s[0:3], 0 offset:224
	buffer_store_dword v84, off, s[0:3], 0 offset:228
	v_cmpx_lt_u32_e32 27, v0
	s_cbranch_execz .LBB103_199
; %bb.198:
	s_clause 0x1
	buffer_load_dword v83, off, s[0:3], 0 offset:216
	buffer_load_dword v84, off, s[0:3], 0 offset:220
	buffer_store_dword v82, off, s[0:3], 0 offset:216
	buffer_store_dword v82, off, s[0:3], 0 offset:220
	s_waitcnt vmcnt(0)
	ds_write_b64 v81, v[83:84]
.LBB103_199:
	s_or_b32 exec_lo, exec_lo, s4
	s_waitcnt lgkmcnt(0)
	s_waitcnt_vscnt null, 0x0
	s_barrier
	buffer_gl0_inv
	s_clause 0x19
	buffer_load_dword v107, off, s[0:3], 0 offset:228
	buffer_load_dword v108, off, s[0:3], 0 offset:236
	;; [unrolled: 1-line block ×26, first 2 shown]
	ds_read_b128 v[83:86], v82 offset:544
	ds_read_b128 v[87:90], v82 offset:560
	;; [unrolled: 1-line block ×6, first 2 shown]
	s_mov_b32 s4, exec_lo
	s_waitcnt vmcnt(25) lgkmcnt(5)
	v_mul_f32_e32 v82, v83, v107
	v_mul_f32_e32 v107, v84, v107
	s_waitcnt vmcnt(24)
	v_mul_f32_e32 v133, v85, v108
	v_mul_f32_e32 v108, v86, v108
	s_waitcnt vmcnt(23) lgkmcnt(4)
	v_mul_f32_e32 v134, v87, v109
	s_waitcnt vmcnt(22)
	v_mul_f32_e32 v135, v89, v110
	s_waitcnt vmcnt(21) lgkmcnt(3)
	v_mul_f32_e32 v136, v91, v111
	s_waitcnt vmcnt(20)
	;; [unrolled: 4-line block ×4, first 2 shown]
	v_mul_f32_e32 v141, v101, v116
	s_waitcnt vmcnt(13)
	v_fma_f32 v83, v83, v119, -v107
	v_fmac_f32_e32 v82, v84, v119
	v_mul_f32_e32 v84, v88, v109
	s_waitcnt vmcnt(12)
	v_fma_f32 v85, v85, v120, -v108
	v_fmac_f32_e32 v133, v86, v120
	v_add_f32_e32 v83, 0, v83
	v_add_f32_e32 v82, 0, v82
	v_mul_f32_e32 v86, v90, v110
	s_waitcnt vmcnt(11)
	v_fma_f32 v84, v87, v121, -v84
	v_fmac_f32_e32 v134, v88, v121
	v_add_f32_e32 v83, v83, v85
	v_add_f32_e32 v82, v82, v133
	;; [unrolled: 6-line block ×8, first 2 shown]
	s_waitcnt lgkmcnt(0)
	v_mul_f32_e32 v85, v104, v117
	s_waitcnt vmcnt(4)
	v_fma_f32 v86, v101, v128, -v86
	v_mul_f32_e32 v142, v103, v117
	v_add_f32_e32 v83, v83, v84
	v_fmac_f32_e32 v141, v102, v128
	v_add_f32_e32 v82, v82, v140
	v_mul_f32_e32 v84, v106, v118
	s_waitcnt vmcnt(3)
	v_fma_f32 v85, v103, v129, -v85
	v_add_f32_e32 v83, v83, v86
	v_mul_f32_e32 v143, v105, v118
	v_fmac_f32_e32 v142, v104, v129
	v_add_f32_e32 v82, v82, v141
	s_waitcnt vmcnt(2)
	v_fma_f32 v84, v105, v130, -v84
	v_add_f32_e32 v83, v83, v85
	v_fmac_f32_e32 v143, v106, v130
	v_add_f32_e32 v82, v82, v142
	v_add_f32_e32 v83, v83, v84
	;; [unrolled: 1-line block ×3, first 2 shown]
	s_waitcnt vmcnt(1)
	v_sub_f32_e32 v83, v131, v83
	s_waitcnt vmcnt(0)
	v_sub_f32_e32 v82, v132, v82
	buffer_store_dword v83, off, s[0:3], 0 offset:216
	buffer_store_dword v82, off, s[0:3], 0 offset:220
	v_cmpx_lt_u32_e32 26, v0
	s_cbranch_execz .LBB103_201
; %bb.200:
	s_clause 0x1
	buffer_load_dword v82, off, s[0:3], 0 offset:208
	buffer_load_dword v83, off, s[0:3], 0 offset:212
	v_mov_b32_e32 v84, 0
	buffer_store_dword v84, off, s[0:3], 0 offset:208
	buffer_store_dword v84, off, s[0:3], 0 offset:212
	s_waitcnt vmcnt(0)
	ds_write_b64 v81, v[82:83]
.LBB103_201:
	s_or_b32 exec_lo, exec_lo, s4
	s_waitcnt lgkmcnt(0)
	s_waitcnt_vscnt null, 0x0
	s_barrier
	buffer_gl0_inv
	s_clause 0x1b
	buffer_load_dword v109, off, s[0:3], 0 offset:220
	buffer_load_dword v110, off, s[0:3], 0 offset:228
	;; [unrolled: 1-line block ×28, first 2 shown]
	v_mov_b32_e32 v82, 0
	ds_read2_b64 v[83:86], v82 offset0:67 offset1:68
	ds_read2_b64 v[87:90], v82 offset0:69 offset1:70
	;; [unrolled: 1-line block ×6, first 2 shown]
	ds_read_b64 v[107:108], v82 offset:632
	s_mov_b32 s4, exec_lo
	s_waitcnt vmcnt(27) lgkmcnt(6)
	v_mul_f32_e32 v137, v83, v109
	v_mul_f32_e32 v109, v84, v109
	s_waitcnt vmcnt(26)
	v_mul_f32_e32 v138, v85, v110
	v_mul_f32_e32 v110, v86, v110
	s_waitcnt vmcnt(25) lgkmcnt(5)
	v_mul_f32_e32 v139, v87, v111
	s_waitcnt vmcnt(24)
	v_mul_f32_e32 v140, v89, v112
	s_waitcnt vmcnt(23) lgkmcnt(4)
	v_mul_f32_e32 v141, v91, v113
	s_waitcnt vmcnt(22)
	;; [unrolled: 4-line block ×5, first 2 shown]
	v_fma_f32 v83, v83, v122, -v109
	v_fmac_f32_e32 v137, v84, v122
	v_mul_f32_e32 v84, v88, v111
	s_waitcnt vmcnt(13)
	v_fma_f32 v85, v85, v123, -v110
	v_fmac_f32_e32 v138, v86, v123
	v_add_f32_e32 v83, 0, v83
	v_add_f32_e32 v86, 0, v137
	v_mul_f32_e32 v109, v90, v112
	s_waitcnt vmcnt(12)
	v_fma_f32 v84, v87, v124, -v84
	v_fmac_f32_e32 v139, v88, v124
	v_add_f32_e32 v83, v83, v85
	v_add_f32_e32 v85, v86, v138
	;; [unrolled: 6-line block ×9, first 2 shown]
	v_mul_f32_e32 v85, v106, v120
	s_waitcnt vmcnt(4)
	v_fma_f32 v86, v103, v132, -v86
	v_mul_f32_e32 v148, v105, v120
	v_add_f32_e32 v83, v83, v87
	v_fmac_f32_e32 v147, v104, v132
	v_add_f32_e32 v84, v84, v146
	s_waitcnt lgkmcnt(0)
	v_mul_f32_e32 v87, v108, v121
	s_waitcnt vmcnt(3)
	v_fma_f32 v85, v105, v133, -v85
	v_add_f32_e32 v83, v83, v86
	v_mul_f32_e32 v149, v107, v121
	v_fmac_f32_e32 v148, v106, v133
	v_add_f32_e32 v84, v84, v147
	s_waitcnt vmcnt(2)
	v_fma_f32 v86, v107, v134, -v87
	v_add_f32_e32 v83, v83, v85
	v_fmac_f32_e32 v149, v108, v134
	v_add_f32_e32 v84, v84, v148
	v_add_f32_e32 v83, v83, v86
	;; [unrolled: 1-line block ×3, first 2 shown]
	s_waitcnt vmcnt(1)
	v_sub_f32_e32 v83, v135, v83
	s_waitcnt vmcnt(0)
	v_sub_f32_e32 v84, v136, v84
	buffer_store_dword v83, off, s[0:3], 0 offset:208
	buffer_store_dword v84, off, s[0:3], 0 offset:212
	v_cmpx_lt_u32_e32 25, v0
	s_cbranch_execz .LBB103_203
; %bb.202:
	s_clause 0x1
	buffer_load_dword v83, off, s[0:3], 0 offset:200
	buffer_load_dword v84, off, s[0:3], 0 offset:204
	buffer_store_dword v82, off, s[0:3], 0 offset:200
	buffer_store_dword v82, off, s[0:3], 0 offset:204
	s_waitcnt vmcnt(0)
	ds_write_b64 v81, v[83:84]
.LBB103_203:
	s_or_b32 exec_lo, exec_lo, s4
	s_waitcnt lgkmcnt(0)
	s_waitcnt_vscnt null, 0x0
	s_barrier
	buffer_gl0_inv
	s_clause 0x1d
	buffer_load_dword v111, off, s[0:3], 0 offset:212
	buffer_load_dword v112, off, s[0:3], 0 offset:220
	;; [unrolled: 1-line block ×30, first 2 shown]
	ds_read_b128 v[83:86], v82 offset:528
	ds_read_b128 v[87:90], v82 offset:544
	;; [unrolled: 1-line block ×7, first 2 shown]
	s_mov_b32 s4, exec_lo
	s_waitcnt vmcnt(29) lgkmcnt(6)
	v_mul_f32_e32 v82, v83, v111
	v_mul_f32_e32 v111, v84, v111
	s_waitcnt vmcnt(28)
	v_mul_f32_e32 v141, v85, v112
	v_mul_f32_e32 v112, v86, v112
	s_waitcnt vmcnt(27) lgkmcnt(5)
	v_mul_f32_e32 v142, v87, v113
	s_waitcnt vmcnt(26)
	v_mul_f32_e32 v143, v89, v114
	s_waitcnt vmcnt(25) lgkmcnt(4)
	v_mul_f32_e32 v144, v91, v115
	s_waitcnt vmcnt(24)
	;; [unrolled: 4-line block ×5, first 2 shown]
	v_mul_f32_e32 v151, v105, v122
	s_waitcnt vmcnt(15)
	v_fma_f32 v83, v83, v125, -v111
	v_fmac_f32_e32 v82, v84, v125
	v_mul_f32_e32 v84, v88, v113
	s_waitcnt vmcnt(14)
	v_fma_f32 v85, v85, v126, -v112
	v_fmac_f32_e32 v141, v86, v126
	v_add_f32_e32 v83, 0, v83
	v_add_f32_e32 v82, 0, v82
	v_mul_f32_e32 v86, v90, v114
	s_waitcnt vmcnt(13)
	v_fma_f32 v84, v87, v127, -v84
	v_fmac_f32_e32 v142, v88, v127
	v_add_f32_e32 v83, v83, v85
	v_add_f32_e32 v82, v82, v141
	;; [unrolled: 6-line block ×10, first 2 shown]
	s_waitcnt lgkmcnt(0)
	v_mul_f32_e32 v86, v108, v123
	s_waitcnt vmcnt(4)
	v_fma_f32 v84, v105, v136, -v84
	v_mul_f32_e32 v152, v107, v123
	v_add_f32_e32 v83, v83, v85
	v_fmac_f32_e32 v151, v106, v136
	v_add_f32_e32 v82, v82, v150
	v_mul_f32_e32 v85, v110, v124
	s_waitcnt vmcnt(3)
	v_fma_f32 v86, v107, v137, -v86
	v_add_f32_e32 v83, v83, v84
	v_mul_f32_e32 v153, v109, v124
	v_fmac_f32_e32 v152, v108, v137
	v_add_f32_e32 v82, v82, v151
	s_waitcnt vmcnt(2)
	v_fma_f32 v84, v109, v138, -v85
	v_add_f32_e32 v83, v83, v86
	v_fmac_f32_e32 v153, v110, v138
	v_add_f32_e32 v82, v82, v152
	v_add_f32_e32 v83, v83, v84
	;; [unrolled: 1-line block ×3, first 2 shown]
	s_waitcnt vmcnt(1)
	v_sub_f32_e32 v83, v139, v83
	s_waitcnt vmcnt(0)
	v_sub_f32_e32 v82, v140, v82
	buffer_store_dword v83, off, s[0:3], 0 offset:200
	buffer_store_dword v82, off, s[0:3], 0 offset:204
	v_cmpx_lt_u32_e32 24, v0
	s_cbranch_execz .LBB103_205
; %bb.204:
	s_clause 0x1
	buffer_load_dword v82, off, s[0:3], 0 offset:192
	buffer_load_dword v83, off, s[0:3], 0 offset:196
	v_mov_b32_e32 v84, 0
	buffer_store_dword v84, off, s[0:3], 0 offset:192
	buffer_store_dword v84, off, s[0:3], 0 offset:196
	s_waitcnt vmcnt(0)
	ds_write_b64 v81, v[82:83]
.LBB103_205:
	s_or_b32 exec_lo, exec_lo, s4
	s_waitcnt lgkmcnt(0)
	s_waitcnt_vscnt null, 0x0
	s_barrier
	buffer_gl0_inv
	s_clause 0x1f
	buffer_load_dword v113, off, s[0:3], 0 offset:204
	buffer_load_dword v114, off, s[0:3], 0 offset:212
	;; [unrolled: 1-line block ×32, first 2 shown]
	v_mov_b32_e32 v82, 0
	ds_read2_b64 v[83:86], v82 offset0:65 offset1:66
	ds_read2_b64 v[87:90], v82 offset0:67 offset1:68
	;; [unrolled: 1-line block ×7, first 2 shown]
	ds_read_b64 v[111:112], v82 offset:632
	s_mov_b32 s4, exec_lo
	s_waitcnt vmcnt(31) lgkmcnt(7)
	v_mul_f32_e32 v145, v83, v113
	v_mul_f32_e32 v113, v84, v113
	s_waitcnt vmcnt(30)
	v_mul_f32_e32 v146, v85, v114
	v_mul_f32_e32 v114, v86, v114
	s_waitcnt vmcnt(29) lgkmcnt(6)
	v_mul_f32_e32 v147, v87, v115
	s_waitcnt vmcnt(28)
	v_mul_f32_e32 v148, v89, v116
	s_waitcnt vmcnt(27) lgkmcnt(5)
	v_mul_f32_e32 v149, v91, v117
	s_waitcnt vmcnt(26)
	;; [unrolled: 4-line block ×6, first 2 shown]
	v_fma_f32 v83, v83, v128, -v113
	v_fmac_f32_e32 v145, v84, v128
	v_mul_f32_e32 v84, v88, v115
	s_waitcnt vmcnt(15)
	v_fma_f32 v85, v85, v129, -v114
	v_fmac_f32_e32 v146, v86, v129
	v_add_f32_e32 v83, 0, v83
	v_add_f32_e32 v86, 0, v145
	v_mul_f32_e32 v113, v90, v116
	s_waitcnt vmcnt(14)
	v_fma_f32 v84, v87, v130, -v84
	v_fmac_f32_e32 v147, v88, v130
	v_add_f32_e32 v83, v83, v85
	v_add_f32_e32 v85, v86, v146
	;; [unrolled: 6-line block ×11, first 2 shown]
	v_mul_f32_e32 v86, v110, v126
	s_waitcnt vmcnt(4)
	v_fma_f32 v87, v107, v140, -v87
	v_mul_f32_e32 v158, v109, v126
	v_add_f32_e32 v83, v83, v85
	v_fmac_f32_e32 v157, v108, v140
	v_add_f32_e32 v84, v84, v156
	s_waitcnt lgkmcnt(0)
	v_mul_f32_e32 v85, v112, v127
	s_waitcnt vmcnt(3)
	v_fma_f32 v86, v109, v141, -v86
	v_add_f32_e32 v83, v83, v87
	v_mul_f32_e32 v159, v111, v127
	v_fmac_f32_e32 v158, v110, v141
	v_add_f32_e32 v84, v84, v157
	s_waitcnt vmcnt(2)
	v_fma_f32 v85, v111, v142, -v85
	v_add_f32_e32 v83, v83, v86
	v_fmac_f32_e32 v159, v112, v142
	v_add_f32_e32 v84, v84, v158
	v_add_f32_e32 v83, v83, v85
	;; [unrolled: 1-line block ×3, first 2 shown]
	s_waitcnt vmcnt(1)
	v_sub_f32_e32 v83, v143, v83
	s_waitcnt vmcnt(0)
	v_sub_f32_e32 v84, v144, v84
	buffer_store_dword v83, off, s[0:3], 0 offset:192
	buffer_store_dword v84, off, s[0:3], 0 offset:196
	v_cmpx_lt_u32_e32 23, v0
	s_cbranch_execz .LBB103_207
; %bb.206:
	s_clause 0x1
	buffer_load_dword v83, off, s[0:3], 0 offset:184
	buffer_load_dword v84, off, s[0:3], 0 offset:188
	buffer_store_dword v82, off, s[0:3], 0 offset:184
	buffer_store_dword v82, off, s[0:3], 0 offset:188
	s_waitcnt vmcnt(0)
	ds_write_b64 v81, v[83:84]
.LBB103_207:
	s_or_b32 exec_lo, exec_lo, s4
	s_waitcnt lgkmcnt(0)
	s_waitcnt_vscnt null, 0x0
	s_barrier
	buffer_gl0_inv
	s_clause 0x21
	buffer_load_dword v115, off, s[0:3], 0 offset:196
	buffer_load_dword v116, off, s[0:3], 0 offset:204
	;; [unrolled: 1-line block ×34, first 2 shown]
	ds_read_b128 v[83:86], v82 offset:512
	ds_read_b128 v[87:90], v82 offset:528
	;; [unrolled: 1-line block ×8, first 2 shown]
	s_mov_b32 s4, exec_lo
	s_waitcnt vmcnt(33) lgkmcnt(7)
	v_mul_f32_e32 v82, v83, v115
	v_mul_f32_e32 v115, v84, v115
	s_waitcnt vmcnt(32)
	v_mul_f32_e32 v149, v85, v116
	v_mul_f32_e32 v116, v86, v116
	s_waitcnt vmcnt(31) lgkmcnt(6)
	v_mul_f32_e32 v150, v87, v117
	s_waitcnt vmcnt(30)
	v_mul_f32_e32 v151, v89, v118
	s_waitcnt vmcnt(29) lgkmcnt(5)
	v_mul_f32_e32 v152, v91, v119
	s_waitcnt vmcnt(28)
	;; [unrolled: 4-line block ×6, first 2 shown]
	v_mul_f32_e32 v161, v109, v128
	s_waitcnt vmcnt(17)
	v_fma_f32 v83, v83, v131, -v115
	v_fmac_f32_e32 v82, v84, v131
	v_mul_f32_e32 v84, v88, v117
	s_waitcnt vmcnt(16)
	v_fma_f32 v85, v85, v132, -v116
	v_fmac_f32_e32 v149, v86, v132
	v_add_f32_e32 v83, 0, v83
	v_add_f32_e32 v82, 0, v82
	v_mul_f32_e32 v86, v90, v118
	s_waitcnt vmcnt(15)
	v_fma_f32 v84, v87, v133, -v84
	v_fmac_f32_e32 v150, v88, v133
	v_add_f32_e32 v83, v83, v85
	v_add_f32_e32 v82, v82, v149
	;; [unrolled: 6-line block ×12, first 2 shown]
	s_waitcnt lgkmcnt(0)
	v_mul_f32_e32 v84, v112, v129
	s_waitcnt vmcnt(4)
	v_fma_f32 v85, v109, v144, -v85
	v_mul_f32_e32 v162, v111, v129
	v_add_f32_e32 v83, v83, v86
	v_fmac_f32_e32 v161, v110, v144
	v_add_f32_e32 v82, v82, v160
	v_mul_f32_e32 v86, v114, v130
	s_waitcnt vmcnt(3)
	v_fma_f32 v84, v111, v145, -v84
	v_add_f32_e32 v83, v83, v85
	v_mul_f32_e32 v163, v113, v130
	v_fmac_f32_e32 v162, v112, v145
	v_add_f32_e32 v82, v82, v161
	s_waitcnt vmcnt(2)
	v_fma_f32 v85, v113, v146, -v86
	v_add_f32_e32 v83, v83, v84
	v_fmac_f32_e32 v163, v114, v146
	v_add_f32_e32 v82, v82, v162
	v_add_f32_e32 v83, v83, v85
	;; [unrolled: 1-line block ×3, first 2 shown]
	s_waitcnt vmcnt(1)
	v_sub_f32_e32 v83, v147, v83
	s_waitcnt vmcnt(0)
	v_sub_f32_e32 v82, v148, v82
	buffer_store_dword v83, off, s[0:3], 0 offset:184
	buffer_store_dword v82, off, s[0:3], 0 offset:188
	v_cmpx_lt_u32_e32 22, v0
	s_cbranch_execz .LBB103_209
; %bb.208:
	s_clause 0x1
	buffer_load_dword v82, off, s[0:3], 0 offset:176
	buffer_load_dword v83, off, s[0:3], 0 offset:180
	v_mov_b32_e32 v84, 0
	buffer_store_dword v84, off, s[0:3], 0 offset:176
	buffer_store_dword v84, off, s[0:3], 0 offset:180
	s_waitcnt vmcnt(0)
	ds_write_b64 v81, v[82:83]
.LBB103_209:
	s_or_b32 exec_lo, exec_lo, s4
	s_waitcnt lgkmcnt(0)
	s_waitcnt_vscnt null, 0x0
	s_barrier
	buffer_gl0_inv
	s_clause 0x23
	buffer_load_dword v117, off, s[0:3], 0 offset:188
	buffer_load_dword v118, off, s[0:3], 0 offset:196
	;; [unrolled: 1-line block ×36, first 2 shown]
	v_mov_b32_e32 v82, 0
	ds_read2_b64 v[83:86], v82 offset0:63 offset1:64
	ds_read2_b64 v[87:90], v82 offset0:65 offset1:66
	;; [unrolled: 1-line block ×8, first 2 shown]
	ds_read_b64 v[115:116], v82 offset:632
	s_mov_b32 s4, exec_lo
	s_waitcnt vmcnt(35) lgkmcnt(8)
	v_mul_f32_e32 v153, v83, v117
	v_mul_f32_e32 v117, v84, v117
	s_waitcnt vmcnt(34)
	v_mul_f32_e32 v154, v85, v118
	v_mul_f32_e32 v118, v86, v118
	s_waitcnt vmcnt(33) lgkmcnt(7)
	v_mul_f32_e32 v155, v87, v119
	s_waitcnt vmcnt(32)
	v_mul_f32_e32 v156, v89, v120
	s_waitcnt vmcnt(31) lgkmcnt(6)
	v_mul_f32_e32 v157, v91, v121
	s_waitcnt vmcnt(30)
	;; [unrolled: 4-line block ×7, first 2 shown]
	v_fma_f32 v83, v83, v134, -v117
	v_fmac_f32_e32 v153, v84, v134
	v_mul_f32_e32 v84, v88, v119
	s_waitcnt vmcnt(17)
	v_fma_f32 v85, v85, v135, -v118
	v_fmac_f32_e32 v154, v86, v135
	v_add_f32_e32 v83, 0, v83
	v_add_f32_e32 v86, 0, v153
	v_mul_f32_e32 v117, v90, v120
	s_waitcnt vmcnt(16)
	v_fma_f32 v84, v87, v136, -v84
	v_fmac_f32_e32 v155, v88, v136
	v_add_f32_e32 v83, v83, v85
	v_add_f32_e32 v85, v86, v154
	;; [unrolled: 6-line block ×13, first 2 shown]
	v_mul_f32_e32 v87, v114, v132
	s_waitcnt vmcnt(4)
	v_fma_f32 v85, v111, v148, -v85
	v_mul_f32_e32 v168, v113, v132
	v_add_f32_e32 v83, v83, v86
	v_fmac_f32_e32 v167, v112, v148
	v_add_f32_e32 v84, v84, v166
	s_waitcnt lgkmcnt(0)
	v_mul_f32_e32 v86, v116, v133
	s_waitcnt vmcnt(3)
	v_fma_f32 v87, v113, v149, -v87
	v_add_f32_e32 v83, v83, v85
	v_mul_f32_e32 v169, v115, v133
	v_fmac_f32_e32 v168, v114, v149
	v_add_f32_e32 v84, v84, v167
	s_waitcnt vmcnt(2)
	v_fma_f32 v85, v115, v150, -v86
	v_add_f32_e32 v83, v83, v87
	v_fmac_f32_e32 v169, v116, v150
	v_add_f32_e32 v84, v84, v168
	v_add_f32_e32 v83, v83, v85
	;; [unrolled: 1-line block ×3, first 2 shown]
	s_waitcnt vmcnt(1)
	v_sub_f32_e32 v83, v151, v83
	s_waitcnt vmcnt(0)
	v_sub_f32_e32 v84, v152, v84
	buffer_store_dword v83, off, s[0:3], 0 offset:176
	buffer_store_dword v84, off, s[0:3], 0 offset:180
	v_cmpx_lt_u32_e32 21, v0
	s_cbranch_execz .LBB103_211
; %bb.210:
	s_clause 0x1
	buffer_load_dword v83, off, s[0:3], 0 offset:168
	buffer_load_dword v84, off, s[0:3], 0 offset:172
	buffer_store_dword v82, off, s[0:3], 0 offset:168
	buffer_store_dword v82, off, s[0:3], 0 offset:172
	s_waitcnt vmcnt(0)
	ds_write_b64 v81, v[83:84]
.LBB103_211:
	s_or_b32 exec_lo, exec_lo, s4
	s_waitcnt lgkmcnt(0)
	s_waitcnt_vscnt null, 0x0
	s_barrier
	buffer_gl0_inv
	s_clause 0x25
	buffer_load_dword v119, off, s[0:3], 0 offset:180
	buffer_load_dword v120, off, s[0:3], 0 offset:188
	;; [unrolled: 1-line block ×38, first 2 shown]
	ds_read_b128 v[83:86], v82 offset:496
	ds_read_b128 v[87:90], v82 offset:512
	;; [unrolled: 1-line block ×9, first 2 shown]
	s_mov_b32 s4, exec_lo
	s_waitcnt vmcnt(37) lgkmcnt(8)
	v_mul_f32_e32 v82, v83, v119
	v_mul_f32_e32 v119, v84, v119
	s_waitcnt vmcnt(36)
	v_mul_f32_e32 v157, v85, v120
	v_mul_f32_e32 v120, v86, v120
	s_waitcnt vmcnt(35) lgkmcnt(7)
	v_mul_f32_e32 v158, v87, v121
	s_waitcnt vmcnt(34)
	v_mul_f32_e32 v159, v89, v122
	s_waitcnt vmcnt(33) lgkmcnt(6)
	v_mul_f32_e32 v160, v91, v123
	s_waitcnt vmcnt(32)
	;; [unrolled: 4-line block ×7, first 2 shown]
	v_mul_f32_e32 v171, v113, v134
	s_waitcnt vmcnt(19)
	v_fma_f32 v83, v83, v137, -v119
	v_fmac_f32_e32 v82, v84, v137
	v_mul_f32_e32 v84, v88, v121
	s_waitcnt vmcnt(18)
	v_fma_f32 v85, v85, v138, -v120
	v_fmac_f32_e32 v157, v86, v138
	v_add_f32_e32 v83, 0, v83
	v_add_f32_e32 v82, 0, v82
	v_mul_f32_e32 v86, v90, v122
	s_waitcnt vmcnt(17)
	v_fma_f32 v84, v87, v139, -v84
	v_fmac_f32_e32 v158, v88, v139
	v_add_f32_e32 v83, v83, v85
	v_add_f32_e32 v82, v82, v157
	v_mul_f32_e32 v85, v92, v123
	s_waitcnt vmcnt(16)
	v_fma_f32 v86, v89, v140, -v86
	v_fmac_f32_e32 v159, v90, v140
	v_add_f32_e32 v83, v83, v84
	v_add_f32_e32 v82, v82, v158
	v_mul_f32_e32 v84, v94, v124
	s_waitcnt vmcnt(15)
	v_fma_f32 v85, v91, v141, -v85
	v_fmac_f32_e32 v160, v92, v141
	v_add_f32_e32 v83, v83, v86
	v_add_f32_e32 v82, v82, v159
	v_mul_f32_e32 v86, v96, v125
	s_waitcnt vmcnt(14)
	v_fma_f32 v84, v93, v142, -v84
	v_fmac_f32_e32 v161, v94, v142
	v_add_f32_e32 v83, v83, v85
	v_add_f32_e32 v82, v82, v160
	v_mul_f32_e32 v85, v98, v126
	s_waitcnt vmcnt(13)
	v_fma_f32 v86, v95, v143, -v86
	v_fmac_f32_e32 v162, v96, v143
	v_add_f32_e32 v83, v83, v84
	v_add_f32_e32 v82, v82, v161
	v_mul_f32_e32 v84, v100, v127
	s_waitcnt vmcnt(12)
	v_fma_f32 v85, v97, v144, -v85
	v_fmac_f32_e32 v163, v98, v144
	v_add_f32_e32 v83, v83, v86
	v_add_f32_e32 v82, v82, v162
	v_mul_f32_e32 v86, v102, v128
	s_waitcnt vmcnt(11)
	v_fma_f32 v84, v99, v145, -v84
	v_fmac_f32_e32 v164, v100, v145
	v_add_f32_e32 v83, v83, v85
	v_add_f32_e32 v82, v82, v163
	v_mul_f32_e32 v85, v104, v129
	s_waitcnt vmcnt(10)
	v_fma_f32 v86, v101, v146, -v86
	v_fmac_f32_e32 v165, v102, v146
	v_add_f32_e32 v83, v83, v84
	v_add_f32_e32 v82, v82, v164
	v_mul_f32_e32 v84, v106, v130
	s_waitcnt vmcnt(9)
	v_fma_f32 v85, v103, v147, -v85
	v_fmac_f32_e32 v166, v104, v147
	v_add_f32_e32 v83, v83, v86
	v_add_f32_e32 v82, v82, v165
	v_mul_f32_e32 v86, v108, v131
	s_waitcnt vmcnt(8)
	v_fma_f32 v84, v105, v148, -v84
	v_fmac_f32_e32 v167, v106, v148
	v_add_f32_e32 v83, v83, v85
	v_add_f32_e32 v82, v82, v166
	v_mul_f32_e32 v85, v110, v132
	s_waitcnt vmcnt(7)
	v_fma_f32 v86, v107, v149, -v86
	v_fmac_f32_e32 v168, v108, v149
	v_add_f32_e32 v83, v83, v84
	v_add_f32_e32 v82, v82, v167
	v_mul_f32_e32 v84, v112, v133
	s_waitcnt vmcnt(6)
	v_fma_f32 v85, v109, v150, -v85
	v_fmac_f32_e32 v169, v110, v150
	v_add_f32_e32 v83, v83, v86
	v_add_f32_e32 v82, v82, v168
	v_mul_f32_e32 v86, v114, v134
	s_waitcnt vmcnt(5)
	v_fma_f32 v84, v111, v151, -v84
	v_fmac_f32_e32 v170, v112, v151
	v_add_f32_e32 v83, v83, v85
	v_add_f32_e32 v82, v82, v169
	s_waitcnt lgkmcnt(0)
	v_mul_f32_e32 v85, v116, v135
	s_waitcnt vmcnt(4)
	v_fma_f32 v86, v113, v152, -v86
	v_mul_f32_e32 v172, v115, v135
	v_add_f32_e32 v83, v83, v84
	v_fmac_f32_e32 v171, v114, v152
	v_add_f32_e32 v82, v82, v170
	v_mul_f32_e32 v84, v118, v136
	s_waitcnt vmcnt(3)
	v_fma_f32 v85, v115, v153, -v85
	v_add_f32_e32 v83, v83, v86
	v_mul_f32_e32 v173, v117, v136
	v_fmac_f32_e32 v172, v116, v153
	v_add_f32_e32 v82, v82, v171
	s_waitcnt vmcnt(2)
	v_fma_f32 v84, v117, v154, -v84
	v_add_f32_e32 v83, v83, v85
	v_fmac_f32_e32 v173, v118, v154
	v_add_f32_e32 v82, v82, v172
	v_add_f32_e32 v83, v83, v84
	;; [unrolled: 1-line block ×3, first 2 shown]
	s_waitcnt vmcnt(1)
	v_sub_f32_e32 v83, v155, v83
	s_waitcnt vmcnt(0)
	v_sub_f32_e32 v82, v156, v82
	buffer_store_dword v83, off, s[0:3], 0 offset:168
	buffer_store_dword v82, off, s[0:3], 0 offset:172
	v_cmpx_lt_u32_e32 20, v0
	s_cbranch_execz .LBB103_213
; %bb.212:
	s_clause 0x1
	buffer_load_dword v82, off, s[0:3], 0 offset:160
	buffer_load_dword v83, off, s[0:3], 0 offset:164
	v_mov_b32_e32 v84, 0
	buffer_store_dword v84, off, s[0:3], 0 offset:160
	buffer_store_dword v84, off, s[0:3], 0 offset:164
	s_waitcnt vmcnt(0)
	ds_write_b64 v81, v[82:83]
.LBB103_213:
	s_or_b32 exec_lo, exec_lo, s4
	s_waitcnt lgkmcnt(0)
	s_waitcnt_vscnt null, 0x0
	s_barrier
	buffer_gl0_inv
	s_clause 0x27
	buffer_load_dword v121, off, s[0:3], 0 offset:172
	buffer_load_dword v122, off, s[0:3], 0 offset:180
	;; [unrolled: 1-line block ×40, first 2 shown]
	v_mov_b32_e32 v82, 0
	ds_read2_b64 v[83:86], v82 offset0:61 offset1:62
	ds_read2_b64 v[87:90], v82 offset0:63 offset1:64
	ds_read2_b64 v[91:94], v82 offset0:65 offset1:66
	ds_read2_b64 v[95:98], v82 offset0:67 offset1:68
	ds_read2_b64 v[99:102], v82 offset0:69 offset1:70
	ds_read2_b64 v[103:106], v82 offset0:71 offset1:72
	ds_read2_b64 v[107:110], v82 offset0:73 offset1:74
	ds_read2_b64 v[111:114], v82 offset0:75 offset1:76
	ds_read2_b64 v[115:118], v82 offset0:77 offset1:78
	ds_read_b64 v[119:120], v82 offset:632
	s_mov_b32 s4, exec_lo
	s_waitcnt vmcnt(39) lgkmcnt(9)
	v_mul_f32_e32 v161, v83, v121
	v_mul_f32_e32 v121, v84, v121
	s_waitcnt vmcnt(38)
	v_mul_f32_e32 v162, v85, v122
	v_mul_f32_e32 v122, v86, v122
	s_waitcnt vmcnt(37) lgkmcnt(8)
	v_mul_f32_e32 v163, v87, v123
	s_waitcnt vmcnt(36)
	v_mul_f32_e32 v164, v89, v124
	s_waitcnt vmcnt(35) lgkmcnt(7)
	v_mul_f32_e32 v165, v91, v125
	s_waitcnt vmcnt(34)
	;; [unrolled: 4-line block ×8, first 2 shown]
	v_fma_f32 v83, v83, v140, -v121
	v_fmac_f32_e32 v161, v84, v140
	v_mul_f32_e32 v84, v88, v123
	s_waitcnt vmcnt(19)
	v_fma_f32 v85, v85, v141, -v122
	v_fmac_f32_e32 v162, v86, v141
	v_add_f32_e32 v83, 0, v83
	v_add_f32_e32 v86, 0, v161
	v_mul_f32_e32 v121, v90, v124
	s_waitcnt vmcnt(18)
	v_fma_f32 v84, v87, v142, -v84
	v_fmac_f32_e32 v163, v88, v142
	v_add_f32_e32 v83, v83, v85
	v_add_f32_e32 v85, v86, v162
	;; [unrolled: 6-line block ×15, first 2 shown]
	v_mul_f32_e32 v85, v118, v138
	s_waitcnt vmcnt(4)
	v_fma_f32 v86, v115, v156, -v86
	v_mul_f32_e32 v178, v117, v138
	v_add_f32_e32 v83, v83, v87
	v_fmac_f32_e32 v177, v116, v156
	v_add_f32_e32 v84, v84, v176
	s_waitcnt lgkmcnt(0)
	v_mul_f32_e32 v87, v120, v139
	s_waitcnt vmcnt(3)
	v_fma_f32 v85, v117, v157, -v85
	v_add_f32_e32 v83, v83, v86
	v_mul_f32_e32 v179, v119, v139
	v_fmac_f32_e32 v178, v118, v157
	v_add_f32_e32 v84, v84, v177
	s_waitcnt vmcnt(2)
	v_fma_f32 v86, v119, v158, -v87
	v_add_f32_e32 v83, v83, v85
	v_fmac_f32_e32 v179, v120, v158
	v_add_f32_e32 v84, v84, v178
	v_add_f32_e32 v83, v83, v86
	;; [unrolled: 1-line block ×3, first 2 shown]
	s_waitcnt vmcnt(1)
	v_sub_f32_e32 v83, v159, v83
	s_waitcnt vmcnt(0)
	v_sub_f32_e32 v84, v160, v84
	buffer_store_dword v83, off, s[0:3], 0 offset:160
	buffer_store_dword v84, off, s[0:3], 0 offset:164
	v_cmpx_lt_u32_e32 19, v0
	s_cbranch_execz .LBB103_215
; %bb.214:
	s_clause 0x1
	buffer_load_dword v83, off, s[0:3], 0 offset:152
	buffer_load_dword v84, off, s[0:3], 0 offset:156
	buffer_store_dword v82, off, s[0:3], 0 offset:152
	buffer_store_dword v82, off, s[0:3], 0 offset:156
	s_waitcnt vmcnt(0)
	ds_write_b64 v81, v[83:84]
.LBB103_215:
	s_or_b32 exec_lo, exec_lo, s4
	s_waitcnt lgkmcnt(0)
	s_waitcnt_vscnt null, 0x0
	s_barrier
	buffer_gl0_inv
	s_clause 0x29
	buffer_load_dword v123, off, s[0:3], 0 offset:164
	buffer_load_dword v124, off, s[0:3], 0 offset:172
	;; [unrolled: 1-line block ×42, first 2 shown]
	ds_read_b128 v[83:86], v82 offset:480
	ds_read_b128 v[87:90], v82 offset:496
	;; [unrolled: 1-line block ×10, first 2 shown]
	s_mov_b32 s4, exec_lo
	s_waitcnt vmcnt(41) lgkmcnt(9)
	v_mul_f32_e32 v82, v83, v123
	v_mul_f32_e32 v123, v84, v123
	s_waitcnt vmcnt(40)
	v_mul_f32_e32 v165, v85, v124
	v_mul_f32_e32 v124, v86, v124
	s_waitcnt vmcnt(39) lgkmcnt(8)
	v_mul_f32_e32 v166, v87, v125
	s_waitcnt vmcnt(38)
	v_mul_f32_e32 v167, v89, v126
	s_waitcnt vmcnt(37) lgkmcnt(7)
	v_mul_f32_e32 v168, v91, v127
	s_waitcnt vmcnt(36)
	;; [unrolled: 4-line block ×8, first 2 shown]
	v_mul_f32_e32 v181, v117, v140
	s_waitcnt vmcnt(21)
	v_fma_f32 v83, v83, v143, -v123
	v_fmac_f32_e32 v82, v84, v143
	v_mul_f32_e32 v84, v88, v125
	s_waitcnt vmcnt(20)
	v_fma_f32 v85, v85, v144, -v124
	v_fmac_f32_e32 v165, v86, v144
	v_add_f32_e32 v83, 0, v83
	v_add_f32_e32 v82, 0, v82
	v_mul_f32_e32 v86, v90, v126
	s_waitcnt vmcnt(19)
	v_fma_f32 v84, v87, v145, -v84
	v_fmac_f32_e32 v166, v88, v145
	v_add_f32_e32 v83, v83, v85
	v_add_f32_e32 v82, v82, v165
	;; [unrolled: 6-line block ×16, first 2 shown]
	s_waitcnt lgkmcnt(0)
	v_mul_f32_e32 v86, v120, v141
	s_waitcnt vmcnt(4)
	v_fma_f32 v84, v117, v160, -v84
	v_mul_f32_e32 v182, v119, v141
	v_add_f32_e32 v83, v83, v85
	v_fmac_f32_e32 v181, v118, v160
	v_add_f32_e32 v82, v82, v180
	v_mul_f32_e32 v85, v122, v142
	s_waitcnt vmcnt(3)
	v_fma_f32 v86, v119, v161, -v86
	v_add_f32_e32 v83, v83, v84
	v_mul_f32_e32 v183, v121, v142
	v_fmac_f32_e32 v182, v120, v161
	v_add_f32_e32 v82, v82, v181
	s_waitcnt vmcnt(2)
	v_fma_f32 v84, v121, v162, -v85
	v_add_f32_e32 v83, v83, v86
	v_fmac_f32_e32 v183, v122, v162
	v_add_f32_e32 v82, v82, v182
	v_add_f32_e32 v83, v83, v84
	;; [unrolled: 1-line block ×3, first 2 shown]
	s_waitcnt vmcnt(1)
	v_sub_f32_e32 v83, v163, v83
	s_waitcnt vmcnt(0)
	v_sub_f32_e32 v82, v164, v82
	buffer_store_dword v83, off, s[0:3], 0 offset:152
	buffer_store_dword v82, off, s[0:3], 0 offset:156
	v_cmpx_lt_u32_e32 18, v0
	s_cbranch_execz .LBB103_217
; %bb.216:
	s_clause 0x1
	buffer_load_dword v82, off, s[0:3], 0 offset:144
	buffer_load_dword v83, off, s[0:3], 0 offset:148
	v_mov_b32_e32 v84, 0
	buffer_store_dword v84, off, s[0:3], 0 offset:144
	buffer_store_dword v84, off, s[0:3], 0 offset:148
	s_waitcnt vmcnt(0)
	ds_write_b64 v81, v[82:83]
.LBB103_217:
	s_or_b32 exec_lo, exec_lo, s4
	s_waitcnt lgkmcnt(0)
	s_waitcnt_vscnt null, 0x0
	s_barrier
	buffer_gl0_inv
	s_clause 0x2b
	buffer_load_dword v125, off, s[0:3], 0 offset:156
	buffer_load_dword v126, off, s[0:3], 0 offset:164
	;; [unrolled: 1-line block ×44, first 2 shown]
	v_mov_b32_e32 v82, 0
	ds_read2_b64 v[83:86], v82 offset0:59 offset1:60
	ds_read2_b64 v[87:90], v82 offset0:61 offset1:62
	;; [unrolled: 1-line block ×10, first 2 shown]
	ds_read_b64 v[123:124], v82 offset:632
	s_mov_b32 s4, exec_lo
	s_waitcnt vmcnt(43) lgkmcnt(10)
	v_mul_f32_e32 v169, v83, v125
	v_mul_f32_e32 v125, v84, v125
	s_waitcnt vmcnt(42)
	v_mul_f32_e32 v170, v85, v126
	v_mul_f32_e32 v126, v86, v126
	s_waitcnt vmcnt(41) lgkmcnt(9)
	v_mul_f32_e32 v171, v87, v127
	s_waitcnt vmcnt(40)
	v_mul_f32_e32 v172, v89, v128
	s_waitcnt vmcnt(39) lgkmcnt(8)
	v_mul_f32_e32 v173, v91, v129
	s_waitcnt vmcnt(38)
	v_mul_f32_e32 v174, v93, v130
	s_waitcnt vmcnt(37) lgkmcnt(7)
	v_mul_f32_e32 v175, v95, v131
	s_waitcnt vmcnt(36)
	v_mul_f32_e32 v176, v97, v132
	s_waitcnt vmcnt(35) lgkmcnt(6)
	v_mul_f32_e32 v177, v99, v133
	s_waitcnt vmcnt(34)
	v_mul_f32_e32 v178, v101, v134
	s_waitcnt vmcnt(33) lgkmcnt(5)
	v_mul_f32_e32 v179, v103, v135
	s_waitcnt vmcnt(32)
	v_mul_f32_e32 v180, v105, v136
	s_waitcnt vmcnt(31) lgkmcnt(4)
	v_mul_f32_e32 v181, v107, v137
	s_waitcnt vmcnt(30)
	v_mul_f32_e32 v182, v109, v138
	s_waitcnt vmcnt(29) lgkmcnt(3)
	v_mul_f32_e32 v183, v111, v139
	s_waitcnt vmcnt(28)
	v_mul_f32_e32 v184, v113, v140
	s_waitcnt vmcnt(27) lgkmcnt(2)
	v_mul_f32_e32 v185, v115, v141
	s_waitcnt vmcnt(26)
	v_mul_f32_e32 v186, v117, v142
	s_waitcnt vmcnt(25) lgkmcnt(1)
	v_mul_f32_e32 v187, v119, v143
	s_waitcnt vmcnt(22)
	v_fma_f32 v83, v83, v146, -v125
	v_fmac_f32_e32 v169, v84, v146
	v_mul_f32_e32 v84, v88, v127
	s_waitcnt vmcnt(21)
	v_fma_f32 v85, v85, v147, -v126
	v_fmac_f32_e32 v170, v86, v147
	v_add_f32_e32 v83, 0, v83
	v_add_f32_e32 v86, 0, v169
	v_mul_f32_e32 v125, v90, v128
	s_waitcnt vmcnt(20)
	v_fma_f32 v84, v87, v148, -v84
	v_fmac_f32_e32 v171, v88, v148
	v_add_f32_e32 v83, v83, v85
	v_add_f32_e32 v85, v86, v170
	;; [unrolled: 6-line block ×17, first 2 shown]
	v_mul_f32_e32 v86, v122, v144
	s_waitcnt vmcnt(4)
	v_fma_f32 v87, v119, v164, -v87
	v_mul_f32_e32 v188, v121, v144
	v_add_f32_e32 v83, v83, v85
	v_fmac_f32_e32 v187, v120, v164
	v_add_f32_e32 v84, v84, v186
	s_waitcnt lgkmcnt(0)
	v_mul_f32_e32 v85, v124, v145
	s_waitcnt vmcnt(3)
	v_fma_f32 v86, v121, v165, -v86
	v_add_f32_e32 v83, v83, v87
	v_mul_f32_e32 v189, v123, v145
	v_fmac_f32_e32 v188, v122, v165
	v_add_f32_e32 v84, v84, v187
	s_waitcnt vmcnt(2)
	v_fma_f32 v85, v123, v166, -v85
	v_add_f32_e32 v83, v83, v86
	v_fmac_f32_e32 v189, v124, v166
	v_add_f32_e32 v84, v84, v188
	v_add_f32_e32 v83, v83, v85
	;; [unrolled: 1-line block ×3, first 2 shown]
	s_waitcnt vmcnt(1)
	v_sub_f32_e32 v83, v167, v83
	s_waitcnt vmcnt(0)
	v_sub_f32_e32 v84, v168, v84
	buffer_store_dword v83, off, s[0:3], 0 offset:144
	buffer_store_dword v84, off, s[0:3], 0 offset:148
	v_cmpx_lt_u32_e32 17, v0
	s_cbranch_execz .LBB103_219
; %bb.218:
	s_clause 0x1
	buffer_load_dword v83, off, s[0:3], 0 offset:136
	buffer_load_dword v84, off, s[0:3], 0 offset:140
	buffer_store_dword v82, off, s[0:3], 0 offset:136
	buffer_store_dword v82, off, s[0:3], 0 offset:140
	s_waitcnt vmcnt(0)
	ds_write_b64 v81, v[83:84]
.LBB103_219:
	s_or_b32 exec_lo, exec_lo, s4
	s_waitcnt lgkmcnt(0)
	s_waitcnt_vscnt null, 0x0
	s_barrier
	buffer_gl0_inv
	s_clause 0x2d
	buffer_load_dword v127, off, s[0:3], 0 offset:148
	buffer_load_dword v128, off, s[0:3], 0 offset:156
	;; [unrolled: 1-line block ×46, first 2 shown]
	ds_read_b128 v[83:86], v82 offset:464
	ds_read_b128 v[87:90], v82 offset:480
	;; [unrolled: 1-line block ×11, first 2 shown]
	s_mov_b32 s4, exec_lo
	s_waitcnt vmcnt(45) lgkmcnt(10)
	v_mul_f32_e32 v82, v83, v127
	v_mul_f32_e32 v127, v84, v127
	s_waitcnt vmcnt(44)
	v_mul_f32_e32 v173, v85, v128
	v_mul_f32_e32 v128, v86, v128
	s_waitcnt vmcnt(43) lgkmcnt(9)
	v_mul_f32_e32 v174, v87, v129
	s_waitcnt vmcnt(42)
	v_mul_f32_e32 v175, v89, v130
	s_waitcnt vmcnt(41) lgkmcnt(8)
	v_mul_f32_e32 v176, v91, v131
	s_waitcnt vmcnt(40)
	;; [unrolled: 4-line block ×9, first 2 shown]
	v_mul_f32_e32 v191, v121, v146
	s_waitcnt vmcnt(23)
	v_fma_f32 v83, v83, v149, -v127
	v_fmac_f32_e32 v82, v84, v149
	v_mul_f32_e32 v84, v88, v129
	s_waitcnt vmcnt(22)
	v_fma_f32 v85, v85, v150, -v128
	v_fmac_f32_e32 v173, v86, v150
	v_add_f32_e32 v83, 0, v83
	v_add_f32_e32 v82, 0, v82
	v_mul_f32_e32 v86, v90, v130
	s_waitcnt vmcnt(21)
	v_fma_f32 v84, v87, v151, -v84
	v_fmac_f32_e32 v174, v88, v151
	v_add_f32_e32 v83, v83, v85
	v_add_f32_e32 v82, v82, v173
	;; [unrolled: 6-line block ×18, first 2 shown]
	s_waitcnt lgkmcnt(0)
	v_mul_f32_e32 v84, v124, v147
	s_waitcnt vmcnt(4)
	v_fma_f32 v85, v121, v168, -v85
	v_mul_f32_e32 v192, v123, v147
	v_add_f32_e32 v83, v83, v86
	v_fmac_f32_e32 v191, v122, v168
	v_add_f32_e32 v82, v82, v190
	v_mul_f32_e32 v86, v126, v148
	s_waitcnt vmcnt(3)
	v_fma_f32 v84, v123, v169, -v84
	v_add_f32_e32 v83, v83, v85
	v_mul_f32_e32 v193, v125, v148
	v_fmac_f32_e32 v192, v124, v169
	v_add_f32_e32 v82, v82, v191
	s_waitcnt vmcnt(2)
	v_fma_f32 v85, v125, v170, -v86
	v_add_f32_e32 v83, v83, v84
	v_fmac_f32_e32 v193, v126, v170
	v_add_f32_e32 v82, v82, v192
	v_add_f32_e32 v83, v83, v85
	;; [unrolled: 1-line block ×3, first 2 shown]
	s_waitcnt vmcnt(1)
	v_sub_f32_e32 v83, v171, v83
	s_waitcnt vmcnt(0)
	v_sub_f32_e32 v82, v172, v82
	buffer_store_dword v83, off, s[0:3], 0 offset:136
	buffer_store_dword v82, off, s[0:3], 0 offset:140
	v_cmpx_lt_u32_e32 16, v0
	s_cbranch_execz .LBB103_221
; %bb.220:
	s_clause 0x1
	buffer_load_dword v82, off, s[0:3], 0 offset:128
	buffer_load_dword v83, off, s[0:3], 0 offset:132
	v_mov_b32_e32 v84, 0
	buffer_store_dword v84, off, s[0:3], 0 offset:128
	buffer_store_dword v84, off, s[0:3], 0 offset:132
	s_waitcnt vmcnt(0)
	ds_write_b64 v81, v[82:83]
.LBB103_221:
	s_or_b32 exec_lo, exec_lo, s4
	s_waitcnt lgkmcnt(0)
	s_waitcnt_vscnt null, 0x0
	s_barrier
	buffer_gl0_inv
	s_clause 0x2f
	buffer_load_dword v129, off, s[0:3], 0 offset:140
	buffer_load_dword v130, off, s[0:3], 0 offset:148
	;; [unrolled: 1-line block ×48, first 2 shown]
	v_mov_b32_e32 v82, 0
	ds_read2_b64 v[83:86], v82 offset0:57 offset1:58
	ds_read2_b64 v[87:90], v82 offset0:59 offset1:60
	ds_read2_b64 v[91:94], v82 offset0:61 offset1:62
	ds_read2_b64 v[95:98], v82 offset0:63 offset1:64
	ds_read2_b64 v[99:102], v82 offset0:65 offset1:66
	ds_read2_b64 v[103:106], v82 offset0:67 offset1:68
	ds_read2_b64 v[107:110], v82 offset0:69 offset1:70
	ds_read2_b64 v[111:114], v82 offset0:71 offset1:72
	ds_read2_b64 v[115:118], v82 offset0:73 offset1:74
	ds_read2_b64 v[119:122], v82 offset0:75 offset1:76
	ds_read2_b64 v[123:126], v82 offset0:77 offset1:78
	ds_read_b64 v[127:128], v82 offset:632
	s_mov_b32 s4, exec_lo
	s_waitcnt vmcnt(47) lgkmcnt(11)
	v_mul_f32_e32 v177, v83, v129
	v_mul_f32_e32 v129, v84, v129
	s_waitcnt vmcnt(46)
	v_mul_f32_e32 v178, v85, v130
	v_mul_f32_e32 v130, v86, v130
	s_waitcnt vmcnt(45) lgkmcnt(10)
	v_mul_f32_e32 v179, v87, v131
	s_waitcnt vmcnt(44)
	v_mul_f32_e32 v180, v89, v132
	s_waitcnt vmcnt(43) lgkmcnt(9)
	v_mul_f32_e32 v181, v91, v133
	s_waitcnt vmcnt(42)
	;; [unrolled: 4-line block ×10, first 2 shown]
	v_fma_f32 v83, v83, v152, -v129
	v_fmac_f32_e32 v177, v84, v152
	v_mul_f32_e32 v84, v88, v131
	s_waitcnt vmcnt(23)
	v_fma_f32 v85, v85, v153, -v130
	v_fmac_f32_e32 v178, v86, v153
	v_add_f32_e32 v83, 0, v83
	v_add_f32_e32 v86, 0, v177
	v_mul_f32_e32 v129, v90, v132
	s_waitcnt vmcnt(22)
	v_fma_f32 v84, v87, v154, -v84
	v_fmac_f32_e32 v179, v88, v154
	v_add_f32_e32 v83, v83, v85
	v_add_f32_e32 v85, v86, v178
	;; [unrolled: 6-line block ×19, first 2 shown]
	v_mul_f32_e32 v87, v126, v150
	s_waitcnt vmcnt(4)
	v_fma_f32 v85, v123, v172, -v85
	v_mul_f32_e32 v198, v125, v150
	v_add_f32_e32 v83, v83, v86
	v_fmac_f32_e32 v197, v124, v172
	v_add_f32_e32 v84, v84, v196
	s_waitcnt lgkmcnt(0)
	v_mul_f32_e32 v86, v128, v151
	s_waitcnt vmcnt(3)
	v_fma_f32 v87, v125, v173, -v87
	v_add_f32_e32 v83, v83, v85
	v_mul_f32_e32 v199, v127, v151
	v_fmac_f32_e32 v198, v126, v173
	v_add_f32_e32 v84, v84, v197
	s_waitcnt vmcnt(2)
	v_fma_f32 v85, v127, v174, -v86
	v_add_f32_e32 v83, v83, v87
	v_fmac_f32_e32 v199, v128, v174
	v_add_f32_e32 v84, v84, v198
	v_add_f32_e32 v83, v83, v85
	;; [unrolled: 1-line block ×3, first 2 shown]
	s_waitcnt vmcnt(1)
	v_sub_f32_e32 v83, v175, v83
	s_waitcnt vmcnt(0)
	v_sub_f32_e32 v84, v176, v84
	buffer_store_dword v83, off, s[0:3], 0 offset:128
	buffer_store_dword v84, off, s[0:3], 0 offset:132
	v_cmpx_lt_u32_e32 15, v0
	s_cbranch_execz .LBB103_223
; %bb.222:
	s_clause 0x1
	buffer_load_dword v83, off, s[0:3], 0 offset:120
	buffer_load_dword v84, off, s[0:3], 0 offset:124
	buffer_store_dword v82, off, s[0:3], 0 offset:120
	buffer_store_dword v82, off, s[0:3], 0 offset:124
	s_waitcnt vmcnt(0)
	ds_write_b64 v81, v[83:84]
.LBB103_223:
	s_or_b32 exec_lo, exec_lo, s4
	s_waitcnt lgkmcnt(0)
	s_waitcnt_vscnt null, 0x0
	s_barrier
	buffer_gl0_inv
	s_clause 0x31
	buffer_load_dword v131, off, s[0:3], 0 offset:132
	buffer_load_dword v132, off, s[0:3], 0 offset:140
	buffer_load_dword v133, off, s[0:3], 0 offset:148
	buffer_load_dword v134, off, s[0:3], 0 offset:156
	buffer_load_dword v135, off, s[0:3], 0 offset:164
	buffer_load_dword v136, off, s[0:3], 0 offset:172
	buffer_load_dword v137, off, s[0:3], 0 offset:180
	buffer_load_dword v138, off, s[0:3], 0 offset:188
	buffer_load_dword v139, off, s[0:3], 0 offset:196
	buffer_load_dword v140, off, s[0:3], 0 offset:204
	buffer_load_dword v141, off, s[0:3], 0 offset:212
	buffer_load_dword v142, off, s[0:3], 0 offset:220
	buffer_load_dword v143, off, s[0:3], 0 offset:228
	buffer_load_dword v144, off, s[0:3], 0 offset:236
	buffer_load_dword v145, off, s[0:3], 0 offset:244
	buffer_load_dword v146, off, s[0:3], 0 offset:252
	buffer_load_dword v147, off, s[0:3], 0 offset:260
	buffer_load_dword v148, off, s[0:3], 0 offset:268
	buffer_load_dword v149, off, s[0:3], 0 offset:276
	buffer_load_dword v150, off, s[0:3], 0 offset:284
	buffer_load_dword v151, off, s[0:3], 0 offset:292
	buffer_load_dword v152, off, s[0:3], 0 offset:300
	buffer_load_dword v153, off, s[0:3], 0 offset:308
	buffer_load_dword v154, off, s[0:3], 0 offset:316
	buffer_load_dword v155, off, s[0:3], 0 offset:128
	buffer_load_dword v156, off, s[0:3], 0 offset:136
	buffer_load_dword v157, off, s[0:3], 0 offset:144
	buffer_load_dword v158, off, s[0:3], 0 offset:152
	buffer_load_dword v159, off, s[0:3], 0 offset:160
	buffer_load_dword v160, off, s[0:3], 0 offset:168
	buffer_load_dword v161, off, s[0:3], 0 offset:176
	buffer_load_dword v162, off, s[0:3], 0 offset:184
	buffer_load_dword v163, off, s[0:3], 0 offset:192
	buffer_load_dword v164, off, s[0:3], 0 offset:200
	buffer_load_dword v165, off, s[0:3], 0 offset:208
	buffer_load_dword v166, off, s[0:3], 0 offset:216
	buffer_load_dword v167, off, s[0:3], 0 offset:224
	buffer_load_dword v168, off, s[0:3], 0 offset:232
	buffer_load_dword v169, off, s[0:3], 0 offset:240
	buffer_load_dword v170, off, s[0:3], 0 offset:248
	buffer_load_dword v171, off, s[0:3], 0 offset:256
	buffer_load_dword v172, off, s[0:3], 0 offset:264
	buffer_load_dword v173, off, s[0:3], 0 offset:272
	buffer_load_dword v174, off, s[0:3], 0 offset:280
	buffer_load_dword v175, off, s[0:3], 0 offset:288
	buffer_load_dword v176, off, s[0:3], 0 offset:296
	buffer_load_dword v177, off, s[0:3], 0 offset:304
	buffer_load_dword v178, off, s[0:3], 0 offset:312
	buffer_load_dword v179, off, s[0:3], 0 offset:120
	buffer_load_dword v180, off, s[0:3], 0 offset:124
	ds_read_b128 v[83:86], v82 offset:448
	ds_read_b128 v[87:90], v82 offset:464
	;; [unrolled: 1-line block ×12, first 2 shown]
	s_mov_b32 s4, exec_lo
	s_waitcnt vmcnt(49) lgkmcnt(11)
	v_mul_f32_e32 v82, v83, v131
	v_mul_f32_e32 v131, v84, v131
	s_waitcnt vmcnt(48)
	v_mul_f32_e32 v181, v85, v132
	v_mul_f32_e32 v132, v86, v132
	s_waitcnt vmcnt(47) lgkmcnt(10)
	v_mul_f32_e32 v182, v87, v133
	s_waitcnt vmcnt(46)
	v_mul_f32_e32 v183, v89, v134
	s_waitcnt vmcnt(45) lgkmcnt(9)
	v_mul_f32_e32 v184, v91, v135
	s_waitcnt vmcnt(44)
	;; [unrolled: 4-line block ×10, first 2 shown]
	v_mul_f32_e32 v201, v125, v152
	s_waitcnt vmcnt(25)
	v_fma_f32 v83, v83, v155, -v131
	v_fmac_f32_e32 v82, v84, v155
	v_mul_f32_e32 v84, v88, v133
	s_waitcnt vmcnt(24)
	v_fma_f32 v85, v85, v156, -v132
	v_fmac_f32_e32 v181, v86, v156
	v_add_f32_e32 v83, 0, v83
	v_add_f32_e32 v82, 0, v82
	v_mul_f32_e32 v86, v90, v134
	s_waitcnt vmcnt(23)
	v_fma_f32 v84, v87, v157, -v84
	v_fmac_f32_e32 v182, v88, v157
	v_add_f32_e32 v83, v83, v85
	v_add_f32_e32 v82, v82, v181
	;; [unrolled: 6-line block ×20, first 2 shown]
	s_waitcnt lgkmcnt(0)
	v_mul_f32_e32 v85, v128, v153
	s_waitcnt vmcnt(4)
	v_fma_f32 v86, v125, v176, -v86
	v_mul_f32_e32 v202, v127, v153
	v_add_f32_e32 v83, v83, v84
	v_fmac_f32_e32 v201, v126, v176
	v_add_f32_e32 v82, v82, v200
	v_mul_f32_e32 v84, v130, v154
	s_waitcnt vmcnt(3)
	v_fma_f32 v85, v127, v177, -v85
	v_add_f32_e32 v83, v83, v86
	v_mul_f32_e32 v203, v129, v154
	v_fmac_f32_e32 v202, v128, v177
	v_add_f32_e32 v82, v82, v201
	s_waitcnt vmcnt(2)
	v_fma_f32 v84, v129, v178, -v84
	v_add_f32_e32 v83, v83, v85
	v_fmac_f32_e32 v203, v130, v178
	v_add_f32_e32 v82, v82, v202
	v_add_f32_e32 v83, v83, v84
	;; [unrolled: 1-line block ×3, first 2 shown]
	s_waitcnt vmcnt(1)
	v_sub_f32_e32 v83, v179, v83
	s_waitcnt vmcnt(0)
	v_sub_f32_e32 v82, v180, v82
	buffer_store_dword v83, off, s[0:3], 0 offset:120
	buffer_store_dword v82, off, s[0:3], 0 offset:124
	v_cmpx_lt_u32_e32 14, v0
	s_cbranch_execz .LBB103_225
; %bb.224:
	s_clause 0x1
	buffer_load_dword v82, off, s[0:3], 0 offset:112
	buffer_load_dword v83, off, s[0:3], 0 offset:116
	v_mov_b32_e32 v84, 0
	buffer_store_dword v84, off, s[0:3], 0 offset:112
	buffer_store_dword v84, off, s[0:3], 0 offset:116
	s_waitcnt vmcnt(0)
	ds_write_b64 v81, v[82:83]
.LBB103_225:
	s_or_b32 exec_lo, exec_lo, s4
	s_waitcnt lgkmcnt(0)
	s_waitcnt_vscnt null, 0x0
	s_barrier
	buffer_gl0_inv
	s_clause 0x33
	buffer_load_dword v133, off, s[0:3], 0 offset:124
	buffer_load_dword v134, off, s[0:3], 0 offset:132
	;; [unrolled: 1-line block ×52, first 2 shown]
	v_mov_b32_e32 v82, 0
	ds_read2_b64 v[83:86], v82 offset0:55 offset1:56
	ds_read2_b64 v[87:90], v82 offset0:57 offset1:58
	ds_read2_b64 v[91:94], v82 offset0:59 offset1:60
	ds_read2_b64 v[95:98], v82 offset0:61 offset1:62
	ds_read2_b64 v[99:102], v82 offset0:63 offset1:64
	ds_read2_b64 v[103:106], v82 offset0:65 offset1:66
	ds_read2_b64 v[107:110], v82 offset0:67 offset1:68
	ds_read2_b64 v[111:114], v82 offset0:69 offset1:70
	ds_read2_b64 v[115:118], v82 offset0:71 offset1:72
	ds_read2_b64 v[119:122], v82 offset0:73 offset1:74
	ds_read2_b64 v[123:126], v82 offset0:75 offset1:76
	ds_read2_b64 v[127:130], v82 offset0:77 offset1:78
	ds_read_b64 v[131:132], v82 offset:632
	s_mov_b32 s4, exec_lo
	s_waitcnt vmcnt(51) lgkmcnt(12)
	v_mul_f32_e32 v185, v83, v133
	v_mul_f32_e32 v133, v84, v133
	s_waitcnt vmcnt(50)
	v_mul_f32_e32 v186, v85, v134
	v_mul_f32_e32 v134, v86, v134
	s_waitcnt vmcnt(49) lgkmcnt(11)
	v_mul_f32_e32 v187, v87, v135
	s_waitcnt vmcnt(48)
	v_mul_f32_e32 v188, v89, v136
	s_waitcnt vmcnt(47) lgkmcnt(10)
	v_mul_f32_e32 v189, v91, v137
	s_waitcnt vmcnt(46)
	;; [unrolled: 4-line block ×11, first 2 shown]
	v_fma_f32 v83, v83, v158, -v133
	v_fmac_f32_e32 v185, v84, v158
	v_mul_f32_e32 v84, v88, v135
	s_waitcnt vmcnt(25)
	v_fma_f32 v85, v85, v159, -v134
	v_fmac_f32_e32 v186, v86, v159
	v_add_f32_e32 v83, 0, v83
	v_add_f32_e32 v86, 0, v185
	v_mul_f32_e32 v133, v90, v136
	s_waitcnt vmcnt(24)
	v_fma_f32 v84, v87, v160, -v84
	v_fmac_f32_e32 v187, v88, v160
	v_add_f32_e32 v83, v83, v85
	v_add_f32_e32 v85, v86, v186
	;; [unrolled: 6-line block ×21, first 2 shown]
	v_mul_f32_e32 v85, v130, v156
	s_waitcnt vmcnt(4)
	v_fma_f32 v86, v127, v180, -v86
	v_mul_f32_e32 v208, v129, v156
	v_add_f32_e32 v83, v83, v87
	v_fmac_f32_e32 v207, v128, v180
	v_add_f32_e32 v84, v84, v206
	s_waitcnt lgkmcnt(0)
	v_mul_f32_e32 v87, v132, v157
	s_waitcnt vmcnt(3)
	v_fma_f32 v85, v129, v181, -v85
	v_add_f32_e32 v83, v83, v86
	v_mul_f32_e32 v209, v131, v157
	v_fmac_f32_e32 v208, v130, v181
	v_add_f32_e32 v84, v84, v207
	s_waitcnt vmcnt(2)
	v_fma_f32 v86, v131, v182, -v87
	v_add_f32_e32 v83, v83, v85
	v_fmac_f32_e32 v209, v132, v182
	v_add_f32_e32 v84, v84, v208
	v_add_f32_e32 v83, v83, v86
	;; [unrolled: 1-line block ×3, first 2 shown]
	s_waitcnt vmcnt(1)
	v_sub_f32_e32 v83, v183, v83
	s_waitcnt vmcnt(0)
	v_sub_f32_e32 v84, v184, v84
	buffer_store_dword v83, off, s[0:3], 0 offset:112
	buffer_store_dword v84, off, s[0:3], 0 offset:116
	v_cmpx_lt_u32_e32 13, v0
	s_cbranch_execz .LBB103_227
; %bb.226:
	s_clause 0x1
	buffer_load_dword v83, off, s[0:3], 0 offset:104
	buffer_load_dword v84, off, s[0:3], 0 offset:108
	buffer_store_dword v82, off, s[0:3], 0 offset:104
	buffer_store_dword v82, off, s[0:3], 0 offset:108
	s_waitcnt vmcnt(0)
	ds_write_b64 v81, v[83:84]
.LBB103_227:
	s_or_b32 exec_lo, exec_lo, s4
	s_waitcnt lgkmcnt(0)
	s_waitcnt_vscnt null, 0x0
	s_barrier
	buffer_gl0_inv
	s_clause 0x35
	buffer_load_dword v135, off, s[0:3], 0 offset:116
	buffer_load_dword v136, off, s[0:3], 0 offset:124
	buffer_load_dword v137, off, s[0:3], 0 offset:132
	buffer_load_dword v138, off, s[0:3], 0 offset:140
	buffer_load_dword v139, off, s[0:3], 0 offset:148
	buffer_load_dword v140, off, s[0:3], 0 offset:156
	buffer_load_dword v141, off, s[0:3], 0 offset:164
	buffer_load_dword v142, off, s[0:3], 0 offset:172
	buffer_load_dword v143, off, s[0:3], 0 offset:180
	buffer_load_dword v144, off, s[0:3], 0 offset:188
	buffer_load_dword v145, off, s[0:3], 0 offset:196
	buffer_load_dword v146, off, s[0:3], 0 offset:204
	buffer_load_dword v147, off, s[0:3], 0 offset:212
	buffer_load_dword v148, off, s[0:3], 0 offset:220
	buffer_load_dword v149, off, s[0:3], 0 offset:228
	buffer_load_dword v150, off, s[0:3], 0 offset:236
	buffer_load_dword v151, off, s[0:3], 0 offset:244
	buffer_load_dword v152, off, s[0:3], 0 offset:252
	buffer_load_dword v153, off, s[0:3], 0 offset:260
	buffer_load_dword v154, off, s[0:3], 0 offset:268
	buffer_load_dword v155, off, s[0:3], 0 offset:276
	buffer_load_dword v156, off, s[0:3], 0 offset:284
	buffer_load_dword v157, off, s[0:3], 0 offset:292
	buffer_load_dword v158, off, s[0:3], 0 offset:300
	buffer_load_dword v159, off, s[0:3], 0 offset:308
	buffer_load_dword v160, off, s[0:3], 0 offset:316
	buffer_load_dword v161, off, s[0:3], 0 offset:112
	buffer_load_dword v162, off, s[0:3], 0 offset:120
	buffer_load_dword v163, off, s[0:3], 0 offset:128
	buffer_load_dword v164, off, s[0:3], 0 offset:136
	buffer_load_dword v165, off, s[0:3], 0 offset:144
	buffer_load_dword v166, off, s[0:3], 0 offset:152
	buffer_load_dword v167, off, s[0:3], 0 offset:160
	buffer_load_dword v168, off, s[0:3], 0 offset:168
	buffer_load_dword v169, off, s[0:3], 0 offset:176
	buffer_load_dword v170, off, s[0:3], 0 offset:184
	buffer_load_dword v171, off, s[0:3], 0 offset:192
	buffer_load_dword v172, off, s[0:3], 0 offset:200
	buffer_load_dword v173, off, s[0:3], 0 offset:208
	buffer_load_dword v174, off, s[0:3], 0 offset:216
	buffer_load_dword v175, off, s[0:3], 0 offset:224
	buffer_load_dword v176, off, s[0:3], 0 offset:232
	buffer_load_dword v177, off, s[0:3], 0 offset:240
	buffer_load_dword v178, off, s[0:3], 0 offset:248
	buffer_load_dword v179, off, s[0:3], 0 offset:256
	buffer_load_dword v180, off, s[0:3], 0 offset:264
	buffer_load_dword v181, off, s[0:3], 0 offset:272
	buffer_load_dword v182, off, s[0:3], 0 offset:280
	buffer_load_dword v183, off, s[0:3], 0 offset:288
	buffer_load_dword v184, off, s[0:3], 0 offset:296
	buffer_load_dword v185, off, s[0:3], 0 offset:304
	buffer_load_dword v186, off, s[0:3], 0 offset:312
	buffer_load_dword v187, off, s[0:3], 0 offset:104
	buffer_load_dword v188, off, s[0:3], 0 offset:108
	ds_read_b128 v[83:86], v82 offset:432
	ds_read_b128 v[87:90], v82 offset:448
	;; [unrolled: 1-line block ×13, first 2 shown]
	s_mov_b32 s4, exec_lo
	s_waitcnt vmcnt(53) lgkmcnt(12)
	v_mul_f32_e32 v82, v83, v135
	v_mul_f32_e32 v135, v84, v135
	s_waitcnt vmcnt(52)
	v_mul_f32_e32 v189, v85, v136
	v_mul_f32_e32 v136, v86, v136
	s_waitcnt vmcnt(51) lgkmcnt(11)
	v_mul_f32_e32 v190, v87, v137
	s_waitcnt vmcnt(50)
	v_mul_f32_e32 v191, v89, v138
	s_waitcnt vmcnt(49) lgkmcnt(10)
	v_mul_f32_e32 v192, v91, v139
	s_waitcnt vmcnt(48)
	;; [unrolled: 4-line block ×11, first 2 shown]
	v_mul_f32_e32 v211, v129, v158
	s_waitcnt vmcnt(27)
	v_fma_f32 v83, v83, v161, -v135
	v_fmac_f32_e32 v82, v84, v161
	v_mul_f32_e32 v84, v88, v137
	s_waitcnt vmcnt(26)
	v_fma_f32 v85, v85, v162, -v136
	v_fmac_f32_e32 v189, v86, v162
	v_add_f32_e32 v83, 0, v83
	v_add_f32_e32 v82, 0, v82
	v_mul_f32_e32 v86, v90, v138
	s_waitcnt vmcnt(25)
	v_fma_f32 v84, v87, v163, -v84
	v_fmac_f32_e32 v190, v88, v163
	v_add_f32_e32 v83, v83, v85
	v_add_f32_e32 v82, v82, v189
	;; [unrolled: 6-line block ×22, first 2 shown]
	s_waitcnt lgkmcnt(0)
	v_mul_f32_e32 v86, v132, v159
	s_waitcnt vmcnt(4)
	v_fma_f32 v84, v129, v184, -v84
	v_mul_f32_e32 v212, v131, v159
	v_add_f32_e32 v83, v83, v85
	v_fmac_f32_e32 v211, v130, v184
	v_add_f32_e32 v82, v82, v210
	v_mul_f32_e32 v85, v134, v160
	s_waitcnt vmcnt(3)
	v_fma_f32 v86, v131, v185, -v86
	v_add_f32_e32 v83, v83, v84
	v_mul_f32_e32 v213, v133, v160
	v_fmac_f32_e32 v212, v132, v185
	v_add_f32_e32 v82, v82, v211
	s_waitcnt vmcnt(2)
	v_fma_f32 v84, v133, v186, -v85
	v_add_f32_e32 v83, v83, v86
	v_fmac_f32_e32 v213, v134, v186
	v_add_f32_e32 v82, v82, v212
	v_add_f32_e32 v83, v83, v84
	;; [unrolled: 1-line block ×3, first 2 shown]
	s_waitcnt vmcnt(1)
	v_sub_f32_e32 v83, v187, v83
	s_waitcnt vmcnt(0)
	v_sub_f32_e32 v82, v188, v82
	buffer_store_dword v83, off, s[0:3], 0 offset:104
	buffer_store_dword v82, off, s[0:3], 0 offset:108
	v_cmpx_lt_u32_e32 12, v0
	s_cbranch_execz .LBB103_229
; %bb.228:
	s_clause 0x1
	buffer_load_dword v82, off, s[0:3], 0 offset:96
	buffer_load_dword v83, off, s[0:3], 0 offset:100
	v_mov_b32_e32 v84, 0
	buffer_store_dword v84, off, s[0:3], 0 offset:96
	buffer_store_dword v84, off, s[0:3], 0 offset:100
	s_waitcnt vmcnt(0)
	ds_write_b64 v81, v[82:83]
.LBB103_229:
	s_or_b32 exec_lo, exec_lo, s4
	s_waitcnt lgkmcnt(0)
	s_waitcnt_vscnt null, 0x0
	s_barrier
	buffer_gl0_inv
	s_clause 0x37
	buffer_load_dword v137, off, s[0:3], 0 offset:108
	buffer_load_dword v138, off, s[0:3], 0 offset:116
	;; [unrolled: 1-line block ×56, first 2 shown]
	v_mov_b32_e32 v82, 0
	ds_read2_b64 v[83:86], v82 offset0:53 offset1:54
	ds_read2_b64 v[87:90], v82 offset0:55 offset1:56
	;; [unrolled: 1-line block ×13, first 2 shown]
	ds_read_b64 v[135:136], v82 offset:632
	s_mov_b32 s4, exec_lo
	s_waitcnt vmcnt(55) lgkmcnt(13)
	v_mul_f32_e32 v193, v83, v137
	v_mul_f32_e32 v137, v84, v137
	s_waitcnt vmcnt(54)
	v_mul_f32_e32 v194, v85, v138
	v_mul_f32_e32 v138, v86, v138
	s_waitcnt vmcnt(53) lgkmcnt(12)
	v_mul_f32_e32 v195, v87, v139
	s_waitcnt vmcnt(52)
	v_mul_f32_e32 v196, v89, v140
	s_waitcnt vmcnt(51) lgkmcnt(11)
	v_mul_f32_e32 v197, v91, v141
	s_waitcnt vmcnt(50)
	;; [unrolled: 4-line block ×12, first 2 shown]
	v_fma_f32 v83, v83, v164, -v137
	v_fmac_f32_e32 v193, v84, v164
	v_mul_f32_e32 v84, v88, v139
	s_waitcnt vmcnt(27)
	v_fma_f32 v85, v85, v165, -v138
	v_fmac_f32_e32 v194, v86, v165
	v_add_f32_e32 v83, 0, v83
	v_add_f32_e32 v86, 0, v193
	v_mul_f32_e32 v137, v90, v140
	s_waitcnt vmcnt(26)
	v_fma_f32 v84, v87, v166, -v84
	v_fmac_f32_e32 v195, v88, v166
	v_add_f32_e32 v83, v83, v85
	v_add_f32_e32 v85, v86, v194
	;; [unrolled: 6-line block ×23, first 2 shown]
	v_mul_f32_e32 v86, v134, v162
	s_waitcnt vmcnt(4)
	v_fma_f32 v87, v131, v188, -v87
	v_mul_f32_e32 v218, v133, v162
	v_add_f32_e32 v83, v83, v85
	v_fmac_f32_e32 v217, v132, v188
	v_add_f32_e32 v84, v84, v216
	s_waitcnt lgkmcnt(0)
	v_mul_f32_e32 v85, v136, v163
	s_waitcnt vmcnt(3)
	v_fma_f32 v86, v133, v189, -v86
	v_add_f32_e32 v83, v83, v87
	v_mul_f32_e32 v219, v135, v163
	v_fmac_f32_e32 v218, v134, v189
	v_add_f32_e32 v84, v84, v217
	s_waitcnt vmcnt(2)
	v_fma_f32 v85, v135, v190, -v85
	v_add_f32_e32 v83, v83, v86
	v_fmac_f32_e32 v219, v136, v190
	v_add_f32_e32 v84, v84, v218
	v_add_f32_e32 v83, v83, v85
	;; [unrolled: 1-line block ×3, first 2 shown]
	s_waitcnt vmcnt(1)
	v_sub_f32_e32 v83, v191, v83
	s_waitcnt vmcnt(0)
	v_sub_f32_e32 v84, v192, v84
	buffer_store_dword v83, off, s[0:3], 0 offset:96
	buffer_store_dword v84, off, s[0:3], 0 offset:100
	v_cmpx_lt_u32_e32 11, v0
	s_cbranch_execz .LBB103_231
; %bb.230:
	s_clause 0x1
	buffer_load_dword v83, off, s[0:3], 0 offset:88
	buffer_load_dword v84, off, s[0:3], 0 offset:92
	buffer_store_dword v82, off, s[0:3], 0 offset:88
	buffer_store_dword v82, off, s[0:3], 0 offset:92
	s_waitcnt vmcnt(0)
	ds_write_b64 v81, v[83:84]
.LBB103_231:
	s_or_b32 exec_lo, exec_lo, s4
	s_waitcnt lgkmcnt(0)
	s_waitcnt_vscnt null, 0x0
	s_barrier
	buffer_gl0_inv
	s_clause 0x39
	buffer_load_dword v139, off, s[0:3], 0 offset:100
	buffer_load_dword v140, off, s[0:3], 0 offset:108
	;; [unrolled: 1-line block ×58, first 2 shown]
	ds_read_b128 v[83:86], v82 offset:416
	ds_read_b128 v[87:90], v82 offset:432
	ds_read_b128 v[91:94], v82 offset:448
	ds_read_b128 v[95:98], v82 offset:464
	ds_read_b128 v[99:102], v82 offset:480
	ds_read_b128 v[103:106], v82 offset:496
	ds_read_b128 v[107:110], v82 offset:512
	ds_read_b128 v[111:114], v82 offset:528
	ds_read_b128 v[115:118], v82 offset:544
	ds_read_b128 v[119:122], v82 offset:560
	ds_read_b128 v[123:126], v82 offset:576
	ds_read_b128 v[127:130], v82 offset:592
	ds_read_b128 v[131:134], v82 offset:608
	ds_read_b128 v[135:138], v82 offset:624
	s_mov_b32 s4, exec_lo
	s_waitcnt vmcnt(57) lgkmcnt(13)
	v_mul_f32_e32 v82, v83, v139
	v_mul_f32_e32 v139, v84, v139
	s_waitcnt vmcnt(56)
	v_mul_f32_e32 v197, v85, v140
	v_mul_f32_e32 v140, v86, v140
	s_waitcnt vmcnt(55) lgkmcnt(12)
	v_mul_f32_e32 v198, v87, v141
	s_waitcnt vmcnt(54)
	v_mul_f32_e32 v199, v89, v142
	s_waitcnt vmcnt(53) lgkmcnt(11)
	v_mul_f32_e32 v200, v91, v143
	s_waitcnt vmcnt(52)
	v_mul_f32_e32 v201, v93, v144
	s_waitcnt vmcnt(51) lgkmcnt(10)
	v_mul_f32_e32 v202, v95, v145
	s_waitcnt vmcnt(50)
	v_mul_f32_e32 v203, v97, v146
	s_waitcnt vmcnt(49) lgkmcnt(9)
	v_mul_f32_e32 v204, v99, v147
	s_waitcnt vmcnt(48)
	v_mul_f32_e32 v205, v101, v148
	s_waitcnt vmcnt(47) lgkmcnt(8)
	v_mul_f32_e32 v206, v103, v149
	s_waitcnt vmcnt(46)
	v_mul_f32_e32 v207, v105, v150
	s_waitcnt vmcnt(45) lgkmcnt(7)
	v_mul_f32_e32 v208, v107, v151
	s_waitcnt vmcnt(44)
	v_mul_f32_e32 v209, v109, v152
	s_waitcnt vmcnt(43) lgkmcnt(6)
	v_mul_f32_e32 v210, v111, v153
	s_waitcnt vmcnt(42)
	v_mul_f32_e32 v211, v113, v154
	s_waitcnt vmcnt(41) lgkmcnt(5)
	v_mul_f32_e32 v212, v115, v155
	s_waitcnt vmcnt(40)
	v_mul_f32_e32 v213, v117, v156
	s_waitcnt vmcnt(39) lgkmcnt(4)
	v_mul_f32_e32 v214, v119, v157
	s_waitcnt vmcnt(38)
	v_mul_f32_e32 v215, v121, v158
	s_waitcnt vmcnt(37) lgkmcnt(3)
	v_mul_f32_e32 v216, v123, v159
	s_waitcnt vmcnt(36)
	v_mul_f32_e32 v217, v125, v160
	s_waitcnt vmcnt(35) lgkmcnt(2)
	v_mul_f32_e32 v218, v127, v161
	s_waitcnt vmcnt(34)
	v_mul_f32_e32 v219, v129, v162
	s_waitcnt vmcnt(33) lgkmcnt(1)
	v_mul_f32_e32 v220, v131, v163
	s_waitcnt vmcnt(32)
	v_mul_f32_e32 v221, v133, v164
	s_waitcnt vmcnt(29)
	v_fma_f32 v83, v83, v167, -v139
	v_fmac_f32_e32 v82, v84, v167
	v_mul_f32_e32 v84, v88, v141
	s_waitcnt vmcnt(28)
	v_fma_f32 v85, v85, v168, -v140
	v_fmac_f32_e32 v197, v86, v168
	v_add_f32_e32 v83, 0, v83
	v_add_f32_e32 v82, 0, v82
	v_mul_f32_e32 v86, v90, v142
	s_waitcnt vmcnt(27)
	v_fma_f32 v84, v87, v169, -v84
	v_fmac_f32_e32 v198, v88, v169
	v_add_f32_e32 v83, v83, v85
	v_add_f32_e32 v82, v82, v197
	;; [unrolled: 6-line block ×24, first 2 shown]
	s_waitcnt lgkmcnt(0)
	v_mul_f32_e32 v84, v136, v165
	s_waitcnt vmcnt(4)
	v_fma_f32 v85, v133, v192, -v85
	v_mul_f32_e32 v222, v135, v165
	v_add_f32_e32 v83, v83, v86
	v_fmac_f32_e32 v221, v134, v192
	v_add_f32_e32 v82, v82, v220
	v_mul_f32_e32 v86, v138, v166
	s_waitcnt vmcnt(3)
	v_fma_f32 v84, v135, v193, -v84
	v_add_f32_e32 v83, v83, v85
	v_mul_f32_e32 v223, v137, v166
	v_fmac_f32_e32 v222, v136, v193
	v_add_f32_e32 v82, v82, v221
	s_waitcnt vmcnt(2)
	v_fma_f32 v85, v137, v194, -v86
	v_add_f32_e32 v83, v83, v84
	v_fmac_f32_e32 v223, v138, v194
	v_add_f32_e32 v82, v82, v222
	v_add_f32_e32 v83, v83, v85
	;; [unrolled: 1-line block ×3, first 2 shown]
	s_waitcnt vmcnt(1)
	v_sub_f32_e32 v83, v195, v83
	s_waitcnt vmcnt(0)
	v_sub_f32_e32 v82, v196, v82
	buffer_store_dword v83, off, s[0:3], 0 offset:88
	buffer_store_dword v82, off, s[0:3], 0 offset:92
	v_cmpx_lt_u32_e32 10, v0
	s_cbranch_execz .LBB103_233
; %bb.232:
	s_clause 0x1
	buffer_load_dword v82, off, s[0:3], 0 offset:80
	buffer_load_dword v83, off, s[0:3], 0 offset:84
	v_mov_b32_e32 v84, 0
	buffer_store_dword v84, off, s[0:3], 0 offset:80
	buffer_store_dword v84, off, s[0:3], 0 offset:84
	s_waitcnt vmcnt(0)
	ds_write_b64 v81, v[82:83]
.LBB103_233:
	s_or_b32 exec_lo, exec_lo, s4
	s_waitcnt lgkmcnt(0)
	s_waitcnt_vscnt null, 0x0
	s_barrier
	buffer_gl0_inv
	s_clause 0x3b
	buffer_load_dword v141, off, s[0:3], 0 offset:92
	buffer_load_dword v142, off, s[0:3], 0 offset:100
	;; [unrolled: 1-line block ×60, first 2 shown]
	v_mov_b32_e32 v82, 0
	ds_read2_b64 v[83:86], v82 offset0:51 offset1:52
	ds_read2_b64 v[87:90], v82 offset0:53 offset1:54
	;; [unrolled: 1-line block ×14, first 2 shown]
	ds_read_b64 v[139:140], v82 offset:632
	s_mov_b32 s4, exec_lo
	s_waitcnt vmcnt(59) lgkmcnt(14)
	v_mul_f32_e32 v201, v83, v141
	v_mul_f32_e32 v141, v84, v141
	s_waitcnt vmcnt(58)
	v_mul_f32_e32 v202, v85, v142
	v_mul_f32_e32 v142, v86, v142
	s_waitcnt vmcnt(57) lgkmcnt(13)
	v_mul_f32_e32 v203, v87, v143
	s_waitcnt vmcnt(56)
	v_mul_f32_e32 v204, v89, v144
	s_waitcnt vmcnt(55) lgkmcnt(12)
	v_mul_f32_e32 v205, v91, v145
	s_waitcnt vmcnt(54)
	;; [unrolled: 4-line block ×13, first 2 shown]
	v_fma_f32 v83, v83, v170, -v141
	v_fmac_f32_e32 v201, v84, v170
	v_mul_f32_e32 v84, v88, v143
	s_waitcnt vmcnt(29)
	v_fma_f32 v85, v85, v171, -v142
	v_fmac_f32_e32 v202, v86, v171
	v_add_f32_e32 v83, 0, v83
	v_add_f32_e32 v86, 0, v201
	v_mul_f32_e32 v141, v90, v144
	s_waitcnt vmcnt(28)
	v_fma_f32 v84, v87, v172, -v84
	v_fmac_f32_e32 v203, v88, v172
	v_add_f32_e32 v83, v83, v85
	v_add_f32_e32 v85, v86, v202
	v_mul_f32_e32 v86, v92, v145
	s_waitcnt vmcnt(27)
	v_fma_f32 v87, v89, v173, -v141
	v_fmac_f32_e32 v204, v90, v173
	v_add_f32_e32 v83, v83, v84
	v_add_f32_e32 v84, v85, v203
	v_mul_f32_e32 v85, v94, v146
	s_waitcnt vmcnt(26)
	v_fma_f32 v86, v91, v174, -v86
	v_fmac_f32_e32 v205, v92, v174
	v_add_f32_e32 v83, v83, v87
	v_add_f32_e32 v84, v84, v204
	v_mul_f32_e32 v87, v96, v147
	s_waitcnt vmcnt(25)
	v_fma_f32 v85, v93, v175, -v85
	v_fmac_f32_e32 v206, v94, v175
	v_add_f32_e32 v83, v83, v86
	v_add_f32_e32 v84, v84, v205
	v_mul_f32_e32 v86, v98, v148
	s_waitcnt vmcnt(24)
	v_fma_f32 v87, v95, v176, -v87
	v_fmac_f32_e32 v207, v96, v176
	v_add_f32_e32 v83, v83, v85
	v_add_f32_e32 v84, v84, v206
	v_mul_f32_e32 v85, v100, v149
	s_waitcnt vmcnt(23)
	v_fma_f32 v86, v97, v177, -v86
	v_fmac_f32_e32 v208, v98, v177
	v_add_f32_e32 v83, v83, v87
	v_add_f32_e32 v84, v84, v207
	v_mul_f32_e32 v87, v102, v150
	s_waitcnt vmcnt(22)
	v_fma_f32 v85, v99, v178, -v85
	v_fmac_f32_e32 v209, v100, v178
	v_add_f32_e32 v83, v83, v86
	v_add_f32_e32 v84, v84, v208
	v_mul_f32_e32 v86, v104, v151
	s_waitcnt vmcnt(21)
	v_fma_f32 v87, v101, v179, -v87
	v_fmac_f32_e32 v210, v102, v179
	v_add_f32_e32 v83, v83, v85
	v_add_f32_e32 v84, v84, v209
	v_mul_f32_e32 v85, v106, v152
	s_waitcnt vmcnt(20)
	v_fma_f32 v86, v103, v180, -v86
	v_fmac_f32_e32 v211, v104, v180
	v_add_f32_e32 v83, v83, v87
	v_add_f32_e32 v84, v84, v210
	v_mul_f32_e32 v87, v108, v153
	s_waitcnt vmcnt(19)
	v_fma_f32 v85, v105, v181, -v85
	v_fmac_f32_e32 v212, v106, v181
	v_add_f32_e32 v83, v83, v86
	v_add_f32_e32 v84, v84, v211
	v_mul_f32_e32 v86, v110, v154
	s_waitcnt vmcnt(18)
	v_fma_f32 v87, v107, v182, -v87
	v_fmac_f32_e32 v213, v108, v182
	v_add_f32_e32 v83, v83, v85
	v_add_f32_e32 v84, v84, v212
	v_mul_f32_e32 v85, v112, v155
	s_waitcnt vmcnt(17)
	v_fma_f32 v86, v109, v183, -v86
	v_fmac_f32_e32 v214, v110, v183
	v_add_f32_e32 v83, v83, v87
	v_add_f32_e32 v84, v84, v213
	v_mul_f32_e32 v87, v114, v156
	s_waitcnt vmcnt(16)
	v_fma_f32 v85, v111, v184, -v85
	v_fmac_f32_e32 v215, v112, v184
	v_add_f32_e32 v83, v83, v86
	v_add_f32_e32 v84, v84, v214
	v_mul_f32_e32 v86, v116, v157
	s_waitcnt vmcnt(15)
	v_fma_f32 v87, v113, v185, -v87
	v_fmac_f32_e32 v216, v114, v185
	v_add_f32_e32 v83, v83, v85
	v_add_f32_e32 v84, v84, v215
	v_mul_f32_e32 v85, v118, v158
	s_waitcnt vmcnt(14)
	v_fma_f32 v86, v115, v186, -v86
	v_fmac_f32_e32 v217, v116, v186
	v_add_f32_e32 v83, v83, v87
	v_add_f32_e32 v84, v84, v216
	v_mul_f32_e32 v87, v120, v159
	s_waitcnt vmcnt(13)
	v_fma_f32 v85, v117, v187, -v85
	v_fmac_f32_e32 v218, v118, v187
	v_add_f32_e32 v83, v83, v86
	v_add_f32_e32 v84, v84, v217
	v_mul_f32_e32 v86, v122, v160
	s_waitcnt vmcnt(12)
	v_fma_f32 v87, v119, v188, -v87
	v_fmac_f32_e32 v219, v120, v188
	v_add_f32_e32 v83, v83, v85
	v_add_f32_e32 v84, v84, v218
	v_mul_f32_e32 v85, v124, v161
	s_waitcnt vmcnt(11)
	v_fma_f32 v86, v121, v189, -v86
	v_fmac_f32_e32 v220, v122, v189
	v_add_f32_e32 v83, v83, v87
	v_add_f32_e32 v84, v84, v219
	v_mul_f32_e32 v87, v126, v162
	s_waitcnt vmcnt(10)
	v_fma_f32 v85, v123, v190, -v85
	v_fmac_f32_e32 v221, v124, v190
	v_add_f32_e32 v83, v83, v86
	v_add_f32_e32 v84, v84, v220
	v_mul_f32_e32 v86, v128, v163
	s_waitcnt vmcnt(9)
	v_fma_f32 v87, v125, v191, -v87
	v_fmac_f32_e32 v222, v126, v191
	v_add_f32_e32 v83, v83, v85
	v_add_f32_e32 v84, v84, v221
	v_mul_f32_e32 v85, v130, v164
	s_waitcnt vmcnt(8)
	v_fma_f32 v86, v127, v192, -v86
	v_fmac_f32_e32 v223, v128, v192
	v_add_f32_e32 v83, v83, v87
	v_add_f32_e32 v84, v84, v222
	v_mul_f32_e32 v87, v132, v165
	s_waitcnt vmcnt(7)
	v_fma_f32 v85, v129, v193, -v85
	v_fmac_f32_e32 v224, v130, v193
	v_add_f32_e32 v83, v83, v86
	v_add_f32_e32 v84, v84, v223
	v_mul_f32_e32 v86, v134, v166
	s_waitcnt vmcnt(6)
	v_fma_f32 v87, v131, v194, -v87
	v_fmac_f32_e32 v225, v132, v194
	v_add_f32_e32 v83, v83, v85
	v_add_f32_e32 v84, v84, v224
	v_mul_f32_e32 v85, v136, v167
	s_waitcnt vmcnt(5)
	v_fma_f32 v86, v133, v195, -v86
	v_fmac_f32_e32 v226, v134, v195
	v_add_f32_e32 v83, v83, v87
	v_add_f32_e32 v84, v84, v225
	v_mul_f32_e32 v87, v138, v168
	s_waitcnt vmcnt(4)
	v_fma_f32 v85, v135, v196, -v85
	v_mul_f32_e32 v228, v137, v168
	v_add_f32_e32 v83, v83, v86
	v_fmac_f32_e32 v227, v136, v196
	v_add_f32_e32 v84, v84, v226
	s_waitcnt lgkmcnt(0)
	v_mul_f32_e32 v86, v140, v169
	s_waitcnt vmcnt(3)
	v_fma_f32 v87, v137, v197, -v87
	v_add_f32_e32 v83, v83, v85
	v_mul_f32_e32 v229, v139, v169
	v_fmac_f32_e32 v228, v138, v197
	v_add_f32_e32 v84, v84, v227
	s_waitcnt vmcnt(2)
	v_fma_f32 v85, v139, v198, -v86
	v_add_f32_e32 v83, v83, v87
	v_fmac_f32_e32 v229, v140, v198
	v_add_f32_e32 v84, v84, v228
	v_add_f32_e32 v83, v83, v85
	;; [unrolled: 1-line block ×3, first 2 shown]
	s_waitcnt vmcnt(1)
	v_sub_f32_e32 v83, v199, v83
	s_waitcnt vmcnt(0)
	v_sub_f32_e32 v84, v200, v84
	buffer_store_dword v83, off, s[0:3], 0 offset:80
	buffer_store_dword v84, off, s[0:3], 0 offset:84
	v_cmpx_lt_u32_e32 9, v0
	s_cbranch_execz .LBB103_235
; %bb.234:
	s_clause 0x1
	buffer_load_dword v83, off, s[0:3], 0 offset:72
	buffer_load_dword v84, off, s[0:3], 0 offset:76
	buffer_store_dword v82, off, s[0:3], 0 offset:72
	buffer_store_dword v82, off, s[0:3], 0 offset:76
	s_waitcnt vmcnt(0)
	ds_write_b64 v81, v[83:84]
.LBB103_235:
	s_or_b32 exec_lo, exec_lo, s4
	s_waitcnt lgkmcnt(0)
	s_waitcnt_vscnt null, 0x0
	s_barrier
	buffer_gl0_inv
	s_clause 0x3d
	buffer_load_dword v143, off, s[0:3], 0 offset:84
	buffer_load_dword v144, off, s[0:3], 0 offset:92
	buffer_load_dword v145, off, s[0:3], 0 offset:100
	buffer_load_dword v146, off, s[0:3], 0 offset:108
	buffer_load_dword v147, off, s[0:3], 0 offset:116
	buffer_load_dword v148, off, s[0:3], 0 offset:124
	buffer_load_dword v149, off, s[0:3], 0 offset:132
	buffer_load_dword v150, off, s[0:3], 0 offset:140
	buffer_load_dword v151, off, s[0:3], 0 offset:148
	buffer_load_dword v152, off, s[0:3], 0 offset:156
	buffer_load_dword v153, off, s[0:3], 0 offset:164
	buffer_load_dword v154, off, s[0:3], 0 offset:172
	buffer_load_dword v155, off, s[0:3], 0 offset:180
	buffer_load_dword v156, off, s[0:3], 0 offset:188
	buffer_load_dword v157, off, s[0:3], 0 offset:196
	buffer_load_dword v158, off, s[0:3], 0 offset:204
	buffer_load_dword v159, off, s[0:3], 0 offset:212
	buffer_load_dword v160, off, s[0:3], 0 offset:220
	buffer_load_dword v161, off, s[0:3], 0 offset:228
	buffer_load_dword v162, off, s[0:3], 0 offset:236
	buffer_load_dword v163, off, s[0:3], 0 offset:244
	buffer_load_dword v164, off, s[0:3], 0 offset:252
	buffer_load_dword v165, off, s[0:3], 0 offset:260
	buffer_load_dword v166, off, s[0:3], 0 offset:268
	buffer_load_dword v167, off, s[0:3], 0 offset:276
	buffer_load_dword v168, off, s[0:3], 0 offset:284
	buffer_load_dword v169, off, s[0:3], 0 offset:292
	buffer_load_dword v170, off, s[0:3], 0 offset:300
	buffer_load_dword v171, off, s[0:3], 0 offset:308
	buffer_load_dword v172, off, s[0:3], 0 offset:316
	buffer_load_dword v173, off, s[0:3], 0 offset:80
	buffer_load_dword v174, off, s[0:3], 0 offset:88
	buffer_load_dword v175, off, s[0:3], 0 offset:96
	buffer_load_dword v176, off, s[0:3], 0 offset:104
	buffer_load_dword v177, off, s[0:3], 0 offset:112
	buffer_load_dword v178, off, s[0:3], 0 offset:120
	buffer_load_dword v179, off, s[0:3], 0 offset:128
	buffer_load_dword v180, off, s[0:3], 0 offset:136
	buffer_load_dword v181, off, s[0:3], 0 offset:144
	buffer_load_dword v182, off, s[0:3], 0 offset:152
	buffer_load_dword v183, off, s[0:3], 0 offset:160
	buffer_load_dword v184, off, s[0:3], 0 offset:168
	buffer_load_dword v185, off, s[0:3], 0 offset:176
	buffer_load_dword v186, off, s[0:3], 0 offset:184
	buffer_load_dword v187, off, s[0:3], 0 offset:192
	buffer_load_dword v188, off, s[0:3], 0 offset:200
	buffer_load_dword v189, off, s[0:3], 0 offset:208
	buffer_load_dword v190, off, s[0:3], 0 offset:216
	buffer_load_dword v191, off, s[0:3], 0 offset:224
	buffer_load_dword v192, off, s[0:3], 0 offset:232
	buffer_load_dword v193, off, s[0:3], 0 offset:240
	buffer_load_dword v194, off, s[0:3], 0 offset:248
	buffer_load_dword v195, off, s[0:3], 0 offset:256
	buffer_load_dword v196, off, s[0:3], 0 offset:264
	buffer_load_dword v197, off, s[0:3], 0 offset:272
	buffer_load_dword v198, off, s[0:3], 0 offset:280
	buffer_load_dword v199, off, s[0:3], 0 offset:288
	buffer_load_dword v200, off, s[0:3], 0 offset:296
	buffer_load_dword v201, off, s[0:3], 0 offset:304
	buffer_load_dword v202, off, s[0:3], 0 offset:312
	buffer_load_dword v203, off, s[0:3], 0 offset:72
	buffer_load_dword v204, off, s[0:3], 0 offset:76
	ds_read_b128 v[83:86], v82 offset:400
	ds_read_b128 v[87:90], v82 offset:416
	;; [unrolled: 1-line block ×15, first 2 shown]
	s_mov_b32 s4, exec_lo
	s_waitcnt vmcnt(61) lgkmcnt(14)
	v_mul_f32_e32 v82, v83, v143
	v_mul_f32_e32 v143, v84, v143
	s_waitcnt vmcnt(60)
	v_mul_f32_e32 v205, v85, v144
	v_mul_f32_e32 v144, v86, v144
	s_waitcnt vmcnt(59) lgkmcnt(13)
	v_mul_f32_e32 v206, v87, v145
	s_waitcnt vmcnt(58)
	v_mul_f32_e32 v207, v89, v146
	s_waitcnt vmcnt(57) lgkmcnt(12)
	v_mul_f32_e32 v208, v91, v147
	s_waitcnt vmcnt(56)
	;; [unrolled: 4-line block ×13, first 2 shown]
	v_mul_f32_e32 v231, v137, v170
	s_waitcnt vmcnt(31)
	v_fma_f32 v83, v83, v173, -v143
	v_fmac_f32_e32 v82, v84, v173
	v_mul_f32_e32 v84, v88, v145
	s_waitcnt vmcnt(30)
	v_fma_f32 v85, v85, v174, -v144
	v_fmac_f32_e32 v205, v86, v174
	v_add_f32_e32 v83, 0, v83
	v_add_f32_e32 v82, 0, v82
	v_mul_f32_e32 v86, v90, v146
	s_waitcnt vmcnt(29)
	v_fma_f32 v84, v87, v175, -v84
	v_fmac_f32_e32 v206, v88, v175
	v_add_f32_e32 v83, v83, v85
	v_add_f32_e32 v82, v82, v205
	v_mul_f32_e32 v85, v92, v147
	s_waitcnt vmcnt(28)
	v_fma_f32 v86, v89, v176, -v86
	v_fmac_f32_e32 v207, v90, v176
	v_add_f32_e32 v83, v83, v84
	v_add_f32_e32 v82, v82, v206
	v_mul_f32_e32 v84, v94, v148
	s_waitcnt vmcnt(27)
	v_fma_f32 v85, v91, v177, -v85
	v_fmac_f32_e32 v208, v92, v177
	v_add_f32_e32 v83, v83, v86
	v_add_f32_e32 v82, v82, v207
	v_mul_f32_e32 v86, v96, v149
	s_waitcnt vmcnt(26)
	v_fma_f32 v84, v93, v178, -v84
	v_fmac_f32_e32 v209, v94, v178
	v_add_f32_e32 v83, v83, v85
	v_add_f32_e32 v82, v82, v208
	v_mul_f32_e32 v85, v98, v150
	s_waitcnt vmcnt(25)
	v_fma_f32 v86, v95, v179, -v86
	v_fmac_f32_e32 v210, v96, v179
	v_add_f32_e32 v83, v83, v84
	v_add_f32_e32 v82, v82, v209
	v_mul_f32_e32 v84, v100, v151
	s_waitcnt vmcnt(24)
	v_fma_f32 v85, v97, v180, -v85
	v_fmac_f32_e32 v211, v98, v180
	v_add_f32_e32 v83, v83, v86
	v_add_f32_e32 v82, v82, v210
	v_mul_f32_e32 v86, v102, v152
	s_waitcnt vmcnt(23)
	v_fma_f32 v84, v99, v181, -v84
	v_fmac_f32_e32 v212, v100, v181
	v_add_f32_e32 v83, v83, v85
	v_add_f32_e32 v82, v82, v211
	v_mul_f32_e32 v85, v104, v153
	s_waitcnt vmcnt(22)
	v_fma_f32 v86, v101, v182, -v86
	v_fmac_f32_e32 v213, v102, v182
	v_add_f32_e32 v83, v83, v84
	v_add_f32_e32 v82, v82, v212
	v_mul_f32_e32 v84, v106, v154
	s_waitcnt vmcnt(21)
	v_fma_f32 v85, v103, v183, -v85
	v_fmac_f32_e32 v214, v104, v183
	v_add_f32_e32 v83, v83, v86
	v_add_f32_e32 v82, v82, v213
	v_mul_f32_e32 v86, v108, v155
	s_waitcnt vmcnt(20)
	v_fma_f32 v84, v105, v184, -v84
	v_fmac_f32_e32 v215, v106, v184
	v_add_f32_e32 v83, v83, v85
	v_add_f32_e32 v82, v82, v214
	v_mul_f32_e32 v85, v110, v156
	s_waitcnt vmcnt(19)
	v_fma_f32 v86, v107, v185, -v86
	v_fmac_f32_e32 v216, v108, v185
	v_add_f32_e32 v83, v83, v84
	v_add_f32_e32 v82, v82, v215
	v_mul_f32_e32 v84, v112, v157
	s_waitcnt vmcnt(18)
	v_fma_f32 v85, v109, v186, -v85
	v_fmac_f32_e32 v217, v110, v186
	v_add_f32_e32 v83, v83, v86
	v_add_f32_e32 v82, v82, v216
	v_mul_f32_e32 v86, v114, v158
	s_waitcnt vmcnt(17)
	v_fma_f32 v84, v111, v187, -v84
	v_fmac_f32_e32 v218, v112, v187
	v_add_f32_e32 v83, v83, v85
	v_add_f32_e32 v82, v82, v217
	v_mul_f32_e32 v85, v116, v159
	s_waitcnt vmcnt(16)
	v_fma_f32 v86, v113, v188, -v86
	v_fmac_f32_e32 v219, v114, v188
	v_add_f32_e32 v83, v83, v84
	v_add_f32_e32 v82, v82, v218
	v_mul_f32_e32 v84, v118, v160
	s_waitcnt vmcnt(15)
	v_fma_f32 v85, v115, v189, -v85
	v_fmac_f32_e32 v220, v116, v189
	v_add_f32_e32 v83, v83, v86
	v_add_f32_e32 v82, v82, v219
	v_mul_f32_e32 v86, v120, v161
	s_waitcnt vmcnt(14)
	v_fma_f32 v84, v117, v190, -v84
	v_fmac_f32_e32 v221, v118, v190
	v_add_f32_e32 v83, v83, v85
	v_add_f32_e32 v82, v82, v220
	v_mul_f32_e32 v85, v122, v162
	s_waitcnt vmcnt(13)
	v_fma_f32 v86, v119, v191, -v86
	v_fmac_f32_e32 v222, v120, v191
	v_add_f32_e32 v83, v83, v84
	v_add_f32_e32 v82, v82, v221
	v_mul_f32_e32 v84, v124, v163
	s_waitcnt vmcnt(12)
	v_fma_f32 v85, v121, v192, -v85
	v_fmac_f32_e32 v223, v122, v192
	v_add_f32_e32 v83, v83, v86
	v_add_f32_e32 v82, v82, v222
	v_mul_f32_e32 v86, v126, v164
	s_waitcnt vmcnt(11)
	v_fma_f32 v84, v123, v193, -v84
	v_fmac_f32_e32 v224, v124, v193
	v_add_f32_e32 v83, v83, v85
	v_add_f32_e32 v82, v82, v223
	v_mul_f32_e32 v85, v128, v165
	s_waitcnt vmcnt(10)
	v_fma_f32 v86, v125, v194, -v86
	v_fmac_f32_e32 v225, v126, v194
	v_add_f32_e32 v83, v83, v84
	v_add_f32_e32 v82, v82, v224
	v_mul_f32_e32 v84, v130, v166
	s_waitcnt vmcnt(9)
	v_fma_f32 v85, v127, v195, -v85
	v_fmac_f32_e32 v226, v128, v195
	v_add_f32_e32 v83, v83, v86
	v_add_f32_e32 v82, v82, v225
	v_mul_f32_e32 v86, v132, v167
	s_waitcnt vmcnt(8)
	v_fma_f32 v84, v129, v196, -v84
	v_fmac_f32_e32 v227, v130, v196
	v_add_f32_e32 v83, v83, v85
	v_add_f32_e32 v82, v82, v226
	v_mul_f32_e32 v85, v134, v168
	s_waitcnt vmcnt(7)
	v_fma_f32 v86, v131, v197, -v86
	v_fmac_f32_e32 v228, v132, v197
	v_add_f32_e32 v83, v83, v84
	v_add_f32_e32 v82, v82, v227
	v_mul_f32_e32 v84, v136, v169
	s_waitcnt vmcnt(6)
	v_fma_f32 v85, v133, v198, -v85
	v_fmac_f32_e32 v229, v134, v198
	v_add_f32_e32 v83, v83, v86
	v_add_f32_e32 v82, v82, v228
	v_mul_f32_e32 v86, v138, v170
	s_waitcnt vmcnt(5)
	v_fma_f32 v84, v135, v199, -v84
	v_fmac_f32_e32 v230, v136, v199
	v_add_f32_e32 v83, v83, v85
	v_add_f32_e32 v82, v82, v229
	s_waitcnt lgkmcnt(0)
	v_mul_f32_e32 v85, v140, v171
	s_waitcnt vmcnt(4)
	v_fma_f32 v86, v137, v200, -v86
	v_mul_f32_e32 v232, v139, v171
	v_add_f32_e32 v83, v83, v84
	v_fmac_f32_e32 v231, v138, v200
	v_add_f32_e32 v82, v82, v230
	v_mul_f32_e32 v84, v142, v172
	s_waitcnt vmcnt(3)
	v_fma_f32 v85, v139, v201, -v85
	v_add_f32_e32 v83, v83, v86
	v_mul_f32_e32 v233, v141, v172
	v_fmac_f32_e32 v232, v140, v201
	v_add_f32_e32 v82, v82, v231
	s_waitcnt vmcnt(2)
	v_fma_f32 v84, v141, v202, -v84
	v_add_f32_e32 v83, v83, v85
	v_fmac_f32_e32 v233, v142, v202
	v_add_f32_e32 v82, v82, v232
	v_add_f32_e32 v83, v83, v84
	;; [unrolled: 1-line block ×3, first 2 shown]
	s_waitcnt vmcnt(1)
	v_sub_f32_e32 v83, v203, v83
	s_waitcnt vmcnt(0)
	v_sub_f32_e32 v82, v204, v82
	buffer_store_dword v83, off, s[0:3], 0 offset:72
	buffer_store_dword v82, off, s[0:3], 0 offset:76
	v_cmpx_lt_u32_e32 8, v0
	s_cbranch_execz .LBB103_237
; %bb.236:
	s_clause 0x1
	buffer_load_dword v82, off, s[0:3], 0 offset:64
	buffer_load_dword v83, off, s[0:3], 0 offset:68
	v_mov_b32_e32 v84, 0
	buffer_store_dword v84, off, s[0:3], 0 offset:64
	buffer_store_dword v84, off, s[0:3], 0 offset:68
	s_waitcnt vmcnt(0)
	ds_write_b64 v81, v[82:83]
.LBB103_237:
	s_or_b32 exec_lo, exec_lo, s4
	s_waitcnt lgkmcnt(0)
	s_waitcnt_vscnt null, 0x0
	s_barrier
	buffer_gl0_inv
	s_clause 0x3e
	buffer_load_dword v145, off, s[0:3], 0 offset:76
	buffer_load_dword v146, off, s[0:3], 0 offset:84
	;; [unrolled: 1-line block ×64, first 2 shown]
	v_mov_b32_e32 v82, 0
	ds_read2_b64 v[83:86], v82 offset0:49 offset1:50
	ds_read2_b64 v[87:90], v82 offset0:51 offset1:52
	;; [unrolled: 1-line block ×15, first 2 shown]
	ds_read_b64 v[143:144], v82 offset:632
	s_mov_b32 s4, exec_lo
	s_waitcnt vmcnt(62) lgkmcnt(15)
	v_mul_f32_e32 v209, v83, v145
	v_mul_f32_e32 v145, v84, v145
	;; [unrolled: 1-line block ×4, first 2 shown]
	s_waitcnt vmcnt(61) lgkmcnt(14)
	v_mul_f32_e32 v211, v87, v147
	s_waitcnt vmcnt(60)
	v_mul_f32_e32 v212, v89, v148
	s_waitcnt vmcnt(59) lgkmcnt(13)
	v_mul_f32_e32 v213, v91, v149
	s_waitcnt vmcnt(58)
	v_mul_f32_e32 v214, v93, v150
	;; [unrolled: 4-line block ×13, first 2 shown]
	s_waitcnt vmcnt(35) lgkmcnt(1)
	v_mul_f32_e32 v237, v139, v173
	s_waitcnt vmcnt(32)
	v_fma_f32 v83, v83, v176, -v145
	v_fmac_f32_e32 v209, v84, v176
	v_mul_f32_e32 v84, v88, v147
	s_waitcnt vmcnt(31)
	v_fma_f32 v85, v85, v177, -v146
	v_fmac_f32_e32 v210, v86, v177
	v_add_f32_e32 v83, 0, v83
	v_add_f32_e32 v86, 0, v209
	v_mul_f32_e32 v145, v90, v148
	s_waitcnt vmcnt(30)
	v_fma_f32 v84, v87, v178, -v84
	v_fmac_f32_e32 v211, v88, v178
	v_add_f32_e32 v83, v83, v85
	v_add_f32_e32 v85, v86, v210
	v_mul_f32_e32 v86, v92, v149
	s_waitcnt vmcnt(29)
	v_fma_f32 v87, v89, v179, -v145
	v_fmac_f32_e32 v212, v90, v179
	v_add_f32_e32 v83, v83, v84
	v_add_f32_e32 v84, v85, v211
	v_mul_f32_e32 v85, v94, v150
	s_waitcnt vmcnt(28)
	v_fma_f32 v86, v91, v180, -v86
	v_fmac_f32_e32 v213, v92, v180
	v_add_f32_e32 v83, v83, v87
	v_add_f32_e32 v84, v84, v212
	v_mul_f32_e32 v87, v96, v151
	s_waitcnt vmcnt(27)
	v_fma_f32 v85, v93, v181, -v85
	v_fmac_f32_e32 v214, v94, v181
	v_add_f32_e32 v83, v83, v86
	v_add_f32_e32 v84, v84, v213
	v_mul_f32_e32 v86, v98, v152
	s_waitcnt vmcnt(26)
	v_fma_f32 v87, v95, v182, -v87
	v_fmac_f32_e32 v215, v96, v182
	v_add_f32_e32 v83, v83, v85
	v_add_f32_e32 v84, v84, v214
	v_mul_f32_e32 v85, v100, v153
	s_waitcnt vmcnt(25)
	v_fma_f32 v86, v97, v183, -v86
	v_fmac_f32_e32 v216, v98, v183
	v_add_f32_e32 v83, v83, v87
	v_add_f32_e32 v84, v84, v215
	v_mul_f32_e32 v87, v102, v154
	s_waitcnt vmcnt(24)
	v_fma_f32 v85, v99, v184, -v85
	v_fmac_f32_e32 v217, v100, v184
	v_add_f32_e32 v83, v83, v86
	v_add_f32_e32 v84, v84, v216
	v_mul_f32_e32 v86, v104, v155
	s_waitcnt vmcnt(23)
	v_fma_f32 v87, v101, v185, -v87
	v_fmac_f32_e32 v218, v102, v185
	v_add_f32_e32 v83, v83, v85
	v_add_f32_e32 v84, v84, v217
	v_mul_f32_e32 v85, v106, v156
	s_waitcnt vmcnt(22)
	v_fma_f32 v86, v103, v186, -v86
	v_fmac_f32_e32 v219, v104, v186
	v_add_f32_e32 v83, v83, v87
	v_add_f32_e32 v84, v84, v218
	v_mul_f32_e32 v87, v108, v157
	s_waitcnt vmcnt(21)
	v_fma_f32 v85, v105, v187, -v85
	v_fmac_f32_e32 v220, v106, v187
	v_add_f32_e32 v83, v83, v86
	v_add_f32_e32 v84, v84, v219
	v_mul_f32_e32 v86, v110, v158
	s_waitcnt vmcnt(20)
	v_fma_f32 v87, v107, v188, -v87
	v_fmac_f32_e32 v221, v108, v188
	v_add_f32_e32 v83, v83, v85
	v_add_f32_e32 v84, v84, v220
	v_mul_f32_e32 v85, v112, v159
	s_waitcnt vmcnt(19)
	v_fma_f32 v86, v109, v189, -v86
	v_fmac_f32_e32 v222, v110, v189
	v_add_f32_e32 v83, v83, v87
	v_add_f32_e32 v84, v84, v221
	v_mul_f32_e32 v87, v114, v160
	s_waitcnt vmcnt(18)
	v_fma_f32 v85, v111, v190, -v85
	v_fmac_f32_e32 v223, v112, v190
	v_add_f32_e32 v83, v83, v86
	v_add_f32_e32 v84, v84, v222
	v_mul_f32_e32 v86, v116, v161
	s_waitcnt vmcnt(17)
	v_fma_f32 v87, v113, v191, -v87
	v_fmac_f32_e32 v224, v114, v191
	v_add_f32_e32 v83, v83, v85
	v_add_f32_e32 v84, v84, v223
	v_mul_f32_e32 v85, v118, v162
	s_waitcnt vmcnt(16)
	v_fma_f32 v86, v115, v192, -v86
	v_fmac_f32_e32 v225, v116, v192
	v_add_f32_e32 v83, v83, v87
	v_add_f32_e32 v84, v84, v224
	v_mul_f32_e32 v87, v120, v163
	s_waitcnt vmcnt(15)
	v_fma_f32 v85, v117, v193, -v85
	v_fmac_f32_e32 v226, v118, v193
	v_add_f32_e32 v83, v83, v86
	v_add_f32_e32 v84, v84, v225
	v_mul_f32_e32 v86, v122, v164
	s_waitcnt vmcnt(14)
	v_fma_f32 v87, v119, v194, -v87
	v_fmac_f32_e32 v227, v120, v194
	v_add_f32_e32 v83, v83, v85
	v_add_f32_e32 v84, v84, v226
	v_mul_f32_e32 v85, v124, v165
	s_waitcnt vmcnt(13)
	v_fma_f32 v86, v121, v195, -v86
	v_fmac_f32_e32 v228, v122, v195
	v_add_f32_e32 v83, v83, v87
	v_add_f32_e32 v84, v84, v227
	v_mul_f32_e32 v87, v126, v166
	s_waitcnt vmcnt(12)
	v_fma_f32 v85, v123, v196, -v85
	v_fmac_f32_e32 v229, v124, v196
	v_add_f32_e32 v83, v83, v86
	v_add_f32_e32 v84, v84, v228
	v_mul_f32_e32 v86, v128, v167
	s_waitcnt vmcnt(11)
	v_fma_f32 v87, v125, v197, -v87
	v_fmac_f32_e32 v230, v126, v197
	v_add_f32_e32 v83, v83, v85
	v_add_f32_e32 v84, v84, v229
	v_mul_f32_e32 v85, v130, v168
	s_waitcnt vmcnt(10)
	v_fma_f32 v86, v127, v198, -v86
	v_fmac_f32_e32 v231, v128, v198
	v_add_f32_e32 v83, v83, v87
	v_add_f32_e32 v84, v84, v230
	v_mul_f32_e32 v87, v132, v169
	s_waitcnt vmcnt(9)
	v_fma_f32 v85, v129, v199, -v85
	v_fmac_f32_e32 v232, v130, v199
	v_add_f32_e32 v83, v83, v86
	v_add_f32_e32 v84, v84, v231
	v_mul_f32_e32 v86, v134, v170
	s_waitcnt vmcnt(8)
	v_fma_f32 v87, v131, v200, -v87
	v_fmac_f32_e32 v233, v132, v200
	v_add_f32_e32 v83, v83, v85
	v_add_f32_e32 v84, v84, v232
	v_mul_f32_e32 v85, v136, v171
	s_waitcnt vmcnt(7)
	v_fma_f32 v86, v133, v201, -v86
	v_fmac_f32_e32 v234, v134, v201
	v_add_f32_e32 v83, v83, v87
	v_add_f32_e32 v84, v84, v233
	v_mul_f32_e32 v87, v138, v172
	s_waitcnt vmcnt(6)
	v_fma_f32 v85, v135, v202, -v85
	v_fmac_f32_e32 v235, v136, v202
	v_add_f32_e32 v83, v83, v86
	v_add_f32_e32 v84, v84, v234
	v_mul_f32_e32 v86, v140, v173
	s_waitcnt vmcnt(5)
	v_fma_f32 v87, v137, v203, -v87
	v_fmac_f32_e32 v236, v138, v203
	v_add_f32_e32 v83, v83, v85
	v_add_f32_e32 v84, v84, v235
	v_mul_f32_e32 v85, v142, v174
	s_waitcnt vmcnt(4)
	v_fma_f32 v86, v139, v204, -v86
	v_mul_f32_e32 v238, v141, v174
	v_add_f32_e32 v83, v83, v87
	v_fmac_f32_e32 v237, v140, v204
	v_add_f32_e32 v84, v84, v236
	s_waitcnt lgkmcnt(0)
	v_mul_f32_e32 v87, v144, v175
	s_waitcnt vmcnt(3)
	v_fma_f32 v85, v141, v205, -v85
	v_add_f32_e32 v83, v83, v86
	v_mul_f32_e32 v239, v143, v175
	v_fmac_f32_e32 v238, v142, v205
	v_add_f32_e32 v84, v84, v237
	s_waitcnt vmcnt(2)
	v_fma_f32 v86, v143, v206, -v87
	v_add_f32_e32 v83, v83, v85
	v_fmac_f32_e32 v239, v144, v206
	v_add_f32_e32 v84, v84, v238
	v_add_f32_e32 v83, v83, v86
	;; [unrolled: 1-line block ×3, first 2 shown]
	s_waitcnt vmcnt(1)
	v_sub_f32_e32 v83, v207, v83
	s_waitcnt vmcnt(0)
	v_sub_f32_e32 v84, v208, v84
	buffer_store_dword v83, off, s[0:3], 0 offset:64
	buffer_store_dword v84, off, s[0:3], 0 offset:68
	v_cmpx_lt_u32_e32 7, v0
	s_cbranch_execz .LBB103_239
; %bb.238:
	s_clause 0x1
	buffer_load_dword v83, off, s[0:3], 0 offset:56
	buffer_load_dword v84, off, s[0:3], 0 offset:60
	buffer_store_dword v82, off, s[0:3], 0 offset:56
	buffer_store_dword v82, off, s[0:3], 0 offset:60
	s_waitcnt vmcnt(0)
	ds_write_b64 v81, v[83:84]
.LBB103_239:
	s_or_b32 exec_lo, exec_lo, s4
	s_waitcnt lgkmcnt(0)
	s_waitcnt_vscnt null, 0x0
	s_barrier
	buffer_gl0_inv
	s_clause 0x3e
	buffer_load_dword v147, off, s[0:3], 0 offset:68
	buffer_load_dword v148, off, s[0:3], 0 offset:76
	buffer_load_dword v149, off, s[0:3], 0 offset:84
	buffer_load_dword v150, off, s[0:3], 0 offset:92
	buffer_load_dword v151, off, s[0:3], 0 offset:100
	buffer_load_dword v152, off, s[0:3], 0 offset:108
	buffer_load_dword v153, off, s[0:3], 0 offset:116
	buffer_load_dword v154, off, s[0:3], 0 offset:124
	buffer_load_dword v155, off, s[0:3], 0 offset:132
	buffer_load_dword v156, off, s[0:3], 0 offset:140
	buffer_load_dword v157, off, s[0:3], 0 offset:148
	buffer_load_dword v158, off, s[0:3], 0 offset:156
	buffer_load_dword v159, off, s[0:3], 0 offset:164
	buffer_load_dword v160, off, s[0:3], 0 offset:172
	buffer_load_dword v161, off, s[0:3], 0 offset:180
	buffer_load_dword v162, off, s[0:3], 0 offset:188
	buffer_load_dword v163, off, s[0:3], 0 offset:196
	buffer_load_dword v164, off, s[0:3], 0 offset:204
	buffer_load_dword v165, off, s[0:3], 0 offset:212
	buffer_load_dword v166, off, s[0:3], 0 offset:220
	buffer_load_dword v167, off, s[0:3], 0 offset:228
	buffer_load_dword v168, off, s[0:3], 0 offset:236
	buffer_load_dword v169, off, s[0:3], 0 offset:244
	buffer_load_dword v170, off, s[0:3], 0 offset:252
	buffer_load_dword v171, off, s[0:3], 0 offset:260
	buffer_load_dword v172, off, s[0:3], 0 offset:268
	buffer_load_dword v173, off, s[0:3], 0 offset:276
	buffer_load_dword v174, off, s[0:3], 0 offset:284
	buffer_load_dword v175, off, s[0:3], 0 offset:292
	buffer_load_dword v176, off, s[0:3], 0 offset:300
	buffer_load_dword v177, off, s[0:3], 0 offset:308
	buffer_load_dword v178, off, s[0:3], 0 offset:316
	buffer_load_dword v179, off, s[0:3], 0 offset:64
	buffer_load_dword v180, off, s[0:3], 0 offset:72
	buffer_load_dword v181, off, s[0:3], 0 offset:80
	buffer_load_dword v182, off, s[0:3], 0 offset:88
	buffer_load_dword v183, off, s[0:3], 0 offset:96
	buffer_load_dword v184, off, s[0:3], 0 offset:104
	buffer_load_dword v185, off, s[0:3], 0 offset:112
	buffer_load_dword v186, off, s[0:3], 0 offset:120
	buffer_load_dword v187, off, s[0:3], 0 offset:128
	buffer_load_dword v188, off, s[0:3], 0 offset:136
	buffer_load_dword v189, off, s[0:3], 0 offset:144
	buffer_load_dword v190, off, s[0:3], 0 offset:152
	buffer_load_dword v191, off, s[0:3], 0 offset:160
	buffer_load_dword v192, off, s[0:3], 0 offset:168
	buffer_load_dword v193, off, s[0:3], 0 offset:176
	buffer_load_dword v194, off, s[0:3], 0 offset:184
	buffer_load_dword v195, off, s[0:3], 0 offset:192
	buffer_load_dword v196, off, s[0:3], 0 offset:200
	buffer_load_dword v197, off, s[0:3], 0 offset:208
	buffer_load_dword v198, off, s[0:3], 0 offset:216
	buffer_load_dword v199, off, s[0:3], 0 offset:224
	buffer_load_dword v200, off, s[0:3], 0 offset:232
	buffer_load_dword v201, off, s[0:3], 0 offset:240
	buffer_load_dword v202, off, s[0:3], 0 offset:248
	buffer_load_dword v203, off, s[0:3], 0 offset:256
	buffer_load_dword v204, off, s[0:3], 0 offset:264
	buffer_load_dword v205, off, s[0:3], 0 offset:272
	buffer_load_dword v206, off, s[0:3], 0 offset:280
	buffer_load_dword v207, off, s[0:3], 0 offset:288
	buffer_load_dword v208, off, s[0:3], 0 offset:296
	buffer_load_dword v209, off, s[0:3], 0 offset:304
	s_clause 0x2
	buffer_load_dword v210, off, s[0:3], 0 offset:312
	buffer_load_dword v211, off, s[0:3], 0 offset:56
	;; [unrolled: 1-line block ×3, first 2 shown]
	ds_read_b128 v[83:86], v82 offset:384
	ds_read_b128 v[87:90], v82 offset:400
	;; [unrolled: 1-line block ×16, first 2 shown]
	s_mov_b32 s4, exec_lo
	s_waitcnt vmcnt(62) lgkmcnt(15)
	v_mul_f32_e32 v82, v83, v147
	v_mul_f32_e32 v147, v84, v147
	;; [unrolled: 1-line block ×4, first 2 shown]
	s_waitcnt lgkmcnt(14)
	v_mul_f32_e32 v214, v87, v149
	v_mul_f32_e32 v215, v89, v150
	s_waitcnt vmcnt(61) lgkmcnt(13)
	v_mul_f32_e32 v216, v91, v151
	s_waitcnt vmcnt(60)
	v_mul_f32_e32 v217, v93, v152
	s_waitcnt vmcnt(59) lgkmcnt(12)
	v_mul_f32_e32 v218, v95, v153
	s_waitcnt vmcnt(58)
	;; [unrolled: 4-line block ×13, first 2 shown]
	v_mul_f32_e32 v241, v141, v176
	s_waitcnt vmcnt(33)
	v_fma_f32 v83, v83, v179, -v147
	v_fmac_f32_e32 v82, v84, v179
	v_mul_f32_e32 v84, v88, v149
	s_waitcnt vmcnt(32)
	v_fma_f32 v85, v85, v180, -v148
	v_fmac_f32_e32 v213, v86, v180
	v_add_f32_e32 v83, 0, v83
	v_add_f32_e32 v82, 0, v82
	v_mul_f32_e32 v86, v90, v150
	s_waitcnt vmcnt(31)
	v_fma_f32 v84, v87, v181, -v84
	v_fmac_f32_e32 v214, v88, v181
	v_add_f32_e32 v83, v83, v85
	v_add_f32_e32 v82, v82, v213
	;; [unrolled: 6-line block ×28, first 2 shown]
	s_waitcnt lgkmcnt(0)
	v_mul_f32_e32 v86, v144, v177
	s_waitcnt vmcnt(4)
	v_fma_f32 v84, v141, v208, -v84
	v_mul_f32_e32 v242, v143, v177
	v_add_f32_e32 v83, v83, v85
	v_fmac_f32_e32 v241, v142, v208
	v_add_f32_e32 v82, v82, v240
	v_mul_f32_e32 v85, v146, v178
	s_waitcnt vmcnt(3)
	v_fma_f32 v86, v143, v209, -v86
	v_add_f32_e32 v83, v83, v84
	v_mul_f32_e32 v243, v145, v178
	v_fmac_f32_e32 v242, v144, v209
	v_add_f32_e32 v82, v82, v241
	s_waitcnt vmcnt(2)
	v_fma_f32 v84, v145, v210, -v85
	v_add_f32_e32 v83, v83, v86
	v_fmac_f32_e32 v243, v146, v210
	v_add_f32_e32 v82, v82, v242
	v_add_f32_e32 v83, v83, v84
	;; [unrolled: 1-line block ×3, first 2 shown]
	s_waitcnt vmcnt(1)
	v_sub_f32_e32 v83, v211, v83
	s_waitcnt vmcnt(0)
	v_sub_f32_e32 v82, v212, v82
	buffer_store_dword v83, off, s[0:3], 0 offset:56
	buffer_store_dword v82, off, s[0:3], 0 offset:60
	v_cmpx_lt_u32_e32 6, v0
	s_cbranch_execz .LBB103_241
; %bb.240:
	s_clause 0x1
	buffer_load_dword v82, off, s[0:3], 0 offset:48
	buffer_load_dword v83, off, s[0:3], 0 offset:52
	v_mov_b32_e32 v84, 0
	buffer_store_dword v84, off, s[0:3], 0 offset:48
	buffer_store_dword v84, off, s[0:3], 0 offset:52
	s_waitcnt vmcnt(0)
	ds_write_b64 v81, v[82:83]
.LBB103_241:
	s_or_b32 exec_lo, exec_lo, s4
	s_waitcnt lgkmcnt(0)
	s_waitcnt_vscnt null, 0x0
	s_barrier
	buffer_gl0_inv
	s_clause 0x3e
	buffer_load_dword v149, off, s[0:3], 0 offset:60
	buffer_load_dword v150, off, s[0:3], 0 offset:68
	;; [unrolled: 1-line block ×63, first 2 shown]
	s_clause 0x4
	buffer_load_dword v212, off, s[0:3], 0 offset:296
	buffer_load_dword v213, off, s[0:3], 0 offset:304
	;; [unrolled: 1-line block ×5, first 2 shown]
	v_mov_b32_e32 v82, 0
	ds_read2_b64 v[83:86], v82 offset0:47 offset1:48
	ds_read2_b64 v[87:90], v82 offset0:49 offset1:50
	;; [unrolled: 1-line block ×16, first 2 shown]
	ds_read_b64 v[147:148], v82 offset:632
	s_mov_b32 s4, exec_lo
	s_waitcnt vmcnt(62) lgkmcnt(16)
	v_mul_f32_e32 v217, v83, v149
	v_mul_f32_e32 v149, v84, v149
	;; [unrolled: 1-line block ×4, first 2 shown]
	s_waitcnt lgkmcnt(15)
	v_mul_f32_e32 v219, v87, v151
	v_mul_f32_e32 v220, v89, v152
	s_waitcnt lgkmcnt(14)
	v_mul_f32_e32 v221, v91, v153
	v_mul_f32_e32 v222, v93, v154
	s_waitcnt vmcnt(61) lgkmcnt(13)
	v_mul_f32_e32 v223, v95, v155
	s_waitcnt vmcnt(60)
	v_mul_f32_e32 v224, v97, v156
	s_waitcnt vmcnt(59) lgkmcnt(12)
	v_mul_f32_e32 v225, v99, v157
	s_waitcnt vmcnt(58)
	;; [unrolled: 4-line block ×13, first 2 shown]
	v_fma_f32 v83, v83, v182, -v149
	v_fmac_f32_e32 v217, v84, v182
	v_mul_f32_e32 v84, v88, v151
	s_waitcnt vmcnt(33)
	v_fma_f32 v85, v85, v183, -v150
	v_fmac_f32_e32 v218, v86, v183
	v_add_f32_e32 v83, 0, v83
	v_add_f32_e32 v86, 0, v217
	v_mul_f32_e32 v149, v90, v152
	s_waitcnt vmcnt(32)
	v_fma_f32 v84, v87, v184, -v84
	v_fmac_f32_e32 v219, v88, v184
	v_add_f32_e32 v83, v83, v85
	v_add_f32_e32 v85, v86, v218
	;; [unrolled: 6-line block ×29, first 2 shown]
	v_mul_f32_e32 v86, v146, v180
	s_waitcnt vmcnt(4)
	v_fma_f32 v87, v143, v212, -v87
	v_mul_f32_e32 v248, v145, v180
	v_add_f32_e32 v83, v83, v85
	v_fmac_f32_e32 v247, v144, v212
	v_add_f32_e32 v84, v84, v246
	s_waitcnt lgkmcnt(0)
	v_mul_f32_e32 v85, v148, v181
	s_waitcnt vmcnt(3)
	v_fma_f32 v86, v145, v213, -v86
	v_add_f32_e32 v83, v83, v87
	v_mul_f32_e32 v249, v147, v181
	v_fmac_f32_e32 v248, v146, v213
	v_add_f32_e32 v84, v84, v247
	s_waitcnt vmcnt(2)
	v_fma_f32 v85, v147, v214, -v85
	v_add_f32_e32 v83, v83, v86
	v_fmac_f32_e32 v249, v148, v214
	v_add_f32_e32 v84, v84, v248
	v_add_f32_e32 v83, v83, v85
	v_add_f32_e32 v84, v84, v249
	s_waitcnt vmcnt(1)
	v_sub_f32_e32 v83, v215, v83
	s_waitcnt vmcnt(0)
	v_sub_f32_e32 v84, v216, v84
	buffer_store_dword v83, off, s[0:3], 0 offset:48
	buffer_store_dword v84, off, s[0:3], 0 offset:52
	v_cmpx_lt_u32_e32 5, v0
	s_cbranch_execz .LBB103_243
; %bb.242:
	s_clause 0x1
	buffer_load_dword v83, off, s[0:3], 0 offset:40
	buffer_load_dword v84, off, s[0:3], 0 offset:44
	buffer_store_dword v82, off, s[0:3], 0 offset:40
	buffer_store_dword v82, off, s[0:3], 0 offset:44
	s_waitcnt vmcnt(0)
	ds_write_b64 v81, v[83:84]
.LBB103_243:
	s_or_b32 exec_lo, exec_lo, s4
	s_waitcnt lgkmcnt(0)
	s_waitcnt_vscnt null, 0x0
	s_barrier
	buffer_gl0_inv
	s_clause 0x3e
	buffer_load_dword v151, off, s[0:3], 0 offset:52
	buffer_load_dword v152, off, s[0:3], 0 offset:60
	;; [unrolled: 1-line block ×63, first 2 shown]
	s_clause 0x6
	buffer_load_dword v214, off, s[0:3], 0 offset:280
	buffer_load_dword v215, off, s[0:3], 0 offset:288
	;; [unrolled: 1-line block ×7, first 2 shown]
	ds_read_b128 v[83:86], v82 offset:368
	ds_read_b128 v[87:90], v82 offset:384
	;; [unrolled: 1-line block ×17, first 2 shown]
	s_mov_b32 s4, exec_lo
	s_waitcnt vmcnt(62) lgkmcnt(16)
	v_mul_f32_e32 v82, v83, v151
	v_mul_f32_e32 v151, v84, v151
	;; [unrolled: 1-line block ×4, first 2 shown]
	s_waitcnt lgkmcnt(15)
	v_mul_f32_e32 v222, v87, v153
	v_mul_f32_e32 v223, v89, v154
	s_waitcnt lgkmcnt(14)
	v_mul_f32_e32 v224, v91, v155
	v_mul_f32_e32 v225, v93, v156
	;; [unrolled: 3-line block ×3, first 2 shown]
	s_waitcnt vmcnt(61) lgkmcnt(12)
	v_mul_f32_e32 v228, v99, v159
	s_waitcnt vmcnt(60)
	v_mul_f32_e32 v229, v101, v160
	s_waitcnt vmcnt(59) lgkmcnt(11)
	v_mul_f32_e32 v230, v103, v161
	s_waitcnt vmcnt(58)
	v_mul_f32_e32 v231, v105, v162
	;; [unrolled: 4-line block ×12, first 2 shown]
	s_waitcnt vmcnt(35)
	v_fma_f32 v83, v83, v185, -v151
	v_fmac_f32_e32 v82, v84, v185
	v_mul_f32_e32 v84, v88, v153
	s_waitcnt vmcnt(34)
	v_fma_f32 v85, v85, v186, -v152
	v_fmac_f32_e32 v221, v86, v186
	v_add_f32_e32 v83, 0, v83
	v_add_f32_e32 v82, 0, v82
	v_mul_f32_e32 v86, v90, v154
	s_waitcnt vmcnt(33)
	v_fma_f32 v84, v87, v187, -v84
	v_fmac_f32_e32 v222, v88, v187
	v_add_f32_e32 v83, v83, v85
	v_add_f32_e32 v82, v82, v221
	;; [unrolled: 6-line block ×30, first 2 shown]
	s_waitcnt lgkmcnt(0)
	v_mul_f32_e32 v84, v148, v183
	s_waitcnt vmcnt(4)
	v_fma_f32 v85, v145, v216, -v85
	v_mul_f32_e32 v252, v147, v183
	v_add_f32_e32 v83, v83, v86
	v_fmac_f32_e32 v251, v146, v216
	v_add_f32_e32 v82, v82, v250
	v_mul_f32_e32 v86, v150, v184
	s_waitcnt vmcnt(3)
	v_fma_f32 v84, v147, v217, -v84
	v_add_f32_e32 v83, v83, v85
	v_mul_f32_e32 v253, v149, v184
	v_fmac_f32_e32 v252, v148, v217
	v_add_f32_e32 v82, v82, v251
	s_waitcnt vmcnt(2)
	v_fma_f32 v85, v149, v218, -v86
	v_add_f32_e32 v83, v83, v84
	v_fmac_f32_e32 v253, v150, v218
	v_add_f32_e32 v82, v82, v252
	v_add_f32_e32 v83, v83, v85
	;; [unrolled: 1-line block ×3, first 2 shown]
	s_waitcnt vmcnt(1)
	v_sub_f32_e32 v83, v219, v83
	s_waitcnt vmcnt(0)
	v_sub_f32_e32 v82, v220, v82
	buffer_store_dword v83, off, s[0:3], 0 offset:40
	buffer_store_dword v82, off, s[0:3], 0 offset:44
	v_cmpx_lt_u32_e32 4, v0
	s_cbranch_execz .LBB103_245
; %bb.244:
	s_clause 0x1
	buffer_load_dword v82, off, s[0:3], 0 offset:32
	buffer_load_dword v83, off, s[0:3], 0 offset:36
	v_mov_b32_e32 v84, 0
	buffer_store_dword v84, off, s[0:3], 0 offset:32
	buffer_store_dword v84, off, s[0:3], 0 offset:36
	s_waitcnt vmcnt(0)
	ds_write_b64 v81, v[82:83]
.LBB103_245:
	s_or_b32 exec_lo, exec_lo, s4
	s_waitcnt lgkmcnt(0)
	s_waitcnt_vscnt null, 0x0
	s_barrier
	buffer_gl0_inv
	s_clause 0x2a
	buffer_load_dword v88, off, s[0:3], 0 offset:44
	buffer_load_dword v89, off, s[0:3], 0 offset:52
	;; [unrolled: 1-line block ×43, first 2 shown]
	v_mov_b32_e32 v82, 0
	ds_read2_b64 v[122:125], v82 offset0:45 offset1:46
	ds_read2_b64 v[126:129], v82 offset0:47 offset1:48
	;; [unrolled: 1-line block ×3, first 2 shown]
	buffer_load_dword v140, off, s[0:3], 0 offset:36
	s_mov_b32 s4, exec_lo
	s_waitcnt vmcnt(43) lgkmcnt(2)
	v_mul_f32_e32 v138, v122, v88
	s_waitcnt vmcnt(42)
	v_mul_f32_e32 v139, v124, v89
	v_mul_f32_e32 v88, v123, v88
	;; [unrolled: 1-line block ×3, first 2 shown]
	s_waitcnt vmcnt(39)
	v_fmac_f32_e32 v138, v123, v87
	v_fmac_f32_e32 v139, v125, v86
	v_fma_f32 v141, v122, v87, -v88
	v_fma_f32 v142, v124, v86, -v89
	ds_read2_b64 v[86:89], v82 offset0:51 offset1:52
	ds_read2_b64 v[122:125], v82 offset0:53 offset1:54
	s_waitcnt vmcnt(38) lgkmcnt(3)
	v_mul_f32_e32 v143, v126, v84
	v_mul_f32_e32 v84, v127, v84
	s_waitcnt vmcnt(37)
	v_mul_f32_e32 v144, v128, v85
	v_mul_f32_e32 v85, v129, v85
	s_waitcnt vmcnt(32) lgkmcnt(2)
	v_mul_f32_e32 v146, v130, v97
	v_fmac_f32_e32 v143, v127, v83
	v_fma_f32 v145, v126, v83, -v84
	v_mul_f32_e32 v83, v131, v97
	s_waitcnt vmcnt(31)
	v_mul_f32_e32 v84, v133, v96
	v_fmac_f32_e32 v144, v129, v98
	v_fma_f32 v98, v128, v98, -v85
	ds_read2_b64 v[126:129], v82 offset0:55 offset1:56
	v_mul_f32_e32 v97, v132, v96
	v_fmac_f32_e32 v146, v131, v93
	v_fma_f32 v96, v130, v93, -v83
	v_fma_f32 v131, v132, v91, -v84
	v_fmac_f32_e32 v97, v133, v91
	s_waitcnt vmcnt(30) lgkmcnt(2)
	v_mul_f32_e32 v130, v86, v94
	v_mul_f32_e32 v83, v87, v94
	s_waitcnt vmcnt(29)
	v_mul_f32_e32 v132, v88, v92
	v_mul_f32_e32 v84, v89, v92
	s_waitcnt vmcnt(23) lgkmcnt(1)
	v_mul_f32_e32 v148, v124, v104
	v_fmac_f32_e32 v130, v87, v90
	v_fma_f32 v133, v86, v90, -v83
	v_fmac_f32_e32 v132, v89, v105
	v_fma_f32 v105, v88, v105, -v84
	v_mul_f32_e32 v87, v123, v95
	v_mul_f32_e32 v88, v125, v104
	ds_read2_b64 v[83:86], v82 offset0:57 offset1:58
	v_mul_f32_e32 v147, v122, v95
	v_fmac_f32_e32 v148, v125, v100
	v_fma_f32 v95, v122, v103, -v87
	v_fma_f32 v100, v124, v100, -v88
	ds_read2_b64 v[87:90], v82 offset0:59 offset1:60
	v_fmac_f32_e32 v147, v123, v103
	s_waitcnt vmcnt(22) lgkmcnt(2)
	v_mul_f32_e32 v103, v126, v102
	v_mul_f32_e32 v91, v127, v102
	s_waitcnt vmcnt(21)
	v_mul_f32_e32 v102, v128, v101
	v_mul_f32_e32 v92, v129, v101
	buffer_load_dword v101, off, s[0:3], 0 offset:204
	v_fmac_f32_e32 v103, v127, v99
	v_fma_f32 v99, v126, v99, -v91
	s_waitcnt vmcnt(18)
	v_fmac_f32_e32 v102, v129, v113
	v_fma_f32 v104, v128, v113, -v92
	s_waitcnt vmcnt(17) lgkmcnt(1)
	v_mul_f32_e32 v113, v83, v111
	s_waitcnt vmcnt(16)
	v_mul_f32_e32 v122, v85, v112
	v_mul_f32_e32 v91, v84, v111
	;; [unrolled: 1-line block ×3, first 2 shown]
	v_fmac_f32_e32 v113, v84, v108
	v_fmac_f32_e32 v122, v86, v107
	v_fma_f32 v108, v83, v108, -v91
	v_fma_f32 v107, v85, v107, -v92
	ds_read2_b64 v[83:86], v82 offset0:61 offset1:62
	s_waitcnt vmcnt(15) lgkmcnt(1)
	v_mul_f32_e32 v111, v87, v110
	v_mul_f32_e32 v93, v88, v110
	s_waitcnt vmcnt(14)
	v_mul_f32_e32 v110, v89, v109
	v_mul_f32_e32 v109, v90, v109
	v_fmac_f32_e32 v111, v88, v106
	v_fma_f32 v106, v87, v106, -v93
	ds_read2_b64 v[91:94], v82 offset0:63 offset1:64
	s_waitcnt vmcnt(10)
	v_fmac_f32_e32 v110, v90, v121
	v_fma_f32 v109, v89, v121, -v109
	s_clause 0x1
	buffer_load_dword v112, off, s[0:3], 0 offset:212
	buffer_load_dword v121, off, s[0:3], 0 offset:220
	s_waitcnt vmcnt(11) lgkmcnt(1)
	v_mul_f32_e32 v123, v83, v120
	v_mul_f32_e32 v87, v84, v120
	buffer_load_dword v120, off, s[0:3], 0 offset:228
	s_waitcnt vmcnt(11)
	v_mul_f32_e32 v124, v85, v119
	v_mul_f32_e32 v88, v86, v119
	v_fmac_f32_e32 v123, v84, v117
	v_fma_f32 v117, v83, v117, -v87
	s_waitcnt vmcnt(10) lgkmcnt(0)
	v_mul_f32_e32 v119, v91, v118
	v_mul_f32_e32 v83, v92, v118
	s_clause 0x3
	buffer_load_dword v118, off, s[0:3], 0 offset:248
	buffer_load_dword v125, off, s[0:3], 0 offset:240
	;; [unrolled: 1-line block ×4, first 2 shown]
	s_waitcnt vmcnt(13)
	v_mul_f32_e32 v128, v93, v116
	v_mul_f32_e32 v84, v94, v116
	v_fmac_f32_e32 v119, v92, v114
	v_fma_f32 v114, v91, v114, -v83
	buffer_load_dword v116, off, s[0:3], 0 offset:236
	v_add_f32_e32 v83, 0, v138
	s_waitcnt vmcnt(10)
	v_fmac_f32_e32 v128, v94, v137
	v_fma_f32 v129, v93, v137, -v84
	s_clause 0x1
	buffer_load_dword v137, off, s[0:3], 0 offset:244
	buffer_load_dword v138, off, s[0:3], 0 offset:252
	v_add_f32_e32 v83, v83, v139
	v_add_f32_e32 v84, 0, v141
	s_clause 0x3
	buffer_load_dword v139, off, s[0:3], 0 offset:260
	buffer_load_dword v141, off, s[0:3], 0 offset:268
	;; [unrolled: 1-line block ×4, first 2 shown]
	v_fmac_f32_e32 v124, v86, v115
	v_fma_f32 v115, v85, v115, -v88
	v_add_f32_e32 v83, v83, v143
	v_add_f32_e32 v84, v84, v142
	s_clause 0x1
	buffer_load_dword v142, off, s[0:3], 0 offset:292
	buffer_load_dword v143, off, s[0:3], 0 offset:300
	v_add_f32_e32 v83, v83, v144
	v_add_f32_e32 v84, v84, v145
	s_clause 0x1
	buffer_load_dword v144, off, s[0:3], 0 offset:308
	buffer_load_dword v145, off, s[0:3], 0 offset:316
	v_add_f32_e32 v83, v83, v146
	s_clause 0x3
	buffer_load_dword v146, off, s[0:3], 0 offset:280
	buffer_load_dword v151, off, s[0:3], 0 offset:272
	;; [unrolled: 1-line block ×4, first 2 shown]
	v_add_f32_e32 v84, v84, v98
	v_add_f32_e32 v83, v83, v97
	;; [unrolled: 1-line block ×7, first 2 shown]
	s_clause 0x3
	buffer_load_dword v130, off, s[0:3], 0 offset:312
	buffer_load_dword v131, off, s[0:3], 0 offset:304
	;; [unrolled: 1-line block ×4, first 2 shown]
	v_add_f32_e32 v83, v83, v147
	v_add_f32_e32 v84, v84, v105
	buffer_load_dword v105, off, s[0:3], 0 offset:32
	v_add_f32_e32 v87, v83, v148
	v_add_f32_e32 v84, v84, v95
	;; [unrolled: 1-line block ×4, first 2 shown]
	ds_read2_b64 v[83:86], v82 offset0:65 offset1:66
	v_add_f32_e32 v91, v87, v102
	v_add_f32_e32 v88, v88, v99
	;; [unrolled: 1-line block ×6, first 2 shown]
	ds_read2_b64 v[87:90], v82 offset0:67 offset1:68
	v_add_f32_e32 v95, v91, v111
	v_add_f32_e32 v92, v92, v107
	;; [unrolled: 1-line block ×4, first 2 shown]
	s_waitcnt vmcnt(27) lgkmcnt(1)
	v_mul_f32_e32 v108, v83, v101
	v_mul_f32_e32 v93, v84, v101
	v_fmac_f32_e32 v108, v84, v136
	v_add_f32_e32 v84, v92, v106
	v_fma_f32 v106, v83, v136, -v93
	v_add_f32_e32 v99, v84, v109
	v_add_f32_e32 v99, v99, v117
	;; [unrolled: 1-line block ×3, first 2 shown]
	s_waitcnt vmcnt(26)
	v_mul_f32_e32 v107, v85, v112
	s_waitcnt vmcnt(25) lgkmcnt(0)
	v_mul_f32_e32 v101, v88, v121
	v_mul_f32_e32 v109, v87, v121
	v_mul_f32_e32 v94, v86, v112
	v_fmac_f32_e32 v107, v86, v135
	v_fma_f32 v112, v87, v134, -v101
	v_add_f32_e32 v87, v100, v124
	v_fmac_f32_e32 v109, v88, v134
	v_add_f32_e32 v88, v99, v114
	v_fma_f32 v111, v85, v135, -v94
	ds_read2_b64 v[83:86], v82 offset0:69 offset1:70
	ds_read2_b64 v[91:94], v82 offset0:71 offset1:72
	v_add_f32_e32 v114, v87, v119
	s_waitcnt vmcnt(24)
	v_mul_f32_e32 v103, v90, v120
	v_add_f32_e32 v115, v88, v129
	v_mul_f32_e32 v110, v89, v120
	ds_read2_b64 v[95:98], v82 offset0:73 offset1:74
	ds_read2_b64 v[99:102], v82 offset0:75 offset1:76
	v_add_f32_e32 v114, v114, v128
	v_add_f32_e32 v106, v115, v106
	s_waitcnt vmcnt(20)
	v_fma_f32 v113, v89, v127, -v103
	v_fmac_f32_e32 v110, v90, v127
	ds_read2_b64 v[87:90], v82 offset0:77 offset1:78
	ds_read_b64 v[103:104], v82 offset:632
	v_add_f32_e32 v108, v114, v108
	v_add_f32_e32 v106, v106, v111
	;; [unrolled: 1-line block ×4, first 2 shown]
	s_waitcnt vmcnt(19) lgkmcnt(5)
	v_mul_f32_e32 v115, v84, v116
	v_mul_f32_e32 v117, v83, v116
	s_waitcnt vmcnt(18)
	v_mul_f32_e32 v116, v86, v137
	v_add_f32_e32 v107, v107, v109
	v_add_f32_e32 v106, v106, v113
	v_fma_f32 v83, v83, v126, -v115
	v_mul_f32_e32 v119, v85, v137
	v_fmac_f32_e32 v117, v84, v126
	v_add_f32_e32 v107, v107, v110
	s_waitcnt vmcnt(17) lgkmcnt(4)
	v_mul_f32_e32 v115, v92, v138
	v_fma_f32 v85, v85, v125, -v116
	v_add_f32_e32 v83, v106, v83
	v_mul_f32_e32 v114, v91, v138
	v_fmac_f32_e32 v119, v86, v125
	v_add_f32_e32 v86, v107, v117
	s_waitcnt vmcnt(16)
	v_mul_f32_e32 v106, v94, v139
	v_fma_f32 v91, v91, v118, -v115
	v_add_f32_e32 v83, v83, v85
	v_mul_f32_e32 v111, v93, v139
	v_fmac_f32_e32 v114, v92, v118
	v_add_f32_e32 v85, v86, v119
	s_waitcnt vmcnt(15) lgkmcnt(3)
	v_mul_f32_e32 v86, v96, v141
	s_waitcnt vmcnt(5)
	v_fma_f32 v92, v93, v153, -v106
	v_add_f32_e32 v83, v83, v91
	v_mul_f32_e32 v120, v95, v141
	v_fmac_f32_e32 v111, v94, v153
	v_add_f32_e32 v85, v85, v114
	v_mul_f32_e32 v91, v98, v149
	v_fma_f32 v86, v95, v152, -v86
	v_add_f32_e32 v83, v83, v92
	v_mul_f32_e32 v108, v97, v149
	v_fmac_f32_e32 v120, v96, v152
	v_add_f32_e32 v85, v85, v111
	s_waitcnt lgkmcnt(2)
	v_mul_f32_e32 v92, v100, v150
	v_fma_f32 v91, v97, v151, -v91
	v_add_f32_e32 v83, v83, v86
	v_mul_f32_e32 v112, v99, v150
	v_fmac_f32_e32 v108, v98, v151
	v_add_f32_e32 v85, v85, v120
	v_mul_f32_e32 v86, v102, v142
	v_fma_f32 v92, v99, v146, -v92
	v_add_f32_e32 v83, v83, v91
	v_mul_f32_e32 v84, v101, v142
	v_fmac_f32_e32 v112, v100, v146
	v_add_f32_e32 v85, v85, v108
	s_waitcnt lgkmcnt(1)
	v_mul_f32_e32 v91, v88, v143
	s_waitcnt vmcnt(1)
	v_fma_f32 v86, v101, v133, -v86
	v_add_f32_e32 v83, v83, v92
	v_mul_f32_e32 v109, v87, v143
	v_fmac_f32_e32 v84, v102, v133
	v_add_f32_e32 v85, v85, v112
	v_mul_f32_e32 v92, v90, v144
	v_fma_f32 v87, v87, v132, -v91
	v_add_f32_e32 v83, v83, v86
	v_mul_f32_e32 v113, v89, v144
	v_fmac_f32_e32 v109, v88, v132
	v_add_f32_e32 v84, v85, v84
	s_waitcnt lgkmcnt(0)
	v_mul_f32_e32 v85, v104, v145
	v_fma_f32 v86, v89, v131, -v92
	v_add_f32_e32 v83, v83, v87
	v_mul_f32_e32 v110, v103, v145
	v_fmac_f32_e32 v113, v90, v131
	v_add_f32_e32 v84, v84, v109
	v_fma_f32 v85, v103, v130, -v85
	v_add_f32_e32 v83, v83, v86
	v_fmac_f32_e32 v110, v104, v130
	v_add_f32_e32 v84, v84, v113
	v_add_f32_e32 v83, v83, v85
	;; [unrolled: 1-line block ×3, first 2 shown]
	s_waitcnt vmcnt(0)
	v_sub_f32_e32 v83, v105, v83
	v_sub_f32_e32 v84, v140, v84
	buffer_store_dword v83, off, s[0:3], 0 offset:32
	buffer_store_dword v84, off, s[0:3], 0 offset:36
	v_cmpx_lt_u32_e32 3, v0
	s_cbranch_execz .LBB103_247
; %bb.246:
	s_clause 0x1
	buffer_load_dword v83, off, s[0:3], 0 offset:24
	buffer_load_dword v84, off, s[0:3], 0 offset:28
	buffer_store_dword v82, off, s[0:3], 0 offset:24
	buffer_store_dword v82, off, s[0:3], 0 offset:28
	s_waitcnt vmcnt(0)
	ds_write_b64 v81, v[83:84]
.LBB103_247:
	s_or_b32 exec_lo, exec_lo, s4
	s_waitcnt lgkmcnt(0)
	s_waitcnt_vscnt null, 0x0
	s_barrier
	buffer_gl0_inv
	s_clause 0x2a
	buffer_load_dword v89, off, s[0:3], 0 offset:36
	buffer_load_dword v90, off, s[0:3], 0 offset:44
	;; [unrolled: 1-line block ×43, first 2 shown]
	ds_read_b128 v[122:125], v82 offset:352
	ds_read_b128 v[126:129], v82 offset:368
	;; [unrolled: 1-line block ×3, first 2 shown]
	buffer_load_dword v140, off, s[0:3], 0 offset:28
	s_mov_b32 s4, exec_lo
	s_waitcnt vmcnt(43) lgkmcnt(2)
	v_mul_f32_e32 v138, v122, v89
	s_waitcnt vmcnt(42)
	v_mul_f32_e32 v139, v124, v90
	v_mul_f32_e32 v89, v123, v89
	;; [unrolled: 1-line block ×3, first 2 shown]
	s_waitcnt vmcnt(39)
	v_fmac_f32_e32 v138, v123, v87
	v_fmac_f32_e32 v139, v125, v86
	v_fma_f32 v141, v122, v87, -v89
	v_fma_f32 v142, v124, v86, -v90
	ds_read_b128 v[122:125], v82 offset:400
	s_waitcnt vmcnt(38) lgkmcnt(2)
	v_mul_f32_e32 v143, v126, v84
	s_waitcnt vmcnt(37)
	v_mul_f32_e32 v144, v128, v85
	v_mul_f32_e32 v84, v127, v84
	;; [unrolled: 1-line block ×3, first 2 shown]
	s_waitcnt vmcnt(32) lgkmcnt(1)
	v_mul_f32_e32 v87, v131, v95
	v_fmac_f32_e32 v143, v127, v83
	v_fmac_f32_e32 v144, v129, v97
	v_fma_f32 v126, v126, v83, -v84
	v_fma_f32 v127, v128, v97, -v85
	ds_read_b128 v[83:86], v82 offset:416
	v_mul_f32_e32 v128, v130, v95
	s_waitcnt vmcnt(31)
	v_mul_f32_e32 v129, v132, v96
	v_mul_f32_e32 v89, v133, v96
	v_fma_f32 v130, v130, v94, -v87
	v_fmac_f32_e32 v128, v131, v94
	v_fmac_f32_e32 v129, v133, v91
	v_fma_f32 v131, v132, v91, -v89
	ds_read_b128 v[94:97], v82 offset:432
	s_waitcnt vmcnt(30) lgkmcnt(2)
	v_mul_f32_e32 v132, v122, v92
	s_waitcnt vmcnt(29)
	v_mul_f32_e32 v133, v124, v93
	v_mul_f32_e32 v87, v123, v92
	;; [unrolled: 1-line block ×3, first 2 shown]
	v_fmac_f32_e32 v132, v123, v88
	s_waitcnt vmcnt(25)
	v_fmac_f32_e32 v133, v125, v105
	v_fma_f32 v122, v122, v88, -v87
	v_fma_f32 v105, v124, v105, -v89
	ds_read_b128 v[87:90], v82 offset:448
	s_waitcnt vmcnt(24) lgkmcnt(2)
	v_mul_f32_e32 v123, v83, v103
	s_waitcnt vmcnt(23)
	v_mul_f32_e32 v124, v85, v104
	v_mul_f32_e32 v91, v84, v103
	;; [unrolled: 1-line block ×3, first 2 shown]
	v_fmac_f32_e32 v123, v84, v102
	v_fmac_f32_e32 v124, v86, v99
	v_fma_f32 v102, v83, v102, -v91
	v_fma_f32 v99, v85, v99, -v92
	ds_read_b128 v[83:86], v82 offset:464
	s_waitcnt vmcnt(22) lgkmcnt(2)
	v_mul_f32_e32 v103, v94, v100
	v_mul_f32_e32 v91, v95, v100
	s_waitcnt vmcnt(21)
	v_mul_f32_e32 v104, v96, v101
	v_mul_f32_e32 v92, v97, v101
	v_fmac_f32_e32 v103, v95, v98
	v_fma_f32 v95, v94, v98, -v91
	s_waitcnt vmcnt(17)
	v_fmac_f32_e32 v104, v97, v113
	v_fma_f32 v96, v96, v113, -v92
	s_waitcnt vmcnt(15) lgkmcnt(1)
	v_mul_f32_e32 v98, v89, v112
	v_mul_f32_e32 v100, v88, v111
	;; [unrolled: 1-line block ×3, first 2 shown]
	ds_read_b128 v[91:94], v82 offset:480
	v_mul_f32_e32 v97, v87, v111
	v_fmac_f32_e32 v98, v90, v107
	v_fma_f32 v87, v87, v110, -v100
	v_fma_f32 v100, v89, v107, -v101
	s_clause 0x1
	buffer_load_dword v101, off, s[0:3], 0 offset:196
	buffer_load_dword v107, off, s[0:3], 0 offset:204
	v_fmac_f32_e32 v97, v88, v110
	s_waitcnt vmcnt(16) lgkmcnt(1)
	v_mul_f32_e32 v110, v83, v108
	s_waitcnt vmcnt(15)
	v_mul_f32_e32 v111, v85, v109
	v_mul_f32_e32 v88, v84, v108
	v_mul_f32_e32 v89, v86, v109
	buffer_load_dword v109, off, s[0:3], 0 offset:212
	v_fmac_f32_e32 v110, v84, v106
	s_waitcnt vmcnt(12)
	v_fmac_f32_e32 v111, v86, v121
	v_fma_f32 v106, v83, v106, -v88
	v_fma_f32 v108, v85, v121, -v89
	ds_read_b128 v[83:86], v82 offset:496
	s_waitcnt vmcnt(11) lgkmcnt(1)
	v_mul_f32_e32 v112, v91, v119
	s_waitcnt vmcnt(10)
	v_mul_f32_e32 v113, v93, v120
	v_mul_f32_e32 v88, v92, v119
	;; [unrolled: 1-line block ×3, first 2 shown]
	s_clause 0x5
	buffer_load_dword v119, off, s[0:3], 0 offset:220
	buffer_load_dword v120, off, s[0:3], 0 offset:240
	buffer_load_dword v121, off, s[0:3], 0 offset:232
	buffer_load_dword v125, off, s[0:3], 0 offset:224
	buffer_load_dword v145, off, s[0:3], 0 offset:216
	buffer_load_dword v147, off, s[0:3], 0 offset:228
	v_fmac_f32_e32 v112, v92, v118
	v_fma_f32 v118, v91, v118, -v88
	v_fmac_f32_e32 v113, v94, v117
	v_fma_f32 v117, v93, v117, -v89
	s_waitcnt vmcnt(15) lgkmcnt(0)
	v_mul_f32_e32 v146, v83, v116
	v_mul_f32_e32 v88, v84, v116
	s_waitcnt vmcnt(14)
	v_mul_f32_e32 v116, v85, v115
	v_fmac_f32_e32 v146, v84, v114
	v_add_f32_e32 v84, 0, v138
	v_fma_f32 v114, v83, v114, -v88
	v_add_f32_e32 v83, 0, v141
	v_mul_f32_e32 v88, v86, v115
	s_clause 0x1
	buffer_load_dword v115, off, s[0:3], 0 offset:236
	buffer_load_dword v138, off, s[0:3], 0 offset:244
	v_add_f32_e32 v84, v84, v139
	v_add_f32_e32 v83, v83, v142
	buffer_load_dword v139, off, s[0:3], 0 offset:252
	s_waitcnt vmcnt(13)
	v_fmac_f32_e32 v116, v86, v137
	v_fma_f32 v137, v85, v137, -v88
	v_add_f32_e32 v84, v84, v143
	v_add_f32_e32 v83, v83, v126
	s_clause 0x2
	buffer_load_dword v126, off, s[0:3], 0 offset:260
	buffer_load_dword v141, off, s[0:3], 0 offset:268
	buffer_load_dword v142, off, s[0:3], 0 offset:276
	v_add_f32_e32 v84, v84, v144
	v_add_f32_e32 v83, v83, v127
	s_clause 0x3
	buffer_load_dword v127, off, s[0:3], 0 offset:284
	buffer_load_dword v143, off, s[0:3], 0 offset:292
	;; [unrolled: 1-line block ×4, first 2 shown]
	v_add_f32_e32 v84, v84, v128
	v_add_f32_e32 v83, v83, v130
	buffer_load_dword v128, off, s[0:3], 0 offset:316
	v_add_f32_e32 v84, v84, v129
	v_add_f32_e32 v83, v83, v131
	s_clause 0x3
	buffer_load_dword v129, off, s[0:3], 0 offset:272
	buffer_load_dword v130, off, s[0:3], 0 offset:264
	;; [unrolled: 1-line block ×4, first 2 shown]
	v_add_f32_e32 v84, v84, v132
	v_add_f32_e32 v83, v83, v122
	;; [unrolled: 1-line block ×3, first 2 shown]
	s_clause 0x4
	buffer_load_dword v122, off, s[0:3], 0 offset:304
	buffer_load_dword v132, off, s[0:3], 0 offset:296
	;; [unrolled: 1-line block ×5, first 2 shown]
	v_add_f32_e32 v83, v83, v105
	v_add_f32_e32 v84, v84, v123
	buffer_load_dword v123, off, s[0:3], 0 offset:312
	v_add_f32_e32 v83, v83, v102
	v_add_f32_e32 v84, v84, v124
	;; [unrolled: 1-line block ×5, first 2 shown]
	ds_read_b128 v[83:86], v82 offset:512
	v_add_f32_e32 v88, v88, v104
	v_add_f32_e32 v89, v89, v96
	;; [unrolled: 1-line block ×4, first 2 shown]
	ds_read_b128 v[87:90], v82 offset:528
	v_add_f32_e32 v91, v91, v98
	v_add_f32_e32 v92, v92, v100
	v_add_f32_e32 v91, v91, v110
	v_add_f32_e32 v95, v92, v106
	v_add_f32_e32 v96, v91, v111
	v_add_f32_e32 v95, v95, v108
	v_add_f32_e32 v96, v96, v112
	v_add_f32_e32 v95, v95, v118
	v_add_f32_e32 v99, v95, v117
	v_add_f32_e32 v104, v99, v114
	v_add_f32_e32 v114, v104, v137
	s_waitcnt vmcnt(29) lgkmcnt(1)
	v_mul_f32_e32 v103, v83, v101
	v_mul_f32_e32 v93, v84, v101
	s_waitcnt vmcnt(28)
	v_mul_f32_e32 v124, v85, v107
	v_mul_f32_e32 v94, v86, v107
	v_fmac_f32_e32 v103, v84, v136
	v_fma_f32 v107, v83, v136, -v93
	v_fmac_f32_e32 v124, v86, v135
	v_fma_f32 v110, v85, v135, -v94
	ds_read_b128 v[83:86], v82 offset:544
	ds_read_b128 v[91:94], v82 offset:560
	s_waitcnt vmcnt(27) lgkmcnt(2)
	v_mul_f32_e32 v111, v87, v109
	v_mul_f32_e32 v97, v88, v109
	v_fmac_f32_e32 v111, v88, v134
	v_add_f32_e32 v88, v96, v113
	v_fma_f32 v109, v87, v134, -v97
	s_waitcnt vmcnt(26)
	v_mul_f32_e32 v108, v89, v119
	v_mul_f32_e32 v98, v90, v119
	v_add_f32_e32 v100, v88, v146
	s_waitcnt vmcnt(22)
	v_fmac_f32_e32 v108, v90, v145
	v_fma_f32 v112, v89, v145, -v98
	v_add_f32_e32 v106, v100, v116
	ds_read_b128 v[87:90], v82 offset:576
	ds_read_b128 v[95:98], v82 offset:592
	s_waitcnt vmcnt(21) lgkmcnt(3)
	v_mul_f32_e32 v113, v83, v147
	v_mul_f32_e32 v105, v84, v147
	ds_read_b128 v[99:102], v82 offset:608
	v_fmac_f32_e32 v113, v84, v125
	v_fma_f32 v83, v83, v125, -v105
	v_add_f32_e32 v84, v106, v103
	ds_read_b128 v[103:106], v82 offset:624
	v_add_f32_e32 v82, v114, v107
	v_add_f32_e32 v84, v84, v124
	s_waitcnt vmcnt(20)
	v_mul_f32_e32 v114, v86, v115
	v_add_f32_e32 v82, v82, v110
	v_mul_f32_e32 v107, v85, v115
	s_waitcnt vmcnt(19) lgkmcnt(4)
	v_mul_f32_e32 v116, v92, v138
	v_add_f32_e32 v84, v84, v111
	v_fma_f32 v85, v85, v121, -v114
	v_add_f32_e32 v82, v82, v109
	v_mul_f32_e32 v115, v91, v138
	v_fmac_f32_e32 v107, v86, v121
	v_add_f32_e32 v84, v84, v108
	s_waitcnt vmcnt(18)
	v_mul_f32_e32 v108, v94, v139
	v_add_f32_e32 v82, v82, v112
	v_fma_f32 v91, v91, v120, -v116
	v_mul_f32_e32 v110, v93, v139
	v_fmac_f32_e32 v115, v92, v120
	s_waitcnt vmcnt(17) lgkmcnt(3)
	v_mul_f32_e32 v86, v87, v126
	v_add_f32_e32 v82, v82, v83
	v_add_f32_e32 v83, v84, v113
	s_waitcnt vmcnt(16)
	v_mul_f32_e32 v114, v89, v141
	s_waitcnt vmcnt(15) lgkmcnt(2)
	v_mul_f32_e32 v109, v95, v142
	s_waitcnt vmcnt(14)
	v_mul_f32_e32 v111, v97, v127
	v_add_f32_e32 v82, v82, v85
	v_add_f32_e32 v83, v83, v107
	v_mul_f32_e32 v85, v88, v126
	s_waitcnt vmcnt(6)
	v_fma_f32 v92, v93, v149, -v108
	v_fmac_f32_e32 v110, v94, v149
	v_add_f32_e32 v82, v82, v91
	v_add_f32_e32 v83, v83, v115
	v_mul_f32_e32 v91, v90, v141
	v_fma_f32 v85, v87, v131, -v85
	v_fmac_f32_e32 v86, v88, v131
	v_add_f32_e32 v82, v82, v92
	v_add_f32_e32 v83, v83, v110
	v_mul_f32_e32 v87, v96, v142
	;; [unrolled: 5-line block ×3, first 2 shown]
	v_fma_f32 v86, v95, v129, -v87
	v_fmac_f32_e32 v109, v96, v129
	v_add_f32_e32 v82, v82, v88
	v_add_f32_e32 v83, v83, v114
	s_waitcnt lgkmcnt(1)
	v_mul_f32_e32 v87, v100, v143
	s_waitcnt vmcnt(2)
	v_fma_f32 v85, v97, v150, -v85
	v_mul_f32_e32 v117, v99, v143
	v_add_f32_e32 v82, v82, v86
	v_fmac_f32_e32 v111, v98, v150
	v_add_f32_e32 v83, v83, v109
	v_mul_f32_e32 v86, v102, v144
	v_fma_f32 v87, v99, v133, -v87
	v_add_f32_e32 v82, v82, v85
	v_mul_f32_e32 v112, v101, v144
	v_fmac_f32_e32 v117, v100, v133
	v_add_f32_e32 v83, v83, v111
	s_waitcnt lgkmcnt(0)
	v_mul_f32_e32 v85, v104, v148
	v_fma_f32 v86, v101, v132, -v86
	v_add_f32_e32 v82, v82, v87
	v_mul_f32_e32 v118, v103, v148
	v_fmac_f32_e32 v112, v102, v132
	v_add_f32_e32 v83, v83, v117
	v_mul_f32_e32 v87, v106, v128
	v_fma_f32 v85, v103, v122, -v85
	v_add_f32_e32 v82, v82, v86
	v_mul_f32_e32 v84, v105, v128
	v_fmac_f32_e32 v118, v104, v122
	v_add_f32_e32 v83, v83, v112
	s_waitcnt vmcnt(0)
	v_fma_f32 v86, v105, v123, -v87
	v_add_f32_e32 v82, v82, v85
	v_fmac_f32_e32 v84, v106, v123
	v_add_f32_e32 v83, v83, v118
	v_add_f32_e32 v82, v82, v86
	;; [unrolled: 1-line block ×3, first 2 shown]
	v_sub_f32_e32 v82, v151, v82
	v_sub_f32_e32 v83, v140, v83
	buffer_store_dword v82, off, s[0:3], 0 offset:24
	buffer_store_dword v83, off, s[0:3], 0 offset:28
	v_cmpx_lt_u32_e32 2, v0
	s_cbranch_execz .LBB103_249
; %bb.248:
	s_clause 0x1
	buffer_load_dword v82, off, s[0:3], 0 offset:16
	buffer_load_dword v83, off, s[0:3], 0 offset:20
	v_mov_b32_e32 v84, 0
	buffer_store_dword v84, off, s[0:3], 0 offset:16
	buffer_store_dword v84, off, s[0:3], 0 offset:20
	s_waitcnt vmcnt(0)
	ds_write_b64 v81, v[82:83]
.LBB103_249:
	s_or_b32 exec_lo, exec_lo, s4
	s_waitcnt lgkmcnt(0)
	s_waitcnt_vscnt null, 0x0
	s_barrier
	buffer_gl0_inv
	s_clause 0x2b
	buffer_load_dword v121, off, s[0:3], 0 offset:28
	buffer_load_dword v83, off, s[0:3], 0 offset:40
	buffer_load_dword v86, off, s[0:3], 0 offset:32
	buffer_load_dword v91, off, s[0:3], 0 offset:24
	buffer_load_dword v90, off, s[0:3], 0 offset:36
	buffer_load_dword v88, off, s[0:3], 0 offset:44
	buffer_load_dword v85, off, s[0:3], 0 offset:52
	buffer_load_dword v84, off, s[0:3], 0 offset:72
	buffer_load_dword v87, off, s[0:3], 0 offset:64
	buffer_load_dword v92, off, s[0:3], 0 offset:56
	buffer_load_dword v95, off, s[0:3], 0 offset:48
	buffer_load_dword v94, off, s[0:3], 0 offset:60
	buffer_load_dword v93, off, s[0:3], 0 offset:68
	buffer_load_dword v89, off, s[0:3], 0 offset:76
	buffer_load_dword v96, off, s[0:3], 0 offset:84
	buffer_load_dword v97, off, s[0:3], 0 offset:104
	buffer_load_dword v98, off, s[0:3], 0 offset:96
	buffer_load_dword v100, off, s[0:3], 0 offset:88
	buffer_load_dword v104, off, s[0:3], 0 offset:80
	buffer_load_dword v103, off, s[0:3], 0 offset:92
	buffer_load_dword v101, off, s[0:3], 0 offset:100
	buffer_load_dword v99, off, s[0:3], 0 offset:108
	buffer_load_dword v102, off, s[0:3], 0 offset:116
	buffer_load_dword v105, off, s[0:3], 0 offset:136
	buffer_load_dword v106, off, s[0:3], 0 offset:128
	buffer_load_dword v109, off, s[0:3], 0 offset:120
	buffer_load_dword v113, off, s[0:3], 0 offset:112
	buffer_load_dword v112, off, s[0:3], 0 offset:124
	buffer_load_dword v111, off, s[0:3], 0 offset:132
	buffer_load_dword v107, off, s[0:3], 0 offset:140
	buffer_load_dword v110, off, s[0:3], 0 offset:148
	buffer_load_dword v108, off, s[0:3], 0 offset:168
	buffer_load_dword v115, off, s[0:3], 0 offset:160
	buffer_load_dword v118, off, s[0:3], 0 offset:152
	buffer_load_dword v120, off, s[0:3], 0 offset:144
	buffer_load_dword v119, off, s[0:3], 0 offset:156
	buffer_load_dword v117, off, s[0:3], 0 offset:164
	buffer_load_dword v114, off, s[0:3], 0 offset:172
	buffer_load_dword v116, off, s[0:3], 0 offset:180
	buffer_load_dword v134, off, s[0:3], 0 offset:200
	buffer_load_dword v135, off, s[0:3], 0 offset:192
	buffer_load_dword v136, off, s[0:3], 0 offset:184
	buffer_load_dword v137, off, s[0:3], 0 offset:176
	buffer_load_dword v138, off, s[0:3], 0 offset:188
	v_mov_b32_e32 v82, 0
	ds_read2_b64 v[122:125], v82 offset0:43 offset1:44
	ds_read2_b64 v[126:129], v82 offset0:45 offset1:46
	;; [unrolled: 1-line block ×3, first 2 shown]
	buffer_load_dword v140, off, s[0:3], 0 offset:20
	s_mov_b32 s4, exec_lo
	s_waitcnt vmcnt(44) lgkmcnt(2)
	v_mul_f32_e32 v139, v122, v121
	v_mul_f32_e32 v121, v123, v121
	s_waitcnt vmcnt(40)
	v_mul_f32_e32 v142, v124, v90
	v_mul_f32_e32 v90, v125, v90
	v_fmac_f32_e32 v139, v123, v91
	v_fma_f32 v141, v122, v91, -v121
	s_waitcnt vmcnt(39) lgkmcnt(1)
	v_mul_f32_e32 v144, v126, v88
	v_fmac_f32_e32 v142, v125, v86
	v_fma_f32 v143, v124, v86, -v90
	v_mul_f32_e32 v86, v127, v88
	ds_read2_b64 v[121:124], v82 offset0:49 offset1:50
	v_fmac_f32_e32 v144, v127, v83
	s_waitcnt vmcnt(38)
	v_mul_f32_e32 v146, v128, v85
	s_waitcnt vmcnt(33) lgkmcnt(1)
	v_mul_f32_e32 v147, v130, v94
	v_fma_f32 v145, v126, v83, -v86
	v_mul_f32_e32 v83, v129, v85
	v_fmac_f32_e32 v146, v129, v95
	v_fmac_f32_e32 v147, v131, v92
	v_fma_f32 v129, v128, v95, -v83
	v_mul_f32_e32 v83, v131, v94
	ds_read2_b64 v[125:128], v82 offset0:51 offset1:52
	s_waitcnt vmcnt(32)
	v_mul_f32_e32 v131, v132, v93
	v_fma_f32 v130, v130, v92, -v83
	v_mul_f32_e32 v83, v133, v93
	v_fmac_f32_e32 v131, v133, v87
	s_waitcnt vmcnt(31) lgkmcnt(1)
	v_mul_f32_e32 v133, v121, v89
	v_fma_f32 v132, v132, v87, -v83
	v_mul_f32_e32 v83, v122, v89
	ds_read2_b64 v[85:88], v82 offset0:53 offset1:54
	v_fmac_f32_e32 v133, v122, v84
	s_waitcnt vmcnt(30)
	v_mul_f32_e32 v122, v123, v96
	ds_read2_b64 v[89:92], v82 offset0:55 offset1:56
	v_fma_f32 v121, v121, v84, -v83
	v_mul_f32_e32 v83, v124, v96
	ds_read2_b64 v[93:96], v82 offset0:57 offset1:58
	s_waitcnt vmcnt(26)
	v_fmac_f32_e32 v122, v124, v104
	v_fma_f32 v104, v123, v104, -v83
	s_waitcnt vmcnt(25) lgkmcnt(3)
	v_mul_f32_e32 v123, v125, v103
	v_mul_f32_e32 v83, v126, v103
	s_waitcnt vmcnt(24)
	v_mul_f32_e32 v103, v127, v101
	v_fmac_f32_e32 v123, v126, v100
	v_fma_f32 v100, v125, v100, -v83
	v_mul_f32_e32 v83, v128, v101
	v_fmac_f32_e32 v103, v128, v98
	s_waitcnt vmcnt(23) lgkmcnt(2)
	v_mul_f32_e32 v101, v85, v99
	v_fma_f32 v98, v127, v98, -v83
	v_mul_f32_e32 v83, v86, v99
	v_fmac_f32_e32 v101, v86, v97
	s_waitcnt vmcnt(22)
	v_mul_f32_e32 v99, v87, v102
	v_fma_f32 v97, v85, v97, -v83
	v_mul_f32_e32 v83, v88, v102
	s_waitcnt vmcnt(18)
	v_fmac_f32_e32 v99, v88, v113
	s_waitcnt vmcnt(14) lgkmcnt(0)
	v_mul_f32_e32 v88, v96, v110
	v_fma_f32 v102, v87, v113, -v83
	v_mul_f32_e32 v113, v89, v112
	v_mul_f32_e32 v83, v90, v112
	;; [unrolled: 1-line block ×5, first 2 shown]
	v_fmac_f32_e32 v113, v90, v109
	v_fma_f32 v109, v89, v109, -v83
	ds_read2_b64 v[83:86], v82 offset0:59 offset1:60
	v_fmac_f32_e32 v112, v92, v106
	v_fma_f32 v91, v91, v106, -v87
	s_clause 0x2
	buffer_load_dword v92, off, s[0:3], 0 offset:196
	buffer_load_dword v106, off, s[0:3], 0 offset:204
	;; [unrolled: 1-line block ×3, first 2 shown]
	v_mul_f32_e32 v87, v94, v107
	v_mul_f32_e32 v107, v95, v110
	v_add_f32_e32 v89, 0, v139
	v_fmac_f32_e32 v111, v94, v105
	s_waitcnt vmcnt(13)
	v_fma_f32 v94, v95, v120, -v88
	v_fma_f32 v93, v93, v105, -v87
	v_fmac_f32_e32 v107, v96, v120
	v_add_f32_e32 v96, v89, v142
	ds_read2_b64 v[87:90], v82 offset0:61 offset1:62
	v_add_f32_e32 v95, 0, v141
	v_add_f32_e32 v96, v96, v144
	;; [unrolled: 1-line block ×3, first 2 shown]
	s_waitcnt vmcnt(12) lgkmcnt(1)
	v_mul_f32_e32 v105, v83, v119
	v_mul_f32_e32 v110, v84, v119
	s_clause 0x3
	buffer_load_dword v119, off, s[0:3], 0 offset:232
	buffer_load_dword v120, off, s[0:3], 0 offset:224
	;; [unrolled: 1-line block ×4, first 2 shown]
	v_fmac_f32_e32 v105, v84, v118
	v_fma_f32 v110, v83, v118, -v110
	s_clause 0x1
	buffer_load_dword v118, off, s[0:3], 0 offset:220
	buffer_load_dword v127, off, s[0:3], 0 offset:228
	v_add_f32_e32 v83, v95, v145
	v_add_f32_e32 v84, v96, v146
	s_waitcnt vmcnt(17)
	v_mul_f32_e32 v95, v85, v117
	v_mul_f32_e32 v96, v86, v117
	buffer_load_dword v117, off, s[0:3], 0 offset:236
	v_add_f32_e32 v83, v83, v129
	v_add_f32_e32 v84, v84, v147
	v_fmac_f32_e32 v95, v86, v115
	v_fma_f32 v96, v85, v115, -v96
	v_add_f32_e32 v115, v83, v130
	v_add_f32_e32 v131, v84, v131
	s_clause 0x3
	buffer_load_dword v128, off, s[0:3], 0 offset:244
	buffer_load_dword v129, off, s[0:3], 0 offset:252
	buffer_load_dword v130, off, s[0:3], 0 offset:260
	buffer_load_dword v139, off, s[0:3], 0 offset:268
	ds_read2_b64 v[83:86], v82 offset0:63 offset1:64
	v_add_f32_e32 v115, v115, v132
	s_waitcnt vmcnt(21) lgkmcnt(1)
	v_mul_f32_e32 v132, v87, v114
	v_mul_f32_e32 v114, v88, v114
	v_add_f32_e32 v131, v131, v133
	s_waitcnt vmcnt(20)
	v_mul_f32_e32 v133, v89, v116
	v_add_f32_e32 v115, v115, v121
	v_fmac_f32_e32 v132, v88, v108
	v_fma_f32 v108, v87, v108, -v114
	v_add_f32_e32 v87, v131, v122
	v_mul_f32_e32 v116, v90, v116
	v_add_f32_e32 v88, v115, v104
	s_clause 0x3
	buffer_load_dword v114, off, s[0:3], 0 offset:276
	buffer_load_dword v115, off, s[0:3], 0 offset:284
	;; [unrolled: 1-line block ×4, first 2 shown]
	s_waitcnt vmcnt(20)
	v_fmac_f32_e32 v133, v90, v137
	v_add_f32_e32 v87, v87, v123
	v_fma_f32 v104, v89, v137, -v116
	s_clause 0x5
	buffer_load_dword v116, off, s[0:3], 0 offset:308
	buffer_load_dword v123, off, s[0:3], 0 offset:264
	;; [unrolled: 1-line block ×6, first 2 shown]
	v_add_f32_e32 v88, v88, v100
	v_add_f32_e32 v87, v87, v103
	s_waitcnt vmcnt(25) lgkmcnt(0)
	v_mul_f32_e32 v103, v83, v138
	v_add_f32_e32 v98, v88, v98
	v_add_f32_e32 v100, v87, v101
	ds_read2_b64 v[87:90], v82 offset0:65 offset1:66
	v_fmac_f32_e32 v103, v84, v136
	v_add_f32_e32 v97, v98, v97
	v_mul_f32_e32 v98, v84, v138
	v_add_f32_e32 v99, v100, v99
	v_fma_f32 v100, v83, v136, -v98
	v_add_f32_e32 v84, v99, v113
	s_clause 0x3
	buffer_load_dword v113, off, s[0:3], 0 offset:296
	buffer_load_dword v136, off, s[0:3], 0 offset:288
	;; [unrolled: 1-line block ×4, first 2 shown]
	v_add_f32_e32 v83, v97, v102
	v_add_f32_e32 v84, v84, v112
	v_add_f32_e32 v83, v83, v109
	s_clause 0x2
	buffer_load_dword v109, off, s[0:3], 0 offset:312
	buffer_load_dword v112, off, s[0:3], 0 offset:304
	;; [unrolled: 1-line block ×3, first 2 shown]
	v_add_f32_e32 v83, v83, v91
	v_add_f32_e32 v91, v84, v111
	;; [unrolled: 1-line block ×4, first 2 shown]
	s_waitcnt vmcnt(30)
	v_mul_f32_e32 v111, v85, v92
	v_mul_f32_e32 v84, v86, v92
	v_add_f32_e32 v92, v83, v93
	s_waitcnt vmcnt(28) lgkmcnt(0)
	v_mul_f32_e32 v101, v90, v124
	v_mul_f32_e32 v107, v87, v106
	v_fmac_f32_e32 v111, v86, v135
	v_fma_f32 v135, v85, v135, -v84
	ds_read2_b64 v[83:86], v82 offset0:67 offset1:68
	v_add_f32_e32 v92, v92, v94
	v_mul_f32_e32 v97, v88, v106
	v_mul_f32_e32 v106, v89, v124
	v_fmac_f32_e32 v107, v88, v134
	v_add_f32_e32 v99, v92, v110
	ds_read2_b64 v[91:94], v82 offset0:69 offset1:70
	v_fma_f32 v105, v87, v134, -v97
	v_add_f32_e32 v99, v99, v96
	s_waitcnt vmcnt(24)
	v_fma_f32 v110, v89, v126, -v101
	v_add_f32_e32 v101, v98, v95
	v_fmac_f32_e32 v106, v90, v126
	v_add_f32_e32 v99, v99, v108
	ds_read2_b64 v[87:90], v82 offset0:71 offset1:72
	ds_read2_b64 v[95:98], v82 offset0:73 offset1:74
	v_add_f32_e32 v101, v101, v132
	s_waitcnt vmcnt(23) lgkmcnt(3)
	v_mul_f32_e32 v102, v84, v118
	v_mul_f32_e32 v108, v83, v118
	v_add_f32_e32 v99, v99, v104
	s_waitcnt vmcnt(22)
	v_mul_f32_e32 v118, v85, v127
	v_mul_f32_e32 v104, v86, v127
	v_fma_f32 v124, v83, v125, -v102
	v_add_f32_e32 v83, v101, v133
	v_fmac_f32_e32 v108, v84, v125
	v_add_f32_e32 v125, v99, v100
	v_fmac_f32_e32 v118, v86, v120
	v_fma_f32 v120, v85, v120, -v104
	v_add_f32_e32 v126, v83, v103
	s_waitcnt vmcnt(21) lgkmcnt(2)
	v_mul_f32_e32 v127, v91, v117
	v_add_f32_e32 v125, v125, v135
	v_mul_f32_e32 v117, v92, v117
	ds_read2_b64 v[99:102], v82 offset0:75 offset1:76
	ds_read2_b64 v[83:86], v82 offset0:77 offset1:78
	v_add_f32_e32 v111, v126, v111
	v_add_f32_e32 v105, v125, v105
	s_waitcnt vmcnt(20)
	v_mul_f32_e32 v125, v94, v128
	v_fma_f32 v91, v91, v119, -v117
	v_mul_f32_e32 v126, v93, v128
	v_add_f32_e32 v107, v111, v107
	v_add_f32_e32 v105, v105, v110
	v_fmac_f32_e32 v127, v92, v119
	s_waitcnt vmcnt(19) lgkmcnt(3)
	v_mul_f32_e32 v111, v87, v129
	v_mul_f32_e32 v119, v88, v129
	v_add_f32_e32 v106, v107, v106
	v_add_f32_e32 v105, v105, v124
	s_waitcnt vmcnt(8)
	v_fma_f32 v93, v93, v141, -v125
	v_fmac_f32_e32 v126, v94, v141
	v_fmac_f32_e32 v111, v88, v137
	v_add_f32_e32 v106, v106, v108
	v_add_f32_e32 v105, v105, v120
	v_fma_f32 v87, v87, v137, -v119
	v_mul_f32_e32 v110, v89, v130
	s_waitcnt lgkmcnt(2)
	v_mul_f32_e32 v128, v95, v139
	v_add_f32_e32 v106, v106, v118
	v_add_f32_e32 v91, v105, v91
	v_mul_f32_e32 v105, v90, v130
	v_fmac_f32_e32 v110, v90, v131
	v_mul_f32_e32 v90, v98, v114
	v_add_f32_e32 v94, v106, v127
	v_add_f32_e32 v88, v91, v93
	v_mul_f32_e32 v93, v96, v139
	v_fma_f32 v89, v89, v131, -v105
	v_mul_f32_e32 v107, v97, v114
	v_add_f32_e32 v91, v94, v126
	v_add_f32_e32 v87, v88, v87
	v_fmac_f32_e32 v128, v96, v123
	ds_read_b64 v[103:104], v82 offset:632
	s_waitcnt vmcnt(3)
	v_fma_f32 v90, v97, v143, -v90
	v_add_f32_e32 v88, v91, v111
	v_fma_f32 v91, v95, v123, -v93
	v_add_f32_e32 v87, v87, v89
	s_waitcnt lgkmcnt(2)
	v_mul_f32_e32 v89, v100, v115
	v_mul_f32_e32 v124, v99, v115
	v_add_f32_e32 v88, v88, v110
	v_fmac_f32_e32 v107, v98, v143
	v_add_f32_e32 v87, v87, v91
	v_mul_f32_e32 v91, v102, v121
	v_fma_f32 v89, v99, v138, -v89
	v_add_f32_e32 v88, v88, v128
	v_mul_f32_e32 v92, v101, v121
	v_add_f32_e32 v87, v87, v90
	v_fmac_f32_e32 v124, v100, v138
	s_waitcnt lgkmcnt(1)
	v_mul_f32_e32 v108, v83, v122
	v_add_f32_e32 v88, v88, v107
	v_mul_f32_e32 v90, v84, v122
	v_fma_f32 v91, v101, v136, -v91
	v_add_f32_e32 v87, v87, v89
	v_fmac_f32_e32 v92, v102, v136
	v_add_f32_e32 v88, v88, v124
	v_mul_f32_e32 v89, v86, v116
	v_fmac_f32_e32 v108, v84, v113
	v_fma_f32 v83, v83, v113, -v90
	v_add_f32_e32 v84, v87, v91
	v_mul_f32_e32 v117, v85, v116
	v_add_f32_e32 v87, v88, v92
	s_waitcnt lgkmcnt(0)
	v_mul_f32_e32 v88, v104, v142
	s_waitcnt vmcnt(1)
	v_fma_f32 v85, v85, v112, -v89
	v_add_f32_e32 v83, v84, v83
	v_mul_f32_e32 v118, v103, v142
	v_fmac_f32_e32 v117, v86, v112
	v_add_f32_e32 v84, v87, v108
	v_fma_f32 v86, v103, v109, -v88
	v_add_f32_e32 v83, v83, v85
	v_fmac_f32_e32 v118, v104, v109
	v_add_f32_e32 v84, v84, v117
	v_add_f32_e32 v83, v83, v86
	;; [unrolled: 1-line block ×3, first 2 shown]
	s_waitcnt vmcnt(0)
	v_sub_f32_e32 v83, v144, v83
	v_sub_f32_e32 v84, v140, v84
	buffer_store_dword v83, off, s[0:3], 0 offset:16
	buffer_store_dword v84, off, s[0:3], 0 offset:20
	v_cmpx_lt_u32_e32 1, v0
	s_cbranch_execz .LBB103_251
; %bb.250:
	s_clause 0x1
	buffer_load_dword v83, off, s[0:3], 0 offset:8
	buffer_load_dword v84, off, s[0:3], 0 offset:12
	buffer_store_dword v82, off, s[0:3], 0 offset:8
	buffer_store_dword v82, off, s[0:3], 0 offset:12
	s_waitcnt vmcnt(0)
	ds_write_b64 v81, v[83:84]
.LBB103_251:
	s_or_b32 exec_lo, exec_lo, s4
	s_waitcnt lgkmcnt(0)
	s_waitcnt_vscnt null, 0x0
	s_barrier
	buffer_gl0_inv
	s_clause 0x2b
	buffer_load_dword v121, off, s[0:3], 0 offset:20
	buffer_load_dword v83, off, s[0:3], 0 offset:32
	;; [unrolled: 1-line block ×44, first 2 shown]
	ds_read_b128 v[122:125], v82 offset:336
	ds_read_b128 v[126:129], v82 offset:352
	;; [unrolled: 1-line block ×3, first 2 shown]
	buffer_load_dword v140, off, s[0:3], 0 offset:12
	s_mov_b32 s4, exec_lo
	s_waitcnt vmcnt(44) lgkmcnt(2)
	v_mul_f32_e32 v139, v122, v121
	v_mul_f32_e32 v121, v123, v121
	s_waitcnt vmcnt(40)
	v_mul_f32_e32 v142, v124, v90
	v_mul_f32_e32 v90, v125, v90
	s_waitcnt vmcnt(39) lgkmcnt(1)
	v_mul_f32_e32 v144, v126, v88
	v_fmac_f32_e32 v139, v123, v91
	v_fma_f32 v141, v122, v91, -v121
	v_fmac_f32_e32 v142, v125, v86
	v_fma_f32 v143, v124, v86, -v90
	v_mul_f32_e32 v86, v127, v88
	ds_read_b128 v[121:124], v82 offset:384
	v_fmac_f32_e32 v144, v127, v83
	s_waitcnt vmcnt(38)
	v_mul_f32_e32 v146, v128, v85
	s_waitcnt vmcnt(33) lgkmcnt(1)
	v_mul_f32_e32 v147, v130, v94
	v_fma_f32 v145, v126, v83, -v86
	v_mul_f32_e32 v83, v129, v85
	v_fmac_f32_e32 v146, v129, v95
	v_fmac_f32_e32 v147, v131, v92
	v_fma_f32 v129, v128, v95, -v83
	v_mul_f32_e32 v83, v131, v94
	ds_read_b128 v[125:128], v82 offset:400
	s_waitcnt vmcnt(32)
	v_mul_f32_e32 v131, v132, v93
	v_fma_f32 v130, v130, v92, -v83
	v_mul_f32_e32 v83, v133, v93
	v_fmac_f32_e32 v131, v133, v87
	s_waitcnt vmcnt(31) lgkmcnt(1)
	v_mul_f32_e32 v133, v121, v89
	v_fma_f32 v132, v132, v87, -v83
	ds_read_b128 v[85:88], v82 offset:416
	v_mul_f32_e32 v83, v122, v89
	v_fmac_f32_e32 v133, v122, v84
	s_waitcnt vmcnt(30)
	v_mul_f32_e32 v122, v123, v96
	ds_read_b128 v[89:92], v82 offset:432
	v_fma_f32 v121, v121, v84, -v83
	v_mul_f32_e32 v83, v124, v96
	s_waitcnt vmcnt(26)
	v_fmac_f32_e32 v122, v124, v104
	s_waitcnt vmcnt(24) lgkmcnt(2)
	v_mul_f32_e32 v84, v128, v102
	ds_read_b128 v[93:96], v82 offset:448
	v_fma_f32 v104, v123, v104, -v83
	v_mul_f32_e32 v123, v125, v103
	v_mul_f32_e32 v83, v126, v103
	;; [unrolled: 1-line block ×3, first 2 shown]
	v_fmac_f32_e32 v123, v126, v100
	v_fma_f32 v100, v125, v100, -v83
	s_waitcnt vmcnt(23) lgkmcnt(2)
	v_mul_f32_e32 v102, v85, v99
	v_mul_f32_e32 v83, v86, v99
	s_waitcnt vmcnt(22)
	v_mul_f32_e32 v99, v87, v101
	v_fmac_f32_e32 v103, v128, v98
	v_fma_f32 v98, v127, v98, -v84
	v_fmac_f32_e32 v102, v86, v97
	v_fma_f32 v97, v85, v97, -v83
	v_mul_f32_e32 v83, v88, v101
	s_waitcnt vmcnt(18)
	v_fmac_f32_e32 v99, v88, v114
	s_waitcnt vmcnt(17) lgkmcnt(1)
	v_mul_f32_e32 v125, v89, v112
	s_waitcnt vmcnt(16)
	v_mul_f32_e32 v84, v92, v111
	s_waitcnt vmcnt(14) lgkmcnt(0)
	v_mul_f32_e32 v88, v96, v115
	v_fma_f32 v101, v87, v114, -v83
	s_clause 0x1
	buffer_load_dword v114, off, s[0:3], 0 offset:188
	buffer_load_dword v124, off, s[0:3], 0 offset:196
	v_mul_f32_e32 v83, v90, v112
	v_mul_f32_e32 v112, v91, v111
	;; [unrolled: 1-line block ×5, first 2 shown]
	v_fmac_f32_e32 v125, v90, v108
	v_fma_f32 v108, v89, v108, -v83
	v_fmac_f32_e32 v112, v92, v107
	v_fma_f32 v91, v91, v107, -v84
	ds_read_b128 v[83:86], v82 offset:464
	v_fma_f32 v92, v93, v105, -v87
	s_waitcnt vmcnt(12)
	v_fma_f32 v93, v95, v120, -v88
	v_add_f32_e32 v87, 0, v139
	v_add_f32_e32 v88, 0, v141
	v_fmac_f32_e32 v111, v94, v105
	v_fmac_f32_e32 v110, v96, v120
	s_clause 0x7
	buffer_load_dword v95, off, s[0:3], 0 offset:204
	buffer_load_dword v105, off, s[0:3], 0 offset:224
	;; [unrolled: 1-line block ×8, first 2 shown]
	v_add_f32_e32 v87, v87, v142
	v_add_f32_e32 v88, v88, v143
	;; [unrolled: 1-line block ×6, first 2 shown]
	ds_read_b128 v[87:90], v82 offset:480
	s_waitcnt vmcnt(19) lgkmcnt(1)
	v_mul_f32_e32 v129, v83, v119
	v_mul_f32_e32 v119, v84, v119
	v_add_f32_e32 v94, v94, v147
	v_add_f32_e32 v128, v128, v130
	s_waitcnt vmcnt(18)
	v_mul_f32_e32 v130, v85, v118
	v_mul_f32_e32 v118, v86, v118
	v_fmac_f32_e32 v129, v84, v117
	v_add_f32_e32 v84, v94, v131
	v_add_f32_e32 v94, v128, v132
	v_fma_f32 v117, v83, v117, -v119
	v_fmac_f32_e32 v130, v86, v116
	v_fma_f32 v116, v85, v116, -v118
	v_add_f32_e32 v83, v84, v133
	v_add_f32_e32 v84, v94, v121
	s_clause 0x7
	buffer_load_dword v118, off, s[0:3], 0 offset:236
	buffer_load_dword v119, off, s[0:3], 0 offset:244
	;; [unrolled: 1-line block ×8, first 2 shown]
	v_add_f32_e32 v83, v83, v122
	v_add_f32_e32 v84, v84, v104
	s_waitcnt vmcnt(25) lgkmcnt(0)
	v_mul_f32_e32 v85, v88, v113
	v_mul_f32_e32 v141, v87, v113
	s_clause 0x3
	buffer_load_dword v113, off, s[0:3], 0 offset:268
	buffer_load_dword v122, off, s[0:3], 0 offset:276
	;; [unrolled: 1-line block ×4, first 2 shown]
	v_add_f32_e32 v83, v83, v123
	s_clause 0x1
	buffer_load_dword v123, off, s[0:3], 0 offset:300
	buffer_load_dword v144, off, s[0:3], 0 offset:308
	v_fma_f32 v104, v87, v106, -v85
	v_add_f32_e32 v87, v84, v100
	s_waitcnt vmcnt(30)
	v_mul_f32_e32 v84, v90, v109
	v_fmac_f32_e32 v141, v88, v106
	v_mul_f32_e32 v100, v89, v109
	v_add_f32_e32 v88, v83, v103
	buffer_load_dword v109, off, s[0:3], 0 offset:316
	s_waitcnt vmcnt(27)
	v_fma_f32 v103, v89, v137, -v84
	ds_read_b128 v[83:86], v82 offset:496
	v_fmac_f32_e32 v100, v90, v137
	v_add_f32_e32 v88, v88, v102
	s_clause 0x3
	buffer_load_dword v137, off, s[0:3], 0 offset:288
	buffer_load_dword v145, off, s[0:3], 0 offset:280
	;; [unrolled: 1-line block ×4, first 2 shown]
	v_add_f32_e32 v87, v87, v98
	v_add_f32_e32 v88, v88, v99
	;; [unrolled: 1-line block ×7, first 2 shown]
	s_waitcnt vmcnt(30) lgkmcnt(0)
	v_mul_f32_e32 v99, v83, v138
	ds_read_b128 v[87:90], v82 offset:512
	v_mul_f32_e32 v98, v84, v138
	v_fmac_f32_e32 v99, v84, v136
	v_add_f32_e32 v84, v94, v111
	s_clause 0x3
	buffer_load_dword v108, off, s[0:3], 0 offset:312
	buffer_load_dword v111, off, s[0:3], 0 offset:304
	;; [unrolled: 1-line block ×4, first 2 shown]
	v_fma_f32 v101, v83, v136, -v98
	v_add_f32_e32 v83, v97, v91
	v_add_f32_e32 v84, v84, v110
	;; [unrolled: 1-line block ×14, first 2 shown]
	s_waitcnt vmcnt(32)
	v_mul_f32_e32 v102, v85, v114
	v_mul_f32_e32 v91, v86, v114
	s_waitcnt vmcnt(31) lgkmcnt(0)
	v_mul_f32_e32 v110, v87, v124
	v_mul_f32_e32 v114, v88, v124
	v_fmac_f32_e32 v102, v86, v135
	v_fma_f32 v106, v85, v135, -v91
	ds_read_b128 v[83:86], v82 offset:528
	ds_read_b128 v[91:94], v82 offset:544
	v_fmac_f32_e32 v110, v88, v134
	v_fma_f32 v114, v87, v134, -v114
	s_waitcnt vmcnt(30)
	v_mul_f32_e32 v116, v89, v95
	v_mul_f32_e32 v95, v90, v95
	s_waitcnt vmcnt(26)
	v_fmac_f32_e32 v116, v90, v96
	v_fma_f32 v124, v89, v96, -v95
	ds_read_b128 v[87:90], v82 offset:560
	ds_read_b128 v[95:98], v82 offset:576
	s_waitcnt vmcnt(25) lgkmcnt(3)
	v_mul_f32_e32 v117, v83, v120
	s_waitcnt vmcnt(24)
	v_mul_f32_e32 v129, v85, v126
	v_mul_f32_e32 v104, v84, v120
	;; [unrolled: 1-line block ×3, first 2 shown]
	s_waitcnt vmcnt(23) lgkmcnt(2)
	v_mul_f32_e32 v126, v91, v127
	v_mul_f32_e32 v127, v92, v127
	v_fmac_f32_e32 v117, v84, v115
	v_fmac_f32_e32 v129, v86, v107
	v_fma_f32 v115, v83, v115, -v104
	v_fma_f32 v107, v85, v107, -v120
	v_add_f32_e32 v104, v99, v102
	v_add_f32_e32 v120, v103, v106
	ds_read_b128 v[83:86], v82 offset:592
	ds_read_b128 v[99:102], v82 offset:608
	v_fmac_f32_e32 v126, v92, v105
	v_fma_f32 v91, v91, v105, -v127
	v_add_f32_e32 v92, v104, v110
	ds_read_b128 v[103:106], v82 offset:624
	v_add_f32_e32 v82, v120, v114
	s_waitcnt vmcnt(22)
	v_mul_f32_e32 v114, v94, v118
	v_mul_f32_e32 v110, v93, v118
	v_add_f32_e32 v92, v92, v116
	s_waitcnt vmcnt(21) lgkmcnt(4)
	v_mul_f32_e32 v116, v87, v119
	v_add_f32_e32 v82, v82, v124
	v_mul_f32_e32 v119, v88, v119
	s_waitcnt vmcnt(15)
	v_fma_f32 v93, v93, v139, -v114
	v_add_f32_e32 v92, v92, v117
	v_fmac_f32_e32 v110, v94, v139
	v_add_f32_e32 v82, v82, v115
	v_fma_f32 v87, v87, v133, -v119
	v_mul_f32_e32 v118, v89, v121
	v_add_f32_e32 v92, v92, v129
	v_fmac_f32_e32 v116, v88, v133
	v_add_f32_e32 v82, v82, v107
	v_mul_f32_e32 v107, v90, v121
	s_waitcnt lgkmcnt(3)
	v_mul_f32_e32 v94, v95, v128
	v_fmac_f32_e32 v118, v90, v132
	s_waitcnt vmcnt(14)
	v_mul_f32_e32 v114, v97, v113
	v_add_f32_e32 v82, v82, v91
	v_add_f32_e32 v91, v92, v126
	v_fma_f32 v89, v89, v132, -v107
	v_fmac_f32_e32 v94, v96, v131
	s_waitcnt vmcnt(13) lgkmcnt(2)
	v_mul_f32_e32 v115, v83, v122
	v_add_f32_e32 v82, v82, v93
	v_add_f32_e32 v88, v91, v110
	v_mul_f32_e32 v91, v96, v128
	s_waitcnt vmcnt(4)
	v_fmac_f32_e32 v114, v98, v147
	v_mul_f32_e32 v117, v85, v142
	v_add_f32_e32 v82, v82, v87
	v_add_f32_e32 v87, v88, v116
	v_mul_f32_e32 v88, v98, v113
	v_fma_f32 v90, v95, v131, -v91
	v_fmac_f32_e32 v115, v84, v146
	v_add_f32_e32 v82, v82, v89
	v_add_f32_e32 v87, v87, v118
	v_mul_f32_e32 v89, v84, v122
	v_fma_f32 v88, v97, v147, -v88
	s_waitcnt lgkmcnt(1)
	v_mul_f32_e32 v120, v99, v143
	v_add_f32_e32 v82, v82, v90
	v_add_f32_e32 v87, v87, v94
	v_mul_f32_e32 v90, v86, v142
	v_fma_f32 v83, v83, v146, -v89
	v_fmac_f32_e32 v117, v86, v145
	v_add_f32_e32 v82, v82, v88
	v_add_f32_e32 v84, v87, v114
	v_mul_f32_e32 v87, v100, v143
	v_fma_f32 v85, v85, v145, -v90
	v_mul_f32_e32 v121, v101, v123
	v_add_f32_e32 v82, v82, v83
	v_add_f32_e32 v83, v84, v115
	v_mul_f32_e32 v84, v102, v123
	v_fma_f32 v86, v99, v137, -v87
	v_fmac_f32_e32 v120, v100, v137
	v_add_f32_e32 v82, v82, v85
	v_add_f32_e32 v83, v83, v117
	s_waitcnt lgkmcnt(0)
	v_mul_f32_e32 v85, v104, v144
	s_waitcnt vmcnt(1)
	v_fma_f32 v84, v101, v112, -v84
	v_mul_f32_e32 v124, v103, v144
	v_add_f32_e32 v82, v82, v86
	v_fmac_f32_e32 v121, v102, v112
	v_add_f32_e32 v83, v83, v120
	v_mul_f32_e32 v86, v106, v109
	v_fma_f32 v85, v103, v111, -v85
	v_add_f32_e32 v82, v82, v84
	v_mul_f32_e32 v92, v105, v109
	v_fmac_f32_e32 v124, v104, v111
	v_add_f32_e32 v83, v83, v121
	v_fma_f32 v84, v105, v108, -v86
	v_add_f32_e32 v82, v82, v85
	v_fmac_f32_e32 v92, v106, v108
	v_add_f32_e32 v83, v83, v124
	v_add_f32_e32 v82, v82, v84
	;; [unrolled: 1-line block ×3, first 2 shown]
	s_waitcnt vmcnt(0)
	v_sub_f32_e32 v82, v125, v82
	v_sub_f32_e32 v83, v140, v83
	buffer_store_dword v82, off, s[0:3], 0 offset:8
	buffer_store_dword v83, off, s[0:3], 0 offset:12
	v_cmpx_ne_u32_e32 0, v0
	s_cbranch_execz .LBB103_253
; %bb.252:
	s_clause 0x1
	buffer_load_dword v82, off, s[0:3], 0
	buffer_load_dword v83, off, s[0:3], 0 offset:4
	v_mov_b32_e32 v0, 0
	buffer_store_dword v0, off, s[0:3], 0
	buffer_store_dword v0, off, s[0:3], 0 offset:4
	s_waitcnt vmcnt(0)
	ds_write_b64 v81, v[82:83]
.LBB103_253:
	s_or_b32 exec_lo, exec_lo, s4
	s_waitcnt lgkmcnt(0)
	s_waitcnt_vscnt null, 0x0
	s_barrier
	buffer_gl0_inv
	s_clause 0x2c
	buffer_load_dword v119, off, s[0:3], 0 offset:12
	buffer_load_dword v0, off, s[0:3], 0 offset:24
	;; [unrolled: 1-line block ×45, first 2 shown]
	v_mov_b32_e32 v118, 0
	ds_read2_b64 v[120:123], v118 offset0:41 offset1:42
	ds_read2_b64 v[124:127], v118 offset0:43 offset1:44
	;; [unrolled: 1-line block ×3, first 2 shown]
	buffer_load_dword v139, off, s[0:3], 0 offset:4
	s_and_b32 vcc_lo, exec_lo, s16
	s_waitcnt vmcnt(45) lgkmcnt(2)
	v_mul_f32_e32 v138, v120, v119
	v_mul_f32_e32 v119, v121, v119
	s_waitcnt vmcnt(41)
	v_mul_f32_e32 v141, v122, v87
	v_mul_f32_e32 v87, v123, v87
	v_fmac_f32_e32 v138, v121, v88
	v_fma_f32 v140, v120, v88, -v119
	s_waitcnt vmcnt(40) lgkmcnt(1)
	v_mul_f32_e32 v143, v124, v85
	v_fmac_f32_e32 v141, v123, v83
	v_fma_f32 v142, v122, v83, -v87
	ds_read2_b64 v[119:122], v118 offset0:47 offset1:48
	v_mul_f32_e32 v83, v125, v85
	s_waitcnt vmcnt(39)
	v_mul_f32_e32 v144, v126, v82
	v_mul_f32_e32 v82, v127, v82
	v_fmac_f32_e32 v143, v125, v0
	s_waitcnt vmcnt(34) lgkmcnt(1)
	v_mul_f32_e32 v145, v128, v91
	v_fma_f32 v0, v124, v0, -v83
	v_fmac_f32_e32 v144, v127, v92
	v_fma_f32 v127, v126, v92, -v82
	v_mul_f32_e32 v82, v129, v91
	ds_read2_b64 v[123:126], v118 offset0:49 offset1:50
	v_fmac_f32_e32 v145, v129, v89
	s_waitcnt vmcnt(33)
	v_mul_f32_e32 v129, v130, v90
	v_fma_f32 v128, v128, v89, -v82
	v_mul_f32_e32 v82, v131, v90
	v_fmac_f32_e32 v129, v131, v84
	v_fma_f32 v130, v130, v84, -v82
	s_waitcnt vmcnt(32) lgkmcnt(1)
	v_mul_f32_e32 v131, v119, v86
	v_mul_f32_e32 v86, v120, v86
	ds_read2_b64 v[82:85], v118 offset0:51 offset1:52
	v_fmac_f32_e32 v131, v120, v81
	v_fma_f32 v119, v119, v81, -v86
	s_waitcnt vmcnt(31)
	v_mul_f32_e32 v120, v121, v93
	v_mul_f32_e32 v81, v122, v93
	ds_read2_b64 v[86:89], v118 offset0:53 offset1:54
	ds_read2_b64 v[90:93], v118 offset0:55 offset1:56
	s_waitcnt vmcnt(27)
	v_fmac_f32_e32 v120, v122, v101
	v_fma_f32 v101, v121, v101, -v81
	s_waitcnt vmcnt(26) lgkmcnt(3)
	v_mul_f32_e32 v121, v123, v100
	v_mul_f32_e32 v81, v124, v100
	s_waitcnt vmcnt(25)
	v_mul_f32_e32 v100, v125, v98
	v_fmac_f32_e32 v121, v124, v97
	v_fma_f32 v97, v123, v97, -v81
	v_mul_f32_e32 v81, v126, v98
	v_fmac_f32_e32 v100, v126, v95
	s_waitcnt vmcnt(24) lgkmcnt(2)
	v_mul_f32_e32 v98, v82, v96
	v_fma_f32 v95, v125, v95, -v81
	v_mul_f32_e32 v81, v83, v96
	v_fmac_f32_e32 v98, v83, v94
	s_waitcnt vmcnt(23)
	v_mul_f32_e32 v96, v84, v99
	v_fma_f32 v94, v82, v94, -v81
	v_mul_f32_e32 v81, v85, v99
	s_waitcnt vmcnt(19)
	v_fmac_f32_e32 v96, v85, v109
	s_waitcnt vmcnt(18) lgkmcnt(1)
	v_mul_f32_e32 v85, v87, v108
	v_fma_f32 v99, v84, v109, -v81
	v_mul_f32_e32 v109, v86, v108
	ds_read2_b64 v[81:84], v118 offset0:57 offset1:58
	s_waitcnt vmcnt(17)
	v_mul_f32_e32 v108, v88, v106
	v_fmac_f32_e32 v109, v87, v105
	v_fma_f32 v105, v86, v105, -v85
	v_mul_f32_e32 v85, v89, v106
	v_fmac_f32_e32 v108, v89, v103
	s_waitcnt vmcnt(16) lgkmcnt(1)
	v_mul_f32_e32 v106, v90, v104
	v_mul_f32_e32 v89, v91, v104
	s_waitcnt vmcnt(15)
	v_mul_f32_e32 v104, v92, v107
	v_fma_f32 v103, v88, v103, -v85
	ds_read2_b64 v[85:88], v118 offset0:59 offset1:60
	v_fmac_f32_e32 v106, v91, v102
	v_fma_f32 v102, v90, v102, -v89
	v_mul_f32_e32 v89, v93, v107
	s_waitcnt vmcnt(11)
	v_fmac_f32_e32 v104, v93, v116
	v_fma_f32 v93, v92, v116, -v89
	ds_read2_b64 v[89:92], v118 offset0:61 offset1:62
	s_waitcnt vmcnt(10) lgkmcnt(2)
	v_mul_f32_e32 v107, v81, v115
	v_mul_f32_e32 v115, v82, v115
	buffer_load_dword v116, off, s[0:3], 0 offset:188
	v_fmac_f32_e32 v107, v82, v113
	v_fma_f32 v113, v81, v113, -v115
	s_waitcnt vmcnt(10)
	v_mul_f32_e32 v115, v83, v114
	v_mul_f32_e32 v81, v84, v114
	s_waitcnt vmcnt(8) lgkmcnt(1)
	v_mul_f32_e32 v82, v88, v117
	v_mul_f32_e32 v114, v85, v112
	v_fmac_f32_e32 v115, v84, v111
	v_fma_f32 v111, v83, v111, -v81
	v_mul_f32_e32 v81, v86, v112
	v_mul_f32_e32 v112, v87, v117
	s_waitcnt vmcnt(4)
	v_fma_f32 v117, v87, v135, -v82
	buffer_load_dword v87, off, s[0:3], 0 offset:196
	v_fmac_f32_e32 v114, v86, v110
	v_fma_f32 v110, v85, v110, -v81
	ds_read2_b64 v[81:84], v118 offset0:63 offset1:64
	s_waitcnt vmcnt(4) lgkmcnt(1)
	v_mul_f32_e32 v122, v89, v136
	v_mul_f32_e32 v85, v90, v136
	s_waitcnt vmcnt(3)
	v_mul_f32_e32 v123, v91, v137
	v_mul_f32_e32 v86, v92, v137
	v_fmac_f32_e32 v112, v88, v135
	v_fmac_f32_e32 v122, v90, v134
	v_fma_f32 v124, v89, v134, -v85
	v_fmac_f32_e32 v123, v92, v133
	v_fma_f32 v125, v91, v133, -v86
	s_clause 0x7
	buffer_load_dword v126, off, s[0:3], 0 offset:216
	buffer_load_dword v89, off, s[0:3], 0 offset:208
	;; [unrolled: 1-line block ×8, first 2 shown]
	s_waitcnt vmcnt(9) lgkmcnt(0)
	v_mul_f32_e32 v86, v82, v116
	v_mul_f32_e32 v133, v81, v116
	v_fma_f32 v116, v81, v132, -v86
	v_fmac_f32_e32 v133, v82, v132
	v_add_f32_e32 v82, 0, v140
	v_add_f32_e32 v82, v82, v142
	s_waitcnt vmcnt(8)
	v_mul_f32_e32 v81, v84, v87
	v_mul_f32_e32 v132, v83, v87
	v_add_f32_e32 v0, v82, v0
	v_add_f32_e32 v0, v0, v127
	s_waitcnt vmcnt(4)
	v_fma_f32 v134, v83, v85, -v81
	v_add_f32_e32 v81, 0, v138
	v_add_f32_e32 v0, v0, v128
	v_fmac_f32_e32 v132, v84, v85
	v_add_f32_e32 v81, v81, v141
	s_clause 0x4
	buffer_load_dword v137, off, s[0:3], 0 offset:248
	buffer_load_dword v138, off, s[0:3], 0 offset:240
	;; [unrolled: 1-line block ×5, first 2 shown]
	v_add_f32_e32 v0, v0, v130
	v_add_f32_e32 v81, v81, v143
	buffer_load_dword v143, off, s[0:3], 0 offset:244
	v_add_f32_e32 v0, v0, v119
	v_add_f32_e32 v81, v81, v144
	s_clause 0x1
	buffer_load_dword v127, off, s[0:3], 0 offset:252
	buffer_load_dword v144, off, s[0:3], 0 offset:260
	v_add_f32_e32 v0, v0, v101
	v_add_f32_e32 v81, v81, v145
	s_clause 0x4
	buffer_load_dword v145, off, s[0:3], 0 offset:268
	buffer_load_dword v128, off, s[0:3], 0 offset:276
	;; [unrolled: 1-line block ×5, first 2 shown]
	v_add_f32_e32 v81, v81, v129
	buffer_load_dword v129, off, s[0:3], 0 offset:292
	v_add_f32_e32 v0, v0, v97
	v_add_f32_e32 v81, v81, v131
	buffer_load_dword v131, off, s[0:3], 0 offset:308
	v_add_f32_e32 v0, v0, v95
	v_add_f32_e32 v81, v81, v120
	v_add_f32_e32 v0, v0, v94
	v_add_f32_e32 v81, v81, v121
	s_clause 0x8
	buffer_load_dword v120, off, s[0:3], 0 offset:280
	buffer_load_dword v121, off, s[0:3], 0 offset:272
	buffer_load_dword v147, off, s[0:3], 0 offset:264
	buffer_load_dword v148, off, s[0:3], 0 offset:256
	buffer_load_dword v149, off, s[0:3], 0 offset:312
	buffer_load_dword v150, off, s[0:3], 0 offset:304
	buffer_load_dword v151, off, s[0:3], 0 offset:296
	buffer_load_dword v152, off, s[0:3], 0 offset:288
	buffer_load_dword v153, off, s[0:3], 0
	v_add_f32_e32 v0, v0, v99
	v_add_f32_e32 v81, v81, v100
	;; [unrolled: 1-line block ×8, first 2 shown]
	ds_read2_b64 v[81:84], v118 offset0:65 offset1:66
	v_add_f32_e32 v0, v0, v93
	v_add_f32_e32 v85, v85, v108
	;; [unrolled: 1-line block ×4, first 2 shown]
	ds_read2_b64 v[85:88], v118 offset0:67 offset1:68
	v_add_f32_e32 v0, v0, v111
	v_add_f32_e32 v93, v94, v104
	;; [unrolled: 1-line block ×4, first 2 shown]
	s_waitcnt vmcnt(27) lgkmcnt(1)
	v_mul_f32_e32 v103, v81, v91
	v_mul_f32_e32 v91, v82, v91
	s_waitcnt vmcnt(26)
	v_mul_f32_e32 v104, v83, v92
	v_add_f32_e32 v0, v0, v117
	v_mul_f32_e32 v92, v84, v92
	v_fmac_f32_e32 v103, v82, v90
	v_add_f32_e32 v82, v93, v115
	v_fma_f32 v105, v81, v90, -v91
	v_add_f32_e32 v0, v0, v124
	v_fmac_f32_e32 v104, v84, v89
	s_waitcnt vmcnt(25) lgkmcnt(0)
	v_mul_f32_e32 v98, v86, v135
	v_add_f32_e32 v97, v82, v114
	v_mul_f32_e32 v107, v85, v135
	v_add_f32_e32 v0, v0, v125
	v_fma_f32 v106, v83, v89, -v92
	v_fma_f32 v109, v85, v126, -v98
	v_add_f32_e32 v97, v97, v112
	ds_read2_b64 v[81:84], v118 offset0:69 offset1:70
	ds_read2_b64 v[89:92], v118 offset0:71 offset1:72
	;; [unrolled: 1-line block ×3, first 2 shown]
	v_add_f32_e32 v0, v0, v116
	s_waitcnt vmcnt(24)
	v_mul_f32_e32 v101, v88, v136
	v_mul_f32_e32 v108, v87, v136
	v_add_f32_e32 v97, v97, v122
	v_fmac_f32_e32 v107, v86, v126
	v_add_f32_e32 v0, v0, v134
	v_add_f32_e32 v85, v97, v123
	ds_read2_b64 v[97:100], v118 offset0:75 offset1:76
	v_add_f32_e32 v0, v0, v105
	v_add_f32_e32 v111, v85, v133
	;; [unrolled: 1-line block ×8, first 2 shown]
	s_waitcnt vmcnt(20)
	v_fma_f32 v110, v87, v141, -v101
	s_waitcnt vmcnt(19) lgkmcnt(3)
	v_mul_f32_e32 v114, v82, v142
	v_fmac_f32_e32 v108, v88, v141
	v_mul_f32_e32 v112, v81, v142
	ds_read2_b64 v[85:88], v118 offset0:77 offset1:78
	ds_read_b64 v[101:102], v118 offset:632
	s_waitcnt vmcnt(18)
	v_mul_f32_e32 v105, v84, v143
	v_fma_f32 v81, v81, v140, -v114
	v_add_f32_e32 v0, v0, v110
	v_mul_f32_e32 v113, v83, v143
	v_fmac_f32_e32 v112, v82, v140
	v_add_f32_e32 v103, v103, v108
	s_waitcnt vmcnt(17) lgkmcnt(4)
	v_mul_f32_e32 v114, v90, v127
	v_fma_f32 v83, v83, v138, -v105
	v_add_f32_e32 v0, v0, v81
	v_mul_f32_e32 v111, v89, v127
	v_fmac_f32_e32 v113, v84, v138
	v_add_f32_e32 v81, v103, v112
	s_waitcnt vmcnt(16)
	v_mul_f32_e32 v84, v92, v144
	v_fma_f32 v89, v89, v137, -v114
	v_add_f32_e32 v0, v0, v83
	v_mul_f32_e32 v115, v91, v144
	v_fmac_f32_e32 v111, v90, v137
	v_add_f32_e32 v81, v81, v113
	s_waitcnt vmcnt(15) lgkmcnt(3)
	v_mul_f32_e32 v83, v94, v145
	v_add_f32_e32 v0, v0, v89
	v_mul_f32_e32 v106, v93, v145
	s_waitcnt vmcnt(14)
	v_mul_f32_e32 v89, v96, v128
	v_add_f32_e32 v81, v81, v111
	v_mul_f32_e32 v104, v95, v128
	s_waitcnt vmcnt(13) lgkmcnt(2)
	v_mul_f32_e32 v116, v97, v146
	s_waitcnt vmcnt(10)
	v_mul_f32_e32 v109, v99, v129
	s_waitcnt lgkmcnt(1)
	v_mul_f32_e32 v107, v85, v130
	s_waitcnt vmcnt(9)
	v_mul_f32_e32 v82, v87, v131
	s_waitcnt vmcnt(7)
	v_fma_f32 v89, v95, v121, -v89
	s_waitcnt vmcnt(6)
	v_fma_f32 v83, v93, v147, -v83
	;; [unrolled: 2-line block ×3, first 2 shown]
	v_fmac_f32_e32 v115, v92, v148
	v_fmac_f32_e32 v106, v94, v147
	;; [unrolled: 1-line block ×4, first 2 shown]
	v_add_f32_e32 v0, v0, v84
	v_add_f32_e32 v81, v81, v115
	v_mul_f32_e32 v84, v98, v146
	s_waitcnt vmcnt(1)
	v_fmac_f32_e32 v109, v100, v152
	v_fmac_f32_e32 v107, v86, v151
	v_add_f32_e32 v0, v0, v83
	v_add_f32_e32 v81, v81, v106
	v_mul_f32_e32 v83, v100, v129
	v_fma_f32 v84, v97, v120, -v84
	s_waitcnt lgkmcnt(0)
	v_mul_f32_e32 v108, v101, v119
	v_add_f32_e32 v0, v0, v89
	v_add_f32_e32 v81, v81, v104
	v_mul_f32_e32 v89, v86, v130
	v_fma_f32 v83, v99, v152, -v83
	v_fmac_f32_e32 v82, v88, v150
	v_add_f32_e32 v0, v0, v84
	v_add_f32_e32 v81, v81, v116
	v_mul_f32_e32 v84, v88, v131
	v_fma_f32 v85, v85, v151, -v89
	v_fmac_f32_e32 v108, v102, v149
	v_add_f32_e32 v0, v0, v83
	v_add_f32_e32 v81, v81, v109
	v_mul_f32_e32 v83, v102, v119
	v_fma_f32 v84, v87, v150, -v84
	v_add_f32_e32 v0, v0, v85
	v_add_f32_e32 v81, v81, v107
	v_fma_f32 v83, v101, v149, -v83
	v_add_f32_e32 v0, v0, v84
	v_add_f32_e32 v81, v81, v82
	;; [unrolled: 1-line block ×4, first 2 shown]
	s_waitcnt vmcnt(0)
	v_sub_f32_e32 v0, v153, v0
	v_sub_f32_e32 v81, v139, v81
	buffer_store_dword v0, off, s[0:3], 0
	buffer_store_dword v81, off, s[0:3], 0 offset:4
	s_cbranch_vccz .LBB103_332
; %bb.254:
	global_load_dword v0, v118, s[12:13] offset:152
	s_waitcnt vmcnt(0)
	v_add_nc_u32_e32 v0, -1, v0
	v_cmp_ne_u32_e32 vcc_lo, 38, v0
	s_cbranch_vccz .LBB103_256
; %bb.255:
	v_lshlrev_b32_e32 v0, 3, v0
	s_clause 0x3
	buffer_load_dword v81, v0, s[0:3], 0 offen
	buffer_load_dword v82, v0, s[0:3], 0 offen offset:4
	buffer_load_dword v83, off, s[0:3], 0 offset:308
	buffer_load_dword v84, off, s[0:3], 0 offset:304
	s_waitcnt vmcnt(3)
	buffer_store_dword v81, off, s[0:3], 0 offset:304
	s_waitcnt vmcnt(2)
	buffer_store_dword v82, off, s[0:3], 0 offset:308
	s_waitcnt vmcnt(1)
	buffer_store_dword v83, v0, s[0:3], 0 offen offset:4
	s_waitcnt vmcnt(0)
	buffer_store_dword v84, v0, s[0:3], 0 offen
.LBB103_256:
	v_mov_b32_e32 v0, 0
	global_load_dword v81, v0, s[12:13] offset:148
	s_waitcnt vmcnt(0)
	v_add_nc_u32_e32 v81, -1, v81
	v_cmp_eq_u32_e32 vcc_lo, 37, v81
	s_cbranch_vccnz .LBB103_258
; %bb.257:
	v_lshlrev_b32_e32 v81, 3, v81
	s_clause 0x3
	buffer_load_dword v82, v81, s[0:3], 0 offen
	buffer_load_dword v83, v81, s[0:3], 0 offen offset:4
	buffer_load_dword v84, off, s[0:3], 0 offset:296
	buffer_load_dword v85, off, s[0:3], 0 offset:300
	s_waitcnt vmcnt(3)
	buffer_store_dword v82, off, s[0:3], 0 offset:296
	s_waitcnt vmcnt(2)
	buffer_store_dword v83, off, s[0:3], 0 offset:300
	s_waitcnt vmcnt(1)
	buffer_store_dword v84, v81, s[0:3], 0 offen
	s_waitcnt vmcnt(0)
	buffer_store_dword v85, v81, s[0:3], 0 offen offset:4
.LBB103_258:
	global_load_dword v0, v0, s[12:13] offset:144
	s_waitcnt vmcnt(0)
	v_add_nc_u32_e32 v0, -1, v0
	v_cmp_eq_u32_e32 vcc_lo, 36, v0
	s_cbranch_vccnz .LBB103_260
; %bb.259:
	v_lshlrev_b32_e32 v0, 3, v0
	s_clause 0x3
	buffer_load_dword v81, v0, s[0:3], 0 offen
	buffer_load_dword v82, v0, s[0:3], 0 offen offset:4
	buffer_load_dword v83, off, s[0:3], 0 offset:292
	buffer_load_dword v84, off, s[0:3], 0 offset:288
	s_waitcnt vmcnt(3)
	buffer_store_dword v81, off, s[0:3], 0 offset:288
	s_waitcnt vmcnt(2)
	buffer_store_dword v82, off, s[0:3], 0 offset:292
	s_waitcnt vmcnt(1)
	buffer_store_dword v83, v0, s[0:3], 0 offen offset:4
	s_waitcnt vmcnt(0)
	buffer_store_dword v84, v0, s[0:3], 0 offen
.LBB103_260:
	v_mov_b32_e32 v0, 0
	global_load_dword v81, v0, s[12:13] offset:140
	s_waitcnt vmcnt(0)
	v_add_nc_u32_e32 v81, -1, v81
	v_cmp_eq_u32_e32 vcc_lo, 35, v81
	s_cbranch_vccnz .LBB103_262
; %bb.261:
	v_lshlrev_b32_e32 v81, 3, v81
	s_clause 0x3
	buffer_load_dword v82, v81, s[0:3], 0 offen
	buffer_load_dword v83, v81, s[0:3], 0 offen offset:4
	buffer_load_dword v84, off, s[0:3], 0 offset:280
	buffer_load_dword v85, off, s[0:3], 0 offset:284
	s_waitcnt vmcnt(3)
	buffer_store_dword v82, off, s[0:3], 0 offset:280
	s_waitcnt vmcnt(2)
	buffer_store_dword v83, off, s[0:3], 0 offset:284
	s_waitcnt vmcnt(1)
	buffer_store_dword v84, v81, s[0:3], 0 offen
	s_waitcnt vmcnt(0)
	buffer_store_dword v85, v81, s[0:3], 0 offen offset:4
.LBB103_262:
	global_load_dword v0, v0, s[12:13] offset:136
	s_waitcnt vmcnt(0)
	v_add_nc_u32_e32 v0, -1, v0
	v_cmp_eq_u32_e32 vcc_lo, 34, v0
	s_cbranch_vccnz .LBB103_264
; %bb.263:
	v_lshlrev_b32_e32 v0, 3, v0
	s_clause 0x3
	buffer_load_dword v81, v0, s[0:3], 0 offen
	buffer_load_dword v82, v0, s[0:3], 0 offen offset:4
	buffer_load_dword v83, off, s[0:3], 0 offset:276
	buffer_load_dword v84, off, s[0:3], 0 offset:272
	s_waitcnt vmcnt(3)
	buffer_store_dword v81, off, s[0:3], 0 offset:272
	s_waitcnt vmcnt(2)
	buffer_store_dword v82, off, s[0:3], 0 offset:276
	s_waitcnt vmcnt(1)
	buffer_store_dword v83, v0, s[0:3], 0 offen offset:4
	s_waitcnt vmcnt(0)
	buffer_store_dword v84, v0, s[0:3], 0 offen
.LBB103_264:
	;; [unrolled: 43-line block ×18, first 2 shown]
	v_mov_b32_e32 v0, 0
	global_load_dword v81, v0, s[12:13] offset:4
	s_waitcnt vmcnt(0)
	v_add_nc_u32_e32 v81, -1, v81
	v_cmp_eq_u32_e32 vcc_lo, 1, v81
	s_cbranch_vccnz .LBB103_330
; %bb.329:
	v_lshlrev_b32_e32 v81, 3, v81
	s_clause 0x3
	buffer_load_dword v82, v81, s[0:3], 0 offen
	buffer_load_dword v83, v81, s[0:3], 0 offen offset:4
	buffer_load_dword v84, off, s[0:3], 0 offset:8
	buffer_load_dword v85, off, s[0:3], 0 offset:12
	s_waitcnt vmcnt(3)
	buffer_store_dword v82, off, s[0:3], 0 offset:8
	s_waitcnt vmcnt(2)
	buffer_store_dword v83, off, s[0:3], 0 offset:12
	s_waitcnt vmcnt(1)
	buffer_store_dword v84, v81, s[0:3], 0 offen
	s_waitcnt vmcnt(0)
	buffer_store_dword v85, v81, s[0:3], 0 offen offset:4
.LBB103_330:
	global_load_dword v0, v0, s[12:13]
	s_waitcnt vmcnt(0)
	v_add_nc_u32_e32 v0, -1, v0
	v_cmp_eq_u32_e32 vcc_lo, 0, v0
	s_cbranch_vccnz .LBB103_332
; %bb.331:
	v_lshlrev_b32_e32 v0, 3, v0
	s_clause 0x3
	buffer_load_dword v81, v0, s[0:3], 0 offen
	buffer_load_dword v82, v0, s[0:3], 0 offen offset:4
	buffer_load_dword v83, off, s[0:3], 0 offset:4
	buffer_load_dword v84, off, s[0:3], 0
	s_waitcnt vmcnt(3)
	buffer_store_dword v81, off, s[0:3], 0
	s_waitcnt vmcnt(2)
	buffer_store_dword v82, off, s[0:3], 0 offset:4
	s_waitcnt vmcnt(1)
	buffer_store_dword v83, v0, s[0:3], 0 offen offset:4
	s_waitcnt vmcnt(0)
	buffer_store_dword v84, v0, s[0:3], 0 offen
.LBB103_332:
	s_clause 0x1
	buffer_load_dword v81, off, s[0:3], 0
	buffer_load_dword v82, off, s[0:3], 0 offset:4
	s_waitcnt vmcnt(0)
	flat_store_dwordx2 v[1:2], v[81:82]
	s_clause 0x1
	buffer_load_dword v0, off, s[0:3], 0 offset:8
	buffer_load_dword v1, off, s[0:3], 0 offset:12
	s_waitcnt vmcnt(0)
	flat_store_dwordx2 v[3:4], v[0:1]
	s_clause 0x1
	buffer_load_dword v0, off, s[0:3], 0 offset:16
	;; [unrolled: 5-line block ×39, first 2 shown]
	buffer_load_dword v1, off, s[0:3], 0 offset:316
	s_waitcnt vmcnt(0)
	flat_store_dwordx2 v[79:80], v[0:1]
	s_endpgm
	.section	.rodata,"a",@progbits
	.p2align	6, 0x0
	.amdhsa_kernel _ZN9rocsolver6v33100L18getri_kernel_smallILi40E19rocblas_complex_numIfEPKPS3_EEvT1_iilPiilS8_bb
		.amdhsa_group_segment_fixed_size 644
		.amdhsa_private_segment_fixed_size 336
		.amdhsa_kernarg_size 60
		.amdhsa_user_sgpr_count 6
		.amdhsa_user_sgpr_private_segment_buffer 1
		.amdhsa_user_sgpr_dispatch_ptr 0
		.amdhsa_user_sgpr_queue_ptr 0
		.amdhsa_user_sgpr_kernarg_segment_ptr 1
		.amdhsa_user_sgpr_dispatch_id 0
		.amdhsa_user_sgpr_flat_scratch_init 0
		.amdhsa_user_sgpr_private_segment_size 0
		.amdhsa_wavefront_size32 1
		.amdhsa_uses_dynamic_stack 0
		.amdhsa_system_sgpr_private_segment_wavefront_offset 1
		.amdhsa_system_sgpr_workgroup_id_x 1
		.amdhsa_system_sgpr_workgroup_id_y 0
		.amdhsa_system_sgpr_workgroup_id_z 0
		.amdhsa_system_sgpr_workgroup_info 0
		.amdhsa_system_vgpr_workitem_id 0
		.amdhsa_next_free_vgpr 254
		.amdhsa_next_free_sgpr 20
		.amdhsa_reserve_vcc 1
		.amdhsa_reserve_flat_scratch 0
		.amdhsa_float_round_mode_32 0
		.amdhsa_float_round_mode_16_64 0
		.amdhsa_float_denorm_mode_32 3
		.amdhsa_float_denorm_mode_16_64 3
		.amdhsa_dx10_clamp 1
		.amdhsa_ieee_mode 1
		.amdhsa_fp16_overflow 0
		.amdhsa_workgroup_processor_mode 1
		.amdhsa_memory_ordered 1
		.amdhsa_forward_progress 1
		.amdhsa_shared_vgpr_count 0
		.amdhsa_exception_fp_ieee_invalid_op 0
		.amdhsa_exception_fp_denorm_src 0
		.amdhsa_exception_fp_ieee_div_zero 0
		.amdhsa_exception_fp_ieee_overflow 0
		.amdhsa_exception_fp_ieee_underflow 0
		.amdhsa_exception_fp_ieee_inexact 0
		.amdhsa_exception_int_div_zero 0
	.end_amdhsa_kernel
	.section	.text._ZN9rocsolver6v33100L18getri_kernel_smallILi40E19rocblas_complex_numIfEPKPS3_EEvT1_iilPiilS8_bb,"axG",@progbits,_ZN9rocsolver6v33100L18getri_kernel_smallILi40E19rocblas_complex_numIfEPKPS3_EEvT1_iilPiilS8_bb,comdat
.Lfunc_end103:
	.size	_ZN9rocsolver6v33100L18getri_kernel_smallILi40E19rocblas_complex_numIfEPKPS3_EEvT1_iilPiilS8_bb, .Lfunc_end103-_ZN9rocsolver6v33100L18getri_kernel_smallILi40E19rocblas_complex_numIfEPKPS3_EEvT1_iilPiilS8_bb
                                        ; -- End function
	.set _ZN9rocsolver6v33100L18getri_kernel_smallILi40E19rocblas_complex_numIfEPKPS3_EEvT1_iilPiilS8_bb.num_vgpr, 254
	.set _ZN9rocsolver6v33100L18getri_kernel_smallILi40E19rocblas_complex_numIfEPKPS3_EEvT1_iilPiilS8_bb.num_agpr, 0
	.set _ZN9rocsolver6v33100L18getri_kernel_smallILi40E19rocblas_complex_numIfEPKPS3_EEvT1_iilPiilS8_bb.numbered_sgpr, 20
	.set _ZN9rocsolver6v33100L18getri_kernel_smallILi40E19rocblas_complex_numIfEPKPS3_EEvT1_iilPiilS8_bb.num_named_barrier, 0
	.set _ZN9rocsolver6v33100L18getri_kernel_smallILi40E19rocblas_complex_numIfEPKPS3_EEvT1_iilPiilS8_bb.private_seg_size, 336
	.set _ZN9rocsolver6v33100L18getri_kernel_smallILi40E19rocblas_complex_numIfEPKPS3_EEvT1_iilPiilS8_bb.uses_vcc, 1
	.set _ZN9rocsolver6v33100L18getri_kernel_smallILi40E19rocblas_complex_numIfEPKPS3_EEvT1_iilPiilS8_bb.uses_flat_scratch, 0
	.set _ZN9rocsolver6v33100L18getri_kernel_smallILi40E19rocblas_complex_numIfEPKPS3_EEvT1_iilPiilS8_bb.has_dyn_sized_stack, 0
	.set _ZN9rocsolver6v33100L18getri_kernel_smallILi40E19rocblas_complex_numIfEPKPS3_EEvT1_iilPiilS8_bb.has_recursion, 0
	.set _ZN9rocsolver6v33100L18getri_kernel_smallILi40E19rocblas_complex_numIfEPKPS3_EEvT1_iilPiilS8_bb.has_indirect_call, 0
	.section	.AMDGPU.csdata,"",@progbits
; Kernel info:
; codeLenInByte = 67616
; TotalNumSgprs: 22
; NumVgprs: 254
; ScratchSize: 336
; MemoryBound: 0
; FloatMode: 240
; IeeeMode: 1
; LDSByteSize: 644 bytes/workgroup (compile time only)
; SGPRBlocks: 0
; VGPRBlocks: 31
; NumSGPRsForWavesPerEU: 22
; NumVGPRsForWavesPerEU: 254
; Occupancy: 4
; WaveLimiterHint : 1
; COMPUTE_PGM_RSRC2:SCRATCH_EN: 1
; COMPUTE_PGM_RSRC2:USER_SGPR: 6
; COMPUTE_PGM_RSRC2:TRAP_HANDLER: 0
; COMPUTE_PGM_RSRC2:TGID_X_EN: 1
; COMPUTE_PGM_RSRC2:TGID_Y_EN: 0
; COMPUTE_PGM_RSRC2:TGID_Z_EN: 0
; COMPUTE_PGM_RSRC2:TIDIG_COMP_CNT: 0
	.section	.text._ZN9rocsolver6v33100L18getri_kernel_smallILi41E19rocblas_complex_numIfEPKPS3_EEvT1_iilPiilS8_bb,"axG",@progbits,_ZN9rocsolver6v33100L18getri_kernel_smallILi41E19rocblas_complex_numIfEPKPS3_EEvT1_iilPiilS8_bb,comdat
	.globl	_ZN9rocsolver6v33100L18getri_kernel_smallILi41E19rocblas_complex_numIfEPKPS3_EEvT1_iilPiilS8_bb ; -- Begin function _ZN9rocsolver6v33100L18getri_kernel_smallILi41E19rocblas_complex_numIfEPKPS3_EEvT1_iilPiilS8_bb
	.p2align	8
	.type	_ZN9rocsolver6v33100L18getri_kernel_smallILi41E19rocblas_complex_numIfEPKPS3_EEvT1_iilPiilS8_bb,@function
_ZN9rocsolver6v33100L18getri_kernel_smallILi41E19rocblas_complex_numIfEPKPS3_EEvT1_iilPiilS8_bb: ; @_ZN9rocsolver6v33100L18getri_kernel_smallILi41E19rocblas_complex_numIfEPKPS3_EEvT1_iilPiilS8_bb
; %bb.0:
	s_add_u32 s0, s0, s7
	s_addc_u32 s1, s1, 0
	s_mov_b32 s7, exec_lo
	v_cmpx_gt_u32_e32 41, v0
	s_cbranch_execz .LBB104_178
; %bb.1:
	s_clause 0x2
	s_load_dword s17, s[4:5], 0x38
	s_load_dwordx2 s[12:13], s[4:5], 0x0
	s_load_dwordx4 s[8:11], s[4:5], 0x28
	s_waitcnt lgkmcnt(0)
	s_bitcmp1_b32 s17, 8
	s_cselect_b32 s16, -1, 0
	s_ashr_i32 s7, s6, 31
	s_lshl_b64 s[14:15], s[6:7], 3
	s_add_u32 s12, s12, s14
	s_addc_u32 s13, s13, s15
	s_load_dwordx2 s[14:15], s[12:13], 0x0
	s_bfe_u32 s12, s17, 0x10008
	s_cmp_eq_u32 s12, 0
                                        ; implicit-def: $sgpr12_sgpr13
	s_cbranch_scc1 .LBB104_3
; %bb.2:
	s_clause 0x1
	s_load_dword s12, s[4:5], 0x20
	s_load_dwordx2 s[18:19], s[4:5], 0x18
	s_mul_i32 s13, s8, s7
	s_mul_hi_u32 s17, s8, s6
	s_mul_i32 s9, s9, s6
	s_add_i32 s13, s17, s13
	s_mul_i32 s8, s8, s6
	s_add_i32 s9, s13, s9
	s_lshl_b64 s[8:9], s[8:9], 2
	s_waitcnt lgkmcnt(0)
	s_ashr_i32 s13, s12, 31
	s_add_u32 s17, s18, s8
	s_addc_u32 s18, s19, s9
	s_lshl_b64 s[8:9], s[12:13], 2
	s_add_u32 s12, s17, s8
	s_addc_u32 s13, s18, s9
.LBB104_3:
	s_clause 0x1
	s_load_dwordx2 s[8:9], s[4:5], 0x8
	s_load_dword s17, s[4:5], 0x38
	v_lshlrev_b32_e32 v3, 3, v0
	s_waitcnt lgkmcnt(0)
	s_ashr_i32 s5, s8, 31
	s_mov_b32 s4, s8
	v_add3_u32 v4, s9, s9, v0
	s_lshl_b64 s[4:5], s[4:5], 3
	s_add_u32 s4, s14, s4
	s_addc_u32 s5, s15, s5
	v_add_co_u32 v9, s8, s4, v3
	v_add_co_ci_u32_e64 v10, null, s5, 0, s8
	s_mov_b32 s14, s9
	s_ashr_i32 s15, s9, 31
	v_ashrrev_i32_e32 v5, 31, v4
	flat_load_dwordx2 v[1:2], v[9:10]
	s_lshl_b64 s[14:15], s[14:15], 3
	s_bitcmp0_b32 s17, 0
	v_add_co_u32 v11, vcc_lo, v9, s14
	v_add_co_ci_u32_e64 v12, null, s15, v10, vcc_lo
	v_lshlrev_b64 v[5:6], 3, v[4:5]
	v_add_nc_u32_e32 v4, s9, v4
	s_waitcnt vmcnt(0) lgkmcnt(0)
	buffer_store_dword v2, off, s[0:3], 0 offset:4
	buffer_store_dword v1, off, s[0:3], 0
	flat_load_dwordx2 v[1:2], v[11:12]
	v_add_co_u32 v13, vcc_lo, s4, v5
	v_add_co_ci_u32_e64 v14, null, s5, v6, vcc_lo
	v_ashrrev_i32_e32 v5, 31, v4
	s_waitcnt vmcnt(0) lgkmcnt(0)
	buffer_store_dword v2, off, s[0:3], 0 offset:12
	buffer_store_dword v1, off, s[0:3], 0 offset:8
	flat_load_dwordx2 v[1:2], v[13:14]
	v_lshlrev_b64 v[5:6], 3, v[4:5]
	v_add_nc_u32_e32 v4, s9, v4
	s_waitcnt vmcnt(0) lgkmcnt(0)
	buffer_store_dword v2, off, s[0:3], 0 offset:20
	buffer_store_dword v1, off, s[0:3], 0 offset:16
	v_add_co_u32 v15, vcc_lo, s4, v5
	v_add_co_ci_u32_e64 v16, null, s5, v6, vcc_lo
	v_ashrrev_i32_e32 v5, 31, v4
	flat_load_dwordx2 v[1:2], v[15:16]
	s_waitcnt vmcnt(0) lgkmcnt(0)
	buffer_store_dword v2, off, s[0:3], 0 offset:28
	buffer_store_dword v1, off, s[0:3], 0 offset:24
	v_lshlrev_b64 v[5:6], 3, v[4:5]
	v_add_nc_u32_e32 v4, s9, v4
	v_add_co_u32 v17, vcc_lo, s4, v5
	v_add_co_ci_u32_e64 v18, null, s5, v6, vcc_lo
	v_ashrrev_i32_e32 v5, 31, v4
	flat_load_dwordx2 v[1:2], v[17:18]
	s_waitcnt vmcnt(0) lgkmcnt(0)
	buffer_store_dword v2, off, s[0:3], 0 offset:36
	buffer_store_dword v1, off, s[0:3], 0 offset:32
	v_lshlrev_b64 v[5:6], 3, v[4:5]
	v_add_nc_u32_e32 v4, s9, v4
	;; [unrolled: 9-line block ×36, first 2 shown]
	v_add_co_u32 v87, vcc_lo, s4, v5
	v_add_co_ci_u32_e64 v88, null, s5, v6, vcc_lo
	v_ashrrev_i32_e32 v5, 31, v4
	flat_load_dwordx2 v[1:2], v[87:88]
	s_waitcnt vmcnt(0) lgkmcnt(0)
	buffer_store_dword v2, off, s[0:3], 0 offset:316
	buffer_store_dword v1, off, s[0:3], 0 offset:312
	v_lshlrev_b64 v[4:5], 3, v[4:5]
	v_add_co_u32 v89, vcc_lo, s4, v4
	v_add_co_ci_u32_e64 v90, null, s5, v5, vcc_lo
	s_mov_b32 s5, -1
	flat_load_dwordx2 v[1:2], v[89:90]
	s_waitcnt vmcnt(0) lgkmcnt(0)
	buffer_store_dword v2, off, s[0:3], 0 offset:324
	buffer_store_dword v1, off, s[0:3], 0 offset:320
	s_cbranch_scc1 .LBB104_176
; %bb.4:
	v_cmp_eq_u32_e64 s4, 0, v0
	s_and_saveexec_b32 s5, s4
; %bb.5:
	v_mov_b32_e32 v1, 0
	ds_write_b32 v1, v1 offset:328
; %bb.6:
	s_or_b32 exec_lo, exec_lo, s5
	v_lshl_add_u32 v5, v0, 3, 0
	s_waitcnt lgkmcnt(0)
	s_waitcnt_vscnt null, 0x0
	s_barrier
	buffer_gl0_inv
	s_clause 0x1
	buffer_load_dword v1, v5, s[0:3], 0 offen
	buffer_load_dword v2, v5, s[0:3], 0 offen offset:4
	s_waitcnt vmcnt(1)
	v_cmp_eq_f32_e32 vcc_lo, 0, v1
	s_waitcnt vmcnt(0)
	v_cmp_eq_f32_e64 s5, 0, v2
	s_and_b32 s5, vcc_lo, s5
	s_and_saveexec_b32 s8, s5
	s_cbranch_execz .LBB104_10
; %bb.7:
	v_mov_b32_e32 v1, 0
	s_mov_b32 s9, 0
	ds_read_b32 v2, v1 offset:328
	s_waitcnt lgkmcnt(0)
	v_readfirstlane_b32 s5, v2
	v_add_nc_u32_e32 v2, 1, v0
	s_cmp_eq_u32 s5, 0
	v_cmp_gt_i32_e32 vcc_lo, s5, v2
	s_cselect_b32 s14, -1, 0
	s_or_b32 s14, s14, vcc_lo
	s_and_b32 exec_lo, exec_lo, s14
	s_cbranch_execz .LBB104_10
; %bb.8:
	v_mov_b32_e32 v4, s5
.LBB104_9:                              ; =>This Inner Loop Header: Depth=1
	ds_cmpst_rtn_b32 v4, v1, v4, v2 offset:328
	s_waitcnt lgkmcnt(0)
	v_cmp_ne_u32_e32 vcc_lo, 0, v4
	v_cmp_le_i32_e64 s5, v4, v2
	s_and_b32 s5, vcc_lo, s5
	s_and_b32 s5, exec_lo, s5
	s_or_b32 s9, s5, s9
	s_andn2_b32 exec_lo, exec_lo, s9
	s_cbranch_execnz .LBB104_9
.LBB104_10:
	s_or_b32 exec_lo, exec_lo, s8
	v_mov_b32_e32 v1, 0
	s_barrier
	buffer_gl0_inv
	ds_read_b32 v2, v1 offset:328
	s_and_saveexec_b32 s5, s4
	s_cbranch_execz .LBB104_12
; %bb.11:
	s_lshl_b64 s[8:9], s[6:7], 2
	s_add_u32 s8, s10, s8
	s_addc_u32 s9, s11, s9
	s_waitcnt lgkmcnt(0)
	global_store_dword v1, v2, s[8:9]
.LBB104_12:
	s_or_b32 exec_lo, exec_lo, s5
	s_waitcnt lgkmcnt(0)
	v_cmp_ne_u32_e32 vcc_lo, 0, v2
	s_mov_b32 s5, 0
	s_cbranch_vccnz .LBB104_176
; %bb.13:
	s_clause 0x1
	buffer_load_dword v2, v5, s[0:3], 0 offen
	buffer_load_dword v4, v5, s[0:3], 0 offen offset:4
                                        ; implicit-def: $vgpr7
                                        ; implicit-def: $vgpr6
                                        ; implicit-def: $vgpr1
	s_waitcnt vmcnt(0)
	v_cmp_ngt_f32_e64 s5, |v2|, |v4|
	s_and_saveexec_b32 s8, s5
	s_xor_b32 s5, exec_lo, s8
	s_cbranch_execz .LBB104_15
; %bb.14:
	v_div_scale_f32 v1, null, v4, v4, v2
	v_div_scale_f32 v8, vcc_lo, v2, v4, v2
	v_rcp_f32_e32 v6, v1
	v_fma_f32 v7, -v1, v6, 1.0
	v_fmac_f32_e32 v6, v7, v6
	v_mul_f32_e32 v7, v8, v6
	v_fma_f32 v91, -v1, v7, v8
	v_fmac_f32_e32 v7, v91, v6
	v_fma_f32 v1, -v1, v7, v8
	v_div_fmas_f32 v1, v1, v6, v7
	v_div_fixup_f32 v1, v1, v4, v2
	v_fmac_f32_e32 v4, v2, v1
	v_div_scale_f32 v2, null, v4, v4, 1.0
	v_rcp_f32_e32 v6, v2
	v_fma_f32 v7, -v2, v6, 1.0
	v_fmac_f32_e32 v6, v7, v6
	v_div_scale_f32 v7, vcc_lo, 1.0, v4, 1.0
	v_mul_f32_e32 v8, v7, v6
	v_fma_f32 v91, -v2, v8, v7
	v_fmac_f32_e32 v8, v91, v6
	v_fma_f32 v2, -v2, v8, v7
	v_div_fmas_f32 v2, v2, v6, v8
	v_div_fixup_f32 v2, v2, v4, 1.0
                                        ; implicit-def: $vgpr4
	v_mul_f32_e32 v7, v1, v2
	v_xor_b32_e32 v6, 0x80000000, v2
                                        ; implicit-def: $vgpr2
	v_xor_b32_e32 v1, 0x80000000, v7
.LBB104_15:
	s_andn2_saveexec_b32 s5, s5
	s_cbranch_execz .LBB104_17
; %bb.16:
	v_div_scale_f32 v1, null, v2, v2, v4
	v_div_scale_f32 v8, vcc_lo, v4, v2, v4
	v_rcp_f32_e32 v6, v1
	v_fma_f32 v7, -v1, v6, 1.0
	v_fmac_f32_e32 v6, v7, v6
	v_mul_f32_e32 v7, v8, v6
	v_fma_f32 v91, -v1, v7, v8
	v_fmac_f32_e32 v7, v91, v6
	v_fma_f32 v1, -v1, v7, v8
	v_div_fmas_f32 v1, v1, v6, v7
	v_div_fixup_f32 v6, v1, v2, v4
	v_fmac_f32_e32 v2, v4, v6
	v_div_scale_f32 v1, null, v2, v2, 1.0
	v_div_scale_f32 v8, vcc_lo, 1.0, v2, 1.0
	v_rcp_f32_e32 v4, v1
	v_fma_f32 v7, -v1, v4, 1.0
	v_fmac_f32_e32 v4, v7, v4
	v_mul_f32_e32 v7, v8, v4
	v_fma_f32 v91, -v1, v7, v8
	v_fmac_f32_e32 v7, v91, v4
	v_fma_f32 v1, -v1, v7, v8
	v_div_fmas_f32 v1, v1, v4, v7
	v_div_fixup_f32 v7, v1, v2, 1.0
	v_xor_b32_e32 v1, 0x80000000, v7
	v_mul_f32_e64 v6, v6, -v7
.LBB104_17:
	s_or_b32 exec_lo, exec_lo, s5
	buffer_store_dword v7, v5, s[0:3], 0 offen
	buffer_store_dword v6, v5, s[0:3], 0 offen offset:4
	s_clause 0x1
	buffer_load_dword v8, off, s[0:3], 0 offset:12
	buffer_load_dword v7, off, s[0:3], 0 offset:8
	v_xor_b32_e32 v2, 0x80000000, v6
	v_add_nc_u32_e32 v4, 0x150, v3
	s_waitcnt vmcnt(0)
	ds_write2_b64 v3, v[1:2], v[7:8] offset1:42
	s_waitcnt lgkmcnt(0)
	s_waitcnt_vscnt null, 0x0
	s_barrier
	buffer_gl0_inv
	s_and_saveexec_b32 s5, s4
	s_cbranch_execz .LBB104_19
; %bb.18:
	s_clause 0x1
	buffer_load_dword v8, v5, s[0:3], 0 offen offset:4
	buffer_load_dword v91, v5, s[0:3], 0 offen
	ds_read_b64 v[1:2], v4
	v_mov_b32_e32 v6, 0
	ds_read_b64 v[6:7], v6 offset:8
	s_waitcnt vmcnt(1) lgkmcnt(1)
	v_mul_f32_e32 v92, v1, v8
	v_mul_f32_e32 v8, v2, v8
	s_waitcnt vmcnt(0)
	v_fmac_f32_e32 v92, v2, v91
	v_fma_f32 v1, v1, v91, -v8
	v_add_f32_e32 v2, 0, v92
	v_add_f32_e32 v1, 0, v1
	s_waitcnt lgkmcnt(0)
	v_mul_f32_e32 v8, v2, v7
	v_mul_f32_e32 v7, v1, v7
	v_fma_f32 v1, v1, v6, -v8
	v_fmac_f32_e32 v7, v2, v6
	buffer_store_dword v1, off, s[0:3], 0 offset:8
	buffer_store_dword v7, off, s[0:3], 0 offset:12
.LBB104_19:
	s_or_b32 exec_lo, exec_lo, s5
	s_waitcnt_vscnt null, 0x0
	s_barrier
	buffer_gl0_inv
	s_clause 0x1
	buffer_load_dword v1, off, s[0:3], 0 offset:16
	buffer_load_dword v2, off, s[0:3], 0 offset:20
	s_mov_b32 s5, exec_lo
	s_waitcnt vmcnt(0)
	ds_write_b64 v4, v[1:2]
	s_waitcnt lgkmcnt(0)
	s_barrier
	buffer_gl0_inv
	v_cmpx_gt_u32_e32 2, v0
	s_cbranch_execz .LBB104_23
; %bb.20:
	s_clause 0x1
	buffer_load_dword v6, v5, s[0:3], 0 offen offset:4
	buffer_load_dword v5, v5, s[0:3], 0 offen
	ds_read_b64 v[1:2], v4
	s_waitcnt vmcnt(1) lgkmcnt(0)
	v_mul_f32_e32 v7, v2, v6
	v_mul_f32_e32 v6, v1, v6
	s_waitcnt vmcnt(0)
	v_fma_f32 v1, v1, v5, -v7
	v_fmac_f32_e32 v6, v2, v5
	v_add_f32_e32 v2, 0, v1
	v_add_f32_e32 v1, 0, v6
	s_and_saveexec_b32 s8, s4
	s_cbranch_execz .LBB104_22
; %bb.21:
	s_clause 0x1
	buffer_load_dword v7, off, s[0:3], 0 offset:12
	buffer_load_dword v8, off, s[0:3], 0 offset:8
	v_mov_b32_e32 v5, 0
	ds_read_b64 v[5:6], v5 offset:344
	s_waitcnt vmcnt(1) lgkmcnt(0)
	v_mul_f32_e32 v91, v5, v7
	v_mul_f32_e32 v7, v6, v7
	s_waitcnt vmcnt(0)
	v_fmac_f32_e32 v91, v6, v8
	v_fma_f32 v5, v5, v8, -v7
	v_add_f32_e32 v1, v1, v91
	v_add_f32_e32 v2, v2, v5
.LBB104_22:
	s_or_b32 exec_lo, exec_lo, s8
	v_mov_b32_e32 v5, 0
	ds_read_b64 v[5:6], v5 offset:16
	s_waitcnt lgkmcnt(0)
	v_mul_f32_e32 v7, v1, v6
	v_mul_f32_e32 v6, v2, v6
	v_fma_f32 v2, v2, v5, -v7
	v_fmac_f32_e32 v6, v1, v5
	buffer_store_dword v2, off, s[0:3], 0 offset:16
	buffer_store_dword v6, off, s[0:3], 0 offset:20
.LBB104_23:
	s_or_b32 exec_lo, exec_lo, s5
	s_waitcnt_vscnt null, 0x0
	s_barrier
	buffer_gl0_inv
	s_clause 0x1
	buffer_load_dword v5, off, s[0:3], 0 offset:24
	buffer_load_dword v6, off, s[0:3], 0 offset:28
	v_add_nc_u32_e32 v1, -1, v0
	s_mov_b32 s4, exec_lo
	s_waitcnt vmcnt(0)
	ds_write_b64 v4, v[5:6]
	s_waitcnt lgkmcnt(0)
	s_barrier
	buffer_gl0_inv
	v_cmpx_gt_u32_e32 3, v0
	s_cbranch_execz .LBB104_27
; %bb.24:
	v_add_nc_u32_e32 v5, -1, v0
	v_add_nc_u32_e32 v6, 0x150, v3
	v_mov_b32_e32 v7, v3
	v_mov_b32_e32 v2, 0
	;; [unrolled: 1-line block ×3, first 2 shown]
	s_mov_b32 s5, 0
	.p2align	6
.LBB104_25:                             ; =>This Inner Loop Header: Depth=1
	s_clause 0x1
	buffer_load_dword v93, v7, s[0:3], 0 offen offset:4
	buffer_load_dword v94, v7, s[0:3], 0 offen
	ds_read_b64 v[91:92], v6
	v_add_nc_u32_e32 v5, 1, v5
	v_add_nc_u32_e32 v6, 8, v6
	;; [unrolled: 1-line block ×3, first 2 shown]
	v_cmp_lt_u32_e32 vcc_lo, 1, v5
	s_or_b32 s5, vcc_lo, s5
	s_waitcnt vmcnt(1) lgkmcnt(0)
	v_mul_f32_e32 v95, v92, v93
	v_mul_f32_e32 v93, v91, v93
	s_waitcnt vmcnt(0)
	v_fma_f32 v91, v91, v94, -v95
	v_fmac_f32_e32 v93, v92, v94
	v_add_f32_e32 v8, v8, v91
	v_add_f32_e32 v2, v2, v93
	s_andn2_b32 exec_lo, exec_lo, s5
	s_cbranch_execnz .LBB104_25
; %bb.26:
	s_or_b32 exec_lo, exec_lo, s5
	v_mov_b32_e32 v5, 0
	ds_read_b64 v[5:6], v5 offset:24
	s_waitcnt lgkmcnt(0)
	v_mul_f32_e32 v7, v2, v6
	v_mul_f32_e32 v6, v8, v6
	v_fma_f32 v7, v8, v5, -v7
	v_fmac_f32_e32 v6, v2, v5
	buffer_store_dword v7, off, s[0:3], 0 offset:24
	buffer_store_dword v6, off, s[0:3], 0 offset:28
.LBB104_27:
	s_or_b32 exec_lo, exec_lo, s4
	s_waitcnt_vscnt null, 0x0
	s_barrier
	buffer_gl0_inv
	s_clause 0x1
	buffer_load_dword v5, off, s[0:3], 0 offset:32
	buffer_load_dword v6, off, s[0:3], 0 offset:36
	s_mov_b32 s4, exec_lo
	s_waitcnt vmcnt(0)
	ds_write_b64 v4, v[5:6]
	s_waitcnt lgkmcnt(0)
	s_barrier
	buffer_gl0_inv
	v_cmpx_gt_u32_e32 4, v0
	s_cbranch_execz .LBB104_31
; %bb.28:
	v_add_nc_u32_e32 v5, -1, v0
	v_add_nc_u32_e32 v6, 0x150, v3
	v_mov_b32_e32 v7, v3
	v_mov_b32_e32 v2, 0
	;; [unrolled: 1-line block ×3, first 2 shown]
	s_mov_b32 s5, 0
	.p2align	6
.LBB104_29:                             ; =>This Inner Loop Header: Depth=1
	s_clause 0x1
	buffer_load_dword v93, v7, s[0:3], 0 offen offset:4
	buffer_load_dword v94, v7, s[0:3], 0 offen
	ds_read_b64 v[91:92], v6
	v_add_nc_u32_e32 v5, 1, v5
	v_add_nc_u32_e32 v6, 8, v6
	;; [unrolled: 1-line block ×3, first 2 shown]
	v_cmp_lt_u32_e32 vcc_lo, 2, v5
	s_or_b32 s5, vcc_lo, s5
	s_waitcnt vmcnt(1) lgkmcnt(0)
	v_mul_f32_e32 v95, v92, v93
	v_mul_f32_e32 v93, v91, v93
	s_waitcnt vmcnt(0)
	v_fma_f32 v91, v91, v94, -v95
	v_fmac_f32_e32 v93, v92, v94
	v_add_f32_e32 v8, v8, v91
	v_add_f32_e32 v2, v2, v93
	s_andn2_b32 exec_lo, exec_lo, s5
	s_cbranch_execnz .LBB104_29
; %bb.30:
	s_or_b32 exec_lo, exec_lo, s5
	v_mov_b32_e32 v5, 0
	ds_read_b64 v[5:6], v5 offset:32
	s_waitcnt lgkmcnt(0)
	v_mul_f32_e32 v7, v2, v6
	v_mul_f32_e32 v6, v8, v6
	v_fma_f32 v7, v8, v5, -v7
	v_fmac_f32_e32 v6, v2, v5
	buffer_store_dword v7, off, s[0:3], 0 offset:32
	buffer_store_dword v6, off, s[0:3], 0 offset:36
.LBB104_31:
	s_or_b32 exec_lo, exec_lo, s4
	s_waitcnt_vscnt null, 0x0
	s_barrier
	buffer_gl0_inv
	s_clause 0x1
	buffer_load_dword v5, off, s[0:3], 0 offset:40
	buffer_load_dword v6, off, s[0:3], 0 offset:44
	s_mov_b32 s4, exec_lo
	s_waitcnt vmcnt(0)
	ds_write_b64 v4, v[5:6]
	s_waitcnt lgkmcnt(0)
	s_barrier
	buffer_gl0_inv
	v_cmpx_gt_u32_e32 5, v0
	s_cbranch_execz .LBB104_35
; %bb.32:
	v_add_nc_u32_e32 v5, -1, v0
	v_add_nc_u32_e32 v6, 0x150, v3
	v_mov_b32_e32 v7, v3
	v_mov_b32_e32 v2, 0
	;; [unrolled: 1-line block ×3, first 2 shown]
	s_mov_b32 s5, 0
	.p2align	6
.LBB104_33:                             ; =>This Inner Loop Header: Depth=1
	s_clause 0x1
	buffer_load_dword v93, v7, s[0:3], 0 offen offset:4
	buffer_load_dword v94, v7, s[0:3], 0 offen
	ds_read_b64 v[91:92], v6
	v_add_nc_u32_e32 v5, 1, v5
	v_add_nc_u32_e32 v6, 8, v6
	;; [unrolled: 1-line block ×3, first 2 shown]
	v_cmp_lt_u32_e32 vcc_lo, 3, v5
	s_or_b32 s5, vcc_lo, s5
	s_waitcnt vmcnt(1) lgkmcnt(0)
	v_mul_f32_e32 v95, v92, v93
	v_mul_f32_e32 v93, v91, v93
	s_waitcnt vmcnt(0)
	v_fma_f32 v91, v91, v94, -v95
	v_fmac_f32_e32 v93, v92, v94
	v_add_f32_e32 v8, v8, v91
	v_add_f32_e32 v2, v2, v93
	s_andn2_b32 exec_lo, exec_lo, s5
	s_cbranch_execnz .LBB104_33
; %bb.34:
	s_or_b32 exec_lo, exec_lo, s5
	v_mov_b32_e32 v5, 0
	ds_read_b64 v[5:6], v5 offset:40
	s_waitcnt lgkmcnt(0)
	v_mul_f32_e32 v7, v2, v6
	v_mul_f32_e32 v6, v8, v6
	v_fma_f32 v7, v8, v5, -v7
	v_fmac_f32_e32 v6, v2, v5
	buffer_store_dword v7, off, s[0:3], 0 offset:40
	buffer_store_dword v6, off, s[0:3], 0 offset:44
.LBB104_35:
	s_or_b32 exec_lo, exec_lo, s4
	s_waitcnt_vscnt null, 0x0
	s_barrier
	buffer_gl0_inv
	s_clause 0x1
	buffer_load_dword v5, off, s[0:3], 0 offset:48
	buffer_load_dword v6, off, s[0:3], 0 offset:52
	s_mov_b32 s4, exec_lo
	s_waitcnt vmcnt(0)
	ds_write_b64 v4, v[5:6]
	s_waitcnt lgkmcnt(0)
	s_barrier
	buffer_gl0_inv
	v_cmpx_gt_u32_e32 6, v0
	s_cbranch_execz .LBB104_39
; %bb.36:
	v_add_nc_u32_e32 v5, -1, v0
	v_add_nc_u32_e32 v6, 0x150, v3
	v_mov_b32_e32 v7, v3
	v_mov_b32_e32 v2, 0
	;; [unrolled: 1-line block ×3, first 2 shown]
	s_mov_b32 s5, 0
	.p2align	6
.LBB104_37:                             ; =>This Inner Loop Header: Depth=1
	s_clause 0x1
	buffer_load_dword v93, v7, s[0:3], 0 offen offset:4
	buffer_load_dword v94, v7, s[0:3], 0 offen
	ds_read_b64 v[91:92], v6
	v_add_nc_u32_e32 v5, 1, v5
	v_add_nc_u32_e32 v6, 8, v6
	;; [unrolled: 1-line block ×3, first 2 shown]
	v_cmp_lt_u32_e32 vcc_lo, 4, v5
	s_or_b32 s5, vcc_lo, s5
	s_waitcnt vmcnt(1) lgkmcnt(0)
	v_mul_f32_e32 v95, v92, v93
	v_mul_f32_e32 v93, v91, v93
	s_waitcnt vmcnt(0)
	v_fma_f32 v91, v91, v94, -v95
	v_fmac_f32_e32 v93, v92, v94
	v_add_f32_e32 v8, v8, v91
	v_add_f32_e32 v2, v2, v93
	s_andn2_b32 exec_lo, exec_lo, s5
	s_cbranch_execnz .LBB104_37
; %bb.38:
	s_or_b32 exec_lo, exec_lo, s5
	v_mov_b32_e32 v5, 0
	ds_read_b64 v[5:6], v5 offset:48
	s_waitcnt lgkmcnt(0)
	v_mul_f32_e32 v7, v2, v6
	v_mul_f32_e32 v6, v8, v6
	v_fma_f32 v7, v8, v5, -v7
	v_fmac_f32_e32 v6, v2, v5
	buffer_store_dword v7, off, s[0:3], 0 offset:48
	buffer_store_dword v6, off, s[0:3], 0 offset:52
.LBB104_39:
	s_or_b32 exec_lo, exec_lo, s4
	s_waitcnt_vscnt null, 0x0
	s_barrier
	buffer_gl0_inv
	s_clause 0x1
	buffer_load_dword v5, off, s[0:3], 0 offset:56
	buffer_load_dword v6, off, s[0:3], 0 offset:60
	s_mov_b32 s4, exec_lo
	s_waitcnt vmcnt(0)
	ds_write_b64 v4, v[5:6]
	s_waitcnt lgkmcnt(0)
	s_barrier
	buffer_gl0_inv
	v_cmpx_gt_u32_e32 7, v0
	s_cbranch_execz .LBB104_43
; %bb.40:
	v_add_nc_u32_e32 v5, -1, v0
	v_add_nc_u32_e32 v6, 0x150, v3
	v_mov_b32_e32 v7, v3
	v_mov_b32_e32 v2, 0
	;; [unrolled: 1-line block ×3, first 2 shown]
	s_mov_b32 s5, 0
	.p2align	6
.LBB104_41:                             ; =>This Inner Loop Header: Depth=1
	s_clause 0x1
	buffer_load_dword v93, v7, s[0:3], 0 offen offset:4
	buffer_load_dword v94, v7, s[0:3], 0 offen
	ds_read_b64 v[91:92], v6
	v_add_nc_u32_e32 v5, 1, v5
	v_add_nc_u32_e32 v6, 8, v6
	;; [unrolled: 1-line block ×3, first 2 shown]
	v_cmp_lt_u32_e32 vcc_lo, 5, v5
	s_or_b32 s5, vcc_lo, s5
	s_waitcnt vmcnt(1) lgkmcnt(0)
	v_mul_f32_e32 v95, v92, v93
	v_mul_f32_e32 v93, v91, v93
	s_waitcnt vmcnt(0)
	v_fma_f32 v91, v91, v94, -v95
	v_fmac_f32_e32 v93, v92, v94
	v_add_f32_e32 v8, v8, v91
	v_add_f32_e32 v2, v2, v93
	s_andn2_b32 exec_lo, exec_lo, s5
	s_cbranch_execnz .LBB104_41
; %bb.42:
	s_or_b32 exec_lo, exec_lo, s5
	v_mov_b32_e32 v5, 0
	ds_read_b64 v[5:6], v5 offset:56
	s_waitcnt lgkmcnt(0)
	v_mul_f32_e32 v7, v2, v6
	v_mul_f32_e32 v6, v8, v6
	v_fma_f32 v7, v8, v5, -v7
	v_fmac_f32_e32 v6, v2, v5
	buffer_store_dword v7, off, s[0:3], 0 offset:56
	buffer_store_dword v6, off, s[0:3], 0 offset:60
.LBB104_43:
	s_or_b32 exec_lo, exec_lo, s4
	s_waitcnt_vscnt null, 0x0
	s_barrier
	buffer_gl0_inv
	s_clause 0x1
	buffer_load_dword v5, off, s[0:3], 0 offset:64
	buffer_load_dword v6, off, s[0:3], 0 offset:68
	s_mov_b32 s4, exec_lo
	s_waitcnt vmcnt(0)
	ds_write_b64 v4, v[5:6]
	s_waitcnt lgkmcnt(0)
	s_barrier
	buffer_gl0_inv
	v_cmpx_gt_u32_e32 8, v0
	s_cbranch_execz .LBB104_47
; %bb.44:
	v_add_nc_u32_e32 v5, -1, v0
	v_add_nc_u32_e32 v6, 0x150, v3
	v_mov_b32_e32 v7, v3
	v_mov_b32_e32 v2, 0
	;; [unrolled: 1-line block ×3, first 2 shown]
	s_mov_b32 s5, 0
	.p2align	6
.LBB104_45:                             ; =>This Inner Loop Header: Depth=1
	s_clause 0x1
	buffer_load_dword v93, v7, s[0:3], 0 offen offset:4
	buffer_load_dword v94, v7, s[0:3], 0 offen
	ds_read_b64 v[91:92], v6
	v_add_nc_u32_e32 v5, 1, v5
	v_add_nc_u32_e32 v6, 8, v6
	;; [unrolled: 1-line block ×3, first 2 shown]
	v_cmp_lt_u32_e32 vcc_lo, 6, v5
	s_or_b32 s5, vcc_lo, s5
	s_waitcnt vmcnt(1) lgkmcnt(0)
	v_mul_f32_e32 v95, v92, v93
	v_mul_f32_e32 v93, v91, v93
	s_waitcnt vmcnt(0)
	v_fma_f32 v91, v91, v94, -v95
	v_fmac_f32_e32 v93, v92, v94
	v_add_f32_e32 v8, v8, v91
	v_add_f32_e32 v2, v2, v93
	s_andn2_b32 exec_lo, exec_lo, s5
	s_cbranch_execnz .LBB104_45
; %bb.46:
	s_or_b32 exec_lo, exec_lo, s5
	v_mov_b32_e32 v5, 0
	ds_read_b64 v[5:6], v5 offset:64
	s_waitcnt lgkmcnt(0)
	v_mul_f32_e32 v7, v2, v6
	v_mul_f32_e32 v6, v8, v6
	v_fma_f32 v7, v8, v5, -v7
	v_fmac_f32_e32 v6, v2, v5
	buffer_store_dword v7, off, s[0:3], 0 offset:64
	buffer_store_dword v6, off, s[0:3], 0 offset:68
.LBB104_47:
	s_or_b32 exec_lo, exec_lo, s4
	s_waitcnt_vscnt null, 0x0
	s_barrier
	buffer_gl0_inv
	s_clause 0x1
	buffer_load_dword v5, off, s[0:3], 0 offset:72
	buffer_load_dword v6, off, s[0:3], 0 offset:76
	s_mov_b32 s4, exec_lo
	s_waitcnt vmcnt(0)
	ds_write_b64 v4, v[5:6]
	s_waitcnt lgkmcnt(0)
	s_barrier
	buffer_gl0_inv
	v_cmpx_gt_u32_e32 9, v0
	s_cbranch_execz .LBB104_51
; %bb.48:
	v_add_nc_u32_e32 v5, -1, v0
	v_add_nc_u32_e32 v6, 0x150, v3
	v_mov_b32_e32 v7, v3
	v_mov_b32_e32 v2, 0
	;; [unrolled: 1-line block ×3, first 2 shown]
	s_mov_b32 s5, 0
	.p2align	6
.LBB104_49:                             ; =>This Inner Loop Header: Depth=1
	s_clause 0x1
	buffer_load_dword v93, v7, s[0:3], 0 offen offset:4
	buffer_load_dword v94, v7, s[0:3], 0 offen
	ds_read_b64 v[91:92], v6
	v_add_nc_u32_e32 v5, 1, v5
	v_add_nc_u32_e32 v6, 8, v6
	;; [unrolled: 1-line block ×3, first 2 shown]
	v_cmp_lt_u32_e32 vcc_lo, 7, v5
	s_or_b32 s5, vcc_lo, s5
	s_waitcnt vmcnt(1) lgkmcnt(0)
	v_mul_f32_e32 v95, v92, v93
	v_mul_f32_e32 v93, v91, v93
	s_waitcnt vmcnt(0)
	v_fma_f32 v91, v91, v94, -v95
	v_fmac_f32_e32 v93, v92, v94
	v_add_f32_e32 v8, v8, v91
	v_add_f32_e32 v2, v2, v93
	s_andn2_b32 exec_lo, exec_lo, s5
	s_cbranch_execnz .LBB104_49
; %bb.50:
	s_or_b32 exec_lo, exec_lo, s5
	v_mov_b32_e32 v5, 0
	ds_read_b64 v[5:6], v5 offset:72
	s_waitcnt lgkmcnt(0)
	v_mul_f32_e32 v7, v2, v6
	v_mul_f32_e32 v6, v8, v6
	v_fma_f32 v7, v8, v5, -v7
	v_fmac_f32_e32 v6, v2, v5
	buffer_store_dword v7, off, s[0:3], 0 offset:72
	buffer_store_dword v6, off, s[0:3], 0 offset:76
.LBB104_51:
	s_or_b32 exec_lo, exec_lo, s4
	s_waitcnt_vscnt null, 0x0
	s_barrier
	buffer_gl0_inv
	s_clause 0x1
	buffer_load_dword v5, off, s[0:3], 0 offset:80
	buffer_load_dword v6, off, s[0:3], 0 offset:84
	s_mov_b32 s4, exec_lo
	s_waitcnt vmcnt(0)
	ds_write_b64 v4, v[5:6]
	s_waitcnt lgkmcnt(0)
	s_barrier
	buffer_gl0_inv
	v_cmpx_gt_u32_e32 10, v0
	s_cbranch_execz .LBB104_55
; %bb.52:
	v_add_nc_u32_e32 v5, -1, v0
	v_add_nc_u32_e32 v6, 0x150, v3
	v_mov_b32_e32 v7, v3
	v_mov_b32_e32 v2, 0
	;; [unrolled: 1-line block ×3, first 2 shown]
	s_mov_b32 s5, 0
	.p2align	6
.LBB104_53:                             ; =>This Inner Loop Header: Depth=1
	s_clause 0x1
	buffer_load_dword v93, v7, s[0:3], 0 offen offset:4
	buffer_load_dword v94, v7, s[0:3], 0 offen
	ds_read_b64 v[91:92], v6
	v_add_nc_u32_e32 v5, 1, v5
	v_add_nc_u32_e32 v6, 8, v6
	;; [unrolled: 1-line block ×3, first 2 shown]
	v_cmp_lt_u32_e32 vcc_lo, 8, v5
	s_or_b32 s5, vcc_lo, s5
	s_waitcnt vmcnt(1) lgkmcnt(0)
	v_mul_f32_e32 v95, v92, v93
	v_mul_f32_e32 v93, v91, v93
	s_waitcnt vmcnt(0)
	v_fma_f32 v91, v91, v94, -v95
	v_fmac_f32_e32 v93, v92, v94
	v_add_f32_e32 v8, v8, v91
	v_add_f32_e32 v2, v2, v93
	s_andn2_b32 exec_lo, exec_lo, s5
	s_cbranch_execnz .LBB104_53
; %bb.54:
	s_or_b32 exec_lo, exec_lo, s5
	v_mov_b32_e32 v5, 0
	ds_read_b64 v[5:6], v5 offset:80
	s_waitcnt lgkmcnt(0)
	v_mul_f32_e32 v7, v2, v6
	v_mul_f32_e32 v6, v8, v6
	v_fma_f32 v7, v8, v5, -v7
	v_fmac_f32_e32 v6, v2, v5
	buffer_store_dword v7, off, s[0:3], 0 offset:80
	buffer_store_dword v6, off, s[0:3], 0 offset:84
.LBB104_55:
	s_or_b32 exec_lo, exec_lo, s4
	s_waitcnt_vscnt null, 0x0
	s_barrier
	buffer_gl0_inv
	s_clause 0x1
	buffer_load_dword v5, off, s[0:3], 0 offset:88
	buffer_load_dword v6, off, s[0:3], 0 offset:92
	s_mov_b32 s4, exec_lo
	s_waitcnt vmcnt(0)
	ds_write_b64 v4, v[5:6]
	s_waitcnt lgkmcnt(0)
	s_barrier
	buffer_gl0_inv
	v_cmpx_gt_u32_e32 11, v0
	s_cbranch_execz .LBB104_59
; %bb.56:
	v_add_nc_u32_e32 v5, -1, v0
	v_add_nc_u32_e32 v6, 0x150, v3
	v_mov_b32_e32 v7, v3
	v_mov_b32_e32 v2, 0
	;; [unrolled: 1-line block ×3, first 2 shown]
	s_mov_b32 s5, 0
	.p2align	6
.LBB104_57:                             ; =>This Inner Loop Header: Depth=1
	s_clause 0x1
	buffer_load_dword v93, v7, s[0:3], 0 offen offset:4
	buffer_load_dword v94, v7, s[0:3], 0 offen
	ds_read_b64 v[91:92], v6
	v_add_nc_u32_e32 v5, 1, v5
	v_add_nc_u32_e32 v6, 8, v6
	v_add_nc_u32_e32 v7, 8, v7
	v_cmp_lt_u32_e32 vcc_lo, 9, v5
	s_or_b32 s5, vcc_lo, s5
	s_waitcnt vmcnt(1) lgkmcnt(0)
	v_mul_f32_e32 v95, v92, v93
	v_mul_f32_e32 v93, v91, v93
	s_waitcnt vmcnt(0)
	v_fma_f32 v91, v91, v94, -v95
	v_fmac_f32_e32 v93, v92, v94
	v_add_f32_e32 v8, v8, v91
	v_add_f32_e32 v2, v2, v93
	s_andn2_b32 exec_lo, exec_lo, s5
	s_cbranch_execnz .LBB104_57
; %bb.58:
	s_or_b32 exec_lo, exec_lo, s5
	v_mov_b32_e32 v5, 0
	ds_read_b64 v[5:6], v5 offset:88
	s_waitcnt lgkmcnt(0)
	v_mul_f32_e32 v7, v2, v6
	v_mul_f32_e32 v6, v8, v6
	v_fma_f32 v7, v8, v5, -v7
	v_fmac_f32_e32 v6, v2, v5
	buffer_store_dword v7, off, s[0:3], 0 offset:88
	buffer_store_dword v6, off, s[0:3], 0 offset:92
.LBB104_59:
	s_or_b32 exec_lo, exec_lo, s4
	s_waitcnt_vscnt null, 0x0
	s_barrier
	buffer_gl0_inv
	s_clause 0x1
	buffer_load_dword v5, off, s[0:3], 0 offset:96
	buffer_load_dword v6, off, s[0:3], 0 offset:100
	s_mov_b32 s4, exec_lo
	s_waitcnt vmcnt(0)
	ds_write_b64 v4, v[5:6]
	s_waitcnt lgkmcnt(0)
	s_barrier
	buffer_gl0_inv
	v_cmpx_gt_u32_e32 12, v0
	s_cbranch_execz .LBB104_63
; %bb.60:
	v_add_nc_u32_e32 v5, -1, v0
	v_add_nc_u32_e32 v6, 0x150, v3
	v_mov_b32_e32 v7, v3
	v_mov_b32_e32 v2, 0
	;; [unrolled: 1-line block ×3, first 2 shown]
	s_mov_b32 s5, 0
	.p2align	6
.LBB104_61:                             ; =>This Inner Loop Header: Depth=1
	s_clause 0x1
	buffer_load_dword v93, v7, s[0:3], 0 offen offset:4
	buffer_load_dword v94, v7, s[0:3], 0 offen
	ds_read_b64 v[91:92], v6
	v_add_nc_u32_e32 v5, 1, v5
	v_add_nc_u32_e32 v6, 8, v6
	v_add_nc_u32_e32 v7, 8, v7
	v_cmp_lt_u32_e32 vcc_lo, 10, v5
	s_or_b32 s5, vcc_lo, s5
	s_waitcnt vmcnt(1) lgkmcnt(0)
	v_mul_f32_e32 v95, v92, v93
	v_mul_f32_e32 v93, v91, v93
	s_waitcnt vmcnt(0)
	v_fma_f32 v91, v91, v94, -v95
	v_fmac_f32_e32 v93, v92, v94
	v_add_f32_e32 v8, v8, v91
	v_add_f32_e32 v2, v2, v93
	s_andn2_b32 exec_lo, exec_lo, s5
	s_cbranch_execnz .LBB104_61
; %bb.62:
	s_or_b32 exec_lo, exec_lo, s5
	v_mov_b32_e32 v5, 0
	ds_read_b64 v[5:6], v5 offset:96
	s_waitcnt lgkmcnt(0)
	v_mul_f32_e32 v7, v2, v6
	v_mul_f32_e32 v6, v8, v6
	v_fma_f32 v7, v8, v5, -v7
	v_fmac_f32_e32 v6, v2, v5
	buffer_store_dword v7, off, s[0:3], 0 offset:96
	buffer_store_dword v6, off, s[0:3], 0 offset:100
.LBB104_63:
	s_or_b32 exec_lo, exec_lo, s4
	s_waitcnt_vscnt null, 0x0
	s_barrier
	buffer_gl0_inv
	s_clause 0x1
	buffer_load_dword v5, off, s[0:3], 0 offset:104
	buffer_load_dword v6, off, s[0:3], 0 offset:108
	s_mov_b32 s4, exec_lo
	s_waitcnt vmcnt(0)
	ds_write_b64 v4, v[5:6]
	s_waitcnt lgkmcnt(0)
	s_barrier
	buffer_gl0_inv
	v_cmpx_gt_u32_e32 13, v0
	s_cbranch_execz .LBB104_67
; %bb.64:
	v_add_nc_u32_e32 v5, -1, v0
	v_add_nc_u32_e32 v6, 0x150, v3
	v_mov_b32_e32 v7, v3
	v_mov_b32_e32 v2, 0
	;; [unrolled: 1-line block ×3, first 2 shown]
	s_mov_b32 s5, 0
	.p2align	6
.LBB104_65:                             ; =>This Inner Loop Header: Depth=1
	s_clause 0x1
	buffer_load_dword v93, v7, s[0:3], 0 offen offset:4
	buffer_load_dword v94, v7, s[0:3], 0 offen
	ds_read_b64 v[91:92], v6
	v_add_nc_u32_e32 v5, 1, v5
	v_add_nc_u32_e32 v6, 8, v6
	v_add_nc_u32_e32 v7, 8, v7
	v_cmp_lt_u32_e32 vcc_lo, 11, v5
	s_or_b32 s5, vcc_lo, s5
	s_waitcnt vmcnt(1) lgkmcnt(0)
	v_mul_f32_e32 v95, v92, v93
	v_mul_f32_e32 v93, v91, v93
	s_waitcnt vmcnt(0)
	v_fma_f32 v91, v91, v94, -v95
	v_fmac_f32_e32 v93, v92, v94
	v_add_f32_e32 v8, v8, v91
	v_add_f32_e32 v2, v2, v93
	s_andn2_b32 exec_lo, exec_lo, s5
	s_cbranch_execnz .LBB104_65
; %bb.66:
	s_or_b32 exec_lo, exec_lo, s5
	v_mov_b32_e32 v5, 0
	ds_read_b64 v[5:6], v5 offset:104
	s_waitcnt lgkmcnt(0)
	v_mul_f32_e32 v7, v2, v6
	v_mul_f32_e32 v6, v8, v6
	v_fma_f32 v7, v8, v5, -v7
	v_fmac_f32_e32 v6, v2, v5
	buffer_store_dword v7, off, s[0:3], 0 offset:104
	buffer_store_dword v6, off, s[0:3], 0 offset:108
.LBB104_67:
	s_or_b32 exec_lo, exec_lo, s4
	s_waitcnt_vscnt null, 0x0
	s_barrier
	buffer_gl0_inv
	s_clause 0x1
	buffer_load_dword v5, off, s[0:3], 0 offset:112
	buffer_load_dword v6, off, s[0:3], 0 offset:116
	s_mov_b32 s4, exec_lo
	s_waitcnt vmcnt(0)
	ds_write_b64 v4, v[5:6]
	s_waitcnt lgkmcnt(0)
	s_barrier
	buffer_gl0_inv
	v_cmpx_gt_u32_e32 14, v0
	s_cbranch_execz .LBB104_71
; %bb.68:
	v_add_nc_u32_e32 v5, -1, v0
	v_add_nc_u32_e32 v6, 0x150, v3
	v_mov_b32_e32 v7, v3
	v_mov_b32_e32 v2, 0
	;; [unrolled: 1-line block ×3, first 2 shown]
	s_mov_b32 s5, 0
	.p2align	6
.LBB104_69:                             ; =>This Inner Loop Header: Depth=1
	s_clause 0x1
	buffer_load_dword v93, v7, s[0:3], 0 offen offset:4
	buffer_load_dword v94, v7, s[0:3], 0 offen
	ds_read_b64 v[91:92], v6
	v_add_nc_u32_e32 v5, 1, v5
	v_add_nc_u32_e32 v6, 8, v6
	;; [unrolled: 1-line block ×3, first 2 shown]
	v_cmp_lt_u32_e32 vcc_lo, 12, v5
	s_or_b32 s5, vcc_lo, s5
	s_waitcnt vmcnt(1) lgkmcnt(0)
	v_mul_f32_e32 v95, v92, v93
	v_mul_f32_e32 v93, v91, v93
	s_waitcnt vmcnt(0)
	v_fma_f32 v91, v91, v94, -v95
	v_fmac_f32_e32 v93, v92, v94
	v_add_f32_e32 v8, v8, v91
	v_add_f32_e32 v2, v2, v93
	s_andn2_b32 exec_lo, exec_lo, s5
	s_cbranch_execnz .LBB104_69
; %bb.70:
	s_or_b32 exec_lo, exec_lo, s5
	v_mov_b32_e32 v5, 0
	ds_read_b64 v[5:6], v5 offset:112
	s_waitcnt lgkmcnt(0)
	v_mul_f32_e32 v7, v2, v6
	v_mul_f32_e32 v6, v8, v6
	v_fma_f32 v7, v8, v5, -v7
	v_fmac_f32_e32 v6, v2, v5
	buffer_store_dword v7, off, s[0:3], 0 offset:112
	buffer_store_dword v6, off, s[0:3], 0 offset:116
.LBB104_71:
	s_or_b32 exec_lo, exec_lo, s4
	s_waitcnt_vscnt null, 0x0
	s_barrier
	buffer_gl0_inv
	s_clause 0x1
	buffer_load_dword v5, off, s[0:3], 0 offset:120
	buffer_load_dword v6, off, s[0:3], 0 offset:124
	s_mov_b32 s4, exec_lo
	s_waitcnt vmcnt(0)
	ds_write_b64 v4, v[5:6]
	s_waitcnt lgkmcnt(0)
	s_barrier
	buffer_gl0_inv
	v_cmpx_gt_u32_e32 15, v0
	s_cbranch_execz .LBB104_75
; %bb.72:
	v_add_nc_u32_e32 v5, -1, v0
	v_add_nc_u32_e32 v6, 0x150, v3
	v_mov_b32_e32 v7, v3
	v_mov_b32_e32 v2, 0
	v_mov_b32_e32 v8, 0
	s_mov_b32 s5, 0
	.p2align	6
.LBB104_73:                             ; =>This Inner Loop Header: Depth=1
	s_clause 0x1
	buffer_load_dword v93, v7, s[0:3], 0 offen offset:4
	buffer_load_dword v94, v7, s[0:3], 0 offen
	ds_read_b64 v[91:92], v6
	v_add_nc_u32_e32 v5, 1, v5
	v_add_nc_u32_e32 v6, 8, v6
	;; [unrolled: 1-line block ×3, first 2 shown]
	v_cmp_lt_u32_e32 vcc_lo, 13, v5
	s_or_b32 s5, vcc_lo, s5
	s_waitcnt vmcnt(1) lgkmcnt(0)
	v_mul_f32_e32 v95, v92, v93
	v_mul_f32_e32 v93, v91, v93
	s_waitcnt vmcnt(0)
	v_fma_f32 v91, v91, v94, -v95
	v_fmac_f32_e32 v93, v92, v94
	v_add_f32_e32 v8, v8, v91
	v_add_f32_e32 v2, v2, v93
	s_andn2_b32 exec_lo, exec_lo, s5
	s_cbranch_execnz .LBB104_73
; %bb.74:
	s_or_b32 exec_lo, exec_lo, s5
	v_mov_b32_e32 v5, 0
	ds_read_b64 v[5:6], v5 offset:120
	s_waitcnt lgkmcnt(0)
	v_mul_f32_e32 v7, v2, v6
	v_mul_f32_e32 v6, v8, v6
	v_fma_f32 v7, v8, v5, -v7
	v_fmac_f32_e32 v6, v2, v5
	buffer_store_dword v7, off, s[0:3], 0 offset:120
	buffer_store_dword v6, off, s[0:3], 0 offset:124
.LBB104_75:
	s_or_b32 exec_lo, exec_lo, s4
	s_waitcnt_vscnt null, 0x0
	s_barrier
	buffer_gl0_inv
	s_clause 0x1
	buffer_load_dword v5, off, s[0:3], 0 offset:128
	buffer_load_dword v6, off, s[0:3], 0 offset:132
	s_mov_b32 s4, exec_lo
	s_waitcnt vmcnt(0)
	ds_write_b64 v4, v[5:6]
	s_waitcnt lgkmcnt(0)
	s_barrier
	buffer_gl0_inv
	v_cmpx_gt_u32_e32 16, v0
	s_cbranch_execz .LBB104_79
; %bb.76:
	v_add_nc_u32_e32 v5, -1, v0
	v_add_nc_u32_e32 v6, 0x150, v3
	v_mov_b32_e32 v7, v3
	v_mov_b32_e32 v2, 0
	;; [unrolled: 1-line block ×3, first 2 shown]
	s_mov_b32 s5, 0
	.p2align	6
.LBB104_77:                             ; =>This Inner Loop Header: Depth=1
	s_clause 0x1
	buffer_load_dword v93, v7, s[0:3], 0 offen offset:4
	buffer_load_dword v94, v7, s[0:3], 0 offen
	ds_read_b64 v[91:92], v6
	v_add_nc_u32_e32 v5, 1, v5
	v_add_nc_u32_e32 v6, 8, v6
	;; [unrolled: 1-line block ×3, first 2 shown]
	v_cmp_lt_u32_e32 vcc_lo, 14, v5
	s_or_b32 s5, vcc_lo, s5
	s_waitcnt vmcnt(1) lgkmcnt(0)
	v_mul_f32_e32 v95, v92, v93
	v_mul_f32_e32 v93, v91, v93
	s_waitcnt vmcnt(0)
	v_fma_f32 v91, v91, v94, -v95
	v_fmac_f32_e32 v93, v92, v94
	v_add_f32_e32 v8, v8, v91
	v_add_f32_e32 v2, v2, v93
	s_andn2_b32 exec_lo, exec_lo, s5
	s_cbranch_execnz .LBB104_77
; %bb.78:
	s_or_b32 exec_lo, exec_lo, s5
	v_mov_b32_e32 v5, 0
	ds_read_b64 v[5:6], v5 offset:128
	s_waitcnt lgkmcnt(0)
	v_mul_f32_e32 v7, v2, v6
	v_mul_f32_e32 v6, v8, v6
	v_fma_f32 v7, v8, v5, -v7
	v_fmac_f32_e32 v6, v2, v5
	buffer_store_dword v7, off, s[0:3], 0 offset:128
	buffer_store_dword v6, off, s[0:3], 0 offset:132
.LBB104_79:
	s_or_b32 exec_lo, exec_lo, s4
	s_waitcnt_vscnt null, 0x0
	s_barrier
	buffer_gl0_inv
	s_clause 0x1
	buffer_load_dword v5, off, s[0:3], 0 offset:136
	buffer_load_dword v6, off, s[0:3], 0 offset:140
	s_mov_b32 s4, exec_lo
	s_waitcnt vmcnt(0)
	ds_write_b64 v4, v[5:6]
	s_waitcnt lgkmcnt(0)
	s_barrier
	buffer_gl0_inv
	v_cmpx_gt_u32_e32 17, v0
	s_cbranch_execz .LBB104_83
; %bb.80:
	v_add_nc_u32_e32 v5, -1, v0
	v_add_nc_u32_e32 v6, 0x150, v3
	v_mov_b32_e32 v7, v3
	v_mov_b32_e32 v2, 0
	;; [unrolled: 1-line block ×3, first 2 shown]
	s_mov_b32 s5, 0
	.p2align	6
.LBB104_81:                             ; =>This Inner Loop Header: Depth=1
	s_clause 0x1
	buffer_load_dword v93, v7, s[0:3], 0 offen offset:4
	buffer_load_dword v94, v7, s[0:3], 0 offen
	ds_read_b64 v[91:92], v6
	v_add_nc_u32_e32 v5, 1, v5
	v_add_nc_u32_e32 v6, 8, v6
	;; [unrolled: 1-line block ×3, first 2 shown]
	v_cmp_lt_u32_e32 vcc_lo, 15, v5
	s_or_b32 s5, vcc_lo, s5
	s_waitcnt vmcnt(1) lgkmcnt(0)
	v_mul_f32_e32 v95, v92, v93
	v_mul_f32_e32 v93, v91, v93
	s_waitcnt vmcnt(0)
	v_fma_f32 v91, v91, v94, -v95
	v_fmac_f32_e32 v93, v92, v94
	v_add_f32_e32 v8, v8, v91
	v_add_f32_e32 v2, v2, v93
	s_andn2_b32 exec_lo, exec_lo, s5
	s_cbranch_execnz .LBB104_81
; %bb.82:
	s_or_b32 exec_lo, exec_lo, s5
	v_mov_b32_e32 v5, 0
	ds_read_b64 v[5:6], v5 offset:136
	s_waitcnt lgkmcnt(0)
	v_mul_f32_e32 v7, v2, v6
	v_mul_f32_e32 v6, v8, v6
	v_fma_f32 v7, v8, v5, -v7
	v_fmac_f32_e32 v6, v2, v5
	buffer_store_dword v7, off, s[0:3], 0 offset:136
	buffer_store_dword v6, off, s[0:3], 0 offset:140
.LBB104_83:
	s_or_b32 exec_lo, exec_lo, s4
	s_waitcnt_vscnt null, 0x0
	s_barrier
	buffer_gl0_inv
	s_clause 0x1
	buffer_load_dword v5, off, s[0:3], 0 offset:144
	buffer_load_dword v6, off, s[0:3], 0 offset:148
	s_mov_b32 s4, exec_lo
	s_waitcnt vmcnt(0)
	ds_write_b64 v4, v[5:6]
	s_waitcnt lgkmcnt(0)
	s_barrier
	buffer_gl0_inv
	v_cmpx_gt_u32_e32 18, v0
	s_cbranch_execz .LBB104_87
; %bb.84:
	v_add_nc_u32_e32 v5, -1, v0
	v_add_nc_u32_e32 v6, 0x150, v3
	v_mov_b32_e32 v7, v3
	v_mov_b32_e32 v2, 0
	;; [unrolled: 1-line block ×3, first 2 shown]
	s_mov_b32 s5, 0
	.p2align	6
.LBB104_85:                             ; =>This Inner Loop Header: Depth=1
	s_clause 0x1
	buffer_load_dword v93, v7, s[0:3], 0 offen offset:4
	buffer_load_dword v94, v7, s[0:3], 0 offen
	ds_read_b64 v[91:92], v6
	v_add_nc_u32_e32 v5, 1, v5
	v_add_nc_u32_e32 v6, 8, v6
	;; [unrolled: 1-line block ×3, first 2 shown]
	v_cmp_lt_u32_e32 vcc_lo, 16, v5
	s_or_b32 s5, vcc_lo, s5
	s_waitcnt vmcnt(1) lgkmcnt(0)
	v_mul_f32_e32 v95, v92, v93
	v_mul_f32_e32 v93, v91, v93
	s_waitcnt vmcnt(0)
	v_fma_f32 v91, v91, v94, -v95
	v_fmac_f32_e32 v93, v92, v94
	v_add_f32_e32 v8, v8, v91
	v_add_f32_e32 v2, v2, v93
	s_andn2_b32 exec_lo, exec_lo, s5
	s_cbranch_execnz .LBB104_85
; %bb.86:
	s_or_b32 exec_lo, exec_lo, s5
	v_mov_b32_e32 v5, 0
	ds_read_b64 v[5:6], v5 offset:144
	s_waitcnt lgkmcnt(0)
	v_mul_f32_e32 v7, v2, v6
	v_mul_f32_e32 v6, v8, v6
	v_fma_f32 v7, v8, v5, -v7
	v_fmac_f32_e32 v6, v2, v5
	buffer_store_dword v7, off, s[0:3], 0 offset:144
	buffer_store_dword v6, off, s[0:3], 0 offset:148
.LBB104_87:
	s_or_b32 exec_lo, exec_lo, s4
	s_waitcnt_vscnt null, 0x0
	s_barrier
	buffer_gl0_inv
	s_clause 0x1
	buffer_load_dword v5, off, s[0:3], 0 offset:152
	buffer_load_dword v6, off, s[0:3], 0 offset:156
	s_mov_b32 s4, exec_lo
	s_waitcnt vmcnt(0)
	ds_write_b64 v4, v[5:6]
	s_waitcnt lgkmcnt(0)
	s_barrier
	buffer_gl0_inv
	v_cmpx_gt_u32_e32 19, v0
	s_cbranch_execz .LBB104_91
; %bb.88:
	v_add_nc_u32_e32 v5, -1, v0
	v_add_nc_u32_e32 v6, 0x150, v3
	v_mov_b32_e32 v7, v3
	v_mov_b32_e32 v2, 0
	v_mov_b32_e32 v8, 0
	s_mov_b32 s5, 0
	.p2align	6
.LBB104_89:                             ; =>This Inner Loop Header: Depth=1
	s_clause 0x1
	buffer_load_dword v93, v7, s[0:3], 0 offen offset:4
	buffer_load_dword v94, v7, s[0:3], 0 offen
	ds_read_b64 v[91:92], v6
	v_add_nc_u32_e32 v5, 1, v5
	v_add_nc_u32_e32 v6, 8, v6
	;; [unrolled: 1-line block ×3, first 2 shown]
	v_cmp_lt_u32_e32 vcc_lo, 17, v5
	s_or_b32 s5, vcc_lo, s5
	s_waitcnt vmcnt(1) lgkmcnt(0)
	v_mul_f32_e32 v95, v92, v93
	v_mul_f32_e32 v93, v91, v93
	s_waitcnt vmcnt(0)
	v_fma_f32 v91, v91, v94, -v95
	v_fmac_f32_e32 v93, v92, v94
	v_add_f32_e32 v8, v8, v91
	v_add_f32_e32 v2, v2, v93
	s_andn2_b32 exec_lo, exec_lo, s5
	s_cbranch_execnz .LBB104_89
; %bb.90:
	s_or_b32 exec_lo, exec_lo, s5
	v_mov_b32_e32 v5, 0
	ds_read_b64 v[5:6], v5 offset:152
	s_waitcnt lgkmcnt(0)
	v_mul_f32_e32 v7, v2, v6
	v_mul_f32_e32 v6, v8, v6
	v_fma_f32 v7, v8, v5, -v7
	v_fmac_f32_e32 v6, v2, v5
	buffer_store_dword v7, off, s[0:3], 0 offset:152
	buffer_store_dword v6, off, s[0:3], 0 offset:156
.LBB104_91:
	s_or_b32 exec_lo, exec_lo, s4
	s_waitcnt_vscnt null, 0x0
	s_barrier
	buffer_gl0_inv
	s_clause 0x1
	buffer_load_dword v5, off, s[0:3], 0 offset:160
	buffer_load_dword v6, off, s[0:3], 0 offset:164
	s_mov_b32 s4, exec_lo
	s_waitcnt vmcnt(0)
	ds_write_b64 v4, v[5:6]
	s_waitcnt lgkmcnt(0)
	s_barrier
	buffer_gl0_inv
	v_cmpx_gt_u32_e32 20, v0
	s_cbranch_execz .LBB104_95
; %bb.92:
	v_add_nc_u32_e32 v5, -1, v0
	v_add_nc_u32_e32 v6, 0x150, v3
	v_mov_b32_e32 v7, v3
	v_mov_b32_e32 v2, 0
	;; [unrolled: 1-line block ×3, first 2 shown]
	s_mov_b32 s5, 0
	.p2align	6
.LBB104_93:                             ; =>This Inner Loop Header: Depth=1
	s_clause 0x1
	buffer_load_dword v93, v7, s[0:3], 0 offen offset:4
	buffer_load_dword v94, v7, s[0:3], 0 offen
	ds_read_b64 v[91:92], v6
	v_add_nc_u32_e32 v5, 1, v5
	v_add_nc_u32_e32 v6, 8, v6
	;; [unrolled: 1-line block ×3, first 2 shown]
	v_cmp_lt_u32_e32 vcc_lo, 18, v5
	s_or_b32 s5, vcc_lo, s5
	s_waitcnt vmcnt(1) lgkmcnt(0)
	v_mul_f32_e32 v95, v92, v93
	v_mul_f32_e32 v93, v91, v93
	s_waitcnt vmcnt(0)
	v_fma_f32 v91, v91, v94, -v95
	v_fmac_f32_e32 v93, v92, v94
	v_add_f32_e32 v8, v8, v91
	v_add_f32_e32 v2, v2, v93
	s_andn2_b32 exec_lo, exec_lo, s5
	s_cbranch_execnz .LBB104_93
; %bb.94:
	s_or_b32 exec_lo, exec_lo, s5
	v_mov_b32_e32 v5, 0
	ds_read_b64 v[5:6], v5 offset:160
	s_waitcnt lgkmcnt(0)
	v_mul_f32_e32 v7, v2, v6
	v_mul_f32_e32 v6, v8, v6
	v_fma_f32 v7, v8, v5, -v7
	v_fmac_f32_e32 v6, v2, v5
	buffer_store_dword v7, off, s[0:3], 0 offset:160
	buffer_store_dword v6, off, s[0:3], 0 offset:164
.LBB104_95:
	s_or_b32 exec_lo, exec_lo, s4
	s_waitcnt_vscnt null, 0x0
	s_barrier
	buffer_gl0_inv
	s_clause 0x1
	buffer_load_dword v5, off, s[0:3], 0 offset:168
	buffer_load_dword v6, off, s[0:3], 0 offset:172
	s_mov_b32 s4, exec_lo
	s_waitcnt vmcnt(0)
	ds_write_b64 v4, v[5:6]
	s_waitcnt lgkmcnt(0)
	s_barrier
	buffer_gl0_inv
	v_cmpx_gt_u32_e32 21, v0
	s_cbranch_execz .LBB104_99
; %bb.96:
	v_add_nc_u32_e32 v5, -1, v0
	v_add_nc_u32_e32 v6, 0x150, v3
	v_mov_b32_e32 v7, v3
	v_mov_b32_e32 v2, 0
	;; [unrolled: 1-line block ×3, first 2 shown]
	s_mov_b32 s5, 0
	.p2align	6
.LBB104_97:                             ; =>This Inner Loop Header: Depth=1
	s_clause 0x1
	buffer_load_dword v93, v7, s[0:3], 0 offen offset:4
	buffer_load_dword v94, v7, s[0:3], 0 offen
	ds_read_b64 v[91:92], v6
	v_add_nc_u32_e32 v5, 1, v5
	v_add_nc_u32_e32 v6, 8, v6
	;; [unrolled: 1-line block ×3, first 2 shown]
	v_cmp_lt_u32_e32 vcc_lo, 19, v5
	s_or_b32 s5, vcc_lo, s5
	s_waitcnt vmcnt(1) lgkmcnt(0)
	v_mul_f32_e32 v95, v92, v93
	v_mul_f32_e32 v93, v91, v93
	s_waitcnt vmcnt(0)
	v_fma_f32 v91, v91, v94, -v95
	v_fmac_f32_e32 v93, v92, v94
	v_add_f32_e32 v8, v8, v91
	v_add_f32_e32 v2, v2, v93
	s_andn2_b32 exec_lo, exec_lo, s5
	s_cbranch_execnz .LBB104_97
; %bb.98:
	s_or_b32 exec_lo, exec_lo, s5
	v_mov_b32_e32 v5, 0
	ds_read_b64 v[5:6], v5 offset:168
	s_waitcnt lgkmcnt(0)
	v_mul_f32_e32 v7, v2, v6
	v_mul_f32_e32 v6, v8, v6
	v_fma_f32 v7, v8, v5, -v7
	v_fmac_f32_e32 v6, v2, v5
	buffer_store_dword v7, off, s[0:3], 0 offset:168
	buffer_store_dword v6, off, s[0:3], 0 offset:172
.LBB104_99:
	s_or_b32 exec_lo, exec_lo, s4
	s_waitcnt_vscnt null, 0x0
	s_barrier
	buffer_gl0_inv
	s_clause 0x1
	buffer_load_dword v5, off, s[0:3], 0 offset:176
	buffer_load_dword v6, off, s[0:3], 0 offset:180
	s_mov_b32 s4, exec_lo
	s_waitcnt vmcnt(0)
	ds_write_b64 v4, v[5:6]
	s_waitcnt lgkmcnt(0)
	s_barrier
	buffer_gl0_inv
	v_cmpx_gt_u32_e32 22, v0
	s_cbranch_execz .LBB104_103
; %bb.100:
	v_add_nc_u32_e32 v5, -1, v0
	v_add_nc_u32_e32 v6, 0x150, v3
	v_mov_b32_e32 v7, v3
	v_mov_b32_e32 v2, 0
	;; [unrolled: 1-line block ×3, first 2 shown]
	s_mov_b32 s5, 0
	.p2align	6
.LBB104_101:                            ; =>This Inner Loop Header: Depth=1
	s_clause 0x1
	buffer_load_dword v93, v7, s[0:3], 0 offen offset:4
	buffer_load_dword v94, v7, s[0:3], 0 offen
	ds_read_b64 v[91:92], v6
	v_add_nc_u32_e32 v5, 1, v5
	v_add_nc_u32_e32 v6, 8, v6
	;; [unrolled: 1-line block ×3, first 2 shown]
	v_cmp_lt_u32_e32 vcc_lo, 20, v5
	s_or_b32 s5, vcc_lo, s5
	s_waitcnt vmcnt(1) lgkmcnt(0)
	v_mul_f32_e32 v95, v92, v93
	v_mul_f32_e32 v93, v91, v93
	s_waitcnt vmcnt(0)
	v_fma_f32 v91, v91, v94, -v95
	v_fmac_f32_e32 v93, v92, v94
	v_add_f32_e32 v8, v8, v91
	v_add_f32_e32 v2, v2, v93
	s_andn2_b32 exec_lo, exec_lo, s5
	s_cbranch_execnz .LBB104_101
; %bb.102:
	s_or_b32 exec_lo, exec_lo, s5
	v_mov_b32_e32 v5, 0
	ds_read_b64 v[5:6], v5 offset:176
	s_waitcnt lgkmcnt(0)
	v_mul_f32_e32 v7, v2, v6
	v_mul_f32_e32 v6, v8, v6
	v_fma_f32 v7, v8, v5, -v7
	v_fmac_f32_e32 v6, v2, v5
	buffer_store_dword v7, off, s[0:3], 0 offset:176
	buffer_store_dword v6, off, s[0:3], 0 offset:180
.LBB104_103:
	s_or_b32 exec_lo, exec_lo, s4
	s_waitcnt_vscnt null, 0x0
	s_barrier
	buffer_gl0_inv
	s_clause 0x1
	buffer_load_dword v5, off, s[0:3], 0 offset:184
	buffer_load_dword v6, off, s[0:3], 0 offset:188
	s_mov_b32 s4, exec_lo
	s_waitcnt vmcnt(0)
	ds_write_b64 v4, v[5:6]
	s_waitcnt lgkmcnt(0)
	s_barrier
	buffer_gl0_inv
	v_cmpx_gt_u32_e32 23, v0
	s_cbranch_execz .LBB104_107
; %bb.104:
	v_add_nc_u32_e32 v5, -1, v0
	v_add_nc_u32_e32 v6, 0x150, v3
	v_mov_b32_e32 v7, v3
	v_mov_b32_e32 v2, 0
	;; [unrolled: 1-line block ×3, first 2 shown]
	s_mov_b32 s5, 0
	.p2align	6
.LBB104_105:                            ; =>This Inner Loop Header: Depth=1
	s_clause 0x1
	buffer_load_dword v93, v7, s[0:3], 0 offen offset:4
	buffer_load_dword v94, v7, s[0:3], 0 offen
	ds_read_b64 v[91:92], v6
	v_add_nc_u32_e32 v5, 1, v5
	v_add_nc_u32_e32 v6, 8, v6
	v_add_nc_u32_e32 v7, 8, v7
	v_cmp_lt_u32_e32 vcc_lo, 21, v5
	s_or_b32 s5, vcc_lo, s5
	s_waitcnt vmcnt(1) lgkmcnt(0)
	v_mul_f32_e32 v95, v92, v93
	v_mul_f32_e32 v93, v91, v93
	s_waitcnt vmcnt(0)
	v_fma_f32 v91, v91, v94, -v95
	v_fmac_f32_e32 v93, v92, v94
	v_add_f32_e32 v8, v8, v91
	v_add_f32_e32 v2, v2, v93
	s_andn2_b32 exec_lo, exec_lo, s5
	s_cbranch_execnz .LBB104_105
; %bb.106:
	s_or_b32 exec_lo, exec_lo, s5
	v_mov_b32_e32 v5, 0
	ds_read_b64 v[5:6], v5 offset:184
	s_waitcnt lgkmcnt(0)
	v_mul_f32_e32 v7, v2, v6
	v_mul_f32_e32 v6, v8, v6
	v_fma_f32 v7, v8, v5, -v7
	v_fmac_f32_e32 v6, v2, v5
	buffer_store_dword v7, off, s[0:3], 0 offset:184
	buffer_store_dword v6, off, s[0:3], 0 offset:188
.LBB104_107:
	s_or_b32 exec_lo, exec_lo, s4
	s_waitcnt_vscnt null, 0x0
	s_barrier
	buffer_gl0_inv
	s_clause 0x1
	buffer_load_dword v5, off, s[0:3], 0 offset:192
	buffer_load_dword v6, off, s[0:3], 0 offset:196
	s_mov_b32 s4, exec_lo
	s_waitcnt vmcnt(0)
	ds_write_b64 v4, v[5:6]
	s_waitcnt lgkmcnt(0)
	s_barrier
	buffer_gl0_inv
	v_cmpx_gt_u32_e32 24, v0
	s_cbranch_execz .LBB104_111
; %bb.108:
	v_add_nc_u32_e32 v5, -1, v0
	v_add_nc_u32_e32 v6, 0x150, v3
	v_mov_b32_e32 v7, v3
	v_mov_b32_e32 v2, 0
	v_mov_b32_e32 v8, 0
	s_mov_b32 s5, 0
	.p2align	6
.LBB104_109:                            ; =>This Inner Loop Header: Depth=1
	s_clause 0x1
	buffer_load_dword v93, v7, s[0:3], 0 offen offset:4
	buffer_load_dword v94, v7, s[0:3], 0 offen
	ds_read_b64 v[91:92], v6
	v_add_nc_u32_e32 v5, 1, v5
	v_add_nc_u32_e32 v6, 8, v6
	;; [unrolled: 1-line block ×3, first 2 shown]
	v_cmp_lt_u32_e32 vcc_lo, 22, v5
	s_or_b32 s5, vcc_lo, s5
	s_waitcnt vmcnt(1) lgkmcnt(0)
	v_mul_f32_e32 v95, v92, v93
	v_mul_f32_e32 v93, v91, v93
	s_waitcnt vmcnt(0)
	v_fma_f32 v91, v91, v94, -v95
	v_fmac_f32_e32 v93, v92, v94
	v_add_f32_e32 v8, v8, v91
	v_add_f32_e32 v2, v2, v93
	s_andn2_b32 exec_lo, exec_lo, s5
	s_cbranch_execnz .LBB104_109
; %bb.110:
	s_or_b32 exec_lo, exec_lo, s5
	v_mov_b32_e32 v5, 0
	ds_read_b64 v[5:6], v5 offset:192
	s_waitcnt lgkmcnt(0)
	v_mul_f32_e32 v7, v2, v6
	v_mul_f32_e32 v6, v8, v6
	v_fma_f32 v7, v8, v5, -v7
	v_fmac_f32_e32 v6, v2, v5
	buffer_store_dword v7, off, s[0:3], 0 offset:192
	buffer_store_dword v6, off, s[0:3], 0 offset:196
.LBB104_111:
	s_or_b32 exec_lo, exec_lo, s4
	s_waitcnt_vscnt null, 0x0
	s_barrier
	buffer_gl0_inv
	s_clause 0x1
	buffer_load_dword v5, off, s[0:3], 0 offset:200
	buffer_load_dword v6, off, s[0:3], 0 offset:204
	s_mov_b32 s4, exec_lo
	s_waitcnt vmcnt(0)
	ds_write_b64 v4, v[5:6]
	s_waitcnt lgkmcnt(0)
	s_barrier
	buffer_gl0_inv
	v_cmpx_gt_u32_e32 25, v0
	s_cbranch_execz .LBB104_115
; %bb.112:
	v_add_nc_u32_e32 v5, -1, v0
	v_add_nc_u32_e32 v6, 0x150, v3
	v_mov_b32_e32 v7, v3
	v_mov_b32_e32 v2, 0
	;; [unrolled: 1-line block ×3, first 2 shown]
	s_mov_b32 s5, 0
	.p2align	6
.LBB104_113:                            ; =>This Inner Loop Header: Depth=1
	s_clause 0x1
	buffer_load_dword v93, v7, s[0:3], 0 offen offset:4
	buffer_load_dword v94, v7, s[0:3], 0 offen
	ds_read_b64 v[91:92], v6
	v_add_nc_u32_e32 v5, 1, v5
	v_add_nc_u32_e32 v6, 8, v6
	v_add_nc_u32_e32 v7, 8, v7
	v_cmp_lt_u32_e32 vcc_lo, 23, v5
	s_or_b32 s5, vcc_lo, s5
	s_waitcnt vmcnt(1) lgkmcnt(0)
	v_mul_f32_e32 v95, v92, v93
	v_mul_f32_e32 v93, v91, v93
	s_waitcnt vmcnt(0)
	v_fma_f32 v91, v91, v94, -v95
	v_fmac_f32_e32 v93, v92, v94
	v_add_f32_e32 v8, v8, v91
	v_add_f32_e32 v2, v2, v93
	s_andn2_b32 exec_lo, exec_lo, s5
	s_cbranch_execnz .LBB104_113
; %bb.114:
	s_or_b32 exec_lo, exec_lo, s5
	v_mov_b32_e32 v5, 0
	ds_read_b64 v[5:6], v5 offset:200
	s_waitcnt lgkmcnt(0)
	v_mul_f32_e32 v7, v2, v6
	v_mul_f32_e32 v6, v8, v6
	v_fma_f32 v7, v8, v5, -v7
	v_fmac_f32_e32 v6, v2, v5
	buffer_store_dword v7, off, s[0:3], 0 offset:200
	buffer_store_dword v6, off, s[0:3], 0 offset:204
.LBB104_115:
	s_or_b32 exec_lo, exec_lo, s4
	s_waitcnt_vscnt null, 0x0
	s_barrier
	buffer_gl0_inv
	s_clause 0x1
	buffer_load_dword v5, off, s[0:3], 0 offset:208
	buffer_load_dword v6, off, s[0:3], 0 offset:212
	s_mov_b32 s4, exec_lo
	s_waitcnt vmcnt(0)
	ds_write_b64 v4, v[5:6]
	s_waitcnt lgkmcnt(0)
	s_barrier
	buffer_gl0_inv
	v_cmpx_gt_u32_e32 26, v0
	s_cbranch_execz .LBB104_119
; %bb.116:
	v_add_nc_u32_e32 v5, -1, v0
	v_add_nc_u32_e32 v6, 0x150, v3
	v_mov_b32_e32 v7, v3
	v_mov_b32_e32 v2, 0
	;; [unrolled: 1-line block ×3, first 2 shown]
	s_mov_b32 s5, 0
	.p2align	6
.LBB104_117:                            ; =>This Inner Loop Header: Depth=1
	s_clause 0x1
	buffer_load_dword v93, v7, s[0:3], 0 offen offset:4
	buffer_load_dword v94, v7, s[0:3], 0 offen
	ds_read_b64 v[91:92], v6
	v_add_nc_u32_e32 v5, 1, v5
	v_add_nc_u32_e32 v6, 8, v6
	;; [unrolled: 1-line block ×3, first 2 shown]
	v_cmp_lt_u32_e32 vcc_lo, 24, v5
	s_or_b32 s5, vcc_lo, s5
	s_waitcnt vmcnt(1) lgkmcnt(0)
	v_mul_f32_e32 v95, v92, v93
	v_mul_f32_e32 v93, v91, v93
	s_waitcnt vmcnt(0)
	v_fma_f32 v91, v91, v94, -v95
	v_fmac_f32_e32 v93, v92, v94
	v_add_f32_e32 v8, v8, v91
	v_add_f32_e32 v2, v2, v93
	s_andn2_b32 exec_lo, exec_lo, s5
	s_cbranch_execnz .LBB104_117
; %bb.118:
	s_or_b32 exec_lo, exec_lo, s5
	v_mov_b32_e32 v5, 0
	ds_read_b64 v[5:6], v5 offset:208
	s_waitcnt lgkmcnt(0)
	v_mul_f32_e32 v7, v2, v6
	v_mul_f32_e32 v6, v8, v6
	v_fma_f32 v7, v8, v5, -v7
	v_fmac_f32_e32 v6, v2, v5
	buffer_store_dword v7, off, s[0:3], 0 offset:208
	buffer_store_dword v6, off, s[0:3], 0 offset:212
.LBB104_119:
	s_or_b32 exec_lo, exec_lo, s4
	s_waitcnt_vscnt null, 0x0
	s_barrier
	buffer_gl0_inv
	s_clause 0x1
	buffer_load_dword v5, off, s[0:3], 0 offset:216
	buffer_load_dword v6, off, s[0:3], 0 offset:220
	s_mov_b32 s4, exec_lo
	s_waitcnt vmcnt(0)
	ds_write_b64 v4, v[5:6]
	s_waitcnt lgkmcnt(0)
	s_barrier
	buffer_gl0_inv
	v_cmpx_gt_u32_e32 27, v0
	s_cbranch_execz .LBB104_123
; %bb.120:
	v_add_nc_u32_e32 v5, -1, v0
	v_add_nc_u32_e32 v6, 0x150, v3
	v_mov_b32_e32 v7, v3
	v_mov_b32_e32 v2, 0
	;; [unrolled: 1-line block ×3, first 2 shown]
	s_mov_b32 s5, 0
	.p2align	6
.LBB104_121:                            ; =>This Inner Loop Header: Depth=1
	s_clause 0x1
	buffer_load_dword v93, v7, s[0:3], 0 offen offset:4
	buffer_load_dword v94, v7, s[0:3], 0 offen
	ds_read_b64 v[91:92], v6
	v_add_nc_u32_e32 v5, 1, v5
	v_add_nc_u32_e32 v6, 8, v6
	v_add_nc_u32_e32 v7, 8, v7
	v_cmp_lt_u32_e32 vcc_lo, 25, v5
	s_or_b32 s5, vcc_lo, s5
	s_waitcnt vmcnt(1) lgkmcnt(0)
	v_mul_f32_e32 v95, v92, v93
	v_mul_f32_e32 v93, v91, v93
	s_waitcnt vmcnt(0)
	v_fma_f32 v91, v91, v94, -v95
	v_fmac_f32_e32 v93, v92, v94
	v_add_f32_e32 v8, v8, v91
	v_add_f32_e32 v2, v2, v93
	s_andn2_b32 exec_lo, exec_lo, s5
	s_cbranch_execnz .LBB104_121
; %bb.122:
	s_or_b32 exec_lo, exec_lo, s5
	v_mov_b32_e32 v5, 0
	ds_read_b64 v[5:6], v5 offset:216
	s_waitcnt lgkmcnt(0)
	v_mul_f32_e32 v7, v2, v6
	v_mul_f32_e32 v6, v8, v6
	v_fma_f32 v7, v8, v5, -v7
	v_fmac_f32_e32 v6, v2, v5
	buffer_store_dword v7, off, s[0:3], 0 offset:216
	buffer_store_dword v6, off, s[0:3], 0 offset:220
.LBB104_123:
	s_or_b32 exec_lo, exec_lo, s4
	s_waitcnt_vscnt null, 0x0
	s_barrier
	buffer_gl0_inv
	s_clause 0x1
	buffer_load_dword v5, off, s[0:3], 0 offset:224
	buffer_load_dword v6, off, s[0:3], 0 offset:228
	s_mov_b32 s4, exec_lo
	s_waitcnt vmcnt(0)
	ds_write_b64 v4, v[5:6]
	s_waitcnt lgkmcnt(0)
	s_barrier
	buffer_gl0_inv
	v_cmpx_gt_u32_e32 28, v0
	s_cbranch_execz .LBB104_127
; %bb.124:
	v_add_nc_u32_e32 v5, -1, v0
	v_add_nc_u32_e32 v6, 0x150, v3
	v_mov_b32_e32 v7, v3
	v_mov_b32_e32 v2, 0
	;; [unrolled: 1-line block ×3, first 2 shown]
	s_mov_b32 s5, 0
	.p2align	6
.LBB104_125:                            ; =>This Inner Loop Header: Depth=1
	s_clause 0x1
	buffer_load_dword v93, v7, s[0:3], 0 offen offset:4
	buffer_load_dword v94, v7, s[0:3], 0 offen
	ds_read_b64 v[91:92], v6
	v_add_nc_u32_e32 v5, 1, v5
	v_add_nc_u32_e32 v6, 8, v6
	v_add_nc_u32_e32 v7, 8, v7
	v_cmp_lt_u32_e32 vcc_lo, 26, v5
	s_or_b32 s5, vcc_lo, s5
	s_waitcnt vmcnt(1) lgkmcnt(0)
	v_mul_f32_e32 v95, v92, v93
	v_mul_f32_e32 v93, v91, v93
	s_waitcnt vmcnt(0)
	v_fma_f32 v91, v91, v94, -v95
	v_fmac_f32_e32 v93, v92, v94
	v_add_f32_e32 v8, v8, v91
	v_add_f32_e32 v2, v2, v93
	s_andn2_b32 exec_lo, exec_lo, s5
	s_cbranch_execnz .LBB104_125
; %bb.126:
	s_or_b32 exec_lo, exec_lo, s5
	v_mov_b32_e32 v5, 0
	ds_read_b64 v[5:6], v5 offset:224
	s_waitcnt lgkmcnt(0)
	v_mul_f32_e32 v7, v2, v6
	v_mul_f32_e32 v6, v8, v6
	v_fma_f32 v7, v8, v5, -v7
	v_fmac_f32_e32 v6, v2, v5
	buffer_store_dword v7, off, s[0:3], 0 offset:224
	buffer_store_dword v6, off, s[0:3], 0 offset:228
.LBB104_127:
	s_or_b32 exec_lo, exec_lo, s4
	s_waitcnt_vscnt null, 0x0
	s_barrier
	buffer_gl0_inv
	s_clause 0x1
	buffer_load_dword v5, off, s[0:3], 0 offset:232
	buffer_load_dword v6, off, s[0:3], 0 offset:236
	s_mov_b32 s4, exec_lo
	s_waitcnt vmcnt(0)
	ds_write_b64 v4, v[5:6]
	s_waitcnt lgkmcnt(0)
	s_barrier
	buffer_gl0_inv
	v_cmpx_gt_u32_e32 29, v0
	s_cbranch_execz .LBB104_131
; %bb.128:
	v_add_nc_u32_e32 v5, -1, v0
	v_add_nc_u32_e32 v6, 0x150, v3
	v_mov_b32_e32 v7, v3
	v_mov_b32_e32 v2, 0
	;; [unrolled: 1-line block ×3, first 2 shown]
	s_mov_b32 s5, 0
	.p2align	6
.LBB104_129:                            ; =>This Inner Loop Header: Depth=1
	s_clause 0x1
	buffer_load_dword v93, v7, s[0:3], 0 offen offset:4
	buffer_load_dword v94, v7, s[0:3], 0 offen
	ds_read_b64 v[91:92], v6
	v_add_nc_u32_e32 v5, 1, v5
	v_add_nc_u32_e32 v6, 8, v6
	;; [unrolled: 1-line block ×3, first 2 shown]
	v_cmp_lt_u32_e32 vcc_lo, 27, v5
	s_or_b32 s5, vcc_lo, s5
	s_waitcnt vmcnt(1) lgkmcnt(0)
	v_mul_f32_e32 v95, v92, v93
	v_mul_f32_e32 v93, v91, v93
	s_waitcnt vmcnt(0)
	v_fma_f32 v91, v91, v94, -v95
	v_fmac_f32_e32 v93, v92, v94
	v_add_f32_e32 v8, v8, v91
	v_add_f32_e32 v2, v2, v93
	s_andn2_b32 exec_lo, exec_lo, s5
	s_cbranch_execnz .LBB104_129
; %bb.130:
	s_or_b32 exec_lo, exec_lo, s5
	v_mov_b32_e32 v5, 0
	ds_read_b64 v[5:6], v5 offset:232
	s_waitcnt lgkmcnt(0)
	v_mul_f32_e32 v7, v2, v6
	v_mul_f32_e32 v6, v8, v6
	v_fma_f32 v7, v8, v5, -v7
	v_fmac_f32_e32 v6, v2, v5
	buffer_store_dword v7, off, s[0:3], 0 offset:232
	buffer_store_dword v6, off, s[0:3], 0 offset:236
.LBB104_131:
	s_or_b32 exec_lo, exec_lo, s4
	s_waitcnt_vscnt null, 0x0
	s_barrier
	buffer_gl0_inv
	s_clause 0x1
	buffer_load_dword v5, off, s[0:3], 0 offset:240
	buffer_load_dword v6, off, s[0:3], 0 offset:244
	s_mov_b32 s4, exec_lo
	s_waitcnt vmcnt(0)
	ds_write_b64 v4, v[5:6]
	s_waitcnt lgkmcnt(0)
	s_barrier
	buffer_gl0_inv
	v_cmpx_gt_u32_e32 30, v0
	s_cbranch_execz .LBB104_135
; %bb.132:
	v_add_nc_u32_e32 v5, -1, v0
	v_add_nc_u32_e32 v6, 0x150, v3
	v_mov_b32_e32 v7, v3
	v_mov_b32_e32 v2, 0
	;; [unrolled: 1-line block ×3, first 2 shown]
	s_mov_b32 s5, 0
	.p2align	6
.LBB104_133:                            ; =>This Inner Loop Header: Depth=1
	s_clause 0x1
	buffer_load_dword v93, v7, s[0:3], 0 offen offset:4
	buffer_load_dword v94, v7, s[0:3], 0 offen
	ds_read_b64 v[91:92], v6
	v_add_nc_u32_e32 v5, 1, v5
	v_add_nc_u32_e32 v6, 8, v6
	;; [unrolled: 1-line block ×3, first 2 shown]
	v_cmp_lt_u32_e32 vcc_lo, 28, v5
	s_or_b32 s5, vcc_lo, s5
	s_waitcnt vmcnt(1) lgkmcnt(0)
	v_mul_f32_e32 v95, v92, v93
	v_mul_f32_e32 v93, v91, v93
	s_waitcnt vmcnt(0)
	v_fma_f32 v91, v91, v94, -v95
	v_fmac_f32_e32 v93, v92, v94
	v_add_f32_e32 v8, v8, v91
	v_add_f32_e32 v2, v2, v93
	s_andn2_b32 exec_lo, exec_lo, s5
	s_cbranch_execnz .LBB104_133
; %bb.134:
	s_or_b32 exec_lo, exec_lo, s5
	v_mov_b32_e32 v5, 0
	ds_read_b64 v[5:6], v5 offset:240
	s_waitcnt lgkmcnt(0)
	v_mul_f32_e32 v7, v2, v6
	v_mul_f32_e32 v6, v8, v6
	v_fma_f32 v7, v8, v5, -v7
	v_fmac_f32_e32 v6, v2, v5
	buffer_store_dword v7, off, s[0:3], 0 offset:240
	buffer_store_dword v6, off, s[0:3], 0 offset:244
.LBB104_135:
	s_or_b32 exec_lo, exec_lo, s4
	s_waitcnt_vscnt null, 0x0
	s_barrier
	buffer_gl0_inv
	s_clause 0x1
	buffer_load_dword v5, off, s[0:3], 0 offset:248
	buffer_load_dword v6, off, s[0:3], 0 offset:252
	s_mov_b32 s4, exec_lo
	s_waitcnt vmcnt(0)
	ds_write_b64 v4, v[5:6]
	s_waitcnt lgkmcnt(0)
	s_barrier
	buffer_gl0_inv
	v_cmpx_gt_u32_e32 31, v0
	s_cbranch_execz .LBB104_139
; %bb.136:
	v_add_nc_u32_e32 v5, -1, v0
	v_add_nc_u32_e32 v6, 0x150, v3
	v_mov_b32_e32 v7, v3
	v_mov_b32_e32 v2, 0
	;; [unrolled: 1-line block ×3, first 2 shown]
	s_mov_b32 s5, 0
	.p2align	6
.LBB104_137:                            ; =>This Inner Loop Header: Depth=1
	s_clause 0x1
	buffer_load_dword v93, v7, s[0:3], 0 offen offset:4
	buffer_load_dword v94, v7, s[0:3], 0 offen
	ds_read_b64 v[91:92], v6
	v_add_nc_u32_e32 v5, 1, v5
	v_add_nc_u32_e32 v6, 8, v6
	;; [unrolled: 1-line block ×3, first 2 shown]
	v_cmp_lt_u32_e32 vcc_lo, 29, v5
	s_or_b32 s5, vcc_lo, s5
	s_waitcnt vmcnt(1) lgkmcnt(0)
	v_mul_f32_e32 v95, v92, v93
	v_mul_f32_e32 v93, v91, v93
	s_waitcnt vmcnt(0)
	v_fma_f32 v91, v91, v94, -v95
	v_fmac_f32_e32 v93, v92, v94
	v_add_f32_e32 v8, v8, v91
	v_add_f32_e32 v2, v2, v93
	s_andn2_b32 exec_lo, exec_lo, s5
	s_cbranch_execnz .LBB104_137
; %bb.138:
	s_or_b32 exec_lo, exec_lo, s5
	v_mov_b32_e32 v5, 0
	ds_read_b64 v[5:6], v5 offset:248
	s_waitcnt lgkmcnt(0)
	v_mul_f32_e32 v7, v2, v6
	v_mul_f32_e32 v6, v8, v6
	v_fma_f32 v7, v8, v5, -v7
	v_fmac_f32_e32 v6, v2, v5
	buffer_store_dword v7, off, s[0:3], 0 offset:248
	buffer_store_dword v6, off, s[0:3], 0 offset:252
.LBB104_139:
	s_or_b32 exec_lo, exec_lo, s4
	s_waitcnt_vscnt null, 0x0
	s_barrier
	buffer_gl0_inv
	s_clause 0x1
	buffer_load_dword v5, off, s[0:3], 0 offset:256
	buffer_load_dword v6, off, s[0:3], 0 offset:260
	s_mov_b32 s4, exec_lo
	s_waitcnt vmcnt(0)
	ds_write_b64 v4, v[5:6]
	s_waitcnt lgkmcnt(0)
	s_barrier
	buffer_gl0_inv
	v_cmpx_gt_u32_e32 32, v0
	s_cbranch_execz .LBB104_143
; %bb.140:
	v_add_nc_u32_e32 v5, -1, v0
	v_add_nc_u32_e32 v6, 0x150, v3
	v_mov_b32_e32 v7, v3
	v_mov_b32_e32 v2, 0
	;; [unrolled: 1-line block ×3, first 2 shown]
	s_mov_b32 s5, 0
	.p2align	6
.LBB104_141:                            ; =>This Inner Loop Header: Depth=1
	s_clause 0x1
	buffer_load_dword v93, v7, s[0:3], 0 offen offset:4
	buffer_load_dword v94, v7, s[0:3], 0 offen
	ds_read_b64 v[91:92], v6
	v_add_nc_u32_e32 v5, 1, v5
	v_add_nc_u32_e32 v6, 8, v6
	v_add_nc_u32_e32 v7, 8, v7
	v_cmp_lt_u32_e32 vcc_lo, 30, v5
	s_or_b32 s5, vcc_lo, s5
	s_waitcnt vmcnt(1) lgkmcnt(0)
	v_mul_f32_e32 v95, v92, v93
	v_mul_f32_e32 v93, v91, v93
	s_waitcnt vmcnt(0)
	v_fma_f32 v91, v91, v94, -v95
	v_fmac_f32_e32 v93, v92, v94
	v_add_f32_e32 v8, v8, v91
	v_add_f32_e32 v2, v2, v93
	s_andn2_b32 exec_lo, exec_lo, s5
	s_cbranch_execnz .LBB104_141
; %bb.142:
	s_or_b32 exec_lo, exec_lo, s5
	v_mov_b32_e32 v5, 0
	ds_read_b64 v[5:6], v5 offset:256
	s_waitcnt lgkmcnt(0)
	v_mul_f32_e32 v7, v2, v6
	v_mul_f32_e32 v6, v8, v6
	v_fma_f32 v7, v8, v5, -v7
	v_fmac_f32_e32 v6, v2, v5
	buffer_store_dword v7, off, s[0:3], 0 offset:256
	buffer_store_dword v6, off, s[0:3], 0 offset:260
.LBB104_143:
	s_or_b32 exec_lo, exec_lo, s4
	s_waitcnt_vscnt null, 0x0
	s_barrier
	buffer_gl0_inv
	s_clause 0x1
	buffer_load_dword v5, off, s[0:3], 0 offset:264
	buffer_load_dword v6, off, s[0:3], 0 offset:268
	s_mov_b32 s4, exec_lo
	s_waitcnt vmcnt(0)
	ds_write_b64 v4, v[5:6]
	s_waitcnt lgkmcnt(0)
	s_barrier
	buffer_gl0_inv
	v_cmpx_gt_u32_e32 33, v0
	s_cbranch_execz .LBB104_147
; %bb.144:
	v_add_nc_u32_e32 v5, -1, v0
	v_add_nc_u32_e32 v6, 0x150, v3
	v_mov_b32_e32 v7, v3
	v_mov_b32_e32 v2, 0
	;; [unrolled: 1-line block ×3, first 2 shown]
	s_mov_b32 s5, 0
	.p2align	6
.LBB104_145:                            ; =>This Inner Loop Header: Depth=1
	s_clause 0x1
	buffer_load_dword v93, v7, s[0:3], 0 offen offset:4
	buffer_load_dword v94, v7, s[0:3], 0 offen
	ds_read_b64 v[91:92], v6
	v_add_nc_u32_e32 v5, 1, v5
	v_add_nc_u32_e32 v6, 8, v6
	;; [unrolled: 1-line block ×3, first 2 shown]
	v_cmp_lt_u32_e32 vcc_lo, 31, v5
	s_or_b32 s5, vcc_lo, s5
	s_waitcnt vmcnt(1) lgkmcnt(0)
	v_mul_f32_e32 v95, v92, v93
	v_mul_f32_e32 v93, v91, v93
	s_waitcnt vmcnt(0)
	v_fma_f32 v91, v91, v94, -v95
	v_fmac_f32_e32 v93, v92, v94
	v_add_f32_e32 v8, v8, v91
	v_add_f32_e32 v2, v2, v93
	s_andn2_b32 exec_lo, exec_lo, s5
	s_cbranch_execnz .LBB104_145
; %bb.146:
	s_or_b32 exec_lo, exec_lo, s5
	v_mov_b32_e32 v5, 0
	ds_read_b64 v[5:6], v5 offset:264
	s_waitcnt lgkmcnt(0)
	v_mul_f32_e32 v7, v2, v6
	v_mul_f32_e32 v6, v8, v6
	v_fma_f32 v7, v8, v5, -v7
	v_fmac_f32_e32 v6, v2, v5
	buffer_store_dword v7, off, s[0:3], 0 offset:264
	buffer_store_dword v6, off, s[0:3], 0 offset:268
.LBB104_147:
	s_or_b32 exec_lo, exec_lo, s4
	s_waitcnt_vscnt null, 0x0
	s_barrier
	buffer_gl0_inv
	s_clause 0x1
	buffer_load_dword v5, off, s[0:3], 0 offset:272
	buffer_load_dword v6, off, s[0:3], 0 offset:276
	s_mov_b32 s4, exec_lo
	s_waitcnt vmcnt(0)
	ds_write_b64 v4, v[5:6]
	s_waitcnt lgkmcnt(0)
	s_barrier
	buffer_gl0_inv
	v_cmpx_gt_u32_e32 34, v0
	s_cbranch_execz .LBB104_151
; %bb.148:
	v_add_nc_u32_e32 v5, -1, v0
	v_add_nc_u32_e32 v6, 0x150, v3
	v_mov_b32_e32 v7, v3
	v_mov_b32_e32 v2, 0
	;; [unrolled: 1-line block ×3, first 2 shown]
	s_mov_b32 s5, 0
	.p2align	6
.LBB104_149:                            ; =>This Inner Loop Header: Depth=1
	s_clause 0x1
	buffer_load_dword v93, v7, s[0:3], 0 offen offset:4
	buffer_load_dword v94, v7, s[0:3], 0 offen
	ds_read_b64 v[91:92], v6
	v_add_nc_u32_e32 v5, 1, v5
	v_add_nc_u32_e32 v6, 8, v6
	;; [unrolled: 1-line block ×3, first 2 shown]
	v_cmp_lt_u32_e32 vcc_lo, 32, v5
	s_or_b32 s5, vcc_lo, s5
	s_waitcnt vmcnt(1) lgkmcnt(0)
	v_mul_f32_e32 v95, v92, v93
	v_mul_f32_e32 v93, v91, v93
	s_waitcnt vmcnt(0)
	v_fma_f32 v91, v91, v94, -v95
	v_fmac_f32_e32 v93, v92, v94
	v_add_f32_e32 v8, v8, v91
	v_add_f32_e32 v2, v2, v93
	s_andn2_b32 exec_lo, exec_lo, s5
	s_cbranch_execnz .LBB104_149
; %bb.150:
	s_or_b32 exec_lo, exec_lo, s5
	v_mov_b32_e32 v5, 0
	ds_read_b64 v[5:6], v5 offset:272
	s_waitcnt lgkmcnt(0)
	v_mul_f32_e32 v7, v2, v6
	v_mul_f32_e32 v6, v8, v6
	v_fma_f32 v7, v8, v5, -v7
	v_fmac_f32_e32 v6, v2, v5
	buffer_store_dword v7, off, s[0:3], 0 offset:272
	buffer_store_dword v6, off, s[0:3], 0 offset:276
.LBB104_151:
	s_or_b32 exec_lo, exec_lo, s4
	s_waitcnt_vscnt null, 0x0
	s_barrier
	buffer_gl0_inv
	s_clause 0x1
	buffer_load_dword v5, off, s[0:3], 0 offset:280
	buffer_load_dword v6, off, s[0:3], 0 offset:284
	s_mov_b32 s4, exec_lo
	s_waitcnt vmcnt(0)
	ds_write_b64 v4, v[5:6]
	s_waitcnt lgkmcnt(0)
	s_barrier
	buffer_gl0_inv
	v_cmpx_gt_u32_e32 35, v0
	s_cbranch_execz .LBB104_155
; %bb.152:
	v_add_nc_u32_e32 v5, -1, v0
	v_add_nc_u32_e32 v6, 0x150, v3
	v_mov_b32_e32 v7, v3
	v_mov_b32_e32 v2, 0
	;; [unrolled: 1-line block ×3, first 2 shown]
	s_mov_b32 s5, 0
	.p2align	6
.LBB104_153:                            ; =>This Inner Loop Header: Depth=1
	s_clause 0x1
	buffer_load_dword v93, v7, s[0:3], 0 offen offset:4
	buffer_load_dword v94, v7, s[0:3], 0 offen
	ds_read_b64 v[91:92], v6
	v_add_nc_u32_e32 v5, 1, v5
	v_add_nc_u32_e32 v6, 8, v6
	;; [unrolled: 1-line block ×3, first 2 shown]
	v_cmp_lt_u32_e32 vcc_lo, 33, v5
	s_or_b32 s5, vcc_lo, s5
	s_waitcnt vmcnt(1) lgkmcnt(0)
	v_mul_f32_e32 v95, v92, v93
	v_mul_f32_e32 v93, v91, v93
	s_waitcnt vmcnt(0)
	v_fma_f32 v91, v91, v94, -v95
	v_fmac_f32_e32 v93, v92, v94
	v_add_f32_e32 v8, v8, v91
	v_add_f32_e32 v2, v2, v93
	s_andn2_b32 exec_lo, exec_lo, s5
	s_cbranch_execnz .LBB104_153
; %bb.154:
	s_or_b32 exec_lo, exec_lo, s5
	v_mov_b32_e32 v5, 0
	ds_read_b64 v[5:6], v5 offset:280
	s_waitcnt lgkmcnt(0)
	v_mul_f32_e32 v7, v2, v6
	v_mul_f32_e32 v6, v8, v6
	v_fma_f32 v7, v8, v5, -v7
	v_fmac_f32_e32 v6, v2, v5
	buffer_store_dword v7, off, s[0:3], 0 offset:280
	buffer_store_dword v6, off, s[0:3], 0 offset:284
.LBB104_155:
	s_or_b32 exec_lo, exec_lo, s4
	s_waitcnt_vscnt null, 0x0
	s_barrier
	buffer_gl0_inv
	s_clause 0x1
	buffer_load_dword v5, off, s[0:3], 0 offset:288
	buffer_load_dword v6, off, s[0:3], 0 offset:292
	s_mov_b32 s4, exec_lo
	s_waitcnt vmcnt(0)
	ds_write_b64 v4, v[5:6]
	s_waitcnt lgkmcnt(0)
	s_barrier
	buffer_gl0_inv
	v_cmpx_gt_u32_e32 36, v0
	s_cbranch_execz .LBB104_159
; %bb.156:
	v_add_nc_u32_e32 v5, -1, v0
	v_add_nc_u32_e32 v6, 0x150, v3
	v_mov_b32_e32 v7, v3
	v_mov_b32_e32 v2, 0
	;; [unrolled: 1-line block ×3, first 2 shown]
	s_mov_b32 s5, 0
	.p2align	6
.LBB104_157:                            ; =>This Inner Loop Header: Depth=1
	s_clause 0x1
	buffer_load_dword v93, v7, s[0:3], 0 offen offset:4
	buffer_load_dword v94, v7, s[0:3], 0 offen
	ds_read_b64 v[91:92], v6
	v_add_nc_u32_e32 v5, 1, v5
	v_add_nc_u32_e32 v6, 8, v6
	;; [unrolled: 1-line block ×3, first 2 shown]
	v_cmp_lt_u32_e32 vcc_lo, 34, v5
	s_or_b32 s5, vcc_lo, s5
	s_waitcnt vmcnt(1) lgkmcnt(0)
	v_mul_f32_e32 v95, v92, v93
	v_mul_f32_e32 v93, v91, v93
	s_waitcnt vmcnt(0)
	v_fma_f32 v91, v91, v94, -v95
	v_fmac_f32_e32 v93, v92, v94
	v_add_f32_e32 v8, v8, v91
	v_add_f32_e32 v2, v2, v93
	s_andn2_b32 exec_lo, exec_lo, s5
	s_cbranch_execnz .LBB104_157
; %bb.158:
	s_or_b32 exec_lo, exec_lo, s5
	v_mov_b32_e32 v5, 0
	ds_read_b64 v[5:6], v5 offset:288
	s_waitcnt lgkmcnt(0)
	v_mul_f32_e32 v7, v2, v6
	v_mul_f32_e32 v6, v8, v6
	v_fma_f32 v7, v8, v5, -v7
	v_fmac_f32_e32 v6, v2, v5
	buffer_store_dword v7, off, s[0:3], 0 offset:288
	buffer_store_dword v6, off, s[0:3], 0 offset:292
.LBB104_159:
	s_or_b32 exec_lo, exec_lo, s4
	s_waitcnt_vscnt null, 0x0
	s_barrier
	buffer_gl0_inv
	s_clause 0x1
	buffer_load_dword v5, off, s[0:3], 0 offset:296
	buffer_load_dword v6, off, s[0:3], 0 offset:300
	s_mov_b32 s4, exec_lo
	s_waitcnt vmcnt(0)
	ds_write_b64 v4, v[5:6]
	s_waitcnt lgkmcnt(0)
	s_barrier
	buffer_gl0_inv
	v_cmpx_gt_u32_e32 37, v0
	s_cbranch_execz .LBB104_163
; %bb.160:
	v_add_nc_u32_e32 v5, -1, v0
	v_add_nc_u32_e32 v6, 0x150, v3
	v_mov_b32_e32 v7, v3
	v_mov_b32_e32 v2, 0
	;; [unrolled: 1-line block ×3, first 2 shown]
	s_mov_b32 s5, 0
	.p2align	6
.LBB104_161:                            ; =>This Inner Loop Header: Depth=1
	s_clause 0x1
	buffer_load_dword v93, v7, s[0:3], 0 offen offset:4
	buffer_load_dword v94, v7, s[0:3], 0 offen
	ds_read_b64 v[91:92], v6
	v_add_nc_u32_e32 v5, 1, v5
	v_add_nc_u32_e32 v6, 8, v6
	;; [unrolled: 1-line block ×3, first 2 shown]
	v_cmp_lt_u32_e32 vcc_lo, 35, v5
	s_or_b32 s5, vcc_lo, s5
	s_waitcnt vmcnt(1) lgkmcnt(0)
	v_mul_f32_e32 v95, v92, v93
	v_mul_f32_e32 v93, v91, v93
	s_waitcnt vmcnt(0)
	v_fma_f32 v91, v91, v94, -v95
	v_fmac_f32_e32 v93, v92, v94
	v_add_f32_e32 v8, v8, v91
	v_add_f32_e32 v2, v2, v93
	s_andn2_b32 exec_lo, exec_lo, s5
	s_cbranch_execnz .LBB104_161
; %bb.162:
	s_or_b32 exec_lo, exec_lo, s5
	v_mov_b32_e32 v5, 0
	ds_read_b64 v[5:6], v5 offset:296
	s_waitcnt lgkmcnt(0)
	v_mul_f32_e32 v7, v2, v6
	v_mul_f32_e32 v6, v8, v6
	v_fma_f32 v7, v8, v5, -v7
	v_fmac_f32_e32 v6, v2, v5
	buffer_store_dword v7, off, s[0:3], 0 offset:296
	buffer_store_dword v6, off, s[0:3], 0 offset:300
.LBB104_163:
	s_or_b32 exec_lo, exec_lo, s4
	s_waitcnt_vscnt null, 0x0
	s_barrier
	buffer_gl0_inv
	s_clause 0x1
	buffer_load_dword v5, off, s[0:3], 0 offset:304
	buffer_load_dword v6, off, s[0:3], 0 offset:308
	s_mov_b32 s4, exec_lo
	s_waitcnt vmcnt(0)
	ds_write_b64 v4, v[5:6]
	s_waitcnt lgkmcnt(0)
	s_barrier
	buffer_gl0_inv
	v_cmpx_gt_u32_e32 38, v0
	s_cbranch_execz .LBB104_167
; %bb.164:
	v_add_nc_u32_e32 v5, -1, v0
	v_add_nc_u32_e32 v6, 0x150, v3
	v_mov_b32_e32 v7, v3
	v_mov_b32_e32 v2, 0
	;; [unrolled: 1-line block ×3, first 2 shown]
	s_mov_b32 s5, 0
	.p2align	6
.LBB104_165:                            ; =>This Inner Loop Header: Depth=1
	s_clause 0x1
	buffer_load_dword v93, v7, s[0:3], 0 offen offset:4
	buffer_load_dword v94, v7, s[0:3], 0 offen
	ds_read_b64 v[91:92], v6
	v_add_nc_u32_e32 v5, 1, v5
	v_add_nc_u32_e32 v6, 8, v6
	;; [unrolled: 1-line block ×3, first 2 shown]
	v_cmp_lt_u32_e32 vcc_lo, 36, v5
	s_or_b32 s5, vcc_lo, s5
	s_waitcnt vmcnt(1) lgkmcnt(0)
	v_mul_f32_e32 v95, v92, v93
	v_mul_f32_e32 v93, v91, v93
	s_waitcnt vmcnt(0)
	v_fma_f32 v91, v91, v94, -v95
	v_fmac_f32_e32 v93, v92, v94
	v_add_f32_e32 v8, v8, v91
	v_add_f32_e32 v2, v2, v93
	s_andn2_b32 exec_lo, exec_lo, s5
	s_cbranch_execnz .LBB104_165
; %bb.166:
	s_or_b32 exec_lo, exec_lo, s5
	v_mov_b32_e32 v5, 0
	ds_read_b64 v[5:6], v5 offset:304
	s_waitcnt lgkmcnt(0)
	v_mul_f32_e32 v7, v2, v6
	v_mul_f32_e32 v6, v8, v6
	v_fma_f32 v7, v8, v5, -v7
	v_fmac_f32_e32 v6, v2, v5
	buffer_store_dword v7, off, s[0:3], 0 offset:304
	buffer_store_dword v6, off, s[0:3], 0 offset:308
.LBB104_167:
	s_or_b32 exec_lo, exec_lo, s4
	s_waitcnt_vscnt null, 0x0
	s_barrier
	buffer_gl0_inv
	s_clause 0x1
	buffer_load_dword v5, off, s[0:3], 0 offset:312
	buffer_load_dword v6, off, s[0:3], 0 offset:316
	s_mov_b32 s4, exec_lo
	s_waitcnt vmcnt(0)
	ds_write_b64 v4, v[5:6]
	s_waitcnt lgkmcnt(0)
	s_barrier
	buffer_gl0_inv
	v_cmpx_gt_u32_e32 39, v0
	s_cbranch_execz .LBB104_171
; %bb.168:
	v_add_nc_u32_e32 v5, -1, v0
	v_add_nc_u32_e32 v6, 0x150, v3
	v_mov_b32_e32 v7, v3
	v_mov_b32_e32 v2, 0
	;; [unrolled: 1-line block ×3, first 2 shown]
	s_mov_b32 s5, 0
	.p2align	6
.LBB104_169:                            ; =>This Inner Loop Header: Depth=1
	s_clause 0x1
	buffer_load_dword v93, v7, s[0:3], 0 offen offset:4
	buffer_load_dword v94, v7, s[0:3], 0 offen
	ds_read_b64 v[91:92], v6
	v_add_nc_u32_e32 v5, 1, v5
	v_add_nc_u32_e32 v6, 8, v6
	v_add_nc_u32_e32 v7, 8, v7
	v_cmp_lt_u32_e32 vcc_lo, 37, v5
	s_or_b32 s5, vcc_lo, s5
	s_waitcnt vmcnt(1) lgkmcnt(0)
	v_mul_f32_e32 v95, v92, v93
	v_mul_f32_e32 v93, v91, v93
	s_waitcnt vmcnt(0)
	v_fma_f32 v91, v91, v94, -v95
	v_fmac_f32_e32 v93, v92, v94
	v_add_f32_e32 v8, v8, v91
	v_add_f32_e32 v2, v2, v93
	s_andn2_b32 exec_lo, exec_lo, s5
	s_cbranch_execnz .LBB104_169
; %bb.170:
	s_or_b32 exec_lo, exec_lo, s5
	v_mov_b32_e32 v5, 0
	ds_read_b64 v[5:6], v5 offset:312
	s_waitcnt lgkmcnt(0)
	v_mul_f32_e32 v7, v2, v6
	v_mul_f32_e32 v6, v8, v6
	v_fma_f32 v7, v8, v5, -v7
	v_fmac_f32_e32 v6, v2, v5
	buffer_store_dword v7, off, s[0:3], 0 offset:312
	buffer_store_dword v6, off, s[0:3], 0 offset:316
.LBB104_171:
	s_or_b32 exec_lo, exec_lo, s4
	s_waitcnt_vscnt null, 0x0
	s_barrier
	buffer_gl0_inv
	s_clause 0x1
	buffer_load_dword v5, off, s[0:3], 0 offset:320
	buffer_load_dword v6, off, s[0:3], 0 offset:324
	s_mov_b32 s4, exec_lo
	s_waitcnt vmcnt(0)
	ds_write_b64 v4, v[5:6]
	s_waitcnt lgkmcnt(0)
	s_barrier
	buffer_gl0_inv
	v_cmpx_ne_u32_e32 40, v0
	s_cbranch_execz .LBB104_175
; %bb.172:
	v_mov_b32_e32 v2, 0
	v_mov_b32_e32 v5, 0
	s_mov_b32 s5, 0
	.p2align	6
.LBB104_173:                            ; =>This Inner Loop Header: Depth=1
	s_clause 0x1
	buffer_load_dword v8, v3, s[0:3], 0 offen offset:4
	buffer_load_dword v91, v3, s[0:3], 0 offen
	ds_read_b64 v[6:7], v4
	v_add_nc_u32_e32 v1, 1, v1
	v_add_nc_u32_e32 v4, 8, v4
	;; [unrolled: 1-line block ×3, first 2 shown]
	v_cmp_lt_u32_e32 vcc_lo, 38, v1
	s_or_b32 s5, vcc_lo, s5
	s_waitcnt vmcnt(1) lgkmcnt(0)
	v_mul_f32_e32 v92, v7, v8
	v_mul_f32_e32 v8, v6, v8
	s_waitcnt vmcnt(0)
	v_fma_f32 v6, v6, v91, -v92
	v_fmac_f32_e32 v8, v7, v91
	v_add_f32_e32 v5, v5, v6
	v_add_f32_e32 v2, v2, v8
	s_andn2_b32 exec_lo, exec_lo, s5
	s_cbranch_execnz .LBB104_173
; %bb.174:
	s_or_b32 exec_lo, exec_lo, s5
	v_mov_b32_e32 v1, 0
	ds_read_b64 v[3:4], v1 offset:320
	s_waitcnt lgkmcnt(0)
	v_mul_f32_e32 v1, v2, v4
	v_mul_f32_e32 v4, v5, v4
	v_fma_f32 v1, v5, v3, -v1
	v_fmac_f32_e32 v4, v2, v3
	buffer_store_dword v1, off, s[0:3], 0 offset:320
	buffer_store_dword v4, off, s[0:3], 0 offset:324
.LBB104_175:
	s_or_b32 exec_lo, exec_lo, s4
	s_mov_b32 s5, -1
	s_waitcnt_vscnt null, 0x0
	s_barrier
	buffer_gl0_inv
.LBB104_176:
	s_and_b32 vcc_lo, exec_lo, s5
	s_cbranch_vccz .LBB104_178
; %bb.177:
	s_lshl_b64 s[4:5], s[6:7], 2
	v_mov_b32_e32 v1, 0
	s_add_u32 s4, s10, s4
	s_addc_u32 s5, s11, s5
	global_load_dword v1, v1, s[4:5]
	s_waitcnt vmcnt(0)
	v_cmp_ne_u32_e32 vcc_lo, 0, v1
	s_cbranch_vccz .LBB104_179
.LBB104_178:
	s_endpgm
.LBB104_179:
	v_lshl_add_u32 v91, v0, 3, 0x150
	s_mov_b32 s4, exec_lo
	v_cmpx_eq_u32_e32 40, v0
	s_cbranch_execz .LBB104_181
; %bb.180:
	s_clause 0x1
	buffer_load_dword v1, off, s[0:3], 0 offset:312
	buffer_load_dword v2, off, s[0:3], 0 offset:316
	v_mov_b32_e32 v3, 0
	buffer_store_dword v3, off, s[0:3], 0 offset:312
	buffer_store_dword v3, off, s[0:3], 0 offset:316
	s_waitcnt vmcnt(0)
	ds_write_b64 v91, v[1:2]
.LBB104_181:
	s_or_b32 exec_lo, exec_lo, s4
	s_waitcnt lgkmcnt(0)
	s_waitcnt_vscnt null, 0x0
	s_barrier
	buffer_gl0_inv
	s_clause 0x3
	buffer_load_dword v4, off, s[0:3], 0 offset:324
	buffer_load_dword v5, off, s[0:3], 0 offset:320
	;; [unrolled: 1-line block ×4, first 2 shown]
	v_mov_b32_e32 v1, 0
	s_mov_b32 s4, exec_lo
	ds_read_b64 v[2:3], v1 offset:656
	s_waitcnt vmcnt(3) lgkmcnt(0)
	v_mul_f32_e32 v8, v3, v4
	v_mul_f32_e32 v4, v2, v4
	s_waitcnt vmcnt(2)
	v_fma_f32 v2, v2, v5, -v8
	v_fmac_f32_e32 v4, v3, v5
	v_add_f32_e32 v2, 0, v2
	v_add_f32_e32 v3, 0, v4
	s_waitcnt vmcnt(1)
	v_sub_f32_e32 v2, v6, v2
	s_waitcnt vmcnt(0)
	v_sub_f32_e32 v3, v7, v3
	buffer_store_dword v2, off, s[0:3], 0 offset:312
	buffer_store_dword v3, off, s[0:3], 0 offset:316
	v_cmpx_lt_u32_e32 38, v0
	s_cbranch_execz .LBB104_183
; %bb.182:
	s_clause 0x1
	buffer_load_dword v2, off, s[0:3], 0 offset:304
	buffer_load_dword v3, off, s[0:3], 0 offset:308
	buffer_store_dword v1, off, s[0:3], 0 offset:304
	buffer_store_dword v1, off, s[0:3], 0 offset:308
	s_waitcnt vmcnt(0)
	ds_write_b64 v91, v[2:3]
.LBB104_183:
	s_or_b32 exec_lo, exec_lo, s4
	s_waitcnt lgkmcnt(0)
	s_waitcnt_vscnt null, 0x0
	s_barrier
	buffer_gl0_inv
	s_clause 0x5
	buffer_load_dword v5, off, s[0:3], 0 offset:316
	buffer_load_dword v6, off, s[0:3], 0 offset:324
	;; [unrolled: 1-line block ×6, first 2 shown]
	ds_read2_b64 v[1:4], v1 offset0:81 offset1:82
	s_mov_b32 s4, exec_lo
	s_waitcnt vmcnt(5) lgkmcnt(0)
	v_mul_f32_e32 v94, v2, v5
	v_mul_f32_e32 v5, v1, v5
	s_waitcnt vmcnt(4)
	v_mul_f32_e32 v95, v3, v6
	v_mul_f32_e32 v6, v4, v6
	s_waitcnt vmcnt(3)
	v_fma_f32 v1, v1, v7, -v94
	v_fmac_f32_e32 v5, v2, v7
	s_waitcnt vmcnt(2)
	v_fmac_f32_e32 v95, v4, v8
	v_fma_f32 v2, v3, v8, -v6
	v_add_f32_e32 v1, 0, v1
	v_add_f32_e32 v3, 0, v5
	;; [unrolled: 1-line block ×4, first 2 shown]
	s_waitcnt vmcnt(1)
	v_sub_f32_e32 v1, v92, v1
	s_waitcnt vmcnt(0)
	v_sub_f32_e32 v2, v93, v2
	buffer_store_dword v1, off, s[0:3], 0 offset:304
	buffer_store_dword v2, off, s[0:3], 0 offset:308
	v_cmpx_lt_u32_e32 37, v0
	s_cbranch_execz .LBB104_185
; %bb.184:
	s_clause 0x1
	buffer_load_dword v1, off, s[0:3], 0 offset:296
	buffer_load_dword v2, off, s[0:3], 0 offset:300
	v_mov_b32_e32 v3, 0
	buffer_store_dword v3, off, s[0:3], 0 offset:296
	buffer_store_dword v3, off, s[0:3], 0 offset:300
	s_waitcnt vmcnt(0)
	ds_write_b64 v91, v[1:2]
.LBB104_185:
	s_or_b32 exec_lo, exec_lo, s4
	s_waitcnt lgkmcnt(0)
	s_waitcnt_vscnt null, 0x0
	s_barrier
	buffer_gl0_inv
	s_clause 0x7
	buffer_load_dword v8, off, s[0:3], 0 offset:308
	buffer_load_dword v92, off, s[0:3], 0 offset:316
	;; [unrolled: 1-line block ×8, first 2 shown]
	v_mov_b32_e32 v1, 0
	ds_read_b128 v[2:5], v1 offset:640
	ds_read_b64 v[6:7], v1 offset:656
	s_mov_b32 s4, exec_lo
	s_waitcnt vmcnt(7) lgkmcnt(1)
	v_mul_f32_e32 v99, v3, v8
	v_mul_f32_e32 v8, v2, v8
	s_waitcnt vmcnt(6)
	v_mul_f32_e32 v100, v4, v92
	v_mul_f32_e32 v92, v5, v92
	s_waitcnt vmcnt(5) lgkmcnt(0)
	v_mul_f32_e32 v101, v6, v93
	s_waitcnt vmcnt(4)
	v_fma_f32 v2, v2, v94, -v99
	v_fmac_f32_e32 v8, v3, v94
	v_mul_f32_e32 v3, v7, v93
	s_waitcnt vmcnt(3)
	v_fma_f32 v4, v4, v95, -v92
	v_fmac_f32_e32 v100, v5, v95
	v_add_f32_e32 v2, 0, v2
	v_add_f32_e32 v5, 0, v8
	s_waitcnt vmcnt(2)
	v_fma_f32 v3, v6, v96, -v3
	v_fmac_f32_e32 v101, v7, v96
	v_add_f32_e32 v2, v2, v4
	v_add_f32_e32 v4, v5, v100
	;; [unrolled: 1-line block ×4, first 2 shown]
	s_waitcnt vmcnt(1)
	v_sub_f32_e32 v2, v97, v2
	s_waitcnt vmcnt(0)
	v_sub_f32_e32 v3, v98, v3
	buffer_store_dword v2, off, s[0:3], 0 offset:296
	buffer_store_dword v3, off, s[0:3], 0 offset:300
	v_cmpx_lt_u32_e32 36, v0
	s_cbranch_execz .LBB104_187
; %bb.186:
	s_clause 0x1
	buffer_load_dword v2, off, s[0:3], 0 offset:288
	buffer_load_dword v3, off, s[0:3], 0 offset:292
	buffer_store_dword v1, off, s[0:3], 0 offset:288
	buffer_store_dword v1, off, s[0:3], 0 offset:292
	s_waitcnt vmcnt(0)
	ds_write_b64 v91, v[2:3]
.LBB104_187:
	s_or_b32 exec_lo, exec_lo, s4
	s_waitcnt lgkmcnt(0)
	s_waitcnt_vscnt null, 0x0
	s_barrier
	buffer_gl0_inv
	s_clause 0x9
	buffer_load_dword v6, off, s[0:3], 0 offset:300
	buffer_load_dword v7, off, s[0:3], 0 offset:308
	;; [unrolled: 1-line block ×10, first 2 shown]
	ds_read2_b64 v[2:5], v1 offset0:79 offset1:80
	ds_read2_b64 v[92:95], v1 offset0:81 offset1:82
	s_mov_b32 s4, exec_lo
	s_waitcnt vmcnt(9) lgkmcnt(1)
	v_mul_f32_e32 v1, v2, v6
	v_mul_f32_e32 v6, v3, v6
	s_waitcnt vmcnt(8)
	v_mul_f32_e32 v103, v4, v7
	v_mul_f32_e32 v7, v5, v7
	s_waitcnt vmcnt(7) lgkmcnt(0)
	v_mul_f32_e32 v104, v92, v8
	s_waitcnt vmcnt(5)
	v_fmac_f32_e32 v1, v3, v97
	v_fma_f32 v2, v2, v97, -v6
	v_mul_f32_e32 v3, v93, v8
	s_waitcnt vmcnt(4)
	v_fma_f32 v4, v4, v98, -v7
	v_fmac_f32_e32 v103, v5, v98
	v_add_f32_e32 v1, 0, v1
	v_add_f32_e32 v2, 0, v2
	v_mul_f32_e32 v5, v95, v96
	s_waitcnt vmcnt(3)
	v_fma_f32 v3, v92, v99, -v3
	v_mul_f32_e32 v105, v94, v96
	v_fmac_f32_e32 v104, v93, v99
	v_add_f32_e32 v2, v2, v4
	v_add_f32_e32 v1, v1, v103
	s_waitcnt vmcnt(2)
	v_fma_f32 v4, v94, v100, -v5
	v_fmac_f32_e32 v105, v95, v100
	v_add_f32_e32 v2, v2, v3
	v_add_f32_e32 v1, v1, v104
	v_add_f32_e32 v2, v2, v4
	v_add_f32_e32 v1, v1, v105
	s_waitcnt vmcnt(1)
	v_sub_f32_e32 v2, v101, v2
	s_waitcnt vmcnt(0)
	v_sub_f32_e32 v1, v102, v1
	buffer_store_dword v2, off, s[0:3], 0 offset:288
	buffer_store_dword v1, off, s[0:3], 0 offset:292
	v_cmpx_lt_u32_e32 35, v0
	s_cbranch_execz .LBB104_189
; %bb.188:
	s_clause 0x1
	buffer_load_dword v1, off, s[0:3], 0 offset:280
	buffer_load_dword v2, off, s[0:3], 0 offset:284
	v_mov_b32_e32 v3, 0
	buffer_store_dword v3, off, s[0:3], 0 offset:280
	buffer_store_dword v3, off, s[0:3], 0 offset:284
	s_waitcnt vmcnt(0)
	ds_write_b64 v91, v[1:2]
.LBB104_189:
	s_or_b32 exec_lo, exec_lo, s4
	s_waitcnt lgkmcnt(0)
	s_waitcnt_vscnt null, 0x0
	s_barrier
	buffer_gl0_inv
	s_clause 0xb
	buffer_load_dword v8, off, s[0:3], 0 offset:292
	buffer_load_dword v96, off, s[0:3], 0 offset:300
	;; [unrolled: 1-line block ×12, first 2 shown]
	v_mov_b32_e32 v1, 0
	ds_read_b128 v[2:5], v1 offset:624
	ds_read_b128 v[92:95], v1 offset:640
	ds_read_b64 v[6:7], v1 offset:656
	s_mov_b32 s4, exec_lo
	s_waitcnt vmcnt(11) lgkmcnt(2)
	v_mul_f32_e32 v107, v2, v8
	v_mul_f32_e32 v8, v3, v8
	s_waitcnt vmcnt(10)
	v_mul_f32_e32 v108, v4, v96
	v_mul_f32_e32 v96, v5, v96
	s_waitcnt vmcnt(9) lgkmcnt(1)
	v_mul_f32_e32 v109, v92, v97
	s_waitcnt vmcnt(6)
	v_fmac_f32_e32 v107, v3, v100
	v_fma_f32 v2, v2, v100, -v8
	v_mul_f32_e32 v3, v93, v97
	s_waitcnt vmcnt(5)
	v_fma_f32 v4, v4, v101, -v96
	v_fmac_f32_e32 v108, v5, v101
	v_add_f32_e32 v5, 0, v107
	v_add_f32_e32 v2, 0, v2
	v_mul_f32_e32 v8, v95, v98
	s_waitcnt vmcnt(4)
	v_fma_f32 v3, v92, v102, -v3
	v_mul_f32_e32 v110, v94, v98
	v_fmac_f32_e32 v109, v93, v102
	v_add_f32_e32 v2, v2, v4
	v_add_f32_e32 v4, v5, v108
	s_waitcnt lgkmcnt(0)
	v_mul_f32_e32 v5, v7, v99
	s_waitcnt vmcnt(3)
	v_fma_f32 v8, v94, v103, -v8
	v_mul_f32_e32 v111, v6, v99
	v_add_f32_e32 v2, v2, v3
	v_fmac_f32_e32 v110, v95, v103
	v_add_f32_e32 v3, v4, v109
	s_waitcnt vmcnt(2)
	v_fma_f32 v4, v6, v104, -v5
	v_fmac_f32_e32 v111, v7, v104
	v_add_f32_e32 v2, v2, v8
	v_add_f32_e32 v3, v3, v110
	;; [unrolled: 1-line block ×4, first 2 shown]
	s_waitcnt vmcnt(1)
	v_sub_f32_e32 v2, v105, v2
	s_waitcnt vmcnt(0)
	v_sub_f32_e32 v3, v106, v3
	buffer_store_dword v2, off, s[0:3], 0 offset:280
	buffer_store_dword v3, off, s[0:3], 0 offset:284
	v_cmpx_lt_u32_e32 34, v0
	s_cbranch_execz .LBB104_191
; %bb.190:
	s_clause 0x1
	buffer_load_dword v2, off, s[0:3], 0 offset:272
	buffer_load_dword v3, off, s[0:3], 0 offset:276
	buffer_store_dword v1, off, s[0:3], 0 offset:272
	buffer_store_dword v1, off, s[0:3], 0 offset:276
	s_waitcnt vmcnt(0)
	ds_write_b64 v91, v[2:3]
.LBB104_191:
	s_or_b32 exec_lo, exec_lo, s4
	s_waitcnt lgkmcnt(0)
	s_waitcnt_vscnt null, 0x0
	s_barrier
	buffer_gl0_inv
	s_clause 0xd
	buffer_load_dword v6, off, s[0:3], 0 offset:284
	buffer_load_dword v7, off, s[0:3], 0 offset:292
	buffer_load_dword v8, off, s[0:3], 0 offset:300
	buffer_load_dword v100, off, s[0:3], 0 offset:308
	buffer_load_dword v101, off, s[0:3], 0 offset:316
	buffer_load_dword v102, off, s[0:3], 0 offset:324
	buffer_load_dword v103, off, s[0:3], 0 offset:280
	buffer_load_dword v104, off, s[0:3], 0 offset:288
	buffer_load_dword v105, off, s[0:3], 0 offset:296
	buffer_load_dword v106, off, s[0:3], 0 offset:304
	buffer_load_dword v107, off, s[0:3], 0 offset:312
	buffer_load_dword v108, off, s[0:3], 0 offset:320
	buffer_load_dword v109, off, s[0:3], 0 offset:272
	buffer_load_dword v110, off, s[0:3], 0 offset:276
	ds_read2_b64 v[2:5], v1 offset0:77 offset1:78
	ds_read2_b64 v[92:95], v1 offset0:79 offset1:80
	;; [unrolled: 1-line block ×3, first 2 shown]
	s_mov_b32 s4, exec_lo
	s_waitcnt vmcnt(13) lgkmcnt(2)
	v_mul_f32_e32 v1, v2, v6
	v_mul_f32_e32 v6, v3, v6
	s_waitcnt vmcnt(12)
	v_mul_f32_e32 v111, v4, v7
	v_mul_f32_e32 v7, v5, v7
	s_waitcnt vmcnt(11) lgkmcnt(1)
	v_mul_f32_e32 v112, v92, v8
	s_waitcnt vmcnt(10)
	v_mul_f32_e32 v113, v94, v100
	s_waitcnt vmcnt(7)
	v_fma_f32 v2, v2, v103, -v6
	v_fmac_f32_e32 v1, v3, v103
	v_mul_f32_e32 v3, v93, v8
	s_waitcnt vmcnt(6)
	v_fma_f32 v4, v4, v104, -v7
	v_fmac_f32_e32 v111, v5, v104
	v_add_f32_e32 v2, 0, v2
	v_add_f32_e32 v1, 0, v1
	v_mul_f32_e32 v5, v95, v100
	s_waitcnt vmcnt(5)
	v_fma_f32 v3, v92, v105, -v3
	v_fmac_f32_e32 v112, v93, v105
	v_add_f32_e32 v2, v2, v4
	v_add_f32_e32 v1, v1, v111
	s_waitcnt lgkmcnt(0)
	v_mul_f32_e32 v4, v97, v101
	s_waitcnt vmcnt(4)
	v_fma_f32 v5, v94, v106, -v5
	v_mul_f32_e32 v114, v96, v101
	v_add_f32_e32 v2, v2, v3
	v_fmac_f32_e32 v113, v95, v106
	v_add_f32_e32 v1, v1, v112
	v_mul_f32_e32 v3, v99, v102
	s_waitcnt vmcnt(3)
	v_fma_f32 v4, v96, v107, -v4
	v_add_f32_e32 v2, v2, v5
	v_mul_f32_e32 v115, v98, v102
	v_fmac_f32_e32 v114, v97, v107
	v_add_f32_e32 v1, v1, v113
	s_waitcnt vmcnt(2)
	v_fma_f32 v3, v98, v108, -v3
	v_add_f32_e32 v2, v2, v4
	v_fmac_f32_e32 v115, v99, v108
	v_add_f32_e32 v1, v1, v114
	v_add_f32_e32 v2, v2, v3
	;; [unrolled: 1-line block ×3, first 2 shown]
	s_waitcnt vmcnt(1)
	v_sub_f32_e32 v2, v109, v2
	s_waitcnt vmcnt(0)
	v_sub_f32_e32 v1, v110, v1
	buffer_store_dword v2, off, s[0:3], 0 offset:272
	buffer_store_dword v1, off, s[0:3], 0 offset:276
	v_cmpx_lt_u32_e32 33, v0
	s_cbranch_execz .LBB104_193
; %bb.192:
	s_clause 0x1
	buffer_load_dword v1, off, s[0:3], 0 offset:264
	buffer_load_dword v2, off, s[0:3], 0 offset:268
	v_mov_b32_e32 v3, 0
	buffer_store_dword v3, off, s[0:3], 0 offset:264
	buffer_store_dword v3, off, s[0:3], 0 offset:268
	s_waitcnt vmcnt(0)
	ds_write_b64 v91, v[1:2]
.LBB104_193:
	s_or_b32 exec_lo, exec_lo, s4
	s_waitcnt lgkmcnt(0)
	s_waitcnt_vscnt null, 0x0
	s_barrier
	buffer_gl0_inv
	s_clause 0xf
	buffer_load_dword v8, off, s[0:3], 0 offset:276
	buffer_load_dword v100, off, s[0:3], 0 offset:284
	;; [unrolled: 1-line block ×16, first 2 shown]
	v_mov_b32_e32 v1, 0
	ds_read_b128 v[2:5], v1 offset:608
	ds_read_b128 v[92:95], v1 offset:624
	;; [unrolled: 1-line block ×3, first 2 shown]
	ds_read_b64 v[6:7], v1 offset:656
	s_mov_b32 s4, exec_lo
	s_waitcnt vmcnt(15) lgkmcnt(3)
	v_mul_f32_e32 v115, v2, v8
	v_mul_f32_e32 v8, v3, v8
	s_waitcnt vmcnt(14)
	v_mul_f32_e32 v116, v4, v100
	v_mul_f32_e32 v100, v5, v100
	s_waitcnt vmcnt(13) lgkmcnt(2)
	v_mul_f32_e32 v117, v92, v101
	s_waitcnt vmcnt(12)
	v_mul_f32_e32 v118, v94, v102
	s_waitcnt vmcnt(11) lgkmcnt(1)
	v_mul_f32_e32 v119, v96, v103
	s_waitcnt vmcnt(8)
	v_fma_f32 v2, v2, v106, -v8
	v_fmac_f32_e32 v115, v3, v106
	v_mul_f32_e32 v3, v93, v101
	s_waitcnt vmcnt(7)
	v_fma_f32 v4, v4, v107, -v100
	v_fmac_f32_e32 v116, v5, v107
	v_add_f32_e32 v2, 0, v2
	v_add_f32_e32 v5, 0, v115
	v_mul_f32_e32 v8, v95, v102
	s_waitcnt vmcnt(6)
	v_fma_f32 v3, v92, v108, -v3
	v_fmac_f32_e32 v117, v93, v108
	v_add_f32_e32 v2, v2, v4
	v_add_f32_e32 v4, v5, v116
	;; [unrolled: 6-line block ×3, first 2 shown]
	v_mul_f32_e32 v4, v99, v104
	s_waitcnt vmcnt(4)
	v_fma_f32 v5, v96, v110, -v5
	v_mul_f32_e32 v120, v98, v104
	v_add_f32_e32 v2, v2, v8
	v_fmac_f32_e32 v119, v97, v110
	v_add_f32_e32 v3, v3, v118
	s_waitcnt lgkmcnt(0)
	v_mul_f32_e32 v8, v7, v105
	s_waitcnt vmcnt(3)
	v_fma_f32 v4, v98, v111, -v4
	v_add_f32_e32 v2, v2, v5
	v_mul_f32_e32 v121, v6, v105
	v_fmac_f32_e32 v120, v99, v111
	v_add_f32_e32 v3, v3, v119
	s_waitcnt vmcnt(2)
	v_fma_f32 v5, v6, v112, -v8
	v_add_f32_e32 v2, v2, v4
	v_fmac_f32_e32 v121, v7, v112
	v_add_f32_e32 v3, v3, v120
	v_add_f32_e32 v2, v2, v5
	;; [unrolled: 1-line block ×3, first 2 shown]
	s_waitcnt vmcnt(1)
	v_sub_f32_e32 v2, v113, v2
	s_waitcnt vmcnt(0)
	v_sub_f32_e32 v3, v114, v3
	buffer_store_dword v2, off, s[0:3], 0 offset:264
	buffer_store_dword v3, off, s[0:3], 0 offset:268
	v_cmpx_lt_u32_e32 32, v0
	s_cbranch_execz .LBB104_195
; %bb.194:
	s_clause 0x1
	buffer_load_dword v2, off, s[0:3], 0 offset:256
	buffer_load_dword v3, off, s[0:3], 0 offset:260
	buffer_store_dword v1, off, s[0:3], 0 offset:256
	buffer_store_dword v1, off, s[0:3], 0 offset:260
	s_waitcnt vmcnt(0)
	ds_write_b64 v91, v[2:3]
.LBB104_195:
	s_or_b32 exec_lo, exec_lo, s4
	s_waitcnt lgkmcnt(0)
	s_waitcnt_vscnt null, 0x0
	s_barrier
	buffer_gl0_inv
	s_clause 0x11
	buffer_load_dword v6, off, s[0:3], 0 offset:268
	buffer_load_dword v7, off, s[0:3], 0 offset:276
	;; [unrolled: 1-line block ×18, first 2 shown]
	ds_read2_b64 v[2:5], v1 offset0:75 offset1:76
	ds_read2_b64 v[92:95], v1 offset0:77 offset1:78
	;; [unrolled: 1-line block ×4, first 2 shown]
	s_mov_b32 s4, exec_lo
	s_waitcnt vmcnt(17) lgkmcnt(3)
	v_mul_f32_e32 v1, v2, v6
	v_mul_f32_e32 v6, v3, v6
	s_waitcnt vmcnt(16)
	v_mul_f32_e32 v119, v4, v7
	v_mul_f32_e32 v7, v5, v7
	s_waitcnt vmcnt(15) lgkmcnt(2)
	v_mul_f32_e32 v120, v92, v8
	s_waitcnt vmcnt(14)
	v_mul_f32_e32 v121, v94, v104
	s_waitcnt vmcnt(13) lgkmcnt(1)
	v_mul_f32_e32 v122, v96, v105
	s_waitcnt vmcnt(12)
	v_mul_f32_e32 v123, v98, v106
	s_waitcnt vmcnt(9)
	v_fma_f32 v2, v2, v109, -v6
	v_fmac_f32_e32 v1, v3, v109
	v_mul_f32_e32 v3, v93, v8
	s_waitcnt vmcnt(8)
	v_fma_f32 v4, v4, v110, -v7
	v_fmac_f32_e32 v119, v5, v110
	v_add_f32_e32 v2, 0, v2
	v_add_f32_e32 v1, 0, v1
	v_mul_f32_e32 v5, v95, v104
	s_waitcnt vmcnt(7)
	v_fma_f32 v3, v92, v111, -v3
	v_fmac_f32_e32 v120, v93, v111
	v_add_f32_e32 v2, v2, v4
	v_add_f32_e32 v1, v1, v119
	;; [unrolled: 6-line block ×4, first 2 shown]
	s_waitcnt lgkmcnt(0)
	v_mul_f32_e32 v5, v101, v107
	s_waitcnt vmcnt(4)
	v_fma_f32 v3, v98, v114, -v3
	v_mul_f32_e32 v124, v100, v107
	v_add_f32_e32 v2, v2, v4
	v_fmac_f32_e32 v123, v99, v114
	v_add_f32_e32 v1, v1, v122
	v_mul_f32_e32 v4, v103, v108
	s_waitcnt vmcnt(3)
	v_fma_f32 v5, v100, v115, -v5
	v_add_f32_e32 v2, v2, v3
	v_mul_f32_e32 v125, v102, v108
	v_fmac_f32_e32 v124, v101, v115
	v_add_f32_e32 v1, v1, v123
	s_waitcnt vmcnt(2)
	v_fma_f32 v3, v102, v116, -v4
	v_add_f32_e32 v2, v2, v5
	v_fmac_f32_e32 v125, v103, v116
	v_add_f32_e32 v1, v1, v124
	v_add_f32_e32 v2, v2, v3
	;; [unrolled: 1-line block ×3, first 2 shown]
	s_waitcnt vmcnt(1)
	v_sub_f32_e32 v2, v117, v2
	s_waitcnt vmcnt(0)
	v_sub_f32_e32 v1, v118, v1
	buffer_store_dword v2, off, s[0:3], 0 offset:256
	buffer_store_dword v1, off, s[0:3], 0 offset:260
	v_cmpx_lt_u32_e32 31, v0
	s_cbranch_execz .LBB104_197
; %bb.196:
	s_clause 0x1
	buffer_load_dword v1, off, s[0:3], 0 offset:248
	buffer_load_dword v2, off, s[0:3], 0 offset:252
	v_mov_b32_e32 v3, 0
	buffer_store_dword v3, off, s[0:3], 0 offset:248
	buffer_store_dword v3, off, s[0:3], 0 offset:252
	s_waitcnt vmcnt(0)
	ds_write_b64 v91, v[1:2]
.LBB104_197:
	s_or_b32 exec_lo, exec_lo, s4
	s_waitcnt lgkmcnt(0)
	s_waitcnt_vscnt null, 0x0
	s_barrier
	buffer_gl0_inv
	s_clause 0x13
	buffer_load_dword v8, off, s[0:3], 0 offset:260
	buffer_load_dword v104, off, s[0:3], 0 offset:268
	;; [unrolled: 1-line block ×20, first 2 shown]
	v_mov_b32_e32 v1, 0
	ds_read_b128 v[2:5], v1 offset:592
	ds_read_b128 v[92:95], v1 offset:608
	;; [unrolled: 1-line block ×4, first 2 shown]
	ds_read_b64 v[6:7], v1 offset:656
	s_mov_b32 s4, exec_lo
	s_waitcnt vmcnt(19) lgkmcnt(4)
	v_mul_f32_e32 v123, v2, v8
	v_mul_f32_e32 v8, v3, v8
	s_waitcnt vmcnt(18)
	v_mul_f32_e32 v124, v4, v104
	v_mul_f32_e32 v104, v5, v104
	s_waitcnt vmcnt(17) lgkmcnt(3)
	v_mul_f32_e32 v125, v92, v105
	s_waitcnt vmcnt(16)
	v_mul_f32_e32 v126, v94, v106
	s_waitcnt vmcnt(15) lgkmcnt(2)
	v_mul_f32_e32 v127, v96, v107
	s_waitcnt vmcnt(14)
	;; [unrolled: 4-line block ×3, first 2 shown]
	v_fma_f32 v2, v2, v112, -v8
	v_fmac_f32_e32 v123, v3, v112
	v_mul_f32_e32 v3, v93, v105
	s_waitcnt vmcnt(9)
	v_fma_f32 v4, v4, v113, -v104
	v_fmac_f32_e32 v124, v5, v113
	v_add_f32_e32 v2, 0, v2
	v_add_f32_e32 v5, 0, v123
	v_mul_f32_e32 v8, v95, v106
	s_waitcnt vmcnt(8)
	v_fma_f32 v3, v92, v114, -v3
	v_fmac_f32_e32 v125, v93, v114
	v_add_f32_e32 v2, v2, v4
	v_add_f32_e32 v4, v5, v124
	v_mul_f32_e32 v5, v97, v107
	s_waitcnt vmcnt(7)
	v_fma_f32 v8, v94, v115, -v8
	v_fmac_f32_e32 v126, v95, v115
	v_add_f32_e32 v2, v2, v3
	v_add_f32_e32 v3, v4, v125
	v_mul_f32_e32 v4, v99, v108
	s_waitcnt vmcnt(6)
	v_fma_f32 v5, v96, v116, -v5
	v_fmac_f32_e32 v127, v97, v116
	v_add_f32_e32 v2, v2, v8
	v_add_f32_e32 v3, v3, v126
	v_mul_f32_e32 v8, v101, v109
	s_waitcnt vmcnt(5)
	v_fma_f32 v4, v98, v117, -v4
	v_fmac_f32_e32 v128, v99, v117
	v_add_f32_e32 v2, v2, v5
	v_add_f32_e32 v3, v3, v127
	v_mul_f32_e32 v5, v103, v110
	s_waitcnt vmcnt(4)
	v_fma_f32 v8, v100, v118, -v8
	v_mul_f32_e32 v130, v102, v110
	v_add_f32_e32 v2, v2, v4
	v_fmac_f32_e32 v129, v101, v118
	v_add_f32_e32 v3, v3, v128
	s_waitcnt lgkmcnt(0)
	v_mul_f32_e32 v4, v7, v111
	s_waitcnt vmcnt(3)
	v_fma_f32 v5, v102, v119, -v5
	v_add_f32_e32 v2, v2, v8
	v_mul_f32_e32 v131, v6, v111
	v_fmac_f32_e32 v130, v103, v119
	v_add_f32_e32 v3, v3, v129
	s_waitcnt vmcnt(2)
	v_fma_f32 v4, v6, v120, -v4
	v_add_f32_e32 v2, v2, v5
	v_fmac_f32_e32 v131, v7, v120
	v_add_f32_e32 v3, v3, v130
	v_add_f32_e32 v2, v2, v4
	;; [unrolled: 1-line block ×3, first 2 shown]
	s_waitcnt vmcnt(1)
	v_sub_f32_e32 v2, v121, v2
	s_waitcnt vmcnt(0)
	v_sub_f32_e32 v3, v122, v3
	buffer_store_dword v2, off, s[0:3], 0 offset:248
	buffer_store_dword v3, off, s[0:3], 0 offset:252
	v_cmpx_lt_u32_e32 30, v0
	s_cbranch_execz .LBB104_199
; %bb.198:
	s_clause 0x1
	buffer_load_dword v2, off, s[0:3], 0 offset:240
	buffer_load_dword v3, off, s[0:3], 0 offset:244
	buffer_store_dword v1, off, s[0:3], 0 offset:240
	buffer_store_dword v1, off, s[0:3], 0 offset:244
	s_waitcnt vmcnt(0)
	ds_write_b64 v91, v[2:3]
.LBB104_199:
	s_or_b32 exec_lo, exec_lo, s4
	s_waitcnt lgkmcnt(0)
	s_waitcnt_vscnt null, 0x0
	s_barrier
	buffer_gl0_inv
	s_clause 0x15
	buffer_load_dword v6, off, s[0:3], 0 offset:252
	buffer_load_dword v7, off, s[0:3], 0 offset:260
	;; [unrolled: 1-line block ×22, first 2 shown]
	ds_read2_b64 v[2:5], v1 offset0:73 offset1:74
	ds_read2_b64 v[92:95], v1 offset0:75 offset1:76
	;; [unrolled: 1-line block ×5, first 2 shown]
	s_mov_b32 s4, exec_lo
	s_waitcnt vmcnt(21) lgkmcnt(4)
	v_mul_f32_e32 v1, v2, v6
	v_mul_f32_e32 v6, v3, v6
	s_waitcnt vmcnt(20)
	v_mul_f32_e32 v127, v4, v7
	v_mul_f32_e32 v7, v5, v7
	s_waitcnt vmcnt(19) lgkmcnt(3)
	v_mul_f32_e32 v128, v92, v8
	s_waitcnt vmcnt(18)
	v_mul_f32_e32 v129, v94, v108
	s_waitcnt vmcnt(17) lgkmcnt(2)
	v_mul_f32_e32 v130, v96, v109
	s_waitcnt vmcnt(16)
	;; [unrolled: 4-line block ×3, first 2 shown]
	v_mul_f32_e32 v133, v102, v112
	s_waitcnt vmcnt(11)
	v_fma_f32 v2, v2, v115, -v6
	v_fmac_f32_e32 v1, v3, v115
	v_mul_f32_e32 v3, v93, v8
	s_waitcnt vmcnt(10)
	v_fma_f32 v4, v4, v116, -v7
	v_fmac_f32_e32 v127, v5, v116
	v_add_f32_e32 v2, 0, v2
	v_add_f32_e32 v1, 0, v1
	v_mul_f32_e32 v5, v95, v108
	s_waitcnt vmcnt(9)
	v_fma_f32 v3, v92, v117, -v3
	v_fmac_f32_e32 v128, v93, v117
	v_add_f32_e32 v2, v2, v4
	v_add_f32_e32 v1, v1, v127
	;; [unrolled: 6-line block ×6, first 2 shown]
	s_waitcnt lgkmcnt(0)
	v_mul_f32_e32 v3, v105, v113
	s_waitcnt vmcnt(4)
	v_fma_f32 v4, v102, v122, -v4
	v_mul_f32_e32 v134, v104, v113
	v_add_f32_e32 v2, v2, v5
	v_fmac_f32_e32 v133, v103, v122
	v_add_f32_e32 v1, v1, v132
	v_mul_f32_e32 v5, v107, v114
	s_waitcnt vmcnt(3)
	v_fma_f32 v3, v104, v123, -v3
	v_add_f32_e32 v2, v2, v4
	v_mul_f32_e32 v135, v106, v114
	v_fmac_f32_e32 v134, v105, v123
	v_add_f32_e32 v1, v1, v133
	s_waitcnt vmcnt(2)
	v_fma_f32 v4, v106, v124, -v5
	v_add_f32_e32 v2, v2, v3
	v_fmac_f32_e32 v135, v107, v124
	v_add_f32_e32 v1, v1, v134
	v_add_f32_e32 v2, v2, v4
	;; [unrolled: 1-line block ×3, first 2 shown]
	s_waitcnt vmcnt(1)
	v_sub_f32_e32 v2, v125, v2
	s_waitcnt vmcnt(0)
	v_sub_f32_e32 v1, v126, v1
	buffer_store_dword v2, off, s[0:3], 0 offset:240
	buffer_store_dword v1, off, s[0:3], 0 offset:244
	v_cmpx_lt_u32_e32 29, v0
	s_cbranch_execz .LBB104_201
; %bb.200:
	s_clause 0x1
	buffer_load_dword v1, off, s[0:3], 0 offset:232
	buffer_load_dword v2, off, s[0:3], 0 offset:236
	v_mov_b32_e32 v3, 0
	buffer_store_dword v3, off, s[0:3], 0 offset:232
	buffer_store_dword v3, off, s[0:3], 0 offset:236
	s_waitcnt vmcnt(0)
	ds_write_b64 v91, v[1:2]
.LBB104_201:
	s_or_b32 exec_lo, exec_lo, s4
	s_waitcnt lgkmcnt(0)
	s_waitcnt_vscnt null, 0x0
	s_barrier
	buffer_gl0_inv
	s_clause 0x17
	buffer_load_dword v8, off, s[0:3], 0 offset:244
	buffer_load_dword v108, off, s[0:3], 0 offset:252
	buffer_load_dword v109, off, s[0:3], 0 offset:260
	buffer_load_dword v110, off, s[0:3], 0 offset:268
	buffer_load_dword v111, off, s[0:3], 0 offset:276
	buffer_load_dword v112, off, s[0:3], 0 offset:284
	buffer_load_dword v113, off, s[0:3], 0 offset:292
	buffer_load_dword v114, off, s[0:3], 0 offset:300
	buffer_load_dword v115, off, s[0:3], 0 offset:308
	buffer_load_dword v116, off, s[0:3], 0 offset:316
	buffer_load_dword v117, off, s[0:3], 0 offset:324
	buffer_load_dword v118, off, s[0:3], 0 offset:240
	buffer_load_dword v119, off, s[0:3], 0 offset:248
	buffer_load_dword v120, off, s[0:3], 0 offset:256
	buffer_load_dword v121, off, s[0:3], 0 offset:264
	buffer_load_dword v122, off, s[0:3], 0 offset:272
	buffer_load_dword v123, off, s[0:3], 0 offset:280
	buffer_load_dword v124, off, s[0:3], 0 offset:288
	buffer_load_dword v125, off, s[0:3], 0 offset:296
	buffer_load_dword v126, off, s[0:3], 0 offset:304
	buffer_load_dword v127, off, s[0:3], 0 offset:312
	buffer_load_dword v128, off, s[0:3], 0 offset:320
	buffer_load_dword v129, off, s[0:3], 0 offset:232
	buffer_load_dword v130, off, s[0:3], 0 offset:236
	v_mov_b32_e32 v1, 0
	ds_read_b128 v[2:5], v1 offset:576
	ds_read_b128 v[92:95], v1 offset:592
	;; [unrolled: 1-line block ×5, first 2 shown]
	ds_read_b64 v[6:7], v1 offset:656
	s_mov_b32 s4, exec_lo
	s_waitcnt vmcnt(23) lgkmcnt(5)
	v_mul_f32_e32 v131, v2, v8
	v_mul_f32_e32 v8, v3, v8
	s_waitcnt vmcnt(22)
	v_mul_f32_e32 v132, v4, v108
	v_mul_f32_e32 v108, v5, v108
	s_waitcnt vmcnt(21) lgkmcnt(4)
	v_mul_f32_e32 v133, v92, v109
	s_waitcnt vmcnt(20)
	v_mul_f32_e32 v134, v94, v110
	s_waitcnt vmcnt(19) lgkmcnt(3)
	v_mul_f32_e32 v135, v96, v111
	s_waitcnt vmcnt(18)
	;; [unrolled: 4-line block ×4, first 2 shown]
	v_fma_f32 v2, v2, v118, -v8
	v_fmac_f32_e32 v131, v3, v118
	v_mul_f32_e32 v3, v93, v109
	s_waitcnt vmcnt(11)
	v_fma_f32 v4, v4, v119, -v108
	v_fmac_f32_e32 v132, v5, v119
	v_add_f32_e32 v2, 0, v2
	v_add_f32_e32 v5, 0, v131
	v_mul_f32_e32 v8, v95, v110
	s_waitcnt vmcnt(10)
	v_fma_f32 v3, v92, v120, -v3
	v_fmac_f32_e32 v133, v93, v120
	v_add_f32_e32 v2, v2, v4
	v_add_f32_e32 v4, v5, v132
	v_mul_f32_e32 v5, v97, v111
	s_waitcnt vmcnt(9)
	v_fma_f32 v8, v94, v121, -v8
	v_fmac_f32_e32 v134, v95, v121
	v_add_f32_e32 v2, v2, v3
	v_add_f32_e32 v3, v4, v133
	v_mul_f32_e32 v4, v99, v112
	s_waitcnt vmcnt(8)
	v_fma_f32 v5, v96, v122, -v5
	v_fmac_f32_e32 v135, v97, v122
	v_add_f32_e32 v2, v2, v8
	v_add_f32_e32 v3, v3, v134
	v_mul_f32_e32 v8, v101, v113
	s_waitcnt vmcnt(7)
	v_fma_f32 v4, v98, v123, -v4
	v_fmac_f32_e32 v136, v99, v123
	v_add_f32_e32 v2, v2, v5
	v_add_f32_e32 v3, v3, v135
	v_mul_f32_e32 v5, v103, v114
	s_waitcnt vmcnt(6)
	v_fma_f32 v8, v100, v124, -v8
	v_fmac_f32_e32 v137, v101, v124
	v_add_f32_e32 v2, v2, v4
	v_add_f32_e32 v3, v3, v136
	v_mul_f32_e32 v4, v105, v115
	s_waitcnt vmcnt(5)
	v_fma_f32 v5, v102, v125, -v5
	v_fmac_f32_e32 v138, v103, v125
	v_add_f32_e32 v2, v2, v8
	v_add_f32_e32 v3, v3, v137
	v_mul_f32_e32 v8, v107, v116
	s_waitcnt vmcnt(4)
	v_fma_f32 v4, v104, v126, -v4
	v_mul_f32_e32 v140, v106, v116
	v_add_f32_e32 v2, v2, v5
	v_fmac_f32_e32 v139, v105, v126
	v_add_f32_e32 v3, v3, v138
	s_waitcnt lgkmcnt(0)
	v_mul_f32_e32 v5, v7, v117
	s_waitcnt vmcnt(3)
	v_fma_f32 v8, v106, v127, -v8
	v_add_f32_e32 v2, v2, v4
	v_mul_f32_e32 v141, v6, v117
	v_fmac_f32_e32 v140, v107, v127
	v_add_f32_e32 v3, v3, v139
	s_waitcnt vmcnt(2)
	v_fma_f32 v4, v6, v128, -v5
	v_add_f32_e32 v2, v2, v8
	v_fmac_f32_e32 v141, v7, v128
	v_add_f32_e32 v3, v3, v140
	v_add_f32_e32 v2, v2, v4
	;; [unrolled: 1-line block ×3, first 2 shown]
	s_waitcnt vmcnt(1)
	v_sub_f32_e32 v2, v129, v2
	s_waitcnt vmcnt(0)
	v_sub_f32_e32 v3, v130, v3
	buffer_store_dword v2, off, s[0:3], 0 offset:232
	buffer_store_dword v3, off, s[0:3], 0 offset:236
	v_cmpx_lt_u32_e32 28, v0
	s_cbranch_execz .LBB104_203
; %bb.202:
	s_clause 0x1
	buffer_load_dword v2, off, s[0:3], 0 offset:224
	buffer_load_dword v3, off, s[0:3], 0 offset:228
	buffer_store_dword v1, off, s[0:3], 0 offset:224
	buffer_store_dword v1, off, s[0:3], 0 offset:228
	s_waitcnt vmcnt(0)
	ds_write_b64 v91, v[2:3]
.LBB104_203:
	s_or_b32 exec_lo, exec_lo, s4
	s_waitcnt lgkmcnt(0)
	s_waitcnt_vscnt null, 0x0
	s_barrier
	buffer_gl0_inv
	s_clause 0x19
	buffer_load_dword v6, off, s[0:3], 0 offset:236
	buffer_load_dword v7, off, s[0:3], 0 offset:244
	;; [unrolled: 1-line block ×26, first 2 shown]
	ds_read2_b64 v[2:5], v1 offset0:71 offset1:72
	ds_read2_b64 v[92:95], v1 offset0:73 offset1:74
	;; [unrolled: 1-line block ×6, first 2 shown]
	s_mov_b32 s4, exec_lo
	s_waitcnt vmcnt(25) lgkmcnt(5)
	v_mul_f32_e32 v1, v2, v6
	v_mul_f32_e32 v6, v3, v6
	s_waitcnt vmcnt(24)
	v_mul_f32_e32 v135, v4, v7
	v_mul_f32_e32 v7, v5, v7
	s_waitcnt vmcnt(23) lgkmcnt(4)
	v_mul_f32_e32 v136, v92, v8
	s_waitcnt vmcnt(22)
	v_mul_f32_e32 v137, v94, v112
	s_waitcnt vmcnt(21) lgkmcnt(3)
	v_mul_f32_e32 v138, v96, v113
	s_waitcnt vmcnt(20)
	;; [unrolled: 4-line block ×4, first 2 shown]
	v_mul_f32_e32 v143, v106, v118
	s_waitcnt vmcnt(13)
	v_fma_f32 v2, v2, v121, -v6
	v_fmac_f32_e32 v1, v3, v121
	v_mul_f32_e32 v3, v93, v8
	s_waitcnt vmcnt(12)
	v_fma_f32 v4, v4, v122, -v7
	v_fmac_f32_e32 v135, v5, v122
	v_add_f32_e32 v2, 0, v2
	v_add_f32_e32 v1, 0, v1
	v_mul_f32_e32 v5, v95, v112
	s_waitcnt vmcnt(11)
	v_fma_f32 v3, v92, v123, -v3
	v_fmac_f32_e32 v136, v93, v123
	v_add_f32_e32 v2, v2, v4
	v_add_f32_e32 v1, v1, v135
	;; [unrolled: 6-line block ×8, first 2 shown]
	s_waitcnt lgkmcnt(0)
	v_mul_f32_e32 v4, v109, v119
	s_waitcnt vmcnt(4)
	v_fma_f32 v5, v106, v130, -v5
	v_mul_f32_e32 v144, v108, v119
	v_add_f32_e32 v2, v2, v3
	v_fmac_f32_e32 v143, v107, v130
	v_add_f32_e32 v1, v1, v142
	v_mul_f32_e32 v3, v111, v120
	s_waitcnt vmcnt(3)
	v_fma_f32 v4, v108, v131, -v4
	v_add_f32_e32 v2, v2, v5
	v_mul_f32_e32 v145, v110, v120
	v_fmac_f32_e32 v144, v109, v131
	v_add_f32_e32 v1, v1, v143
	s_waitcnt vmcnt(2)
	v_fma_f32 v3, v110, v132, -v3
	v_add_f32_e32 v2, v2, v4
	v_fmac_f32_e32 v145, v111, v132
	v_add_f32_e32 v1, v1, v144
	v_add_f32_e32 v2, v2, v3
	;; [unrolled: 1-line block ×3, first 2 shown]
	s_waitcnt vmcnt(1)
	v_sub_f32_e32 v2, v133, v2
	s_waitcnt vmcnt(0)
	v_sub_f32_e32 v1, v134, v1
	buffer_store_dword v2, off, s[0:3], 0 offset:224
	buffer_store_dword v1, off, s[0:3], 0 offset:228
	v_cmpx_lt_u32_e32 27, v0
	s_cbranch_execz .LBB104_205
; %bb.204:
	s_clause 0x1
	buffer_load_dword v1, off, s[0:3], 0 offset:216
	buffer_load_dword v2, off, s[0:3], 0 offset:220
	v_mov_b32_e32 v3, 0
	buffer_store_dword v3, off, s[0:3], 0 offset:216
	buffer_store_dword v3, off, s[0:3], 0 offset:220
	s_waitcnt vmcnt(0)
	ds_write_b64 v91, v[1:2]
.LBB104_205:
	s_or_b32 exec_lo, exec_lo, s4
	s_waitcnt lgkmcnt(0)
	s_waitcnt_vscnt null, 0x0
	s_barrier
	buffer_gl0_inv
	s_clause 0x1b
	buffer_load_dword v8, off, s[0:3], 0 offset:228
	buffer_load_dword v112, off, s[0:3], 0 offset:236
	buffer_load_dword v113, off, s[0:3], 0 offset:244
	buffer_load_dword v114, off, s[0:3], 0 offset:252
	buffer_load_dword v115, off, s[0:3], 0 offset:260
	buffer_load_dword v116, off, s[0:3], 0 offset:268
	buffer_load_dword v117, off, s[0:3], 0 offset:276
	buffer_load_dword v118, off, s[0:3], 0 offset:284
	buffer_load_dword v119, off, s[0:3], 0 offset:292
	buffer_load_dword v120, off, s[0:3], 0 offset:300
	buffer_load_dword v121, off, s[0:3], 0 offset:308
	buffer_load_dword v122, off, s[0:3], 0 offset:316
	buffer_load_dword v123, off, s[0:3], 0 offset:324
	buffer_load_dword v124, off, s[0:3], 0 offset:224
	buffer_load_dword v125, off, s[0:3], 0 offset:232
	buffer_load_dword v126, off, s[0:3], 0 offset:240
	buffer_load_dword v127, off, s[0:3], 0 offset:248
	buffer_load_dword v128, off, s[0:3], 0 offset:256
	buffer_load_dword v129, off, s[0:3], 0 offset:264
	buffer_load_dword v130, off, s[0:3], 0 offset:272
	buffer_load_dword v131, off, s[0:3], 0 offset:280
	buffer_load_dword v132, off, s[0:3], 0 offset:288
	buffer_load_dword v133, off, s[0:3], 0 offset:296
	buffer_load_dword v134, off, s[0:3], 0 offset:304
	buffer_load_dword v135, off, s[0:3], 0 offset:312
	buffer_load_dword v136, off, s[0:3], 0 offset:320
	buffer_load_dword v137, off, s[0:3], 0 offset:216
	buffer_load_dword v138, off, s[0:3], 0 offset:220
	v_mov_b32_e32 v1, 0
	ds_read_b128 v[2:5], v1 offset:560
	ds_read_b128 v[92:95], v1 offset:576
	;; [unrolled: 1-line block ×6, first 2 shown]
	ds_read_b64 v[6:7], v1 offset:656
	s_mov_b32 s4, exec_lo
	s_waitcnt vmcnt(27) lgkmcnt(6)
	v_mul_f32_e32 v139, v2, v8
	v_mul_f32_e32 v8, v3, v8
	s_waitcnt vmcnt(26)
	v_mul_f32_e32 v140, v4, v112
	v_mul_f32_e32 v112, v5, v112
	s_waitcnt vmcnt(25) lgkmcnt(5)
	v_mul_f32_e32 v141, v92, v113
	s_waitcnt vmcnt(24)
	v_mul_f32_e32 v142, v94, v114
	s_waitcnt vmcnt(23) lgkmcnt(4)
	v_mul_f32_e32 v143, v96, v115
	s_waitcnt vmcnt(22)
	;; [unrolled: 4-line block ×5, first 2 shown]
	v_fma_f32 v2, v2, v124, -v8
	v_fmac_f32_e32 v139, v3, v124
	v_mul_f32_e32 v3, v93, v113
	s_waitcnt vmcnt(13)
	v_fma_f32 v4, v4, v125, -v112
	v_fmac_f32_e32 v140, v5, v125
	v_add_f32_e32 v2, 0, v2
	v_add_f32_e32 v5, 0, v139
	v_mul_f32_e32 v8, v95, v114
	s_waitcnt vmcnt(12)
	v_fma_f32 v3, v92, v126, -v3
	v_fmac_f32_e32 v141, v93, v126
	v_add_f32_e32 v2, v2, v4
	v_add_f32_e32 v4, v5, v140
	;; [unrolled: 6-line block ×9, first 2 shown]
	v_mul_f32_e32 v4, v111, v122
	s_waitcnt vmcnt(4)
	v_fma_f32 v5, v108, v134, -v5
	v_mul_f32_e32 v150, v110, v122
	v_add_f32_e32 v2, v2, v8
	v_fmac_f32_e32 v149, v109, v134
	v_add_f32_e32 v3, v3, v148
	s_waitcnt lgkmcnt(0)
	v_mul_f32_e32 v8, v7, v123
	s_waitcnt vmcnt(3)
	v_fma_f32 v4, v110, v135, -v4
	v_add_f32_e32 v2, v2, v5
	v_mul_f32_e32 v151, v6, v123
	v_fmac_f32_e32 v150, v111, v135
	v_add_f32_e32 v3, v3, v149
	s_waitcnt vmcnt(2)
	v_fma_f32 v5, v6, v136, -v8
	v_add_f32_e32 v2, v2, v4
	v_fmac_f32_e32 v151, v7, v136
	v_add_f32_e32 v3, v3, v150
	v_add_f32_e32 v2, v2, v5
	;; [unrolled: 1-line block ×3, first 2 shown]
	s_waitcnt vmcnt(1)
	v_sub_f32_e32 v2, v137, v2
	s_waitcnt vmcnt(0)
	v_sub_f32_e32 v3, v138, v3
	buffer_store_dword v2, off, s[0:3], 0 offset:216
	buffer_store_dword v3, off, s[0:3], 0 offset:220
	v_cmpx_lt_u32_e32 26, v0
	s_cbranch_execz .LBB104_207
; %bb.206:
	s_clause 0x1
	buffer_load_dword v2, off, s[0:3], 0 offset:208
	buffer_load_dword v3, off, s[0:3], 0 offset:212
	buffer_store_dword v1, off, s[0:3], 0 offset:208
	buffer_store_dword v1, off, s[0:3], 0 offset:212
	s_waitcnt vmcnt(0)
	ds_write_b64 v91, v[2:3]
.LBB104_207:
	s_or_b32 exec_lo, exec_lo, s4
	s_waitcnt lgkmcnt(0)
	s_waitcnt_vscnt null, 0x0
	s_barrier
	buffer_gl0_inv
	s_clause 0x1d
	buffer_load_dword v6, off, s[0:3], 0 offset:220
	buffer_load_dword v7, off, s[0:3], 0 offset:228
	;; [unrolled: 1-line block ×30, first 2 shown]
	ds_read2_b64 v[2:5], v1 offset0:69 offset1:70
	ds_read2_b64 v[92:95], v1 offset0:71 offset1:72
	;; [unrolled: 1-line block ×7, first 2 shown]
	s_mov_b32 s4, exec_lo
	s_waitcnt vmcnt(29) lgkmcnt(6)
	v_mul_f32_e32 v1, v2, v6
	v_mul_f32_e32 v6, v3, v6
	s_waitcnt vmcnt(28)
	v_mul_f32_e32 v143, v4, v7
	v_mul_f32_e32 v7, v5, v7
	s_waitcnt vmcnt(27) lgkmcnt(5)
	v_mul_f32_e32 v144, v92, v8
	s_waitcnt vmcnt(26)
	v_mul_f32_e32 v145, v94, v116
	s_waitcnt vmcnt(25) lgkmcnt(4)
	v_mul_f32_e32 v146, v96, v117
	s_waitcnt vmcnt(24)
	;; [unrolled: 4-line block ×5, first 2 shown]
	v_mul_f32_e32 v153, v110, v124
	s_waitcnt vmcnt(15)
	v_fma_f32 v2, v2, v127, -v6
	v_fmac_f32_e32 v1, v3, v127
	v_mul_f32_e32 v3, v93, v8
	s_waitcnt vmcnt(14)
	v_fma_f32 v4, v4, v128, -v7
	v_fmac_f32_e32 v143, v5, v128
	v_add_f32_e32 v2, 0, v2
	v_add_f32_e32 v1, 0, v1
	v_mul_f32_e32 v5, v95, v116
	s_waitcnt vmcnt(13)
	v_fma_f32 v3, v92, v129, -v3
	v_fmac_f32_e32 v144, v93, v129
	v_add_f32_e32 v2, v2, v4
	v_add_f32_e32 v1, v1, v143
	;; [unrolled: 6-line block ×10, first 2 shown]
	s_waitcnt lgkmcnt(0)
	v_mul_f32_e32 v5, v113, v125
	s_waitcnt vmcnt(4)
	v_fma_f32 v3, v110, v138, -v3
	v_mul_f32_e32 v154, v112, v125
	v_add_f32_e32 v2, v2, v4
	v_fmac_f32_e32 v153, v111, v138
	v_add_f32_e32 v1, v1, v152
	v_mul_f32_e32 v4, v115, v126
	s_waitcnt vmcnt(3)
	v_fma_f32 v5, v112, v139, -v5
	v_add_f32_e32 v2, v2, v3
	v_mul_f32_e32 v155, v114, v126
	v_fmac_f32_e32 v154, v113, v139
	v_add_f32_e32 v1, v1, v153
	s_waitcnt vmcnt(2)
	v_fma_f32 v3, v114, v140, -v4
	v_add_f32_e32 v2, v2, v5
	v_fmac_f32_e32 v155, v115, v140
	v_add_f32_e32 v1, v1, v154
	v_add_f32_e32 v2, v2, v3
	;; [unrolled: 1-line block ×3, first 2 shown]
	s_waitcnt vmcnt(1)
	v_sub_f32_e32 v2, v141, v2
	s_waitcnt vmcnt(0)
	v_sub_f32_e32 v1, v142, v1
	buffer_store_dword v2, off, s[0:3], 0 offset:208
	buffer_store_dword v1, off, s[0:3], 0 offset:212
	v_cmpx_lt_u32_e32 25, v0
	s_cbranch_execz .LBB104_209
; %bb.208:
	s_clause 0x1
	buffer_load_dword v1, off, s[0:3], 0 offset:200
	buffer_load_dword v2, off, s[0:3], 0 offset:204
	v_mov_b32_e32 v3, 0
	buffer_store_dword v3, off, s[0:3], 0 offset:200
	buffer_store_dword v3, off, s[0:3], 0 offset:204
	s_waitcnt vmcnt(0)
	ds_write_b64 v91, v[1:2]
.LBB104_209:
	s_or_b32 exec_lo, exec_lo, s4
	s_waitcnt lgkmcnt(0)
	s_waitcnt_vscnt null, 0x0
	s_barrier
	buffer_gl0_inv
	s_clause 0x1f
	buffer_load_dword v8, off, s[0:3], 0 offset:212
	buffer_load_dword v116, off, s[0:3], 0 offset:220
	;; [unrolled: 1-line block ×32, first 2 shown]
	v_mov_b32_e32 v1, 0
	ds_read_b128 v[2:5], v1 offset:544
	ds_read_b128 v[92:95], v1 offset:560
	ds_read_b128 v[96:99], v1 offset:576
	ds_read_b128 v[100:103], v1 offset:592
	ds_read_b128 v[104:107], v1 offset:608
	ds_read_b128 v[108:111], v1 offset:624
	ds_read_b128 v[112:115], v1 offset:640
	ds_read_b64 v[6:7], v1 offset:656
	s_mov_b32 s4, exec_lo
	s_waitcnt vmcnt(31) lgkmcnt(7)
	v_mul_f32_e32 v147, v2, v8
	v_mul_f32_e32 v8, v3, v8
	s_waitcnt vmcnt(30)
	v_mul_f32_e32 v148, v4, v116
	v_mul_f32_e32 v116, v5, v116
	s_waitcnt vmcnt(29) lgkmcnt(6)
	v_mul_f32_e32 v149, v92, v117
	s_waitcnt vmcnt(28)
	v_mul_f32_e32 v150, v94, v118
	s_waitcnt vmcnt(27) lgkmcnt(5)
	v_mul_f32_e32 v151, v96, v119
	s_waitcnt vmcnt(26)
	;; [unrolled: 4-line block ×6, first 2 shown]
	v_fma_f32 v2, v2, v130, -v8
	v_fmac_f32_e32 v147, v3, v130
	v_mul_f32_e32 v3, v93, v117
	s_waitcnt vmcnt(15)
	v_fma_f32 v4, v4, v131, -v116
	v_fmac_f32_e32 v148, v5, v131
	v_add_f32_e32 v2, 0, v2
	v_add_f32_e32 v5, 0, v147
	v_mul_f32_e32 v8, v95, v118
	s_waitcnt vmcnt(14)
	v_fma_f32 v3, v92, v132, -v3
	v_fmac_f32_e32 v149, v93, v132
	v_add_f32_e32 v2, v2, v4
	v_add_f32_e32 v4, v5, v148
	v_mul_f32_e32 v5, v97, v119
	s_waitcnt vmcnt(13)
	v_fma_f32 v8, v94, v133, -v8
	v_fmac_f32_e32 v150, v95, v133
	v_add_f32_e32 v2, v2, v3
	v_add_f32_e32 v3, v4, v149
	v_mul_f32_e32 v4, v99, v120
	s_waitcnt vmcnt(12)
	v_fma_f32 v5, v96, v134, -v5
	v_fmac_f32_e32 v151, v97, v134
	v_add_f32_e32 v2, v2, v8
	v_add_f32_e32 v3, v3, v150
	v_mul_f32_e32 v8, v101, v121
	s_waitcnt vmcnt(11)
	v_fma_f32 v4, v98, v135, -v4
	v_fmac_f32_e32 v152, v99, v135
	v_add_f32_e32 v2, v2, v5
	v_add_f32_e32 v3, v3, v151
	v_mul_f32_e32 v5, v103, v122
	s_waitcnt vmcnt(10)
	v_fma_f32 v8, v100, v136, -v8
	v_fmac_f32_e32 v153, v101, v136
	v_add_f32_e32 v2, v2, v4
	v_add_f32_e32 v3, v3, v152
	v_mul_f32_e32 v4, v105, v123
	s_waitcnt vmcnt(9)
	v_fma_f32 v5, v102, v137, -v5
	v_fmac_f32_e32 v154, v103, v137
	v_add_f32_e32 v2, v2, v8
	v_add_f32_e32 v3, v3, v153
	v_mul_f32_e32 v8, v107, v124
	s_waitcnt vmcnt(8)
	v_fma_f32 v4, v104, v138, -v4
	v_fmac_f32_e32 v155, v105, v138
	v_add_f32_e32 v2, v2, v5
	v_add_f32_e32 v3, v3, v154
	v_mul_f32_e32 v5, v109, v125
	s_waitcnt vmcnt(7)
	v_fma_f32 v8, v106, v139, -v8
	v_fmac_f32_e32 v156, v107, v139
	v_add_f32_e32 v2, v2, v4
	v_add_f32_e32 v3, v3, v155
	v_mul_f32_e32 v4, v111, v126
	s_waitcnt vmcnt(6)
	v_fma_f32 v5, v108, v140, -v5
	v_fmac_f32_e32 v157, v109, v140
	v_add_f32_e32 v2, v2, v8
	v_add_f32_e32 v3, v3, v156
	v_mul_f32_e32 v8, v113, v127
	s_waitcnt vmcnt(5)
	v_fma_f32 v4, v110, v141, -v4
	v_fmac_f32_e32 v158, v111, v141
	v_add_f32_e32 v2, v2, v5
	v_add_f32_e32 v3, v3, v157
	v_mul_f32_e32 v5, v115, v128
	s_waitcnt vmcnt(4)
	v_fma_f32 v8, v112, v142, -v8
	v_mul_f32_e32 v160, v114, v128
	v_add_f32_e32 v2, v2, v4
	v_fmac_f32_e32 v159, v113, v142
	v_add_f32_e32 v3, v3, v158
	s_waitcnt lgkmcnt(0)
	v_mul_f32_e32 v4, v7, v129
	s_waitcnt vmcnt(3)
	v_fma_f32 v5, v114, v143, -v5
	v_add_f32_e32 v2, v2, v8
	v_mul_f32_e32 v161, v6, v129
	v_fmac_f32_e32 v160, v115, v143
	v_add_f32_e32 v3, v3, v159
	s_waitcnt vmcnt(2)
	v_fma_f32 v4, v6, v144, -v4
	v_add_f32_e32 v2, v2, v5
	v_fmac_f32_e32 v161, v7, v144
	v_add_f32_e32 v3, v3, v160
	v_add_f32_e32 v2, v2, v4
	;; [unrolled: 1-line block ×3, first 2 shown]
	s_waitcnt vmcnt(1)
	v_sub_f32_e32 v2, v145, v2
	s_waitcnt vmcnt(0)
	v_sub_f32_e32 v3, v146, v3
	buffer_store_dword v2, off, s[0:3], 0 offset:200
	buffer_store_dword v3, off, s[0:3], 0 offset:204
	v_cmpx_lt_u32_e32 24, v0
	s_cbranch_execz .LBB104_211
; %bb.210:
	s_clause 0x1
	buffer_load_dword v2, off, s[0:3], 0 offset:192
	buffer_load_dword v3, off, s[0:3], 0 offset:196
	buffer_store_dword v1, off, s[0:3], 0 offset:192
	buffer_store_dword v1, off, s[0:3], 0 offset:196
	s_waitcnt vmcnt(0)
	ds_write_b64 v91, v[2:3]
.LBB104_211:
	s_or_b32 exec_lo, exec_lo, s4
	s_waitcnt lgkmcnt(0)
	s_waitcnt_vscnt null, 0x0
	s_barrier
	buffer_gl0_inv
	s_clause 0x21
	buffer_load_dword v6, off, s[0:3], 0 offset:204
	buffer_load_dword v7, off, s[0:3], 0 offset:212
	;; [unrolled: 1-line block ×34, first 2 shown]
	ds_read2_b64 v[2:5], v1 offset0:67 offset1:68
	ds_read2_b64 v[92:95], v1 offset0:69 offset1:70
	;; [unrolled: 1-line block ×8, first 2 shown]
	s_mov_b32 s4, exec_lo
	s_waitcnt vmcnt(33) lgkmcnt(7)
	v_mul_f32_e32 v1, v2, v6
	v_mul_f32_e32 v6, v3, v6
	s_waitcnt vmcnt(32)
	v_mul_f32_e32 v151, v4, v7
	v_mul_f32_e32 v7, v5, v7
	s_waitcnt vmcnt(31) lgkmcnt(6)
	v_mul_f32_e32 v152, v92, v8
	s_waitcnt vmcnt(30)
	v_mul_f32_e32 v153, v94, v120
	s_waitcnt vmcnt(29) lgkmcnt(5)
	v_mul_f32_e32 v154, v96, v121
	s_waitcnt vmcnt(28)
	;; [unrolled: 4-line block ×6, first 2 shown]
	v_mul_f32_e32 v163, v114, v130
	s_waitcnt vmcnt(17)
	v_fma_f32 v2, v2, v133, -v6
	v_fmac_f32_e32 v1, v3, v133
	v_mul_f32_e32 v3, v93, v8
	s_waitcnt vmcnt(16)
	v_fma_f32 v4, v4, v134, -v7
	v_fmac_f32_e32 v151, v5, v134
	v_add_f32_e32 v2, 0, v2
	v_add_f32_e32 v1, 0, v1
	v_mul_f32_e32 v5, v95, v120
	s_waitcnt vmcnt(15)
	v_fma_f32 v3, v92, v135, -v3
	v_fmac_f32_e32 v152, v93, v135
	v_add_f32_e32 v2, v2, v4
	v_add_f32_e32 v1, v1, v151
	;; [unrolled: 6-line block ×12, first 2 shown]
	s_waitcnt lgkmcnt(0)
	v_mul_f32_e32 v3, v117, v131
	s_waitcnt vmcnt(4)
	v_fma_f32 v4, v114, v146, -v4
	v_mul_f32_e32 v164, v116, v131
	v_add_f32_e32 v2, v2, v5
	v_fmac_f32_e32 v163, v115, v146
	v_add_f32_e32 v1, v1, v162
	v_mul_f32_e32 v5, v119, v132
	s_waitcnt vmcnt(3)
	v_fma_f32 v3, v116, v147, -v3
	v_add_f32_e32 v2, v2, v4
	v_mul_f32_e32 v165, v118, v132
	v_fmac_f32_e32 v164, v117, v147
	v_add_f32_e32 v1, v1, v163
	s_waitcnt vmcnt(2)
	v_fma_f32 v4, v118, v148, -v5
	v_add_f32_e32 v2, v2, v3
	v_fmac_f32_e32 v165, v119, v148
	v_add_f32_e32 v1, v1, v164
	v_add_f32_e32 v2, v2, v4
	;; [unrolled: 1-line block ×3, first 2 shown]
	s_waitcnt vmcnt(1)
	v_sub_f32_e32 v2, v149, v2
	s_waitcnt vmcnt(0)
	v_sub_f32_e32 v1, v150, v1
	buffer_store_dword v2, off, s[0:3], 0 offset:192
	buffer_store_dword v1, off, s[0:3], 0 offset:196
	v_cmpx_lt_u32_e32 23, v0
	s_cbranch_execz .LBB104_213
; %bb.212:
	s_clause 0x1
	buffer_load_dword v1, off, s[0:3], 0 offset:184
	buffer_load_dword v2, off, s[0:3], 0 offset:188
	v_mov_b32_e32 v3, 0
	buffer_store_dword v3, off, s[0:3], 0 offset:184
	buffer_store_dword v3, off, s[0:3], 0 offset:188
	s_waitcnt vmcnt(0)
	ds_write_b64 v91, v[1:2]
.LBB104_213:
	s_or_b32 exec_lo, exec_lo, s4
	s_waitcnt lgkmcnt(0)
	s_waitcnt_vscnt null, 0x0
	s_barrier
	buffer_gl0_inv
	s_clause 0x23
	buffer_load_dword v8, off, s[0:3], 0 offset:196
	buffer_load_dword v120, off, s[0:3], 0 offset:204
	;; [unrolled: 1-line block ×36, first 2 shown]
	v_mov_b32_e32 v1, 0
	ds_read_b128 v[2:5], v1 offset:528
	ds_read_b128 v[92:95], v1 offset:544
	;; [unrolled: 1-line block ×8, first 2 shown]
	ds_read_b64 v[6:7], v1 offset:656
	s_mov_b32 s4, exec_lo
	s_waitcnt vmcnt(35) lgkmcnt(8)
	v_mul_f32_e32 v155, v2, v8
	v_mul_f32_e32 v8, v3, v8
	s_waitcnt vmcnt(34)
	v_mul_f32_e32 v156, v4, v120
	v_mul_f32_e32 v120, v5, v120
	s_waitcnt vmcnt(33) lgkmcnt(7)
	v_mul_f32_e32 v157, v92, v121
	s_waitcnt vmcnt(32)
	v_mul_f32_e32 v158, v94, v122
	s_waitcnt vmcnt(31) lgkmcnt(6)
	v_mul_f32_e32 v159, v96, v123
	s_waitcnt vmcnt(30)
	;; [unrolled: 4-line block ×7, first 2 shown]
	v_fma_f32 v2, v2, v136, -v8
	v_fmac_f32_e32 v155, v3, v136
	v_mul_f32_e32 v3, v93, v121
	s_waitcnt vmcnt(17)
	v_fma_f32 v4, v4, v137, -v120
	v_fmac_f32_e32 v156, v5, v137
	v_add_f32_e32 v2, 0, v2
	v_add_f32_e32 v5, 0, v155
	v_mul_f32_e32 v8, v95, v122
	s_waitcnt vmcnt(16)
	v_fma_f32 v3, v92, v138, -v3
	v_fmac_f32_e32 v157, v93, v138
	v_add_f32_e32 v2, v2, v4
	v_add_f32_e32 v4, v5, v156
	;; [unrolled: 6-line block ×13, first 2 shown]
	v_mul_f32_e32 v8, v119, v134
	s_waitcnt vmcnt(4)
	v_fma_f32 v4, v116, v150, -v4
	v_mul_f32_e32 v170, v118, v134
	v_add_f32_e32 v2, v2, v5
	v_fmac_f32_e32 v169, v117, v150
	v_add_f32_e32 v3, v3, v168
	s_waitcnt lgkmcnt(0)
	v_mul_f32_e32 v5, v7, v135
	s_waitcnt vmcnt(3)
	v_fma_f32 v8, v118, v151, -v8
	v_add_f32_e32 v2, v2, v4
	v_mul_f32_e32 v171, v6, v135
	v_fmac_f32_e32 v170, v119, v151
	v_add_f32_e32 v3, v3, v169
	s_waitcnt vmcnt(2)
	v_fma_f32 v4, v6, v152, -v5
	v_add_f32_e32 v2, v2, v8
	v_fmac_f32_e32 v171, v7, v152
	v_add_f32_e32 v3, v3, v170
	v_add_f32_e32 v2, v2, v4
	;; [unrolled: 1-line block ×3, first 2 shown]
	s_waitcnt vmcnt(1)
	v_sub_f32_e32 v2, v153, v2
	s_waitcnt vmcnt(0)
	v_sub_f32_e32 v3, v154, v3
	buffer_store_dword v2, off, s[0:3], 0 offset:184
	buffer_store_dword v3, off, s[0:3], 0 offset:188
	v_cmpx_lt_u32_e32 22, v0
	s_cbranch_execz .LBB104_215
; %bb.214:
	s_clause 0x1
	buffer_load_dword v2, off, s[0:3], 0 offset:176
	buffer_load_dword v3, off, s[0:3], 0 offset:180
	buffer_store_dword v1, off, s[0:3], 0 offset:176
	buffer_store_dword v1, off, s[0:3], 0 offset:180
	s_waitcnt vmcnt(0)
	ds_write_b64 v91, v[2:3]
.LBB104_215:
	s_or_b32 exec_lo, exec_lo, s4
	s_waitcnt lgkmcnt(0)
	s_waitcnt_vscnt null, 0x0
	s_barrier
	buffer_gl0_inv
	s_clause 0x25
	buffer_load_dword v6, off, s[0:3], 0 offset:188
	buffer_load_dword v7, off, s[0:3], 0 offset:196
	;; [unrolled: 1-line block ×38, first 2 shown]
	ds_read2_b64 v[2:5], v1 offset0:65 offset1:66
	ds_read2_b64 v[92:95], v1 offset0:67 offset1:68
	;; [unrolled: 1-line block ×9, first 2 shown]
	s_mov_b32 s4, exec_lo
	s_waitcnt vmcnt(37) lgkmcnt(8)
	v_mul_f32_e32 v1, v2, v6
	v_mul_f32_e32 v6, v3, v6
	s_waitcnt vmcnt(36)
	v_mul_f32_e32 v159, v4, v7
	v_mul_f32_e32 v7, v5, v7
	s_waitcnt vmcnt(35) lgkmcnt(7)
	v_mul_f32_e32 v160, v92, v8
	s_waitcnt vmcnt(34)
	v_mul_f32_e32 v161, v94, v124
	s_waitcnt vmcnt(33) lgkmcnt(6)
	v_mul_f32_e32 v162, v96, v125
	s_waitcnt vmcnt(32)
	v_mul_f32_e32 v163, v98, v126
	s_waitcnt vmcnt(31) lgkmcnt(5)
	v_mul_f32_e32 v164, v100, v127
	s_waitcnt vmcnt(30)
	v_mul_f32_e32 v165, v102, v128
	s_waitcnt vmcnt(29) lgkmcnt(4)
	v_mul_f32_e32 v166, v104, v129
	s_waitcnt vmcnt(28)
	v_mul_f32_e32 v167, v106, v130
	s_waitcnt vmcnt(27) lgkmcnt(3)
	v_mul_f32_e32 v168, v108, v131
	s_waitcnt vmcnt(26)
	v_mul_f32_e32 v169, v110, v132
	s_waitcnt vmcnt(25) lgkmcnt(2)
	v_mul_f32_e32 v170, v112, v133
	s_waitcnt vmcnt(24)
	v_mul_f32_e32 v171, v114, v134
	s_waitcnt vmcnt(23) lgkmcnt(1)
	v_mul_f32_e32 v172, v116, v135
	s_waitcnt vmcnt(22)
	v_mul_f32_e32 v173, v118, v136
	s_waitcnt vmcnt(19)
	v_fma_f32 v2, v2, v139, -v6
	v_fmac_f32_e32 v1, v3, v139
	v_mul_f32_e32 v3, v93, v8
	s_waitcnt vmcnt(18)
	v_fma_f32 v4, v4, v140, -v7
	v_fmac_f32_e32 v159, v5, v140
	v_add_f32_e32 v2, 0, v2
	v_add_f32_e32 v1, 0, v1
	v_mul_f32_e32 v5, v95, v124
	s_waitcnt vmcnt(17)
	v_fma_f32 v3, v92, v141, -v3
	v_fmac_f32_e32 v160, v93, v141
	v_add_f32_e32 v2, v2, v4
	v_add_f32_e32 v1, v1, v159
	;; [unrolled: 6-line block ×14, first 2 shown]
	s_waitcnt lgkmcnt(0)
	v_mul_f32_e32 v4, v121, v137
	s_waitcnt vmcnt(4)
	v_fma_f32 v5, v118, v154, -v5
	v_mul_f32_e32 v174, v120, v137
	v_add_f32_e32 v2, v2, v3
	v_fmac_f32_e32 v173, v119, v154
	v_add_f32_e32 v1, v1, v172
	v_mul_f32_e32 v3, v123, v138
	s_waitcnt vmcnt(3)
	v_fma_f32 v4, v120, v155, -v4
	v_add_f32_e32 v2, v2, v5
	v_mul_f32_e32 v175, v122, v138
	v_fmac_f32_e32 v174, v121, v155
	v_add_f32_e32 v1, v1, v173
	s_waitcnt vmcnt(2)
	v_fma_f32 v3, v122, v156, -v3
	v_add_f32_e32 v2, v2, v4
	v_fmac_f32_e32 v175, v123, v156
	v_add_f32_e32 v1, v1, v174
	v_add_f32_e32 v2, v2, v3
	;; [unrolled: 1-line block ×3, first 2 shown]
	s_waitcnt vmcnt(1)
	v_sub_f32_e32 v2, v157, v2
	s_waitcnt vmcnt(0)
	v_sub_f32_e32 v1, v158, v1
	buffer_store_dword v2, off, s[0:3], 0 offset:176
	buffer_store_dword v1, off, s[0:3], 0 offset:180
	v_cmpx_lt_u32_e32 21, v0
	s_cbranch_execz .LBB104_217
; %bb.216:
	s_clause 0x1
	buffer_load_dword v1, off, s[0:3], 0 offset:168
	buffer_load_dword v2, off, s[0:3], 0 offset:172
	v_mov_b32_e32 v3, 0
	buffer_store_dword v3, off, s[0:3], 0 offset:168
	buffer_store_dword v3, off, s[0:3], 0 offset:172
	s_waitcnt vmcnt(0)
	ds_write_b64 v91, v[1:2]
.LBB104_217:
	s_or_b32 exec_lo, exec_lo, s4
	s_waitcnt lgkmcnt(0)
	s_waitcnt_vscnt null, 0x0
	s_barrier
	buffer_gl0_inv
	s_clause 0x27
	buffer_load_dword v8, off, s[0:3], 0 offset:180
	buffer_load_dword v124, off, s[0:3], 0 offset:188
	buffer_load_dword v125, off, s[0:3], 0 offset:196
	buffer_load_dword v126, off, s[0:3], 0 offset:204
	buffer_load_dword v127, off, s[0:3], 0 offset:212
	buffer_load_dword v128, off, s[0:3], 0 offset:220
	buffer_load_dword v129, off, s[0:3], 0 offset:228
	buffer_load_dword v130, off, s[0:3], 0 offset:236
	buffer_load_dword v131, off, s[0:3], 0 offset:244
	buffer_load_dword v132, off, s[0:3], 0 offset:252
	buffer_load_dword v133, off, s[0:3], 0 offset:260
	buffer_load_dword v134, off, s[0:3], 0 offset:268
	buffer_load_dword v135, off, s[0:3], 0 offset:276
	buffer_load_dword v136, off, s[0:3], 0 offset:284
	buffer_load_dword v137, off, s[0:3], 0 offset:292
	buffer_load_dword v138, off, s[0:3], 0 offset:300
	buffer_load_dword v139, off, s[0:3], 0 offset:308
	buffer_load_dword v140, off, s[0:3], 0 offset:316
	buffer_load_dword v141, off, s[0:3], 0 offset:324
	buffer_load_dword v142, off, s[0:3], 0 offset:176
	buffer_load_dword v143, off, s[0:3], 0 offset:184
	buffer_load_dword v144, off, s[0:3], 0 offset:192
	buffer_load_dword v145, off, s[0:3], 0 offset:200
	buffer_load_dword v146, off, s[0:3], 0 offset:208
	buffer_load_dword v147, off, s[0:3], 0 offset:216
	buffer_load_dword v148, off, s[0:3], 0 offset:224
	buffer_load_dword v149, off, s[0:3], 0 offset:232
	buffer_load_dword v150, off, s[0:3], 0 offset:240
	buffer_load_dword v151, off, s[0:3], 0 offset:248
	buffer_load_dword v152, off, s[0:3], 0 offset:256
	buffer_load_dword v153, off, s[0:3], 0 offset:264
	buffer_load_dword v154, off, s[0:3], 0 offset:272
	buffer_load_dword v155, off, s[0:3], 0 offset:280
	buffer_load_dword v156, off, s[0:3], 0 offset:288
	buffer_load_dword v157, off, s[0:3], 0 offset:296
	buffer_load_dword v158, off, s[0:3], 0 offset:304
	buffer_load_dword v159, off, s[0:3], 0 offset:312
	buffer_load_dword v160, off, s[0:3], 0 offset:320
	buffer_load_dword v161, off, s[0:3], 0 offset:168
	buffer_load_dword v162, off, s[0:3], 0 offset:172
	v_mov_b32_e32 v1, 0
	ds_read_b128 v[2:5], v1 offset:512
	ds_read_b128 v[92:95], v1 offset:528
	;; [unrolled: 1-line block ×9, first 2 shown]
	ds_read_b64 v[6:7], v1 offset:656
	s_mov_b32 s4, exec_lo
	s_waitcnt vmcnt(39) lgkmcnt(9)
	v_mul_f32_e32 v163, v2, v8
	v_mul_f32_e32 v8, v3, v8
	s_waitcnt vmcnt(38)
	v_mul_f32_e32 v164, v4, v124
	v_mul_f32_e32 v124, v5, v124
	s_waitcnt vmcnt(37) lgkmcnt(8)
	v_mul_f32_e32 v165, v92, v125
	s_waitcnt vmcnt(36)
	v_mul_f32_e32 v166, v94, v126
	s_waitcnt vmcnt(35) lgkmcnt(7)
	v_mul_f32_e32 v167, v96, v127
	s_waitcnt vmcnt(34)
	;; [unrolled: 4-line block ×8, first 2 shown]
	v_fma_f32 v2, v2, v142, -v8
	v_fmac_f32_e32 v163, v3, v142
	v_mul_f32_e32 v3, v93, v125
	s_waitcnt vmcnt(19)
	v_fma_f32 v4, v4, v143, -v124
	v_fmac_f32_e32 v164, v5, v143
	v_add_f32_e32 v2, 0, v2
	v_add_f32_e32 v5, 0, v163
	v_mul_f32_e32 v8, v95, v126
	s_waitcnt vmcnt(18)
	v_fma_f32 v3, v92, v144, -v3
	v_fmac_f32_e32 v165, v93, v144
	v_add_f32_e32 v2, v2, v4
	v_add_f32_e32 v4, v5, v164
	;; [unrolled: 6-line block ×15, first 2 shown]
	v_mul_f32_e32 v4, v123, v140
	s_waitcnt vmcnt(4)
	v_fma_f32 v5, v120, v158, -v5
	v_mul_f32_e32 v180, v122, v140
	v_add_f32_e32 v2, v2, v8
	v_fmac_f32_e32 v179, v121, v158
	v_add_f32_e32 v3, v3, v178
	s_waitcnt lgkmcnt(0)
	v_mul_f32_e32 v8, v7, v141
	s_waitcnt vmcnt(3)
	v_fma_f32 v4, v122, v159, -v4
	v_add_f32_e32 v2, v2, v5
	v_mul_f32_e32 v181, v6, v141
	v_fmac_f32_e32 v180, v123, v159
	v_add_f32_e32 v3, v3, v179
	s_waitcnt vmcnt(2)
	v_fma_f32 v5, v6, v160, -v8
	v_add_f32_e32 v2, v2, v4
	v_fmac_f32_e32 v181, v7, v160
	v_add_f32_e32 v3, v3, v180
	v_add_f32_e32 v2, v2, v5
	;; [unrolled: 1-line block ×3, first 2 shown]
	s_waitcnt vmcnt(1)
	v_sub_f32_e32 v2, v161, v2
	s_waitcnt vmcnt(0)
	v_sub_f32_e32 v3, v162, v3
	buffer_store_dword v2, off, s[0:3], 0 offset:168
	buffer_store_dword v3, off, s[0:3], 0 offset:172
	v_cmpx_lt_u32_e32 20, v0
	s_cbranch_execz .LBB104_219
; %bb.218:
	s_clause 0x1
	buffer_load_dword v2, off, s[0:3], 0 offset:160
	buffer_load_dword v3, off, s[0:3], 0 offset:164
	buffer_store_dword v1, off, s[0:3], 0 offset:160
	buffer_store_dword v1, off, s[0:3], 0 offset:164
	s_waitcnt vmcnt(0)
	ds_write_b64 v91, v[2:3]
.LBB104_219:
	s_or_b32 exec_lo, exec_lo, s4
	s_waitcnt lgkmcnt(0)
	s_waitcnt_vscnt null, 0x0
	s_barrier
	buffer_gl0_inv
	s_clause 0x29
	buffer_load_dword v6, off, s[0:3], 0 offset:172
	buffer_load_dword v7, off, s[0:3], 0 offset:180
	;; [unrolled: 1-line block ×42, first 2 shown]
	ds_read2_b64 v[2:5], v1 offset0:63 offset1:64
	ds_read2_b64 v[92:95], v1 offset0:65 offset1:66
	;; [unrolled: 1-line block ×10, first 2 shown]
	s_mov_b32 s4, exec_lo
	s_waitcnt vmcnt(41) lgkmcnt(9)
	v_mul_f32_e32 v1, v2, v6
	v_mul_f32_e32 v6, v3, v6
	s_waitcnt vmcnt(40)
	v_mul_f32_e32 v167, v4, v7
	v_mul_f32_e32 v7, v5, v7
	s_waitcnt vmcnt(39) lgkmcnt(8)
	v_mul_f32_e32 v168, v92, v8
	s_waitcnt vmcnt(38)
	v_mul_f32_e32 v169, v94, v128
	s_waitcnt vmcnt(37) lgkmcnt(7)
	v_mul_f32_e32 v170, v96, v129
	s_waitcnt vmcnt(36)
	;; [unrolled: 4-line block ×8, first 2 shown]
	v_mul_f32_e32 v183, v122, v142
	s_waitcnt vmcnt(21)
	v_fma_f32 v2, v2, v145, -v6
	v_fmac_f32_e32 v1, v3, v145
	v_mul_f32_e32 v3, v93, v8
	s_waitcnt vmcnt(20)
	v_fma_f32 v4, v4, v146, -v7
	v_fmac_f32_e32 v167, v5, v146
	v_add_f32_e32 v2, 0, v2
	v_add_f32_e32 v1, 0, v1
	v_mul_f32_e32 v5, v95, v128
	s_waitcnt vmcnt(19)
	v_fma_f32 v3, v92, v147, -v3
	v_fmac_f32_e32 v168, v93, v147
	v_add_f32_e32 v2, v2, v4
	v_add_f32_e32 v1, v1, v167
	;; [unrolled: 6-line block ×16, first 2 shown]
	s_waitcnt lgkmcnt(0)
	v_mul_f32_e32 v5, v125, v143
	s_waitcnt vmcnt(4)
	v_fma_f32 v3, v122, v162, -v3
	v_mul_f32_e32 v184, v124, v143
	v_add_f32_e32 v2, v2, v4
	v_fmac_f32_e32 v183, v123, v162
	v_add_f32_e32 v1, v1, v182
	v_mul_f32_e32 v4, v127, v144
	s_waitcnt vmcnt(3)
	v_fma_f32 v5, v124, v163, -v5
	v_add_f32_e32 v2, v2, v3
	v_mul_f32_e32 v185, v126, v144
	v_fmac_f32_e32 v184, v125, v163
	v_add_f32_e32 v1, v1, v183
	s_waitcnt vmcnt(2)
	v_fma_f32 v3, v126, v164, -v4
	v_add_f32_e32 v2, v2, v5
	v_fmac_f32_e32 v185, v127, v164
	v_add_f32_e32 v1, v1, v184
	v_add_f32_e32 v2, v2, v3
	;; [unrolled: 1-line block ×3, first 2 shown]
	s_waitcnt vmcnt(1)
	v_sub_f32_e32 v2, v165, v2
	s_waitcnt vmcnt(0)
	v_sub_f32_e32 v1, v166, v1
	buffer_store_dword v2, off, s[0:3], 0 offset:160
	buffer_store_dword v1, off, s[0:3], 0 offset:164
	v_cmpx_lt_u32_e32 19, v0
	s_cbranch_execz .LBB104_221
; %bb.220:
	s_clause 0x1
	buffer_load_dword v1, off, s[0:3], 0 offset:152
	buffer_load_dword v2, off, s[0:3], 0 offset:156
	v_mov_b32_e32 v3, 0
	buffer_store_dword v3, off, s[0:3], 0 offset:152
	buffer_store_dword v3, off, s[0:3], 0 offset:156
	s_waitcnt vmcnt(0)
	ds_write_b64 v91, v[1:2]
.LBB104_221:
	s_or_b32 exec_lo, exec_lo, s4
	s_waitcnt lgkmcnt(0)
	s_waitcnt_vscnt null, 0x0
	s_barrier
	buffer_gl0_inv
	s_clause 0x2b
	buffer_load_dword v8, off, s[0:3], 0 offset:164
	buffer_load_dword v128, off, s[0:3], 0 offset:172
	;; [unrolled: 1-line block ×44, first 2 shown]
	v_mov_b32_e32 v1, 0
	ds_read_b128 v[2:5], v1 offset:496
	ds_read_b128 v[92:95], v1 offset:512
	;; [unrolled: 1-line block ×10, first 2 shown]
	ds_read_b64 v[6:7], v1 offset:656
	s_mov_b32 s4, exec_lo
	s_waitcnt vmcnt(43) lgkmcnt(10)
	v_mul_f32_e32 v171, v2, v8
	v_mul_f32_e32 v8, v3, v8
	s_waitcnt vmcnt(42)
	v_mul_f32_e32 v172, v4, v128
	v_mul_f32_e32 v128, v5, v128
	s_waitcnt vmcnt(41) lgkmcnt(9)
	v_mul_f32_e32 v173, v92, v129
	s_waitcnt vmcnt(40)
	v_mul_f32_e32 v174, v94, v130
	s_waitcnt vmcnt(39) lgkmcnt(8)
	v_mul_f32_e32 v175, v96, v131
	s_waitcnt vmcnt(38)
	;; [unrolled: 4-line block ×9, first 2 shown]
	v_fma_f32 v2, v2, v148, -v8
	v_fmac_f32_e32 v171, v3, v148
	v_mul_f32_e32 v3, v93, v129
	s_waitcnt vmcnt(21)
	v_fma_f32 v4, v4, v149, -v128
	v_fmac_f32_e32 v172, v5, v149
	v_add_f32_e32 v2, 0, v2
	v_add_f32_e32 v5, 0, v171
	v_mul_f32_e32 v8, v95, v130
	s_waitcnt vmcnt(20)
	v_fma_f32 v3, v92, v150, -v3
	v_fmac_f32_e32 v173, v93, v150
	v_add_f32_e32 v2, v2, v4
	v_add_f32_e32 v4, v5, v172
	;; [unrolled: 6-line block ×17, first 2 shown]
	v_mul_f32_e32 v5, v127, v146
	s_waitcnt vmcnt(4)
	v_fma_f32 v8, v124, v166, -v8
	v_mul_f32_e32 v190, v126, v146
	v_add_f32_e32 v2, v2, v4
	v_fmac_f32_e32 v189, v125, v166
	v_add_f32_e32 v3, v3, v188
	s_waitcnt lgkmcnt(0)
	v_mul_f32_e32 v4, v7, v147
	s_waitcnt vmcnt(3)
	v_fma_f32 v5, v126, v167, -v5
	v_add_f32_e32 v2, v2, v8
	v_mul_f32_e32 v191, v6, v147
	v_fmac_f32_e32 v190, v127, v167
	v_add_f32_e32 v3, v3, v189
	s_waitcnt vmcnt(2)
	v_fma_f32 v4, v6, v168, -v4
	v_add_f32_e32 v2, v2, v5
	v_fmac_f32_e32 v191, v7, v168
	v_add_f32_e32 v3, v3, v190
	v_add_f32_e32 v2, v2, v4
	;; [unrolled: 1-line block ×3, first 2 shown]
	s_waitcnt vmcnt(1)
	v_sub_f32_e32 v2, v169, v2
	s_waitcnt vmcnt(0)
	v_sub_f32_e32 v3, v170, v3
	buffer_store_dword v2, off, s[0:3], 0 offset:152
	buffer_store_dword v3, off, s[0:3], 0 offset:156
	v_cmpx_lt_u32_e32 18, v0
	s_cbranch_execz .LBB104_223
; %bb.222:
	s_clause 0x1
	buffer_load_dword v2, off, s[0:3], 0 offset:144
	buffer_load_dword v3, off, s[0:3], 0 offset:148
	buffer_store_dword v1, off, s[0:3], 0 offset:144
	buffer_store_dword v1, off, s[0:3], 0 offset:148
	s_waitcnt vmcnt(0)
	ds_write_b64 v91, v[2:3]
.LBB104_223:
	s_or_b32 exec_lo, exec_lo, s4
	s_waitcnt lgkmcnt(0)
	s_waitcnt_vscnt null, 0x0
	s_barrier
	buffer_gl0_inv
	s_clause 0x2d
	buffer_load_dword v6, off, s[0:3], 0 offset:156
	buffer_load_dword v7, off, s[0:3], 0 offset:164
	;; [unrolled: 1-line block ×46, first 2 shown]
	ds_read2_b64 v[2:5], v1 offset0:61 offset1:62
	ds_read2_b64 v[92:95], v1 offset0:63 offset1:64
	;; [unrolled: 1-line block ×11, first 2 shown]
	s_mov_b32 s4, exec_lo
	s_waitcnt vmcnt(45) lgkmcnt(10)
	v_mul_f32_e32 v1, v2, v6
	v_mul_f32_e32 v6, v3, v6
	s_waitcnt vmcnt(44)
	v_mul_f32_e32 v175, v4, v7
	v_mul_f32_e32 v7, v5, v7
	s_waitcnt vmcnt(43) lgkmcnt(9)
	v_mul_f32_e32 v176, v92, v8
	s_waitcnt vmcnt(42)
	v_mul_f32_e32 v177, v94, v132
	s_waitcnt vmcnt(41) lgkmcnt(8)
	v_mul_f32_e32 v178, v96, v133
	s_waitcnt vmcnt(40)
	;; [unrolled: 4-line block ×9, first 2 shown]
	v_mul_f32_e32 v193, v126, v148
	s_waitcnt vmcnt(23)
	v_fma_f32 v2, v2, v151, -v6
	v_fmac_f32_e32 v1, v3, v151
	v_mul_f32_e32 v3, v93, v8
	s_waitcnt vmcnt(22)
	v_fma_f32 v4, v4, v152, -v7
	v_fmac_f32_e32 v175, v5, v152
	v_add_f32_e32 v2, 0, v2
	v_add_f32_e32 v1, 0, v1
	v_mul_f32_e32 v5, v95, v132
	s_waitcnt vmcnt(21)
	v_fma_f32 v3, v92, v153, -v3
	v_fmac_f32_e32 v176, v93, v153
	v_add_f32_e32 v2, v2, v4
	v_add_f32_e32 v1, v1, v175
	v_mul_f32_e32 v4, v97, v133
	s_waitcnt vmcnt(20)
	v_fma_f32 v5, v94, v154, -v5
	v_fmac_f32_e32 v177, v95, v154
	v_add_f32_e32 v2, v2, v3
	v_add_f32_e32 v1, v1, v176
	v_mul_f32_e32 v3, v99, v134
	s_waitcnt vmcnt(19)
	v_fma_f32 v4, v96, v155, -v4
	v_fmac_f32_e32 v178, v97, v155
	v_add_f32_e32 v2, v2, v5
	v_add_f32_e32 v1, v1, v177
	v_mul_f32_e32 v5, v101, v135
	s_waitcnt vmcnt(18)
	v_fma_f32 v3, v98, v156, -v3
	v_fmac_f32_e32 v179, v99, v156
	v_add_f32_e32 v2, v2, v4
	v_add_f32_e32 v1, v1, v178
	v_mul_f32_e32 v4, v103, v136
	s_waitcnt vmcnt(17)
	v_fma_f32 v5, v100, v157, -v5
	v_fmac_f32_e32 v180, v101, v157
	v_add_f32_e32 v2, v2, v3
	v_add_f32_e32 v1, v1, v179
	v_mul_f32_e32 v3, v105, v137
	s_waitcnt vmcnt(16)
	v_fma_f32 v4, v102, v158, -v4
	v_fmac_f32_e32 v181, v103, v158
	v_add_f32_e32 v2, v2, v5
	v_add_f32_e32 v1, v1, v180
	v_mul_f32_e32 v5, v107, v138
	s_waitcnt vmcnt(15)
	v_fma_f32 v3, v104, v159, -v3
	v_fmac_f32_e32 v182, v105, v159
	v_add_f32_e32 v2, v2, v4
	v_add_f32_e32 v1, v1, v181
	v_mul_f32_e32 v4, v109, v139
	s_waitcnt vmcnt(14)
	v_fma_f32 v5, v106, v160, -v5
	v_fmac_f32_e32 v183, v107, v160
	v_add_f32_e32 v2, v2, v3
	v_add_f32_e32 v1, v1, v182
	v_mul_f32_e32 v3, v111, v140
	s_waitcnt vmcnt(13)
	v_fma_f32 v4, v108, v161, -v4
	v_fmac_f32_e32 v184, v109, v161
	v_add_f32_e32 v2, v2, v5
	v_add_f32_e32 v1, v1, v183
	v_mul_f32_e32 v5, v113, v141
	s_waitcnt vmcnt(12)
	v_fma_f32 v3, v110, v162, -v3
	v_fmac_f32_e32 v185, v111, v162
	v_add_f32_e32 v2, v2, v4
	v_add_f32_e32 v1, v1, v184
	v_mul_f32_e32 v4, v115, v142
	s_waitcnt vmcnt(11)
	v_fma_f32 v5, v112, v163, -v5
	v_fmac_f32_e32 v186, v113, v163
	v_add_f32_e32 v2, v2, v3
	v_add_f32_e32 v1, v1, v185
	v_mul_f32_e32 v3, v117, v143
	s_waitcnt vmcnt(10)
	v_fma_f32 v4, v114, v164, -v4
	v_fmac_f32_e32 v187, v115, v164
	v_add_f32_e32 v2, v2, v5
	v_add_f32_e32 v1, v1, v186
	v_mul_f32_e32 v5, v119, v144
	s_waitcnt vmcnt(9)
	v_fma_f32 v3, v116, v165, -v3
	v_fmac_f32_e32 v188, v117, v165
	v_add_f32_e32 v2, v2, v4
	v_add_f32_e32 v1, v1, v187
	v_mul_f32_e32 v4, v121, v145
	s_waitcnt vmcnt(8)
	v_fma_f32 v5, v118, v166, -v5
	v_fmac_f32_e32 v189, v119, v166
	v_add_f32_e32 v2, v2, v3
	v_add_f32_e32 v1, v1, v188
	v_mul_f32_e32 v3, v123, v146
	s_waitcnt vmcnt(7)
	v_fma_f32 v4, v120, v167, -v4
	v_fmac_f32_e32 v190, v121, v167
	v_add_f32_e32 v2, v2, v5
	v_add_f32_e32 v1, v1, v189
	v_mul_f32_e32 v5, v125, v147
	s_waitcnt vmcnt(6)
	v_fma_f32 v3, v122, v168, -v3
	v_fmac_f32_e32 v191, v123, v168
	v_add_f32_e32 v2, v2, v4
	v_add_f32_e32 v1, v1, v190
	v_mul_f32_e32 v4, v127, v148
	s_waitcnt vmcnt(5)
	v_fma_f32 v5, v124, v169, -v5
	v_fmac_f32_e32 v192, v125, v169
	v_add_f32_e32 v2, v2, v3
	v_add_f32_e32 v1, v1, v191
	s_waitcnt lgkmcnt(0)
	v_mul_f32_e32 v3, v129, v149
	s_waitcnt vmcnt(4)
	v_fma_f32 v4, v126, v170, -v4
	v_mul_f32_e32 v194, v128, v149
	v_add_f32_e32 v2, v2, v5
	v_fmac_f32_e32 v193, v127, v170
	v_add_f32_e32 v1, v1, v192
	v_mul_f32_e32 v5, v131, v150
	s_waitcnt vmcnt(3)
	v_fma_f32 v3, v128, v171, -v3
	v_add_f32_e32 v2, v2, v4
	v_mul_f32_e32 v195, v130, v150
	v_fmac_f32_e32 v194, v129, v171
	v_add_f32_e32 v1, v1, v193
	s_waitcnt vmcnt(2)
	v_fma_f32 v4, v130, v172, -v5
	v_add_f32_e32 v2, v2, v3
	v_fmac_f32_e32 v195, v131, v172
	v_add_f32_e32 v1, v1, v194
	v_add_f32_e32 v2, v2, v4
	;; [unrolled: 1-line block ×3, first 2 shown]
	s_waitcnt vmcnt(1)
	v_sub_f32_e32 v2, v173, v2
	s_waitcnt vmcnt(0)
	v_sub_f32_e32 v1, v174, v1
	buffer_store_dword v2, off, s[0:3], 0 offset:144
	buffer_store_dword v1, off, s[0:3], 0 offset:148
	v_cmpx_lt_u32_e32 17, v0
	s_cbranch_execz .LBB104_225
; %bb.224:
	s_clause 0x1
	buffer_load_dword v1, off, s[0:3], 0 offset:136
	buffer_load_dword v2, off, s[0:3], 0 offset:140
	v_mov_b32_e32 v3, 0
	buffer_store_dword v3, off, s[0:3], 0 offset:136
	buffer_store_dword v3, off, s[0:3], 0 offset:140
	s_waitcnt vmcnt(0)
	ds_write_b64 v91, v[1:2]
.LBB104_225:
	s_or_b32 exec_lo, exec_lo, s4
	s_waitcnt lgkmcnt(0)
	s_waitcnt_vscnt null, 0x0
	s_barrier
	buffer_gl0_inv
	s_clause 0x2f
	buffer_load_dword v8, off, s[0:3], 0 offset:148
	buffer_load_dword v132, off, s[0:3], 0 offset:156
	buffer_load_dword v133, off, s[0:3], 0 offset:164
	buffer_load_dword v134, off, s[0:3], 0 offset:172
	buffer_load_dword v135, off, s[0:3], 0 offset:180
	buffer_load_dword v136, off, s[0:3], 0 offset:188
	buffer_load_dword v137, off, s[0:3], 0 offset:196
	buffer_load_dword v138, off, s[0:3], 0 offset:204
	buffer_load_dword v139, off, s[0:3], 0 offset:212
	buffer_load_dword v140, off, s[0:3], 0 offset:220
	buffer_load_dword v141, off, s[0:3], 0 offset:228
	buffer_load_dword v142, off, s[0:3], 0 offset:236
	buffer_load_dword v143, off, s[0:3], 0 offset:244
	buffer_load_dword v144, off, s[0:3], 0 offset:252
	buffer_load_dword v145, off, s[0:3], 0 offset:260
	buffer_load_dword v146, off, s[0:3], 0 offset:268
	buffer_load_dword v147, off, s[0:3], 0 offset:276
	buffer_load_dword v148, off, s[0:3], 0 offset:284
	buffer_load_dword v149, off, s[0:3], 0 offset:292
	buffer_load_dword v150, off, s[0:3], 0 offset:300
	buffer_load_dword v151, off, s[0:3], 0 offset:308
	buffer_load_dword v152, off, s[0:3], 0 offset:316
	buffer_load_dword v153, off, s[0:3], 0 offset:324
	buffer_load_dword v154, off, s[0:3], 0 offset:144
	buffer_load_dword v155, off, s[0:3], 0 offset:152
	buffer_load_dword v156, off, s[0:3], 0 offset:160
	buffer_load_dword v157, off, s[0:3], 0 offset:168
	buffer_load_dword v158, off, s[0:3], 0 offset:176
	buffer_load_dword v159, off, s[0:3], 0 offset:184
	buffer_load_dword v160, off, s[0:3], 0 offset:192
	buffer_load_dword v161, off, s[0:3], 0 offset:200
	buffer_load_dword v162, off, s[0:3], 0 offset:208
	buffer_load_dword v163, off, s[0:3], 0 offset:216
	buffer_load_dword v164, off, s[0:3], 0 offset:224
	buffer_load_dword v165, off, s[0:3], 0 offset:232
	buffer_load_dword v166, off, s[0:3], 0 offset:240
	buffer_load_dword v167, off, s[0:3], 0 offset:248
	buffer_load_dword v168, off, s[0:3], 0 offset:256
	buffer_load_dword v169, off, s[0:3], 0 offset:264
	buffer_load_dword v170, off, s[0:3], 0 offset:272
	buffer_load_dword v171, off, s[0:3], 0 offset:280
	buffer_load_dword v172, off, s[0:3], 0 offset:288
	buffer_load_dword v173, off, s[0:3], 0 offset:296
	buffer_load_dword v174, off, s[0:3], 0 offset:304
	buffer_load_dword v175, off, s[0:3], 0 offset:312
	buffer_load_dword v176, off, s[0:3], 0 offset:320
	buffer_load_dword v177, off, s[0:3], 0 offset:136
	buffer_load_dword v178, off, s[0:3], 0 offset:140
	v_mov_b32_e32 v1, 0
	ds_read_b128 v[2:5], v1 offset:480
	ds_read_b128 v[92:95], v1 offset:496
	;; [unrolled: 1-line block ×11, first 2 shown]
	ds_read_b64 v[6:7], v1 offset:656
	s_mov_b32 s4, exec_lo
	s_waitcnt vmcnt(47) lgkmcnt(11)
	v_mul_f32_e32 v179, v2, v8
	v_mul_f32_e32 v8, v3, v8
	s_waitcnt vmcnt(46)
	v_mul_f32_e32 v180, v4, v132
	v_mul_f32_e32 v132, v5, v132
	s_waitcnt vmcnt(45) lgkmcnt(10)
	v_mul_f32_e32 v181, v92, v133
	s_waitcnt vmcnt(44)
	v_mul_f32_e32 v182, v94, v134
	s_waitcnt vmcnt(43) lgkmcnt(9)
	v_mul_f32_e32 v183, v96, v135
	s_waitcnt vmcnt(42)
	;; [unrolled: 4-line block ×10, first 2 shown]
	v_fma_f32 v2, v2, v154, -v8
	v_fmac_f32_e32 v179, v3, v154
	v_mul_f32_e32 v3, v93, v133
	s_waitcnt vmcnt(23)
	v_fma_f32 v4, v4, v155, -v132
	v_fmac_f32_e32 v180, v5, v155
	v_add_f32_e32 v2, 0, v2
	v_add_f32_e32 v5, 0, v179
	v_mul_f32_e32 v8, v95, v134
	s_waitcnt vmcnt(22)
	v_fma_f32 v3, v92, v156, -v3
	v_fmac_f32_e32 v181, v93, v156
	v_add_f32_e32 v2, v2, v4
	v_add_f32_e32 v4, v5, v180
	v_mul_f32_e32 v5, v97, v135
	s_waitcnt vmcnt(21)
	v_fma_f32 v8, v94, v157, -v8
	v_fmac_f32_e32 v182, v95, v157
	v_add_f32_e32 v2, v2, v3
	v_add_f32_e32 v3, v4, v181
	v_mul_f32_e32 v4, v99, v136
	s_waitcnt vmcnt(20)
	v_fma_f32 v5, v96, v158, -v5
	v_fmac_f32_e32 v183, v97, v158
	v_add_f32_e32 v2, v2, v8
	v_add_f32_e32 v3, v3, v182
	v_mul_f32_e32 v8, v101, v137
	s_waitcnt vmcnt(19)
	v_fma_f32 v4, v98, v159, -v4
	v_fmac_f32_e32 v184, v99, v159
	v_add_f32_e32 v2, v2, v5
	v_add_f32_e32 v3, v3, v183
	v_mul_f32_e32 v5, v103, v138
	s_waitcnt vmcnt(18)
	v_fma_f32 v8, v100, v160, -v8
	v_fmac_f32_e32 v185, v101, v160
	v_add_f32_e32 v2, v2, v4
	v_add_f32_e32 v3, v3, v184
	v_mul_f32_e32 v4, v105, v139
	s_waitcnt vmcnt(17)
	v_fma_f32 v5, v102, v161, -v5
	v_fmac_f32_e32 v186, v103, v161
	v_add_f32_e32 v2, v2, v8
	v_add_f32_e32 v3, v3, v185
	v_mul_f32_e32 v8, v107, v140
	s_waitcnt vmcnt(16)
	v_fma_f32 v4, v104, v162, -v4
	v_fmac_f32_e32 v187, v105, v162
	v_add_f32_e32 v2, v2, v5
	v_add_f32_e32 v3, v3, v186
	v_mul_f32_e32 v5, v109, v141
	s_waitcnt vmcnt(15)
	v_fma_f32 v8, v106, v163, -v8
	v_fmac_f32_e32 v188, v107, v163
	v_add_f32_e32 v2, v2, v4
	v_add_f32_e32 v3, v3, v187
	v_mul_f32_e32 v4, v111, v142
	s_waitcnt vmcnt(14)
	v_fma_f32 v5, v108, v164, -v5
	v_fmac_f32_e32 v189, v109, v164
	v_add_f32_e32 v2, v2, v8
	v_add_f32_e32 v3, v3, v188
	v_mul_f32_e32 v8, v113, v143
	s_waitcnt vmcnt(13)
	v_fma_f32 v4, v110, v165, -v4
	v_fmac_f32_e32 v190, v111, v165
	v_add_f32_e32 v2, v2, v5
	v_add_f32_e32 v3, v3, v189
	v_mul_f32_e32 v5, v115, v144
	s_waitcnt vmcnt(12)
	v_fma_f32 v8, v112, v166, -v8
	v_fmac_f32_e32 v191, v113, v166
	v_add_f32_e32 v2, v2, v4
	v_add_f32_e32 v3, v3, v190
	v_mul_f32_e32 v4, v117, v145
	s_waitcnt vmcnt(11)
	v_fma_f32 v5, v114, v167, -v5
	v_fmac_f32_e32 v192, v115, v167
	v_add_f32_e32 v2, v2, v8
	v_add_f32_e32 v3, v3, v191
	v_mul_f32_e32 v8, v119, v146
	s_waitcnt vmcnt(10)
	v_fma_f32 v4, v116, v168, -v4
	v_fmac_f32_e32 v193, v117, v168
	v_add_f32_e32 v2, v2, v5
	v_add_f32_e32 v3, v3, v192
	v_mul_f32_e32 v5, v121, v147
	s_waitcnt vmcnt(9)
	v_fma_f32 v8, v118, v169, -v8
	v_fmac_f32_e32 v194, v119, v169
	v_add_f32_e32 v2, v2, v4
	v_add_f32_e32 v3, v3, v193
	v_mul_f32_e32 v4, v123, v148
	s_waitcnt vmcnt(8)
	v_fma_f32 v5, v120, v170, -v5
	v_fmac_f32_e32 v195, v121, v170
	v_add_f32_e32 v2, v2, v8
	v_add_f32_e32 v3, v3, v194
	v_mul_f32_e32 v8, v125, v149
	s_waitcnt vmcnt(7)
	v_fma_f32 v4, v122, v171, -v4
	v_fmac_f32_e32 v196, v123, v171
	v_add_f32_e32 v2, v2, v5
	v_add_f32_e32 v3, v3, v195
	v_mul_f32_e32 v5, v127, v150
	s_waitcnt vmcnt(6)
	v_fma_f32 v8, v124, v172, -v8
	v_fmac_f32_e32 v197, v125, v172
	v_add_f32_e32 v2, v2, v4
	v_add_f32_e32 v3, v3, v196
	v_mul_f32_e32 v4, v129, v151
	s_waitcnt vmcnt(5)
	v_fma_f32 v5, v126, v173, -v5
	v_fmac_f32_e32 v198, v127, v173
	v_add_f32_e32 v2, v2, v8
	v_add_f32_e32 v3, v3, v197
	v_mul_f32_e32 v8, v131, v152
	s_waitcnt vmcnt(4)
	v_fma_f32 v4, v128, v174, -v4
	v_mul_f32_e32 v200, v130, v152
	v_add_f32_e32 v2, v2, v5
	v_fmac_f32_e32 v199, v129, v174
	v_add_f32_e32 v3, v3, v198
	s_waitcnt lgkmcnt(0)
	v_mul_f32_e32 v5, v7, v153
	s_waitcnt vmcnt(3)
	v_fma_f32 v8, v130, v175, -v8
	v_add_f32_e32 v2, v2, v4
	v_mul_f32_e32 v201, v6, v153
	v_fmac_f32_e32 v200, v131, v175
	v_add_f32_e32 v3, v3, v199
	s_waitcnt vmcnt(2)
	v_fma_f32 v4, v6, v176, -v5
	v_add_f32_e32 v2, v2, v8
	v_fmac_f32_e32 v201, v7, v176
	v_add_f32_e32 v3, v3, v200
	v_add_f32_e32 v2, v2, v4
	;; [unrolled: 1-line block ×3, first 2 shown]
	s_waitcnt vmcnt(1)
	v_sub_f32_e32 v2, v177, v2
	s_waitcnt vmcnt(0)
	v_sub_f32_e32 v3, v178, v3
	buffer_store_dword v2, off, s[0:3], 0 offset:136
	buffer_store_dword v3, off, s[0:3], 0 offset:140
	v_cmpx_lt_u32_e32 16, v0
	s_cbranch_execz .LBB104_227
; %bb.226:
	s_clause 0x1
	buffer_load_dword v2, off, s[0:3], 0 offset:128
	buffer_load_dword v3, off, s[0:3], 0 offset:132
	buffer_store_dword v1, off, s[0:3], 0 offset:128
	buffer_store_dword v1, off, s[0:3], 0 offset:132
	s_waitcnt vmcnt(0)
	ds_write_b64 v91, v[2:3]
.LBB104_227:
	s_or_b32 exec_lo, exec_lo, s4
	s_waitcnt lgkmcnt(0)
	s_waitcnt_vscnt null, 0x0
	s_barrier
	buffer_gl0_inv
	s_clause 0x31
	buffer_load_dword v6, off, s[0:3], 0 offset:140
	buffer_load_dword v7, off, s[0:3], 0 offset:148
	;; [unrolled: 1-line block ×50, first 2 shown]
	ds_read2_b64 v[2:5], v1 offset0:59 offset1:60
	ds_read2_b64 v[92:95], v1 offset0:61 offset1:62
	;; [unrolled: 1-line block ×12, first 2 shown]
	s_mov_b32 s4, exec_lo
	s_waitcnt vmcnt(49) lgkmcnt(11)
	v_mul_f32_e32 v1, v2, v6
	v_mul_f32_e32 v6, v3, v6
	s_waitcnt vmcnt(48)
	v_mul_f32_e32 v183, v4, v7
	v_mul_f32_e32 v7, v5, v7
	s_waitcnt vmcnt(47) lgkmcnt(10)
	v_mul_f32_e32 v184, v92, v8
	s_waitcnt vmcnt(46)
	v_mul_f32_e32 v185, v94, v136
	s_waitcnt vmcnt(45) lgkmcnt(9)
	v_mul_f32_e32 v186, v96, v137
	s_waitcnt vmcnt(44)
	;; [unrolled: 4-line block ×10, first 2 shown]
	v_mul_f32_e32 v203, v130, v154
	s_waitcnt vmcnt(25)
	v_fma_f32 v2, v2, v157, -v6
	v_fmac_f32_e32 v1, v3, v157
	v_mul_f32_e32 v3, v93, v8
	s_waitcnt vmcnt(24)
	v_fma_f32 v4, v4, v158, -v7
	v_fmac_f32_e32 v183, v5, v158
	v_add_f32_e32 v2, 0, v2
	v_add_f32_e32 v1, 0, v1
	v_mul_f32_e32 v5, v95, v136
	s_waitcnt vmcnt(23)
	v_fma_f32 v3, v92, v159, -v3
	v_fmac_f32_e32 v184, v93, v159
	v_add_f32_e32 v2, v2, v4
	v_add_f32_e32 v1, v1, v183
	;; [unrolled: 6-line block ×20, first 2 shown]
	s_waitcnt lgkmcnt(0)
	v_mul_f32_e32 v4, v133, v155
	s_waitcnt vmcnt(4)
	v_fma_f32 v5, v130, v178, -v5
	v_mul_f32_e32 v204, v132, v155
	v_add_f32_e32 v2, v2, v3
	v_fmac_f32_e32 v203, v131, v178
	v_add_f32_e32 v1, v1, v202
	v_mul_f32_e32 v3, v135, v156
	s_waitcnt vmcnt(3)
	v_fma_f32 v4, v132, v179, -v4
	v_add_f32_e32 v2, v2, v5
	v_mul_f32_e32 v205, v134, v156
	v_fmac_f32_e32 v204, v133, v179
	v_add_f32_e32 v1, v1, v203
	s_waitcnt vmcnt(2)
	v_fma_f32 v3, v134, v180, -v3
	v_add_f32_e32 v2, v2, v4
	v_fmac_f32_e32 v205, v135, v180
	v_add_f32_e32 v1, v1, v204
	v_add_f32_e32 v2, v2, v3
	;; [unrolled: 1-line block ×3, first 2 shown]
	s_waitcnt vmcnt(1)
	v_sub_f32_e32 v2, v181, v2
	s_waitcnt vmcnt(0)
	v_sub_f32_e32 v1, v182, v1
	buffer_store_dword v2, off, s[0:3], 0 offset:128
	buffer_store_dword v1, off, s[0:3], 0 offset:132
	v_cmpx_lt_u32_e32 15, v0
	s_cbranch_execz .LBB104_229
; %bb.228:
	s_clause 0x1
	buffer_load_dword v1, off, s[0:3], 0 offset:120
	buffer_load_dword v2, off, s[0:3], 0 offset:124
	v_mov_b32_e32 v3, 0
	buffer_store_dword v3, off, s[0:3], 0 offset:120
	buffer_store_dword v3, off, s[0:3], 0 offset:124
	s_waitcnt vmcnt(0)
	ds_write_b64 v91, v[1:2]
.LBB104_229:
	s_or_b32 exec_lo, exec_lo, s4
	s_waitcnt lgkmcnt(0)
	s_waitcnt_vscnt null, 0x0
	s_barrier
	buffer_gl0_inv
	s_clause 0x33
	buffer_load_dword v8, off, s[0:3], 0 offset:132
	buffer_load_dword v136, off, s[0:3], 0 offset:140
	;; [unrolled: 1-line block ×52, first 2 shown]
	v_mov_b32_e32 v1, 0
	ds_read_b128 v[2:5], v1 offset:464
	ds_read_b128 v[92:95], v1 offset:480
	;; [unrolled: 1-line block ×12, first 2 shown]
	ds_read_b64 v[6:7], v1 offset:656
	s_mov_b32 s4, exec_lo
	s_waitcnt vmcnt(51) lgkmcnt(12)
	v_mul_f32_e32 v187, v2, v8
	v_mul_f32_e32 v8, v3, v8
	s_waitcnt vmcnt(50)
	v_mul_f32_e32 v188, v4, v136
	v_mul_f32_e32 v136, v5, v136
	s_waitcnt vmcnt(49) lgkmcnt(11)
	v_mul_f32_e32 v189, v92, v137
	s_waitcnt vmcnt(48)
	v_mul_f32_e32 v190, v94, v138
	s_waitcnt vmcnt(47) lgkmcnt(10)
	v_mul_f32_e32 v191, v96, v139
	s_waitcnt vmcnt(46)
	;; [unrolled: 4-line block ×11, first 2 shown]
	v_fma_f32 v2, v2, v160, -v8
	v_fmac_f32_e32 v187, v3, v160
	v_mul_f32_e32 v3, v93, v137
	s_waitcnt vmcnt(25)
	v_fma_f32 v4, v4, v161, -v136
	v_fmac_f32_e32 v188, v5, v161
	v_add_f32_e32 v2, 0, v2
	v_add_f32_e32 v5, 0, v187
	v_mul_f32_e32 v8, v95, v138
	s_waitcnt vmcnt(24)
	v_fma_f32 v3, v92, v162, -v3
	v_fmac_f32_e32 v189, v93, v162
	v_add_f32_e32 v2, v2, v4
	v_add_f32_e32 v4, v5, v188
	;; [unrolled: 6-line block ×21, first 2 shown]
	v_mul_f32_e32 v4, v135, v158
	s_waitcnt vmcnt(4)
	v_fma_f32 v5, v132, v182, -v5
	v_mul_f32_e32 v210, v134, v158
	v_add_f32_e32 v2, v2, v8
	v_fmac_f32_e32 v209, v133, v182
	v_add_f32_e32 v3, v3, v208
	s_waitcnt lgkmcnt(0)
	v_mul_f32_e32 v8, v7, v159
	s_waitcnt vmcnt(3)
	v_fma_f32 v4, v134, v183, -v4
	v_add_f32_e32 v2, v2, v5
	v_mul_f32_e32 v211, v6, v159
	v_fmac_f32_e32 v210, v135, v183
	v_add_f32_e32 v3, v3, v209
	s_waitcnt vmcnt(2)
	v_fma_f32 v5, v6, v184, -v8
	v_add_f32_e32 v2, v2, v4
	v_fmac_f32_e32 v211, v7, v184
	v_add_f32_e32 v3, v3, v210
	v_add_f32_e32 v2, v2, v5
	v_add_f32_e32 v3, v3, v211
	s_waitcnt vmcnt(1)
	v_sub_f32_e32 v2, v185, v2
	s_waitcnt vmcnt(0)
	v_sub_f32_e32 v3, v186, v3
	buffer_store_dword v2, off, s[0:3], 0 offset:120
	buffer_store_dword v3, off, s[0:3], 0 offset:124
	v_cmpx_lt_u32_e32 14, v0
	s_cbranch_execz .LBB104_231
; %bb.230:
	s_clause 0x1
	buffer_load_dword v2, off, s[0:3], 0 offset:112
	buffer_load_dword v3, off, s[0:3], 0 offset:116
	buffer_store_dword v1, off, s[0:3], 0 offset:112
	buffer_store_dword v1, off, s[0:3], 0 offset:116
	s_waitcnt vmcnt(0)
	ds_write_b64 v91, v[2:3]
.LBB104_231:
	s_or_b32 exec_lo, exec_lo, s4
	s_waitcnt lgkmcnt(0)
	s_waitcnt_vscnt null, 0x0
	s_barrier
	buffer_gl0_inv
	s_clause 0x35
	buffer_load_dword v6, off, s[0:3], 0 offset:124
	buffer_load_dword v7, off, s[0:3], 0 offset:132
	;; [unrolled: 1-line block ×54, first 2 shown]
	ds_read2_b64 v[2:5], v1 offset0:57 offset1:58
	ds_read2_b64 v[92:95], v1 offset0:59 offset1:60
	;; [unrolled: 1-line block ×13, first 2 shown]
	s_mov_b32 s4, exec_lo
	s_waitcnt vmcnt(53) lgkmcnt(12)
	v_mul_f32_e32 v1, v2, v6
	v_mul_f32_e32 v6, v3, v6
	s_waitcnt vmcnt(52)
	v_mul_f32_e32 v191, v4, v7
	v_mul_f32_e32 v7, v5, v7
	s_waitcnt vmcnt(51) lgkmcnt(11)
	v_mul_f32_e32 v192, v92, v8
	s_waitcnt vmcnt(50)
	v_mul_f32_e32 v193, v94, v140
	s_waitcnt vmcnt(49) lgkmcnt(10)
	v_mul_f32_e32 v194, v96, v141
	s_waitcnt vmcnt(48)
	;; [unrolled: 4-line block ×11, first 2 shown]
	v_mul_f32_e32 v213, v134, v160
	s_waitcnt vmcnt(27)
	v_fma_f32 v2, v2, v163, -v6
	v_fmac_f32_e32 v1, v3, v163
	v_mul_f32_e32 v3, v93, v8
	s_waitcnt vmcnt(26)
	v_fma_f32 v4, v4, v164, -v7
	v_fmac_f32_e32 v191, v5, v164
	v_add_f32_e32 v2, 0, v2
	v_add_f32_e32 v1, 0, v1
	v_mul_f32_e32 v5, v95, v140
	s_waitcnt vmcnt(25)
	v_fma_f32 v3, v92, v165, -v3
	v_fmac_f32_e32 v192, v93, v165
	v_add_f32_e32 v2, v2, v4
	v_add_f32_e32 v1, v1, v191
	;; [unrolled: 6-line block ×22, first 2 shown]
	s_waitcnt lgkmcnt(0)
	v_mul_f32_e32 v5, v137, v161
	s_waitcnt vmcnt(4)
	v_fma_f32 v3, v134, v186, -v3
	v_mul_f32_e32 v214, v136, v161
	v_add_f32_e32 v2, v2, v4
	v_fmac_f32_e32 v213, v135, v186
	v_add_f32_e32 v1, v1, v212
	v_mul_f32_e32 v4, v139, v162
	s_waitcnt vmcnt(3)
	v_fma_f32 v5, v136, v187, -v5
	v_add_f32_e32 v2, v2, v3
	v_mul_f32_e32 v215, v138, v162
	v_fmac_f32_e32 v214, v137, v187
	v_add_f32_e32 v1, v1, v213
	s_waitcnt vmcnt(2)
	v_fma_f32 v3, v138, v188, -v4
	v_add_f32_e32 v2, v2, v5
	v_fmac_f32_e32 v215, v139, v188
	v_add_f32_e32 v1, v1, v214
	v_add_f32_e32 v2, v2, v3
	v_add_f32_e32 v1, v1, v215
	s_waitcnt vmcnt(1)
	v_sub_f32_e32 v2, v189, v2
	s_waitcnt vmcnt(0)
	v_sub_f32_e32 v1, v190, v1
	buffer_store_dword v2, off, s[0:3], 0 offset:112
	buffer_store_dword v1, off, s[0:3], 0 offset:116
	v_cmpx_lt_u32_e32 13, v0
	s_cbranch_execz .LBB104_233
; %bb.232:
	s_clause 0x1
	buffer_load_dword v1, off, s[0:3], 0 offset:104
	buffer_load_dword v2, off, s[0:3], 0 offset:108
	v_mov_b32_e32 v3, 0
	buffer_store_dword v3, off, s[0:3], 0 offset:104
	buffer_store_dword v3, off, s[0:3], 0 offset:108
	s_waitcnt vmcnt(0)
	ds_write_b64 v91, v[1:2]
.LBB104_233:
	s_or_b32 exec_lo, exec_lo, s4
	s_waitcnt lgkmcnt(0)
	s_waitcnt_vscnt null, 0x0
	s_barrier
	buffer_gl0_inv
	s_clause 0x37
	buffer_load_dword v8, off, s[0:3], 0 offset:116
	buffer_load_dword v140, off, s[0:3], 0 offset:124
	;; [unrolled: 1-line block ×56, first 2 shown]
	v_mov_b32_e32 v1, 0
	ds_read_b128 v[2:5], v1 offset:448
	ds_read_b128 v[92:95], v1 offset:464
	;; [unrolled: 1-line block ×13, first 2 shown]
	ds_read_b64 v[6:7], v1 offset:656
	s_mov_b32 s4, exec_lo
	s_waitcnt vmcnt(55) lgkmcnt(13)
	v_mul_f32_e32 v195, v2, v8
	v_mul_f32_e32 v8, v3, v8
	s_waitcnt vmcnt(54)
	v_mul_f32_e32 v196, v4, v140
	v_mul_f32_e32 v140, v5, v140
	s_waitcnt vmcnt(53) lgkmcnt(12)
	v_mul_f32_e32 v197, v92, v141
	s_waitcnt vmcnt(52)
	v_mul_f32_e32 v198, v94, v142
	s_waitcnt vmcnt(51) lgkmcnt(11)
	v_mul_f32_e32 v199, v96, v143
	s_waitcnt vmcnt(50)
	;; [unrolled: 4-line block ×12, first 2 shown]
	v_fma_f32 v2, v2, v166, -v8
	v_fmac_f32_e32 v195, v3, v166
	v_mul_f32_e32 v3, v93, v141
	s_waitcnt vmcnt(27)
	v_fma_f32 v4, v4, v167, -v140
	v_fmac_f32_e32 v196, v5, v167
	v_add_f32_e32 v2, 0, v2
	v_add_f32_e32 v5, 0, v195
	v_mul_f32_e32 v8, v95, v142
	s_waitcnt vmcnt(26)
	v_fma_f32 v3, v92, v168, -v3
	v_fmac_f32_e32 v197, v93, v168
	v_add_f32_e32 v2, v2, v4
	v_add_f32_e32 v4, v5, v196
	;; [unrolled: 6-line block ×23, first 2 shown]
	v_mul_f32_e32 v5, v139, v164
	s_waitcnt vmcnt(4)
	v_fma_f32 v8, v136, v190, -v8
	v_mul_f32_e32 v220, v138, v164
	v_add_f32_e32 v2, v2, v4
	v_fmac_f32_e32 v219, v137, v190
	v_add_f32_e32 v3, v3, v218
	s_waitcnt lgkmcnt(0)
	v_mul_f32_e32 v4, v7, v165
	s_waitcnt vmcnt(3)
	v_fma_f32 v5, v138, v191, -v5
	v_add_f32_e32 v2, v2, v8
	v_mul_f32_e32 v221, v6, v165
	v_fmac_f32_e32 v220, v139, v191
	v_add_f32_e32 v3, v3, v219
	s_waitcnt vmcnt(2)
	v_fma_f32 v4, v6, v192, -v4
	v_add_f32_e32 v2, v2, v5
	v_fmac_f32_e32 v221, v7, v192
	v_add_f32_e32 v3, v3, v220
	v_add_f32_e32 v2, v2, v4
	;; [unrolled: 1-line block ×3, first 2 shown]
	s_waitcnt vmcnt(1)
	v_sub_f32_e32 v2, v193, v2
	s_waitcnt vmcnt(0)
	v_sub_f32_e32 v3, v194, v3
	buffer_store_dword v2, off, s[0:3], 0 offset:104
	buffer_store_dword v3, off, s[0:3], 0 offset:108
	v_cmpx_lt_u32_e32 12, v0
	s_cbranch_execz .LBB104_235
; %bb.234:
	s_clause 0x1
	buffer_load_dword v2, off, s[0:3], 0 offset:96
	buffer_load_dword v3, off, s[0:3], 0 offset:100
	buffer_store_dword v1, off, s[0:3], 0 offset:96
	buffer_store_dword v1, off, s[0:3], 0 offset:100
	s_waitcnt vmcnt(0)
	ds_write_b64 v91, v[2:3]
.LBB104_235:
	s_or_b32 exec_lo, exec_lo, s4
	s_waitcnt lgkmcnt(0)
	s_waitcnt_vscnt null, 0x0
	s_barrier
	buffer_gl0_inv
	s_clause 0x39
	buffer_load_dword v6, off, s[0:3], 0 offset:108
	buffer_load_dword v7, off, s[0:3], 0 offset:116
	;; [unrolled: 1-line block ×58, first 2 shown]
	ds_read2_b64 v[2:5], v1 offset0:55 offset1:56
	ds_read2_b64 v[92:95], v1 offset0:57 offset1:58
	;; [unrolled: 1-line block ×14, first 2 shown]
	s_mov_b32 s4, exec_lo
	s_waitcnt vmcnt(57) lgkmcnt(13)
	v_mul_f32_e32 v1, v2, v6
	v_mul_f32_e32 v6, v3, v6
	s_waitcnt vmcnt(56)
	v_mul_f32_e32 v199, v4, v7
	v_mul_f32_e32 v7, v5, v7
	s_waitcnt vmcnt(55) lgkmcnt(12)
	v_mul_f32_e32 v200, v92, v8
	s_waitcnt vmcnt(54)
	v_mul_f32_e32 v201, v94, v144
	s_waitcnt vmcnt(53) lgkmcnt(11)
	v_mul_f32_e32 v202, v96, v145
	s_waitcnt vmcnt(52)
	v_mul_f32_e32 v203, v98, v146
	s_waitcnt vmcnt(51) lgkmcnt(10)
	v_mul_f32_e32 v204, v100, v147
	s_waitcnt vmcnt(50)
	v_mul_f32_e32 v205, v102, v148
	s_waitcnt vmcnt(49) lgkmcnt(9)
	v_mul_f32_e32 v206, v104, v149
	s_waitcnt vmcnt(48)
	v_mul_f32_e32 v207, v106, v150
	s_waitcnt vmcnt(47) lgkmcnt(8)
	v_mul_f32_e32 v208, v108, v151
	s_waitcnt vmcnt(46)
	v_mul_f32_e32 v209, v110, v152
	s_waitcnt vmcnt(45) lgkmcnt(7)
	v_mul_f32_e32 v210, v112, v153
	s_waitcnt vmcnt(44)
	v_mul_f32_e32 v211, v114, v154
	s_waitcnt vmcnt(43) lgkmcnt(6)
	v_mul_f32_e32 v212, v116, v155
	s_waitcnt vmcnt(42)
	v_mul_f32_e32 v213, v118, v156
	s_waitcnt vmcnt(41) lgkmcnt(5)
	v_mul_f32_e32 v214, v120, v157
	s_waitcnt vmcnt(40)
	v_mul_f32_e32 v215, v122, v158
	s_waitcnt vmcnt(39) lgkmcnt(4)
	v_mul_f32_e32 v216, v124, v159
	s_waitcnt vmcnt(38)
	v_mul_f32_e32 v217, v126, v160
	s_waitcnt vmcnt(37) lgkmcnt(3)
	v_mul_f32_e32 v218, v128, v161
	s_waitcnt vmcnt(36)
	v_mul_f32_e32 v219, v130, v162
	s_waitcnt vmcnt(35) lgkmcnt(2)
	v_mul_f32_e32 v220, v132, v163
	s_waitcnt vmcnt(34)
	v_mul_f32_e32 v221, v134, v164
	s_waitcnt vmcnt(33) lgkmcnt(1)
	v_mul_f32_e32 v222, v136, v165
	s_waitcnt vmcnt(32)
	v_mul_f32_e32 v223, v138, v166
	s_waitcnt vmcnt(29)
	v_fma_f32 v2, v2, v169, -v6
	v_fmac_f32_e32 v1, v3, v169
	v_mul_f32_e32 v3, v93, v8
	s_waitcnt vmcnt(28)
	v_fma_f32 v4, v4, v170, -v7
	v_fmac_f32_e32 v199, v5, v170
	v_add_f32_e32 v2, 0, v2
	v_add_f32_e32 v1, 0, v1
	v_mul_f32_e32 v5, v95, v144
	s_waitcnt vmcnt(27)
	v_fma_f32 v3, v92, v171, -v3
	v_fmac_f32_e32 v200, v93, v171
	v_add_f32_e32 v2, v2, v4
	v_add_f32_e32 v1, v1, v199
	;; [unrolled: 6-line block ×24, first 2 shown]
	s_waitcnt lgkmcnt(0)
	v_mul_f32_e32 v3, v141, v167
	s_waitcnt vmcnt(4)
	v_fma_f32 v4, v138, v194, -v4
	v_mul_f32_e32 v224, v140, v167
	v_add_f32_e32 v2, v2, v5
	v_fmac_f32_e32 v223, v139, v194
	v_add_f32_e32 v1, v1, v222
	v_mul_f32_e32 v5, v143, v168
	s_waitcnt vmcnt(3)
	v_fma_f32 v3, v140, v195, -v3
	v_add_f32_e32 v2, v2, v4
	v_mul_f32_e32 v225, v142, v168
	v_fmac_f32_e32 v224, v141, v195
	v_add_f32_e32 v1, v1, v223
	s_waitcnt vmcnt(2)
	v_fma_f32 v4, v142, v196, -v5
	v_add_f32_e32 v2, v2, v3
	v_fmac_f32_e32 v225, v143, v196
	v_add_f32_e32 v1, v1, v224
	v_add_f32_e32 v2, v2, v4
	;; [unrolled: 1-line block ×3, first 2 shown]
	s_waitcnt vmcnt(1)
	v_sub_f32_e32 v2, v197, v2
	s_waitcnt vmcnt(0)
	v_sub_f32_e32 v1, v198, v1
	buffer_store_dword v2, off, s[0:3], 0 offset:96
	buffer_store_dword v1, off, s[0:3], 0 offset:100
	v_cmpx_lt_u32_e32 11, v0
	s_cbranch_execz .LBB104_237
; %bb.236:
	s_clause 0x1
	buffer_load_dword v1, off, s[0:3], 0 offset:88
	buffer_load_dword v2, off, s[0:3], 0 offset:92
	v_mov_b32_e32 v3, 0
	buffer_store_dword v3, off, s[0:3], 0 offset:88
	buffer_store_dword v3, off, s[0:3], 0 offset:92
	s_waitcnt vmcnt(0)
	ds_write_b64 v91, v[1:2]
.LBB104_237:
	s_or_b32 exec_lo, exec_lo, s4
	s_waitcnt lgkmcnt(0)
	s_waitcnt_vscnt null, 0x0
	s_barrier
	buffer_gl0_inv
	s_clause 0x3b
	buffer_load_dword v8, off, s[0:3], 0 offset:100
	buffer_load_dword v144, off, s[0:3], 0 offset:108
	;; [unrolled: 1-line block ×60, first 2 shown]
	v_mov_b32_e32 v1, 0
	ds_read_b128 v[2:5], v1 offset:432
	ds_read_b128 v[92:95], v1 offset:448
	;; [unrolled: 1-line block ×14, first 2 shown]
	ds_read_b64 v[6:7], v1 offset:656
	s_mov_b32 s4, exec_lo
	s_waitcnt vmcnt(59) lgkmcnt(14)
	v_mul_f32_e32 v203, v2, v8
	v_mul_f32_e32 v8, v3, v8
	s_waitcnt vmcnt(58)
	v_mul_f32_e32 v204, v4, v144
	v_mul_f32_e32 v144, v5, v144
	s_waitcnt vmcnt(57) lgkmcnt(13)
	v_mul_f32_e32 v205, v92, v145
	s_waitcnt vmcnt(56)
	v_mul_f32_e32 v206, v94, v146
	s_waitcnt vmcnt(55) lgkmcnt(12)
	v_mul_f32_e32 v207, v96, v147
	s_waitcnt vmcnt(54)
	;; [unrolled: 4-line block ×13, first 2 shown]
	v_fma_f32 v2, v2, v172, -v8
	v_fmac_f32_e32 v203, v3, v172
	v_mul_f32_e32 v3, v93, v145
	s_waitcnt vmcnt(29)
	v_fma_f32 v4, v4, v173, -v144
	v_fmac_f32_e32 v204, v5, v173
	v_add_f32_e32 v2, 0, v2
	v_add_f32_e32 v5, 0, v203
	v_mul_f32_e32 v8, v95, v146
	s_waitcnt vmcnt(28)
	v_fma_f32 v3, v92, v174, -v3
	v_fmac_f32_e32 v205, v93, v174
	v_add_f32_e32 v2, v2, v4
	v_add_f32_e32 v4, v5, v204
	;; [unrolled: 6-line block ×25, first 2 shown]
	v_mul_f32_e32 v8, v143, v170
	s_waitcnt vmcnt(4)
	v_fma_f32 v4, v140, v198, -v4
	v_mul_f32_e32 v230, v142, v170
	v_add_f32_e32 v2, v2, v5
	v_fmac_f32_e32 v229, v141, v198
	v_add_f32_e32 v3, v3, v228
	s_waitcnt lgkmcnt(0)
	v_mul_f32_e32 v5, v7, v171
	s_waitcnt vmcnt(3)
	v_fma_f32 v8, v142, v199, -v8
	v_add_f32_e32 v2, v2, v4
	v_mul_f32_e32 v231, v6, v171
	v_fmac_f32_e32 v230, v143, v199
	v_add_f32_e32 v3, v3, v229
	s_waitcnt vmcnt(2)
	v_fma_f32 v4, v6, v200, -v5
	v_add_f32_e32 v2, v2, v8
	v_fmac_f32_e32 v231, v7, v200
	v_add_f32_e32 v3, v3, v230
	v_add_f32_e32 v2, v2, v4
	;; [unrolled: 1-line block ×3, first 2 shown]
	s_waitcnt vmcnt(1)
	v_sub_f32_e32 v2, v201, v2
	s_waitcnt vmcnt(0)
	v_sub_f32_e32 v3, v202, v3
	buffer_store_dword v2, off, s[0:3], 0 offset:88
	buffer_store_dword v3, off, s[0:3], 0 offset:92
	v_cmpx_lt_u32_e32 10, v0
	s_cbranch_execz .LBB104_239
; %bb.238:
	s_clause 0x1
	buffer_load_dword v2, off, s[0:3], 0 offset:80
	buffer_load_dword v3, off, s[0:3], 0 offset:84
	buffer_store_dword v1, off, s[0:3], 0 offset:80
	buffer_store_dword v1, off, s[0:3], 0 offset:84
	s_waitcnt vmcnt(0)
	ds_write_b64 v91, v[2:3]
.LBB104_239:
	s_or_b32 exec_lo, exec_lo, s4
	s_waitcnt lgkmcnt(0)
	s_waitcnt_vscnt null, 0x0
	s_barrier
	buffer_gl0_inv
	s_clause 0x3d
	buffer_load_dword v6, off, s[0:3], 0 offset:92
	buffer_load_dword v7, off, s[0:3], 0 offset:100
	;; [unrolled: 1-line block ×62, first 2 shown]
	ds_read2_b64 v[2:5], v1 offset0:53 offset1:54
	ds_read2_b64 v[92:95], v1 offset0:55 offset1:56
	;; [unrolled: 1-line block ×15, first 2 shown]
	s_mov_b32 s4, exec_lo
	s_waitcnt vmcnt(61) lgkmcnt(14)
	v_mul_f32_e32 v1, v2, v6
	v_mul_f32_e32 v6, v3, v6
	s_waitcnt vmcnt(60)
	v_mul_f32_e32 v207, v4, v7
	v_mul_f32_e32 v7, v5, v7
	s_waitcnt vmcnt(59) lgkmcnt(13)
	v_mul_f32_e32 v208, v92, v8
	s_waitcnt vmcnt(58)
	v_mul_f32_e32 v209, v94, v148
	s_waitcnt vmcnt(57) lgkmcnt(12)
	v_mul_f32_e32 v210, v96, v149
	s_waitcnt vmcnt(56)
	;; [unrolled: 4-line block ×13, first 2 shown]
	v_mul_f32_e32 v233, v142, v172
	s_waitcnt vmcnt(31)
	v_fma_f32 v2, v2, v175, -v6
	v_fmac_f32_e32 v1, v3, v175
	v_mul_f32_e32 v3, v93, v8
	s_waitcnt vmcnt(30)
	v_fma_f32 v4, v4, v176, -v7
	v_fmac_f32_e32 v207, v5, v176
	v_add_f32_e32 v2, 0, v2
	v_add_f32_e32 v1, 0, v1
	v_mul_f32_e32 v5, v95, v148
	s_waitcnt vmcnt(29)
	v_fma_f32 v3, v92, v177, -v3
	v_fmac_f32_e32 v208, v93, v177
	v_add_f32_e32 v2, v2, v4
	v_add_f32_e32 v1, v1, v207
	;; [unrolled: 6-line block ×26, first 2 shown]
	s_waitcnt lgkmcnt(0)
	v_mul_f32_e32 v4, v145, v173
	s_waitcnt vmcnt(4)
	v_fma_f32 v5, v142, v202, -v5
	v_mul_f32_e32 v234, v144, v173
	v_add_f32_e32 v2, v2, v3
	v_fmac_f32_e32 v233, v143, v202
	v_add_f32_e32 v1, v1, v232
	v_mul_f32_e32 v3, v147, v174
	s_waitcnt vmcnt(3)
	v_fma_f32 v4, v144, v203, -v4
	v_add_f32_e32 v2, v2, v5
	v_mul_f32_e32 v235, v146, v174
	v_fmac_f32_e32 v234, v145, v203
	v_add_f32_e32 v1, v1, v233
	s_waitcnt vmcnt(2)
	v_fma_f32 v3, v146, v204, -v3
	v_add_f32_e32 v2, v2, v4
	v_fmac_f32_e32 v235, v147, v204
	v_add_f32_e32 v1, v1, v234
	v_add_f32_e32 v2, v2, v3
	;; [unrolled: 1-line block ×3, first 2 shown]
	s_waitcnt vmcnt(1)
	v_sub_f32_e32 v2, v205, v2
	s_waitcnt vmcnt(0)
	v_sub_f32_e32 v1, v206, v1
	buffer_store_dword v2, off, s[0:3], 0 offset:80
	buffer_store_dword v1, off, s[0:3], 0 offset:84
	v_cmpx_lt_u32_e32 9, v0
	s_cbranch_execz .LBB104_241
; %bb.240:
	s_clause 0x1
	buffer_load_dword v1, off, s[0:3], 0 offset:72
	buffer_load_dword v2, off, s[0:3], 0 offset:76
	v_mov_b32_e32 v3, 0
	buffer_store_dword v3, off, s[0:3], 0 offset:72
	buffer_store_dword v3, off, s[0:3], 0 offset:76
	s_waitcnt vmcnt(0)
	ds_write_b64 v91, v[1:2]
.LBB104_241:
	s_or_b32 exec_lo, exec_lo, s4
	s_waitcnt lgkmcnt(0)
	s_waitcnt_vscnt null, 0x0
	s_barrier
	buffer_gl0_inv
	s_clause 0x3e
	buffer_load_dword v8, off, s[0:3], 0 offset:84
	buffer_load_dword v148, off, s[0:3], 0 offset:92
	;; [unrolled: 1-line block ×64, first 2 shown]
	v_mov_b32_e32 v1, 0
	ds_read_b128 v[2:5], v1 offset:416
	ds_read_b128 v[92:95], v1 offset:432
	;; [unrolled: 1-line block ×15, first 2 shown]
	ds_read_b64 v[6:7], v1 offset:656
	s_mov_b32 s4, exec_lo
	s_waitcnt vmcnt(62) lgkmcnt(15)
	v_mul_f32_e32 v211, v2, v8
	v_mul_f32_e32 v8, v3, v8
	;; [unrolled: 1-line block ×4, first 2 shown]
	s_waitcnt vmcnt(61) lgkmcnt(14)
	v_mul_f32_e32 v213, v92, v149
	s_waitcnt vmcnt(60)
	v_mul_f32_e32 v214, v94, v150
	s_waitcnt vmcnt(59) lgkmcnt(13)
	v_mul_f32_e32 v215, v96, v151
	s_waitcnt vmcnt(58)
	v_mul_f32_e32 v216, v98, v152
	;; [unrolled: 4-line block ×13, first 2 shown]
	s_waitcnt vmcnt(35) lgkmcnt(1)
	v_mul_f32_e32 v239, v144, v175
	s_waitcnt vmcnt(32)
	v_fma_f32 v2, v2, v178, -v8
	v_fmac_f32_e32 v211, v3, v178
	v_mul_f32_e32 v3, v93, v149
	s_waitcnt vmcnt(31)
	v_fma_f32 v4, v4, v179, -v148
	v_fmac_f32_e32 v212, v5, v179
	v_add_f32_e32 v2, 0, v2
	v_add_f32_e32 v5, 0, v211
	v_mul_f32_e32 v8, v95, v150
	s_waitcnt vmcnt(30)
	v_fma_f32 v3, v92, v180, -v3
	v_fmac_f32_e32 v213, v93, v180
	v_add_f32_e32 v2, v2, v4
	v_add_f32_e32 v4, v5, v212
	;; [unrolled: 6-line block ×27, first 2 shown]
	v_mul_f32_e32 v4, v147, v176
	s_waitcnt vmcnt(4)
	v_fma_f32 v5, v144, v206, -v5
	v_mul_f32_e32 v240, v146, v176
	v_add_f32_e32 v2, v2, v8
	v_fmac_f32_e32 v239, v145, v206
	v_add_f32_e32 v3, v3, v238
	s_waitcnt lgkmcnt(0)
	v_mul_f32_e32 v8, v7, v177
	s_waitcnt vmcnt(3)
	v_fma_f32 v4, v146, v207, -v4
	v_add_f32_e32 v2, v2, v5
	v_mul_f32_e32 v241, v6, v177
	v_fmac_f32_e32 v240, v147, v207
	v_add_f32_e32 v3, v3, v239
	s_waitcnt vmcnt(2)
	v_fma_f32 v5, v6, v208, -v8
	v_add_f32_e32 v2, v2, v4
	v_fmac_f32_e32 v241, v7, v208
	v_add_f32_e32 v3, v3, v240
	v_add_f32_e32 v2, v2, v5
	;; [unrolled: 1-line block ×3, first 2 shown]
	s_waitcnt vmcnt(1)
	v_sub_f32_e32 v2, v209, v2
	s_waitcnt vmcnt(0)
	v_sub_f32_e32 v3, v210, v3
	buffer_store_dword v2, off, s[0:3], 0 offset:72
	buffer_store_dword v3, off, s[0:3], 0 offset:76
	v_cmpx_lt_u32_e32 8, v0
	s_cbranch_execz .LBB104_243
; %bb.242:
	s_clause 0x1
	buffer_load_dword v2, off, s[0:3], 0 offset:64
	buffer_load_dword v3, off, s[0:3], 0 offset:68
	buffer_store_dword v1, off, s[0:3], 0 offset:64
	buffer_store_dword v1, off, s[0:3], 0 offset:68
	s_waitcnt vmcnt(0)
	ds_write_b64 v91, v[2:3]
.LBB104_243:
	s_or_b32 exec_lo, exec_lo, s4
	s_waitcnt lgkmcnt(0)
	s_waitcnt_vscnt null, 0x0
	s_barrier
	buffer_gl0_inv
	s_clause 0x3e
	buffer_load_dword v6, off, s[0:3], 0 offset:76
	buffer_load_dword v7, off, s[0:3], 0 offset:84
	;; [unrolled: 1-line block ×63, first 2 shown]
	s_clause 0x2
	buffer_load_dword v212, off, s[0:3], 0 offset:320
	buffer_load_dword v213, off, s[0:3], 0 offset:64
	;; [unrolled: 1-line block ×3, first 2 shown]
	ds_read2_b64 v[2:5], v1 offset0:51 offset1:52
	ds_read2_b64 v[92:95], v1 offset0:53 offset1:54
	;; [unrolled: 1-line block ×16, first 2 shown]
	s_mov_b32 s4, exec_lo
	s_waitcnt vmcnt(62) lgkmcnt(15)
	v_mul_f32_e32 v1, v2, v6
	v_mul_f32_e32 v6, v3, v6
	;; [unrolled: 1-line block ×4, first 2 shown]
	s_waitcnt lgkmcnt(14)
	v_mul_f32_e32 v216, v92, v8
	v_mul_f32_e32 v217, v94, v152
	s_waitcnt vmcnt(61) lgkmcnt(13)
	v_mul_f32_e32 v218, v96, v153
	s_waitcnt vmcnt(60)
	v_mul_f32_e32 v219, v98, v154
	s_waitcnt vmcnt(59) lgkmcnt(12)
	v_mul_f32_e32 v220, v100, v155
	s_waitcnt vmcnt(58)
	;; [unrolled: 4-line block ×13, first 2 shown]
	v_mul_f32_e32 v243, v146, v178
	s_waitcnt vmcnt(33)
	v_fma_f32 v2, v2, v181, -v6
	v_fmac_f32_e32 v1, v3, v181
	v_mul_f32_e32 v3, v93, v8
	s_waitcnt vmcnt(32)
	v_fma_f32 v4, v4, v182, -v7
	v_fmac_f32_e32 v215, v5, v182
	v_add_f32_e32 v2, 0, v2
	v_add_f32_e32 v1, 0, v1
	v_mul_f32_e32 v5, v95, v152
	s_waitcnt vmcnt(31)
	v_fma_f32 v3, v92, v183, -v3
	v_fmac_f32_e32 v216, v93, v183
	v_add_f32_e32 v2, v2, v4
	v_add_f32_e32 v1, v1, v215
	;; [unrolled: 6-line block ×28, first 2 shown]
	s_waitcnt lgkmcnt(0)
	v_mul_f32_e32 v5, v149, v179
	s_waitcnt vmcnt(4)
	v_fma_f32 v3, v146, v210, -v3
	v_mul_f32_e32 v244, v148, v179
	v_add_f32_e32 v2, v2, v4
	v_fmac_f32_e32 v243, v147, v210
	v_add_f32_e32 v1, v1, v242
	v_mul_f32_e32 v4, v151, v180
	s_waitcnt vmcnt(3)
	v_fma_f32 v5, v148, v211, -v5
	v_add_f32_e32 v2, v2, v3
	v_mul_f32_e32 v245, v150, v180
	v_fmac_f32_e32 v244, v149, v211
	v_add_f32_e32 v1, v1, v243
	s_waitcnt vmcnt(2)
	v_fma_f32 v3, v150, v212, -v4
	v_add_f32_e32 v2, v2, v5
	v_fmac_f32_e32 v245, v151, v212
	v_add_f32_e32 v1, v1, v244
	v_add_f32_e32 v2, v2, v3
	v_add_f32_e32 v1, v1, v245
	s_waitcnt vmcnt(1)
	v_sub_f32_e32 v2, v213, v2
	s_waitcnt vmcnt(0)
	v_sub_f32_e32 v1, v214, v1
	buffer_store_dword v2, off, s[0:3], 0 offset:64
	buffer_store_dword v1, off, s[0:3], 0 offset:68
	v_cmpx_lt_u32_e32 7, v0
	s_cbranch_execz .LBB104_245
; %bb.244:
	s_clause 0x1
	buffer_load_dword v1, off, s[0:3], 0 offset:56
	buffer_load_dword v2, off, s[0:3], 0 offset:60
	v_mov_b32_e32 v3, 0
	buffer_store_dword v3, off, s[0:3], 0 offset:56
	buffer_store_dword v3, off, s[0:3], 0 offset:60
	s_waitcnt vmcnt(0)
	ds_write_b64 v91, v[1:2]
.LBB104_245:
	s_or_b32 exec_lo, exec_lo, s4
	s_waitcnt lgkmcnt(0)
	s_waitcnt_vscnt null, 0x0
	s_barrier
	buffer_gl0_inv
	s_clause 0x3e
	buffer_load_dword v151, off, s[0:3], 0 offset:68
	buffer_load_dword v152, off, s[0:3], 0 offset:76
	;; [unrolled: 1-line block ×63, first 2 shown]
	s_clause 0x4
	buffer_load_dword v214, off, s[0:3], 0 offset:304
	buffer_load_dword v215, off, s[0:3], 0 offset:312
	;; [unrolled: 1-line block ×5, first 2 shown]
	v_mov_b32_e32 v92, 0
	ds_read_b128 v[1:4], v92 offset:400
	ds_read_b128 v[5:8], v92 offset:416
	;; [unrolled: 1-line block ×16, first 2 shown]
	ds_read_b64 v[149:150], v92 offset:656
	s_mov_b32 s4, exec_lo
	s_waitcnt vmcnt(62) lgkmcnt(16)
	v_mul_f32_e32 v219, v1, v151
	v_mul_f32_e32 v151, v2, v151
	;; [unrolled: 1-line block ×4, first 2 shown]
	s_waitcnt lgkmcnt(15)
	v_mul_f32_e32 v221, v5, v153
	v_mul_f32_e32 v222, v7, v154
	s_waitcnt lgkmcnt(14)
	v_mul_f32_e32 v223, v93, v155
	v_mul_f32_e32 v224, v95, v156
	s_waitcnt vmcnt(61) lgkmcnt(13)
	v_mul_f32_e32 v225, v97, v157
	s_waitcnt vmcnt(60)
	v_mul_f32_e32 v226, v99, v158
	s_waitcnt vmcnt(59) lgkmcnt(12)
	v_mul_f32_e32 v227, v101, v159
	s_waitcnt vmcnt(58)
	;; [unrolled: 4-line block ×13, first 2 shown]
	v_fma_f32 v1, v1, v184, -v151
	v_fmac_f32_e32 v219, v2, v184
	v_mul_f32_e32 v2, v6, v153
	s_waitcnt vmcnt(33)
	v_fma_f32 v3, v3, v185, -v152
	v_fmac_f32_e32 v220, v4, v185
	v_add_f32_e32 v1, 0, v1
	v_add_f32_e32 v4, 0, v219
	v_mul_f32_e32 v151, v8, v154
	s_waitcnt vmcnt(32)
	v_fma_f32 v2, v5, v186, -v2
	v_fmac_f32_e32 v221, v6, v186
	v_add_f32_e32 v1, v1, v3
	v_add_f32_e32 v3, v4, v220
	;; [unrolled: 6-line block ×29, first 2 shown]
	v_mul_f32_e32 v4, v148, v182
	s_waitcnt vmcnt(4)
	v_fma_f32 v5, v145, v214, -v5
	v_mul_f32_e32 v250, v147, v182
	v_add_f32_e32 v1, v1, v3
	v_fmac_f32_e32 v249, v146, v214
	v_add_f32_e32 v2, v2, v248
	s_waitcnt lgkmcnt(0)
	v_mul_f32_e32 v3, v150, v183
	s_waitcnt vmcnt(3)
	v_fma_f32 v4, v147, v215, -v4
	v_add_f32_e32 v1, v1, v5
	v_mul_f32_e32 v251, v149, v183
	v_fmac_f32_e32 v250, v148, v215
	v_add_f32_e32 v2, v2, v249
	s_waitcnt vmcnt(2)
	v_fma_f32 v3, v149, v216, -v3
	v_add_f32_e32 v1, v1, v4
	v_fmac_f32_e32 v251, v150, v216
	v_add_f32_e32 v2, v2, v250
	v_add_f32_e32 v1, v1, v3
	v_add_f32_e32 v2, v2, v251
	s_waitcnt vmcnt(1)
	v_sub_f32_e32 v1, v217, v1
	s_waitcnt vmcnt(0)
	v_sub_f32_e32 v2, v218, v2
	buffer_store_dword v1, off, s[0:3], 0 offset:56
	buffer_store_dword v2, off, s[0:3], 0 offset:60
	v_cmpx_lt_u32_e32 6, v0
	s_cbranch_execz .LBB104_247
; %bb.246:
	s_clause 0x1
	buffer_load_dword v1, off, s[0:3], 0 offset:48
	buffer_load_dword v2, off, s[0:3], 0 offset:52
	buffer_store_dword v92, off, s[0:3], 0 offset:48
	buffer_store_dword v92, off, s[0:3], 0 offset:52
	s_waitcnt vmcnt(0)
	ds_write_b64 v91, v[1:2]
.LBB104_247:
	s_or_b32 exec_lo, exec_lo, s4
	s_waitcnt lgkmcnt(0)
	s_waitcnt_vscnt null, 0x0
	s_barrier
	buffer_gl0_inv
	s_clause 0x23
	buffer_load_dword v127, off, s[0:3], 0 offset:60
	buffer_load_dword v128, off, s[0:3], 0 offset:68
	;; [unrolled: 1-line block ×36, first 2 shown]
	ds_read2_b64 v[5:8], v92 offset0:49 offset1:50
	ds_read2_b64 v[1:4], v92 offset0:51 offset1:52
	;; [unrolled: 1-line block ×3, first 2 shown]
	s_clause 0x1
	buffer_load_dword v137, off, s[0:3], 0 offset:196
	buffer_load_dword v138, off, s[0:3], 0 offset:204
	ds_read2_b64 v[133:136], v92 offset0:55 offset1:56
	buffer_load_dword v141, off, s[0:3], 0 offset:52
	s_mov_b32 s4, exec_lo
	s_waitcnt vmcnt(38) lgkmcnt(3)
	v_mul_f32_e32 v139, v5, v127
	s_waitcnt vmcnt(37)
	v_mul_f32_e32 v140, v7, v128
	v_mul_f32_e32 v127, v6, v127
	;; [unrolled: 1-line block ×3, first 2 shown]
	s_waitcnt vmcnt(34)
	v_fmac_f32_e32 v139, v6, v99
	v_fmac_f32_e32 v140, v8, v98
	v_fma_f32 v99, v5, v99, -v127
	v_fma_f32 v98, v7, v98, -v128
	ds_read2_b64 v[5:8], v92 offset0:57 offset1:58
	s_waitcnt vmcnt(33) lgkmcnt(3)
	v_mul_f32_e32 v127, v1, v96
	v_mul_f32_e32 v96, v2, v96
	s_waitcnt vmcnt(32)
	v_mul_f32_e32 v128, v3, v95
	v_mul_f32_e32 v95, v4, v95
	s_waitcnt vmcnt(31) lgkmcnt(2)
	v_mul_f32_e32 v142, v129, v94
	v_fmac_f32_e32 v127, v2, v93
	v_fma_f32 v143, v1, v93, -v96
	s_waitcnt vmcnt(30)
	v_mul_f32_e32 v144, v131, v97
	v_mul_f32_e32 v93, v130, v94
	;; [unrolled: 1-line block ×3, first 2 shown]
	s_waitcnt vmcnt(26)
	v_fmac_f32_e32 v128, v4, v105
	v_fma_f32 v97, v3, v105, -v95
	ds_read2_b64 v[1:4], v92 offset0:59 offset1:60
	v_fmac_f32_e32 v142, v130, v104
	v_fma_f32 v104, v129, v104, -v93
	s_waitcnt vmcnt(25) lgkmcnt(2)
	v_mul_f32_e32 v105, v133, v101
	s_waitcnt vmcnt(24)
	v_mul_f32_e32 v129, v135, v102
	v_mul_f32_e32 v101, v134, v101
	;; [unrolled: 1-line block ×3, first 2 shown]
	v_fmac_f32_e32 v144, v132, v103
	v_fma_f32 v103, v131, v103, -v94
	ds_read2_b64 v[93:96], v92 offset0:61 offset1:62
	v_fmac_f32_e32 v105, v134, v100
	s_waitcnt vmcnt(19)
	v_fmac_f32_e32 v129, v136, v116
	v_fma_f32 v100, v133, v100, -v101
	v_fma_f32 v101, v135, v116, -v102
	s_clause 0x4
	buffer_load_dword v102, off, s[0:3], 0 offset:212
	buffer_load_dword v116, off, s[0:3], 0 offset:232
	;; [unrolled: 1-line block ×5, first 2 shown]
	s_waitcnt lgkmcnt(2)
	v_mul_f32_e32 v130, v5, v106
	v_mul_f32_e32 v106, v6, v106
	s_waitcnt vmcnt(23)
	v_mul_f32_e32 v134, v7, v112
	v_mul_f32_e32 v112, v8, v112
	v_fmac_f32_e32 v130, v6, v111
	v_fma_f32 v5, v5, v111, -v106
	s_waitcnt vmcnt(22) lgkmcnt(1)
	v_mul_f32_e32 v106, v1, v109
	v_fmac_f32_e32 v134, v8, v108
	v_fma_f32 v108, v7, v108, -v112
	s_waitcnt vmcnt(21)
	v_mul_f32_e32 v111, v3, v110
	v_mul_f32_e32 v6, v2, v109
	;; [unrolled: 1-line block ×3, first 2 shown]
	s_clause 0x2
	buffer_load_dword v109, off, s[0:3], 0 offset:220
	buffer_load_dword v110, off, s[0:3], 0 offset:228
	;; [unrolled: 1-line block ×3, first 2 shown]
	v_fmac_f32_e32 v106, v2, v107
	s_waitcnt vmcnt(20)
	v_fmac_f32_e32 v111, v4, v125
	v_fma_f32 v107, v1, v107, -v6
	v_fma_f32 v125, v3, v125, -v7
	ds_read2_b64 v[1:4], v92 offset0:63 offset1:64
	v_add_f32_e32 v6, 0, v139
	v_add_f32_e32 v7, 0, v99
	s_waitcnt vmcnt(19) lgkmcnt(1)
	v_mul_f32_e32 v135, v93, v122
	s_waitcnt vmcnt(18)
	v_mul_f32_e32 v136, v95, v123
	v_mul_f32_e32 v8, v94, v122
	v_add_f32_e32 v6, v6, v140
	v_mul_f32_e32 v99, v96, v123
	v_add_f32_e32 v7, v7, v98
	v_fmac_f32_e32 v135, v94, v120
	v_fmac_f32_e32 v136, v96, v119
	v_add_f32_e32 v6, v6, v127
	v_fma_f32 v93, v93, v120, -v8
	v_fma_f32 v98, v95, v119, -v99
	v_add_f32_e32 v7, v7, v143
	s_clause 0x7
	buffer_load_dword v119, off, s[0:3], 0 offset:244
	buffer_load_dword v120, off, s[0:3], 0 offset:252
	buffer_load_dword v122, off, s[0:3], 0 offset:260
	buffer_load_dword v123, off, s[0:3], 0 offset:268
	buffer_load_dword v127, off, s[0:3], 0 offset:264
	buffer_load_dword v139, off, s[0:3], 0 offset:256
	buffer_load_dword v140, off, s[0:3], 0 offset:248
	buffer_load_dword v143, off, s[0:3], 0 offset:240
	v_add_f32_e32 v6, v6, v128
	v_add_f32_e32 v7, v7, v97
	s_waitcnt vmcnt(25) lgkmcnt(0)
	v_mul_f32_e32 v8, v2, v117
	v_mul_f32_e32 v99, v1, v117
	s_clause 0x3
	buffer_load_dword v117, off, s[0:3], 0 offset:276
	buffer_load_dword v128, off, s[0:3], 0 offset:284
	;; [unrolled: 1-line block ×4, first 2 shown]
	v_fma_f32 v97, v1, v114, -v8
	v_add_f32_e32 v1, v6, v142
	v_fmac_f32_e32 v99, v2, v114
	v_add_f32_e32 v6, v7, v104
	s_waitcnt vmcnt(28)
	v_mul_f32_e32 v104, v3, v115
	v_mul_f32_e32 v2, v4, v115
	v_add_f32_e32 v7, v1, v144
	s_clause 0x2
	buffer_load_dword v114, off, s[0:3], 0 offset:308
	buffer_load_dword v142, off, s[0:3], 0 offset:316
	;; [unrolled: 1-line block ×3, first 2 shown]
	s_waitcnt vmcnt(27)
	v_fmac_f32_e32 v104, v4, v126
	v_fma_f32 v126, v3, v126, -v2
	ds_read2_b64 v[1:4], v92 offset0:65 offset1:66
	v_add_f32_e32 v7, v7, v105
	v_add_f32_e32 v6, v6, v103
	;; [unrolled: 1-line block ×3, first 2 shown]
	s_clause 0x3
	buffer_load_dword v129, off, s[0:3], 0 offset:296
	buffer_load_dword v144, off, s[0:3], 0 offset:288
	;; [unrolled: 1-line block ×4, first 2 shown]
	v_add_f32_e32 v6, v6, v100
	v_add_f32_e32 v94, v7, v130
	;; [unrolled: 1-line block ×5, first 2 shown]
	ds_read2_b64 v[5:8], v92 offset0:67 offset1:68
	s_waitcnt vmcnt(30) lgkmcnt(1)
	v_mul_f32_e32 v101, v1, v124
	v_mul_f32_e32 v96, v2, v124
	s_waitcnt vmcnt(29)
	v_mul_f32_e32 v105, v3, v137
	v_fmac_f32_e32 v101, v2, v121
	v_fma_f32 v103, v1, v121, -v96
	s_clause 0x3
	buffer_load_dword v121, off, s[0:3], 0 offset:320
	buffer_load_dword v124, off, s[0:3], 0 offset:312
	;; [unrolled: 1-line block ×4, first 2 shown]
	v_add_f32_e32 v1, v95, v108
	v_add_f32_e32 v2, v94, v106
	v_mul_f32_e32 v94, v4, v137
	v_fmac_f32_e32 v105, v4, v118
	v_add_f32_e32 v1, v1, v107
	v_add_f32_e32 v2, v2, v111
	v_fma_f32 v106, v3, v118, -v94
	v_add_f32_e32 v95, v1, v125
	v_add_f32_e32 v100, v2, v135
	ds_read2_b64 v[1:4], v92 offset0:69 offset1:70
	s_waitcnt vmcnt(32) lgkmcnt(1)
	v_mul_f32_e32 v108, v5, v138
	v_mul_f32_e32 v111, v6, v138
	v_add_f32_e32 v107, v95, v93
	ds_read2_b64 v[93:96], v92 offset0:71 offset1:72
	v_add_f32_e32 v100, v100, v136
	v_fmac_f32_e32 v108, v6, v113
	v_fma_f32 v111, v5, v113, -v111
	v_add_f32_e32 v98, v107, v98
	v_add_f32_e32 v107, v100, v99
	;; [unrolled: 1-line block ×5, first 2 shown]
	s_waitcnt vmcnt(30)
	v_mul_f32_e32 v118, v7, v102
	v_mul_f32_e32 v102, v8, v102
	s_waitcnt vmcnt(26)
	v_fmac_f32_e32 v118, v8, v133
	v_fma_f32 v113, v7, v133, -v102
	v_add_f32_e32 v102, v98, v97
	ds_read2_b64 v[5:8], v92 offset0:73 offset1:74
	ds_read2_b64 v[97:100], v92 offset0:75 offset1:76
	v_add_f32_e32 v102, v102, v126
	s_waitcnt vmcnt(25) lgkmcnt(3)
	v_mul_f32_e32 v125, v1, v109
	v_mul_f32_e32 v107, v2, v109
	s_waitcnt vmcnt(24)
	v_mul_f32_e32 v126, v3, v110
	v_mul_f32_e32 v109, v4, v110
	s_waitcnt vmcnt(23) lgkmcnt(2)
	v_mul_f32_e32 v110, v93, v112
	v_fmac_f32_e32 v125, v2, v132
	v_fma_f32 v132, v1, v132, -v107
	v_add_f32_e32 v107, v102, v103
	v_fmac_f32_e32 v126, v4, v131
	v_fma_f32 v109, v3, v131, -v109
	v_mul_f32_e32 v112, v94, v112
	ds_read2_b64 v[1:4], v92 offset0:77 offset1:78
	ds_read2_b64 v[101:104], v92 offset0:79 offset1:80
	v_add_f32_e32 v131, v107, v106
	v_fmac_f32_e32 v110, v94, v116
	v_add_f32_e32 v94, v105, v108
	ds_read2_b64 v[105:108], v92 offset0:81 offset1:82
	v_fma_f32 v93, v93, v116, -v112
	v_add_f32_e32 v92, v131, v111
	s_waitcnt vmcnt(22)
	v_mul_f32_e32 v112, v96, v119
	v_add_f32_e32 v94, v94, v118
	v_mul_f32_e32 v111, v95, v119
	s_waitcnt vmcnt(21) lgkmcnt(4)
	v_mul_f32_e32 v116, v5, v120
	v_add_f32_e32 v92, v92, v113
	v_mul_f32_e32 v118, v6, v120
	v_add_f32_e32 v94, v94, v125
	s_waitcnt vmcnt(15)
	v_fma_f32 v95, v95, v143, -v112
	v_fmac_f32_e32 v111, v96, v143
	v_add_f32_e32 v92, v92, v132
	v_fmac_f32_e32 v116, v6, v140
	v_add_f32_e32 v94, v94, v126
	v_fma_f32 v5, v5, v140, -v118
	v_mul_f32_e32 v113, v7, v122
	v_add_f32_e32 v92, v92, v109
	v_mul_f32_e32 v109, v8, v122
	s_waitcnt lgkmcnt(3)
	v_mul_f32_e32 v96, v97, v123
	s_waitcnt vmcnt(14)
	v_mul_f32_e32 v112, v99, v117
	v_fmac_f32_e32 v113, v8, v139
	v_add_f32_e32 v92, v92, v93
	v_add_f32_e32 v93, v94, v110
	v_fma_f32 v7, v7, v139, -v109
	v_mul_f32_e32 v8, v100, v117
	v_fmac_f32_e32 v96, v98, v127
	v_add_f32_e32 v6, v92, v95
	v_add_f32_e32 v92, v93, v111
	v_mul_f32_e32 v93, v98, v123
	s_waitcnt vmcnt(13) lgkmcnt(2)
	v_mul_f32_e32 v119, v1, v128
	s_waitcnt vmcnt(12)
	v_mul_f32_e32 v120, v3, v145
	v_add_f32_e32 v5, v6, v5
	v_add_f32_e32 v6, v92, v116
	v_fma_f32 v92, v97, v127, -v93
	s_waitcnt vmcnt(4)
	v_fma_f32 v8, v99, v148, -v8
	v_fmac_f32_e32 v112, v100, v148
	v_add_f32_e32 v5, v5, v7
	v_add_f32_e32 v6, v6, v113
	v_mul_f32_e32 v7, v2, v128
	v_fmac_f32_e32 v119, v2, v147
	s_waitcnt lgkmcnt(1)
	v_mul_f32_e32 v125, v101, v146
	v_add_f32_e32 v5, v5, v92
	v_add_f32_e32 v6, v6, v96
	v_mul_f32_e32 v92, v4, v145
	v_fma_f32 v1, v1, v147, -v7
	v_fmac_f32_e32 v120, v4, v144
	v_add_f32_e32 v2, v5, v8
	v_add_f32_e32 v5, v6, v112
	v_mul_f32_e32 v6, v102, v146
	v_fma_f32 v3, v3, v144, -v92
	v_mul_f32_e32 v4, v104, v114
	v_add_f32_e32 v1, v2, v1
	v_add_f32_e32 v2, v5, v119
	v_fma_f32 v5, v101, v129, -v6
	v_mul_f32_e32 v122, v103, v114
	v_fmac_f32_e32 v125, v102, v129
	v_add_f32_e32 v1, v1, v3
	v_add_f32_e32 v2, v2, v120
	s_waitcnt lgkmcnt(0)
	v_mul_f32_e32 v3, v106, v142
	s_waitcnt vmcnt(1)
	v_fma_f32 v4, v103, v130, -v4
	v_mul_f32_e32 v126, v105, v142
	v_add_f32_e32 v1, v1, v5
	v_fmac_f32_e32 v122, v104, v130
	v_add_f32_e32 v2, v2, v125
	v_mul_f32_e32 v5, v108, v115
	v_fma_f32 v3, v105, v124, -v3
	v_add_f32_e32 v1, v1, v4
	v_mul_f32_e32 v94, v107, v115
	v_fmac_f32_e32 v126, v106, v124
	v_add_f32_e32 v2, v2, v122
	v_fma_f32 v4, v107, v121, -v5
	v_add_f32_e32 v1, v1, v3
	v_fmac_f32_e32 v94, v108, v121
	v_add_f32_e32 v2, v2, v126
	v_add_f32_e32 v1, v1, v4
	;; [unrolled: 1-line block ×3, first 2 shown]
	s_waitcnt vmcnt(0)
	v_sub_f32_e32 v1, v134, v1
	v_sub_f32_e32 v2, v141, v2
	buffer_store_dword v1, off, s[0:3], 0 offset:48
	buffer_store_dword v2, off, s[0:3], 0 offset:52
	v_cmpx_lt_u32_e32 5, v0
	s_cbranch_execz .LBB104_249
; %bb.248:
	s_clause 0x1
	buffer_load_dword v1, off, s[0:3], 0 offset:40
	buffer_load_dword v2, off, s[0:3], 0 offset:44
	v_mov_b32_e32 v3, 0
	buffer_store_dword v3, off, s[0:3], 0 offset:40
	buffer_store_dword v3, off, s[0:3], 0 offset:44
	s_waitcnt vmcnt(0)
	ds_write_b64 v91, v[1:2]
.LBB104_249:
	s_or_b32 exec_lo, exec_lo, s4
	s_waitcnt lgkmcnt(0)
	s_waitcnt_vscnt null, 0x0
	s_barrier
	buffer_gl0_inv
	s_clause 0x2a
	buffer_load_dword v7, off, s[0:3], 0 offset:52
	buffer_load_dword v8, off, s[0:3], 0 offset:60
	;; [unrolled: 1-line block ×43, first 2 shown]
	v_mov_b32_e32 v1, 0
	ds_read_b128 v[124:127], v1 offset:384
	ds_read_b128 v[128:131], v1 offset:400
	;; [unrolled: 1-line block ×3, first 2 shown]
	buffer_load_dword v142, off, s[0:3], 0 offset:44
	s_mov_b32 s4, exec_lo
	s_waitcnt vmcnt(43) lgkmcnt(2)
	v_mul_f32_e32 v140, v124, v7
	s_waitcnt vmcnt(42)
	v_mul_f32_e32 v141, v126, v8
	v_mul_f32_e32 v7, v125, v7
	;; [unrolled: 1-line block ×3, first 2 shown]
	s_waitcnt vmcnt(39)
	v_fmac_f32_e32 v140, v125, v6
	v_fmac_f32_e32 v141, v127, v5
	v_fma_f32 v143, v124, v6, -v7
	v_fma_f32 v144, v126, v5, -v8
	ds_read_b128 v[5:8], v1 offset:432
	ds_read_b128 v[124:127], v1 offset:448
	s_waitcnt vmcnt(38) lgkmcnt(3)
	v_mul_f32_e32 v145, v128, v3
	v_mul_f32_e32 v3, v129, v3
	s_waitcnt vmcnt(37)
	v_mul_f32_e32 v146, v130, v4
	v_mul_f32_e32 v4, v131, v4
	s_waitcnt vmcnt(32) lgkmcnt(2)
	v_mul_f32_e32 v148, v132, v99
	v_fmac_f32_e32 v145, v129, v2
	v_fma_f32 v147, v128, v2, -v3
	v_mul_f32_e32 v2, v133, v99
	s_waitcnt vmcnt(31)
	v_mul_f32_e32 v149, v134, v98
	v_mul_f32_e32 v3, v135, v98
	v_fmac_f32_e32 v146, v131, v100
	v_fma_f32 v100, v130, v100, -v4
	v_fmac_f32_e32 v148, v133, v95
	v_fma_f32 v132, v132, v95, -v2
	;; [unrolled: 2-line block ×3, first 2 shown]
	ds_read_b128 v[128:131], v1 offset:464
	s_waitcnt vmcnt(30) lgkmcnt(2)
	v_mul_f32_e32 v133, v5, v96
	v_mul_f32_e32 v2, v6, v96
	s_waitcnt vmcnt(29)
	v_mul_f32_e32 v135, v7, v94
	v_mul_f32_e32 v3, v8, v94
	s_waitcnt vmcnt(28) lgkmcnt(1)
	v_mul_f32_e32 v150, v124, v97
	v_fmac_f32_e32 v133, v6, v92
	v_fma_f32 v6, v5, v92, -v2
	s_waitcnt vmcnt(24)
	v_fmac_f32_e32 v135, v8, v107
	v_fma_f32 v7, v7, v107, -v3
	s_waitcnt vmcnt(23)
	v_mul_f32_e32 v8, v126, v106
	v_mul_f32_e32 v92, v125, v97
	;; [unrolled: 1-line block ×3, first 2 shown]
	ds_read_b128 v[2:5], v1 offset:480
	v_fmac_f32_e32 v150, v125, v105
	v_fmac_f32_e32 v8, v127, v102
	v_fma_f32 v105, v124, v105, -v92
	v_fma_f32 v102, v126, v102, -v93
	ds_read_b128 v[92:95], v1 offset:496
	s_waitcnt vmcnt(22) lgkmcnt(2)
	v_mul_f32_e32 v106, v128, v104
	v_mul_f32_e32 v96, v129, v104
	s_waitcnt vmcnt(21)
	v_mul_f32_e32 v104, v130, v103
	v_mul_f32_e32 v97, v131, v103
	buffer_load_dword v103, off, s[0:3], 0 offset:212
	v_fmac_f32_e32 v106, v129, v101
	v_fma_f32 v101, v128, v101, -v96
	s_waitcnt vmcnt(18)
	v_fmac_f32_e32 v104, v131, v115
	v_fma_f32 v107, v130, v115, -v97
	s_waitcnt vmcnt(17) lgkmcnt(1)
	v_mul_f32_e32 v115, v2, v113
	s_waitcnt vmcnt(16)
	v_mul_f32_e32 v124, v4, v114
	v_mul_f32_e32 v96, v3, v113
	;; [unrolled: 1-line block ×3, first 2 shown]
	v_fmac_f32_e32 v115, v3, v110
	v_fmac_f32_e32 v124, v5, v109
	v_fma_f32 v110, v2, v110, -v96
	v_fma_f32 v109, v4, v109, -v97
	ds_read_b128 v[2:5], v1 offset:512
	s_waitcnt vmcnt(15) lgkmcnt(1)
	v_mul_f32_e32 v113, v92, v112
	v_mul_f32_e32 v98, v93, v112
	s_waitcnt vmcnt(14)
	v_mul_f32_e32 v112, v94, v111
	v_mul_f32_e32 v111, v95, v111
	v_fmac_f32_e32 v113, v93, v108
	v_fma_f32 v108, v92, v108, -v98
	ds_read_b128 v[96:99], v1 offset:528
	s_waitcnt vmcnt(10)
	v_fmac_f32_e32 v112, v95, v123
	v_fma_f32 v111, v94, v123, -v111
	s_clause 0x1
	buffer_load_dword v114, off, s[0:3], 0 offset:220
	buffer_load_dword v123, off, s[0:3], 0 offset:228
	s_waitcnt vmcnt(11) lgkmcnt(1)
	v_mul_f32_e32 v125, v2, v122
	v_mul_f32_e32 v92, v3, v122
	s_waitcnt vmcnt(10)
	v_mul_f32_e32 v126, v4, v121
	v_mul_f32_e32 v93, v5, v121
	buffer_load_dword v122, off, s[0:3], 0 offset:236
	v_fmac_f32_e32 v125, v3, v119
	v_fma_f32 v119, v2, v119, -v92
	v_fmac_f32_e32 v126, v5, v117
	s_waitcnt vmcnt(10) lgkmcnt(0)
	v_mul_f32_e32 v121, v96, v120
	v_mul_f32_e32 v2, v97, v120
	s_waitcnt vmcnt(9)
	v_mul_f32_e32 v3, v99, v118
	s_clause 0x3
	buffer_load_dword v120, off, s[0:3], 0 offset:256
	buffer_load_dword v127, off, s[0:3], 0 offset:248
	;; [unrolled: 1-line block ×4, first 2 shown]
	v_mul_f32_e32 v130, v98, v118
	v_fmac_f32_e32 v121, v97, v116
	v_fma_f32 v116, v96, v116, -v2
	v_add_f32_e32 v2, 0, v140
	s_clause 0x1
	buffer_load_dword v118, off, s[0:3], 0 offset:244
	buffer_load_dword v140, off, s[0:3], 0 offset:260
	s_waitcnt vmcnt(11)
	v_fma_f32 v131, v98, v139, -v3
	v_add_f32_e32 v3, 0, v143
	v_add_f32_e32 v2, v2, v141
	v_fmac_f32_e32 v130, v99, v139
	s_clause 0x4
	buffer_load_dword v139, off, s[0:3], 0 offset:252
	buffer_load_dword v141, off, s[0:3], 0 offset:268
	;; [unrolled: 1-line block ×5, first 2 shown]
	v_add_f32_e32 v3, v3, v144
	v_add_f32_e32 v2, v2, v145
	s_clause 0x1
	buffer_load_dword v144, off, s[0:3], 0 offset:300
	buffer_load_dword v145, off, s[0:3], 0 offset:308
	v_fma_f32 v117, v4, v117, -v93
	v_add_f32_e32 v3, v3, v147
	v_add_f32_e32 v2, v2, v146
	s_clause 0x1
	buffer_load_dword v146, off, s[0:3], 0 offset:316
	buffer_load_dword v147, off, s[0:3], 0 offset:324
	v_add_f32_e32 v3, v3, v100
	v_add_f32_e32 v2, v2, v148
	;; [unrolled: 1-line block ×4, first 2 shown]
	s_clause 0x3
	buffer_load_dword v132, off, s[0:3], 0 offset:288
	buffer_load_dword v148, off, s[0:3], 0 offset:280
	;; [unrolled: 1-line block ×4, first 2 shown]
	v_add_f32_e32 v3, v3, v134
	v_add_f32_e32 v2, v2, v133
	;; [unrolled: 1-line block ×4, first 2 shown]
	s_clause 0x4
	buffer_load_dword v133, off, s[0:3], 0 offset:320
	buffer_load_dword v134, off, s[0:3], 0 offset:312
	;; [unrolled: 1-line block ×5, first 2 shown]
	ds_read_b128 v[92:95], v1 offset:560
	v_add_f32_e32 v3, v3, v7
	v_add_f32_e32 v2, v2, v150
	;; [unrolled: 1-line block ×5, first 2 shown]
	ds_read_b128 v[2:5], v1 offset:544
	v_add_f32_e32 v6, v6, v106
	v_add_f32_e32 v7, v7, v101
	;; [unrolled: 1-line block ×14, first 2 shown]
	s_waitcnt vmcnt(27) lgkmcnt(0)
	v_mul_f32_e32 v8, v2, v103
	v_mul_f32_e32 v96, v3, v103
	v_fmac_f32_e32 v8, v3, v138
	v_add_f32_e32 v3, v7, v108
	v_fma_f32 v108, v2, v138, -v96
	v_add_f32_e32 v8, v115, v8
	v_add_f32_e32 v7, v3, v111
	;; [unrolled: 1-line block ×5, first 2 shown]
	s_waitcnt vmcnt(26)
	v_mul_f32_e32 v109, v4, v114
	v_mul_f32_e32 v97, v5, v114
	v_add_f32_e32 v116, v7, v131
	s_waitcnt vmcnt(25)
	v_mul_f32_e32 v104, v93, v123
	v_mul_f32_e32 v111, v92, v123
	v_fmac_f32_e32 v109, v5, v137
	v_fma_f32 v110, v4, v137, -v97
	ds_read_b128 v[2:5], v1 offset:576
	ds_read_b128 v[96:99], v1 offset:592
	v_add_f32_e32 v108, v116, v108
	v_fma_f32 v114, v92, v136, -v104
	v_fmac_f32_e32 v111, v93, v136
	v_add_f32_e32 v8, v8, v109
	ds_read_b128 v[100:103], v1 offset:608
	ds_read_b128 v[104:107], v1 offset:624
	s_waitcnt vmcnt(24)
	v_mul_f32_e32 v113, v95, v122
	v_add_f32_e32 v108, v108, v110
	v_mul_f32_e32 v112, v94, v122
	v_add_f32_e32 v8, v8, v111
	v_add_f32_e32 v108, v108, v114
	s_waitcnt vmcnt(20)
	v_fma_f32 v113, v94, v129, -v113
	v_fmac_f32_e32 v112, v95, v129
	ds_read_b128 v[92:95], v1 offset:640
	ds_read_b64 v[6:7], v1 offset:656
	s_waitcnt vmcnt(19) lgkmcnt(5)
	v_mul_f32_e32 v116, v3, v118
	v_mul_f32_e32 v117, v2, v118
	v_add_f32_e32 v108, v108, v113
	v_add_f32_e32 v8, v8, v112
	s_waitcnt vmcnt(18) lgkmcnt(4)
	v_mul_f32_e32 v115, v96, v140
	v_fma_f32 v2, v2, v128, -v116
	s_waitcnt vmcnt(17)
	v_mul_f32_e32 v118, v5, v139
	v_mul_f32_e32 v119, v4, v139
	v_fmac_f32_e32 v117, v3, v128
	v_mul_f32_e32 v116, v97, v140
	v_add_f32_e32 v2, v108, v2
	v_fma_f32 v4, v4, v127, -v118
	v_fmac_f32_e32 v119, v5, v127
	v_add_f32_e32 v5, v8, v117
	s_waitcnt vmcnt(16)
	v_mul_f32_e32 v8, v99, v141
	v_fma_f32 v96, v96, v120, -v116
	v_add_f32_e32 v2, v2, v4
	v_mul_f32_e32 v110, v98, v141
	v_fmac_f32_e32 v115, v97, v120
	v_add_f32_e32 v4, v5, v119
	s_waitcnt vmcnt(15) lgkmcnt(3)
	v_mul_f32_e32 v5, v101, v143
	v_add_f32_e32 v2, v2, v96
	v_mul_f32_e32 v121, v100, v143
	s_waitcnt vmcnt(14)
	v_mul_f32_e32 v96, v103, v151
	v_add_f32_e32 v4, v4, v115
	s_waitcnt vmcnt(5)
	v_fma_f32 v8, v98, v153, -v8
	v_fmac_f32_e32 v110, v99, v153
	v_fma_f32 v5, v100, v149, -v5
	v_mul_f32_e32 v109, v102, v151
	v_fmac_f32_e32 v121, v101, v149
	v_add_f32_e32 v2, v2, v8
	v_add_f32_e32 v4, v4, v110
	s_waitcnt lgkmcnt(2)
	v_mul_f32_e32 v8, v105, v152
	v_fma_f32 v96, v102, v148, -v96
	v_mul_f32_e32 v114, v104, v152
	v_add_f32_e32 v2, v2, v5
	v_fmac_f32_e32 v109, v103, v148
	v_add_f32_e32 v4, v4, v121
	v_mul_f32_e32 v5, v107, v144
	v_fma_f32 v8, v104, v132, -v8
	v_add_f32_e32 v2, v2, v96
	v_mul_f32_e32 v3, v106, v144
	v_fmac_f32_e32 v114, v105, v132
	v_add_f32_e32 v4, v4, v109
	s_waitcnt lgkmcnt(1)
	v_mul_f32_e32 v96, v93, v145
	s_waitcnt vmcnt(1)
	v_fma_f32 v5, v106, v154, -v5
	v_add_f32_e32 v2, v2, v8
	v_mul_f32_e32 v111, v92, v145
	v_fmac_f32_e32 v3, v107, v154
	v_add_f32_e32 v4, v4, v114
	v_mul_f32_e32 v8, v95, v146
	v_fma_f32 v92, v92, v135, -v96
	v_add_f32_e32 v2, v2, v5
	v_mul_f32_e32 v113, v94, v146
	v_fmac_f32_e32 v111, v93, v135
	v_add_f32_e32 v3, v4, v3
	s_waitcnt lgkmcnt(0)
	v_mul_f32_e32 v4, v7, v147
	v_fma_f32 v5, v94, v134, -v8
	v_add_f32_e32 v2, v2, v92
	v_mul_f32_e32 v112, v6, v147
	v_fmac_f32_e32 v113, v95, v134
	v_add_f32_e32 v3, v3, v111
	v_fma_f32 v4, v6, v133, -v4
	v_add_f32_e32 v2, v2, v5
	v_fmac_f32_e32 v112, v7, v133
	v_add_f32_e32 v3, v3, v113
	v_add_f32_e32 v2, v2, v4
	;; [unrolled: 1-line block ×3, first 2 shown]
	s_waitcnt vmcnt(0)
	v_sub_f32_e32 v2, v155, v2
	v_sub_f32_e32 v3, v142, v3
	buffer_store_dword v2, off, s[0:3], 0 offset:40
	buffer_store_dword v3, off, s[0:3], 0 offset:44
	v_cmpx_lt_u32_e32 4, v0
	s_cbranch_execz .LBB104_251
; %bb.250:
	s_clause 0x1
	buffer_load_dword v2, off, s[0:3], 0 offset:32
	buffer_load_dword v3, off, s[0:3], 0 offset:36
	buffer_store_dword v1, off, s[0:3], 0 offset:32
	buffer_store_dword v1, off, s[0:3], 0 offset:36
	s_waitcnt vmcnt(0)
	ds_write_b64 v91, v[2:3]
.LBB104_251:
	s_or_b32 exec_lo, exec_lo, s4
	s_waitcnt lgkmcnt(0)
	s_waitcnt_vscnt null, 0x0
	s_barrier
	buffer_gl0_inv
	s_clause 0x2a
	buffer_load_dword v7, off, s[0:3], 0 offset:44
	buffer_load_dword v8, off, s[0:3], 0 offset:52
	;; [unrolled: 1-line block ×43, first 2 shown]
	ds_read2_b64 v[124:127], v1 offset0:47 offset1:48
	ds_read2_b64 v[128:131], v1 offset0:49 offset1:50
	;; [unrolled: 1-line block ×3, first 2 shown]
	buffer_load_dword v142, off, s[0:3], 0 offset:36
	s_mov_b32 s4, exec_lo
	s_waitcnt vmcnt(43) lgkmcnt(2)
	v_mul_f32_e32 v140, v124, v7
	s_waitcnt vmcnt(42)
	v_mul_f32_e32 v141, v126, v8
	v_mul_f32_e32 v7, v125, v7
	;; [unrolled: 1-line block ×3, first 2 shown]
	s_waitcnt vmcnt(39)
	v_fmac_f32_e32 v140, v125, v6
	v_fmac_f32_e32 v141, v127, v5
	v_fma_f32 v143, v124, v6, -v7
	v_fma_f32 v144, v126, v5, -v8
	ds_read2_b64 v[5:8], v1 offset0:53 offset1:54
	ds_read2_b64 v[124:127], v1 offset0:55 offset1:56
	s_waitcnt vmcnt(38) lgkmcnt(3)
	v_mul_f32_e32 v145, v128, v3
	s_waitcnt vmcnt(37)
	v_mul_f32_e32 v146, v130, v4
	v_mul_f32_e32 v3, v129, v3
	;; [unrolled: 1-line block ×3, first 2 shown]
	v_fmac_f32_e32 v145, v129, v2
	s_waitcnt vmcnt(33)
	v_fmac_f32_e32 v146, v131, v99
	v_fma_f32 v128, v128, v2, -v3
	v_fma_f32 v129, v130, v99, -v4
	s_waitcnt vmcnt(32) lgkmcnt(2)
	v_mul_f32_e32 v130, v132, v97
	v_mul_f32_e32 v2, v133, v97
	s_waitcnt vmcnt(31)
	v_mul_f32_e32 v3, v135, v98
	v_mul_f32_e32 v131, v134, v98
	v_fmac_f32_e32 v130, v133, v96
	v_fma_f32 v132, v132, v96, -v2
	v_fma_f32 v133, v134, v93, -v3
	ds_read2_b64 v[96:99], v1 offset0:57 offset1:58
	s_waitcnt vmcnt(30) lgkmcnt(2)
	v_mul_f32_e32 v134, v5, v94
	v_mul_f32_e32 v2, v6, v94
	s_waitcnt vmcnt(29)
	v_mul_f32_e32 v3, v8, v95
	v_fmac_f32_e32 v131, v135, v93
	v_mul_f32_e32 v135, v7, v95
	v_fmac_f32_e32 v134, v6, v92
	v_fma_f32 v6, v5, v92, -v2
	s_waitcnt vmcnt(25)
	v_fma_f32 v7, v7, v107, -v3
	ds_read2_b64 v[2:5], v1 offset0:59 offset1:60
	v_fmac_f32_e32 v135, v8, v107
	s_waitcnt vmcnt(24) lgkmcnt(2)
	v_mul_f32_e32 v8, v124, v105
	s_waitcnt vmcnt(23)
	v_mul_f32_e32 v107, v126, v106
	v_mul_f32_e32 v92, v125, v105
	;; [unrolled: 1-line block ×3, first 2 shown]
	v_fmac_f32_e32 v8, v125, v104
	v_fmac_f32_e32 v107, v127, v101
	v_fma_f32 v104, v124, v104, -v92
	v_fma_f32 v101, v126, v101, -v93
	ds_read2_b64 v[92:95], v1 offset0:61 offset1:62
	s_waitcnt vmcnt(22) lgkmcnt(2)
	v_mul_f32_e32 v105, v96, v102
	s_waitcnt vmcnt(21)
	v_mul_f32_e32 v106, v98, v103
	v_mul_f32_e32 v102, v97, v102
	;; [unrolled: 1-line block ×3, first 2 shown]
	v_fmac_f32_e32 v105, v97, v100
	s_waitcnt vmcnt(17)
	v_fmac_f32_e32 v106, v99, v115
	v_fma_f32 v100, v96, v100, -v102
	v_fma_f32 v102, v98, v115, -v103
	s_waitcnt vmcnt(16) lgkmcnt(1)
	v_mul_f32_e32 v103, v2, v113
	s_waitcnt vmcnt(15)
	v_mul_f32_e32 v115, v4, v114
	v_mul_f32_e32 v113, v3, v113
	;; [unrolled: 1-line block ×3, first 2 shown]
	ds_read2_b64 v[96:99], v1 offset0:63 offset1:64
	v_fmac_f32_e32 v103, v3, v112
	v_fmac_f32_e32 v115, v5, v109
	v_fma_f32 v112, v2, v112, -v113
	v_fma_f32 v109, v4, v109, -v114
	s_clause 0x1
	buffer_load_dword v113, off, s[0:3], 0 offset:204
	buffer_load_dword v114, off, s[0:3], 0 offset:212
	s_waitcnt vmcnt(16) lgkmcnt(1)
	v_mul_f32_e32 v124, v92, v110
	v_mul_f32_e32 v2, v93, v110
	s_waitcnt vmcnt(15)
	v_mul_f32_e32 v3, v95, v111
	v_mul_f32_e32 v125, v94, v111
	buffer_load_dword v111, off, s[0:3], 0 offset:220
	v_fmac_f32_e32 v124, v93, v108
	v_fma_f32 v108, v92, v108, -v2
	s_waitcnt vmcnt(12)
	v_fma_f32 v110, v94, v123, -v3
	ds_read2_b64 v[2:5], v1 offset0:65 offset1:66
	v_fmac_f32_e32 v125, v95, v123
	s_waitcnt vmcnt(11) lgkmcnt(1)
	v_mul_f32_e32 v123, v96, v121
	s_waitcnt vmcnt(10)
	v_mul_f32_e32 v126, v98, v122
	v_mul_f32_e32 v92, v97, v121
	;; [unrolled: 1-line block ×3, first 2 shown]
	s_clause 0x5
	buffer_load_dword v121, off, s[0:3], 0 offset:228
	buffer_load_dword v122, off, s[0:3], 0 offset:248
	;; [unrolled: 1-line block ×6, first 2 shown]
	v_fmac_f32_e32 v123, v97, v120
	v_fma_f32 v120, v96, v120, -v92
	v_fmac_f32_e32 v126, v99, v119
	v_fma_f32 v119, v98, v119, -v93
	s_waitcnt vmcnt(15) lgkmcnt(0)
	v_mul_f32_e32 v149, v2, v118
	v_mul_f32_e32 v92, v3, v118
	s_waitcnt vmcnt(14)
	v_mul_f32_e32 v118, v4, v117
	v_fmac_f32_e32 v149, v3, v116
	v_add_f32_e32 v3, 0, v140
	v_fma_f32 v116, v2, v116, -v92
	v_add_f32_e32 v2, 0, v143
	v_mul_f32_e32 v92, v5, v117
	s_clause 0x1
	buffer_load_dword v117, off, s[0:3], 0 offset:244
	buffer_load_dword v140, off, s[0:3], 0 offset:252
	v_add_f32_e32 v3, v3, v141
	v_add_f32_e32 v2, v2, v144
	buffer_load_dword v141, off, s[0:3], 0 offset:260
	s_waitcnt vmcnt(13)
	v_fmac_f32_e32 v118, v5, v139
	v_fma_f32 v139, v4, v139, -v92
	v_add_f32_e32 v3, v3, v145
	v_add_f32_e32 v2, v2, v128
	s_clause 0x2
	buffer_load_dword v128, off, s[0:3], 0 offset:268
	buffer_load_dword v143, off, s[0:3], 0 offset:276
	;; [unrolled: 1-line block ×3, first 2 shown]
	v_add_f32_e32 v3, v3, v146
	v_add_f32_e32 v2, v2, v129
	s_clause 0x3
	buffer_load_dword v129, off, s[0:3], 0 offset:292
	buffer_load_dword v145, off, s[0:3], 0 offset:300
	;; [unrolled: 1-line block ×4, first 2 shown]
	v_add_f32_e32 v3, v3, v130
	v_add_f32_e32 v2, v2, v132
	buffer_load_dword v130, off, s[0:3], 0 offset:324
	v_add_f32_e32 v3, v3, v131
	v_add_f32_e32 v2, v2, v133
	s_clause 0x3
	buffer_load_dword v131, off, s[0:3], 0 offset:280
	buffer_load_dword v132, off, s[0:3], 0 offset:272
	;; [unrolled: 1-line block ×4, first 2 shown]
	v_add_f32_e32 v3, v3, v134
	v_add_f32_e32 v2, v2, v6
	;; [unrolled: 1-line block ×4, first 2 shown]
	s_clause 0x4
	buffer_load_dword v6, off, s[0:3], 0 offset:312
	buffer_load_dword v7, off, s[0:3], 0 offset:304
	;; [unrolled: 1-line block ×5, first 2 shown]
	v_add_f32_e32 v3, v3, v8
	buffer_load_dword v8, off, s[0:3], 0 offset:320
	v_add_f32_e32 v2, v2, v104
	v_add_f32_e32 v3, v3, v107
	;; [unrolled: 1-line block ×5, first 2 shown]
	ds_read2_b64 v[2:5], v1 offset0:67 offset1:68
	v_add_f32_e32 v92, v92, v106
	v_add_f32_e32 v93, v93, v102
	v_add_f32_e32 v96, v92, v103
	v_add_f32_e32 v97, v93, v112
	ds_read2_b64 v[92:95], v1 offset0:69 offset1:70
	v_add_f32_e32 v96, v96, v115
	v_add_f32_e32 v97, v97, v109
	;; [unrolled: 1-line block ×10, first 2 shown]
	s_waitcnt vmcnt(29) lgkmcnt(1)
	v_mul_f32_e32 v112, v2, v113
	v_mul_f32_e32 v98, v3, v113
	s_waitcnt vmcnt(28)
	v_mul_f32_e32 v113, v4, v114
	v_mul_f32_e32 v99, v5, v114
	v_fmac_f32_e32 v112, v3, v138
	v_fma_f32 v114, v2, v138, -v98
	v_fmac_f32_e32 v113, v5, v137
	v_fma_f32 v115, v4, v137, -v99
	ds_read2_b64 v[2:5], v1 offset0:71 offset1:72
	ds_read2_b64 v[96:99], v1 offset0:73 offset1:74
	s_waitcnt vmcnt(27) lgkmcnt(2)
	v_mul_f32_e32 v124, v92, v111
	v_mul_f32_e32 v102, v93, v111
	v_fmac_f32_e32 v124, v93, v136
	v_add_f32_e32 v93, v101, v126
	v_fma_f32 v120, v92, v136, -v102
	s_waitcnt vmcnt(26)
	v_mul_f32_e32 v125, v94, v121
	v_mul_f32_e32 v103, v95, v121
	v_add_f32_e32 v105, v93, v149
	s_waitcnt vmcnt(22)
	v_fmac_f32_e32 v125, v95, v148
	v_fma_f32 v119, v94, v148, -v103
	v_add_f32_e32 v110, v105, v118
	v_add_f32_e32 v118, v108, v139
	s_waitcnt vmcnt(21) lgkmcnt(1)
	v_mul_f32_e32 v116, v2, v150
	v_mul_f32_e32 v109, v3, v150
	ds_read2_b64 v[92:95], v1 offset0:75 offset1:76
	ds_read2_b64 v[100:103], v1 offset0:77 offset1:78
	;; [unrolled: 1-line block ×3, first 2 shown]
	v_fmac_f32_e32 v116, v3, v147
	v_fma_f32 v2, v2, v147, -v109
	v_add_f32_e32 v3, v110, v112
	ds_read2_b64 v[108:111], v1 offset0:81 offset1:82
	v_add_f32_e32 v1, v118, v114
	s_waitcnt vmcnt(20)
	v_mul_f32_e32 v114, v5, v117
	v_add_f32_e32 v3, v3, v113
	v_mul_f32_e32 v112, v4, v117
	v_add_f32_e32 v1, v1, v115
	s_waitcnt vmcnt(19) lgkmcnt(4)
	v_mul_f32_e32 v117, v97, v140
	v_fma_f32 v4, v4, v127, -v114
	v_add_f32_e32 v3, v3, v124
	v_mul_f32_e32 v113, v96, v140
	v_add_f32_e32 v1, v1, v120
	v_fmac_f32_e32 v112, v5, v127
	v_fma_f32 v96, v96, v122, -v117
	v_add_f32_e32 v3, v3, v125
	s_waitcnt vmcnt(18)
	v_mul_f32_e32 v115, v98, v141
	v_add_f32_e32 v1, v1, v119
	v_mul_f32_e32 v119, v99, v141
	v_fmac_f32_e32 v113, v97, v122
	s_waitcnt vmcnt(17) lgkmcnt(3)
	v_mul_f32_e32 v5, v92, v128
	s_waitcnt vmcnt(16)
	v_mul_f32_e32 v114, v94, v143
	v_add_f32_e32 v1, v1, v2
	v_add_f32_e32 v2, v3, v116
	s_waitcnt vmcnt(15) lgkmcnt(2)
	v_mul_f32_e32 v118, v100, v144
	s_waitcnt vmcnt(14)
	v_mul_f32_e32 v120, v102, v129
	s_waitcnt vmcnt(8)
	v_fmac_f32_e32 v114, v95, v132
	v_add_f32_e32 v1, v1, v4
	v_add_f32_e32 v2, v2, v112
	v_mul_f32_e32 v4, v93, v128
	s_waitcnt vmcnt(6)
	v_fma_f32 v97, v98, v152, -v119
	v_fmac_f32_e32 v115, v99, v152
	v_add_f32_e32 v1, v1, v96
	v_add_f32_e32 v2, v2, v113
	v_mul_f32_e32 v96, v95, v143
	v_fma_f32 v4, v92, v133, -v4
	v_fmac_f32_e32 v5, v93, v133
	v_add_f32_e32 v1, v1, v97
	v_add_f32_e32 v2, v2, v115
	v_mul_f32_e32 v92, v101, v144
	;; [unrolled: 5-line block ×3, first 2 shown]
	v_fma_f32 v5, v100, v131, -v92
	s_waitcnt lgkmcnt(1)
	v_mul_f32_e32 v92, v105, v145
	v_add_f32_e32 v1, v1, v93
	v_add_f32_e32 v2, v2, v114
	s_waitcnt vmcnt(2)
	v_fma_f32 v4, v102, v135, -v4
	v_mul_f32_e32 v121, v104, v145
	v_fmac_f32_e32 v120, v103, v135
	v_add_f32_e32 v1, v1, v5
	v_add_f32_e32 v2, v2, v118
	v_mul_f32_e32 v5, v107, v146
	v_fma_f32 v92, v104, v134, -v92
	v_mul_f32_e32 v123, v106, v146
	v_add_f32_e32 v1, v1, v4
	v_fmac_f32_e32 v121, v105, v134
	v_add_f32_e32 v2, v2, v120
	s_waitcnt lgkmcnt(0)
	v_mul_f32_e32 v4, v109, v151
	v_fma_f32 v5, v106, v7, -v5
	v_add_f32_e32 v1, v1, v92
	v_mul_f32_e32 v124, v108, v151
	v_fmac_f32_e32 v123, v107, v7
	v_add_f32_e32 v2, v2, v121
	v_mul_f32_e32 v7, v111, v130
	v_fma_f32 v4, v108, v6, -v4
	v_add_f32_e32 v1, v1, v5
	v_mul_f32_e32 v3, v110, v130
	v_fmac_f32_e32 v124, v109, v6
	v_add_f32_e32 v2, v2, v123
	s_waitcnt vmcnt(0)
	v_fma_f32 v5, v110, v8, -v7
	v_add_f32_e32 v1, v1, v4
	v_fmac_f32_e32 v3, v111, v8
	v_add_f32_e32 v2, v2, v124
	v_add_f32_e32 v1, v1, v5
	;; [unrolled: 1-line block ×3, first 2 shown]
	v_sub_f32_e32 v1, v153, v1
	v_sub_f32_e32 v2, v142, v2
	buffer_store_dword v1, off, s[0:3], 0 offset:32
	buffer_store_dword v2, off, s[0:3], 0 offset:36
	v_cmpx_lt_u32_e32 3, v0
	s_cbranch_execz .LBB104_253
; %bb.252:
	s_clause 0x1
	buffer_load_dword v1, off, s[0:3], 0 offset:24
	buffer_load_dword v2, off, s[0:3], 0 offset:28
	v_mov_b32_e32 v3, 0
	buffer_store_dword v3, off, s[0:3], 0 offset:24
	buffer_store_dword v3, off, s[0:3], 0 offset:28
	s_waitcnt vmcnt(0)
	ds_write_b64 v91, v[1:2]
.LBB104_253:
	s_or_b32 exec_lo, exec_lo, s4
	s_waitcnt lgkmcnt(0)
	s_waitcnt_vscnt null, 0x0
	s_barrier
	buffer_gl0_inv
	s_clause 0x2b
	buffer_load_dword v123, off, s[0:3], 0 offset:36
	buffer_load_dword v2, off, s[0:3], 0 offset:48
	;; [unrolled: 1-line block ×44, first 2 shown]
	v_mov_b32_e32 v1, 0
	ds_read_b128 v[124:127], v1 offset:368
	ds_read_b128 v[128:131], v1 offset:384
	;; [unrolled: 1-line block ×3, first 2 shown]
	buffer_load_dword v142, off, s[0:3], 0 offset:28
	s_mov_b32 s4, exec_lo
	s_waitcnt vmcnt(44) lgkmcnt(2)
	v_mul_f32_e32 v141, v124, v123
	v_mul_f32_e32 v123, v125, v123
	s_waitcnt vmcnt(40)
	v_mul_f32_e32 v144, v126, v92
	v_mul_f32_e32 v92, v127, v92
	v_fmac_f32_e32 v141, v125, v93
	v_fma_f32 v143, v124, v93, -v123
	s_waitcnt vmcnt(39) lgkmcnt(1)
	v_mul_f32_e32 v146, v128, v7
	v_fmac_f32_e32 v144, v127, v5
	v_fma_f32 v145, v126, v5, -v92
	v_mul_f32_e32 v5, v129, v7
	ds_read_b128 v[123:126], v1 offset:416
	v_fmac_f32_e32 v146, v129, v2
	s_waitcnt vmcnt(38)
	v_mul_f32_e32 v148, v130, v4
	v_fma_f32 v147, v128, v2, -v5
	v_mul_f32_e32 v2, v131, v4
	s_waitcnt vmcnt(34)
	v_fmac_f32_e32 v148, v131, v97
	s_waitcnt vmcnt(33) lgkmcnt(1)
	v_mul_f32_e32 v131, v132, v96
	v_fma_f32 v97, v130, v97, -v2
	v_mul_f32_e32 v2, v133, v96
	ds_read_b128 v[127:130], v1 offset:432
	v_fmac_f32_e32 v131, v133, v94
	v_fma_f32 v96, v132, v94, -v2
	s_waitcnt vmcnt(32)
	v_mul_f32_e32 v132, v134, v95
	v_mul_f32_e32 v2, v135, v95
	ds_read_b128 v[92:95], v1 offset:464
	v_fmac_f32_e32 v132, v135, v6
	v_fma_f32 v133, v134, v6, -v2
	s_waitcnt vmcnt(31) lgkmcnt(2)
	v_mul_f32_e32 v2, v124, v8
	ds_read_b128 v[4:7], v1 offset:448
	v_mul_f32_e32 v134, v123, v8
	v_fma_f32 v8, v123, v3, -v2
	s_waitcnt vmcnt(30)
	v_mul_f32_e32 v2, v126, v98
	v_mul_f32_e32 v123, v125, v98
	v_fmac_f32_e32 v134, v124, v3
	s_waitcnt vmcnt(24) lgkmcnt(2)
	v_mul_f32_e32 v124, v129, v103
	v_fma_f32 v98, v125, v106, -v2
	v_mul_f32_e32 v2, v128, v105
	v_fmac_f32_e32 v123, v126, v106
	v_mul_f32_e32 v106, v127, v105
	v_fmac_f32_e32 v124, v130, v100
	v_fma_f32 v105, v127, v102, -v2
	v_mul_f32_e32 v2, v130, v103
	v_fmac_f32_e32 v106, v128, v102
	s_waitcnt vmcnt(23) lgkmcnt(0)
	v_mul_f32_e32 v126, v4, v101
	s_waitcnt vmcnt(22)
	v_mul_f32_e32 v127, v6, v104
	v_fma_f32 v125, v129, v100, -v2
	v_mul_f32_e32 v2, v5, v101
	ds_read_b128 v[100:103], v1 offset:480
	v_fmac_f32_e32 v126, v5, v99
	s_waitcnt vmcnt(18)
	v_fmac_f32_e32 v127, v7, v115
	v_fma_f32 v99, v4, v99, -v2
	v_mul_f32_e32 v2, v7, v104
	s_waitcnt vmcnt(17)
	v_mul_f32_e32 v7, v92, v114
	s_waitcnt vmcnt(16)
	v_mul_f32_e32 v104, v94, v113
	v_mul_f32_e32 v113, v95, v113
	v_fma_f32 v6, v6, v115, -v2
	v_mul_f32_e32 v2, v93, v114
	v_fmac_f32_e32 v7, v93, v111
	v_fmac_f32_e32 v104, v95, v108
	v_fma_f32 v108, v94, v108, -v113
	v_add_f32_e32 v94, 0, v141
	v_fma_f32 v111, v92, v111, -v2
	ds_read_b128 v[2:5], v1 offset:496
	s_clause 0x2
	buffer_load_dword v113, off, s[0:3], 0 offset:204
	buffer_load_dword v114, off, s[0:3], 0 offset:212
	;; [unrolled: 1-line block ×3, first 2 shown]
	s_waitcnt vmcnt(18) lgkmcnt(1)
	v_mul_f32_e32 v115, v100, v109
	v_mul_f32_e32 v92, v101, v109
	s_waitcnt vmcnt(17)
	v_mul_f32_e32 v109, v102, v112
	v_mul_f32_e32 v93, v103, v112
	v_fmac_f32_e32 v115, v101, v107
	v_fma_f32 v100, v100, v107, -v92
	s_waitcnt vmcnt(13)
	v_fmac_f32_e32 v109, v103, v122
	v_fma_f32 v101, v102, v122, -v93
	v_add_f32_e32 v103, v94, v144
	ds_read_b128 v[92:95], v1 offset:512
	v_add_f32_e32 v102, 0, v143
	v_add_f32_e32 v103, v103, v146
	;; [unrolled: 1-line block ×3, first 2 shown]
	s_waitcnt vmcnt(12) lgkmcnt(1)
	v_mul_f32_e32 v107, v2, v121
	v_mul_f32_e32 v112, v3, v121
	s_clause 0x3
	buffer_load_dword v121, off, s[0:3], 0 offset:240
	buffer_load_dword v122, off, s[0:3], 0 offset:232
	;; [unrolled: 1-line block ×4, first 2 shown]
	v_fmac_f32_e32 v107, v3, v120
	v_fma_f32 v112, v2, v120, -v112
	s_clause 0x1
	buffer_load_dword v120, off, s[0:3], 0 offset:228
	buffer_load_dword v135, off, s[0:3], 0 offset:236
	v_add_f32_e32 v2, v102, v147
	v_add_f32_e32 v3, v103, v148
	s_waitcnt vmcnt(17)
	v_mul_f32_e32 v102, v4, v119
	v_mul_f32_e32 v103, v5, v119
	buffer_load_dword v119, off, s[0:3], 0 offset:244
	v_add_f32_e32 v2, v2, v97
	v_add_f32_e32 v3, v3, v131
	v_fmac_f32_e32 v102, v5, v117
	v_fma_f32 v103, v4, v117, -v103
	s_clause 0x3
	buffer_load_dword v117, off, s[0:3], 0 offset:252
	buffer_load_dword v131, off, s[0:3], 0 offset:260
	;; [unrolled: 1-line block ×4, first 2 shown]
	v_add_f32_e32 v96, v2, v96
	v_add_f32_e32 v97, v3, v132
	ds_read_b128 v[2:5], v1 offset:528
	s_waitcnt vmcnt(21) lgkmcnt(1)
	v_mul_f32_e32 v132, v92, v116
	v_mul_f32_e32 v116, v93, v116
	v_add_f32_e32 v96, v96, v133
	v_add_f32_e32 v97, v97, v134
	s_waitcnt vmcnt(20)
	v_mul_f32_e32 v133, v94, v118
	v_fmac_f32_e32 v132, v93, v110
	v_fma_f32 v110, v92, v110, -v116
	v_add_f32_e32 v8, v96, v8
	v_add_f32_e32 v92, v97, v123
	v_mul_f32_e32 v96, v95, v118
	s_clause 0x4
	buffer_load_dword v116, off, s[0:3], 0 offset:284
	buffer_load_dword v118, off, s[0:3], 0 offset:292
	;; [unrolled: 1-line block ×5, first 2 shown]
	v_add_f32_e32 v8, v8, v98
	s_clause 0x4
	buffer_load_dword v145, off, s[0:3], 0 offset:272
	buffer_load_dword v146, off, s[0:3], 0 offset:264
	;; [unrolled: 1-line block ×5, first 2 shown]
	v_add_f32_e32 v92, v92, v106
	s_waitcnt vmcnt(26)
	v_fmac_f32_e32 v133, v95, v139
	v_fma_f32 v139, v94, v139, -v96
	v_add_f32_e32 v8, v8, v105
	v_add_f32_e32 v92, v92, v124
	s_waitcnt vmcnt(25) lgkmcnt(0)
	v_mul_f32_e32 v97, v3, v140
	v_mul_f32_e32 v124, v2, v140
	v_add_f32_e32 v8, v8, v125
	v_add_f32_e32 v96, v92, v126
	ds_read_b128 v[92:95], v1 offset:544
	v_fma_f32 v105, v2, v138, -v97
	v_add_f32_e32 v8, v8, v99
	v_fmac_f32_e32 v124, v3, v138
	v_add_f32_e32 v96, v96, v127
	v_add_f32_e32 v2, v8, v6
	s_clause 0x3
	buffer_load_dword v8, off, s[0:3], 0 offset:304
	buffer_load_dword v125, off, s[0:3], 0 offset:296
	;; [unrolled: 1-line block ×4, first 2 shown]
	v_add_f32_e32 v3, v96, v7
	v_add_f32_e32 v2, v2, v111
	s_clause 0x1
	buffer_load_dword v111, off, s[0:3], 0 offset:320
	buffer_load_dword v138, off, s[0:3], 0 offset:312
	v_add_f32_e32 v3, v3, v104
	ds_read_b128 v[96:99], v1 offset:576
	v_add_f32_e32 v2, v2, v108
	buffer_load_dword v108, off, s[0:3], 0 offset:24
	v_add_f32_e32 v6, v3, v115
	v_add_f32_e32 v7, v2, v100
	;; [unrolled: 1-line block ×11, first 2 shown]
	s_waitcnt vmcnt(30)
	v_mul_f32_e32 v115, v4, v113
	v_mul_f32_e32 v3, v5, v113
	s_waitcnt vmcnt(29) lgkmcnt(1)
	v_mul_f32_e32 v100, v93, v114
	v_mul_f32_e32 v109, v92, v114
	s_waitcnt vmcnt(28)
	v_mul_f32_e32 v101, v95, v128
	v_fmac_f32_e32 v115, v5, v137
	v_fma_f32 v113, v4, v137, -v3
	ds_read_b128 v[2:5], v1 offset:560
	v_fma_f32 v112, v92, v136, -v100
	v_mul_f32_e32 v114, v94, v128
	v_fmac_f32_e32 v109, v93, v136
	s_waitcnt vmcnt(24)
	v_fma_f32 v128, v94, v130, -v101
	v_fmac_f32_e32 v114, v95, v130
	ds_read_b128 v[92:95], v1 offset:592
	ds_read_b128 v[100:103], v1 offset:608
	s_waitcnt vmcnt(23) lgkmcnt(2)
	v_mul_f32_e32 v110, v2, v120
	v_mul_f32_e32 v104, v3, v120
	s_waitcnt vmcnt(22)
	v_mul_f32_e32 v120, v4, v135
	v_mul_f32_e32 v130, v5, v135
	v_fmac_f32_e32 v110, v3, v129
	v_fma_f32 v129, v2, v129, -v104
	v_add_f32_e32 v2, v6, v133
	v_add_f32_e32 v6, v7, v105
	v_fmac_f32_e32 v120, v5, v122
	v_fma_f32 v122, v4, v122, -v130
	s_waitcnt vmcnt(21)
	v_mul_f32_e32 v130, v96, v119
	v_add_f32_e32 v124, v2, v124
	v_add_f32_e32 v113, v6, v113
	ds_read_b128 v[104:107], v1 offset:624
	ds_read_b128 v[2:5], v1 offset:640
	v_fmac_f32_e32 v130, v97, v121
	v_add_f32_e32 v115, v124, v115
	v_add_f32_e32 v112, v113, v112
	v_mul_f32_e32 v113, v97, v119
	s_waitcnt vmcnt(20)
	v_mul_f32_e32 v124, v98, v117
	v_mul_f32_e32 v117, v99, v117
	v_add_f32_e32 v109, v115, v109
	v_add_f32_e32 v112, v112, v128
	v_fma_f32 v96, v96, v121, -v113
	s_waitcnt vmcnt(19) lgkmcnt(3)
	v_mul_f32_e32 v115, v92, v131
	v_mul_f32_e32 v121, v93, v131
	v_add_f32_e32 v109, v109, v114
	v_add_f32_e32 v112, v112, v129
	s_waitcnt vmcnt(8)
	v_fma_f32 v98, v98, v148, -v117
	v_fmac_f32_e32 v124, v99, v148
	v_fmac_f32_e32 v115, v93, v147
	v_add_f32_e32 v109, v109, v110
	v_add_f32_e32 v112, v112, v122
	v_fma_f32 v92, v92, v147, -v121
	v_mul_f32_e32 v119, v94, v141
	s_waitcnt lgkmcnt(2)
	v_mul_f32_e32 v128, v100, v143
	v_add_f32_e32 v109, v109, v120
	v_add_f32_e32 v96, v112, v96
	v_mul_f32_e32 v114, v102, v116
	v_fmac_f32_e32 v119, v95, v146
	v_fmac_f32_e32 v128, v101, v145
	v_add_f32_e32 v99, v109, v130
	v_mul_f32_e32 v109, v95, v141
	v_add_f32_e32 v93, v96, v98
	v_mul_f32_e32 v98, v101, v143
	v_mul_f32_e32 v95, v103, v116
	v_add_f32_e32 v96, v99, v124
	v_fma_f32 v94, v94, v146, -v109
	v_add_f32_e32 v92, v93, v92
	ds_read_b64 v[6:7], v1 offset:656
	s_waitcnt vmcnt(3)
	v_fma_f32 v95, v102, v127, -v95
	v_add_f32_e32 v93, v96, v115
	v_fma_f32 v96, v100, v145, -v98
	v_add_f32_e32 v92, v92, v94
	s_waitcnt lgkmcnt(2)
	v_mul_f32_e32 v94, v105, v118
	v_mul_f32_e32 v129, v104, v118
	v_add_f32_e32 v93, v93, v119
	v_fmac_f32_e32 v114, v103, v127
	v_add_f32_e32 v92, v92, v96
	v_mul_f32_e32 v96, v107, v123
	v_fma_f32 v94, v104, v126, -v94
	v_add_f32_e32 v93, v93, v128
	v_mul_f32_e32 v97, v106, v123
	v_add_f32_e32 v92, v92, v95
	v_fmac_f32_e32 v129, v105, v126
	s_waitcnt lgkmcnt(1)
	v_mul_f32_e32 v110, v2, v134
	v_add_f32_e32 v93, v93, v114
	v_mul_f32_e32 v95, v3, v134
	v_fma_f32 v96, v106, v125, -v96
	v_add_f32_e32 v92, v92, v94
	v_fmac_f32_e32 v97, v107, v125
	v_add_f32_e32 v93, v93, v129
	v_mul_f32_e32 v94, v5, v144
	v_fmac_f32_e32 v110, v3, v8
	v_fma_f32 v2, v2, v8, -v95
	v_add_f32_e32 v3, v92, v96
	v_mul_f32_e32 v113, v4, v144
	v_add_f32_e32 v8, v93, v97
	s_waitcnt lgkmcnt(0)
	v_mul_f32_e32 v92, v7, v149
	s_waitcnt vmcnt(1)
	v_fma_f32 v4, v4, v138, -v94
	v_add_f32_e32 v2, v3, v2
	v_mul_f32_e32 v120, v6, v149
	v_fmac_f32_e32 v113, v5, v138
	v_add_f32_e32 v3, v8, v110
	v_fma_f32 v5, v6, v111, -v92
	v_add_f32_e32 v2, v2, v4
	v_fmac_f32_e32 v120, v7, v111
	v_add_f32_e32 v3, v3, v113
	v_add_f32_e32 v2, v2, v5
	;; [unrolled: 1-line block ×3, first 2 shown]
	s_waitcnt vmcnt(0)
	v_sub_f32_e32 v2, v108, v2
	v_sub_f32_e32 v3, v142, v3
	buffer_store_dword v2, off, s[0:3], 0 offset:24
	buffer_store_dword v3, off, s[0:3], 0 offset:28
	v_cmpx_lt_u32_e32 2, v0
	s_cbranch_execz .LBB104_255
; %bb.254:
	s_clause 0x1
	buffer_load_dword v2, off, s[0:3], 0 offset:16
	buffer_load_dword v3, off, s[0:3], 0 offset:20
	buffer_store_dword v1, off, s[0:3], 0 offset:16
	buffer_store_dword v1, off, s[0:3], 0 offset:20
	s_waitcnt vmcnt(0)
	ds_write_b64 v91, v[2:3]
.LBB104_255:
	s_or_b32 exec_lo, exec_lo, s4
	s_waitcnt lgkmcnt(0)
	s_waitcnt_vscnt null, 0x0
	s_barrier
	buffer_gl0_inv
	s_clause 0x2b
	buffer_load_dword v123, off, s[0:3], 0 offset:28
	buffer_load_dword v2, off, s[0:3], 0 offset:40
	;; [unrolled: 1-line block ×44, first 2 shown]
	ds_read2_b64 v[124:127], v1 offset0:45 offset1:46
	ds_read2_b64 v[128:131], v1 offset0:47 offset1:48
	;; [unrolled: 1-line block ×3, first 2 shown]
	buffer_load_dword v142, off, s[0:3], 0 offset:20
	s_mov_b32 s4, exec_lo
	s_waitcnt vmcnt(44) lgkmcnt(2)
	v_mul_f32_e32 v141, v124, v123
	v_mul_f32_e32 v123, v125, v123
	s_waitcnt vmcnt(40)
	v_mul_f32_e32 v144, v126, v92
	v_mul_f32_e32 v92, v127, v92
	s_waitcnt vmcnt(39) lgkmcnt(1)
	v_mul_f32_e32 v146, v128, v7
	v_fmac_f32_e32 v141, v125, v93
	v_fma_f32 v143, v124, v93, -v123
	v_fmac_f32_e32 v144, v127, v5
	v_fma_f32 v145, v126, v5, -v92
	v_mul_f32_e32 v5, v129, v7
	ds_read2_b64 v[123:126], v1 offset0:51 offset1:52
	v_fmac_f32_e32 v146, v129, v2
	s_waitcnt vmcnt(38)
	v_mul_f32_e32 v148, v130, v4
	v_fma_f32 v147, v128, v2, -v5
	v_mul_f32_e32 v2, v131, v4
	s_waitcnt vmcnt(34)
	v_fmac_f32_e32 v148, v131, v97
	s_waitcnt vmcnt(33) lgkmcnt(1)
	v_mul_f32_e32 v131, v132, v96
	v_fma_f32 v97, v130, v97, -v2
	v_mul_f32_e32 v2, v133, v96
	ds_read2_b64 v[127:130], v1 offset0:53 offset1:54
	v_fmac_f32_e32 v131, v133, v94
	v_fma_f32 v96, v132, v94, -v2
	s_waitcnt vmcnt(32)
	v_mul_f32_e32 v132, v134, v95
	v_mul_f32_e32 v2, v135, v95
	ds_read2_b64 v[92:95], v1 offset0:57 offset1:58
	v_fmac_f32_e32 v132, v135, v6
	v_fma_f32 v133, v134, v6, -v2
	ds_read2_b64 v[4:7], v1 offset0:55 offset1:56
	s_waitcnt vmcnt(31) lgkmcnt(3)
	v_mul_f32_e32 v2, v124, v8
	v_mul_f32_e32 v134, v123, v8
	s_waitcnt vmcnt(30)
	v_mul_f32_e32 v135, v125, v98
	v_fma_f32 v8, v123, v3, -v2
	v_mul_f32_e32 v2, v126, v98
	s_waitcnt vmcnt(26)
	v_fmac_f32_e32 v135, v126, v106
	v_fmac_f32_e32 v134, v124, v3
	s_waitcnt vmcnt(24) lgkmcnt(2)
	v_mul_f32_e32 v3, v130, v104
	v_fma_f32 v98, v125, v106, -v2
	v_mul_f32_e32 v106, v127, v105
	v_mul_f32_e32 v2, v128, v105
	;; [unrolled: 1-line block ×3, first 2 shown]
	ds_read2_b64 v[123:126], v1 offset0:59 offset1:60
	v_fmac_f32_e32 v106, v128, v102
	v_fma_f32 v102, v127, v102, -v2
	s_waitcnt vmcnt(23) lgkmcnt(1)
	v_mul_f32_e32 v104, v4, v101
	v_mul_f32_e32 v2, v5, v101
	s_waitcnt vmcnt(22)
	v_mul_f32_e32 v101, v6, v103
	v_fmac_f32_e32 v105, v130, v100
	v_fma_f32 v100, v129, v100, -v3
	v_fmac_f32_e32 v104, v5, v99
	v_fma_f32 v99, v4, v99, -v2
	v_mul_f32_e32 v2, v7, v103
	s_waitcnt vmcnt(18)
	v_fmac_f32_e32 v101, v7, v116
	s_clause 0x1
	buffer_load_dword v7, off, s[0:3], 0 offset:196
	buffer_load_dword v103, off, s[0:3], 0 offset:204
	s_waitcnt vmcnt(18)
	v_mul_f32_e32 v3, v95, v113
	v_fma_f32 v6, v6, v116, -v2
	v_mul_f32_e32 v116, v92, v114
	v_mul_f32_e32 v2, v93, v114
	;; [unrolled: 1-line block ×3, first 2 shown]
	s_waitcnt vmcnt(17) lgkmcnt(0)
	v_mul_f32_e32 v113, v123, v112
	v_mul_f32_e32 v112, v124, v112
	v_fmac_f32_e32 v116, v93, v110
	v_fma_f32 v110, v92, v110, -v2
	s_waitcnt vmcnt(16)
	v_mul_f32_e32 v127, v125, v117
	v_mul_f32_e32 v92, v126, v117
	v_fmac_f32_e32 v114, v95, v109
	v_fma_f32 v109, v94, v109, -v3
	ds_read2_b64 v[2:5], v1 offset0:61 offset1:62
	v_fmac_f32_e32 v113, v124, v107
	v_fma_f32 v107, v123, v107, -v112
	s_waitcnt vmcnt(12)
	v_fmac_f32_e32 v127, v126, v122
	v_fma_f32 v112, v125, v122, -v92
	s_clause 0x7
	buffer_load_dword v117, off, s[0:3], 0 offset:212
	buffer_load_dword v122, off, s[0:3], 0 offset:232
	buffer_load_dword v123, off, s[0:3], 0 offset:224
	buffer_load_dword v124, off, s[0:3], 0 offset:216
	buffer_load_dword v125, off, s[0:3], 0 offset:208
	buffer_load_dword v126, off, s[0:3], 0 offset:220
	buffer_load_dword v128, off, s[0:3], 0 offset:228
	buffer_load_dword v129, off, s[0:3], 0 offset:236
	v_add_f32_e32 v92, 0, v141
	v_add_f32_e32 v93, 0, v143
	;; [unrolled: 1-line block ×6, first 2 shown]
	s_waitcnt vmcnt(19) lgkmcnt(0)
	v_mul_f32_e32 v141, v2, v121
	v_mul_f32_e32 v121, v3, v121
	v_add_f32_e32 v130, v92, v148
	v_add_f32_e32 v97, v93, v97
	ds_read2_b64 v[92:95], v1 offset0:63 offset1:64
	v_fmac_f32_e32 v141, v3, v119
	v_fma_f32 v119, v2, v119, -v121
	v_add_f32_e32 v130, v130, v131
	v_add_f32_e32 v96, v97, v96
	s_waitcnt vmcnt(18)
	v_mul_f32_e32 v131, v4, v120
	v_mul_f32_e32 v97, v5, v120
	v_add_f32_e32 v3, v130, v132
	v_add_f32_e32 v96, v96, v133
	v_fmac_f32_e32 v131, v5, v118
	v_fma_f32 v118, v4, v118, -v97
	v_add_f32_e32 v2, v3, v134
	v_add_f32_e32 v3, v96, v8
	s_clause 0x7
	buffer_load_dword v8, off, s[0:3], 0 offset:244
	buffer_load_dword v120, off, s[0:3], 0 offset:252
	;; [unrolled: 1-line block ×8, first 2 shown]
	v_add_f32_e32 v2, v2, v135
	v_add_f32_e32 v3, v3, v98
	s_waitcnt vmcnt(25) lgkmcnt(0)
	v_mul_f32_e32 v144, v92, v115
	v_mul_f32_e32 v4, v93, v115
	s_clause 0x3
	buffer_load_dword v115, off, s[0:3], 0 offset:276
	buffer_load_dword v135, off, s[0:3], 0 offset:284
	;; [unrolled: 1-line block ×4, first 2 shown]
	v_add_f32_e32 v2, v2, v106
	s_clause 0x1
	buffer_load_dword v147, off, s[0:3], 0 offset:308
	buffer_load_dword v148, off, s[0:3], 0 offset:316
	v_fmac_f32_e32 v144, v93, v108
	v_fma_f32 v108, v92, v108, -v4
	v_add_f32_e32 v92, v3, v102
	s_waitcnt vmcnt(30)
	v_mul_f32_e32 v3, v95, v111
	v_mul_f32_e32 v106, v94, v111
	v_add_f32_e32 v93, v2, v105
	buffer_load_dword v149, off, s[0:3], 0 offset:324
	v_add_f32_e32 v92, v92, v100
	s_waitcnt vmcnt(27)
	v_fma_f32 v105, v94, v139, -v3
	ds_read2_b64 v[2:5], v1 offset0:65 offset1:66
	v_fmac_f32_e32 v106, v95, v139
	v_add_f32_e32 v93, v93, v104
	s_clause 0x3
	buffer_load_dword v139, off, s[0:3], 0 offset:296
	buffer_load_dword v150, off, s[0:3], 0 offset:288
	;; [unrolled: 1-line block ×4, first 2 shown]
	v_add_f32_e32 v92, v92, v99
	v_add_f32_e32 v93, v93, v101
	;; [unrolled: 1-line block ×4, first 2 shown]
	ds_read2_b64 v[92:95], v1 offset0:67 offset1:68
	v_add_f32_e32 v6, v6, v110
	v_add_f32_e32 v96, v96, v114
	s_waitcnt vmcnt(30) lgkmcnt(1)
	v_mul_f32_e32 v104, v2, v140
	v_mul_f32_e32 v97, v3, v140
	v_fmac_f32_e32 v104, v3, v138
	v_fma_f32 v110, v2, v138, -v97
	v_add_f32_e32 v2, v6, v109
	v_add_f32_e32 v3, v96, v113
	s_clause 0x3
	buffer_load_dword v6, off, s[0:3], 0 offset:320
	buffer_load_dword v113, off, s[0:3], 0 offset:312
	;; [unrolled: 1-line block ×4, first 2 shown]
	v_add_f32_e32 v2, v2, v107
	v_add_f32_e32 v3, v3, v127
	;; [unrolled: 1-line block ×6, first 2 shown]
	ds_read2_b64 v[96:99], v1 offset0:71 offset1:72
	v_add_f32_e32 v101, v101, v118
	v_add_f32_e32 v111, v100, v144
	;; [unrolled: 1-line block ×6, first 2 shown]
	s_waitcnt vmcnt(32)
	v_mul_f32_e32 v107, v4, v7
	v_mul_f32_e32 v7, v5, v7
	s_waitcnt vmcnt(31) lgkmcnt(1)
	v_mul_f32_e32 v109, v92, v103
	v_mul_f32_e32 v102, v93, v103
	v_fmac_f32_e32 v107, v5, v137
	v_fma_f32 v7, v4, v137, -v7
	ds_read2_b64 v[2:5], v1 offset0:69 offset1:70
	v_fmac_f32_e32 v109, v93, v136
	s_waitcnt vmcnt(30)
	v_mul_f32_e32 v112, v94, v117
	v_mul_f32_e32 v103, v95, v117
	v_fma_f32 v117, v92, v136, -v102
	s_waitcnt vmcnt(26)
	v_fmac_f32_e32 v112, v95, v125
	v_fma_f32 v118, v94, v125, -v103
	ds_read2_b64 v[92:95], v1 offset0:73 offset1:74
	ds_read2_b64 v[100:103], v1 offset0:75 offset1:76
	s_waitcnt vmcnt(23) lgkmcnt(3)
	v_mul_f32_e32 v127, v97, v129
	s_waitcnt lgkmcnt(2)
	v_mul_f32_e32 v119, v2, v126
	v_mul_f32_e32 v108, v3, v126
	;; [unrolled: 1-line block ×5, first 2 shown]
	v_fmac_f32_e32 v119, v3, v124
	v_fma_f32 v124, v2, v124, -v108
	v_add_f32_e32 v108, v105, v110
	v_add_f32_e32 v110, v104, v107
	v_fmac_f32_e32 v125, v5, v123
	v_fma_f32 v123, v4, v123, -v111
	ds_read2_b64 v[2:5], v1 offset0:77 offset1:78
	ds_read2_b64 v[104:107], v1 offset0:79 offset1:80
	v_add_f32_e32 v7, v108, v7
	v_fmac_f32_e32 v126, v97, v122
	v_add_f32_e32 v97, v110, v109
	ds_read2_b64 v[108:111], v1 offset0:81 offset1:82
	v_fma_f32 v96, v96, v122, -v127
	v_add_f32_e32 v1, v7, v117
	v_add_f32_e32 v97, v97, v112
	s_waitcnt vmcnt(22)
	v_mul_f32_e32 v7, v98, v8
	v_add_f32_e32 v1, v1, v118
	v_mul_f32_e32 v8, v99, v8
	v_add_f32_e32 v97, v97, v119
	s_waitcnt vmcnt(21) lgkmcnt(4)
	v_mul_f32_e32 v118, v93, v120
	v_mul_f32_e32 v112, v92, v120
	v_add_f32_e32 v1, v1, v124
	s_waitcnt vmcnt(15)
	v_fma_f32 v8, v98, v143, -v8
	v_add_f32_e32 v97, v97, v125
	v_fmac_f32_e32 v7, v99, v143
	v_mul_f32_e32 v117, v94, v121
	v_add_f32_e32 v1, v1, v123
	v_mul_f32_e32 v121, v95, v121
	v_fma_f32 v92, v92, v134, -v118
	v_fmac_f32_e32 v112, v93, v134
	s_waitcnt lgkmcnt(3)
	v_mul_f32_e32 v98, v100, v130
	v_add_f32_e32 v1, v1, v96
	v_add_f32_e32 v96, v97, v126
	v_fma_f32 v93, v94, v133, -v121
	v_fmac_f32_e32 v117, v95, v133
	s_waitcnt vmcnt(14)
	v_mul_f32_e32 v99, v102, v115
	v_add_f32_e32 v1, v1, v8
	v_add_f32_e32 v7, v96, v7
	v_mul_f32_e32 v8, v101, v130
	v_fmac_f32_e32 v98, v101, v132
	s_waitcnt vmcnt(13) lgkmcnt(2)
	v_mul_f32_e32 v119, v2, v135
	v_add_f32_e32 v1, v1, v92
	v_add_f32_e32 v7, v7, v112
	v_mul_f32_e32 v92, v103, v115
	v_fma_f32 v8, v100, v132, -v8
	s_waitcnt vmcnt(4)
	v_fmac_f32_e32 v99, v103, v152
	v_add_f32_e32 v1, v1, v93
	v_add_f32_e32 v7, v7, v117
	v_mul_f32_e32 v93, v3, v135
	v_fma_f32 v92, v102, v152, -v92
	v_mul_f32_e32 v120, v4, v145
	v_add_f32_e32 v1, v1, v8
	v_add_f32_e32 v7, v7, v98
	v_mul_f32_e32 v8, v5, v145
	v_fma_f32 v2, v2, v151, -v93
	v_fmac_f32_e32 v119, v3, v151
	v_add_f32_e32 v1, v1, v92
	v_add_f32_e32 v3, v7, v99
	s_waitcnt lgkmcnt(1)
	v_mul_f32_e32 v7, v105, v146
	v_fma_f32 v4, v4, v150, -v8
	v_mul_f32_e32 v122, v104, v146
	v_add_f32_e32 v1, v1, v2
	v_fmac_f32_e32 v120, v5, v150
	v_add_f32_e32 v2, v3, v119
	v_mul_f32_e32 v3, v107, v147
	v_fma_f32 v5, v104, v139, -v7
	v_add_f32_e32 v1, v1, v4
	v_mul_f32_e32 v123, v106, v147
	v_fmac_f32_e32 v122, v105, v139
	v_add_f32_e32 v2, v2, v120
	s_waitcnt lgkmcnt(0)
	v_mul_f32_e32 v4, v109, v148
	s_waitcnt vmcnt(1)
	v_fma_f32 v3, v106, v114, -v3
	v_add_f32_e32 v1, v1, v5
	v_mul_f32_e32 v124, v108, v148
	v_fmac_f32_e32 v123, v107, v114
	v_add_f32_e32 v2, v2, v122
	v_mul_f32_e32 v5, v111, v149
	v_fma_f32 v4, v108, v113, -v4
	v_add_f32_e32 v1, v1, v3
	v_mul_f32_e32 v97, v110, v149
	v_fmac_f32_e32 v124, v109, v113
	v_add_f32_e32 v2, v2, v123
	v_fma_f32 v3, v110, v6, -v5
	v_add_f32_e32 v1, v1, v4
	v_fmac_f32_e32 v97, v111, v6
	v_add_f32_e32 v2, v2, v124
	v_add_f32_e32 v1, v1, v3
	;; [unrolled: 1-line block ×3, first 2 shown]
	s_waitcnt vmcnt(0)
	v_sub_f32_e32 v1, v116, v1
	v_sub_f32_e32 v2, v142, v2
	buffer_store_dword v1, off, s[0:3], 0 offset:16
	buffer_store_dword v2, off, s[0:3], 0 offset:20
	v_cmpx_lt_u32_e32 1, v0
	s_cbranch_execz .LBB104_257
; %bb.256:
	s_clause 0x1
	buffer_load_dword v1, off, s[0:3], 0 offset:8
	buffer_load_dword v2, off, s[0:3], 0 offset:12
	v_mov_b32_e32 v3, 0
	buffer_store_dword v3, off, s[0:3], 0 offset:8
	buffer_store_dword v3, off, s[0:3], 0 offset:12
	s_waitcnt vmcnt(0)
	ds_write_b64 v91, v[1:2]
.LBB104_257:
	s_or_b32 exec_lo, exec_lo, s4
	s_waitcnt lgkmcnt(0)
	s_waitcnt_vscnt null, 0x0
	s_barrier
	buffer_gl0_inv
	s_clause 0x2c
	buffer_load_dword v122, off, s[0:3], 0 offset:20
	buffer_load_dword v123, off, s[0:3], 0 offset:28
	;; [unrolled: 1-line block ×45, first 2 shown]
	v_mov_b32_e32 v1, 0
	ds_read_b128 v[124:127], v1 offset:352
	ds_read_b128 v[128:131], v1 offset:368
	buffer_load_dword v140, off, s[0:3], 0 offset:12
	s_mov_b32 s4, exec_lo
	s_waitcnt vmcnt(45) lgkmcnt(1)
	v_mul_f32_e32 v138, v124, v122
	v_mul_f32_e32 v122, v125, v122
	s_waitcnt vmcnt(44)
	v_mul_f32_e32 v139, v126, v123
	v_mul_f32_e32 v123, v127, v123
	s_waitcnt vmcnt(41)
	v_fmac_f32_e32 v138, v125, v93
	v_fma_f32 v141, v124, v93, -v122
	s_waitcnt vmcnt(40) lgkmcnt(0)
	v_mul_f32_e32 v143, v128, v4
	v_fma_f32 v142, v126, v7, -v123
	ds_read_b128 v[122:125], v1 offset:384
	s_waitcnt vmcnt(39)
	v_mul_f32_e32 v144, v130, v5
	v_mul_f32_e32 v4, v129, v4
	v_fmac_f32_e32 v139, v127, v7
	v_mul_f32_e32 v5, v131, v5
	v_fmac_f32_e32 v143, v129, v2
	s_waitcnt vmcnt(35)
	v_fmac_f32_e32 v144, v131, v96
	v_fma_f32 v131, v128, v2, -v4
	ds_read_b128 v[126:129], v1 offset:400
	v_fma_f32 v96, v130, v96, -v5
	s_waitcnt vmcnt(34) lgkmcnt(1)
	v_mul_f32_e32 v130, v122, v95
	v_mul_f32_e32 v2, v123, v95
	s_waitcnt vmcnt(33)
	v_mul_f32_e32 v145, v124, v94
	v_mul_f32_e32 v4, v125, v94
	v_fmac_f32_e32 v130, v123, v92
	v_fma_f32 v122, v122, v92, -v2
	v_fmac_f32_e32 v145, v125, v6
	v_fma_f32 v123, v124, v6, -v4
	ds_read_b128 v[4:7], v1 offset:416
	s_waitcnt vmcnt(32) lgkmcnt(1)
	v_mul_f32_e32 v124, v126, v8
	v_mul_f32_e32 v2, v127, v8
	s_waitcnt vmcnt(31)
	v_mul_f32_e32 v8, v128, v97
	v_mul_f32_e32 v92, v129, v97
	v_fmac_f32_e32 v124, v127, v3
	v_fma_f32 v97, v126, v3, -v2
	s_waitcnt vmcnt(27)
	v_fmac_f32_e32 v8, v129, v105
	v_fma_f32 v105, v128, v105, -v92
	ds_read_b128 v[92:95], v1 offset:432
	buffer_load_dword v129, off, s[0:3], 0 offset:204
	s_waitcnt vmcnt(27) lgkmcnt(1)
	v_mul_f32_e32 v125, v4, v103
	v_mul_f32_e32 v2, v5, v103
	s_waitcnt vmcnt(26)
	v_mul_f32_e32 v103, v6, v102
	v_mul_f32_e32 v3, v7, v102
	v_fmac_f32_e32 v125, v5, v101
	v_fma_f32 v101, v4, v101, -v2
	v_fmac_f32_e32 v103, v7, v99
	v_fma_f32 v6, v6, v99, -v3
	ds_read_b128 v[2:5], v1 offset:448
	s_waitcnt vmcnt(25) lgkmcnt(1)
	v_mul_f32_e32 v7, v92, v100
	v_mul_f32_e32 v99, v93, v100
	s_waitcnt vmcnt(24)
	v_mul_f32_e32 v100, v94, v104
	v_mul_f32_e32 v102, v95, v104
	v_fmac_f32_e32 v7, v93, v98
	v_fma_f32 v98, v92, v98, -v99
	s_waitcnt vmcnt(20)
	v_fmac_f32_e32 v100, v95, v113
	v_fma_f32 v99, v94, v113, -v102
	ds_read_b128 v[92:95], v1 offset:464
	s_waitcnt vmcnt(19) lgkmcnt(1)
	v_mul_f32_e32 v102, v2, v111
	v_mul_f32_e32 v104, v3, v111
	s_waitcnt vmcnt(18)
	v_mul_f32_e32 v111, v4, v110
	v_mul_f32_e32 v110, v5, v110
	v_fmac_f32_e32 v102, v3, v109
	v_fma_f32 v104, v2, v109, -v104
	v_fmac_f32_e32 v111, v5, v107
	v_fma_f32 v107, v4, v107, -v110
	ds_read_b128 v[2:5], v1 offset:480
	s_waitcnt vmcnt(17) lgkmcnt(1)
	v_mul_f32_e32 v109, v92, v108
	v_mul_f32_e32 v108, v93, v108
	s_waitcnt vmcnt(16)
	v_mul_f32_e32 v110, v94, v112
	v_mul_f32_e32 v112, v95, v112
	v_fmac_f32_e32 v109, v93, v106
	v_fma_f32 v106, v92, v106, -v108
	s_waitcnt vmcnt(12)
	v_fmac_f32_e32 v110, v95, v120
	v_fma_f32 v108, v94, v120, -v112
	ds_read_b128 v[92:95], v1 offset:496
	s_waitcnt vmcnt(11) lgkmcnt(1)
	v_mul_f32_e32 v112, v2, v119
	v_mul_f32_e32 v113, v3, v119
	s_waitcnt vmcnt(10)
	v_mul_f32_e32 v119, v4, v118
	v_mul_f32_e32 v118, v5, v118
	v_fmac_f32_e32 v112, v3, v117
	v_fma_f32 v113, v2, v117, -v113
	v_fmac_f32_e32 v119, v5, v115
	v_fma_f32 v115, v4, v115, -v118
	ds_read_b128 v[2:5], v1 offset:512
	s_waitcnt vmcnt(8) lgkmcnt(1)
	v_mul_f32_e32 v118, v94, v121
	v_mul_f32_e32 v120, v95, v121
	buffer_load_dword v121, off, s[0:3], 0 offset:196
	v_mul_f32_e32 v117, v92, v116
	v_mul_f32_e32 v116, v93, v116
	s_waitcnt vmcnt(5)
	v_fmac_f32_e32 v118, v95, v135
	v_fmac_f32_e32 v117, v93, v114
	v_fma_f32 v114, v92, v114, -v116
	v_fma_f32 v116, v94, v135, -v120
	ds_read_b128 v[92:95], v1 offset:528
	s_waitcnt vmcnt(4) lgkmcnt(1)
	v_mul_f32_e32 v120, v2, v136
	v_mul_f32_e32 v126, v3, v136
	s_waitcnt vmcnt(3)
	v_mul_f32_e32 v127, v4, v137
	v_mul_f32_e32 v128, v5, v137
	v_fmac_f32_e32 v120, v3, v134
	v_fma_f32 v126, v2, v134, -v126
	v_fmac_f32_e32 v127, v5, v133
	v_fma_f32 v128, v4, v133, -v128
	s_clause 0x4
	buffer_load_dword v133, off, s[0:3], 0 offset:224
	buffer_load_dword v134, off, s[0:3], 0 offset:216
	;; [unrolled: 1-line block ×5, first 2 shown]
	s_waitcnt vmcnt(6) lgkmcnt(0)
	v_mul_f32_e32 v4, v95, v129
	s_waitcnt vmcnt(5)
	v_mul_f32_e32 v136, v92, v121
	v_mul_f32_e32 v3, v93, v121
	;; [unrolled: 1-line block ×3, first 2 shown]
	v_fmac_f32_e32 v136, v93, v132
	v_fma_f32 v129, v92, v132, -v3
	buffer_load_dword v132, off, s[0:3], 0 offset:212
	v_add_f32_e32 v3, 0, v141
	v_add_f32_e32 v3, v3, v142
	v_add_f32_e32 v3, v3, v131
	v_add_f32_e32 v3, v3, v96
	s_waitcnt vmcnt(2)
	v_fmac_f32_e32 v121, v95, v2
	v_fma_f32 v137, v94, v2, -v4
	v_add_f32_e32 v2, 0, v138
	buffer_load_dword v138, off, s[0:3], 0 offset:228
	v_add_f32_e32 v3, v3, v122
	v_add_f32_e32 v2, v2, v139
	buffer_load_dword v139, off, s[0:3], 0 offset:236
	v_add_f32_e32 v3, v3, v123
	v_add_f32_e32 v2, v2, v143
	s_clause 0x3
	buffer_load_dword v141, off, s[0:3], 0 offset:256
	buffer_load_dword v142, off, s[0:3], 0 offset:248
	;; [unrolled: 1-line block ×4, first 2 shown]
	v_add_f32_e32 v3, v3, v97
	v_add_f32_e32 v2, v2, v144
	s_clause 0x1
	buffer_load_dword v131, off, s[0:3], 0 offset:244
	buffer_load_dword v144, off, s[0:3], 0 offset:252
	v_add_f32_e32 v3, v3, v105
	v_add_f32_e32 v2, v2, v130
	buffer_load_dword v130, off, s[0:3], 0 offset:260
	v_add_f32_e32 v3, v3, v101
	v_add_f32_e32 v2, v2, v145
	s_clause 0x3
	buffer_load_dword v122, off, s[0:3], 0 offset:268
	buffer_load_dword v145, off, s[0:3], 0 offset:276
	;; [unrolled: 1-line block ×4, first 2 shown]
	v_add_f32_e32 v3, v3, v6
	v_add_f32_e32 v2, v2, v124
	s_clause 0x1
	buffer_load_dword v123, off, s[0:3], 0 offset:300
	buffer_load_dword v124, off, s[0:3], 0 offset:308
	v_add_f32_e32 v3, v3, v98
	v_add_f32_e32 v2, v2, v8
	s_clause 0x1
	buffer_load_dword v8, off, s[0:3], 0 offset:316
	buffer_load_dword v150, off, s[0:3], 0 offset:324
	;; [unrolled: 5-line block ×3, first 2 shown]
	buffer_load_dword v152, off, s[0:3], 0 offset:272
	buffer_load_dword v153, off, s[0:3], 0 offset:264
	;; [unrolled: 1-line block ×7, first 2 shown]
	v_add_f32_e32 v3, v3, v104
	v_add_f32_e32 v2, v2, v103
	ds_read_b128 v[92:95], v1 offset:560
	v_add_f32_e32 v2, v2, v7
	v_add_f32_e32 v7, v3, v107
	;; [unrolled: 1-line block ×7, first 2 shown]
	ds_read_b128 v[2:5], v1 offset:544
	v_add_f32_e32 v7, v7, v113
	v_add_f32_e32 v6, v6, v109
	;; [unrolled: 1-line block ×6, first 2 shown]
	s_waitcnt vmcnt(27) lgkmcnt(0)
	v_mul_f32_e32 v109, v4, v146
	v_mul_f32_e32 v97, v5, v146
	v_add_f32_e32 v6, v6, v117
	v_fmac_f32_e32 v109, v5, v134
	v_fma_f32 v111, v4, v134, -v97
	v_add_f32_e32 v6, v6, v118
	v_add_f32_e32 v6, v6, v120
	;; [unrolled: 1-line block ×3, first 2 shown]
	s_waitcnt vmcnt(26)
	v_mul_f32_e32 v108, v2, v132
	v_mul_f32_e32 v96, v3, v132
	v_fmac_f32_e32 v108, v3, v135
	v_add_f32_e32 v3, v7, v114
	v_fma_f32 v110, v2, v135, -v96
	v_add_f32_e32 v7, v3, v116
	ds_read_b128 v[2:5], v1 offset:576
	ds_read_b128 v[96:99], v1 offset:592
	v_add_f32_e32 v116, v6, v136
	ds_read_b128 v[100:103], v1 offset:608
	v_add_f32_e32 v7, v7, v126
	v_add_f32_e32 v116, v116, v121
	v_add_f32_e32 v7, v7, v128
	s_waitcnt vmcnt(25)
	v_mul_f32_e32 v104, v93, v138
	v_mul_f32_e32 v112, v92, v138
	v_add_f32_e32 v108, v116, v108
	v_add_f32_e32 v7, v7, v129
	s_waitcnt vmcnt(24)
	v_mul_f32_e32 v114, v95, v139
	v_fma_f32 v115, v92, v133, -v104
	v_mul_f32_e32 v113, v94, v139
	v_fmac_f32_e32 v112, v93, v133
	v_add_f32_e32 v117, v7, v137
	v_add_f32_e32 v108, v108, v109
	s_waitcnt vmcnt(20)
	v_fma_f32 v114, v94, v147, -v114
	v_fmac_f32_e32 v113, v95, v147
	ds_read_b128 v[104:107], v1 offset:624
	v_add_f32_e32 v110, v117, v110
	s_waitcnt vmcnt(19) lgkmcnt(3)
	v_mul_f32_e32 v117, v3, v131
	v_mul_f32_e32 v118, v2, v131
	v_add_f32_e32 v108, v108, v112
	s_waitcnt vmcnt(18)
	v_mul_f32_e32 v120, v5, v144
	v_add_f32_e32 v110, v110, v111
	v_fma_f32 v2, v2, v143, -v117
	v_mul_f32_e32 v119, v4, v144
	v_fmac_f32_e32 v118, v3, v143
	v_add_f32_e32 v108, v108, v113
	v_add_f32_e32 v110, v110, v115
	s_waitcnt vmcnt(17) lgkmcnt(2)
	v_mul_f32_e32 v117, v97, v130
	v_fma_f32 v4, v4, v142, -v120
	v_mul_f32_e32 v116, v96, v130
	v_fmac_f32_e32 v119, v5, v142
	v_add_f32_e32 v110, v110, v114
	v_add_f32_e32 v5, v108, v118
	s_waitcnt vmcnt(16)
	v_mul_f32_e32 v108, v99, v122
	v_fma_f32 v96, v96, v141, -v117
	v_mul_f32_e32 v111, v98, v122
	v_add_f32_e32 v2, v110, v2
	v_fmac_f32_e32 v116, v97, v141
	ds_read_b128 v[92:95], v1 offset:640
	ds_read_b64 v[6:7], v1 offset:656
	s_waitcnt vmcnt(15) lgkmcnt(3)
	v_mul_f32_e32 v121, v100, v145
	s_waitcnt vmcnt(14)
	v_mul_f32_e32 v109, v102, v148
	v_add_f32_e32 v2, v2, v4
	v_add_f32_e32 v4, v5, v119
	v_mul_f32_e32 v5, v101, v145
	s_waitcnt vmcnt(5)
	v_fma_f32 v97, v98, v153, -v108
	v_fmac_f32_e32 v111, v99, v153
	v_add_f32_e32 v2, v2, v96
	v_add_f32_e32 v4, v4, v116
	v_mul_f32_e32 v96, v103, v148
	v_fma_f32 v5, v100, v152, -v5
	v_fmac_f32_e32 v121, v101, v152
	v_add_f32_e32 v2, v2, v97
	v_add_f32_e32 v4, v4, v111
	s_waitcnt lgkmcnt(2)
	v_mul_f32_e32 v97, v105, v149
	v_fma_f32 v96, v102, v151, -v96
	v_mul_f32_e32 v115, v104, v149
	v_add_f32_e32 v2, v2, v5
	v_fmac_f32_e32 v109, v103, v151
	v_add_f32_e32 v4, v4, v121
	v_mul_f32_e32 v5, v107, v123
	v_fma_f32 v97, v104, v125, -v97
	v_add_f32_e32 v2, v2, v96
	v_mul_f32_e32 v3, v106, v123
	v_fmac_f32_e32 v115, v105, v125
	v_add_f32_e32 v4, v4, v109
	s_waitcnt lgkmcnt(1)
	v_mul_f32_e32 v96, v93, v124
	s_waitcnt vmcnt(1)
	v_fma_f32 v5, v106, v157, -v5
	v_add_f32_e32 v2, v2, v97
	v_mul_f32_e32 v112, v92, v124
	v_fmac_f32_e32 v3, v107, v157
	v_add_f32_e32 v4, v4, v115
	v_mul_f32_e32 v114, v94, v8
	v_mul_f32_e32 v8, v95, v8
	v_fma_f32 v92, v92, v156, -v96
	v_add_f32_e32 v2, v2, v5
	v_fmac_f32_e32 v112, v93, v156
	v_add_f32_e32 v3, v4, v3
	s_waitcnt lgkmcnt(0)
	v_mul_f32_e32 v4, v7, v150
	v_fma_f32 v5, v94, v155, -v8
	v_add_f32_e32 v2, v2, v92
	v_mul_f32_e32 v113, v6, v150
	v_fmac_f32_e32 v114, v95, v155
	v_add_f32_e32 v3, v3, v112
	v_fma_f32 v4, v6, v154, -v4
	v_add_f32_e32 v2, v2, v5
	v_fmac_f32_e32 v113, v7, v154
	v_add_f32_e32 v3, v3, v114
	v_add_f32_e32 v2, v2, v4
	v_add_f32_e32 v3, v3, v113
	s_waitcnt vmcnt(0)
	v_sub_f32_e32 v2, v158, v2
	v_sub_f32_e32 v3, v140, v3
	buffer_store_dword v2, off, s[0:3], 0 offset:8
	buffer_store_dword v3, off, s[0:3], 0 offset:12
	v_cmpx_ne_u32_e32 0, v0
	s_cbranch_execz .LBB104_259
; %bb.258:
	s_clause 0x1
	buffer_load_dword v2, off, s[0:3], 0
	buffer_load_dword v3, off, s[0:3], 0 offset:4
	buffer_store_dword v1, off, s[0:3], 0
	buffer_store_dword v1, off, s[0:3], 0 offset:4
	s_waitcnt vmcnt(0)
	ds_write_b64 v91, v[2:3]
.LBB104_259:
	s_or_b32 exec_lo, exec_lo, s4
	s_waitcnt lgkmcnt(0)
	s_waitcnt_vscnt null, 0x0
	s_barrier
	buffer_gl0_inv
	s_clause 0x2c
	buffer_load_dword v121, off, s[0:3], 0 offset:12
	buffer_load_dword v0, off, s[0:3], 0 offset:24
	;; [unrolled: 1-line block ×45, first 2 shown]
	ds_read2_b64 v[122:125], v1 offset0:43 offset1:44
	ds_read2_b64 v[126:129], v1 offset0:45 offset1:46
	;; [unrolled: 1-line block ×3, first 2 shown]
	buffer_load_dword v141, off, s[0:3], 0 offset:4
	s_and_b32 vcc_lo, exec_lo, s16
	s_waitcnt vmcnt(45) lgkmcnt(2)
	v_mul_f32_e32 v140, v122, v121
	v_mul_f32_e32 v121, v123, v121
	s_waitcnt vmcnt(41)
	v_mul_f32_e32 v143, v124, v8
	v_mul_f32_e32 v8, v125, v8
	v_fmac_f32_e32 v140, v123, v91
	v_fma_f32 v142, v122, v91, -v121
	s_waitcnt vmcnt(40) lgkmcnt(1)
	v_mul_f32_e32 v144, v126, v6
	v_fmac_f32_e32 v143, v125, v4
	v_fma_f32 v8, v124, v4, -v8
	ds_read2_b64 v[121:124], v1 offset0:49 offset1:50
	v_mul_f32_e32 v4, v127, v6
	s_waitcnt vmcnt(39)
	v_mul_f32_e32 v145, v128, v3
	v_mul_f32_e32 v3, v129, v3
	v_fmac_f32_e32 v144, v127, v0
	v_fma_f32 v0, v126, v0, -v4
	s_waitcnt vmcnt(35)
	v_fmac_f32_e32 v145, v129, v95
	v_fma_f32 v95, v128, v95, -v3
	s_waitcnt vmcnt(34) lgkmcnt(1)
	v_mul_f32_e32 v129, v130, v94
	v_mul_f32_e32 v3, v131, v94
	ds_read2_b64 v[125:128], v1 offset0:51 offset1:52
	v_fmac_f32_e32 v129, v131, v92
	v_fma_f32 v130, v130, v92, -v3
	s_waitcnt vmcnt(33)
	v_mul_f32_e32 v131, v132, v93
	v_mul_f32_e32 v3, v133, v93
	ds_read2_b64 v[91:94], v1 offset0:55 offset1:56
	v_fmac_f32_e32 v131, v133, v5
	v_fma_f32 v132, v132, v5, -v3
	s_waitcnt vmcnt(32) lgkmcnt(2)
	v_mul_f32_e32 v133, v121, v7
	v_mul_f32_e32 v7, v122, v7
	ds_read2_b64 v[3:6], v1 offset0:53 offset1:54
	v_fmac_f32_e32 v133, v122, v2
	v_fma_f32 v7, v121, v2, -v7
	s_waitcnt vmcnt(31)
	v_mul_f32_e32 v2, v124, v96
	v_mul_f32_e32 v121, v123, v96
	s_waitcnt vmcnt(25) lgkmcnt(2)
	v_mul_f32_e32 v122, v127, v101
	v_fma_f32 v96, v123, v104, -v2
	v_mul_f32_e32 v2, v126, v103
	v_fmac_f32_e32 v121, v124, v104
	v_mul_f32_e32 v104, v125, v103
	v_fmac_f32_e32 v122, v128, v98
	v_fma_f32 v103, v125, v100, -v2
	v_mul_f32_e32 v2, v128, v101
	v_fmac_f32_e32 v104, v126, v100
	s_waitcnt vmcnt(24) lgkmcnt(0)
	v_mul_f32_e32 v124, v3, v99
	s_waitcnt vmcnt(23)
	v_mul_f32_e32 v125, v5, v102
	v_fma_f32 v123, v127, v98, -v2
	v_mul_f32_e32 v2, v4, v99
	ds_read2_b64 v[98:101], v1 offset0:57 offset1:58
	v_fmac_f32_e32 v124, v4, v97
	s_waitcnt vmcnt(19)
	v_fmac_f32_e32 v125, v6, v111
	v_fma_f32 v97, v3, v97, -v2
	v_mul_f32_e32 v2, v6, v102
	s_waitcnt vmcnt(18)
	v_mul_f32_e32 v102, v91, v110
	v_mul_f32_e32 v110, v92, v110
	v_fma_f32 v6, v5, v111, -v2
	ds_read2_b64 v[2:5], v1 offset0:59 offset1:60
	v_fmac_f32_e32 v102, v92, v108
	v_fma_f32 v108, v91, v108, -v110
	s_waitcnt vmcnt(17)
	v_mul_f32_e32 v110, v93, v109
	v_mul_f32_e32 v91, v94, v109
	v_fmac_f32_e32 v110, v94, v106
	v_fma_f32 v106, v93, v106, -v91
	s_waitcnt vmcnt(16) lgkmcnt(1)
	v_mul_f32_e32 v109, v98, v107
	v_mul_f32_e32 v91, v99, v107
	s_waitcnt vmcnt(15)
	v_mul_f32_e32 v107, v100, v112
	v_mul_f32_e32 v111, v101, v112
	v_fmac_f32_e32 v109, v99, v105
	v_fma_f32 v98, v98, v105, -v91
	ds_read2_b64 v[91:94], v1 offset0:61 offset1:62
	buffer_load_dword v105, off, s[0:3], 0 offset:188
	s_waitcnt vmcnt(12)
	v_fmac_f32_e32 v107, v101, v120
	v_fma_f32 v99, v100, v120, -v111
	s_waitcnt vmcnt(11) lgkmcnt(1)
	v_mul_f32_e32 v100, v2, v119
	v_mul_f32_e32 v101, v3, v119
	s_waitcnt vmcnt(10)
	v_mul_f32_e32 v111, v4, v118
	v_mul_f32_e32 v112, v5, v118
	v_add_f32_e32 v118, 0, v142
	v_fmac_f32_e32 v100, v3, v117
	v_fma_f32 v101, v2, v117, -v101
	v_add_f32_e32 v117, 0, v140
	v_fmac_f32_e32 v111, v5, v115
	v_fma_f32 v112, v4, v115, -v112
	ds_read2_b64 v[2:5], v1 offset0:63 offset1:64
	v_add_f32_e32 v8, v118, v8
	v_add_f32_e32 v115, v117, v143
	s_clause 0x5
	buffer_load_dword v117, off, s[0:3], 0 offset:196
	buffer_load_dword v118, off, s[0:3], 0 offset:204
	;; [unrolled: 1-line block ×6, first 2 shown]
	s_waitcnt vmcnt(15) lgkmcnt(1)
	v_mul_f32_e32 v128, v91, v114
	v_add_f32_e32 v115, v115, v144
	v_mul_f32_e32 v114, v92, v114
	v_add_f32_e32 v0, v8, v0
	s_waitcnt vmcnt(14)
	v_mul_f32_e32 v8, v93, v116
	v_fmac_f32_e32 v128, v92, v113
	v_mul_f32_e32 v116, v94, v116
	v_fma_f32 v113, v91, v113, -v114
	v_add_f32_e32 v91, v115, v145
	s_clause 0x1
	buffer_load_dword v114, off, s[0:3], 0 offset:212
	buffer_load_dword v115, off, s[0:3], 0 offset:220
	v_add_f32_e32 v0, v0, v95
	buffer_load_dword v140, off, s[0:3], 0 offset:228
	s_waitcnt vmcnt(13)
	v_fmac_f32_e32 v8, v94, v137
	v_add_f32_e32 v95, v91, v129
	v_fma_f32 v116, v93, v137, -v116
	v_add_f32_e32 v0, v0, v130
	s_waitcnt vmcnt(12) lgkmcnt(0)
	v_mul_f32_e32 v130, v3, v138
	ds_read2_b64 v[91:94], v1 offset0:65 offset1:66
	v_add_f32_e32 v95, v95, v131
	v_mul_f32_e32 v129, v2, v138
	v_add_f32_e32 v0, v0, v132
	s_clause 0x3
	buffer_load_dword v131, off, s[0:3], 0 offset:248
	buffer_load_dword v132, off, s[0:3], 0 offset:240
	;; [unrolled: 1-line block ×4, first 2 shown]
	v_fma_f32 v130, v2, v136, -v130
	v_add_f32_e32 v2, v95, v133
	v_fmac_f32_e32 v129, v3, v136
	s_clause 0x1
	buffer_load_dword v133, off, s[0:3], 0 offset:236
	buffer_load_dword v136, off, s[0:3], 0 offset:244
	v_add_f32_e32 v0, v0, v7
	s_waitcnt vmcnt(17)
	v_mul_f32_e32 v7, v4, v139
	v_add_f32_e32 v2, v2, v121
	buffer_load_dword v121, off, s[0:3], 0 offset:252
	v_mul_f32_e32 v3, v5, v139
	v_add_f32_e32 v0, v0, v96
	s_clause 0x1
	buffer_load_dword v139, off, s[0:3], 0 offset:260
	buffer_load_dword v142, off, s[0:3], 0 offset:268
	v_add_f32_e32 v2, v2, v104
	s_clause 0x1
	buffer_load_dword v143, off, s[0:3], 0 offset:276
	buffer_load_dword v144, off, s[0:3], 0 offset:284
	v_fmac_f32_e32 v7, v5, v135
	v_add_f32_e32 v0, v0, v103
	v_fma_f32 v135, v4, v135, -v3
	v_add_f32_e32 v2, v2, v122
	s_clause 0x3
	buffer_load_dword v122, off, s[0:3], 0 offset:292
	buffer_load_dword v145, off, s[0:3], 0 offset:300
	;; [unrolled: 1-line block ×4, first 2 shown]
	v_add_f32_e32 v0, v0, v123
	buffer_load_dword v123, off, s[0:3], 0 offset:324
	v_add_f32_e32 v2, v2, v124
	v_add_f32_e32 v0, v0, v97
	;; [unrolled: 1-line block ×3, first 2 shown]
	s_clause 0x3
	buffer_load_dword v124, off, s[0:3], 0 offset:280
	buffer_load_dword v125, off, s[0:3], 0 offset:272
	;; [unrolled: 1-line block ×4, first 2 shown]
	v_add_f32_e32 v0, v0, v6
	s_clause 0x5
	buffer_load_dword v6, off, s[0:3], 0 offset:312
	buffer_load_dword v150, off, s[0:3], 0 offset:304
	;; [unrolled: 1-line block ×5, first 2 shown]
	buffer_load_dword v154, off, s[0:3], 0
	v_add_f32_e32 v2, v2, v102
	v_add_f32_e32 v0, v0, v108
	;; [unrolled: 1-line block ×9, first 2 shown]
	ds_read2_b64 v[2:5], v1 offset0:67 offset1:68
	v_add_f32_e32 v0, v0, v101
	v_add_f32_e32 v95, v95, v111
	;; [unrolled: 1-line block ×7, first 2 shown]
	s_waitcnt vmcnt(35) lgkmcnt(1)
	v_mul_f32_e32 v96, v92, v105
	v_mul_f32_e32 v103, v91, v105
	v_fma_f32 v104, v91, v134, -v96
	v_add_f32_e32 v91, v95, v128
	ds_read2_b64 v[95:98], v1 offset0:69 offset1:70
	v_fmac_f32_e32 v103, v92, v134
	v_add_f32_e32 v0, v0, v104
	v_add_f32_e32 v8, v91, v8
	s_waitcnt vmcnt(33) lgkmcnt(1)
	v_mul_f32_e32 v91, v3, v118
	v_mul_f32_e32 v111, v2, v118
	;; [unrolled: 1-line block ×4, first 2 shown]
	s_waitcnt vmcnt(30)
	v_fma_f32 v112, v2, v126, -v91
	v_add_f32_e32 v2, v8, v129
	s_waitcnt vmcnt(29)
	v_fma_f32 v108, v93, v127, -v92
	v_fmac_f32_e32 v107, v94, v127
	ds_read2_b64 v[91:94], v1 offset0:71 offset1:72
	ds_read2_b64 v[99:102], v1 offset0:73 offset1:74
	v_fmac_f32_e32 v111, v3, v126
	v_add_f32_e32 v2, v2, v7
	v_add_f32_e32 v0, v0, v108
	s_waitcnt vmcnt(28)
	v_mul_f32_e32 v3, v5, v114
	s_waitcnt vmcnt(27) lgkmcnt(2)
	v_mul_f32_e32 v105, v96, v115
	v_mul_f32_e32 v7, v95, v115
	;; [unrolled: 1-line block ×3, first 2 shown]
	s_waitcnt vmcnt(26)
	v_mul_f32_e32 v113, v97, v140
	v_mul_f32_e32 v109, v98, v140
	v_fma_f32 v115, v95, v119, -v105
	v_add_f32_e32 v95, v2, v103
	v_fma_f32 v114, v4, v120, -v3
	v_add_f32_e32 v0, v0, v112
	v_fmac_f32_e32 v8, v5, v120
	v_fmac_f32_e32 v7, v96, v119
	v_add_f32_e32 v116, v95, v107
	ds_read2_b64 v[2:5], v1 offset0:75 offset1:76
	ds_read2_b64 v[103:106], v1 offset0:77 offset1:78
	s_waitcnt vmcnt(22)
	v_fmac_f32_e32 v113, v98, v138
	v_fma_f32 v117, v97, v138, -v109
	ds_read2_b64 v[95:98], v1 offset0:79 offset1:80
	ds_read2_b64 v[107:110], v1 offset0:81 offset1:82
	v_add_f32_e32 v1, v116, v111
	v_add_f32_e32 v0, v0, v114
	s_waitcnt vmcnt(21) lgkmcnt(5)
	v_mul_f32_e32 v116, v92, v133
	v_mul_f32_e32 v111, v91, v133
	s_waitcnt vmcnt(20)
	v_mul_f32_e32 v118, v94, v136
	v_add_f32_e32 v1, v1, v8
	v_add_f32_e32 v0, v0, v115
	v_fma_f32 v91, v91, v137, -v116
	v_mul_f32_e32 v112, v93, v136
	v_fmac_f32_e32 v111, v92, v137
	v_add_f32_e32 v1, v1, v7
	v_add_f32_e32 v0, v0, v117
	s_waitcnt vmcnt(19) lgkmcnt(4)
	v_mul_f32_e32 v116, v100, v121
	v_fma_f32 v93, v93, v132, -v118
	v_mul_f32_e32 v8, v99, v121
	v_add_f32_e32 v1, v1, v113
	v_add_f32_e32 v0, v0, v91
	v_fmac_f32_e32 v112, v94, v132
	s_waitcnt vmcnt(18)
	v_mul_f32_e32 v119, v102, v139
	v_fma_f32 v99, v99, v131, -v116
	v_add_f32_e32 v1, v1, v111
	v_add_f32_e32 v0, v0, v93
	v_mul_f32_e32 v92, v101, v139
	v_fmac_f32_e32 v8, v100, v131
	s_waitcnt vmcnt(17) lgkmcnt(3)
	v_mul_f32_e32 v93, v3, v142
	v_add_f32_e32 v1, v1, v112
	s_waitcnt vmcnt(6)
	v_fma_f32 v100, v101, v149, -v119
	v_add_f32_e32 v0, v0, v99
	v_mul_f32_e32 v114, v2, v142
	v_fmac_f32_e32 v92, v102, v149
	v_add_f32_e32 v1, v1, v8
	v_mul_f32_e32 v8, v5, v143
	v_fma_f32 v2, v2, v148, -v93
	v_add_f32_e32 v0, v0, v100
	v_mul_f32_e32 v7, v4, v143
	v_fmac_f32_e32 v114, v3, v148
	v_add_f32_e32 v1, v1, v92
	s_waitcnt lgkmcnt(2)
	v_mul_f32_e32 v3, v104, v144
	v_fma_f32 v4, v4, v125, -v8
	v_add_f32_e32 v0, v0, v2
	v_mul_f32_e32 v115, v103, v144
	v_fmac_f32_e32 v7, v5, v125
	v_add_f32_e32 v1, v1, v114
	v_mul_f32_e32 v2, v106, v122
	v_fma_f32 v3, v103, v124, -v3
	v_add_f32_e32 v0, v0, v4
	v_mul_f32_e32 v94, v105, v122
	v_fmac_f32_e32 v115, v104, v124
	v_add_f32_e32 v1, v1, v7
	s_waitcnt lgkmcnt(1)
	v_mul_f32_e32 v4, v96, v145
	s_waitcnt vmcnt(2)
	v_fma_f32 v2, v105, v152, -v2
	v_add_f32_e32 v0, v0, v3
	v_mul_f32_e32 v118, v95, v145
	v_fmac_f32_e32 v94, v106, v152
	v_add_f32_e32 v1, v1, v115
	v_mul_f32_e32 v3, v98, v146
	v_fma_f32 v4, v95, v151, -v4
	v_add_f32_e32 v0, v0, v2
	v_mul_f32_e32 v113, v97, v146
	v_fmac_f32_e32 v118, v96, v151
	v_add_f32_e32 v1, v1, v94
	s_waitcnt lgkmcnt(0)
	v_mul_f32_e32 v2, v108, v147
	v_fma_f32 v3, v97, v150, -v3
	v_add_f32_e32 v0, v0, v4
	v_mul_f32_e32 v117, v107, v147
	v_fmac_f32_e32 v113, v98, v150
	v_add_f32_e32 v1, v1, v118
	v_mul_f32_e32 v4, v110, v123
	v_fma_f32 v2, v107, v6, -v2
	v_add_f32_e32 v0, v0, v3
	v_mul_f32_e32 v91, v109, v123
	v_fmac_f32_e32 v117, v108, v6
	v_add_f32_e32 v1, v1, v113
	s_waitcnt vmcnt(1)
	v_fma_f32 v3, v109, v153, -v4
	v_add_f32_e32 v0, v0, v2
	v_fmac_f32_e32 v91, v110, v153
	v_add_f32_e32 v1, v1, v117
	v_add_f32_e32 v0, v0, v3
	;; [unrolled: 1-line block ×3, first 2 shown]
	s_waitcnt vmcnt(0)
	v_sub_f32_e32 v0, v154, v0
	v_sub_f32_e32 v1, v141, v1
	buffer_store_dword v0, off, s[0:3], 0
	buffer_store_dword v1, off, s[0:3], 0 offset:4
	s_cbranch_vccz .LBB104_340
; %bb.260:
	v_mov_b32_e32 v0, 0
	global_load_dword v1, v0, s[12:13] offset:156
	s_waitcnt vmcnt(0)
	v_add_nc_u32_e32 v1, -1, v1
	v_cmp_ne_u32_e32 vcc_lo, 39, v1
	s_cbranch_vccz .LBB104_262
; %bb.261:
	v_lshlrev_b32_e32 v1, 3, v1
	s_clause 0x3
	buffer_load_dword v2, v1, s[0:3], 0 offen
	buffer_load_dword v3, v1, s[0:3], 0 offen offset:4
	buffer_load_dword v4, off, s[0:3], 0 offset:312
	buffer_load_dword v5, off, s[0:3], 0 offset:316
	s_waitcnt vmcnt(3)
	buffer_store_dword v2, off, s[0:3], 0 offset:312
	s_waitcnt vmcnt(2)
	buffer_store_dword v3, off, s[0:3], 0 offset:316
	s_waitcnt vmcnt(1)
	buffer_store_dword v4, v1, s[0:3], 0 offen
	s_waitcnt vmcnt(0)
	buffer_store_dword v5, v1, s[0:3], 0 offen offset:4
.LBB104_262:
	global_load_dword v0, v0, s[12:13] offset:152
	s_waitcnt vmcnt(0)
	v_add_nc_u32_e32 v0, -1, v0
	v_cmp_eq_u32_e32 vcc_lo, 38, v0
	s_cbranch_vccnz .LBB104_264
; %bb.263:
	v_lshlrev_b32_e32 v0, 3, v0
	s_clause 0x3
	buffer_load_dword v1, v0, s[0:3], 0 offen
	buffer_load_dword v2, v0, s[0:3], 0 offen offset:4
	buffer_load_dword v3, off, s[0:3], 0 offset:308
	buffer_load_dword v4, off, s[0:3], 0 offset:304
	s_waitcnt vmcnt(3)
	buffer_store_dword v1, off, s[0:3], 0 offset:304
	s_waitcnt vmcnt(2)
	buffer_store_dword v2, off, s[0:3], 0 offset:308
	s_waitcnt vmcnt(1)
	buffer_store_dword v3, v0, s[0:3], 0 offen offset:4
	s_waitcnt vmcnt(0)
	buffer_store_dword v4, v0, s[0:3], 0 offen
.LBB104_264:
	v_mov_b32_e32 v0, 0
	global_load_dword v1, v0, s[12:13] offset:148
	s_waitcnt vmcnt(0)
	v_add_nc_u32_e32 v1, -1, v1
	v_cmp_eq_u32_e32 vcc_lo, 37, v1
	s_cbranch_vccnz .LBB104_266
; %bb.265:
	v_lshlrev_b32_e32 v1, 3, v1
	s_clause 0x3
	buffer_load_dword v2, v1, s[0:3], 0 offen
	buffer_load_dword v3, v1, s[0:3], 0 offen offset:4
	buffer_load_dword v4, off, s[0:3], 0 offset:296
	buffer_load_dword v5, off, s[0:3], 0 offset:300
	s_waitcnt vmcnt(3)
	buffer_store_dword v2, off, s[0:3], 0 offset:296
	s_waitcnt vmcnt(2)
	buffer_store_dword v3, off, s[0:3], 0 offset:300
	s_waitcnt vmcnt(1)
	buffer_store_dword v4, v1, s[0:3], 0 offen
	s_waitcnt vmcnt(0)
	buffer_store_dword v5, v1, s[0:3], 0 offen offset:4
.LBB104_266:
	global_load_dword v0, v0, s[12:13] offset:144
	s_waitcnt vmcnt(0)
	v_add_nc_u32_e32 v0, -1, v0
	v_cmp_eq_u32_e32 vcc_lo, 36, v0
	s_cbranch_vccnz .LBB104_268
; %bb.267:
	v_lshlrev_b32_e32 v0, 3, v0
	s_clause 0x3
	buffer_load_dword v1, v0, s[0:3], 0 offen
	buffer_load_dword v2, v0, s[0:3], 0 offen offset:4
	buffer_load_dword v3, off, s[0:3], 0 offset:292
	buffer_load_dword v4, off, s[0:3], 0 offset:288
	s_waitcnt vmcnt(3)
	buffer_store_dword v1, off, s[0:3], 0 offset:288
	s_waitcnt vmcnt(2)
	buffer_store_dword v2, off, s[0:3], 0 offset:292
	s_waitcnt vmcnt(1)
	buffer_store_dword v3, v0, s[0:3], 0 offen offset:4
	s_waitcnt vmcnt(0)
	buffer_store_dword v4, v0, s[0:3], 0 offen
.LBB104_268:
	v_mov_b32_e32 v0, 0
	global_load_dword v1, v0, s[12:13] offset:140
	s_waitcnt vmcnt(0)
	v_add_nc_u32_e32 v1, -1, v1
	v_cmp_eq_u32_e32 vcc_lo, 35, v1
	s_cbranch_vccnz .LBB104_270
; %bb.269:
	v_lshlrev_b32_e32 v1, 3, v1
	s_clause 0x3
	buffer_load_dword v2, v1, s[0:3], 0 offen
	buffer_load_dword v3, v1, s[0:3], 0 offen offset:4
	buffer_load_dword v4, off, s[0:3], 0 offset:280
	buffer_load_dword v5, off, s[0:3], 0 offset:284
	s_waitcnt vmcnt(3)
	buffer_store_dword v2, off, s[0:3], 0 offset:280
	s_waitcnt vmcnt(2)
	buffer_store_dword v3, off, s[0:3], 0 offset:284
	s_waitcnt vmcnt(1)
	buffer_store_dword v4, v1, s[0:3], 0 offen
	s_waitcnt vmcnt(0)
	buffer_store_dword v5, v1, s[0:3], 0 offen offset:4
.LBB104_270:
	;; [unrolled: 43-line block ×19, first 2 shown]
	global_load_dword v0, v0, s[12:13]
	s_waitcnt vmcnt(0)
	v_add_nc_u32_e32 v0, -1, v0
	v_cmp_eq_u32_e32 vcc_lo, 0, v0
	s_cbranch_vccnz .LBB104_340
; %bb.339:
	v_lshlrev_b32_e32 v0, 3, v0
	s_clause 0x3
	buffer_load_dword v1, v0, s[0:3], 0 offen
	buffer_load_dword v2, v0, s[0:3], 0 offen offset:4
	buffer_load_dword v3, off, s[0:3], 0 offset:4
	buffer_load_dword v4, off, s[0:3], 0
	s_waitcnt vmcnt(3)
	buffer_store_dword v1, off, s[0:3], 0
	s_waitcnt vmcnt(2)
	buffer_store_dword v2, off, s[0:3], 0 offset:4
	s_waitcnt vmcnt(1)
	buffer_store_dword v3, v0, s[0:3], 0 offen offset:4
	s_waitcnt vmcnt(0)
	buffer_store_dword v4, v0, s[0:3], 0 offen
.LBB104_340:
	s_clause 0x1
	buffer_load_dword v0, off, s[0:3], 0
	buffer_load_dword v1, off, s[0:3], 0 offset:4
	s_waitcnt vmcnt(0)
	flat_store_dwordx2 v[9:10], v[0:1]
	s_clause 0x1
	buffer_load_dword v0, off, s[0:3], 0 offset:8
	buffer_load_dword v1, off, s[0:3], 0 offset:12
	s_waitcnt vmcnt(0)
	flat_store_dwordx2 v[11:12], v[0:1]
	s_clause 0x1
	buffer_load_dword v0, off, s[0:3], 0 offset:16
	;; [unrolled: 5-line block ×40, first 2 shown]
	buffer_load_dword v1, off, s[0:3], 0 offset:324
	s_waitcnt vmcnt(0)
	flat_store_dwordx2 v[89:90], v[0:1]
	s_endpgm
	.section	.rodata,"a",@progbits
	.p2align	6, 0x0
	.amdhsa_kernel _ZN9rocsolver6v33100L18getri_kernel_smallILi41E19rocblas_complex_numIfEPKPS3_EEvT1_iilPiilS8_bb
		.amdhsa_group_segment_fixed_size 664
		.amdhsa_private_segment_fixed_size 336
		.amdhsa_kernarg_size 60
		.amdhsa_user_sgpr_count 6
		.amdhsa_user_sgpr_private_segment_buffer 1
		.amdhsa_user_sgpr_dispatch_ptr 0
		.amdhsa_user_sgpr_queue_ptr 0
		.amdhsa_user_sgpr_kernarg_segment_ptr 1
		.amdhsa_user_sgpr_dispatch_id 0
		.amdhsa_user_sgpr_flat_scratch_init 0
		.amdhsa_user_sgpr_private_segment_size 0
		.amdhsa_wavefront_size32 1
		.amdhsa_uses_dynamic_stack 0
		.amdhsa_system_sgpr_private_segment_wavefront_offset 1
		.amdhsa_system_sgpr_workgroup_id_x 1
		.amdhsa_system_sgpr_workgroup_id_y 0
		.amdhsa_system_sgpr_workgroup_id_z 0
		.amdhsa_system_sgpr_workgroup_info 0
		.amdhsa_system_vgpr_workitem_id 0
		.amdhsa_next_free_vgpr 252
		.amdhsa_next_free_sgpr 20
		.amdhsa_reserve_vcc 1
		.amdhsa_reserve_flat_scratch 0
		.amdhsa_float_round_mode_32 0
		.amdhsa_float_round_mode_16_64 0
		.amdhsa_float_denorm_mode_32 3
		.amdhsa_float_denorm_mode_16_64 3
		.amdhsa_dx10_clamp 1
		.amdhsa_ieee_mode 1
		.amdhsa_fp16_overflow 0
		.amdhsa_workgroup_processor_mode 1
		.amdhsa_memory_ordered 1
		.amdhsa_forward_progress 1
		.amdhsa_shared_vgpr_count 0
		.amdhsa_exception_fp_ieee_invalid_op 0
		.amdhsa_exception_fp_denorm_src 0
		.amdhsa_exception_fp_ieee_div_zero 0
		.amdhsa_exception_fp_ieee_overflow 0
		.amdhsa_exception_fp_ieee_underflow 0
		.amdhsa_exception_fp_ieee_inexact 0
		.amdhsa_exception_int_div_zero 0
	.end_amdhsa_kernel
	.section	.text._ZN9rocsolver6v33100L18getri_kernel_smallILi41E19rocblas_complex_numIfEPKPS3_EEvT1_iilPiilS8_bb,"axG",@progbits,_ZN9rocsolver6v33100L18getri_kernel_smallILi41E19rocblas_complex_numIfEPKPS3_EEvT1_iilPiilS8_bb,comdat
.Lfunc_end104:
	.size	_ZN9rocsolver6v33100L18getri_kernel_smallILi41E19rocblas_complex_numIfEPKPS3_EEvT1_iilPiilS8_bb, .Lfunc_end104-_ZN9rocsolver6v33100L18getri_kernel_smallILi41E19rocblas_complex_numIfEPKPS3_EEvT1_iilPiilS8_bb
                                        ; -- End function
	.set _ZN9rocsolver6v33100L18getri_kernel_smallILi41E19rocblas_complex_numIfEPKPS3_EEvT1_iilPiilS8_bb.num_vgpr, 252
	.set _ZN9rocsolver6v33100L18getri_kernel_smallILi41E19rocblas_complex_numIfEPKPS3_EEvT1_iilPiilS8_bb.num_agpr, 0
	.set _ZN9rocsolver6v33100L18getri_kernel_smallILi41E19rocblas_complex_numIfEPKPS3_EEvT1_iilPiilS8_bb.numbered_sgpr, 20
	.set _ZN9rocsolver6v33100L18getri_kernel_smallILi41E19rocblas_complex_numIfEPKPS3_EEvT1_iilPiilS8_bb.num_named_barrier, 0
	.set _ZN9rocsolver6v33100L18getri_kernel_smallILi41E19rocblas_complex_numIfEPKPS3_EEvT1_iilPiilS8_bb.private_seg_size, 336
	.set _ZN9rocsolver6v33100L18getri_kernel_smallILi41E19rocblas_complex_numIfEPKPS3_EEvT1_iilPiilS8_bb.uses_vcc, 1
	.set _ZN9rocsolver6v33100L18getri_kernel_smallILi41E19rocblas_complex_numIfEPKPS3_EEvT1_iilPiilS8_bb.uses_flat_scratch, 0
	.set _ZN9rocsolver6v33100L18getri_kernel_smallILi41E19rocblas_complex_numIfEPKPS3_EEvT1_iilPiilS8_bb.has_dyn_sized_stack, 0
	.set _ZN9rocsolver6v33100L18getri_kernel_smallILi41E19rocblas_complex_numIfEPKPS3_EEvT1_iilPiilS8_bb.has_recursion, 0
	.set _ZN9rocsolver6v33100L18getri_kernel_smallILi41E19rocblas_complex_numIfEPKPS3_EEvT1_iilPiilS8_bb.has_indirect_call, 0
	.section	.AMDGPU.csdata,"",@progbits
; Kernel info:
; codeLenInByte = 70316
; TotalNumSgprs: 22
; NumVgprs: 252
; ScratchSize: 336
; MemoryBound: 0
; FloatMode: 240
; IeeeMode: 1
; LDSByteSize: 664 bytes/workgroup (compile time only)
; SGPRBlocks: 0
; VGPRBlocks: 31
; NumSGPRsForWavesPerEU: 22
; NumVGPRsForWavesPerEU: 252
; Occupancy: 4
; WaveLimiterHint : 1
; COMPUTE_PGM_RSRC2:SCRATCH_EN: 1
; COMPUTE_PGM_RSRC2:USER_SGPR: 6
; COMPUTE_PGM_RSRC2:TRAP_HANDLER: 0
; COMPUTE_PGM_RSRC2:TGID_X_EN: 1
; COMPUTE_PGM_RSRC2:TGID_Y_EN: 0
; COMPUTE_PGM_RSRC2:TGID_Z_EN: 0
; COMPUTE_PGM_RSRC2:TIDIG_COMP_CNT: 0
	.section	.text._ZN9rocsolver6v33100L18getri_kernel_smallILi42E19rocblas_complex_numIfEPKPS3_EEvT1_iilPiilS8_bb,"axG",@progbits,_ZN9rocsolver6v33100L18getri_kernel_smallILi42E19rocblas_complex_numIfEPKPS3_EEvT1_iilPiilS8_bb,comdat
	.globl	_ZN9rocsolver6v33100L18getri_kernel_smallILi42E19rocblas_complex_numIfEPKPS3_EEvT1_iilPiilS8_bb ; -- Begin function _ZN9rocsolver6v33100L18getri_kernel_smallILi42E19rocblas_complex_numIfEPKPS3_EEvT1_iilPiilS8_bb
	.p2align	8
	.type	_ZN9rocsolver6v33100L18getri_kernel_smallILi42E19rocblas_complex_numIfEPKPS3_EEvT1_iilPiilS8_bb,@function
_ZN9rocsolver6v33100L18getri_kernel_smallILi42E19rocblas_complex_numIfEPKPS3_EEvT1_iilPiilS8_bb: ; @_ZN9rocsolver6v33100L18getri_kernel_smallILi42E19rocblas_complex_numIfEPKPS3_EEvT1_iilPiilS8_bb
; %bb.0:
	s_add_u32 s0, s0, s7
	s_addc_u32 s1, s1, 0
	s_mov_b32 s7, exec_lo
	v_cmpx_gt_u32_e32 42, v0
	s_cbranch_execz .LBB105_182
; %bb.1:
	s_clause 0x2
	s_load_dword s17, s[4:5], 0x38
	s_load_dwordx2 s[12:13], s[4:5], 0x0
	s_load_dwordx4 s[8:11], s[4:5], 0x28
	s_waitcnt lgkmcnt(0)
	s_bitcmp1_b32 s17, 8
	s_cselect_b32 s16, -1, 0
	s_ashr_i32 s7, s6, 31
	s_lshl_b64 s[14:15], s[6:7], 3
	s_add_u32 s12, s12, s14
	s_addc_u32 s13, s13, s15
	s_load_dwordx2 s[14:15], s[12:13], 0x0
	s_bfe_u32 s12, s17, 0x10008
	s_cmp_eq_u32 s12, 0
                                        ; implicit-def: $sgpr12_sgpr13
	s_cbranch_scc1 .LBB105_3
; %bb.2:
	s_clause 0x1
	s_load_dword s12, s[4:5], 0x20
	s_load_dwordx2 s[18:19], s[4:5], 0x18
	s_mul_i32 s13, s8, s7
	s_mul_hi_u32 s17, s8, s6
	s_mul_i32 s9, s9, s6
	s_add_i32 s13, s17, s13
	s_mul_i32 s8, s8, s6
	s_add_i32 s9, s13, s9
	s_lshl_b64 s[8:9], s[8:9], 2
	s_waitcnt lgkmcnt(0)
	s_ashr_i32 s13, s12, 31
	s_add_u32 s17, s18, s8
	s_addc_u32 s18, s19, s9
	s_lshl_b64 s[8:9], s[12:13], 2
	s_add_u32 s12, s17, s8
	s_addc_u32 s13, s18, s9
.LBB105_3:
	s_clause 0x1
	s_load_dwordx2 s[8:9], s[4:5], 0x8
	s_load_dword s17, s[4:5], 0x38
	v_lshlrev_b32_e32 v3, 3, v0
	s_waitcnt lgkmcnt(0)
	s_ashr_i32 s5, s8, 31
	s_mov_b32 s4, s8
	v_add3_u32 v4, s9, s9, v0
	s_lshl_b64 s[4:5], s[4:5], 3
	s_add_u32 s4, s14, s4
	s_addc_u32 s5, s15, s5
	v_add_co_u32 v9, s8, s4, v3
	v_add_co_ci_u32_e64 v10, null, s5, 0, s8
	s_mov_b32 s14, s9
	s_ashr_i32 s15, s9, 31
	v_ashrrev_i32_e32 v5, 31, v4
	flat_load_dwordx2 v[1:2], v[9:10]
	s_lshl_b64 s[14:15], s[14:15], 3
	s_bitcmp0_b32 s17, 0
	v_add_co_u32 v11, vcc_lo, v9, s14
	v_add_co_ci_u32_e64 v12, null, s15, v10, vcc_lo
	v_lshlrev_b64 v[5:6], 3, v[4:5]
	v_add_nc_u32_e32 v4, s9, v4
	s_waitcnt vmcnt(0) lgkmcnt(0)
	buffer_store_dword v2, off, s[0:3], 0 offset:4
	buffer_store_dword v1, off, s[0:3], 0
	flat_load_dwordx2 v[1:2], v[11:12]
	v_add_co_u32 v13, vcc_lo, s4, v5
	v_add_co_ci_u32_e64 v14, null, s5, v6, vcc_lo
	v_ashrrev_i32_e32 v5, 31, v4
	s_waitcnt vmcnt(0) lgkmcnt(0)
	buffer_store_dword v2, off, s[0:3], 0 offset:12
	buffer_store_dword v1, off, s[0:3], 0 offset:8
	flat_load_dwordx2 v[1:2], v[13:14]
	v_lshlrev_b64 v[5:6], 3, v[4:5]
	v_add_nc_u32_e32 v4, s9, v4
	s_waitcnt vmcnt(0) lgkmcnt(0)
	buffer_store_dword v2, off, s[0:3], 0 offset:20
	buffer_store_dword v1, off, s[0:3], 0 offset:16
	v_add_co_u32 v15, vcc_lo, s4, v5
	v_add_co_ci_u32_e64 v16, null, s5, v6, vcc_lo
	v_ashrrev_i32_e32 v5, 31, v4
	flat_load_dwordx2 v[1:2], v[15:16]
	s_waitcnt vmcnt(0) lgkmcnt(0)
	buffer_store_dword v2, off, s[0:3], 0 offset:28
	buffer_store_dword v1, off, s[0:3], 0 offset:24
	v_lshlrev_b64 v[5:6], 3, v[4:5]
	v_add_nc_u32_e32 v4, s9, v4
	v_add_co_u32 v17, vcc_lo, s4, v5
	v_add_co_ci_u32_e64 v18, null, s5, v6, vcc_lo
	v_ashrrev_i32_e32 v5, 31, v4
	flat_load_dwordx2 v[1:2], v[17:18]
	s_waitcnt vmcnt(0) lgkmcnt(0)
	buffer_store_dword v2, off, s[0:3], 0 offset:36
	buffer_store_dword v1, off, s[0:3], 0 offset:32
	v_lshlrev_b64 v[5:6], 3, v[4:5]
	v_add_nc_u32_e32 v4, s9, v4
	v_add_co_u32 v19, vcc_lo, s4, v5
	v_add_co_ci_u32_e64 v20, null, s5, v6, vcc_lo
	v_ashrrev_i32_e32 v5, 31, v4
	flat_load_dwordx2 v[1:2], v[19:20]
	s_waitcnt vmcnt(0) lgkmcnt(0)
	buffer_store_dword v2, off, s[0:3], 0 offset:44
	buffer_store_dword v1, off, s[0:3], 0 offset:40
	v_lshlrev_b64 v[5:6], 3, v[4:5]
	v_add_nc_u32_e32 v4, s9, v4
	v_add_co_u32 v21, vcc_lo, s4, v5
	v_add_co_ci_u32_e64 v22, null, s5, v6, vcc_lo
	v_ashrrev_i32_e32 v5, 31, v4
	flat_load_dwordx2 v[1:2], v[21:22]
	s_waitcnt vmcnt(0) lgkmcnt(0)
	buffer_store_dword v2, off, s[0:3], 0 offset:52
	buffer_store_dword v1, off, s[0:3], 0 offset:48
	v_lshlrev_b64 v[5:6], 3, v[4:5]
	v_add_nc_u32_e32 v4, s9, v4
	v_add_co_u32 v23, vcc_lo, s4, v5
	v_add_co_ci_u32_e64 v24, null, s5, v6, vcc_lo
	v_ashrrev_i32_e32 v5, 31, v4
	flat_load_dwordx2 v[1:2], v[23:24]
	s_waitcnt vmcnt(0) lgkmcnt(0)
	buffer_store_dword v2, off, s[0:3], 0 offset:60
	buffer_store_dword v1, off, s[0:3], 0 offset:56
	v_lshlrev_b64 v[5:6], 3, v[4:5]
	v_add_nc_u32_e32 v4, s9, v4
	v_add_co_u32 v25, vcc_lo, s4, v5
	v_add_co_ci_u32_e64 v26, null, s5, v6, vcc_lo
	v_ashrrev_i32_e32 v5, 31, v4
	flat_load_dwordx2 v[1:2], v[25:26]
	s_waitcnt vmcnt(0) lgkmcnt(0)
	buffer_store_dword v2, off, s[0:3], 0 offset:68
	buffer_store_dword v1, off, s[0:3], 0 offset:64
	v_lshlrev_b64 v[5:6], 3, v[4:5]
	v_add_nc_u32_e32 v4, s9, v4
	v_add_co_u32 v27, vcc_lo, s4, v5
	v_add_co_ci_u32_e64 v28, null, s5, v6, vcc_lo
	v_ashrrev_i32_e32 v5, 31, v4
	flat_load_dwordx2 v[1:2], v[27:28]
	s_waitcnt vmcnt(0) lgkmcnt(0)
	buffer_store_dword v2, off, s[0:3], 0 offset:76
	buffer_store_dword v1, off, s[0:3], 0 offset:72
	v_lshlrev_b64 v[5:6], 3, v[4:5]
	v_add_nc_u32_e32 v4, s9, v4
	v_add_co_u32 v29, vcc_lo, s4, v5
	v_add_co_ci_u32_e64 v30, null, s5, v6, vcc_lo
	v_ashrrev_i32_e32 v5, 31, v4
	flat_load_dwordx2 v[1:2], v[29:30]
	s_waitcnt vmcnt(0) lgkmcnt(0)
	buffer_store_dword v2, off, s[0:3], 0 offset:84
	buffer_store_dword v1, off, s[0:3], 0 offset:80
	v_lshlrev_b64 v[5:6], 3, v[4:5]
	v_add_nc_u32_e32 v4, s9, v4
	v_add_co_u32 v31, vcc_lo, s4, v5
	v_add_co_ci_u32_e64 v32, null, s5, v6, vcc_lo
	v_ashrrev_i32_e32 v5, 31, v4
	flat_load_dwordx2 v[1:2], v[31:32]
	s_waitcnt vmcnt(0) lgkmcnt(0)
	buffer_store_dword v2, off, s[0:3], 0 offset:92
	buffer_store_dword v1, off, s[0:3], 0 offset:88
	v_lshlrev_b64 v[5:6], 3, v[4:5]
	v_add_nc_u32_e32 v4, s9, v4
	v_add_co_u32 v33, vcc_lo, s4, v5
	v_add_co_ci_u32_e64 v34, null, s5, v6, vcc_lo
	v_ashrrev_i32_e32 v5, 31, v4
	flat_load_dwordx2 v[1:2], v[33:34]
	s_waitcnt vmcnt(0) lgkmcnt(0)
	buffer_store_dword v2, off, s[0:3], 0 offset:100
	buffer_store_dword v1, off, s[0:3], 0 offset:96
	v_lshlrev_b64 v[5:6], 3, v[4:5]
	v_add_nc_u32_e32 v4, s9, v4
	v_add_co_u32 v35, vcc_lo, s4, v5
	v_add_co_ci_u32_e64 v36, null, s5, v6, vcc_lo
	v_ashrrev_i32_e32 v5, 31, v4
	flat_load_dwordx2 v[1:2], v[35:36]
	s_waitcnt vmcnt(0) lgkmcnt(0)
	buffer_store_dword v2, off, s[0:3], 0 offset:108
	buffer_store_dword v1, off, s[0:3], 0 offset:104
	v_lshlrev_b64 v[5:6], 3, v[4:5]
	v_add_nc_u32_e32 v4, s9, v4
	v_add_co_u32 v37, vcc_lo, s4, v5
	v_add_co_ci_u32_e64 v38, null, s5, v6, vcc_lo
	v_ashrrev_i32_e32 v5, 31, v4
	flat_load_dwordx2 v[1:2], v[37:38]
	s_waitcnt vmcnt(0) lgkmcnt(0)
	buffer_store_dword v2, off, s[0:3], 0 offset:116
	buffer_store_dword v1, off, s[0:3], 0 offset:112
	v_lshlrev_b64 v[5:6], 3, v[4:5]
	v_add_nc_u32_e32 v4, s9, v4
	v_add_co_u32 v39, vcc_lo, s4, v5
	v_add_co_ci_u32_e64 v40, null, s5, v6, vcc_lo
	v_ashrrev_i32_e32 v5, 31, v4
	flat_load_dwordx2 v[1:2], v[39:40]
	s_waitcnt vmcnt(0) lgkmcnt(0)
	buffer_store_dword v2, off, s[0:3], 0 offset:124
	buffer_store_dword v1, off, s[0:3], 0 offset:120
	v_lshlrev_b64 v[5:6], 3, v[4:5]
	v_add_nc_u32_e32 v4, s9, v4
	v_add_co_u32 v41, vcc_lo, s4, v5
	v_add_co_ci_u32_e64 v42, null, s5, v6, vcc_lo
	v_ashrrev_i32_e32 v5, 31, v4
	flat_load_dwordx2 v[1:2], v[41:42]
	s_waitcnt vmcnt(0) lgkmcnt(0)
	buffer_store_dword v2, off, s[0:3], 0 offset:132
	buffer_store_dword v1, off, s[0:3], 0 offset:128
	v_lshlrev_b64 v[5:6], 3, v[4:5]
	v_add_nc_u32_e32 v4, s9, v4
	v_add_co_u32 v43, vcc_lo, s4, v5
	v_add_co_ci_u32_e64 v44, null, s5, v6, vcc_lo
	v_ashrrev_i32_e32 v5, 31, v4
	flat_load_dwordx2 v[1:2], v[43:44]
	s_waitcnt vmcnt(0) lgkmcnt(0)
	buffer_store_dword v2, off, s[0:3], 0 offset:140
	buffer_store_dword v1, off, s[0:3], 0 offset:136
	v_lshlrev_b64 v[5:6], 3, v[4:5]
	v_add_nc_u32_e32 v4, s9, v4
	v_add_co_u32 v45, vcc_lo, s4, v5
	v_add_co_ci_u32_e64 v46, null, s5, v6, vcc_lo
	v_ashrrev_i32_e32 v5, 31, v4
	flat_load_dwordx2 v[1:2], v[45:46]
	s_waitcnt vmcnt(0) lgkmcnt(0)
	buffer_store_dword v2, off, s[0:3], 0 offset:148
	buffer_store_dword v1, off, s[0:3], 0 offset:144
	v_lshlrev_b64 v[5:6], 3, v[4:5]
	v_add_nc_u32_e32 v4, s9, v4
	v_add_co_u32 v47, vcc_lo, s4, v5
	v_add_co_ci_u32_e64 v48, null, s5, v6, vcc_lo
	v_ashrrev_i32_e32 v5, 31, v4
	flat_load_dwordx2 v[1:2], v[47:48]
	s_waitcnt vmcnt(0) lgkmcnt(0)
	buffer_store_dword v2, off, s[0:3], 0 offset:156
	buffer_store_dword v1, off, s[0:3], 0 offset:152
	v_lshlrev_b64 v[5:6], 3, v[4:5]
	v_add_nc_u32_e32 v4, s9, v4
	v_add_co_u32 v49, vcc_lo, s4, v5
	v_add_co_ci_u32_e64 v50, null, s5, v6, vcc_lo
	v_ashrrev_i32_e32 v5, 31, v4
	flat_load_dwordx2 v[1:2], v[49:50]
	s_waitcnt vmcnt(0) lgkmcnt(0)
	buffer_store_dword v2, off, s[0:3], 0 offset:164
	buffer_store_dword v1, off, s[0:3], 0 offset:160
	v_lshlrev_b64 v[5:6], 3, v[4:5]
	v_add_nc_u32_e32 v4, s9, v4
	v_add_co_u32 v51, vcc_lo, s4, v5
	v_add_co_ci_u32_e64 v52, null, s5, v6, vcc_lo
	v_ashrrev_i32_e32 v5, 31, v4
	flat_load_dwordx2 v[1:2], v[51:52]
	s_waitcnt vmcnt(0) lgkmcnt(0)
	buffer_store_dword v2, off, s[0:3], 0 offset:172
	buffer_store_dword v1, off, s[0:3], 0 offset:168
	v_lshlrev_b64 v[5:6], 3, v[4:5]
	v_add_nc_u32_e32 v4, s9, v4
	v_add_co_u32 v53, vcc_lo, s4, v5
	v_add_co_ci_u32_e64 v54, null, s5, v6, vcc_lo
	v_ashrrev_i32_e32 v5, 31, v4
	flat_load_dwordx2 v[1:2], v[53:54]
	s_waitcnt vmcnt(0) lgkmcnt(0)
	buffer_store_dword v2, off, s[0:3], 0 offset:180
	buffer_store_dword v1, off, s[0:3], 0 offset:176
	v_lshlrev_b64 v[5:6], 3, v[4:5]
	v_add_nc_u32_e32 v4, s9, v4
	v_add_co_u32 v55, vcc_lo, s4, v5
	v_add_co_ci_u32_e64 v56, null, s5, v6, vcc_lo
	v_ashrrev_i32_e32 v5, 31, v4
	flat_load_dwordx2 v[1:2], v[55:56]
	s_waitcnt vmcnt(0) lgkmcnt(0)
	buffer_store_dword v2, off, s[0:3], 0 offset:188
	buffer_store_dword v1, off, s[0:3], 0 offset:184
	v_lshlrev_b64 v[5:6], 3, v[4:5]
	v_add_nc_u32_e32 v4, s9, v4
	v_add_co_u32 v57, vcc_lo, s4, v5
	v_add_co_ci_u32_e64 v58, null, s5, v6, vcc_lo
	v_ashrrev_i32_e32 v5, 31, v4
	flat_load_dwordx2 v[1:2], v[57:58]
	s_waitcnt vmcnt(0) lgkmcnt(0)
	buffer_store_dword v2, off, s[0:3], 0 offset:196
	buffer_store_dword v1, off, s[0:3], 0 offset:192
	v_lshlrev_b64 v[5:6], 3, v[4:5]
	v_add_nc_u32_e32 v4, s9, v4
	v_add_co_u32 v59, vcc_lo, s4, v5
	v_add_co_ci_u32_e64 v60, null, s5, v6, vcc_lo
	v_ashrrev_i32_e32 v5, 31, v4
	flat_load_dwordx2 v[1:2], v[59:60]
	s_waitcnt vmcnt(0) lgkmcnt(0)
	buffer_store_dword v2, off, s[0:3], 0 offset:204
	buffer_store_dword v1, off, s[0:3], 0 offset:200
	v_lshlrev_b64 v[5:6], 3, v[4:5]
	v_add_nc_u32_e32 v4, s9, v4
	v_add_co_u32 v61, vcc_lo, s4, v5
	v_add_co_ci_u32_e64 v62, null, s5, v6, vcc_lo
	v_ashrrev_i32_e32 v5, 31, v4
	flat_load_dwordx2 v[1:2], v[61:62]
	s_waitcnt vmcnt(0) lgkmcnt(0)
	buffer_store_dword v2, off, s[0:3], 0 offset:212
	buffer_store_dword v1, off, s[0:3], 0 offset:208
	v_lshlrev_b64 v[5:6], 3, v[4:5]
	v_add_nc_u32_e32 v4, s9, v4
	v_add_co_u32 v63, vcc_lo, s4, v5
	v_add_co_ci_u32_e64 v64, null, s5, v6, vcc_lo
	v_ashrrev_i32_e32 v5, 31, v4
	flat_load_dwordx2 v[1:2], v[63:64]
	s_waitcnt vmcnt(0) lgkmcnt(0)
	buffer_store_dword v2, off, s[0:3], 0 offset:220
	buffer_store_dword v1, off, s[0:3], 0 offset:216
	v_lshlrev_b64 v[5:6], 3, v[4:5]
	v_add_nc_u32_e32 v4, s9, v4
	v_add_co_u32 v65, vcc_lo, s4, v5
	v_add_co_ci_u32_e64 v66, null, s5, v6, vcc_lo
	v_ashrrev_i32_e32 v5, 31, v4
	flat_load_dwordx2 v[1:2], v[65:66]
	s_waitcnt vmcnt(0) lgkmcnt(0)
	buffer_store_dword v2, off, s[0:3], 0 offset:228
	buffer_store_dword v1, off, s[0:3], 0 offset:224
	v_lshlrev_b64 v[5:6], 3, v[4:5]
	v_add_nc_u32_e32 v4, s9, v4
	v_add_co_u32 v67, vcc_lo, s4, v5
	v_add_co_ci_u32_e64 v68, null, s5, v6, vcc_lo
	v_ashrrev_i32_e32 v5, 31, v4
	flat_load_dwordx2 v[1:2], v[67:68]
	s_waitcnt vmcnt(0) lgkmcnt(0)
	buffer_store_dword v2, off, s[0:3], 0 offset:236
	buffer_store_dword v1, off, s[0:3], 0 offset:232
	v_lshlrev_b64 v[5:6], 3, v[4:5]
	v_add_nc_u32_e32 v4, s9, v4
	v_add_co_u32 v69, vcc_lo, s4, v5
	v_add_co_ci_u32_e64 v70, null, s5, v6, vcc_lo
	v_ashrrev_i32_e32 v5, 31, v4
	flat_load_dwordx2 v[1:2], v[69:70]
	s_waitcnt vmcnt(0) lgkmcnt(0)
	buffer_store_dword v2, off, s[0:3], 0 offset:244
	buffer_store_dword v1, off, s[0:3], 0 offset:240
	v_lshlrev_b64 v[5:6], 3, v[4:5]
	v_add_nc_u32_e32 v4, s9, v4
	v_add_co_u32 v71, vcc_lo, s4, v5
	v_add_co_ci_u32_e64 v72, null, s5, v6, vcc_lo
	v_ashrrev_i32_e32 v5, 31, v4
	flat_load_dwordx2 v[1:2], v[71:72]
	s_waitcnt vmcnt(0) lgkmcnt(0)
	buffer_store_dword v2, off, s[0:3], 0 offset:252
	buffer_store_dword v1, off, s[0:3], 0 offset:248
	v_lshlrev_b64 v[5:6], 3, v[4:5]
	v_add_nc_u32_e32 v4, s9, v4
	v_add_co_u32 v73, vcc_lo, s4, v5
	v_add_co_ci_u32_e64 v74, null, s5, v6, vcc_lo
	v_ashrrev_i32_e32 v5, 31, v4
	flat_load_dwordx2 v[1:2], v[73:74]
	s_waitcnt vmcnt(0) lgkmcnt(0)
	buffer_store_dword v2, off, s[0:3], 0 offset:260
	buffer_store_dword v1, off, s[0:3], 0 offset:256
	v_lshlrev_b64 v[5:6], 3, v[4:5]
	v_add_nc_u32_e32 v4, s9, v4
	v_add_co_u32 v75, vcc_lo, s4, v5
	v_add_co_ci_u32_e64 v76, null, s5, v6, vcc_lo
	v_ashrrev_i32_e32 v5, 31, v4
	flat_load_dwordx2 v[1:2], v[75:76]
	s_waitcnt vmcnt(0) lgkmcnt(0)
	buffer_store_dword v2, off, s[0:3], 0 offset:268
	buffer_store_dword v1, off, s[0:3], 0 offset:264
	v_lshlrev_b64 v[5:6], 3, v[4:5]
	v_add_nc_u32_e32 v4, s9, v4
	v_add_co_u32 v77, vcc_lo, s4, v5
	v_add_co_ci_u32_e64 v78, null, s5, v6, vcc_lo
	v_ashrrev_i32_e32 v5, 31, v4
	flat_load_dwordx2 v[1:2], v[77:78]
	s_waitcnt vmcnt(0) lgkmcnt(0)
	buffer_store_dword v2, off, s[0:3], 0 offset:276
	buffer_store_dword v1, off, s[0:3], 0 offset:272
	v_lshlrev_b64 v[5:6], 3, v[4:5]
	v_add_nc_u32_e32 v4, s9, v4
	v_add_co_u32 v79, vcc_lo, s4, v5
	v_add_co_ci_u32_e64 v80, null, s5, v6, vcc_lo
	v_ashrrev_i32_e32 v5, 31, v4
	flat_load_dwordx2 v[1:2], v[79:80]
	s_waitcnt vmcnt(0) lgkmcnt(0)
	buffer_store_dword v2, off, s[0:3], 0 offset:284
	buffer_store_dword v1, off, s[0:3], 0 offset:280
	v_lshlrev_b64 v[5:6], 3, v[4:5]
	v_add_nc_u32_e32 v4, s9, v4
	v_add_co_u32 v81, vcc_lo, s4, v5
	v_add_co_ci_u32_e64 v82, null, s5, v6, vcc_lo
	v_ashrrev_i32_e32 v5, 31, v4
	flat_load_dwordx2 v[1:2], v[81:82]
	s_waitcnt vmcnt(0) lgkmcnt(0)
	buffer_store_dword v2, off, s[0:3], 0 offset:292
	buffer_store_dword v1, off, s[0:3], 0 offset:288
	v_lshlrev_b64 v[5:6], 3, v[4:5]
	v_add_nc_u32_e32 v4, s9, v4
	v_add_co_u32 v83, vcc_lo, s4, v5
	v_add_co_ci_u32_e64 v84, null, s5, v6, vcc_lo
	v_ashrrev_i32_e32 v5, 31, v4
	flat_load_dwordx2 v[1:2], v[83:84]
	s_waitcnt vmcnt(0) lgkmcnt(0)
	buffer_store_dword v2, off, s[0:3], 0 offset:300
	buffer_store_dword v1, off, s[0:3], 0 offset:296
	v_lshlrev_b64 v[5:6], 3, v[4:5]
	v_add_nc_u32_e32 v4, s9, v4
	v_add_co_u32 v85, vcc_lo, s4, v5
	v_add_co_ci_u32_e64 v86, null, s5, v6, vcc_lo
	v_ashrrev_i32_e32 v5, 31, v4
	flat_load_dwordx2 v[1:2], v[85:86]
	s_waitcnt vmcnt(0) lgkmcnt(0)
	buffer_store_dword v2, off, s[0:3], 0 offset:308
	buffer_store_dword v1, off, s[0:3], 0 offset:304
	v_lshlrev_b64 v[5:6], 3, v[4:5]
	v_add_nc_u32_e32 v4, s9, v4
	v_add_co_u32 v87, vcc_lo, s4, v5
	v_add_co_ci_u32_e64 v88, null, s5, v6, vcc_lo
	v_ashrrev_i32_e32 v5, 31, v4
	flat_load_dwordx2 v[1:2], v[87:88]
	s_waitcnt vmcnt(0) lgkmcnt(0)
	buffer_store_dword v2, off, s[0:3], 0 offset:316
	buffer_store_dword v1, off, s[0:3], 0 offset:312
	v_lshlrev_b64 v[5:6], 3, v[4:5]
	v_add_nc_u32_e32 v4, s9, v4
	v_add_co_u32 v89, vcc_lo, s4, v5
	v_add_co_ci_u32_e64 v90, null, s5, v6, vcc_lo
	v_ashrrev_i32_e32 v5, 31, v4
	flat_load_dwordx2 v[1:2], v[89:90]
	s_waitcnt vmcnt(0) lgkmcnt(0)
	buffer_store_dword v2, off, s[0:3], 0 offset:324
	buffer_store_dword v1, off, s[0:3], 0 offset:320
	v_lshlrev_b64 v[4:5], 3, v[4:5]
	v_add_co_u32 v91, vcc_lo, s4, v4
	v_add_co_ci_u32_e64 v92, null, s5, v5, vcc_lo
	s_mov_b32 s5, -1
	flat_load_dwordx2 v[1:2], v[91:92]
	s_waitcnt vmcnt(0) lgkmcnt(0)
	buffer_store_dword v2, off, s[0:3], 0 offset:332
	buffer_store_dword v1, off, s[0:3], 0 offset:328
	s_cbranch_scc1 .LBB105_180
; %bb.4:
	v_cmp_eq_u32_e64 s4, 0, v0
	s_and_saveexec_b32 s5, s4
; %bb.5:
	v_mov_b32_e32 v1, 0
	ds_write_b32 v1, v1 offset:672
; %bb.6:
	s_or_b32 exec_lo, exec_lo, s5
	v_lshl_add_u32 v5, v0, 3, 0
	s_waitcnt lgkmcnt(0)
	s_waitcnt_vscnt null, 0x0
	s_barrier
	buffer_gl0_inv
	s_clause 0x1
	buffer_load_dword v1, v5, s[0:3], 0 offen
	buffer_load_dword v2, v5, s[0:3], 0 offen offset:4
	s_waitcnt vmcnt(1)
	v_cmp_eq_f32_e32 vcc_lo, 0, v1
	s_waitcnt vmcnt(0)
	v_cmp_eq_f32_e64 s5, 0, v2
	s_and_b32 s5, vcc_lo, s5
	s_and_saveexec_b32 s8, s5
	s_cbranch_execz .LBB105_10
; %bb.7:
	v_mov_b32_e32 v1, 0
	s_mov_b32 s9, 0
	ds_read_b32 v2, v1 offset:672
	s_waitcnt lgkmcnt(0)
	v_readfirstlane_b32 s5, v2
	v_add_nc_u32_e32 v2, 1, v0
	s_cmp_eq_u32 s5, 0
	v_cmp_gt_i32_e32 vcc_lo, s5, v2
	s_cselect_b32 s14, -1, 0
	s_or_b32 s14, s14, vcc_lo
	s_and_b32 exec_lo, exec_lo, s14
	s_cbranch_execz .LBB105_10
; %bb.8:
	v_mov_b32_e32 v4, s5
.LBB105_9:                              ; =>This Inner Loop Header: Depth=1
	ds_cmpst_rtn_b32 v4, v1, v4, v2 offset:672
	s_waitcnt lgkmcnt(0)
	v_cmp_ne_u32_e32 vcc_lo, 0, v4
	v_cmp_le_i32_e64 s5, v4, v2
	s_and_b32 s5, vcc_lo, s5
	s_and_b32 s5, exec_lo, s5
	s_or_b32 s9, s5, s9
	s_andn2_b32 exec_lo, exec_lo, s9
	s_cbranch_execnz .LBB105_9
.LBB105_10:
	s_or_b32 exec_lo, exec_lo, s8
	v_mov_b32_e32 v1, 0
	s_barrier
	buffer_gl0_inv
	ds_read_b32 v2, v1 offset:672
	s_and_saveexec_b32 s5, s4
	s_cbranch_execz .LBB105_12
; %bb.11:
	s_lshl_b64 s[8:9], s[6:7], 2
	s_add_u32 s8, s10, s8
	s_addc_u32 s9, s11, s9
	s_waitcnt lgkmcnt(0)
	global_store_dword v1, v2, s[8:9]
.LBB105_12:
	s_or_b32 exec_lo, exec_lo, s5
	s_waitcnt lgkmcnt(0)
	v_cmp_ne_u32_e32 vcc_lo, 0, v2
	s_mov_b32 s5, 0
	s_cbranch_vccnz .LBB105_180
; %bb.13:
	s_clause 0x1
	buffer_load_dword v2, v5, s[0:3], 0 offen
	buffer_load_dword v4, v5, s[0:3], 0 offen offset:4
                                        ; implicit-def: $vgpr7
                                        ; implicit-def: $vgpr6
                                        ; implicit-def: $vgpr1
	s_waitcnt vmcnt(0)
	v_cmp_ngt_f32_e64 s5, |v2|, |v4|
	s_and_saveexec_b32 s8, s5
	s_xor_b32 s5, exec_lo, s8
	s_cbranch_execz .LBB105_15
; %bb.14:
	v_div_scale_f32 v1, null, v4, v4, v2
	v_div_scale_f32 v8, vcc_lo, v2, v4, v2
	v_rcp_f32_e32 v6, v1
	v_fma_f32 v7, -v1, v6, 1.0
	v_fmac_f32_e32 v6, v7, v6
	v_mul_f32_e32 v7, v8, v6
	v_fma_f32 v93, -v1, v7, v8
	v_fmac_f32_e32 v7, v93, v6
	v_fma_f32 v1, -v1, v7, v8
	v_div_fmas_f32 v1, v1, v6, v7
	v_div_fixup_f32 v1, v1, v4, v2
	v_fmac_f32_e32 v4, v2, v1
	v_div_scale_f32 v2, null, v4, v4, 1.0
	v_rcp_f32_e32 v6, v2
	v_fma_f32 v7, -v2, v6, 1.0
	v_fmac_f32_e32 v6, v7, v6
	v_div_scale_f32 v7, vcc_lo, 1.0, v4, 1.0
	v_mul_f32_e32 v8, v7, v6
	v_fma_f32 v93, -v2, v8, v7
	v_fmac_f32_e32 v8, v93, v6
	v_fma_f32 v2, -v2, v8, v7
	v_div_fmas_f32 v2, v2, v6, v8
	v_div_fixup_f32 v2, v2, v4, 1.0
                                        ; implicit-def: $vgpr4
	v_mul_f32_e32 v7, v1, v2
	v_xor_b32_e32 v6, 0x80000000, v2
                                        ; implicit-def: $vgpr2
	v_xor_b32_e32 v1, 0x80000000, v7
.LBB105_15:
	s_andn2_saveexec_b32 s5, s5
	s_cbranch_execz .LBB105_17
; %bb.16:
	v_div_scale_f32 v1, null, v2, v2, v4
	v_div_scale_f32 v8, vcc_lo, v4, v2, v4
	v_rcp_f32_e32 v6, v1
	v_fma_f32 v7, -v1, v6, 1.0
	v_fmac_f32_e32 v6, v7, v6
	v_mul_f32_e32 v7, v8, v6
	v_fma_f32 v93, -v1, v7, v8
	v_fmac_f32_e32 v7, v93, v6
	v_fma_f32 v1, -v1, v7, v8
	v_div_fmas_f32 v1, v1, v6, v7
	v_div_fixup_f32 v6, v1, v2, v4
	v_fmac_f32_e32 v2, v4, v6
	v_div_scale_f32 v1, null, v2, v2, 1.0
	v_div_scale_f32 v8, vcc_lo, 1.0, v2, 1.0
	v_rcp_f32_e32 v4, v1
	v_fma_f32 v7, -v1, v4, 1.0
	v_fmac_f32_e32 v4, v7, v4
	v_mul_f32_e32 v7, v8, v4
	v_fma_f32 v93, -v1, v7, v8
	v_fmac_f32_e32 v7, v93, v4
	v_fma_f32 v1, -v1, v7, v8
	v_div_fmas_f32 v1, v1, v4, v7
	v_div_fixup_f32 v7, v1, v2, 1.0
	v_xor_b32_e32 v1, 0x80000000, v7
	v_mul_f32_e64 v6, v6, -v7
.LBB105_17:
	s_or_b32 exec_lo, exec_lo, s5
	buffer_store_dword v7, v5, s[0:3], 0 offen
	buffer_store_dword v6, v5, s[0:3], 0 offen offset:4
	s_clause 0x1
	buffer_load_dword v8, off, s[0:3], 0 offset:12
	buffer_load_dword v7, off, s[0:3], 0 offset:8
	v_xor_b32_e32 v2, 0x80000000, v6
	v_add_nc_u32_e32 v4, 0x150, v3
	s_waitcnt vmcnt(0)
	ds_write2_b64 v3, v[1:2], v[7:8] offset1:42
	s_waitcnt lgkmcnt(0)
	s_waitcnt_vscnt null, 0x0
	s_barrier
	buffer_gl0_inv
	s_and_saveexec_b32 s5, s4
	s_cbranch_execz .LBB105_19
; %bb.18:
	s_clause 0x1
	buffer_load_dword v8, v5, s[0:3], 0 offen offset:4
	buffer_load_dword v93, v5, s[0:3], 0 offen
	ds_read_b64 v[1:2], v4
	v_mov_b32_e32 v6, 0
	ds_read_b64 v[6:7], v6 offset:8
	s_waitcnt vmcnt(1) lgkmcnt(1)
	v_mul_f32_e32 v94, v1, v8
	v_mul_f32_e32 v8, v2, v8
	s_waitcnt vmcnt(0)
	v_fmac_f32_e32 v94, v2, v93
	v_fma_f32 v1, v1, v93, -v8
	v_add_f32_e32 v2, 0, v94
	v_add_f32_e32 v1, 0, v1
	s_waitcnt lgkmcnt(0)
	v_mul_f32_e32 v8, v2, v7
	v_mul_f32_e32 v7, v1, v7
	v_fma_f32 v1, v1, v6, -v8
	v_fmac_f32_e32 v7, v2, v6
	buffer_store_dword v1, off, s[0:3], 0 offset:8
	buffer_store_dword v7, off, s[0:3], 0 offset:12
.LBB105_19:
	s_or_b32 exec_lo, exec_lo, s5
	s_waitcnt_vscnt null, 0x0
	s_barrier
	buffer_gl0_inv
	s_clause 0x1
	buffer_load_dword v1, off, s[0:3], 0 offset:16
	buffer_load_dword v2, off, s[0:3], 0 offset:20
	s_mov_b32 s5, exec_lo
	s_waitcnt vmcnt(0)
	ds_write_b64 v4, v[1:2]
	s_waitcnt lgkmcnt(0)
	s_barrier
	buffer_gl0_inv
	v_cmpx_gt_u32_e32 2, v0
	s_cbranch_execz .LBB105_23
; %bb.20:
	s_clause 0x1
	buffer_load_dword v6, v5, s[0:3], 0 offen offset:4
	buffer_load_dword v5, v5, s[0:3], 0 offen
	ds_read_b64 v[1:2], v4
	s_waitcnt vmcnt(1) lgkmcnt(0)
	v_mul_f32_e32 v7, v2, v6
	v_mul_f32_e32 v6, v1, v6
	s_waitcnt vmcnt(0)
	v_fma_f32 v1, v1, v5, -v7
	v_fmac_f32_e32 v6, v2, v5
	v_add_f32_e32 v2, 0, v1
	v_add_f32_e32 v1, 0, v6
	s_and_saveexec_b32 s8, s4
	s_cbranch_execz .LBB105_22
; %bb.21:
	s_clause 0x1
	buffer_load_dword v7, off, s[0:3], 0 offset:12
	buffer_load_dword v8, off, s[0:3], 0 offset:8
	v_mov_b32_e32 v5, 0
	ds_read_b64 v[5:6], v5 offset:344
	s_waitcnt vmcnt(1) lgkmcnt(0)
	v_mul_f32_e32 v93, v5, v7
	v_mul_f32_e32 v7, v6, v7
	s_waitcnt vmcnt(0)
	v_fmac_f32_e32 v93, v6, v8
	v_fma_f32 v5, v5, v8, -v7
	v_add_f32_e32 v1, v1, v93
	v_add_f32_e32 v2, v2, v5
.LBB105_22:
	s_or_b32 exec_lo, exec_lo, s8
	v_mov_b32_e32 v5, 0
	ds_read_b64 v[5:6], v5 offset:16
	s_waitcnt lgkmcnt(0)
	v_mul_f32_e32 v7, v1, v6
	v_mul_f32_e32 v6, v2, v6
	v_fma_f32 v2, v2, v5, -v7
	v_fmac_f32_e32 v6, v1, v5
	buffer_store_dword v2, off, s[0:3], 0 offset:16
	buffer_store_dword v6, off, s[0:3], 0 offset:20
.LBB105_23:
	s_or_b32 exec_lo, exec_lo, s5
	s_waitcnt_vscnt null, 0x0
	s_barrier
	buffer_gl0_inv
	s_clause 0x1
	buffer_load_dword v5, off, s[0:3], 0 offset:24
	buffer_load_dword v6, off, s[0:3], 0 offset:28
	v_add_nc_u32_e32 v1, -1, v0
	s_mov_b32 s4, exec_lo
	s_waitcnt vmcnt(0)
	ds_write_b64 v4, v[5:6]
	s_waitcnt lgkmcnt(0)
	s_barrier
	buffer_gl0_inv
	v_cmpx_gt_u32_e32 3, v0
	s_cbranch_execz .LBB105_27
; %bb.24:
	v_add_nc_u32_e32 v5, -1, v0
	v_add_nc_u32_e32 v6, 0x150, v3
	v_mov_b32_e32 v7, v3
	v_mov_b32_e32 v2, 0
	;; [unrolled: 1-line block ×3, first 2 shown]
	s_mov_b32 s5, 0
	.p2align	6
.LBB105_25:                             ; =>This Inner Loop Header: Depth=1
	s_clause 0x1
	buffer_load_dword v95, v7, s[0:3], 0 offen offset:4
	buffer_load_dword v96, v7, s[0:3], 0 offen
	ds_read_b64 v[93:94], v6
	v_add_nc_u32_e32 v5, 1, v5
	v_add_nc_u32_e32 v6, 8, v6
	v_add_nc_u32_e32 v7, 8, v7
	v_cmp_lt_u32_e32 vcc_lo, 1, v5
	s_or_b32 s5, vcc_lo, s5
	s_waitcnt vmcnt(1) lgkmcnt(0)
	v_mul_f32_e32 v97, v94, v95
	v_mul_f32_e32 v95, v93, v95
	s_waitcnt vmcnt(0)
	v_fma_f32 v93, v93, v96, -v97
	v_fmac_f32_e32 v95, v94, v96
	v_add_f32_e32 v8, v8, v93
	v_add_f32_e32 v2, v2, v95
	s_andn2_b32 exec_lo, exec_lo, s5
	s_cbranch_execnz .LBB105_25
; %bb.26:
	s_or_b32 exec_lo, exec_lo, s5
	v_mov_b32_e32 v5, 0
	ds_read_b64 v[5:6], v5 offset:24
	s_waitcnt lgkmcnt(0)
	v_mul_f32_e32 v7, v2, v6
	v_mul_f32_e32 v6, v8, v6
	v_fma_f32 v7, v8, v5, -v7
	v_fmac_f32_e32 v6, v2, v5
	buffer_store_dword v7, off, s[0:3], 0 offset:24
	buffer_store_dword v6, off, s[0:3], 0 offset:28
.LBB105_27:
	s_or_b32 exec_lo, exec_lo, s4
	s_waitcnt_vscnt null, 0x0
	s_barrier
	buffer_gl0_inv
	s_clause 0x1
	buffer_load_dword v5, off, s[0:3], 0 offset:32
	buffer_load_dword v6, off, s[0:3], 0 offset:36
	s_mov_b32 s4, exec_lo
	s_waitcnt vmcnt(0)
	ds_write_b64 v4, v[5:6]
	s_waitcnt lgkmcnt(0)
	s_barrier
	buffer_gl0_inv
	v_cmpx_gt_u32_e32 4, v0
	s_cbranch_execz .LBB105_31
; %bb.28:
	v_add_nc_u32_e32 v5, -1, v0
	v_add_nc_u32_e32 v6, 0x150, v3
	v_mov_b32_e32 v7, v3
	v_mov_b32_e32 v2, 0
	v_mov_b32_e32 v8, 0
	s_mov_b32 s5, 0
	.p2align	6
.LBB105_29:                             ; =>This Inner Loop Header: Depth=1
	s_clause 0x1
	buffer_load_dword v95, v7, s[0:3], 0 offen offset:4
	buffer_load_dword v96, v7, s[0:3], 0 offen
	ds_read_b64 v[93:94], v6
	v_add_nc_u32_e32 v5, 1, v5
	v_add_nc_u32_e32 v6, 8, v6
	;; [unrolled: 1-line block ×3, first 2 shown]
	v_cmp_lt_u32_e32 vcc_lo, 2, v5
	s_or_b32 s5, vcc_lo, s5
	s_waitcnt vmcnt(1) lgkmcnt(0)
	v_mul_f32_e32 v97, v94, v95
	v_mul_f32_e32 v95, v93, v95
	s_waitcnt vmcnt(0)
	v_fma_f32 v93, v93, v96, -v97
	v_fmac_f32_e32 v95, v94, v96
	v_add_f32_e32 v8, v8, v93
	v_add_f32_e32 v2, v2, v95
	s_andn2_b32 exec_lo, exec_lo, s5
	s_cbranch_execnz .LBB105_29
; %bb.30:
	s_or_b32 exec_lo, exec_lo, s5
	v_mov_b32_e32 v5, 0
	ds_read_b64 v[5:6], v5 offset:32
	s_waitcnt lgkmcnt(0)
	v_mul_f32_e32 v7, v2, v6
	v_mul_f32_e32 v6, v8, v6
	v_fma_f32 v7, v8, v5, -v7
	v_fmac_f32_e32 v6, v2, v5
	buffer_store_dword v7, off, s[0:3], 0 offset:32
	buffer_store_dword v6, off, s[0:3], 0 offset:36
.LBB105_31:
	s_or_b32 exec_lo, exec_lo, s4
	s_waitcnt_vscnt null, 0x0
	s_barrier
	buffer_gl0_inv
	s_clause 0x1
	buffer_load_dword v5, off, s[0:3], 0 offset:40
	buffer_load_dword v6, off, s[0:3], 0 offset:44
	s_mov_b32 s4, exec_lo
	s_waitcnt vmcnt(0)
	ds_write_b64 v4, v[5:6]
	s_waitcnt lgkmcnt(0)
	s_barrier
	buffer_gl0_inv
	v_cmpx_gt_u32_e32 5, v0
	s_cbranch_execz .LBB105_35
; %bb.32:
	v_add_nc_u32_e32 v5, -1, v0
	v_add_nc_u32_e32 v6, 0x150, v3
	v_mov_b32_e32 v7, v3
	v_mov_b32_e32 v2, 0
	;; [unrolled: 1-line block ×3, first 2 shown]
	s_mov_b32 s5, 0
	.p2align	6
.LBB105_33:                             ; =>This Inner Loop Header: Depth=1
	s_clause 0x1
	buffer_load_dword v95, v7, s[0:3], 0 offen offset:4
	buffer_load_dword v96, v7, s[0:3], 0 offen
	ds_read_b64 v[93:94], v6
	v_add_nc_u32_e32 v5, 1, v5
	v_add_nc_u32_e32 v6, 8, v6
	;; [unrolled: 1-line block ×3, first 2 shown]
	v_cmp_lt_u32_e32 vcc_lo, 3, v5
	s_or_b32 s5, vcc_lo, s5
	s_waitcnt vmcnt(1) lgkmcnt(0)
	v_mul_f32_e32 v97, v94, v95
	v_mul_f32_e32 v95, v93, v95
	s_waitcnt vmcnt(0)
	v_fma_f32 v93, v93, v96, -v97
	v_fmac_f32_e32 v95, v94, v96
	v_add_f32_e32 v8, v8, v93
	v_add_f32_e32 v2, v2, v95
	s_andn2_b32 exec_lo, exec_lo, s5
	s_cbranch_execnz .LBB105_33
; %bb.34:
	s_or_b32 exec_lo, exec_lo, s5
	v_mov_b32_e32 v5, 0
	ds_read_b64 v[5:6], v5 offset:40
	s_waitcnt lgkmcnt(0)
	v_mul_f32_e32 v7, v2, v6
	v_mul_f32_e32 v6, v8, v6
	v_fma_f32 v7, v8, v5, -v7
	v_fmac_f32_e32 v6, v2, v5
	buffer_store_dword v7, off, s[0:3], 0 offset:40
	buffer_store_dword v6, off, s[0:3], 0 offset:44
.LBB105_35:
	s_or_b32 exec_lo, exec_lo, s4
	s_waitcnt_vscnt null, 0x0
	s_barrier
	buffer_gl0_inv
	s_clause 0x1
	buffer_load_dword v5, off, s[0:3], 0 offset:48
	buffer_load_dword v6, off, s[0:3], 0 offset:52
	s_mov_b32 s4, exec_lo
	s_waitcnt vmcnt(0)
	ds_write_b64 v4, v[5:6]
	s_waitcnt lgkmcnt(0)
	s_barrier
	buffer_gl0_inv
	v_cmpx_gt_u32_e32 6, v0
	s_cbranch_execz .LBB105_39
; %bb.36:
	v_add_nc_u32_e32 v5, -1, v0
	v_add_nc_u32_e32 v6, 0x150, v3
	v_mov_b32_e32 v7, v3
	v_mov_b32_e32 v2, 0
	;; [unrolled: 1-line block ×3, first 2 shown]
	s_mov_b32 s5, 0
	.p2align	6
.LBB105_37:                             ; =>This Inner Loop Header: Depth=1
	s_clause 0x1
	buffer_load_dword v95, v7, s[0:3], 0 offen offset:4
	buffer_load_dword v96, v7, s[0:3], 0 offen
	ds_read_b64 v[93:94], v6
	v_add_nc_u32_e32 v5, 1, v5
	v_add_nc_u32_e32 v6, 8, v6
	;; [unrolled: 1-line block ×3, first 2 shown]
	v_cmp_lt_u32_e32 vcc_lo, 4, v5
	s_or_b32 s5, vcc_lo, s5
	s_waitcnt vmcnt(1) lgkmcnt(0)
	v_mul_f32_e32 v97, v94, v95
	v_mul_f32_e32 v95, v93, v95
	s_waitcnt vmcnt(0)
	v_fma_f32 v93, v93, v96, -v97
	v_fmac_f32_e32 v95, v94, v96
	v_add_f32_e32 v8, v8, v93
	v_add_f32_e32 v2, v2, v95
	s_andn2_b32 exec_lo, exec_lo, s5
	s_cbranch_execnz .LBB105_37
; %bb.38:
	s_or_b32 exec_lo, exec_lo, s5
	v_mov_b32_e32 v5, 0
	ds_read_b64 v[5:6], v5 offset:48
	s_waitcnt lgkmcnt(0)
	v_mul_f32_e32 v7, v2, v6
	v_mul_f32_e32 v6, v8, v6
	v_fma_f32 v7, v8, v5, -v7
	v_fmac_f32_e32 v6, v2, v5
	buffer_store_dword v7, off, s[0:3], 0 offset:48
	buffer_store_dword v6, off, s[0:3], 0 offset:52
.LBB105_39:
	s_or_b32 exec_lo, exec_lo, s4
	s_waitcnt_vscnt null, 0x0
	s_barrier
	buffer_gl0_inv
	s_clause 0x1
	buffer_load_dword v5, off, s[0:3], 0 offset:56
	buffer_load_dword v6, off, s[0:3], 0 offset:60
	s_mov_b32 s4, exec_lo
	s_waitcnt vmcnt(0)
	ds_write_b64 v4, v[5:6]
	s_waitcnt lgkmcnt(0)
	s_barrier
	buffer_gl0_inv
	v_cmpx_gt_u32_e32 7, v0
	s_cbranch_execz .LBB105_43
; %bb.40:
	v_add_nc_u32_e32 v5, -1, v0
	v_add_nc_u32_e32 v6, 0x150, v3
	v_mov_b32_e32 v7, v3
	v_mov_b32_e32 v2, 0
	;; [unrolled: 1-line block ×3, first 2 shown]
	s_mov_b32 s5, 0
	.p2align	6
.LBB105_41:                             ; =>This Inner Loop Header: Depth=1
	s_clause 0x1
	buffer_load_dword v95, v7, s[0:3], 0 offen offset:4
	buffer_load_dword v96, v7, s[0:3], 0 offen
	ds_read_b64 v[93:94], v6
	v_add_nc_u32_e32 v5, 1, v5
	v_add_nc_u32_e32 v6, 8, v6
	;; [unrolled: 1-line block ×3, first 2 shown]
	v_cmp_lt_u32_e32 vcc_lo, 5, v5
	s_or_b32 s5, vcc_lo, s5
	s_waitcnt vmcnt(1) lgkmcnt(0)
	v_mul_f32_e32 v97, v94, v95
	v_mul_f32_e32 v95, v93, v95
	s_waitcnt vmcnt(0)
	v_fma_f32 v93, v93, v96, -v97
	v_fmac_f32_e32 v95, v94, v96
	v_add_f32_e32 v8, v8, v93
	v_add_f32_e32 v2, v2, v95
	s_andn2_b32 exec_lo, exec_lo, s5
	s_cbranch_execnz .LBB105_41
; %bb.42:
	s_or_b32 exec_lo, exec_lo, s5
	v_mov_b32_e32 v5, 0
	ds_read_b64 v[5:6], v5 offset:56
	s_waitcnt lgkmcnt(0)
	v_mul_f32_e32 v7, v2, v6
	v_mul_f32_e32 v6, v8, v6
	v_fma_f32 v7, v8, v5, -v7
	v_fmac_f32_e32 v6, v2, v5
	buffer_store_dword v7, off, s[0:3], 0 offset:56
	buffer_store_dword v6, off, s[0:3], 0 offset:60
.LBB105_43:
	s_or_b32 exec_lo, exec_lo, s4
	s_waitcnt_vscnt null, 0x0
	s_barrier
	buffer_gl0_inv
	s_clause 0x1
	buffer_load_dword v5, off, s[0:3], 0 offset:64
	buffer_load_dword v6, off, s[0:3], 0 offset:68
	s_mov_b32 s4, exec_lo
	s_waitcnt vmcnt(0)
	ds_write_b64 v4, v[5:6]
	s_waitcnt lgkmcnt(0)
	s_barrier
	buffer_gl0_inv
	v_cmpx_gt_u32_e32 8, v0
	s_cbranch_execz .LBB105_47
; %bb.44:
	v_add_nc_u32_e32 v5, -1, v0
	v_add_nc_u32_e32 v6, 0x150, v3
	v_mov_b32_e32 v7, v3
	v_mov_b32_e32 v2, 0
	;; [unrolled: 1-line block ×3, first 2 shown]
	s_mov_b32 s5, 0
	.p2align	6
.LBB105_45:                             ; =>This Inner Loop Header: Depth=1
	s_clause 0x1
	buffer_load_dword v95, v7, s[0:3], 0 offen offset:4
	buffer_load_dword v96, v7, s[0:3], 0 offen
	ds_read_b64 v[93:94], v6
	v_add_nc_u32_e32 v5, 1, v5
	v_add_nc_u32_e32 v6, 8, v6
	;; [unrolled: 1-line block ×3, first 2 shown]
	v_cmp_lt_u32_e32 vcc_lo, 6, v5
	s_or_b32 s5, vcc_lo, s5
	s_waitcnt vmcnt(1) lgkmcnt(0)
	v_mul_f32_e32 v97, v94, v95
	v_mul_f32_e32 v95, v93, v95
	s_waitcnt vmcnt(0)
	v_fma_f32 v93, v93, v96, -v97
	v_fmac_f32_e32 v95, v94, v96
	v_add_f32_e32 v8, v8, v93
	v_add_f32_e32 v2, v2, v95
	s_andn2_b32 exec_lo, exec_lo, s5
	s_cbranch_execnz .LBB105_45
; %bb.46:
	s_or_b32 exec_lo, exec_lo, s5
	v_mov_b32_e32 v5, 0
	ds_read_b64 v[5:6], v5 offset:64
	s_waitcnt lgkmcnt(0)
	v_mul_f32_e32 v7, v2, v6
	v_mul_f32_e32 v6, v8, v6
	v_fma_f32 v7, v8, v5, -v7
	v_fmac_f32_e32 v6, v2, v5
	buffer_store_dword v7, off, s[0:3], 0 offset:64
	buffer_store_dword v6, off, s[0:3], 0 offset:68
.LBB105_47:
	s_or_b32 exec_lo, exec_lo, s4
	s_waitcnt_vscnt null, 0x0
	s_barrier
	buffer_gl0_inv
	s_clause 0x1
	buffer_load_dword v5, off, s[0:3], 0 offset:72
	buffer_load_dword v6, off, s[0:3], 0 offset:76
	s_mov_b32 s4, exec_lo
	s_waitcnt vmcnt(0)
	ds_write_b64 v4, v[5:6]
	s_waitcnt lgkmcnt(0)
	s_barrier
	buffer_gl0_inv
	v_cmpx_gt_u32_e32 9, v0
	s_cbranch_execz .LBB105_51
; %bb.48:
	v_add_nc_u32_e32 v5, -1, v0
	v_add_nc_u32_e32 v6, 0x150, v3
	v_mov_b32_e32 v7, v3
	v_mov_b32_e32 v2, 0
	;; [unrolled: 1-line block ×3, first 2 shown]
	s_mov_b32 s5, 0
	.p2align	6
.LBB105_49:                             ; =>This Inner Loop Header: Depth=1
	s_clause 0x1
	buffer_load_dword v95, v7, s[0:3], 0 offen offset:4
	buffer_load_dword v96, v7, s[0:3], 0 offen
	ds_read_b64 v[93:94], v6
	v_add_nc_u32_e32 v5, 1, v5
	v_add_nc_u32_e32 v6, 8, v6
	;; [unrolled: 1-line block ×3, first 2 shown]
	v_cmp_lt_u32_e32 vcc_lo, 7, v5
	s_or_b32 s5, vcc_lo, s5
	s_waitcnt vmcnt(1) lgkmcnt(0)
	v_mul_f32_e32 v97, v94, v95
	v_mul_f32_e32 v95, v93, v95
	s_waitcnt vmcnt(0)
	v_fma_f32 v93, v93, v96, -v97
	v_fmac_f32_e32 v95, v94, v96
	v_add_f32_e32 v8, v8, v93
	v_add_f32_e32 v2, v2, v95
	s_andn2_b32 exec_lo, exec_lo, s5
	s_cbranch_execnz .LBB105_49
; %bb.50:
	s_or_b32 exec_lo, exec_lo, s5
	v_mov_b32_e32 v5, 0
	ds_read_b64 v[5:6], v5 offset:72
	s_waitcnt lgkmcnt(0)
	v_mul_f32_e32 v7, v2, v6
	v_mul_f32_e32 v6, v8, v6
	v_fma_f32 v7, v8, v5, -v7
	v_fmac_f32_e32 v6, v2, v5
	buffer_store_dword v7, off, s[0:3], 0 offset:72
	buffer_store_dword v6, off, s[0:3], 0 offset:76
.LBB105_51:
	s_or_b32 exec_lo, exec_lo, s4
	s_waitcnt_vscnt null, 0x0
	s_barrier
	buffer_gl0_inv
	s_clause 0x1
	buffer_load_dword v5, off, s[0:3], 0 offset:80
	buffer_load_dword v6, off, s[0:3], 0 offset:84
	s_mov_b32 s4, exec_lo
	s_waitcnt vmcnt(0)
	ds_write_b64 v4, v[5:6]
	s_waitcnt lgkmcnt(0)
	s_barrier
	buffer_gl0_inv
	v_cmpx_gt_u32_e32 10, v0
	s_cbranch_execz .LBB105_55
; %bb.52:
	v_add_nc_u32_e32 v5, -1, v0
	v_add_nc_u32_e32 v6, 0x150, v3
	v_mov_b32_e32 v7, v3
	v_mov_b32_e32 v2, 0
	;; [unrolled: 1-line block ×3, first 2 shown]
	s_mov_b32 s5, 0
	.p2align	6
.LBB105_53:                             ; =>This Inner Loop Header: Depth=1
	s_clause 0x1
	buffer_load_dword v95, v7, s[0:3], 0 offen offset:4
	buffer_load_dword v96, v7, s[0:3], 0 offen
	ds_read_b64 v[93:94], v6
	v_add_nc_u32_e32 v5, 1, v5
	v_add_nc_u32_e32 v6, 8, v6
	;; [unrolled: 1-line block ×3, first 2 shown]
	v_cmp_lt_u32_e32 vcc_lo, 8, v5
	s_or_b32 s5, vcc_lo, s5
	s_waitcnt vmcnt(1) lgkmcnt(0)
	v_mul_f32_e32 v97, v94, v95
	v_mul_f32_e32 v95, v93, v95
	s_waitcnt vmcnt(0)
	v_fma_f32 v93, v93, v96, -v97
	v_fmac_f32_e32 v95, v94, v96
	v_add_f32_e32 v8, v8, v93
	v_add_f32_e32 v2, v2, v95
	s_andn2_b32 exec_lo, exec_lo, s5
	s_cbranch_execnz .LBB105_53
; %bb.54:
	s_or_b32 exec_lo, exec_lo, s5
	v_mov_b32_e32 v5, 0
	ds_read_b64 v[5:6], v5 offset:80
	s_waitcnt lgkmcnt(0)
	v_mul_f32_e32 v7, v2, v6
	v_mul_f32_e32 v6, v8, v6
	v_fma_f32 v7, v8, v5, -v7
	v_fmac_f32_e32 v6, v2, v5
	buffer_store_dword v7, off, s[0:3], 0 offset:80
	buffer_store_dword v6, off, s[0:3], 0 offset:84
.LBB105_55:
	s_or_b32 exec_lo, exec_lo, s4
	s_waitcnt_vscnt null, 0x0
	s_barrier
	buffer_gl0_inv
	s_clause 0x1
	buffer_load_dword v5, off, s[0:3], 0 offset:88
	buffer_load_dword v6, off, s[0:3], 0 offset:92
	s_mov_b32 s4, exec_lo
	s_waitcnt vmcnt(0)
	ds_write_b64 v4, v[5:6]
	s_waitcnt lgkmcnt(0)
	s_barrier
	buffer_gl0_inv
	v_cmpx_gt_u32_e32 11, v0
	s_cbranch_execz .LBB105_59
; %bb.56:
	v_add_nc_u32_e32 v5, -1, v0
	v_add_nc_u32_e32 v6, 0x150, v3
	v_mov_b32_e32 v7, v3
	v_mov_b32_e32 v2, 0
	;; [unrolled: 1-line block ×3, first 2 shown]
	s_mov_b32 s5, 0
	.p2align	6
.LBB105_57:                             ; =>This Inner Loop Header: Depth=1
	s_clause 0x1
	buffer_load_dword v95, v7, s[0:3], 0 offen offset:4
	buffer_load_dword v96, v7, s[0:3], 0 offen
	ds_read_b64 v[93:94], v6
	v_add_nc_u32_e32 v5, 1, v5
	v_add_nc_u32_e32 v6, 8, v6
	;; [unrolled: 1-line block ×3, first 2 shown]
	v_cmp_lt_u32_e32 vcc_lo, 9, v5
	s_or_b32 s5, vcc_lo, s5
	s_waitcnt vmcnt(1) lgkmcnt(0)
	v_mul_f32_e32 v97, v94, v95
	v_mul_f32_e32 v95, v93, v95
	s_waitcnt vmcnt(0)
	v_fma_f32 v93, v93, v96, -v97
	v_fmac_f32_e32 v95, v94, v96
	v_add_f32_e32 v8, v8, v93
	v_add_f32_e32 v2, v2, v95
	s_andn2_b32 exec_lo, exec_lo, s5
	s_cbranch_execnz .LBB105_57
; %bb.58:
	s_or_b32 exec_lo, exec_lo, s5
	v_mov_b32_e32 v5, 0
	ds_read_b64 v[5:6], v5 offset:88
	s_waitcnt lgkmcnt(0)
	v_mul_f32_e32 v7, v2, v6
	v_mul_f32_e32 v6, v8, v6
	v_fma_f32 v7, v8, v5, -v7
	v_fmac_f32_e32 v6, v2, v5
	buffer_store_dword v7, off, s[0:3], 0 offset:88
	buffer_store_dword v6, off, s[0:3], 0 offset:92
.LBB105_59:
	s_or_b32 exec_lo, exec_lo, s4
	s_waitcnt_vscnt null, 0x0
	s_barrier
	buffer_gl0_inv
	s_clause 0x1
	buffer_load_dword v5, off, s[0:3], 0 offset:96
	buffer_load_dword v6, off, s[0:3], 0 offset:100
	s_mov_b32 s4, exec_lo
	s_waitcnt vmcnt(0)
	ds_write_b64 v4, v[5:6]
	s_waitcnt lgkmcnt(0)
	s_barrier
	buffer_gl0_inv
	v_cmpx_gt_u32_e32 12, v0
	s_cbranch_execz .LBB105_63
; %bb.60:
	v_add_nc_u32_e32 v5, -1, v0
	v_add_nc_u32_e32 v6, 0x150, v3
	v_mov_b32_e32 v7, v3
	v_mov_b32_e32 v2, 0
	;; [unrolled: 1-line block ×3, first 2 shown]
	s_mov_b32 s5, 0
	.p2align	6
.LBB105_61:                             ; =>This Inner Loop Header: Depth=1
	s_clause 0x1
	buffer_load_dword v95, v7, s[0:3], 0 offen offset:4
	buffer_load_dword v96, v7, s[0:3], 0 offen
	ds_read_b64 v[93:94], v6
	v_add_nc_u32_e32 v5, 1, v5
	v_add_nc_u32_e32 v6, 8, v6
	v_add_nc_u32_e32 v7, 8, v7
	v_cmp_lt_u32_e32 vcc_lo, 10, v5
	s_or_b32 s5, vcc_lo, s5
	s_waitcnt vmcnt(1) lgkmcnt(0)
	v_mul_f32_e32 v97, v94, v95
	v_mul_f32_e32 v95, v93, v95
	s_waitcnt vmcnt(0)
	v_fma_f32 v93, v93, v96, -v97
	v_fmac_f32_e32 v95, v94, v96
	v_add_f32_e32 v8, v8, v93
	v_add_f32_e32 v2, v2, v95
	s_andn2_b32 exec_lo, exec_lo, s5
	s_cbranch_execnz .LBB105_61
; %bb.62:
	s_or_b32 exec_lo, exec_lo, s5
	v_mov_b32_e32 v5, 0
	ds_read_b64 v[5:6], v5 offset:96
	s_waitcnt lgkmcnt(0)
	v_mul_f32_e32 v7, v2, v6
	v_mul_f32_e32 v6, v8, v6
	v_fma_f32 v7, v8, v5, -v7
	v_fmac_f32_e32 v6, v2, v5
	buffer_store_dword v7, off, s[0:3], 0 offset:96
	buffer_store_dword v6, off, s[0:3], 0 offset:100
.LBB105_63:
	s_or_b32 exec_lo, exec_lo, s4
	s_waitcnt_vscnt null, 0x0
	s_barrier
	buffer_gl0_inv
	s_clause 0x1
	buffer_load_dword v5, off, s[0:3], 0 offset:104
	buffer_load_dword v6, off, s[0:3], 0 offset:108
	s_mov_b32 s4, exec_lo
	s_waitcnt vmcnt(0)
	ds_write_b64 v4, v[5:6]
	s_waitcnt lgkmcnt(0)
	s_barrier
	buffer_gl0_inv
	v_cmpx_gt_u32_e32 13, v0
	s_cbranch_execz .LBB105_67
; %bb.64:
	v_add_nc_u32_e32 v5, -1, v0
	v_add_nc_u32_e32 v6, 0x150, v3
	v_mov_b32_e32 v7, v3
	v_mov_b32_e32 v2, 0
	;; [unrolled: 1-line block ×3, first 2 shown]
	s_mov_b32 s5, 0
	.p2align	6
.LBB105_65:                             ; =>This Inner Loop Header: Depth=1
	s_clause 0x1
	buffer_load_dword v95, v7, s[0:3], 0 offen offset:4
	buffer_load_dword v96, v7, s[0:3], 0 offen
	ds_read_b64 v[93:94], v6
	v_add_nc_u32_e32 v5, 1, v5
	v_add_nc_u32_e32 v6, 8, v6
	;; [unrolled: 1-line block ×3, first 2 shown]
	v_cmp_lt_u32_e32 vcc_lo, 11, v5
	s_or_b32 s5, vcc_lo, s5
	s_waitcnt vmcnt(1) lgkmcnt(0)
	v_mul_f32_e32 v97, v94, v95
	v_mul_f32_e32 v95, v93, v95
	s_waitcnt vmcnt(0)
	v_fma_f32 v93, v93, v96, -v97
	v_fmac_f32_e32 v95, v94, v96
	v_add_f32_e32 v8, v8, v93
	v_add_f32_e32 v2, v2, v95
	s_andn2_b32 exec_lo, exec_lo, s5
	s_cbranch_execnz .LBB105_65
; %bb.66:
	s_or_b32 exec_lo, exec_lo, s5
	v_mov_b32_e32 v5, 0
	ds_read_b64 v[5:6], v5 offset:104
	s_waitcnt lgkmcnt(0)
	v_mul_f32_e32 v7, v2, v6
	v_mul_f32_e32 v6, v8, v6
	v_fma_f32 v7, v8, v5, -v7
	v_fmac_f32_e32 v6, v2, v5
	buffer_store_dword v7, off, s[0:3], 0 offset:104
	buffer_store_dword v6, off, s[0:3], 0 offset:108
.LBB105_67:
	s_or_b32 exec_lo, exec_lo, s4
	s_waitcnt_vscnt null, 0x0
	s_barrier
	buffer_gl0_inv
	s_clause 0x1
	buffer_load_dword v5, off, s[0:3], 0 offset:112
	buffer_load_dword v6, off, s[0:3], 0 offset:116
	s_mov_b32 s4, exec_lo
	s_waitcnt vmcnt(0)
	ds_write_b64 v4, v[5:6]
	s_waitcnt lgkmcnt(0)
	s_barrier
	buffer_gl0_inv
	v_cmpx_gt_u32_e32 14, v0
	s_cbranch_execz .LBB105_71
; %bb.68:
	v_add_nc_u32_e32 v5, -1, v0
	v_add_nc_u32_e32 v6, 0x150, v3
	v_mov_b32_e32 v7, v3
	v_mov_b32_e32 v2, 0
	;; [unrolled: 1-line block ×3, first 2 shown]
	s_mov_b32 s5, 0
	.p2align	6
.LBB105_69:                             ; =>This Inner Loop Header: Depth=1
	s_clause 0x1
	buffer_load_dword v95, v7, s[0:3], 0 offen offset:4
	buffer_load_dword v96, v7, s[0:3], 0 offen
	ds_read_b64 v[93:94], v6
	v_add_nc_u32_e32 v5, 1, v5
	v_add_nc_u32_e32 v6, 8, v6
	;; [unrolled: 1-line block ×3, first 2 shown]
	v_cmp_lt_u32_e32 vcc_lo, 12, v5
	s_or_b32 s5, vcc_lo, s5
	s_waitcnt vmcnt(1) lgkmcnt(0)
	v_mul_f32_e32 v97, v94, v95
	v_mul_f32_e32 v95, v93, v95
	s_waitcnt vmcnt(0)
	v_fma_f32 v93, v93, v96, -v97
	v_fmac_f32_e32 v95, v94, v96
	v_add_f32_e32 v8, v8, v93
	v_add_f32_e32 v2, v2, v95
	s_andn2_b32 exec_lo, exec_lo, s5
	s_cbranch_execnz .LBB105_69
; %bb.70:
	s_or_b32 exec_lo, exec_lo, s5
	v_mov_b32_e32 v5, 0
	ds_read_b64 v[5:6], v5 offset:112
	s_waitcnt lgkmcnt(0)
	v_mul_f32_e32 v7, v2, v6
	v_mul_f32_e32 v6, v8, v6
	v_fma_f32 v7, v8, v5, -v7
	v_fmac_f32_e32 v6, v2, v5
	buffer_store_dword v7, off, s[0:3], 0 offset:112
	buffer_store_dword v6, off, s[0:3], 0 offset:116
.LBB105_71:
	s_or_b32 exec_lo, exec_lo, s4
	s_waitcnt_vscnt null, 0x0
	s_barrier
	buffer_gl0_inv
	s_clause 0x1
	buffer_load_dword v5, off, s[0:3], 0 offset:120
	buffer_load_dword v6, off, s[0:3], 0 offset:124
	s_mov_b32 s4, exec_lo
	s_waitcnt vmcnt(0)
	ds_write_b64 v4, v[5:6]
	s_waitcnt lgkmcnt(0)
	s_barrier
	buffer_gl0_inv
	v_cmpx_gt_u32_e32 15, v0
	s_cbranch_execz .LBB105_75
; %bb.72:
	v_add_nc_u32_e32 v5, -1, v0
	v_add_nc_u32_e32 v6, 0x150, v3
	v_mov_b32_e32 v7, v3
	v_mov_b32_e32 v2, 0
	;; [unrolled: 1-line block ×3, first 2 shown]
	s_mov_b32 s5, 0
	.p2align	6
.LBB105_73:                             ; =>This Inner Loop Header: Depth=1
	s_clause 0x1
	buffer_load_dword v95, v7, s[0:3], 0 offen offset:4
	buffer_load_dword v96, v7, s[0:3], 0 offen
	ds_read_b64 v[93:94], v6
	v_add_nc_u32_e32 v5, 1, v5
	v_add_nc_u32_e32 v6, 8, v6
	;; [unrolled: 1-line block ×3, first 2 shown]
	v_cmp_lt_u32_e32 vcc_lo, 13, v5
	s_or_b32 s5, vcc_lo, s5
	s_waitcnt vmcnt(1) lgkmcnt(0)
	v_mul_f32_e32 v97, v94, v95
	v_mul_f32_e32 v95, v93, v95
	s_waitcnt vmcnt(0)
	v_fma_f32 v93, v93, v96, -v97
	v_fmac_f32_e32 v95, v94, v96
	v_add_f32_e32 v8, v8, v93
	v_add_f32_e32 v2, v2, v95
	s_andn2_b32 exec_lo, exec_lo, s5
	s_cbranch_execnz .LBB105_73
; %bb.74:
	s_or_b32 exec_lo, exec_lo, s5
	v_mov_b32_e32 v5, 0
	ds_read_b64 v[5:6], v5 offset:120
	s_waitcnt lgkmcnt(0)
	v_mul_f32_e32 v7, v2, v6
	v_mul_f32_e32 v6, v8, v6
	v_fma_f32 v7, v8, v5, -v7
	v_fmac_f32_e32 v6, v2, v5
	buffer_store_dword v7, off, s[0:3], 0 offset:120
	buffer_store_dword v6, off, s[0:3], 0 offset:124
.LBB105_75:
	s_or_b32 exec_lo, exec_lo, s4
	s_waitcnt_vscnt null, 0x0
	s_barrier
	buffer_gl0_inv
	s_clause 0x1
	buffer_load_dword v5, off, s[0:3], 0 offset:128
	buffer_load_dword v6, off, s[0:3], 0 offset:132
	s_mov_b32 s4, exec_lo
	s_waitcnt vmcnt(0)
	ds_write_b64 v4, v[5:6]
	s_waitcnt lgkmcnt(0)
	s_barrier
	buffer_gl0_inv
	v_cmpx_gt_u32_e32 16, v0
	s_cbranch_execz .LBB105_79
; %bb.76:
	v_add_nc_u32_e32 v5, -1, v0
	v_add_nc_u32_e32 v6, 0x150, v3
	v_mov_b32_e32 v7, v3
	v_mov_b32_e32 v2, 0
	;; [unrolled: 1-line block ×3, first 2 shown]
	s_mov_b32 s5, 0
	.p2align	6
.LBB105_77:                             ; =>This Inner Loop Header: Depth=1
	s_clause 0x1
	buffer_load_dword v95, v7, s[0:3], 0 offen offset:4
	buffer_load_dword v96, v7, s[0:3], 0 offen
	ds_read_b64 v[93:94], v6
	v_add_nc_u32_e32 v5, 1, v5
	v_add_nc_u32_e32 v6, 8, v6
	;; [unrolled: 1-line block ×3, first 2 shown]
	v_cmp_lt_u32_e32 vcc_lo, 14, v5
	s_or_b32 s5, vcc_lo, s5
	s_waitcnt vmcnt(1) lgkmcnt(0)
	v_mul_f32_e32 v97, v94, v95
	v_mul_f32_e32 v95, v93, v95
	s_waitcnt vmcnt(0)
	v_fma_f32 v93, v93, v96, -v97
	v_fmac_f32_e32 v95, v94, v96
	v_add_f32_e32 v8, v8, v93
	v_add_f32_e32 v2, v2, v95
	s_andn2_b32 exec_lo, exec_lo, s5
	s_cbranch_execnz .LBB105_77
; %bb.78:
	s_or_b32 exec_lo, exec_lo, s5
	v_mov_b32_e32 v5, 0
	ds_read_b64 v[5:6], v5 offset:128
	s_waitcnt lgkmcnt(0)
	v_mul_f32_e32 v7, v2, v6
	v_mul_f32_e32 v6, v8, v6
	v_fma_f32 v7, v8, v5, -v7
	v_fmac_f32_e32 v6, v2, v5
	buffer_store_dword v7, off, s[0:3], 0 offset:128
	buffer_store_dword v6, off, s[0:3], 0 offset:132
.LBB105_79:
	s_or_b32 exec_lo, exec_lo, s4
	s_waitcnt_vscnt null, 0x0
	s_barrier
	buffer_gl0_inv
	s_clause 0x1
	buffer_load_dword v5, off, s[0:3], 0 offset:136
	buffer_load_dword v6, off, s[0:3], 0 offset:140
	s_mov_b32 s4, exec_lo
	s_waitcnt vmcnt(0)
	ds_write_b64 v4, v[5:6]
	s_waitcnt lgkmcnt(0)
	s_barrier
	buffer_gl0_inv
	v_cmpx_gt_u32_e32 17, v0
	s_cbranch_execz .LBB105_83
; %bb.80:
	v_add_nc_u32_e32 v5, -1, v0
	v_add_nc_u32_e32 v6, 0x150, v3
	v_mov_b32_e32 v7, v3
	v_mov_b32_e32 v2, 0
	;; [unrolled: 1-line block ×3, first 2 shown]
	s_mov_b32 s5, 0
	.p2align	6
.LBB105_81:                             ; =>This Inner Loop Header: Depth=1
	s_clause 0x1
	buffer_load_dword v95, v7, s[0:3], 0 offen offset:4
	buffer_load_dword v96, v7, s[0:3], 0 offen
	ds_read_b64 v[93:94], v6
	v_add_nc_u32_e32 v5, 1, v5
	v_add_nc_u32_e32 v6, 8, v6
	;; [unrolled: 1-line block ×3, first 2 shown]
	v_cmp_lt_u32_e32 vcc_lo, 15, v5
	s_or_b32 s5, vcc_lo, s5
	s_waitcnt vmcnt(1) lgkmcnt(0)
	v_mul_f32_e32 v97, v94, v95
	v_mul_f32_e32 v95, v93, v95
	s_waitcnt vmcnt(0)
	v_fma_f32 v93, v93, v96, -v97
	v_fmac_f32_e32 v95, v94, v96
	v_add_f32_e32 v8, v8, v93
	v_add_f32_e32 v2, v2, v95
	s_andn2_b32 exec_lo, exec_lo, s5
	s_cbranch_execnz .LBB105_81
; %bb.82:
	s_or_b32 exec_lo, exec_lo, s5
	v_mov_b32_e32 v5, 0
	ds_read_b64 v[5:6], v5 offset:136
	s_waitcnt lgkmcnt(0)
	v_mul_f32_e32 v7, v2, v6
	v_mul_f32_e32 v6, v8, v6
	v_fma_f32 v7, v8, v5, -v7
	v_fmac_f32_e32 v6, v2, v5
	buffer_store_dword v7, off, s[0:3], 0 offset:136
	buffer_store_dword v6, off, s[0:3], 0 offset:140
.LBB105_83:
	s_or_b32 exec_lo, exec_lo, s4
	s_waitcnt_vscnt null, 0x0
	s_barrier
	buffer_gl0_inv
	s_clause 0x1
	buffer_load_dword v5, off, s[0:3], 0 offset:144
	buffer_load_dword v6, off, s[0:3], 0 offset:148
	s_mov_b32 s4, exec_lo
	s_waitcnt vmcnt(0)
	ds_write_b64 v4, v[5:6]
	s_waitcnt lgkmcnt(0)
	s_barrier
	buffer_gl0_inv
	v_cmpx_gt_u32_e32 18, v0
	s_cbranch_execz .LBB105_87
; %bb.84:
	v_add_nc_u32_e32 v5, -1, v0
	v_add_nc_u32_e32 v6, 0x150, v3
	v_mov_b32_e32 v7, v3
	v_mov_b32_e32 v2, 0
	;; [unrolled: 1-line block ×3, first 2 shown]
	s_mov_b32 s5, 0
	.p2align	6
.LBB105_85:                             ; =>This Inner Loop Header: Depth=1
	s_clause 0x1
	buffer_load_dword v95, v7, s[0:3], 0 offen offset:4
	buffer_load_dword v96, v7, s[0:3], 0 offen
	ds_read_b64 v[93:94], v6
	v_add_nc_u32_e32 v5, 1, v5
	v_add_nc_u32_e32 v6, 8, v6
	;; [unrolled: 1-line block ×3, first 2 shown]
	v_cmp_lt_u32_e32 vcc_lo, 16, v5
	s_or_b32 s5, vcc_lo, s5
	s_waitcnt vmcnt(1) lgkmcnt(0)
	v_mul_f32_e32 v97, v94, v95
	v_mul_f32_e32 v95, v93, v95
	s_waitcnt vmcnt(0)
	v_fma_f32 v93, v93, v96, -v97
	v_fmac_f32_e32 v95, v94, v96
	v_add_f32_e32 v8, v8, v93
	v_add_f32_e32 v2, v2, v95
	s_andn2_b32 exec_lo, exec_lo, s5
	s_cbranch_execnz .LBB105_85
; %bb.86:
	s_or_b32 exec_lo, exec_lo, s5
	v_mov_b32_e32 v5, 0
	ds_read_b64 v[5:6], v5 offset:144
	s_waitcnt lgkmcnt(0)
	v_mul_f32_e32 v7, v2, v6
	v_mul_f32_e32 v6, v8, v6
	v_fma_f32 v7, v8, v5, -v7
	v_fmac_f32_e32 v6, v2, v5
	buffer_store_dword v7, off, s[0:3], 0 offset:144
	buffer_store_dword v6, off, s[0:3], 0 offset:148
.LBB105_87:
	s_or_b32 exec_lo, exec_lo, s4
	s_waitcnt_vscnt null, 0x0
	s_barrier
	buffer_gl0_inv
	s_clause 0x1
	buffer_load_dword v5, off, s[0:3], 0 offset:152
	buffer_load_dword v6, off, s[0:3], 0 offset:156
	s_mov_b32 s4, exec_lo
	s_waitcnt vmcnt(0)
	ds_write_b64 v4, v[5:6]
	s_waitcnt lgkmcnt(0)
	s_barrier
	buffer_gl0_inv
	v_cmpx_gt_u32_e32 19, v0
	s_cbranch_execz .LBB105_91
; %bb.88:
	v_add_nc_u32_e32 v5, -1, v0
	v_add_nc_u32_e32 v6, 0x150, v3
	v_mov_b32_e32 v7, v3
	v_mov_b32_e32 v2, 0
	v_mov_b32_e32 v8, 0
	s_mov_b32 s5, 0
	.p2align	6
.LBB105_89:                             ; =>This Inner Loop Header: Depth=1
	s_clause 0x1
	buffer_load_dword v95, v7, s[0:3], 0 offen offset:4
	buffer_load_dword v96, v7, s[0:3], 0 offen
	ds_read_b64 v[93:94], v6
	v_add_nc_u32_e32 v5, 1, v5
	v_add_nc_u32_e32 v6, 8, v6
	;; [unrolled: 1-line block ×3, first 2 shown]
	v_cmp_lt_u32_e32 vcc_lo, 17, v5
	s_or_b32 s5, vcc_lo, s5
	s_waitcnt vmcnt(1) lgkmcnt(0)
	v_mul_f32_e32 v97, v94, v95
	v_mul_f32_e32 v95, v93, v95
	s_waitcnt vmcnt(0)
	v_fma_f32 v93, v93, v96, -v97
	v_fmac_f32_e32 v95, v94, v96
	v_add_f32_e32 v8, v8, v93
	v_add_f32_e32 v2, v2, v95
	s_andn2_b32 exec_lo, exec_lo, s5
	s_cbranch_execnz .LBB105_89
; %bb.90:
	s_or_b32 exec_lo, exec_lo, s5
	v_mov_b32_e32 v5, 0
	ds_read_b64 v[5:6], v5 offset:152
	s_waitcnt lgkmcnt(0)
	v_mul_f32_e32 v7, v2, v6
	v_mul_f32_e32 v6, v8, v6
	v_fma_f32 v7, v8, v5, -v7
	v_fmac_f32_e32 v6, v2, v5
	buffer_store_dword v7, off, s[0:3], 0 offset:152
	buffer_store_dword v6, off, s[0:3], 0 offset:156
.LBB105_91:
	s_or_b32 exec_lo, exec_lo, s4
	s_waitcnt_vscnt null, 0x0
	s_barrier
	buffer_gl0_inv
	s_clause 0x1
	buffer_load_dword v5, off, s[0:3], 0 offset:160
	buffer_load_dword v6, off, s[0:3], 0 offset:164
	s_mov_b32 s4, exec_lo
	s_waitcnt vmcnt(0)
	ds_write_b64 v4, v[5:6]
	s_waitcnt lgkmcnt(0)
	s_barrier
	buffer_gl0_inv
	v_cmpx_gt_u32_e32 20, v0
	s_cbranch_execz .LBB105_95
; %bb.92:
	v_add_nc_u32_e32 v5, -1, v0
	v_add_nc_u32_e32 v6, 0x150, v3
	v_mov_b32_e32 v7, v3
	v_mov_b32_e32 v2, 0
	;; [unrolled: 1-line block ×3, first 2 shown]
	s_mov_b32 s5, 0
	.p2align	6
.LBB105_93:                             ; =>This Inner Loop Header: Depth=1
	s_clause 0x1
	buffer_load_dword v95, v7, s[0:3], 0 offen offset:4
	buffer_load_dword v96, v7, s[0:3], 0 offen
	ds_read_b64 v[93:94], v6
	v_add_nc_u32_e32 v5, 1, v5
	v_add_nc_u32_e32 v6, 8, v6
	;; [unrolled: 1-line block ×3, first 2 shown]
	v_cmp_lt_u32_e32 vcc_lo, 18, v5
	s_or_b32 s5, vcc_lo, s5
	s_waitcnt vmcnt(1) lgkmcnt(0)
	v_mul_f32_e32 v97, v94, v95
	v_mul_f32_e32 v95, v93, v95
	s_waitcnt vmcnt(0)
	v_fma_f32 v93, v93, v96, -v97
	v_fmac_f32_e32 v95, v94, v96
	v_add_f32_e32 v8, v8, v93
	v_add_f32_e32 v2, v2, v95
	s_andn2_b32 exec_lo, exec_lo, s5
	s_cbranch_execnz .LBB105_93
; %bb.94:
	s_or_b32 exec_lo, exec_lo, s5
	v_mov_b32_e32 v5, 0
	ds_read_b64 v[5:6], v5 offset:160
	s_waitcnt lgkmcnt(0)
	v_mul_f32_e32 v7, v2, v6
	v_mul_f32_e32 v6, v8, v6
	v_fma_f32 v7, v8, v5, -v7
	v_fmac_f32_e32 v6, v2, v5
	buffer_store_dword v7, off, s[0:3], 0 offset:160
	buffer_store_dword v6, off, s[0:3], 0 offset:164
.LBB105_95:
	s_or_b32 exec_lo, exec_lo, s4
	s_waitcnt_vscnt null, 0x0
	s_barrier
	buffer_gl0_inv
	s_clause 0x1
	buffer_load_dword v5, off, s[0:3], 0 offset:168
	buffer_load_dword v6, off, s[0:3], 0 offset:172
	s_mov_b32 s4, exec_lo
	s_waitcnt vmcnt(0)
	ds_write_b64 v4, v[5:6]
	s_waitcnt lgkmcnt(0)
	s_barrier
	buffer_gl0_inv
	v_cmpx_gt_u32_e32 21, v0
	s_cbranch_execz .LBB105_99
; %bb.96:
	v_add_nc_u32_e32 v5, -1, v0
	v_add_nc_u32_e32 v6, 0x150, v3
	v_mov_b32_e32 v7, v3
	v_mov_b32_e32 v2, 0
	;; [unrolled: 1-line block ×3, first 2 shown]
	s_mov_b32 s5, 0
	.p2align	6
.LBB105_97:                             ; =>This Inner Loop Header: Depth=1
	s_clause 0x1
	buffer_load_dword v95, v7, s[0:3], 0 offen offset:4
	buffer_load_dword v96, v7, s[0:3], 0 offen
	ds_read_b64 v[93:94], v6
	v_add_nc_u32_e32 v5, 1, v5
	v_add_nc_u32_e32 v6, 8, v6
	;; [unrolled: 1-line block ×3, first 2 shown]
	v_cmp_lt_u32_e32 vcc_lo, 19, v5
	s_or_b32 s5, vcc_lo, s5
	s_waitcnt vmcnt(1) lgkmcnt(0)
	v_mul_f32_e32 v97, v94, v95
	v_mul_f32_e32 v95, v93, v95
	s_waitcnt vmcnt(0)
	v_fma_f32 v93, v93, v96, -v97
	v_fmac_f32_e32 v95, v94, v96
	v_add_f32_e32 v8, v8, v93
	v_add_f32_e32 v2, v2, v95
	s_andn2_b32 exec_lo, exec_lo, s5
	s_cbranch_execnz .LBB105_97
; %bb.98:
	s_or_b32 exec_lo, exec_lo, s5
	v_mov_b32_e32 v5, 0
	ds_read_b64 v[5:6], v5 offset:168
	s_waitcnt lgkmcnt(0)
	v_mul_f32_e32 v7, v2, v6
	v_mul_f32_e32 v6, v8, v6
	v_fma_f32 v7, v8, v5, -v7
	v_fmac_f32_e32 v6, v2, v5
	buffer_store_dword v7, off, s[0:3], 0 offset:168
	buffer_store_dword v6, off, s[0:3], 0 offset:172
.LBB105_99:
	s_or_b32 exec_lo, exec_lo, s4
	s_waitcnt_vscnt null, 0x0
	s_barrier
	buffer_gl0_inv
	s_clause 0x1
	buffer_load_dword v5, off, s[0:3], 0 offset:176
	buffer_load_dword v6, off, s[0:3], 0 offset:180
	s_mov_b32 s4, exec_lo
	s_waitcnt vmcnt(0)
	ds_write_b64 v4, v[5:6]
	s_waitcnt lgkmcnt(0)
	s_barrier
	buffer_gl0_inv
	v_cmpx_gt_u32_e32 22, v0
	s_cbranch_execz .LBB105_103
; %bb.100:
	v_add_nc_u32_e32 v5, -1, v0
	v_add_nc_u32_e32 v6, 0x150, v3
	v_mov_b32_e32 v7, v3
	v_mov_b32_e32 v2, 0
	;; [unrolled: 1-line block ×3, first 2 shown]
	s_mov_b32 s5, 0
	.p2align	6
.LBB105_101:                            ; =>This Inner Loop Header: Depth=1
	s_clause 0x1
	buffer_load_dword v95, v7, s[0:3], 0 offen offset:4
	buffer_load_dword v96, v7, s[0:3], 0 offen
	ds_read_b64 v[93:94], v6
	v_add_nc_u32_e32 v5, 1, v5
	v_add_nc_u32_e32 v6, 8, v6
	;; [unrolled: 1-line block ×3, first 2 shown]
	v_cmp_lt_u32_e32 vcc_lo, 20, v5
	s_or_b32 s5, vcc_lo, s5
	s_waitcnt vmcnt(1) lgkmcnt(0)
	v_mul_f32_e32 v97, v94, v95
	v_mul_f32_e32 v95, v93, v95
	s_waitcnt vmcnt(0)
	v_fma_f32 v93, v93, v96, -v97
	v_fmac_f32_e32 v95, v94, v96
	v_add_f32_e32 v8, v8, v93
	v_add_f32_e32 v2, v2, v95
	s_andn2_b32 exec_lo, exec_lo, s5
	s_cbranch_execnz .LBB105_101
; %bb.102:
	s_or_b32 exec_lo, exec_lo, s5
	v_mov_b32_e32 v5, 0
	ds_read_b64 v[5:6], v5 offset:176
	s_waitcnt lgkmcnt(0)
	v_mul_f32_e32 v7, v2, v6
	v_mul_f32_e32 v6, v8, v6
	v_fma_f32 v7, v8, v5, -v7
	v_fmac_f32_e32 v6, v2, v5
	buffer_store_dword v7, off, s[0:3], 0 offset:176
	buffer_store_dword v6, off, s[0:3], 0 offset:180
.LBB105_103:
	s_or_b32 exec_lo, exec_lo, s4
	s_waitcnt_vscnt null, 0x0
	s_barrier
	buffer_gl0_inv
	s_clause 0x1
	buffer_load_dword v5, off, s[0:3], 0 offset:184
	buffer_load_dword v6, off, s[0:3], 0 offset:188
	s_mov_b32 s4, exec_lo
	s_waitcnt vmcnt(0)
	ds_write_b64 v4, v[5:6]
	s_waitcnt lgkmcnt(0)
	s_barrier
	buffer_gl0_inv
	v_cmpx_gt_u32_e32 23, v0
	s_cbranch_execz .LBB105_107
; %bb.104:
	v_add_nc_u32_e32 v5, -1, v0
	v_add_nc_u32_e32 v6, 0x150, v3
	v_mov_b32_e32 v7, v3
	v_mov_b32_e32 v2, 0
	;; [unrolled: 1-line block ×3, first 2 shown]
	s_mov_b32 s5, 0
	.p2align	6
.LBB105_105:                            ; =>This Inner Loop Header: Depth=1
	s_clause 0x1
	buffer_load_dword v95, v7, s[0:3], 0 offen offset:4
	buffer_load_dword v96, v7, s[0:3], 0 offen
	ds_read_b64 v[93:94], v6
	v_add_nc_u32_e32 v5, 1, v5
	v_add_nc_u32_e32 v6, 8, v6
	;; [unrolled: 1-line block ×3, first 2 shown]
	v_cmp_lt_u32_e32 vcc_lo, 21, v5
	s_or_b32 s5, vcc_lo, s5
	s_waitcnt vmcnt(1) lgkmcnt(0)
	v_mul_f32_e32 v97, v94, v95
	v_mul_f32_e32 v95, v93, v95
	s_waitcnt vmcnt(0)
	v_fma_f32 v93, v93, v96, -v97
	v_fmac_f32_e32 v95, v94, v96
	v_add_f32_e32 v8, v8, v93
	v_add_f32_e32 v2, v2, v95
	s_andn2_b32 exec_lo, exec_lo, s5
	s_cbranch_execnz .LBB105_105
; %bb.106:
	s_or_b32 exec_lo, exec_lo, s5
	v_mov_b32_e32 v5, 0
	ds_read_b64 v[5:6], v5 offset:184
	s_waitcnt lgkmcnt(0)
	v_mul_f32_e32 v7, v2, v6
	v_mul_f32_e32 v6, v8, v6
	v_fma_f32 v7, v8, v5, -v7
	v_fmac_f32_e32 v6, v2, v5
	buffer_store_dword v7, off, s[0:3], 0 offset:184
	buffer_store_dword v6, off, s[0:3], 0 offset:188
.LBB105_107:
	s_or_b32 exec_lo, exec_lo, s4
	s_waitcnt_vscnt null, 0x0
	s_barrier
	buffer_gl0_inv
	s_clause 0x1
	buffer_load_dword v5, off, s[0:3], 0 offset:192
	buffer_load_dword v6, off, s[0:3], 0 offset:196
	s_mov_b32 s4, exec_lo
	s_waitcnt vmcnt(0)
	ds_write_b64 v4, v[5:6]
	s_waitcnt lgkmcnt(0)
	s_barrier
	buffer_gl0_inv
	v_cmpx_gt_u32_e32 24, v0
	s_cbranch_execz .LBB105_111
; %bb.108:
	v_add_nc_u32_e32 v5, -1, v0
	v_add_nc_u32_e32 v6, 0x150, v3
	v_mov_b32_e32 v7, v3
	v_mov_b32_e32 v2, 0
	;; [unrolled: 1-line block ×3, first 2 shown]
	s_mov_b32 s5, 0
	.p2align	6
.LBB105_109:                            ; =>This Inner Loop Header: Depth=1
	s_clause 0x1
	buffer_load_dword v95, v7, s[0:3], 0 offen offset:4
	buffer_load_dword v96, v7, s[0:3], 0 offen
	ds_read_b64 v[93:94], v6
	v_add_nc_u32_e32 v5, 1, v5
	v_add_nc_u32_e32 v6, 8, v6
	;; [unrolled: 1-line block ×3, first 2 shown]
	v_cmp_lt_u32_e32 vcc_lo, 22, v5
	s_or_b32 s5, vcc_lo, s5
	s_waitcnt vmcnt(1) lgkmcnt(0)
	v_mul_f32_e32 v97, v94, v95
	v_mul_f32_e32 v95, v93, v95
	s_waitcnt vmcnt(0)
	v_fma_f32 v93, v93, v96, -v97
	v_fmac_f32_e32 v95, v94, v96
	v_add_f32_e32 v8, v8, v93
	v_add_f32_e32 v2, v2, v95
	s_andn2_b32 exec_lo, exec_lo, s5
	s_cbranch_execnz .LBB105_109
; %bb.110:
	s_or_b32 exec_lo, exec_lo, s5
	v_mov_b32_e32 v5, 0
	ds_read_b64 v[5:6], v5 offset:192
	s_waitcnt lgkmcnt(0)
	v_mul_f32_e32 v7, v2, v6
	v_mul_f32_e32 v6, v8, v6
	v_fma_f32 v7, v8, v5, -v7
	v_fmac_f32_e32 v6, v2, v5
	buffer_store_dword v7, off, s[0:3], 0 offset:192
	buffer_store_dword v6, off, s[0:3], 0 offset:196
.LBB105_111:
	s_or_b32 exec_lo, exec_lo, s4
	s_waitcnt_vscnt null, 0x0
	s_barrier
	buffer_gl0_inv
	s_clause 0x1
	buffer_load_dword v5, off, s[0:3], 0 offset:200
	buffer_load_dword v6, off, s[0:3], 0 offset:204
	s_mov_b32 s4, exec_lo
	s_waitcnt vmcnt(0)
	ds_write_b64 v4, v[5:6]
	s_waitcnt lgkmcnt(0)
	s_barrier
	buffer_gl0_inv
	v_cmpx_gt_u32_e32 25, v0
	s_cbranch_execz .LBB105_115
; %bb.112:
	v_add_nc_u32_e32 v5, -1, v0
	v_add_nc_u32_e32 v6, 0x150, v3
	v_mov_b32_e32 v7, v3
	v_mov_b32_e32 v2, 0
	;; [unrolled: 1-line block ×3, first 2 shown]
	s_mov_b32 s5, 0
	.p2align	6
.LBB105_113:                            ; =>This Inner Loop Header: Depth=1
	s_clause 0x1
	buffer_load_dword v95, v7, s[0:3], 0 offen offset:4
	buffer_load_dword v96, v7, s[0:3], 0 offen
	ds_read_b64 v[93:94], v6
	v_add_nc_u32_e32 v5, 1, v5
	v_add_nc_u32_e32 v6, 8, v6
	;; [unrolled: 1-line block ×3, first 2 shown]
	v_cmp_lt_u32_e32 vcc_lo, 23, v5
	s_or_b32 s5, vcc_lo, s5
	s_waitcnt vmcnt(1) lgkmcnt(0)
	v_mul_f32_e32 v97, v94, v95
	v_mul_f32_e32 v95, v93, v95
	s_waitcnt vmcnt(0)
	v_fma_f32 v93, v93, v96, -v97
	v_fmac_f32_e32 v95, v94, v96
	v_add_f32_e32 v8, v8, v93
	v_add_f32_e32 v2, v2, v95
	s_andn2_b32 exec_lo, exec_lo, s5
	s_cbranch_execnz .LBB105_113
; %bb.114:
	s_or_b32 exec_lo, exec_lo, s5
	v_mov_b32_e32 v5, 0
	ds_read_b64 v[5:6], v5 offset:200
	s_waitcnt lgkmcnt(0)
	v_mul_f32_e32 v7, v2, v6
	v_mul_f32_e32 v6, v8, v6
	v_fma_f32 v7, v8, v5, -v7
	v_fmac_f32_e32 v6, v2, v5
	buffer_store_dword v7, off, s[0:3], 0 offset:200
	buffer_store_dword v6, off, s[0:3], 0 offset:204
.LBB105_115:
	s_or_b32 exec_lo, exec_lo, s4
	s_waitcnt_vscnt null, 0x0
	s_barrier
	buffer_gl0_inv
	s_clause 0x1
	buffer_load_dword v5, off, s[0:3], 0 offset:208
	buffer_load_dword v6, off, s[0:3], 0 offset:212
	s_mov_b32 s4, exec_lo
	s_waitcnt vmcnt(0)
	ds_write_b64 v4, v[5:6]
	s_waitcnt lgkmcnt(0)
	s_barrier
	buffer_gl0_inv
	v_cmpx_gt_u32_e32 26, v0
	s_cbranch_execz .LBB105_119
; %bb.116:
	v_add_nc_u32_e32 v5, -1, v0
	v_add_nc_u32_e32 v6, 0x150, v3
	v_mov_b32_e32 v7, v3
	v_mov_b32_e32 v2, 0
	;; [unrolled: 1-line block ×3, first 2 shown]
	s_mov_b32 s5, 0
	.p2align	6
.LBB105_117:                            ; =>This Inner Loop Header: Depth=1
	s_clause 0x1
	buffer_load_dword v95, v7, s[0:3], 0 offen offset:4
	buffer_load_dword v96, v7, s[0:3], 0 offen
	ds_read_b64 v[93:94], v6
	v_add_nc_u32_e32 v5, 1, v5
	v_add_nc_u32_e32 v6, 8, v6
	;; [unrolled: 1-line block ×3, first 2 shown]
	v_cmp_lt_u32_e32 vcc_lo, 24, v5
	s_or_b32 s5, vcc_lo, s5
	s_waitcnt vmcnt(1) lgkmcnt(0)
	v_mul_f32_e32 v97, v94, v95
	v_mul_f32_e32 v95, v93, v95
	s_waitcnt vmcnt(0)
	v_fma_f32 v93, v93, v96, -v97
	v_fmac_f32_e32 v95, v94, v96
	v_add_f32_e32 v8, v8, v93
	v_add_f32_e32 v2, v2, v95
	s_andn2_b32 exec_lo, exec_lo, s5
	s_cbranch_execnz .LBB105_117
; %bb.118:
	s_or_b32 exec_lo, exec_lo, s5
	v_mov_b32_e32 v5, 0
	ds_read_b64 v[5:6], v5 offset:208
	s_waitcnt lgkmcnt(0)
	v_mul_f32_e32 v7, v2, v6
	v_mul_f32_e32 v6, v8, v6
	v_fma_f32 v7, v8, v5, -v7
	v_fmac_f32_e32 v6, v2, v5
	buffer_store_dword v7, off, s[0:3], 0 offset:208
	buffer_store_dword v6, off, s[0:3], 0 offset:212
.LBB105_119:
	s_or_b32 exec_lo, exec_lo, s4
	s_waitcnt_vscnt null, 0x0
	s_barrier
	buffer_gl0_inv
	s_clause 0x1
	buffer_load_dword v5, off, s[0:3], 0 offset:216
	buffer_load_dword v6, off, s[0:3], 0 offset:220
	s_mov_b32 s4, exec_lo
	s_waitcnt vmcnt(0)
	ds_write_b64 v4, v[5:6]
	s_waitcnt lgkmcnt(0)
	s_barrier
	buffer_gl0_inv
	v_cmpx_gt_u32_e32 27, v0
	s_cbranch_execz .LBB105_123
; %bb.120:
	v_add_nc_u32_e32 v5, -1, v0
	v_add_nc_u32_e32 v6, 0x150, v3
	v_mov_b32_e32 v7, v3
	v_mov_b32_e32 v2, 0
	;; [unrolled: 1-line block ×3, first 2 shown]
	s_mov_b32 s5, 0
	.p2align	6
.LBB105_121:                            ; =>This Inner Loop Header: Depth=1
	s_clause 0x1
	buffer_load_dword v95, v7, s[0:3], 0 offen offset:4
	buffer_load_dword v96, v7, s[0:3], 0 offen
	ds_read_b64 v[93:94], v6
	v_add_nc_u32_e32 v5, 1, v5
	v_add_nc_u32_e32 v6, 8, v6
	;; [unrolled: 1-line block ×3, first 2 shown]
	v_cmp_lt_u32_e32 vcc_lo, 25, v5
	s_or_b32 s5, vcc_lo, s5
	s_waitcnt vmcnt(1) lgkmcnt(0)
	v_mul_f32_e32 v97, v94, v95
	v_mul_f32_e32 v95, v93, v95
	s_waitcnt vmcnt(0)
	v_fma_f32 v93, v93, v96, -v97
	v_fmac_f32_e32 v95, v94, v96
	v_add_f32_e32 v8, v8, v93
	v_add_f32_e32 v2, v2, v95
	s_andn2_b32 exec_lo, exec_lo, s5
	s_cbranch_execnz .LBB105_121
; %bb.122:
	s_or_b32 exec_lo, exec_lo, s5
	v_mov_b32_e32 v5, 0
	ds_read_b64 v[5:6], v5 offset:216
	s_waitcnt lgkmcnt(0)
	v_mul_f32_e32 v7, v2, v6
	v_mul_f32_e32 v6, v8, v6
	v_fma_f32 v7, v8, v5, -v7
	v_fmac_f32_e32 v6, v2, v5
	buffer_store_dword v7, off, s[0:3], 0 offset:216
	buffer_store_dword v6, off, s[0:3], 0 offset:220
.LBB105_123:
	s_or_b32 exec_lo, exec_lo, s4
	s_waitcnt_vscnt null, 0x0
	s_barrier
	buffer_gl0_inv
	s_clause 0x1
	buffer_load_dword v5, off, s[0:3], 0 offset:224
	buffer_load_dword v6, off, s[0:3], 0 offset:228
	s_mov_b32 s4, exec_lo
	s_waitcnt vmcnt(0)
	ds_write_b64 v4, v[5:6]
	s_waitcnt lgkmcnt(0)
	s_barrier
	buffer_gl0_inv
	v_cmpx_gt_u32_e32 28, v0
	s_cbranch_execz .LBB105_127
; %bb.124:
	v_add_nc_u32_e32 v5, -1, v0
	v_add_nc_u32_e32 v6, 0x150, v3
	v_mov_b32_e32 v7, v3
	v_mov_b32_e32 v2, 0
	;; [unrolled: 1-line block ×3, first 2 shown]
	s_mov_b32 s5, 0
	.p2align	6
.LBB105_125:                            ; =>This Inner Loop Header: Depth=1
	s_clause 0x1
	buffer_load_dword v95, v7, s[0:3], 0 offen offset:4
	buffer_load_dword v96, v7, s[0:3], 0 offen
	ds_read_b64 v[93:94], v6
	v_add_nc_u32_e32 v5, 1, v5
	v_add_nc_u32_e32 v6, 8, v6
	;; [unrolled: 1-line block ×3, first 2 shown]
	v_cmp_lt_u32_e32 vcc_lo, 26, v5
	s_or_b32 s5, vcc_lo, s5
	s_waitcnt vmcnt(1) lgkmcnt(0)
	v_mul_f32_e32 v97, v94, v95
	v_mul_f32_e32 v95, v93, v95
	s_waitcnt vmcnt(0)
	v_fma_f32 v93, v93, v96, -v97
	v_fmac_f32_e32 v95, v94, v96
	v_add_f32_e32 v8, v8, v93
	v_add_f32_e32 v2, v2, v95
	s_andn2_b32 exec_lo, exec_lo, s5
	s_cbranch_execnz .LBB105_125
; %bb.126:
	s_or_b32 exec_lo, exec_lo, s5
	v_mov_b32_e32 v5, 0
	ds_read_b64 v[5:6], v5 offset:224
	s_waitcnt lgkmcnt(0)
	v_mul_f32_e32 v7, v2, v6
	v_mul_f32_e32 v6, v8, v6
	v_fma_f32 v7, v8, v5, -v7
	v_fmac_f32_e32 v6, v2, v5
	buffer_store_dword v7, off, s[0:3], 0 offset:224
	buffer_store_dword v6, off, s[0:3], 0 offset:228
.LBB105_127:
	s_or_b32 exec_lo, exec_lo, s4
	s_waitcnt_vscnt null, 0x0
	s_barrier
	buffer_gl0_inv
	s_clause 0x1
	buffer_load_dword v5, off, s[0:3], 0 offset:232
	buffer_load_dword v6, off, s[0:3], 0 offset:236
	s_mov_b32 s4, exec_lo
	s_waitcnt vmcnt(0)
	ds_write_b64 v4, v[5:6]
	s_waitcnt lgkmcnt(0)
	s_barrier
	buffer_gl0_inv
	v_cmpx_gt_u32_e32 29, v0
	s_cbranch_execz .LBB105_131
; %bb.128:
	v_add_nc_u32_e32 v5, -1, v0
	v_add_nc_u32_e32 v6, 0x150, v3
	v_mov_b32_e32 v7, v3
	v_mov_b32_e32 v2, 0
	;; [unrolled: 1-line block ×3, first 2 shown]
	s_mov_b32 s5, 0
	.p2align	6
.LBB105_129:                            ; =>This Inner Loop Header: Depth=1
	s_clause 0x1
	buffer_load_dword v95, v7, s[0:3], 0 offen offset:4
	buffer_load_dword v96, v7, s[0:3], 0 offen
	ds_read_b64 v[93:94], v6
	v_add_nc_u32_e32 v5, 1, v5
	v_add_nc_u32_e32 v6, 8, v6
	;; [unrolled: 1-line block ×3, first 2 shown]
	v_cmp_lt_u32_e32 vcc_lo, 27, v5
	s_or_b32 s5, vcc_lo, s5
	s_waitcnt vmcnt(1) lgkmcnt(0)
	v_mul_f32_e32 v97, v94, v95
	v_mul_f32_e32 v95, v93, v95
	s_waitcnt vmcnt(0)
	v_fma_f32 v93, v93, v96, -v97
	v_fmac_f32_e32 v95, v94, v96
	v_add_f32_e32 v8, v8, v93
	v_add_f32_e32 v2, v2, v95
	s_andn2_b32 exec_lo, exec_lo, s5
	s_cbranch_execnz .LBB105_129
; %bb.130:
	s_or_b32 exec_lo, exec_lo, s5
	v_mov_b32_e32 v5, 0
	ds_read_b64 v[5:6], v5 offset:232
	s_waitcnt lgkmcnt(0)
	v_mul_f32_e32 v7, v2, v6
	v_mul_f32_e32 v6, v8, v6
	v_fma_f32 v7, v8, v5, -v7
	v_fmac_f32_e32 v6, v2, v5
	buffer_store_dword v7, off, s[0:3], 0 offset:232
	buffer_store_dword v6, off, s[0:3], 0 offset:236
.LBB105_131:
	s_or_b32 exec_lo, exec_lo, s4
	s_waitcnt_vscnt null, 0x0
	s_barrier
	buffer_gl0_inv
	s_clause 0x1
	buffer_load_dword v5, off, s[0:3], 0 offset:240
	buffer_load_dword v6, off, s[0:3], 0 offset:244
	s_mov_b32 s4, exec_lo
	s_waitcnt vmcnt(0)
	ds_write_b64 v4, v[5:6]
	s_waitcnt lgkmcnt(0)
	s_barrier
	buffer_gl0_inv
	v_cmpx_gt_u32_e32 30, v0
	s_cbranch_execz .LBB105_135
; %bb.132:
	v_add_nc_u32_e32 v5, -1, v0
	v_add_nc_u32_e32 v6, 0x150, v3
	v_mov_b32_e32 v7, v3
	v_mov_b32_e32 v2, 0
	;; [unrolled: 1-line block ×3, first 2 shown]
	s_mov_b32 s5, 0
	.p2align	6
.LBB105_133:                            ; =>This Inner Loop Header: Depth=1
	s_clause 0x1
	buffer_load_dword v95, v7, s[0:3], 0 offen offset:4
	buffer_load_dword v96, v7, s[0:3], 0 offen
	ds_read_b64 v[93:94], v6
	v_add_nc_u32_e32 v5, 1, v5
	v_add_nc_u32_e32 v6, 8, v6
	;; [unrolled: 1-line block ×3, first 2 shown]
	v_cmp_lt_u32_e32 vcc_lo, 28, v5
	s_or_b32 s5, vcc_lo, s5
	s_waitcnt vmcnt(1) lgkmcnt(0)
	v_mul_f32_e32 v97, v94, v95
	v_mul_f32_e32 v95, v93, v95
	s_waitcnt vmcnt(0)
	v_fma_f32 v93, v93, v96, -v97
	v_fmac_f32_e32 v95, v94, v96
	v_add_f32_e32 v8, v8, v93
	v_add_f32_e32 v2, v2, v95
	s_andn2_b32 exec_lo, exec_lo, s5
	s_cbranch_execnz .LBB105_133
; %bb.134:
	s_or_b32 exec_lo, exec_lo, s5
	v_mov_b32_e32 v5, 0
	ds_read_b64 v[5:6], v5 offset:240
	s_waitcnt lgkmcnt(0)
	v_mul_f32_e32 v7, v2, v6
	v_mul_f32_e32 v6, v8, v6
	v_fma_f32 v7, v8, v5, -v7
	v_fmac_f32_e32 v6, v2, v5
	buffer_store_dword v7, off, s[0:3], 0 offset:240
	buffer_store_dword v6, off, s[0:3], 0 offset:244
.LBB105_135:
	s_or_b32 exec_lo, exec_lo, s4
	s_waitcnt_vscnt null, 0x0
	s_barrier
	buffer_gl0_inv
	s_clause 0x1
	buffer_load_dword v5, off, s[0:3], 0 offset:248
	buffer_load_dword v6, off, s[0:3], 0 offset:252
	s_mov_b32 s4, exec_lo
	s_waitcnt vmcnt(0)
	ds_write_b64 v4, v[5:6]
	s_waitcnt lgkmcnt(0)
	s_barrier
	buffer_gl0_inv
	v_cmpx_gt_u32_e32 31, v0
	s_cbranch_execz .LBB105_139
; %bb.136:
	v_add_nc_u32_e32 v5, -1, v0
	v_add_nc_u32_e32 v6, 0x150, v3
	v_mov_b32_e32 v7, v3
	v_mov_b32_e32 v2, 0
	;; [unrolled: 1-line block ×3, first 2 shown]
	s_mov_b32 s5, 0
	.p2align	6
.LBB105_137:                            ; =>This Inner Loop Header: Depth=1
	s_clause 0x1
	buffer_load_dword v95, v7, s[0:3], 0 offen offset:4
	buffer_load_dword v96, v7, s[0:3], 0 offen
	ds_read_b64 v[93:94], v6
	v_add_nc_u32_e32 v5, 1, v5
	v_add_nc_u32_e32 v6, 8, v6
	;; [unrolled: 1-line block ×3, first 2 shown]
	v_cmp_lt_u32_e32 vcc_lo, 29, v5
	s_or_b32 s5, vcc_lo, s5
	s_waitcnt vmcnt(1) lgkmcnt(0)
	v_mul_f32_e32 v97, v94, v95
	v_mul_f32_e32 v95, v93, v95
	s_waitcnt vmcnt(0)
	v_fma_f32 v93, v93, v96, -v97
	v_fmac_f32_e32 v95, v94, v96
	v_add_f32_e32 v8, v8, v93
	v_add_f32_e32 v2, v2, v95
	s_andn2_b32 exec_lo, exec_lo, s5
	s_cbranch_execnz .LBB105_137
; %bb.138:
	s_or_b32 exec_lo, exec_lo, s5
	v_mov_b32_e32 v5, 0
	ds_read_b64 v[5:6], v5 offset:248
	s_waitcnt lgkmcnt(0)
	v_mul_f32_e32 v7, v2, v6
	v_mul_f32_e32 v6, v8, v6
	v_fma_f32 v7, v8, v5, -v7
	v_fmac_f32_e32 v6, v2, v5
	buffer_store_dword v7, off, s[0:3], 0 offset:248
	buffer_store_dword v6, off, s[0:3], 0 offset:252
.LBB105_139:
	s_or_b32 exec_lo, exec_lo, s4
	s_waitcnt_vscnt null, 0x0
	s_barrier
	buffer_gl0_inv
	s_clause 0x1
	buffer_load_dword v5, off, s[0:3], 0 offset:256
	buffer_load_dword v6, off, s[0:3], 0 offset:260
	s_mov_b32 s4, exec_lo
	s_waitcnt vmcnt(0)
	ds_write_b64 v4, v[5:6]
	s_waitcnt lgkmcnt(0)
	s_barrier
	buffer_gl0_inv
	v_cmpx_gt_u32_e32 32, v0
	s_cbranch_execz .LBB105_143
; %bb.140:
	v_add_nc_u32_e32 v5, -1, v0
	v_add_nc_u32_e32 v6, 0x150, v3
	v_mov_b32_e32 v7, v3
	v_mov_b32_e32 v2, 0
	;; [unrolled: 1-line block ×3, first 2 shown]
	s_mov_b32 s5, 0
	.p2align	6
.LBB105_141:                            ; =>This Inner Loop Header: Depth=1
	s_clause 0x1
	buffer_load_dword v95, v7, s[0:3], 0 offen offset:4
	buffer_load_dword v96, v7, s[0:3], 0 offen
	ds_read_b64 v[93:94], v6
	v_add_nc_u32_e32 v5, 1, v5
	v_add_nc_u32_e32 v6, 8, v6
	;; [unrolled: 1-line block ×3, first 2 shown]
	v_cmp_lt_u32_e32 vcc_lo, 30, v5
	s_or_b32 s5, vcc_lo, s5
	s_waitcnt vmcnt(1) lgkmcnt(0)
	v_mul_f32_e32 v97, v94, v95
	v_mul_f32_e32 v95, v93, v95
	s_waitcnt vmcnt(0)
	v_fma_f32 v93, v93, v96, -v97
	v_fmac_f32_e32 v95, v94, v96
	v_add_f32_e32 v8, v8, v93
	v_add_f32_e32 v2, v2, v95
	s_andn2_b32 exec_lo, exec_lo, s5
	s_cbranch_execnz .LBB105_141
; %bb.142:
	s_or_b32 exec_lo, exec_lo, s5
	v_mov_b32_e32 v5, 0
	ds_read_b64 v[5:6], v5 offset:256
	s_waitcnt lgkmcnt(0)
	v_mul_f32_e32 v7, v2, v6
	v_mul_f32_e32 v6, v8, v6
	v_fma_f32 v7, v8, v5, -v7
	v_fmac_f32_e32 v6, v2, v5
	buffer_store_dword v7, off, s[0:3], 0 offset:256
	buffer_store_dword v6, off, s[0:3], 0 offset:260
.LBB105_143:
	s_or_b32 exec_lo, exec_lo, s4
	s_waitcnt_vscnt null, 0x0
	s_barrier
	buffer_gl0_inv
	s_clause 0x1
	buffer_load_dword v5, off, s[0:3], 0 offset:264
	buffer_load_dword v6, off, s[0:3], 0 offset:268
	s_mov_b32 s4, exec_lo
	s_waitcnt vmcnt(0)
	ds_write_b64 v4, v[5:6]
	s_waitcnt lgkmcnt(0)
	s_barrier
	buffer_gl0_inv
	v_cmpx_gt_u32_e32 33, v0
	s_cbranch_execz .LBB105_147
; %bb.144:
	v_add_nc_u32_e32 v5, -1, v0
	v_add_nc_u32_e32 v6, 0x150, v3
	v_mov_b32_e32 v7, v3
	v_mov_b32_e32 v2, 0
	;; [unrolled: 1-line block ×3, first 2 shown]
	s_mov_b32 s5, 0
	.p2align	6
.LBB105_145:                            ; =>This Inner Loop Header: Depth=1
	s_clause 0x1
	buffer_load_dword v95, v7, s[0:3], 0 offen offset:4
	buffer_load_dword v96, v7, s[0:3], 0 offen
	ds_read_b64 v[93:94], v6
	v_add_nc_u32_e32 v5, 1, v5
	v_add_nc_u32_e32 v6, 8, v6
	;; [unrolled: 1-line block ×3, first 2 shown]
	v_cmp_lt_u32_e32 vcc_lo, 31, v5
	s_or_b32 s5, vcc_lo, s5
	s_waitcnt vmcnt(1) lgkmcnt(0)
	v_mul_f32_e32 v97, v94, v95
	v_mul_f32_e32 v95, v93, v95
	s_waitcnt vmcnt(0)
	v_fma_f32 v93, v93, v96, -v97
	v_fmac_f32_e32 v95, v94, v96
	v_add_f32_e32 v8, v8, v93
	v_add_f32_e32 v2, v2, v95
	s_andn2_b32 exec_lo, exec_lo, s5
	s_cbranch_execnz .LBB105_145
; %bb.146:
	s_or_b32 exec_lo, exec_lo, s5
	v_mov_b32_e32 v5, 0
	ds_read_b64 v[5:6], v5 offset:264
	s_waitcnt lgkmcnt(0)
	v_mul_f32_e32 v7, v2, v6
	v_mul_f32_e32 v6, v8, v6
	v_fma_f32 v7, v8, v5, -v7
	v_fmac_f32_e32 v6, v2, v5
	buffer_store_dword v7, off, s[0:3], 0 offset:264
	buffer_store_dword v6, off, s[0:3], 0 offset:268
.LBB105_147:
	s_or_b32 exec_lo, exec_lo, s4
	s_waitcnt_vscnt null, 0x0
	s_barrier
	buffer_gl0_inv
	s_clause 0x1
	buffer_load_dword v5, off, s[0:3], 0 offset:272
	buffer_load_dword v6, off, s[0:3], 0 offset:276
	s_mov_b32 s4, exec_lo
	s_waitcnt vmcnt(0)
	ds_write_b64 v4, v[5:6]
	s_waitcnt lgkmcnt(0)
	s_barrier
	buffer_gl0_inv
	v_cmpx_gt_u32_e32 34, v0
	s_cbranch_execz .LBB105_151
; %bb.148:
	v_add_nc_u32_e32 v5, -1, v0
	v_add_nc_u32_e32 v6, 0x150, v3
	v_mov_b32_e32 v7, v3
	v_mov_b32_e32 v2, 0
	v_mov_b32_e32 v8, 0
	s_mov_b32 s5, 0
	.p2align	6
.LBB105_149:                            ; =>This Inner Loop Header: Depth=1
	s_clause 0x1
	buffer_load_dword v95, v7, s[0:3], 0 offen offset:4
	buffer_load_dword v96, v7, s[0:3], 0 offen
	ds_read_b64 v[93:94], v6
	v_add_nc_u32_e32 v5, 1, v5
	v_add_nc_u32_e32 v6, 8, v6
	;; [unrolled: 1-line block ×3, first 2 shown]
	v_cmp_lt_u32_e32 vcc_lo, 32, v5
	s_or_b32 s5, vcc_lo, s5
	s_waitcnt vmcnt(1) lgkmcnt(0)
	v_mul_f32_e32 v97, v94, v95
	v_mul_f32_e32 v95, v93, v95
	s_waitcnt vmcnt(0)
	v_fma_f32 v93, v93, v96, -v97
	v_fmac_f32_e32 v95, v94, v96
	v_add_f32_e32 v8, v8, v93
	v_add_f32_e32 v2, v2, v95
	s_andn2_b32 exec_lo, exec_lo, s5
	s_cbranch_execnz .LBB105_149
; %bb.150:
	s_or_b32 exec_lo, exec_lo, s5
	v_mov_b32_e32 v5, 0
	ds_read_b64 v[5:6], v5 offset:272
	s_waitcnt lgkmcnt(0)
	v_mul_f32_e32 v7, v2, v6
	v_mul_f32_e32 v6, v8, v6
	v_fma_f32 v7, v8, v5, -v7
	v_fmac_f32_e32 v6, v2, v5
	buffer_store_dword v7, off, s[0:3], 0 offset:272
	buffer_store_dword v6, off, s[0:3], 0 offset:276
.LBB105_151:
	s_or_b32 exec_lo, exec_lo, s4
	s_waitcnt_vscnt null, 0x0
	s_barrier
	buffer_gl0_inv
	s_clause 0x1
	buffer_load_dword v5, off, s[0:3], 0 offset:280
	buffer_load_dword v6, off, s[0:3], 0 offset:284
	s_mov_b32 s4, exec_lo
	s_waitcnt vmcnt(0)
	ds_write_b64 v4, v[5:6]
	s_waitcnt lgkmcnt(0)
	s_barrier
	buffer_gl0_inv
	v_cmpx_gt_u32_e32 35, v0
	s_cbranch_execz .LBB105_155
; %bb.152:
	v_add_nc_u32_e32 v5, -1, v0
	v_add_nc_u32_e32 v6, 0x150, v3
	v_mov_b32_e32 v7, v3
	v_mov_b32_e32 v2, 0
	;; [unrolled: 1-line block ×3, first 2 shown]
	s_mov_b32 s5, 0
	.p2align	6
.LBB105_153:                            ; =>This Inner Loop Header: Depth=1
	s_clause 0x1
	buffer_load_dword v95, v7, s[0:3], 0 offen offset:4
	buffer_load_dword v96, v7, s[0:3], 0 offen
	ds_read_b64 v[93:94], v6
	v_add_nc_u32_e32 v5, 1, v5
	v_add_nc_u32_e32 v6, 8, v6
	;; [unrolled: 1-line block ×3, first 2 shown]
	v_cmp_lt_u32_e32 vcc_lo, 33, v5
	s_or_b32 s5, vcc_lo, s5
	s_waitcnt vmcnt(1) lgkmcnt(0)
	v_mul_f32_e32 v97, v94, v95
	v_mul_f32_e32 v95, v93, v95
	s_waitcnt vmcnt(0)
	v_fma_f32 v93, v93, v96, -v97
	v_fmac_f32_e32 v95, v94, v96
	v_add_f32_e32 v8, v8, v93
	v_add_f32_e32 v2, v2, v95
	s_andn2_b32 exec_lo, exec_lo, s5
	s_cbranch_execnz .LBB105_153
; %bb.154:
	s_or_b32 exec_lo, exec_lo, s5
	v_mov_b32_e32 v5, 0
	ds_read_b64 v[5:6], v5 offset:280
	s_waitcnt lgkmcnt(0)
	v_mul_f32_e32 v7, v2, v6
	v_mul_f32_e32 v6, v8, v6
	v_fma_f32 v7, v8, v5, -v7
	v_fmac_f32_e32 v6, v2, v5
	buffer_store_dword v7, off, s[0:3], 0 offset:280
	buffer_store_dword v6, off, s[0:3], 0 offset:284
.LBB105_155:
	s_or_b32 exec_lo, exec_lo, s4
	s_waitcnt_vscnt null, 0x0
	s_barrier
	buffer_gl0_inv
	s_clause 0x1
	buffer_load_dword v5, off, s[0:3], 0 offset:288
	buffer_load_dword v6, off, s[0:3], 0 offset:292
	s_mov_b32 s4, exec_lo
	s_waitcnt vmcnt(0)
	ds_write_b64 v4, v[5:6]
	s_waitcnt lgkmcnt(0)
	s_barrier
	buffer_gl0_inv
	v_cmpx_gt_u32_e32 36, v0
	s_cbranch_execz .LBB105_159
; %bb.156:
	v_add_nc_u32_e32 v5, -1, v0
	v_add_nc_u32_e32 v6, 0x150, v3
	v_mov_b32_e32 v7, v3
	v_mov_b32_e32 v2, 0
	;; [unrolled: 1-line block ×3, first 2 shown]
	s_mov_b32 s5, 0
	.p2align	6
.LBB105_157:                            ; =>This Inner Loop Header: Depth=1
	s_clause 0x1
	buffer_load_dword v95, v7, s[0:3], 0 offen offset:4
	buffer_load_dword v96, v7, s[0:3], 0 offen
	ds_read_b64 v[93:94], v6
	v_add_nc_u32_e32 v5, 1, v5
	v_add_nc_u32_e32 v6, 8, v6
	v_add_nc_u32_e32 v7, 8, v7
	v_cmp_lt_u32_e32 vcc_lo, 34, v5
	s_or_b32 s5, vcc_lo, s5
	s_waitcnt vmcnt(1) lgkmcnt(0)
	v_mul_f32_e32 v97, v94, v95
	v_mul_f32_e32 v95, v93, v95
	s_waitcnt vmcnt(0)
	v_fma_f32 v93, v93, v96, -v97
	v_fmac_f32_e32 v95, v94, v96
	v_add_f32_e32 v8, v8, v93
	v_add_f32_e32 v2, v2, v95
	s_andn2_b32 exec_lo, exec_lo, s5
	s_cbranch_execnz .LBB105_157
; %bb.158:
	s_or_b32 exec_lo, exec_lo, s5
	v_mov_b32_e32 v5, 0
	ds_read_b64 v[5:6], v5 offset:288
	s_waitcnt lgkmcnt(0)
	v_mul_f32_e32 v7, v2, v6
	v_mul_f32_e32 v6, v8, v6
	v_fma_f32 v7, v8, v5, -v7
	v_fmac_f32_e32 v6, v2, v5
	buffer_store_dword v7, off, s[0:3], 0 offset:288
	buffer_store_dword v6, off, s[0:3], 0 offset:292
.LBB105_159:
	s_or_b32 exec_lo, exec_lo, s4
	s_waitcnt_vscnt null, 0x0
	s_barrier
	buffer_gl0_inv
	s_clause 0x1
	buffer_load_dword v5, off, s[0:3], 0 offset:296
	buffer_load_dword v6, off, s[0:3], 0 offset:300
	s_mov_b32 s4, exec_lo
	s_waitcnt vmcnt(0)
	ds_write_b64 v4, v[5:6]
	s_waitcnt lgkmcnt(0)
	s_barrier
	buffer_gl0_inv
	v_cmpx_gt_u32_e32 37, v0
	s_cbranch_execz .LBB105_163
; %bb.160:
	v_add_nc_u32_e32 v5, -1, v0
	v_add_nc_u32_e32 v6, 0x150, v3
	v_mov_b32_e32 v7, v3
	v_mov_b32_e32 v2, 0
	;; [unrolled: 1-line block ×3, first 2 shown]
	s_mov_b32 s5, 0
	.p2align	6
.LBB105_161:                            ; =>This Inner Loop Header: Depth=1
	s_clause 0x1
	buffer_load_dword v95, v7, s[0:3], 0 offen offset:4
	buffer_load_dword v96, v7, s[0:3], 0 offen
	ds_read_b64 v[93:94], v6
	v_add_nc_u32_e32 v5, 1, v5
	v_add_nc_u32_e32 v6, 8, v6
	;; [unrolled: 1-line block ×3, first 2 shown]
	v_cmp_lt_u32_e32 vcc_lo, 35, v5
	s_or_b32 s5, vcc_lo, s5
	s_waitcnt vmcnt(1) lgkmcnt(0)
	v_mul_f32_e32 v97, v94, v95
	v_mul_f32_e32 v95, v93, v95
	s_waitcnt vmcnt(0)
	v_fma_f32 v93, v93, v96, -v97
	v_fmac_f32_e32 v95, v94, v96
	v_add_f32_e32 v8, v8, v93
	v_add_f32_e32 v2, v2, v95
	s_andn2_b32 exec_lo, exec_lo, s5
	s_cbranch_execnz .LBB105_161
; %bb.162:
	s_or_b32 exec_lo, exec_lo, s5
	v_mov_b32_e32 v5, 0
	ds_read_b64 v[5:6], v5 offset:296
	s_waitcnt lgkmcnt(0)
	v_mul_f32_e32 v7, v2, v6
	v_mul_f32_e32 v6, v8, v6
	v_fma_f32 v7, v8, v5, -v7
	v_fmac_f32_e32 v6, v2, v5
	buffer_store_dword v7, off, s[0:3], 0 offset:296
	buffer_store_dword v6, off, s[0:3], 0 offset:300
.LBB105_163:
	s_or_b32 exec_lo, exec_lo, s4
	s_waitcnt_vscnt null, 0x0
	s_barrier
	buffer_gl0_inv
	s_clause 0x1
	buffer_load_dword v5, off, s[0:3], 0 offset:304
	buffer_load_dword v6, off, s[0:3], 0 offset:308
	s_mov_b32 s4, exec_lo
	s_waitcnt vmcnt(0)
	ds_write_b64 v4, v[5:6]
	s_waitcnt lgkmcnt(0)
	s_barrier
	buffer_gl0_inv
	v_cmpx_gt_u32_e32 38, v0
	s_cbranch_execz .LBB105_167
; %bb.164:
	v_add_nc_u32_e32 v5, -1, v0
	v_add_nc_u32_e32 v6, 0x150, v3
	v_mov_b32_e32 v7, v3
	v_mov_b32_e32 v2, 0
	v_mov_b32_e32 v8, 0
	s_mov_b32 s5, 0
	.p2align	6
.LBB105_165:                            ; =>This Inner Loop Header: Depth=1
	s_clause 0x1
	buffer_load_dword v95, v7, s[0:3], 0 offen offset:4
	buffer_load_dword v96, v7, s[0:3], 0 offen
	ds_read_b64 v[93:94], v6
	v_add_nc_u32_e32 v5, 1, v5
	v_add_nc_u32_e32 v6, 8, v6
	;; [unrolled: 1-line block ×3, first 2 shown]
	v_cmp_lt_u32_e32 vcc_lo, 36, v5
	s_or_b32 s5, vcc_lo, s5
	s_waitcnt vmcnt(1) lgkmcnt(0)
	v_mul_f32_e32 v97, v94, v95
	v_mul_f32_e32 v95, v93, v95
	s_waitcnt vmcnt(0)
	v_fma_f32 v93, v93, v96, -v97
	v_fmac_f32_e32 v95, v94, v96
	v_add_f32_e32 v8, v8, v93
	v_add_f32_e32 v2, v2, v95
	s_andn2_b32 exec_lo, exec_lo, s5
	s_cbranch_execnz .LBB105_165
; %bb.166:
	s_or_b32 exec_lo, exec_lo, s5
	v_mov_b32_e32 v5, 0
	ds_read_b64 v[5:6], v5 offset:304
	s_waitcnt lgkmcnt(0)
	v_mul_f32_e32 v7, v2, v6
	v_mul_f32_e32 v6, v8, v6
	v_fma_f32 v7, v8, v5, -v7
	v_fmac_f32_e32 v6, v2, v5
	buffer_store_dword v7, off, s[0:3], 0 offset:304
	buffer_store_dword v6, off, s[0:3], 0 offset:308
.LBB105_167:
	s_or_b32 exec_lo, exec_lo, s4
	s_waitcnt_vscnt null, 0x0
	s_barrier
	buffer_gl0_inv
	s_clause 0x1
	buffer_load_dword v5, off, s[0:3], 0 offset:312
	buffer_load_dword v6, off, s[0:3], 0 offset:316
	s_mov_b32 s4, exec_lo
	s_waitcnt vmcnt(0)
	ds_write_b64 v4, v[5:6]
	s_waitcnt lgkmcnt(0)
	s_barrier
	buffer_gl0_inv
	v_cmpx_gt_u32_e32 39, v0
	s_cbranch_execz .LBB105_171
; %bb.168:
	v_add_nc_u32_e32 v5, -1, v0
	v_add_nc_u32_e32 v6, 0x150, v3
	v_mov_b32_e32 v7, v3
	v_mov_b32_e32 v2, 0
	;; [unrolled: 1-line block ×3, first 2 shown]
	s_mov_b32 s5, 0
	.p2align	6
.LBB105_169:                            ; =>This Inner Loop Header: Depth=1
	s_clause 0x1
	buffer_load_dword v95, v7, s[0:3], 0 offen offset:4
	buffer_load_dword v96, v7, s[0:3], 0 offen
	ds_read_b64 v[93:94], v6
	v_add_nc_u32_e32 v5, 1, v5
	v_add_nc_u32_e32 v6, 8, v6
	;; [unrolled: 1-line block ×3, first 2 shown]
	v_cmp_lt_u32_e32 vcc_lo, 37, v5
	s_or_b32 s5, vcc_lo, s5
	s_waitcnt vmcnt(1) lgkmcnt(0)
	v_mul_f32_e32 v97, v94, v95
	v_mul_f32_e32 v95, v93, v95
	s_waitcnt vmcnt(0)
	v_fma_f32 v93, v93, v96, -v97
	v_fmac_f32_e32 v95, v94, v96
	v_add_f32_e32 v8, v8, v93
	v_add_f32_e32 v2, v2, v95
	s_andn2_b32 exec_lo, exec_lo, s5
	s_cbranch_execnz .LBB105_169
; %bb.170:
	s_or_b32 exec_lo, exec_lo, s5
	v_mov_b32_e32 v5, 0
	ds_read_b64 v[5:6], v5 offset:312
	s_waitcnt lgkmcnt(0)
	v_mul_f32_e32 v7, v2, v6
	v_mul_f32_e32 v6, v8, v6
	v_fma_f32 v7, v8, v5, -v7
	v_fmac_f32_e32 v6, v2, v5
	buffer_store_dword v7, off, s[0:3], 0 offset:312
	buffer_store_dword v6, off, s[0:3], 0 offset:316
.LBB105_171:
	s_or_b32 exec_lo, exec_lo, s4
	s_waitcnt_vscnt null, 0x0
	s_barrier
	buffer_gl0_inv
	s_clause 0x1
	buffer_load_dword v5, off, s[0:3], 0 offset:320
	buffer_load_dword v6, off, s[0:3], 0 offset:324
	s_mov_b32 s4, exec_lo
	s_waitcnt vmcnt(0)
	ds_write_b64 v4, v[5:6]
	s_waitcnt lgkmcnt(0)
	s_barrier
	buffer_gl0_inv
	v_cmpx_gt_u32_e32 40, v0
	s_cbranch_execz .LBB105_175
; %bb.172:
	v_add_nc_u32_e32 v5, -1, v0
	v_add_nc_u32_e32 v6, 0x150, v3
	v_mov_b32_e32 v7, v3
	v_mov_b32_e32 v2, 0
	;; [unrolled: 1-line block ×3, first 2 shown]
	s_mov_b32 s5, 0
	.p2align	6
.LBB105_173:                            ; =>This Inner Loop Header: Depth=1
	s_clause 0x1
	buffer_load_dword v95, v7, s[0:3], 0 offen offset:4
	buffer_load_dword v96, v7, s[0:3], 0 offen
	ds_read_b64 v[93:94], v6
	v_add_nc_u32_e32 v5, 1, v5
	v_add_nc_u32_e32 v6, 8, v6
	;; [unrolled: 1-line block ×3, first 2 shown]
	v_cmp_lt_u32_e32 vcc_lo, 38, v5
	s_or_b32 s5, vcc_lo, s5
	s_waitcnt vmcnt(1) lgkmcnt(0)
	v_mul_f32_e32 v97, v94, v95
	v_mul_f32_e32 v95, v93, v95
	s_waitcnt vmcnt(0)
	v_fma_f32 v93, v93, v96, -v97
	v_fmac_f32_e32 v95, v94, v96
	v_add_f32_e32 v8, v8, v93
	v_add_f32_e32 v2, v2, v95
	s_andn2_b32 exec_lo, exec_lo, s5
	s_cbranch_execnz .LBB105_173
; %bb.174:
	s_or_b32 exec_lo, exec_lo, s5
	v_mov_b32_e32 v5, 0
	ds_read_b64 v[5:6], v5 offset:320
	s_waitcnt lgkmcnt(0)
	v_mul_f32_e32 v7, v2, v6
	v_mul_f32_e32 v6, v8, v6
	v_fma_f32 v7, v8, v5, -v7
	v_fmac_f32_e32 v6, v2, v5
	buffer_store_dword v7, off, s[0:3], 0 offset:320
	buffer_store_dword v6, off, s[0:3], 0 offset:324
.LBB105_175:
	s_or_b32 exec_lo, exec_lo, s4
	s_waitcnt_vscnt null, 0x0
	s_barrier
	buffer_gl0_inv
	s_clause 0x1
	buffer_load_dword v5, off, s[0:3], 0 offset:328
	buffer_load_dword v6, off, s[0:3], 0 offset:332
	s_mov_b32 s4, exec_lo
	s_waitcnt vmcnt(0)
	ds_write_b64 v4, v[5:6]
	s_waitcnt lgkmcnt(0)
	s_barrier
	buffer_gl0_inv
	v_cmpx_ne_u32_e32 41, v0
	s_cbranch_execz .LBB105_179
; %bb.176:
	v_mov_b32_e32 v2, 0
	v_mov_b32_e32 v5, 0
	s_mov_b32 s5, 0
	.p2align	6
.LBB105_177:                            ; =>This Inner Loop Header: Depth=1
	s_clause 0x1
	buffer_load_dword v8, v3, s[0:3], 0 offen offset:4
	buffer_load_dword v93, v3, s[0:3], 0 offen
	ds_read_b64 v[6:7], v4
	v_add_nc_u32_e32 v1, 1, v1
	v_add_nc_u32_e32 v4, 8, v4
	;; [unrolled: 1-line block ×3, first 2 shown]
	v_cmp_lt_u32_e32 vcc_lo, 39, v1
	s_or_b32 s5, vcc_lo, s5
	s_waitcnt vmcnt(1) lgkmcnt(0)
	v_mul_f32_e32 v94, v7, v8
	v_mul_f32_e32 v8, v6, v8
	s_waitcnt vmcnt(0)
	v_fma_f32 v6, v6, v93, -v94
	v_fmac_f32_e32 v8, v7, v93
	v_add_f32_e32 v5, v5, v6
	v_add_f32_e32 v2, v2, v8
	s_andn2_b32 exec_lo, exec_lo, s5
	s_cbranch_execnz .LBB105_177
; %bb.178:
	s_or_b32 exec_lo, exec_lo, s5
	v_mov_b32_e32 v1, 0
	ds_read_b64 v[3:4], v1 offset:328
	s_waitcnt lgkmcnt(0)
	v_mul_f32_e32 v1, v2, v4
	v_mul_f32_e32 v4, v5, v4
	v_fma_f32 v1, v5, v3, -v1
	v_fmac_f32_e32 v4, v2, v3
	buffer_store_dword v1, off, s[0:3], 0 offset:328
	buffer_store_dword v4, off, s[0:3], 0 offset:332
.LBB105_179:
	s_or_b32 exec_lo, exec_lo, s4
	s_mov_b32 s5, -1
	s_waitcnt_vscnt null, 0x0
	s_barrier
	buffer_gl0_inv
.LBB105_180:
	s_and_b32 vcc_lo, exec_lo, s5
	s_cbranch_vccz .LBB105_182
; %bb.181:
	s_lshl_b64 s[4:5], s[6:7], 2
	v_mov_b32_e32 v1, 0
	s_add_u32 s4, s10, s4
	s_addc_u32 s5, s11, s5
	global_load_dword v1, v1, s[4:5]
	s_waitcnt vmcnt(0)
	v_cmp_ne_u32_e32 vcc_lo, 0, v1
	s_cbranch_vccz .LBB105_183
.LBB105_182:
	s_endpgm
.LBB105_183:
	v_lshl_add_u32 v93, v0, 3, 0x150
	s_mov_b32 s4, exec_lo
	v_cmpx_eq_u32_e32 41, v0
	s_cbranch_execz .LBB105_185
; %bb.184:
	s_clause 0x1
	buffer_load_dword v1, off, s[0:3], 0 offset:320
	buffer_load_dword v2, off, s[0:3], 0 offset:324
	v_mov_b32_e32 v3, 0
	buffer_store_dword v3, off, s[0:3], 0 offset:320
	buffer_store_dword v3, off, s[0:3], 0 offset:324
	s_waitcnt vmcnt(0)
	ds_write_b64 v93, v[1:2]
.LBB105_185:
	s_or_b32 exec_lo, exec_lo, s4
	s_waitcnt lgkmcnt(0)
	s_waitcnt_vscnt null, 0x0
	s_barrier
	buffer_gl0_inv
	s_clause 0x3
	buffer_load_dword v4, off, s[0:3], 0 offset:332
	buffer_load_dword v5, off, s[0:3], 0 offset:328
	;; [unrolled: 1-line block ×4, first 2 shown]
	v_mov_b32_e32 v1, 0
	s_mov_b32 s4, exec_lo
	ds_read_b64 v[2:3], v1 offset:664
	s_waitcnt vmcnt(3) lgkmcnt(0)
	v_mul_f32_e32 v8, v3, v4
	v_mul_f32_e32 v4, v2, v4
	s_waitcnt vmcnt(2)
	v_fma_f32 v2, v2, v5, -v8
	v_fmac_f32_e32 v4, v3, v5
	v_add_f32_e32 v2, 0, v2
	v_add_f32_e32 v3, 0, v4
	s_waitcnt vmcnt(1)
	v_sub_f32_e32 v2, v6, v2
	s_waitcnt vmcnt(0)
	v_sub_f32_e32 v3, v7, v3
	buffer_store_dword v2, off, s[0:3], 0 offset:320
	buffer_store_dword v3, off, s[0:3], 0 offset:324
	v_cmpx_lt_u32_e32 39, v0
	s_cbranch_execz .LBB105_187
; %bb.186:
	s_clause 0x1
	buffer_load_dword v2, off, s[0:3], 0 offset:312
	buffer_load_dword v3, off, s[0:3], 0 offset:316
	buffer_store_dword v1, off, s[0:3], 0 offset:312
	buffer_store_dword v1, off, s[0:3], 0 offset:316
	s_waitcnt vmcnt(0)
	ds_write_b64 v93, v[2:3]
.LBB105_187:
	s_or_b32 exec_lo, exec_lo, s4
	s_waitcnt lgkmcnt(0)
	s_waitcnt_vscnt null, 0x0
	s_barrier
	buffer_gl0_inv
	s_clause 0x5
	buffer_load_dword v5, off, s[0:3], 0 offset:324
	buffer_load_dword v6, off, s[0:3], 0 offset:332
	;; [unrolled: 1-line block ×6, first 2 shown]
	ds_read_b128 v[1:4], v1 offset:656
	s_mov_b32 s4, exec_lo
	s_waitcnt vmcnt(5) lgkmcnt(0)
	v_mul_f32_e32 v96, v2, v5
	v_mul_f32_e32 v5, v1, v5
	s_waitcnt vmcnt(4)
	v_mul_f32_e32 v97, v3, v6
	v_mul_f32_e32 v6, v4, v6
	s_waitcnt vmcnt(3)
	v_fma_f32 v1, v1, v7, -v96
	v_fmac_f32_e32 v5, v2, v7
	s_waitcnt vmcnt(2)
	v_fmac_f32_e32 v97, v4, v8
	v_fma_f32 v2, v3, v8, -v6
	v_add_f32_e32 v1, 0, v1
	v_add_f32_e32 v3, 0, v5
	;; [unrolled: 1-line block ×4, first 2 shown]
	s_waitcnt vmcnt(1)
	v_sub_f32_e32 v1, v94, v1
	s_waitcnt vmcnt(0)
	v_sub_f32_e32 v2, v95, v2
	buffer_store_dword v1, off, s[0:3], 0 offset:312
	buffer_store_dword v2, off, s[0:3], 0 offset:316
	v_cmpx_lt_u32_e32 38, v0
	s_cbranch_execz .LBB105_189
; %bb.188:
	s_clause 0x1
	buffer_load_dword v1, off, s[0:3], 0 offset:304
	buffer_load_dword v2, off, s[0:3], 0 offset:308
	v_mov_b32_e32 v3, 0
	buffer_store_dword v3, off, s[0:3], 0 offset:304
	buffer_store_dword v3, off, s[0:3], 0 offset:308
	s_waitcnt vmcnt(0)
	ds_write_b64 v93, v[1:2]
.LBB105_189:
	s_or_b32 exec_lo, exec_lo, s4
	s_waitcnt lgkmcnt(0)
	s_waitcnt_vscnt null, 0x0
	s_barrier
	buffer_gl0_inv
	s_clause 0x7
	buffer_load_dword v8, off, s[0:3], 0 offset:316
	buffer_load_dword v94, off, s[0:3], 0 offset:324
	;; [unrolled: 1-line block ×8, first 2 shown]
	v_mov_b32_e32 v1, 0
	ds_read2_b64 v[2:5], v1 offset0:81 offset1:82
	ds_read_b64 v[6:7], v1 offset:664
	s_mov_b32 s4, exec_lo
	s_waitcnt vmcnt(7) lgkmcnt(1)
	v_mul_f32_e32 v101, v3, v8
	v_mul_f32_e32 v8, v2, v8
	s_waitcnt vmcnt(6)
	v_mul_f32_e32 v102, v4, v94
	v_mul_f32_e32 v94, v5, v94
	s_waitcnt vmcnt(5) lgkmcnt(0)
	v_mul_f32_e32 v103, v6, v95
	s_waitcnt vmcnt(4)
	v_fma_f32 v2, v2, v96, -v101
	v_fmac_f32_e32 v8, v3, v96
	v_mul_f32_e32 v3, v7, v95
	s_waitcnt vmcnt(3)
	v_fma_f32 v4, v4, v97, -v94
	v_fmac_f32_e32 v102, v5, v97
	v_add_f32_e32 v2, 0, v2
	v_add_f32_e32 v5, 0, v8
	s_waitcnt vmcnt(2)
	v_fma_f32 v3, v6, v98, -v3
	v_fmac_f32_e32 v103, v7, v98
	v_add_f32_e32 v2, v2, v4
	v_add_f32_e32 v4, v5, v102
	;; [unrolled: 1-line block ×4, first 2 shown]
	s_waitcnt vmcnt(1)
	v_sub_f32_e32 v2, v99, v2
	s_waitcnt vmcnt(0)
	v_sub_f32_e32 v3, v100, v3
	buffer_store_dword v2, off, s[0:3], 0 offset:304
	buffer_store_dword v3, off, s[0:3], 0 offset:308
	v_cmpx_lt_u32_e32 37, v0
	s_cbranch_execz .LBB105_191
; %bb.190:
	s_clause 0x1
	buffer_load_dword v2, off, s[0:3], 0 offset:296
	buffer_load_dword v3, off, s[0:3], 0 offset:300
	buffer_store_dword v1, off, s[0:3], 0 offset:296
	buffer_store_dword v1, off, s[0:3], 0 offset:300
	s_waitcnt vmcnt(0)
	ds_write_b64 v93, v[2:3]
.LBB105_191:
	s_or_b32 exec_lo, exec_lo, s4
	s_waitcnt lgkmcnt(0)
	s_waitcnt_vscnt null, 0x0
	s_barrier
	buffer_gl0_inv
	s_clause 0x9
	buffer_load_dword v6, off, s[0:3], 0 offset:308
	buffer_load_dword v7, off, s[0:3], 0 offset:316
	;; [unrolled: 1-line block ×10, first 2 shown]
	ds_read_b128 v[2:5], v1 offset:640
	ds_read_b128 v[94:97], v1 offset:656
	s_mov_b32 s4, exec_lo
	s_waitcnt vmcnt(9) lgkmcnt(1)
	v_mul_f32_e32 v1, v2, v6
	v_mul_f32_e32 v6, v3, v6
	s_waitcnt vmcnt(8)
	v_mul_f32_e32 v105, v4, v7
	v_mul_f32_e32 v7, v5, v7
	s_waitcnt vmcnt(7) lgkmcnt(0)
	v_mul_f32_e32 v106, v94, v8
	s_waitcnt vmcnt(5)
	v_fmac_f32_e32 v1, v3, v99
	v_fma_f32 v2, v2, v99, -v6
	v_mul_f32_e32 v3, v95, v8
	s_waitcnt vmcnt(4)
	v_fma_f32 v4, v4, v100, -v7
	v_fmac_f32_e32 v105, v5, v100
	v_add_f32_e32 v1, 0, v1
	v_add_f32_e32 v2, 0, v2
	v_mul_f32_e32 v5, v97, v98
	s_waitcnt vmcnt(3)
	v_fma_f32 v3, v94, v101, -v3
	v_mul_f32_e32 v107, v96, v98
	v_fmac_f32_e32 v106, v95, v101
	v_add_f32_e32 v2, v2, v4
	v_add_f32_e32 v1, v1, v105
	s_waitcnt vmcnt(2)
	v_fma_f32 v4, v96, v102, -v5
	v_fmac_f32_e32 v107, v97, v102
	v_add_f32_e32 v2, v2, v3
	v_add_f32_e32 v1, v1, v106
	;; [unrolled: 1-line block ×4, first 2 shown]
	s_waitcnt vmcnt(1)
	v_sub_f32_e32 v2, v103, v2
	s_waitcnt vmcnt(0)
	v_sub_f32_e32 v1, v104, v1
	buffer_store_dword v2, off, s[0:3], 0 offset:296
	buffer_store_dword v1, off, s[0:3], 0 offset:300
	v_cmpx_lt_u32_e32 36, v0
	s_cbranch_execz .LBB105_193
; %bb.192:
	s_clause 0x1
	buffer_load_dword v1, off, s[0:3], 0 offset:288
	buffer_load_dword v2, off, s[0:3], 0 offset:292
	v_mov_b32_e32 v3, 0
	buffer_store_dword v3, off, s[0:3], 0 offset:288
	buffer_store_dword v3, off, s[0:3], 0 offset:292
	s_waitcnt vmcnt(0)
	ds_write_b64 v93, v[1:2]
.LBB105_193:
	s_or_b32 exec_lo, exec_lo, s4
	s_waitcnt lgkmcnt(0)
	s_waitcnt_vscnt null, 0x0
	s_barrier
	buffer_gl0_inv
	s_clause 0xb
	buffer_load_dword v8, off, s[0:3], 0 offset:300
	buffer_load_dword v98, off, s[0:3], 0 offset:308
	;; [unrolled: 1-line block ×12, first 2 shown]
	v_mov_b32_e32 v1, 0
	ds_read2_b64 v[2:5], v1 offset0:79 offset1:80
	ds_read2_b64 v[94:97], v1 offset0:81 offset1:82
	ds_read_b64 v[6:7], v1 offset:664
	s_mov_b32 s4, exec_lo
	s_waitcnt vmcnt(11) lgkmcnt(2)
	v_mul_f32_e32 v109, v2, v8
	v_mul_f32_e32 v8, v3, v8
	s_waitcnt vmcnt(10)
	v_mul_f32_e32 v110, v4, v98
	v_mul_f32_e32 v98, v5, v98
	s_waitcnt vmcnt(9) lgkmcnt(1)
	v_mul_f32_e32 v111, v94, v99
	s_waitcnt vmcnt(6)
	v_fmac_f32_e32 v109, v3, v102
	v_fma_f32 v2, v2, v102, -v8
	v_mul_f32_e32 v3, v95, v99
	s_waitcnt vmcnt(5)
	v_fma_f32 v4, v4, v103, -v98
	v_fmac_f32_e32 v110, v5, v103
	v_add_f32_e32 v5, 0, v109
	v_add_f32_e32 v2, 0, v2
	v_mul_f32_e32 v8, v97, v100
	s_waitcnt vmcnt(4)
	v_fma_f32 v3, v94, v104, -v3
	v_mul_f32_e32 v112, v96, v100
	v_fmac_f32_e32 v111, v95, v104
	v_add_f32_e32 v2, v2, v4
	v_add_f32_e32 v4, v5, v110
	s_waitcnt lgkmcnt(0)
	v_mul_f32_e32 v5, v7, v101
	s_waitcnt vmcnt(3)
	v_fma_f32 v8, v96, v105, -v8
	v_mul_f32_e32 v113, v6, v101
	v_add_f32_e32 v2, v2, v3
	v_fmac_f32_e32 v112, v97, v105
	v_add_f32_e32 v3, v4, v111
	s_waitcnt vmcnt(2)
	v_fma_f32 v4, v6, v106, -v5
	v_fmac_f32_e32 v113, v7, v106
	v_add_f32_e32 v2, v2, v8
	v_add_f32_e32 v3, v3, v112
	;; [unrolled: 1-line block ×4, first 2 shown]
	s_waitcnt vmcnt(1)
	v_sub_f32_e32 v2, v107, v2
	s_waitcnt vmcnt(0)
	v_sub_f32_e32 v3, v108, v3
	buffer_store_dword v2, off, s[0:3], 0 offset:288
	buffer_store_dword v3, off, s[0:3], 0 offset:292
	v_cmpx_lt_u32_e32 35, v0
	s_cbranch_execz .LBB105_195
; %bb.194:
	s_clause 0x1
	buffer_load_dword v2, off, s[0:3], 0 offset:280
	buffer_load_dword v3, off, s[0:3], 0 offset:284
	buffer_store_dword v1, off, s[0:3], 0 offset:280
	buffer_store_dword v1, off, s[0:3], 0 offset:284
	s_waitcnt vmcnt(0)
	ds_write_b64 v93, v[2:3]
.LBB105_195:
	s_or_b32 exec_lo, exec_lo, s4
	s_waitcnt lgkmcnt(0)
	s_waitcnt_vscnt null, 0x0
	s_barrier
	buffer_gl0_inv
	s_clause 0xd
	buffer_load_dword v6, off, s[0:3], 0 offset:292
	buffer_load_dword v7, off, s[0:3], 0 offset:300
	;; [unrolled: 1-line block ×14, first 2 shown]
	ds_read_b128 v[2:5], v1 offset:624
	ds_read_b128 v[94:97], v1 offset:640
	;; [unrolled: 1-line block ×3, first 2 shown]
	s_mov_b32 s4, exec_lo
	s_waitcnt vmcnt(13) lgkmcnt(2)
	v_mul_f32_e32 v1, v2, v6
	v_mul_f32_e32 v6, v3, v6
	s_waitcnt vmcnt(12)
	v_mul_f32_e32 v113, v4, v7
	v_mul_f32_e32 v7, v5, v7
	s_waitcnt vmcnt(11) lgkmcnt(1)
	v_mul_f32_e32 v114, v94, v8
	s_waitcnt vmcnt(10)
	v_mul_f32_e32 v115, v96, v102
	s_waitcnt vmcnt(7)
	v_fma_f32 v2, v2, v105, -v6
	v_fmac_f32_e32 v1, v3, v105
	v_mul_f32_e32 v3, v95, v8
	s_waitcnt vmcnt(6)
	v_fma_f32 v4, v4, v106, -v7
	v_fmac_f32_e32 v113, v5, v106
	v_add_f32_e32 v2, 0, v2
	v_add_f32_e32 v1, 0, v1
	v_mul_f32_e32 v5, v97, v102
	s_waitcnt vmcnt(5)
	v_fma_f32 v3, v94, v107, -v3
	v_fmac_f32_e32 v114, v95, v107
	v_add_f32_e32 v2, v2, v4
	v_add_f32_e32 v1, v1, v113
	s_waitcnt lgkmcnt(0)
	v_mul_f32_e32 v4, v99, v103
	s_waitcnt vmcnt(4)
	v_fma_f32 v5, v96, v108, -v5
	v_mul_f32_e32 v116, v98, v103
	v_add_f32_e32 v2, v2, v3
	v_fmac_f32_e32 v115, v97, v108
	v_add_f32_e32 v1, v1, v114
	v_mul_f32_e32 v3, v101, v104
	s_waitcnt vmcnt(3)
	v_fma_f32 v4, v98, v109, -v4
	v_add_f32_e32 v2, v2, v5
	v_mul_f32_e32 v117, v100, v104
	v_fmac_f32_e32 v116, v99, v109
	v_add_f32_e32 v1, v1, v115
	s_waitcnt vmcnt(2)
	v_fma_f32 v3, v100, v110, -v3
	v_add_f32_e32 v2, v2, v4
	v_fmac_f32_e32 v117, v101, v110
	v_add_f32_e32 v1, v1, v116
	v_add_f32_e32 v2, v2, v3
	;; [unrolled: 1-line block ×3, first 2 shown]
	s_waitcnt vmcnt(1)
	v_sub_f32_e32 v2, v111, v2
	s_waitcnt vmcnt(0)
	v_sub_f32_e32 v1, v112, v1
	buffer_store_dword v2, off, s[0:3], 0 offset:280
	buffer_store_dword v1, off, s[0:3], 0 offset:284
	v_cmpx_lt_u32_e32 34, v0
	s_cbranch_execz .LBB105_197
; %bb.196:
	s_clause 0x1
	buffer_load_dword v1, off, s[0:3], 0 offset:272
	buffer_load_dword v2, off, s[0:3], 0 offset:276
	v_mov_b32_e32 v3, 0
	buffer_store_dword v3, off, s[0:3], 0 offset:272
	buffer_store_dword v3, off, s[0:3], 0 offset:276
	s_waitcnt vmcnt(0)
	ds_write_b64 v93, v[1:2]
.LBB105_197:
	s_or_b32 exec_lo, exec_lo, s4
	s_waitcnt lgkmcnt(0)
	s_waitcnt_vscnt null, 0x0
	s_barrier
	buffer_gl0_inv
	s_clause 0xf
	buffer_load_dword v8, off, s[0:3], 0 offset:284
	buffer_load_dword v102, off, s[0:3], 0 offset:292
	;; [unrolled: 1-line block ×16, first 2 shown]
	v_mov_b32_e32 v1, 0
	ds_read2_b64 v[2:5], v1 offset0:77 offset1:78
	ds_read2_b64 v[94:97], v1 offset0:79 offset1:80
	;; [unrolled: 1-line block ×3, first 2 shown]
	ds_read_b64 v[6:7], v1 offset:664
	s_mov_b32 s4, exec_lo
	s_waitcnt vmcnt(15) lgkmcnt(3)
	v_mul_f32_e32 v117, v2, v8
	v_mul_f32_e32 v8, v3, v8
	s_waitcnt vmcnt(14)
	v_mul_f32_e32 v118, v4, v102
	v_mul_f32_e32 v102, v5, v102
	s_waitcnt vmcnt(13) lgkmcnt(2)
	v_mul_f32_e32 v119, v94, v103
	s_waitcnt vmcnt(12)
	v_mul_f32_e32 v120, v96, v104
	s_waitcnt vmcnt(11) lgkmcnt(1)
	v_mul_f32_e32 v121, v98, v105
	s_waitcnt vmcnt(8)
	v_fma_f32 v2, v2, v108, -v8
	v_fmac_f32_e32 v117, v3, v108
	v_mul_f32_e32 v3, v95, v103
	s_waitcnt vmcnt(7)
	v_fma_f32 v4, v4, v109, -v102
	v_fmac_f32_e32 v118, v5, v109
	v_add_f32_e32 v2, 0, v2
	v_add_f32_e32 v5, 0, v117
	v_mul_f32_e32 v8, v97, v104
	s_waitcnt vmcnt(6)
	v_fma_f32 v3, v94, v110, -v3
	v_fmac_f32_e32 v119, v95, v110
	v_add_f32_e32 v2, v2, v4
	v_add_f32_e32 v4, v5, v118
	;; [unrolled: 6-line block ×3, first 2 shown]
	v_mul_f32_e32 v4, v101, v106
	s_waitcnt vmcnt(4)
	v_fma_f32 v5, v98, v112, -v5
	v_mul_f32_e32 v122, v100, v106
	v_add_f32_e32 v2, v2, v8
	v_fmac_f32_e32 v121, v99, v112
	v_add_f32_e32 v3, v3, v120
	s_waitcnt lgkmcnt(0)
	v_mul_f32_e32 v8, v7, v107
	s_waitcnt vmcnt(3)
	v_fma_f32 v4, v100, v113, -v4
	v_add_f32_e32 v2, v2, v5
	v_mul_f32_e32 v123, v6, v107
	v_fmac_f32_e32 v122, v101, v113
	v_add_f32_e32 v3, v3, v121
	s_waitcnt vmcnt(2)
	v_fma_f32 v5, v6, v114, -v8
	v_add_f32_e32 v2, v2, v4
	v_fmac_f32_e32 v123, v7, v114
	v_add_f32_e32 v3, v3, v122
	v_add_f32_e32 v2, v2, v5
	;; [unrolled: 1-line block ×3, first 2 shown]
	s_waitcnt vmcnt(1)
	v_sub_f32_e32 v2, v115, v2
	s_waitcnt vmcnt(0)
	v_sub_f32_e32 v3, v116, v3
	buffer_store_dword v2, off, s[0:3], 0 offset:272
	buffer_store_dword v3, off, s[0:3], 0 offset:276
	v_cmpx_lt_u32_e32 33, v0
	s_cbranch_execz .LBB105_199
; %bb.198:
	s_clause 0x1
	buffer_load_dword v2, off, s[0:3], 0 offset:264
	buffer_load_dword v3, off, s[0:3], 0 offset:268
	buffer_store_dword v1, off, s[0:3], 0 offset:264
	buffer_store_dword v1, off, s[0:3], 0 offset:268
	s_waitcnt vmcnt(0)
	ds_write_b64 v93, v[2:3]
.LBB105_199:
	s_or_b32 exec_lo, exec_lo, s4
	s_waitcnt lgkmcnt(0)
	s_waitcnt_vscnt null, 0x0
	s_barrier
	buffer_gl0_inv
	s_clause 0x11
	buffer_load_dword v6, off, s[0:3], 0 offset:276
	buffer_load_dword v7, off, s[0:3], 0 offset:284
	buffer_load_dword v8, off, s[0:3], 0 offset:292
	buffer_load_dword v106, off, s[0:3], 0 offset:300
	buffer_load_dword v107, off, s[0:3], 0 offset:308
	buffer_load_dword v108, off, s[0:3], 0 offset:316
	buffer_load_dword v109, off, s[0:3], 0 offset:324
	buffer_load_dword v110, off, s[0:3], 0 offset:332
	buffer_load_dword v111, off, s[0:3], 0 offset:272
	buffer_load_dword v112, off, s[0:3], 0 offset:280
	buffer_load_dword v113, off, s[0:3], 0 offset:288
	buffer_load_dword v114, off, s[0:3], 0 offset:296
	buffer_load_dword v115, off, s[0:3], 0 offset:304
	buffer_load_dword v116, off, s[0:3], 0 offset:312
	buffer_load_dword v117, off, s[0:3], 0 offset:320
	buffer_load_dword v118, off, s[0:3], 0 offset:328
	buffer_load_dword v119, off, s[0:3], 0 offset:264
	buffer_load_dword v120, off, s[0:3], 0 offset:268
	ds_read_b128 v[2:5], v1 offset:608
	ds_read_b128 v[94:97], v1 offset:624
	ds_read_b128 v[98:101], v1 offset:640
	ds_read_b128 v[102:105], v1 offset:656
	s_mov_b32 s4, exec_lo
	s_waitcnt vmcnt(17) lgkmcnt(3)
	v_mul_f32_e32 v1, v2, v6
	v_mul_f32_e32 v6, v3, v6
	s_waitcnt vmcnt(16)
	v_mul_f32_e32 v121, v4, v7
	v_mul_f32_e32 v7, v5, v7
	s_waitcnt vmcnt(15) lgkmcnt(2)
	v_mul_f32_e32 v122, v94, v8
	s_waitcnt vmcnt(14)
	v_mul_f32_e32 v123, v96, v106
	s_waitcnt vmcnt(13) lgkmcnt(1)
	v_mul_f32_e32 v124, v98, v107
	s_waitcnt vmcnt(12)
	v_mul_f32_e32 v125, v100, v108
	s_waitcnt vmcnt(9)
	v_fma_f32 v2, v2, v111, -v6
	v_fmac_f32_e32 v1, v3, v111
	v_mul_f32_e32 v3, v95, v8
	s_waitcnt vmcnt(8)
	v_fma_f32 v4, v4, v112, -v7
	v_fmac_f32_e32 v121, v5, v112
	v_add_f32_e32 v2, 0, v2
	v_add_f32_e32 v1, 0, v1
	v_mul_f32_e32 v5, v97, v106
	s_waitcnt vmcnt(7)
	v_fma_f32 v3, v94, v113, -v3
	v_fmac_f32_e32 v122, v95, v113
	v_add_f32_e32 v2, v2, v4
	v_add_f32_e32 v1, v1, v121
	;; [unrolled: 6-line block ×4, first 2 shown]
	s_waitcnt lgkmcnt(0)
	v_mul_f32_e32 v5, v103, v109
	s_waitcnt vmcnt(4)
	v_fma_f32 v3, v100, v116, -v3
	v_mul_f32_e32 v126, v102, v109
	v_add_f32_e32 v2, v2, v4
	v_fmac_f32_e32 v125, v101, v116
	v_add_f32_e32 v1, v1, v124
	v_mul_f32_e32 v4, v105, v110
	s_waitcnt vmcnt(3)
	v_fma_f32 v5, v102, v117, -v5
	v_add_f32_e32 v2, v2, v3
	v_mul_f32_e32 v127, v104, v110
	v_fmac_f32_e32 v126, v103, v117
	v_add_f32_e32 v1, v1, v125
	s_waitcnt vmcnt(2)
	v_fma_f32 v3, v104, v118, -v4
	v_add_f32_e32 v2, v2, v5
	v_fmac_f32_e32 v127, v105, v118
	v_add_f32_e32 v1, v1, v126
	v_add_f32_e32 v2, v2, v3
	;; [unrolled: 1-line block ×3, first 2 shown]
	s_waitcnt vmcnt(1)
	v_sub_f32_e32 v2, v119, v2
	s_waitcnt vmcnt(0)
	v_sub_f32_e32 v1, v120, v1
	buffer_store_dword v2, off, s[0:3], 0 offset:264
	buffer_store_dword v1, off, s[0:3], 0 offset:268
	v_cmpx_lt_u32_e32 32, v0
	s_cbranch_execz .LBB105_201
; %bb.200:
	s_clause 0x1
	buffer_load_dword v1, off, s[0:3], 0 offset:256
	buffer_load_dword v2, off, s[0:3], 0 offset:260
	v_mov_b32_e32 v3, 0
	buffer_store_dword v3, off, s[0:3], 0 offset:256
	buffer_store_dword v3, off, s[0:3], 0 offset:260
	s_waitcnt vmcnt(0)
	ds_write_b64 v93, v[1:2]
.LBB105_201:
	s_or_b32 exec_lo, exec_lo, s4
	s_waitcnt lgkmcnt(0)
	s_waitcnt_vscnt null, 0x0
	s_barrier
	buffer_gl0_inv
	s_clause 0x13
	buffer_load_dword v8, off, s[0:3], 0 offset:268
	buffer_load_dword v106, off, s[0:3], 0 offset:276
	;; [unrolled: 1-line block ×20, first 2 shown]
	v_mov_b32_e32 v1, 0
	ds_read2_b64 v[2:5], v1 offset0:75 offset1:76
	ds_read2_b64 v[94:97], v1 offset0:77 offset1:78
	;; [unrolled: 1-line block ×4, first 2 shown]
	ds_read_b64 v[6:7], v1 offset:664
	s_mov_b32 s4, exec_lo
	s_waitcnt vmcnt(19) lgkmcnt(4)
	v_mul_f32_e32 v125, v2, v8
	v_mul_f32_e32 v8, v3, v8
	s_waitcnt vmcnt(18)
	v_mul_f32_e32 v126, v4, v106
	v_mul_f32_e32 v106, v5, v106
	s_waitcnt vmcnt(17) lgkmcnt(3)
	v_mul_f32_e32 v127, v94, v107
	s_waitcnt vmcnt(16)
	v_mul_f32_e32 v128, v96, v108
	s_waitcnt vmcnt(15) lgkmcnt(2)
	v_mul_f32_e32 v129, v98, v109
	s_waitcnt vmcnt(14)
	;; [unrolled: 4-line block ×3, first 2 shown]
	v_fma_f32 v2, v2, v114, -v8
	v_fmac_f32_e32 v125, v3, v114
	v_mul_f32_e32 v3, v95, v107
	s_waitcnt vmcnt(9)
	v_fma_f32 v4, v4, v115, -v106
	v_fmac_f32_e32 v126, v5, v115
	v_add_f32_e32 v2, 0, v2
	v_add_f32_e32 v5, 0, v125
	v_mul_f32_e32 v8, v97, v108
	s_waitcnt vmcnt(8)
	v_fma_f32 v3, v94, v116, -v3
	v_fmac_f32_e32 v127, v95, v116
	v_add_f32_e32 v2, v2, v4
	v_add_f32_e32 v4, v5, v126
	;; [unrolled: 6-line block ×5, first 2 shown]
	v_mul_f32_e32 v5, v105, v112
	s_waitcnt vmcnt(4)
	v_fma_f32 v8, v102, v120, -v8
	v_mul_f32_e32 v132, v104, v112
	v_add_f32_e32 v2, v2, v4
	v_fmac_f32_e32 v131, v103, v120
	v_add_f32_e32 v3, v3, v130
	s_waitcnt lgkmcnt(0)
	v_mul_f32_e32 v4, v7, v113
	s_waitcnt vmcnt(3)
	v_fma_f32 v5, v104, v121, -v5
	v_add_f32_e32 v2, v2, v8
	v_mul_f32_e32 v133, v6, v113
	v_fmac_f32_e32 v132, v105, v121
	v_add_f32_e32 v3, v3, v131
	s_waitcnt vmcnt(2)
	v_fma_f32 v4, v6, v122, -v4
	v_add_f32_e32 v2, v2, v5
	v_fmac_f32_e32 v133, v7, v122
	v_add_f32_e32 v3, v3, v132
	v_add_f32_e32 v2, v2, v4
	;; [unrolled: 1-line block ×3, first 2 shown]
	s_waitcnt vmcnt(1)
	v_sub_f32_e32 v2, v123, v2
	s_waitcnt vmcnt(0)
	v_sub_f32_e32 v3, v124, v3
	buffer_store_dword v2, off, s[0:3], 0 offset:256
	buffer_store_dword v3, off, s[0:3], 0 offset:260
	v_cmpx_lt_u32_e32 31, v0
	s_cbranch_execz .LBB105_203
; %bb.202:
	s_clause 0x1
	buffer_load_dword v2, off, s[0:3], 0 offset:248
	buffer_load_dword v3, off, s[0:3], 0 offset:252
	buffer_store_dword v1, off, s[0:3], 0 offset:248
	buffer_store_dword v1, off, s[0:3], 0 offset:252
	s_waitcnt vmcnt(0)
	ds_write_b64 v93, v[2:3]
.LBB105_203:
	s_or_b32 exec_lo, exec_lo, s4
	s_waitcnt lgkmcnt(0)
	s_waitcnt_vscnt null, 0x0
	s_barrier
	buffer_gl0_inv
	s_clause 0x15
	buffer_load_dword v6, off, s[0:3], 0 offset:260
	buffer_load_dword v7, off, s[0:3], 0 offset:268
	;; [unrolled: 1-line block ×22, first 2 shown]
	ds_read_b128 v[2:5], v1 offset:592
	ds_read_b128 v[94:97], v1 offset:608
	;; [unrolled: 1-line block ×5, first 2 shown]
	s_mov_b32 s4, exec_lo
	s_waitcnt vmcnt(21) lgkmcnt(4)
	v_mul_f32_e32 v1, v2, v6
	v_mul_f32_e32 v6, v3, v6
	s_waitcnt vmcnt(20)
	v_mul_f32_e32 v129, v4, v7
	v_mul_f32_e32 v7, v5, v7
	s_waitcnt vmcnt(19) lgkmcnt(3)
	v_mul_f32_e32 v130, v94, v8
	s_waitcnt vmcnt(18)
	v_mul_f32_e32 v131, v96, v110
	s_waitcnt vmcnt(17) lgkmcnt(2)
	v_mul_f32_e32 v132, v98, v111
	s_waitcnt vmcnt(16)
	;; [unrolled: 4-line block ×3, first 2 shown]
	v_mul_f32_e32 v135, v104, v114
	s_waitcnt vmcnt(11)
	v_fma_f32 v2, v2, v117, -v6
	v_fmac_f32_e32 v1, v3, v117
	v_mul_f32_e32 v3, v95, v8
	s_waitcnt vmcnt(10)
	v_fma_f32 v4, v4, v118, -v7
	v_fmac_f32_e32 v129, v5, v118
	v_add_f32_e32 v2, 0, v2
	v_add_f32_e32 v1, 0, v1
	v_mul_f32_e32 v5, v97, v110
	s_waitcnt vmcnt(9)
	v_fma_f32 v3, v94, v119, -v3
	v_fmac_f32_e32 v130, v95, v119
	v_add_f32_e32 v2, v2, v4
	v_add_f32_e32 v1, v1, v129
	;; [unrolled: 6-line block ×6, first 2 shown]
	s_waitcnt lgkmcnt(0)
	v_mul_f32_e32 v3, v107, v115
	s_waitcnt vmcnt(4)
	v_fma_f32 v4, v104, v124, -v4
	v_mul_f32_e32 v136, v106, v115
	v_add_f32_e32 v2, v2, v5
	v_fmac_f32_e32 v135, v105, v124
	v_add_f32_e32 v1, v1, v134
	v_mul_f32_e32 v5, v109, v116
	s_waitcnt vmcnt(3)
	v_fma_f32 v3, v106, v125, -v3
	v_add_f32_e32 v2, v2, v4
	v_mul_f32_e32 v137, v108, v116
	v_fmac_f32_e32 v136, v107, v125
	v_add_f32_e32 v1, v1, v135
	s_waitcnt vmcnt(2)
	v_fma_f32 v4, v108, v126, -v5
	v_add_f32_e32 v2, v2, v3
	v_fmac_f32_e32 v137, v109, v126
	v_add_f32_e32 v1, v1, v136
	v_add_f32_e32 v2, v2, v4
	;; [unrolled: 1-line block ×3, first 2 shown]
	s_waitcnt vmcnt(1)
	v_sub_f32_e32 v2, v127, v2
	s_waitcnt vmcnt(0)
	v_sub_f32_e32 v1, v128, v1
	buffer_store_dword v2, off, s[0:3], 0 offset:248
	buffer_store_dword v1, off, s[0:3], 0 offset:252
	v_cmpx_lt_u32_e32 30, v0
	s_cbranch_execz .LBB105_205
; %bb.204:
	s_clause 0x1
	buffer_load_dword v1, off, s[0:3], 0 offset:240
	buffer_load_dword v2, off, s[0:3], 0 offset:244
	v_mov_b32_e32 v3, 0
	buffer_store_dword v3, off, s[0:3], 0 offset:240
	buffer_store_dword v3, off, s[0:3], 0 offset:244
	s_waitcnt vmcnt(0)
	ds_write_b64 v93, v[1:2]
.LBB105_205:
	s_or_b32 exec_lo, exec_lo, s4
	s_waitcnt lgkmcnt(0)
	s_waitcnt_vscnt null, 0x0
	s_barrier
	buffer_gl0_inv
	s_clause 0x17
	buffer_load_dword v8, off, s[0:3], 0 offset:252
	buffer_load_dword v110, off, s[0:3], 0 offset:260
	;; [unrolled: 1-line block ×24, first 2 shown]
	v_mov_b32_e32 v1, 0
	ds_read2_b64 v[2:5], v1 offset0:73 offset1:74
	ds_read2_b64 v[94:97], v1 offset0:75 offset1:76
	;; [unrolled: 1-line block ×5, first 2 shown]
	ds_read_b64 v[6:7], v1 offset:664
	s_mov_b32 s4, exec_lo
	s_waitcnt vmcnt(23) lgkmcnt(5)
	v_mul_f32_e32 v133, v2, v8
	v_mul_f32_e32 v8, v3, v8
	s_waitcnt vmcnt(22)
	v_mul_f32_e32 v134, v4, v110
	v_mul_f32_e32 v110, v5, v110
	s_waitcnt vmcnt(21) lgkmcnt(4)
	v_mul_f32_e32 v135, v94, v111
	s_waitcnt vmcnt(20)
	v_mul_f32_e32 v136, v96, v112
	s_waitcnt vmcnt(19) lgkmcnt(3)
	v_mul_f32_e32 v137, v98, v113
	s_waitcnt vmcnt(18)
	;; [unrolled: 4-line block ×4, first 2 shown]
	v_fma_f32 v2, v2, v120, -v8
	v_fmac_f32_e32 v133, v3, v120
	v_mul_f32_e32 v3, v95, v111
	s_waitcnt vmcnt(11)
	v_fma_f32 v4, v4, v121, -v110
	v_fmac_f32_e32 v134, v5, v121
	v_add_f32_e32 v2, 0, v2
	v_add_f32_e32 v5, 0, v133
	v_mul_f32_e32 v8, v97, v112
	s_waitcnt vmcnt(10)
	v_fma_f32 v3, v94, v122, -v3
	v_fmac_f32_e32 v135, v95, v122
	v_add_f32_e32 v2, v2, v4
	v_add_f32_e32 v4, v5, v134
	;; [unrolled: 6-line block ×7, first 2 shown]
	v_mul_f32_e32 v8, v109, v118
	s_waitcnt vmcnt(4)
	v_fma_f32 v4, v106, v128, -v4
	v_mul_f32_e32 v142, v108, v118
	v_add_f32_e32 v2, v2, v5
	v_fmac_f32_e32 v141, v107, v128
	v_add_f32_e32 v3, v3, v140
	s_waitcnt lgkmcnt(0)
	v_mul_f32_e32 v5, v7, v119
	s_waitcnt vmcnt(3)
	v_fma_f32 v8, v108, v129, -v8
	v_add_f32_e32 v2, v2, v4
	v_mul_f32_e32 v143, v6, v119
	v_fmac_f32_e32 v142, v109, v129
	v_add_f32_e32 v3, v3, v141
	s_waitcnt vmcnt(2)
	v_fma_f32 v4, v6, v130, -v5
	v_add_f32_e32 v2, v2, v8
	v_fmac_f32_e32 v143, v7, v130
	v_add_f32_e32 v3, v3, v142
	v_add_f32_e32 v2, v2, v4
	;; [unrolled: 1-line block ×3, first 2 shown]
	s_waitcnt vmcnt(1)
	v_sub_f32_e32 v2, v131, v2
	s_waitcnt vmcnt(0)
	v_sub_f32_e32 v3, v132, v3
	buffer_store_dword v2, off, s[0:3], 0 offset:240
	buffer_store_dword v3, off, s[0:3], 0 offset:244
	v_cmpx_lt_u32_e32 29, v0
	s_cbranch_execz .LBB105_207
; %bb.206:
	s_clause 0x1
	buffer_load_dword v2, off, s[0:3], 0 offset:232
	buffer_load_dword v3, off, s[0:3], 0 offset:236
	buffer_store_dword v1, off, s[0:3], 0 offset:232
	buffer_store_dword v1, off, s[0:3], 0 offset:236
	s_waitcnt vmcnt(0)
	ds_write_b64 v93, v[2:3]
.LBB105_207:
	s_or_b32 exec_lo, exec_lo, s4
	s_waitcnt lgkmcnt(0)
	s_waitcnt_vscnt null, 0x0
	s_barrier
	buffer_gl0_inv
	s_clause 0x19
	buffer_load_dword v6, off, s[0:3], 0 offset:244
	buffer_load_dword v7, off, s[0:3], 0 offset:252
	;; [unrolled: 1-line block ×26, first 2 shown]
	ds_read_b128 v[2:5], v1 offset:576
	ds_read_b128 v[94:97], v1 offset:592
	;; [unrolled: 1-line block ×6, first 2 shown]
	s_mov_b32 s4, exec_lo
	s_waitcnt vmcnt(25) lgkmcnt(5)
	v_mul_f32_e32 v1, v2, v6
	v_mul_f32_e32 v6, v3, v6
	s_waitcnt vmcnt(24)
	v_mul_f32_e32 v137, v4, v7
	v_mul_f32_e32 v7, v5, v7
	s_waitcnt vmcnt(23) lgkmcnt(4)
	v_mul_f32_e32 v138, v94, v8
	s_waitcnt vmcnt(22)
	v_mul_f32_e32 v139, v96, v114
	s_waitcnt vmcnt(21) lgkmcnt(3)
	v_mul_f32_e32 v140, v98, v115
	s_waitcnt vmcnt(20)
	;; [unrolled: 4-line block ×4, first 2 shown]
	v_mul_f32_e32 v145, v108, v120
	s_waitcnt vmcnt(13)
	v_fma_f32 v2, v2, v123, -v6
	v_fmac_f32_e32 v1, v3, v123
	v_mul_f32_e32 v3, v95, v8
	s_waitcnt vmcnt(12)
	v_fma_f32 v4, v4, v124, -v7
	v_fmac_f32_e32 v137, v5, v124
	v_add_f32_e32 v2, 0, v2
	v_add_f32_e32 v1, 0, v1
	v_mul_f32_e32 v5, v97, v114
	s_waitcnt vmcnt(11)
	v_fma_f32 v3, v94, v125, -v3
	v_fmac_f32_e32 v138, v95, v125
	v_add_f32_e32 v2, v2, v4
	v_add_f32_e32 v1, v1, v137
	;; [unrolled: 6-line block ×8, first 2 shown]
	s_waitcnt lgkmcnt(0)
	v_mul_f32_e32 v4, v111, v121
	s_waitcnt vmcnt(4)
	v_fma_f32 v5, v108, v132, -v5
	v_mul_f32_e32 v146, v110, v121
	v_add_f32_e32 v2, v2, v3
	v_fmac_f32_e32 v145, v109, v132
	v_add_f32_e32 v1, v1, v144
	v_mul_f32_e32 v3, v113, v122
	s_waitcnt vmcnt(3)
	v_fma_f32 v4, v110, v133, -v4
	v_add_f32_e32 v2, v2, v5
	v_mul_f32_e32 v147, v112, v122
	v_fmac_f32_e32 v146, v111, v133
	v_add_f32_e32 v1, v1, v145
	s_waitcnt vmcnt(2)
	v_fma_f32 v3, v112, v134, -v3
	v_add_f32_e32 v2, v2, v4
	v_fmac_f32_e32 v147, v113, v134
	v_add_f32_e32 v1, v1, v146
	v_add_f32_e32 v2, v2, v3
	;; [unrolled: 1-line block ×3, first 2 shown]
	s_waitcnt vmcnt(1)
	v_sub_f32_e32 v2, v135, v2
	s_waitcnt vmcnt(0)
	v_sub_f32_e32 v1, v136, v1
	buffer_store_dword v2, off, s[0:3], 0 offset:232
	buffer_store_dword v1, off, s[0:3], 0 offset:236
	v_cmpx_lt_u32_e32 28, v0
	s_cbranch_execz .LBB105_209
; %bb.208:
	s_clause 0x1
	buffer_load_dword v1, off, s[0:3], 0 offset:224
	buffer_load_dword v2, off, s[0:3], 0 offset:228
	v_mov_b32_e32 v3, 0
	buffer_store_dword v3, off, s[0:3], 0 offset:224
	buffer_store_dword v3, off, s[0:3], 0 offset:228
	s_waitcnt vmcnt(0)
	ds_write_b64 v93, v[1:2]
.LBB105_209:
	s_or_b32 exec_lo, exec_lo, s4
	s_waitcnt lgkmcnt(0)
	s_waitcnt_vscnt null, 0x0
	s_barrier
	buffer_gl0_inv
	s_clause 0x1b
	buffer_load_dword v8, off, s[0:3], 0 offset:236
	buffer_load_dword v114, off, s[0:3], 0 offset:244
	buffer_load_dword v115, off, s[0:3], 0 offset:252
	buffer_load_dword v116, off, s[0:3], 0 offset:260
	buffer_load_dword v117, off, s[0:3], 0 offset:268
	buffer_load_dword v118, off, s[0:3], 0 offset:276
	buffer_load_dword v119, off, s[0:3], 0 offset:284
	buffer_load_dword v120, off, s[0:3], 0 offset:292
	buffer_load_dword v121, off, s[0:3], 0 offset:300
	buffer_load_dword v122, off, s[0:3], 0 offset:308
	buffer_load_dword v123, off, s[0:3], 0 offset:316
	buffer_load_dword v124, off, s[0:3], 0 offset:324
	buffer_load_dword v125, off, s[0:3], 0 offset:332
	buffer_load_dword v126, off, s[0:3], 0 offset:232
	buffer_load_dword v127, off, s[0:3], 0 offset:240
	buffer_load_dword v128, off, s[0:3], 0 offset:248
	buffer_load_dword v129, off, s[0:3], 0 offset:256
	buffer_load_dword v130, off, s[0:3], 0 offset:264
	buffer_load_dword v131, off, s[0:3], 0 offset:272
	buffer_load_dword v132, off, s[0:3], 0 offset:280
	buffer_load_dword v133, off, s[0:3], 0 offset:288
	buffer_load_dword v134, off, s[0:3], 0 offset:296
	buffer_load_dword v135, off, s[0:3], 0 offset:304
	buffer_load_dword v136, off, s[0:3], 0 offset:312
	buffer_load_dword v137, off, s[0:3], 0 offset:320
	buffer_load_dword v138, off, s[0:3], 0 offset:328
	buffer_load_dword v139, off, s[0:3], 0 offset:224
	buffer_load_dword v140, off, s[0:3], 0 offset:228
	v_mov_b32_e32 v1, 0
	ds_read2_b64 v[2:5], v1 offset0:71 offset1:72
	ds_read2_b64 v[94:97], v1 offset0:73 offset1:74
	;; [unrolled: 1-line block ×6, first 2 shown]
	ds_read_b64 v[6:7], v1 offset:664
	s_mov_b32 s4, exec_lo
	s_waitcnt vmcnt(27) lgkmcnt(6)
	v_mul_f32_e32 v141, v2, v8
	v_mul_f32_e32 v8, v3, v8
	s_waitcnt vmcnt(26)
	v_mul_f32_e32 v142, v4, v114
	v_mul_f32_e32 v114, v5, v114
	s_waitcnt vmcnt(25) lgkmcnt(5)
	v_mul_f32_e32 v143, v94, v115
	s_waitcnt vmcnt(24)
	v_mul_f32_e32 v144, v96, v116
	s_waitcnt vmcnt(23) lgkmcnt(4)
	v_mul_f32_e32 v145, v98, v117
	s_waitcnt vmcnt(22)
	;; [unrolled: 4-line block ×5, first 2 shown]
	v_fma_f32 v2, v2, v126, -v8
	v_fmac_f32_e32 v141, v3, v126
	v_mul_f32_e32 v3, v95, v115
	s_waitcnt vmcnt(13)
	v_fma_f32 v4, v4, v127, -v114
	v_fmac_f32_e32 v142, v5, v127
	v_add_f32_e32 v2, 0, v2
	v_add_f32_e32 v5, 0, v141
	v_mul_f32_e32 v8, v97, v116
	s_waitcnt vmcnt(12)
	v_fma_f32 v3, v94, v128, -v3
	v_fmac_f32_e32 v143, v95, v128
	v_add_f32_e32 v2, v2, v4
	v_add_f32_e32 v4, v5, v142
	v_mul_f32_e32 v5, v99, v117
	s_waitcnt vmcnt(11)
	v_fma_f32 v8, v96, v129, -v8
	v_fmac_f32_e32 v144, v97, v129
	v_add_f32_e32 v2, v2, v3
	v_add_f32_e32 v3, v4, v143
	v_mul_f32_e32 v4, v101, v118
	s_waitcnt vmcnt(10)
	v_fma_f32 v5, v98, v130, -v5
	v_fmac_f32_e32 v145, v99, v130
	v_add_f32_e32 v2, v2, v8
	v_add_f32_e32 v3, v3, v144
	v_mul_f32_e32 v8, v103, v119
	s_waitcnt vmcnt(9)
	v_fma_f32 v4, v100, v131, -v4
	v_fmac_f32_e32 v146, v101, v131
	v_add_f32_e32 v2, v2, v5
	v_add_f32_e32 v3, v3, v145
	v_mul_f32_e32 v5, v105, v120
	s_waitcnt vmcnt(8)
	v_fma_f32 v8, v102, v132, -v8
	v_fmac_f32_e32 v147, v103, v132
	v_add_f32_e32 v2, v2, v4
	v_add_f32_e32 v3, v3, v146
	v_mul_f32_e32 v4, v107, v121
	s_waitcnt vmcnt(7)
	v_fma_f32 v5, v104, v133, -v5
	v_fmac_f32_e32 v148, v105, v133
	v_add_f32_e32 v2, v2, v8
	v_add_f32_e32 v3, v3, v147
	v_mul_f32_e32 v8, v109, v122
	s_waitcnt vmcnt(6)
	v_fma_f32 v4, v106, v134, -v4
	v_fmac_f32_e32 v149, v107, v134
	v_add_f32_e32 v2, v2, v5
	v_add_f32_e32 v3, v3, v148
	v_mul_f32_e32 v5, v111, v123
	s_waitcnt vmcnt(5)
	v_fma_f32 v8, v108, v135, -v8
	v_fmac_f32_e32 v150, v109, v135
	v_add_f32_e32 v2, v2, v4
	v_add_f32_e32 v3, v3, v149
	v_mul_f32_e32 v4, v113, v124
	s_waitcnt vmcnt(4)
	v_fma_f32 v5, v110, v136, -v5
	v_mul_f32_e32 v152, v112, v124
	v_add_f32_e32 v2, v2, v8
	v_fmac_f32_e32 v151, v111, v136
	v_add_f32_e32 v3, v3, v150
	s_waitcnt lgkmcnt(0)
	v_mul_f32_e32 v8, v7, v125
	s_waitcnt vmcnt(3)
	v_fma_f32 v4, v112, v137, -v4
	v_add_f32_e32 v2, v2, v5
	v_mul_f32_e32 v153, v6, v125
	v_fmac_f32_e32 v152, v113, v137
	v_add_f32_e32 v3, v3, v151
	s_waitcnt vmcnt(2)
	v_fma_f32 v5, v6, v138, -v8
	v_add_f32_e32 v2, v2, v4
	v_fmac_f32_e32 v153, v7, v138
	v_add_f32_e32 v3, v3, v152
	v_add_f32_e32 v2, v2, v5
	v_add_f32_e32 v3, v3, v153
	s_waitcnt vmcnt(1)
	v_sub_f32_e32 v2, v139, v2
	s_waitcnt vmcnt(0)
	v_sub_f32_e32 v3, v140, v3
	buffer_store_dword v2, off, s[0:3], 0 offset:224
	buffer_store_dword v3, off, s[0:3], 0 offset:228
	v_cmpx_lt_u32_e32 27, v0
	s_cbranch_execz .LBB105_211
; %bb.210:
	s_clause 0x1
	buffer_load_dword v2, off, s[0:3], 0 offset:216
	buffer_load_dword v3, off, s[0:3], 0 offset:220
	buffer_store_dword v1, off, s[0:3], 0 offset:216
	buffer_store_dword v1, off, s[0:3], 0 offset:220
	s_waitcnt vmcnt(0)
	ds_write_b64 v93, v[2:3]
.LBB105_211:
	s_or_b32 exec_lo, exec_lo, s4
	s_waitcnt lgkmcnt(0)
	s_waitcnt_vscnt null, 0x0
	s_barrier
	buffer_gl0_inv
	s_clause 0x1d
	buffer_load_dword v6, off, s[0:3], 0 offset:228
	buffer_load_dword v7, off, s[0:3], 0 offset:236
	;; [unrolled: 1-line block ×30, first 2 shown]
	ds_read_b128 v[2:5], v1 offset:560
	ds_read_b128 v[94:97], v1 offset:576
	;; [unrolled: 1-line block ×7, first 2 shown]
	s_mov_b32 s4, exec_lo
	s_waitcnt vmcnt(29) lgkmcnt(6)
	v_mul_f32_e32 v1, v2, v6
	v_mul_f32_e32 v6, v3, v6
	s_waitcnt vmcnt(28)
	v_mul_f32_e32 v145, v4, v7
	v_mul_f32_e32 v7, v5, v7
	s_waitcnt vmcnt(27) lgkmcnt(5)
	v_mul_f32_e32 v146, v94, v8
	s_waitcnt vmcnt(26)
	v_mul_f32_e32 v147, v96, v118
	s_waitcnt vmcnt(25) lgkmcnt(4)
	v_mul_f32_e32 v148, v98, v119
	s_waitcnt vmcnt(24)
	;; [unrolled: 4-line block ×5, first 2 shown]
	v_mul_f32_e32 v155, v112, v126
	s_waitcnt vmcnt(15)
	v_fma_f32 v2, v2, v129, -v6
	v_fmac_f32_e32 v1, v3, v129
	v_mul_f32_e32 v3, v95, v8
	s_waitcnt vmcnt(14)
	v_fma_f32 v4, v4, v130, -v7
	v_fmac_f32_e32 v145, v5, v130
	v_add_f32_e32 v2, 0, v2
	v_add_f32_e32 v1, 0, v1
	v_mul_f32_e32 v5, v97, v118
	s_waitcnt vmcnt(13)
	v_fma_f32 v3, v94, v131, -v3
	v_fmac_f32_e32 v146, v95, v131
	v_add_f32_e32 v2, v2, v4
	v_add_f32_e32 v1, v1, v145
	;; [unrolled: 6-line block ×10, first 2 shown]
	s_waitcnt lgkmcnt(0)
	v_mul_f32_e32 v5, v115, v127
	s_waitcnt vmcnt(4)
	v_fma_f32 v3, v112, v140, -v3
	v_mul_f32_e32 v156, v114, v127
	v_add_f32_e32 v2, v2, v4
	v_fmac_f32_e32 v155, v113, v140
	v_add_f32_e32 v1, v1, v154
	v_mul_f32_e32 v4, v117, v128
	s_waitcnt vmcnt(3)
	v_fma_f32 v5, v114, v141, -v5
	v_add_f32_e32 v2, v2, v3
	v_mul_f32_e32 v157, v116, v128
	v_fmac_f32_e32 v156, v115, v141
	v_add_f32_e32 v1, v1, v155
	s_waitcnt vmcnt(2)
	v_fma_f32 v3, v116, v142, -v4
	v_add_f32_e32 v2, v2, v5
	v_fmac_f32_e32 v157, v117, v142
	v_add_f32_e32 v1, v1, v156
	v_add_f32_e32 v2, v2, v3
	;; [unrolled: 1-line block ×3, first 2 shown]
	s_waitcnt vmcnt(1)
	v_sub_f32_e32 v2, v143, v2
	s_waitcnt vmcnt(0)
	v_sub_f32_e32 v1, v144, v1
	buffer_store_dword v2, off, s[0:3], 0 offset:216
	buffer_store_dword v1, off, s[0:3], 0 offset:220
	v_cmpx_lt_u32_e32 26, v0
	s_cbranch_execz .LBB105_213
; %bb.212:
	s_clause 0x1
	buffer_load_dword v1, off, s[0:3], 0 offset:208
	buffer_load_dword v2, off, s[0:3], 0 offset:212
	v_mov_b32_e32 v3, 0
	buffer_store_dword v3, off, s[0:3], 0 offset:208
	buffer_store_dword v3, off, s[0:3], 0 offset:212
	s_waitcnt vmcnt(0)
	ds_write_b64 v93, v[1:2]
.LBB105_213:
	s_or_b32 exec_lo, exec_lo, s4
	s_waitcnt lgkmcnt(0)
	s_waitcnt_vscnt null, 0x0
	s_barrier
	buffer_gl0_inv
	s_clause 0x1f
	buffer_load_dword v8, off, s[0:3], 0 offset:220
	buffer_load_dword v118, off, s[0:3], 0 offset:228
	;; [unrolled: 1-line block ×32, first 2 shown]
	v_mov_b32_e32 v1, 0
	ds_read2_b64 v[2:5], v1 offset0:69 offset1:70
	ds_read2_b64 v[94:97], v1 offset0:71 offset1:72
	;; [unrolled: 1-line block ×7, first 2 shown]
	ds_read_b64 v[6:7], v1 offset:664
	s_mov_b32 s4, exec_lo
	s_waitcnt vmcnt(31) lgkmcnt(7)
	v_mul_f32_e32 v149, v2, v8
	v_mul_f32_e32 v8, v3, v8
	s_waitcnt vmcnt(30)
	v_mul_f32_e32 v150, v4, v118
	v_mul_f32_e32 v118, v5, v118
	s_waitcnt vmcnt(29) lgkmcnt(6)
	v_mul_f32_e32 v151, v94, v119
	s_waitcnt vmcnt(28)
	v_mul_f32_e32 v152, v96, v120
	s_waitcnt vmcnt(27) lgkmcnt(5)
	v_mul_f32_e32 v153, v98, v121
	s_waitcnt vmcnt(26)
	v_mul_f32_e32 v154, v100, v122
	s_waitcnt vmcnt(25) lgkmcnt(4)
	v_mul_f32_e32 v155, v102, v123
	s_waitcnt vmcnt(24)
	v_mul_f32_e32 v156, v104, v124
	s_waitcnt vmcnt(23) lgkmcnt(3)
	v_mul_f32_e32 v157, v106, v125
	s_waitcnt vmcnt(22)
	v_mul_f32_e32 v158, v108, v126
	s_waitcnt vmcnt(21) lgkmcnt(2)
	v_mul_f32_e32 v159, v110, v127
	s_waitcnt vmcnt(20)
	v_mul_f32_e32 v160, v112, v128
	s_waitcnt vmcnt(19) lgkmcnt(1)
	v_mul_f32_e32 v161, v114, v129
	s_waitcnt vmcnt(16)
	v_fma_f32 v2, v2, v132, -v8
	v_fmac_f32_e32 v149, v3, v132
	v_mul_f32_e32 v3, v95, v119
	s_waitcnt vmcnt(15)
	v_fma_f32 v4, v4, v133, -v118
	v_fmac_f32_e32 v150, v5, v133
	v_add_f32_e32 v2, 0, v2
	v_add_f32_e32 v5, 0, v149
	v_mul_f32_e32 v8, v97, v120
	s_waitcnt vmcnt(14)
	v_fma_f32 v3, v94, v134, -v3
	v_fmac_f32_e32 v151, v95, v134
	v_add_f32_e32 v2, v2, v4
	v_add_f32_e32 v4, v5, v150
	;; [unrolled: 6-line block ×11, first 2 shown]
	v_mul_f32_e32 v5, v117, v130
	s_waitcnt vmcnt(4)
	v_fma_f32 v8, v114, v144, -v8
	v_mul_f32_e32 v162, v116, v130
	v_add_f32_e32 v2, v2, v4
	v_fmac_f32_e32 v161, v115, v144
	v_add_f32_e32 v3, v3, v160
	s_waitcnt lgkmcnt(0)
	v_mul_f32_e32 v4, v7, v131
	s_waitcnt vmcnt(3)
	v_fma_f32 v5, v116, v145, -v5
	v_add_f32_e32 v2, v2, v8
	v_mul_f32_e32 v163, v6, v131
	v_fmac_f32_e32 v162, v117, v145
	v_add_f32_e32 v3, v3, v161
	s_waitcnt vmcnt(2)
	v_fma_f32 v4, v6, v146, -v4
	v_add_f32_e32 v2, v2, v5
	v_fmac_f32_e32 v163, v7, v146
	v_add_f32_e32 v3, v3, v162
	v_add_f32_e32 v2, v2, v4
	;; [unrolled: 1-line block ×3, first 2 shown]
	s_waitcnt vmcnt(1)
	v_sub_f32_e32 v2, v147, v2
	s_waitcnt vmcnt(0)
	v_sub_f32_e32 v3, v148, v3
	buffer_store_dword v2, off, s[0:3], 0 offset:208
	buffer_store_dword v3, off, s[0:3], 0 offset:212
	v_cmpx_lt_u32_e32 25, v0
	s_cbranch_execz .LBB105_215
; %bb.214:
	s_clause 0x1
	buffer_load_dword v2, off, s[0:3], 0 offset:200
	buffer_load_dword v3, off, s[0:3], 0 offset:204
	buffer_store_dword v1, off, s[0:3], 0 offset:200
	buffer_store_dword v1, off, s[0:3], 0 offset:204
	s_waitcnt vmcnt(0)
	ds_write_b64 v93, v[2:3]
.LBB105_215:
	s_or_b32 exec_lo, exec_lo, s4
	s_waitcnt lgkmcnt(0)
	s_waitcnt_vscnt null, 0x0
	s_barrier
	buffer_gl0_inv
	s_clause 0x21
	buffer_load_dword v6, off, s[0:3], 0 offset:212
	buffer_load_dword v7, off, s[0:3], 0 offset:220
	;; [unrolled: 1-line block ×34, first 2 shown]
	ds_read_b128 v[2:5], v1 offset:544
	ds_read_b128 v[94:97], v1 offset:560
	;; [unrolled: 1-line block ×8, first 2 shown]
	s_mov_b32 s4, exec_lo
	s_waitcnt vmcnt(33) lgkmcnt(7)
	v_mul_f32_e32 v1, v2, v6
	v_mul_f32_e32 v6, v3, v6
	s_waitcnt vmcnt(32)
	v_mul_f32_e32 v153, v4, v7
	v_mul_f32_e32 v7, v5, v7
	s_waitcnt vmcnt(31) lgkmcnt(6)
	v_mul_f32_e32 v154, v94, v8
	s_waitcnt vmcnt(30)
	v_mul_f32_e32 v155, v96, v122
	s_waitcnt vmcnt(29) lgkmcnt(5)
	v_mul_f32_e32 v156, v98, v123
	s_waitcnt vmcnt(28)
	;; [unrolled: 4-line block ×6, first 2 shown]
	v_mul_f32_e32 v165, v116, v132
	s_waitcnt vmcnt(17)
	v_fma_f32 v2, v2, v135, -v6
	v_fmac_f32_e32 v1, v3, v135
	v_mul_f32_e32 v3, v95, v8
	s_waitcnt vmcnt(16)
	v_fma_f32 v4, v4, v136, -v7
	v_fmac_f32_e32 v153, v5, v136
	v_add_f32_e32 v2, 0, v2
	v_add_f32_e32 v1, 0, v1
	v_mul_f32_e32 v5, v97, v122
	s_waitcnt vmcnt(15)
	v_fma_f32 v3, v94, v137, -v3
	v_fmac_f32_e32 v154, v95, v137
	v_add_f32_e32 v2, v2, v4
	v_add_f32_e32 v1, v1, v153
	;; [unrolled: 6-line block ×12, first 2 shown]
	s_waitcnt lgkmcnt(0)
	v_mul_f32_e32 v3, v119, v133
	s_waitcnt vmcnt(4)
	v_fma_f32 v4, v116, v148, -v4
	v_mul_f32_e32 v166, v118, v133
	v_add_f32_e32 v2, v2, v5
	v_fmac_f32_e32 v165, v117, v148
	v_add_f32_e32 v1, v1, v164
	v_mul_f32_e32 v5, v121, v134
	s_waitcnt vmcnt(3)
	v_fma_f32 v3, v118, v149, -v3
	v_add_f32_e32 v2, v2, v4
	v_mul_f32_e32 v167, v120, v134
	v_fmac_f32_e32 v166, v119, v149
	v_add_f32_e32 v1, v1, v165
	s_waitcnt vmcnt(2)
	v_fma_f32 v4, v120, v150, -v5
	v_add_f32_e32 v2, v2, v3
	v_fmac_f32_e32 v167, v121, v150
	v_add_f32_e32 v1, v1, v166
	v_add_f32_e32 v2, v2, v4
	;; [unrolled: 1-line block ×3, first 2 shown]
	s_waitcnt vmcnt(1)
	v_sub_f32_e32 v2, v151, v2
	s_waitcnt vmcnt(0)
	v_sub_f32_e32 v1, v152, v1
	buffer_store_dword v2, off, s[0:3], 0 offset:200
	buffer_store_dword v1, off, s[0:3], 0 offset:204
	v_cmpx_lt_u32_e32 24, v0
	s_cbranch_execz .LBB105_217
; %bb.216:
	s_clause 0x1
	buffer_load_dword v1, off, s[0:3], 0 offset:192
	buffer_load_dword v2, off, s[0:3], 0 offset:196
	v_mov_b32_e32 v3, 0
	buffer_store_dword v3, off, s[0:3], 0 offset:192
	buffer_store_dword v3, off, s[0:3], 0 offset:196
	s_waitcnt vmcnt(0)
	ds_write_b64 v93, v[1:2]
.LBB105_217:
	s_or_b32 exec_lo, exec_lo, s4
	s_waitcnt lgkmcnt(0)
	s_waitcnt_vscnt null, 0x0
	s_barrier
	buffer_gl0_inv
	s_clause 0x23
	buffer_load_dword v8, off, s[0:3], 0 offset:204
	buffer_load_dword v122, off, s[0:3], 0 offset:212
	;; [unrolled: 1-line block ×36, first 2 shown]
	v_mov_b32_e32 v1, 0
	ds_read2_b64 v[2:5], v1 offset0:67 offset1:68
	ds_read2_b64 v[94:97], v1 offset0:69 offset1:70
	;; [unrolled: 1-line block ×8, first 2 shown]
	ds_read_b64 v[6:7], v1 offset:664
	s_mov_b32 s4, exec_lo
	s_waitcnt vmcnt(35) lgkmcnt(8)
	v_mul_f32_e32 v157, v2, v8
	v_mul_f32_e32 v8, v3, v8
	s_waitcnt vmcnt(34)
	v_mul_f32_e32 v158, v4, v122
	v_mul_f32_e32 v122, v5, v122
	s_waitcnt vmcnt(33) lgkmcnt(7)
	v_mul_f32_e32 v159, v94, v123
	s_waitcnt vmcnt(32)
	v_mul_f32_e32 v160, v96, v124
	s_waitcnt vmcnt(31) lgkmcnt(6)
	v_mul_f32_e32 v161, v98, v125
	s_waitcnt vmcnt(30)
	;; [unrolled: 4-line block ×7, first 2 shown]
	v_fma_f32 v2, v2, v138, -v8
	v_fmac_f32_e32 v157, v3, v138
	v_mul_f32_e32 v3, v95, v123
	s_waitcnt vmcnt(17)
	v_fma_f32 v4, v4, v139, -v122
	v_fmac_f32_e32 v158, v5, v139
	v_add_f32_e32 v2, 0, v2
	v_add_f32_e32 v5, 0, v157
	v_mul_f32_e32 v8, v97, v124
	s_waitcnt vmcnt(16)
	v_fma_f32 v3, v94, v140, -v3
	v_fmac_f32_e32 v159, v95, v140
	v_add_f32_e32 v2, v2, v4
	v_add_f32_e32 v4, v5, v158
	;; [unrolled: 6-line block ×13, first 2 shown]
	v_mul_f32_e32 v8, v121, v136
	s_waitcnt vmcnt(4)
	v_fma_f32 v4, v118, v152, -v4
	v_mul_f32_e32 v172, v120, v136
	v_add_f32_e32 v2, v2, v5
	v_fmac_f32_e32 v171, v119, v152
	v_add_f32_e32 v3, v3, v170
	s_waitcnt lgkmcnt(0)
	v_mul_f32_e32 v5, v7, v137
	s_waitcnt vmcnt(3)
	v_fma_f32 v8, v120, v153, -v8
	v_add_f32_e32 v2, v2, v4
	v_mul_f32_e32 v173, v6, v137
	v_fmac_f32_e32 v172, v121, v153
	v_add_f32_e32 v3, v3, v171
	s_waitcnt vmcnt(2)
	v_fma_f32 v4, v6, v154, -v5
	v_add_f32_e32 v2, v2, v8
	v_fmac_f32_e32 v173, v7, v154
	v_add_f32_e32 v3, v3, v172
	v_add_f32_e32 v2, v2, v4
	;; [unrolled: 1-line block ×3, first 2 shown]
	s_waitcnt vmcnt(1)
	v_sub_f32_e32 v2, v155, v2
	s_waitcnt vmcnt(0)
	v_sub_f32_e32 v3, v156, v3
	buffer_store_dword v2, off, s[0:3], 0 offset:192
	buffer_store_dword v3, off, s[0:3], 0 offset:196
	v_cmpx_lt_u32_e32 23, v0
	s_cbranch_execz .LBB105_219
; %bb.218:
	s_clause 0x1
	buffer_load_dword v2, off, s[0:3], 0 offset:184
	buffer_load_dword v3, off, s[0:3], 0 offset:188
	buffer_store_dword v1, off, s[0:3], 0 offset:184
	buffer_store_dword v1, off, s[0:3], 0 offset:188
	s_waitcnt vmcnt(0)
	ds_write_b64 v93, v[2:3]
.LBB105_219:
	s_or_b32 exec_lo, exec_lo, s4
	s_waitcnt lgkmcnt(0)
	s_waitcnt_vscnt null, 0x0
	s_barrier
	buffer_gl0_inv
	s_clause 0x25
	buffer_load_dword v6, off, s[0:3], 0 offset:196
	buffer_load_dword v7, off, s[0:3], 0 offset:204
	;; [unrolled: 1-line block ×38, first 2 shown]
	ds_read_b128 v[2:5], v1 offset:528
	ds_read_b128 v[94:97], v1 offset:544
	;; [unrolled: 1-line block ×9, first 2 shown]
	s_mov_b32 s4, exec_lo
	s_waitcnt vmcnt(37) lgkmcnt(8)
	v_mul_f32_e32 v1, v2, v6
	v_mul_f32_e32 v6, v3, v6
	s_waitcnt vmcnt(36)
	v_mul_f32_e32 v161, v4, v7
	v_mul_f32_e32 v7, v5, v7
	s_waitcnt vmcnt(35) lgkmcnt(7)
	v_mul_f32_e32 v162, v94, v8
	s_waitcnt vmcnt(34)
	v_mul_f32_e32 v163, v96, v126
	s_waitcnt vmcnt(33) lgkmcnt(6)
	v_mul_f32_e32 v164, v98, v127
	s_waitcnt vmcnt(32)
	;; [unrolled: 4-line block ×7, first 2 shown]
	v_mul_f32_e32 v175, v120, v138
	s_waitcnt vmcnt(19)
	v_fma_f32 v2, v2, v141, -v6
	v_fmac_f32_e32 v1, v3, v141
	v_mul_f32_e32 v3, v95, v8
	s_waitcnt vmcnt(18)
	v_fma_f32 v4, v4, v142, -v7
	v_fmac_f32_e32 v161, v5, v142
	v_add_f32_e32 v2, 0, v2
	v_add_f32_e32 v1, 0, v1
	v_mul_f32_e32 v5, v97, v126
	s_waitcnt vmcnt(17)
	v_fma_f32 v3, v94, v143, -v3
	v_fmac_f32_e32 v162, v95, v143
	v_add_f32_e32 v2, v2, v4
	v_add_f32_e32 v1, v1, v161
	;; [unrolled: 6-line block ×14, first 2 shown]
	s_waitcnt lgkmcnt(0)
	v_mul_f32_e32 v4, v123, v139
	s_waitcnt vmcnt(4)
	v_fma_f32 v5, v120, v156, -v5
	v_mul_f32_e32 v176, v122, v139
	v_add_f32_e32 v2, v2, v3
	v_fmac_f32_e32 v175, v121, v156
	v_add_f32_e32 v1, v1, v174
	v_mul_f32_e32 v3, v125, v140
	s_waitcnt vmcnt(3)
	v_fma_f32 v4, v122, v157, -v4
	v_add_f32_e32 v2, v2, v5
	v_mul_f32_e32 v177, v124, v140
	v_fmac_f32_e32 v176, v123, v157
	v_add_f32_e32 v1, v1, v175
	s_waitcnt vmcnt(2)
	v_fma_f32 v3, v124, v158, -v3
	v_add_f32_e32 v2, v2, v4
	v_fmac_f32_e32 v177, v125, v158
	v_add_f32_e32 v1, v1, v176
	v_add_f32_e32 v2, v2, v3
	v_add_f32_e32 v1, v1, v177
	s_waitcnt vmcnt(1)
	v_sub_f32_e32 v2, v159, v2
	s_waitcnt vmcnt(0)
	v_sub_f32_e32 v1, v160, v1
	buffer_store_dword v2, off, s[0:3], 0 offset:184
	buffer_store_dword v1, off, s[0:3], 0 offset:188
	v_cmpx_lt_u32_e32 22, v0
	s_cbranch_execz .LBB105_221
; %bb.220:
	s_clause 0x1
	buffer_load_dword v1, off, s[0:3], 0 offset:176
	buffer_load_dword v2, off, s[0:3], 0 offset:180
	v_mov_b32_e32 v3, 0
	buffer_store_dword v3, off, s[0:3], 0 offset:176
	buffer_store_dword v3, off, s[0:3], 0 offset:180
	s_waitcnt vmcnt(0)
	ds_write_b64 v93, v[1:2]
.LBB105_221:
	s_or_b32 exec_lo, exec_lo, s4
	s_waitcnt lgkmcnt(0)
	s_waitcnt_vscnt null, 0x0
	s_barrier
	buffer_gl0_inv
	s_clause 0x27
	buffer_load_dword v8, off, s[0:3], 0 offset:188
	buffer_load_dword v126, off, s[0:3], 0 offset:196
	;; [unrolled: 1-line block ×40, first 2 shown]
	v_mov_b32_e32 v1, 0
	ds_read2_b64 v[2:5], v1 offset0:65 offset1:66
	ds_read2_b64 v[94:97], v1 offset0:67 offset1:68
	;; [unrolled: 1-line block ×9, first 2 shown]
	ds_read_b64 v[6:7], v1 offset:664
	s_mov_b32 s4, exec_lo
	s_waitcnt vmcnt(39) lgkmcnt(9)
	v_mul_f32_e32 v165, v2, v8
	v_mul_f32_e32 v8, v3, v8
	s_waitcnt vmcnt(38)
	v_mul_f32_e32 v166, v4, v126
	v_mul_f32_e32 v126, v5, v126
	s_waitcnt vmcnt(37) lgkmcnt(8)
	v_mul_f32_e32 v167, v94, v127
	s_waitcnt vmcnt(36)
	v_mul_f32_e32 v168, v96, v128
	s_waitcnt vmcnt(35) lgkmcnt(7)
	v_mul_f32_e32 v169, v98, v129
	s_waitcnt vmcnt(34)
	;; [unrolled: 4-line block ×8, first 2 shown]
	v_fma_f32 v2, v2, v144, -v8
	v_fmac_f32_e32 v165, v3, v144
	v_mul_f32_e32 v3, v95, v127
	s_waitcnt vmcnt(19)
	v_fma_f32 v4, v4, v145, -v126
	v_fmac_f32_e32 v166, v5, v145
	v_add_f32_e32 v2, 0, v2
	v_add_f32_e32 v5, 0, v165
	v_mul_f32_e32 v8, v97, v128
	s_waitcnt vmcnt(18)
	v_fma_f32 v3, v94, v146, -v3
	v_fmac_f32_e32 v167, v95, v146
	v_add_f32_e32 v2, v2, v4
	v_add_f32_e32 v4, v5, v166
	;; [unrolled: 6-line block ×15, first 2 shown]
	v_mul_f32_e32 v4, v125, v142
	s_waitcnt vmcnt(4)
	v_fma_f32 v5, v122, v160, -v5
	v_mul_f32_e32 v182, v124, v142
	v_add_f32_e32 v2, v2, v8
	v_fmac_f32_e32 v181, v123, v160
	v_add_f32_e32 v3, v3, v180
	s_waitcnt lgkmcnt(0)
	v_mul_f32_e32 v8, v7, v143
	s_waitcnt vmcnt(3)
	v_fma_f32 v4, v124, v161, -v4
	v_add_f32_e32 v2, v2, v5
	v_mul_f32_e32 v183, v6, v143
	v_fmac_f32_e32 v182, v125, v161
	v_add_f32_e32 v3, v3, v181
	s_waitcnt vmcnt(2)
	v_fma_f32 v5, v6, v162, -v8
	v_add_f32_e32 v2, v2, v4
	v_fmac_f32_e32 v183, v7, v162
	v_add_f32_e32 v3, v3, v182
	v_add_f32_e32 v2, v2, v5
	v_add_f32_e32 v3, v3, v183
	s_waitcnt vmcnt(1)
	v_sub_f32_e32 v2, v163, v2
	s_waitcnt vmcnt(0)
	v_sub_f32_e32 v3, v164, v3
	buffer_store_dword v2, off, s[0:3], 0 offset:176
	buffer_store_dword v3, off, s[0:3], 0 offset:180
	v_cmpx_lt_u32_e32 21, v0
	s_cbranch_execz .LBB105_223
; %bb.222:
	s_clause 0x1
	buffer_load_dword v2, off, s[0:3], 0 offset:168
	buffer_load_dword v3, off, s[0:3], 0 offset:172
	buffer_store_dword v1, off, s[0:3], 0 offset:168
	buffer_store_dword v1, off, s[0:3], 0 offset:172
	s_waitcnt vmcnt(0)
	ds_write_b64 v93, v[2:3]
.LBB105_223:
	s_or_b32 exec_lo, exec_lo, s4
	s_waitcnt lgkmcnt(0)
	s_waitcnt_vscnt null, 0x0
	s_barrier
	buffer_gl0_inv
	s_clause 0x29
	buffer_load_dword v6, off, s[0:3], 0 offset:180
	buffer_load_dword v7, off, s[0:3], 0 offset:188
	;; [unrolled: 1-line block ×42, first 2 shown]
	ds_read_b128 v[2:5], v1 offset:512
	ds_read_b128 v[94:97], v1 offset:528
	;; [unrolled: 1-line block ×10, first 2 shown]
	s_mov_b32 s4, exec_lo
	s_waitcnt vmcnt(41) lgkmcnt(9)
	v_mul_f32_e32 v1, v2, v6
	v_mul_f32_e32 v6, v3, v6
	s_waitcnt vmcnt(40)
	v_mul_f32_e32 v169, v4, v7
	v_mul_f32_e32 v7, v5, v7
	s_waitcnt vmcnt(39) lgkmcnt(8)
	v_mul_f32_e32 v170, v94, v8
	s_waitcnt vmcnt(38)
	v_mul_f32_e32 v171, v96, v130
	s_waitcnt vmcnt(37) lgkmcnt(7)
	v_mul_f32_e32 v172, v98, v131
	s_waitcnt vmcnt(36)
	;; [unrolled: 4-line block ×8, first 2 shown]
	v_mul_f32_e32 v185, v124, v144
	s_waitcnt vmcnt(21)
	v_fma_f32 v2, v2, v147, -v6
	v_fmac_f32_e32 v1, v3, v147
	v_mul_f32_e32 v3, v95, v8
	s_waitcnt vmcnt(20)
	v_fma_f32 v4, v4, v148, -v7
	v_fmac_f32_e32 v169, v5, v148
	v_add_f32_e32 v2, 0, v2
	v_add_f32_e32 v1, 0, v1
	v_mul_f32_e32 v5, v97, v130
	s_waitcnt vmcnt(19)
	v_fma_f32 v3, v94, v149, -v3
	v_fmac_f32_e32 v170, v95, v149
	v_add_f32_e32 v2, v2, v4
	v_add_f32_e32 v1, v1, v169
	;; [unrolled: 6-line block ×16, first 2 shown]
	s_waitcnt lgkmcnt(0)
	v_mul_f32_e32 v5, v127, v145
	s_waitcnt vmcnt(4)
	v_fma_f32 v3, v124, v164, -v3
	v_mul_f32_e32 v186, v126, v145
	v_add_f32_e32 v2, v2, v4
	v_fmac_f32_e32 v185, v125, v164
	v_add_f32_e32 v1, v1, v184
	v_mul_f32_e32 v4, v129, v146
	s_waitcnt vmcnt(3)
	v_fma_f32 v5, v126, v165, -v5
	v_add_f32_e32 v2, v2, v3
	v_mul_f32_e32 v187, v128, v146
	v_fmac_f32_e32 v186, v127, v165
	v_add_f32_e32 v1, v1, v185
	s_waitcnt vmcnt(2)
	v_fma_f32 v3, v128, v166, -v4
	v_add_f32_e32 v2, v2, v5
	v_fmac_f32_e32 v187, v129, v166
	v_add_f32_e32 v1, v1, v186
	v_add_f32_e32 v2, v2, v3
	v_add_f32_e32 v1, v1, v187
	s_waitcnt vmcnt(1)
	v_sub_f32_e32 v2, v167, v2
	s_waitcnt vmcnt(0)
	v_sub_f32_e32 v1, v168, v1
	buffer_store_dword v2, off, s[0:3], 0 offset:168
	buffer_store_dword v1, off, s[0:3], 0 offset:172
	v_cmpx_lt_u32_e32 20, v0
	s_cbranch_execz .LBB105_225
; %bb.224:
	s_clause 0x1
	buffer_load_dword v1, off, s[0:3], 0 offset:160
	buffer_load_dword v2, off, s[0:3], 0 offset:164
	v_mov_b32_e32 v3, 0
	buffer_store_dword v3, off, s[0:3], 0 offset:160
	buffer_store_dword v3, off, s[0:3], 0 offset:164
	s_waitcnt vmcnt(0)
	ds_write_b64 v93, v[1:2]
.LBB105_225:
	s_or_b32 exec_lo, exec_lo, s4
	s_waitcnt lgkmcnt(0)
	s_waitcnt_vscnt null, 0x0
	s_barrier
	buffer_gl0_inv
	s_clause 0x2b
	buffer_load_dword v8, off, s[0:3], 0 offset:172
	buffer_load_dword v130, off, s[0:3], 0 offset:180
	;; [unrolled: 1-line block ×44, first 2 shown]
	v_mov_b32_e32 v1, 0
	ds_read2_b64 v[2:5], v1 offset0:63 offset1:64
	ds_read2_b64 v[94:97], v1 offset0:65 offset1:66
	;; [unrolled: 1-line block ×10, first 2 shown]
	ds_read_b64 v[6:7], v1 offset:664
	s_mov_b32 s4, exec_lo
	s_waitcnt vmcnt(43) lgkmcnt(10)
	v_mul_f32_e32 v173, v2, v8
	v_mul_f32_e32 v8, v3, v8
	s_waitcnt vmcnt(42)
	v_mul_f32_e32 v174, v4, v130
	v_mul_f32_e32 v130, v5, v130
	s_waitcnt vmcnt(41) lgkmcnt(9)
	v_mul_f32_e32 v175, v94, v131
	s_waitcnt vmcnt(40)
	v_mul_f32_e32 v176, v96, v132
	s_waitcnt vmcnt(39) lgkmcnt(8)
	v_mul_f32_e32 v177, v98, v133
	s_waitcnt vmcnt(38)
	;; [unrolled: 4-line block ×9, first 2 shown]
	v_fma_f32 v2, v2, v150, -v8
	v_fmac_f32_e32 v173, v3, v150
	v_mul_f32_e32 v3, v95, v131
	s_waitcnt vmcnt(21)
	v_fma_f32 v4, v4, v151, -v130
	v_fmac_f32_e32 v174, v5, v151
	v_add_f32_e32 v2, 0, v2
	v_add_f32_e32 v5, 0, v173
	v_mul_f32_e32 v8, v97, v132
	s_waitcnt vmcnt(20)
	v_fma_f32 v3, v94, v152, -v3
	v_fmac_f32_e32 v175, v95, v152
	v_add_f32_e32 v2, v2, v4
	v_add_f32_e32 v4, v5, v174
	;; [unrolled: 6-line block ×17, first 2 shown]
	v_mul_f32_e32 v5, v129, v148
	s_waitcnt vmcnt(4)
	v_fma_f32 v8, v126, v168, -v8
	v_mul_f32_e32 v192, v128, v148
	v_add_f32_e32 v2, v2, v4
	v_fmac_f32_e32 v191, v127, v168
	v_add_f32_e32 v3, v3, v190
	s_waitcnt lgkmcnt(0)
	v_mul_f32_e32 v4, v7, v149
	s_waitcnt vmcnt(3)
	v_fma_f32 v5, v128, v169, -v5
	v_add_f32_e32 v2, v2, v8
	v_mul_f32_e32 v193, v6, v149
	v_fmac_f32_e32 v192, v129, v169
	v_add_f32_e32 v3, v3, v191
	s_waitcnt vmcnt(2)
	v_fma_f32 v4, v6, v170, -v4
	v_add_f32_e32 v2, v2, v5
	v_fmac_f32_e32 v193, v7, v170
	v_add_f32_e32 v3, v3, v192
	v_add_f32_e32 v2, v2, v4
	;; [unrolled: 1-line block ×3, first 2 shown]
	s_waitcnt vmcnt(1)
	v_sub_f32_e32 v2, v171, v2
	s_waitcnt vmcnt(0)
	v_sub_f32_e32 v3, v172, v3
	buffer_store_dword v2, off, s[0:3], 0 offset:160
	buffer_store_dword v3, off, s[0:3], 0 offset:164
	v_cmpx_lt_u32_e32 19, v0
	s_cbranch_execz .LBB105_227
; %bb.226:
	s_clause 0x1
	buffer_load_dword v2, off, s[0:3], 0 offset:152
	buffer_load_dword v3, off, s[0:3], 0 offset:156
	buffer_store_dword v1, off, s[0:3], 0 offset:152
	buffer_store_dword v1, off, s[0:3], 0 offset:156
	s_waitcnt vmcnt(0)
	ds_write_b64 v93, v[2:3]
.LBB105_227:
	s_or_b32 exec_lo, exec_lo, s4
	s_waitcnt lgkmcnt(0)
	s_waitcnt_vscnt null, 0x0
	s_barrier
	buffer_gl0_inv
	s_clause 0x2d
	buffer_load_dword v6, off, s[0:3], 0 offset:164
	buffer_load_dword v7, off, s[0:3], 0 offset:172
	;; [unrolled: 1-line block ×46, first 2 shown]
	ds_read_b128 v[2:5], v1 offset:496
	ds_read_b128 v[94:97], v1 offset:512
	;; [unrolled: 1-line block ×11, first 2 shown]
	s_mov_b32 s4, exec_lo
	s_waitcnt vmcnt(45) lgkmcnt(10)
	v_mul_f32_e32 v1, v2, v6
	v_mul_f32_e32 v6, v3, v6
	s_waitcnt vmcnt(44)
	v_mul_f32_e32 v177, v4, v7
	v_mul_f32_e32 v7, v5, v7
	s_waitcnt vmcnt(43) lgkmcnt(9)
	v_mul_f32_e32 v178, v94, v8
	s_waitcnt vmcnt(42)
	v_mul_f32_e32 v179, v96, v134
	s_waitcnt vmcnt(41) lgkmcnt(8)
	v_mul_f32_e32 v180, v98, v135
	s_waitcnt vmcnt(40)
	;; [unrolled: 4-line block ×9, first 2 shown]
	v_mul_f32_e32 v195, v128, v150
	s_waitcnt vmcnt(23)
	v_fma_f32 v2, v2, v153, -v6
	v_fmac_f32_e32 v1, v3, v153
	v_mul_f32_e32 v3, v95, v8
	s_waitcnt vmcnt(22)
	v_fma_f32 v4, v4, v154, -v7
	v_fmac_f32_e32 v177, v5, v154
	v_add_f32_e32 v2, 0, v2
	v_add_f32_e32 v1, 0, v1
	v_mul_f32_e32 v5, v97, v134
	s_waitcnt vmcnt(21)
	v_fma_f32 v3, v94, v155, -v3
	v_fmac_f32_e32 v178, v95, v155
	v_add_f32_e32 v2, v2, v4
	v_add_f32_e32 v1, v1, v177
	;; [unrolled: 6-line block ×18, first 2 shown]
	s_waitcnt lgkmcnt(0)
	v_mul_f32_e32 v3, v131, v151
	s_waitcnt vmcnt(4)
	v_fma_f32 v4, v128, v172, -v4
	v_mul_f32_e32 v196, v130, v151
	v_add_f32_e32 v2, v2, v5
	v_fmac_f32_e32 v195, v129, v172
	v_add_f32_e32 v1, v1, v194
	v_mul_f32_e32 v5, v133, v152
	s_waitcnt vmcnt(3)
	v_fma_f32 v3, v130, v173, -v3
	v_add_f32_e32 v2, v2, v4
	v_mul_f32_e32 v197, v132, v152
	v_fmac_f32_e32 v196, v131, v173
	v_add_f32_e32 v1, v1, v195
	s_waitcnt vmcnt(2)
	v_fma_f32 v4, v132, v174, -v5
	v_add_f32_e32 v2, v2, v3
	v_fmac_f32_e32 v197, v133, v174
	v_add_f32_e32 v1, v1, v196
	v_add_f32_e32 v2, v2, v4
	;; [unrolled: 1-line block ×3, first 2 shown]
	s_waitcnt vmcnt(1)
	v_sub_f32_e32 v2, v175, v2
	s_waitcnt vmcnt(0)
	v_sub_f32_e32 v1, v176, v1
	buffer_store_dword v2, off, s[0:3], 0 offset:152
	buffer_store_dword v1, off, s[0:3], 0 offset:156
	v_cmpx_lt_u32_e32 18, v0
	s_cbranch_execz .LBB105_229
; %bb.228:
	s_clause 0x1
	buffer_load_dword v1, off, s[0:3], 0 offset:144
	buffer_load_dword v2, off, s[0:3], 0 offset:148
	v_mov_b32_e32 v3, 0
	buffer_store_dword v3, off, s[0:3], 0 offset:144
	buffer_store_dword v3, off, s[0:3], 0 offset:148
	s_waitcnt vmcnt(0)
	ds_write_b64 v93, v[1:2]
.LBB105_229:
	s_or_b32 exec_lo, exec_lo, s4
	s_waitcnt lgkmcnt(0)
	s_waitcnt_vscnt null, 0x0
	s_barrier
	buffer_gl0_inv
	s_clause 0x2f
	buffer_load_dword v8, off, s[0:3], 0 offset:156
	buffer_load_dword v134, off, s[0:3], 0 offset:164
	;; [unrolled: 1-line block ×48, first 2 shown]
	v_mov_b32_e32 v1, 0
	ds_read2_b64 v[2:5], v1 offset0:61 offset1:62
	ds_read2_b64 v[94:97], v1 offset0:63 offset1:64
	;; [unrolled: 1-line block ×11, first 2 shown]
	ds_read_b64 v[6:7], v1 offset:664
	s_mov_b32 s4, exec_lo
	s_waitcnt vmcnt(47) lgkmcnt(11)
	v_mul_f32_e32 v181, v2, v8
	v_mul_f32_e32 v8, v3, v8
	s_waitcnt vmcnt(46)
	v_mul_f32_e32 v182, v4, v134
	v_mul_f32_e32 v134, v5, v134
	s_waitcnt vmcnt(45) lgkmcnt(10)
	v_mul_f32_e32 v183, v94, v135
	s_waitcnt vmcnt(44)
	v_mul_f32_e32 v184, v96, v136
	s_waitcnt vmcnt(43) lgkmcnt(9)
	v_mul_f32_e32 v185, v98, v137
	s_waitcnt vmcnt(42)
	;; [unrolled: 4-line block ×10, first 2 shown]
	v_fma_f32 v2, v2, v156, -v8
	v_fmac_f32_e32 v181, v3, v156
	v_mul_f32_e32 v3, v95, v135
	s_waitcnt vmcnt(23)
	v_fma_f32 v4, v4, v157, -v134
	v_fmac_f32_e32 v182, v5, v157
	v_add_f32_e32 v2, 0, v2
	v_add_f32_e32 v5, 0, v181
	v_mul_f32_e32 v8, v97, v136
	s_waitcnt vmcnt(22)
	v_fma_f32 v3, v94, v158, -v3
	v_fmac_f32_e32 v183, v95, v158
	v_add_f32_e32 v2, v2, v4
	v_add_f32_e32 v4, v5, v182
	;; [unrolled: 6-line block ×19, first 2 shown]
	v_mul_f32_e32 v8, v133, v154
	s_waitcnt vmcnt(4)
	v_fma_f32 v4, v130, v176, -v4
	v_mul_f32_e32 v202, v132, v154
	v_add_f32_e32 v2, v2, v5
	v_fmac_f32_e32 v201, v131, v176
	v_add_f32_e32 v3, v3, v200
	s_waitcnt lgkmcnt(0)
	v_mul_f32_e32 v5, v7, v155
	s_waitcnt vmcnt(3)
	v_fma_f32 v8, v132, v177, -v8
	v_add_f32_e32 v2, v2, v4
	v_mul_f32_e32 v203, v6, v155
	v_fmac_f32_e32 v202, v133, v177
	v_add_f32_e32 v3, v3, v201
	s_waitcnt vmcnt(2)
	v_fma_f32 v4, v6, v178, -v5
	v_add_f32_e32 v2, v2, v8
	v_fmac_f32_e32 v203, v7, v178
	v_add_f32_e32 v3, v3, v202
	v_add_f32_e32 v2, v2, v4
	;; [unrolled: 1-line block ×3, first 2 shown]
	s_waitcnt vmcnt(1)
	v_sub_f32_e32 v2, v179, v2
	s_waitcnt vmcnt(0)
	v_sub_f32_e32 v3, v180, v3
	buffer_store_dword v2, off, s[0:3], 0 offset:144
	buffer_store_dword v3, off, s[0:3], 0 offset:148
	v_cmpx_lt_u32_e32 17, v0
	s_cbranch_execz .LBB105_231
; %bb.230:
	s_clause 0x1
	buffer_load_dword v2, off, s[0:3], 0 offset:136
	buffer_load_dword v3, off, s[0:3], 0 offset:140
	buffer_store_dword v1, off, s[0:3], 0 offset:136
	buffer_store_dword v1, off, s[0:3], 0 offset:140
	s_waitcnt vmcnt(0)
	ds_write_b64 v93, v[2:3]
.LBB105_231:
	s_or_b32 exec_lo, exec_lo, s4
	s_waitcnt lgkmcnt(0)
	s_waitcnt_vscnt null, 0x0
	s_barrier
	buffer_gl0_inv
	s_clause 0x31
	buffer_load_dword v6, off, s[0:3], 0 offset:148
	buffer_load_dword v7, off, s[0:3], 0 offset:156
	;; [unrolled: 1-line block ×50, first 2 shown]
	ds_read_b128 v[2:5], v1 offset:480
	ds_read_b128 v[94:97], v1 offset:496
	;; [unrolled: 1-line block ×12, first 2 shown]
	s_mov_b32 s4, exec_lo
	s_waitcnt vmcnt(49) lgkmcnt(11)
	v_mul_f32_e32 v1, v2, v6
	v_mul_f32_e32 v6, v3, v6
	s_waitcnt vmcnt(48)
	v_mul_f32_e32 v185, v4, v7
	v_mul_f32_e32 v7, v5, v7
	s_waitcnt vmcnt(47) lgkmcnt(10)
	v_mul_f32_e32 v186, v94, v8
	s_waitcnt vmcnt(46)
	v_mul_f32_e32 v187, v96, v138
	s_waitcnt vmcnt(45) lgkmcnt(9)
	v_mul_f32_e32 v188, v98, v139
	s_waitcnt vmcnt(44)
	;; [unrolled: 4-line block ×10, first 2 shown]
	v_mul_f32_e32 v205, v132, v156
	s_waitcnt vmcnt(25)
	v_fma_f32 v2, v2, v159, -v6
	v_fmac_f32_e32 v1, v3, v159
	v_mul_f32_e32 v3, v95, v8
	s_waitcnt vmcnt(24)
	v_fma_f32 v4, v4, v160, -v7
	v_fmac_f32_e32 v185, v5, v160
	v_add_f32_e32 v2, 0, v2
	v_add_f32_e32 v1, 0, v1
	v_mul_f32_e32 v5, v97, v138
	s_waitcnt vmcnt(23)
	v_fma_f32 v3, v94, v161, -v3
	v_fmac_f32_e32 v186, v95, v161
	v_add_f32_e32 v2, v2, v4
	v_add_f32_e32 v1, v1, v185
	;; [unrolled: 6-line block ×20, first 2 shown]
	s_waitcnt lgkmcnt(0)
	v_mul_f32_e32 v4, v135, v157
	s_waitcnt vmcnt(4)
	v_fma_f32 v5, v132, v180, -v5
	v_mul_f32_e32 v206, v134, v157
	v_add_f32_e32 v2, v2, v3
	v_fmac_f32_e32 v205, v133, v180
	v_add_f32_e32 v1, v1, v204
	v_mul_f32_e32 v3, v137, v158
	s_waitcnt vmcnt(3)
	v_fma_f32 v4, v134, v181, -v4
	v_add_f32_e32 v2, v2, v5
	v_mul_f32_e32 v207, v136, v158
	v_fmac_f32_e32 v206, v135, v181
	v_add_f32_e32 v1, v1, v205
	s_waitcnt vmcnt(2)
	v_fma_f32 v3, v136, v182, -v3
	v_add_f32_e32 v2, v2, v4
	v_fmac_f32_e32 v207, v137, v182
	v_add_f32_e32 v1, v1, v206
	v_add_f32_e32 v2, v2, v3
	;; [unrolled: 1-line block ×3, first 2 shown]
	s_waitcnt vmcnt(1)
	v_sub_f32_e32 v2, v183, v2
	s_waitcnt vmcnt(0)
	v_sub_f32_e32 v1, v184, v1
	buffer_store_dword v2, off, s[0:3], 0 offset:136
	buffer_store_dword v1, off, s[0:3], 0 offset:140
	v_cmpx_lt_u32_e32 16, v0
	s_cbranch_execz .LBB105_233
; %bb.232:
	s_clause 0x1
	buffer_load_dword v1, off, s[0:3], 0 offset:128
	buffer_load_dword v2, off, s[0:3], 0 offset:132
	v_mov_b32_e32 v3, 0
	buffer_store_dword v3, off, s[0:3], 0 offset:128
	buffer_store_dword v3, off, s[0:3], 0 offset:132
	s_waitcnt vmcnt(0)
	ds_write_b64 v93, v[1:2]
.LBB105_233:
	s_or_b32 exec_lo, exec_lo, s4
	s_waitcnt lgkmcnt(0)
	s_waitcnt_vscnt null, 0x0
	s_barrier
	buffer_gl0_inv
	s_clause 0x33
	buffer_load_dword v8, off, s[0:3], 0 offset:140
	buffer_load_dword v138, off, s[0:3], 0 offset:148
	;; [unrolled: 1-line block ×52, first 2 shown]
	v_mov_b32_e32 v1, 0
	ds_read2_b64 v[2:5], v1 offset0:59 offset1:60
	ds_read2_b64 v[94:97], v1 offset0:61 offset1:62
	ds_read2_b64 v[98:101], v1 offset0:63 offset1:64
	ds_read2_b64 v[102:105], v1 offset0:65 offset1:66
	ds_read2_b64 v[106:109], v1 offset0:67 offset1:68
	ds_read2_b64 v[110:113], v1 offset0:69 offset1:70
	ds_read2_b64 v[114:117], v1 offset0:71 offset1:72
	ds_read2_b64 v[118:121], v1 offset0:73 offset1:74
	ds_read2_b64 v[122:125], v1 offset0:75 offset1:76
	ds_read2_b64 v[126:129], v1 offset0:77 offset1:78
	ds_read2_b64 v[130:133], v1 offset0:79 offset1:80
	ds_read2_b64 v[134:137], v1 offset0:81 offset1:82
	ds_read_b64 v[6:7], v1 offset:664
	s_mov_b32 s4, exec_lo
	s_waitcnt vmcnt(51) lgkmcnt(12)
	v_mul_f32_e32 v189, v2, v8
	v_mul_f32_e32 v8, v3, v8
	s_waitcnt vmcnt(50)
	v_mul_f32_e32 v190, v4, v138
	v_mul_f32_e32 v138, v5, v138
	s_waitcnt vmcnt(49) lgkmcnt(11)
	v_mul_f32_e32 v191, v94, v139
	s_waitcnt vmcnt(48)
	v_mul_f32_e32 v192, v96, v140
	s_waitcnt vmcnt(47) lgkmcnt(10)
	v_mul_f32_e32 v193, v98, v141
	s_waitcnt vmcnt(46)
	;; [unrolled: 4-line block ×11, first 2 shown]
	v_fma_f32 v2, v2, v162, -v8
	v_fmac_f32_e32 v189, v3, v162
	v_mul_f32_e32 v3, v95, v139
	s_waitcnt vmcnt(25)
	v_fma_f32 v4, v4, v163, -v138
	v_fmac_f32_e32 v190, v5, v163
	v_add_f32_e32 v2, 0, v2
	v_add_f32_e32 v5, 0, v189
	v_mul_f32_e32 v8, v97, v140
	s_waitcnt vmcnt(24)
	v_fma_f32 v3, v94, v164, -v3
	v_fmac_f32_e32 v191, v95, v164
	v_add_f32_e32 v2, v2, v4
	v_add_f32_e32 v4, v5, v190
	;; [unrolled: 6-line block ×21, first 2 shown]
	v_mul_f32_e32 v4, v137, v160
	s_waitcnt vmcnt(4)
	v_fma_f32 v5, v134, v184, -v5
	v_mul_f32_e32 v212, v136, v160
	v_add_f32_e32 v2, v2, v8
	v_fmac_f32_e32 v211, v135, v184
	v_add_f32_e32 v3, v3, v210
	s_waitcnt lgkmcnt(0)
	v_mul_f32_e32 v8, v7, v161
	s_waitcnt vmcnt(3)
	v_fma_f32 v4, v136, v185, -v4
	v_add_f32_e32 v2, v2, v5
	v_mul_f32_e32 v213, v6, v161
	v_fmac_f32_e32 v212, v137, v185
	v_add_f32_e32 v3, v3, v211
	s_waitcnt vmcnt(2)
	v_fma_f32 v5, v6, v186, -v8
	v_add_f32_e32 v2, v2, v4
	v_fmac_f32_e32 v213, v7, v186
	v_add_f32_e32 v3, v3, v212
	v_add_f32_e32 v2, v2, v5
	;; [unrolled: 1-line block ×3, first 2 shown]
	s_waitcnt vmcnt(1)
	v_sub_f32_e32 v2, v187, v2
	s_waitcnt vmcnt(0)
	v_sub_f32_e32 v3, v188, v3
	buffer_store_dword v2, off, s[0:3], 0 offset:128
	buffer_store_dword v3, off, s[0:3], 0 offset:132
	v_cmpx_lt_u32_e32 15, v0
	s_cbranch_execz .LBB105_235
; %bb.234:
	s_clause 0x1
	buffer_load_dword v2, off, s[0:3], 0 offset:120
	buffer_load_dword v3, off, s[0:3], 0 offset:124
	buffer_store_dword v1, off, s[0:3], 0 offset:120
	buffer_store_dword v1, off, s[0:3], 0 offset:124
	s_waitcnt vmcnt(0)
	ds_write_b64 v93, v[2:3]
.LBB105_235:
	s_or_b32 exec_lo, exec_lo, s4
	s_waitcnt lgkmcnt(0)
	s_waitcnt_vscnt null, 0x0
	s_barrier
	buffer_gl0_inv
	s_clause 0x35
	buffer_load_dword v6, off, s[0:3], 0 offset:132
	buffer_load_dword v7, off, s[0:3], 0 offset:140
	;; [unrolled: 1-line block ×54, first 2 shown]
	ds_read_b128 v[2:5], v1 offset:464
	ds_read_b128 v[94:97], v1 offset:480
	;; [unrolled: 1-line block ×13, first 2 shown]
	s_mov_b32 s4, exec_lo
	s_waitcnt vmcnt(53) lgkmcnt(12)
	v_mul_f32_e32 v1, v2, v6
	v_mul_f32_e32 v6, v3, v6
	s_waitcnt vmcnt(52)
	v_mul_f32_e32 v193, v4, v7
	v_mul_f32_e32 v7, v5, v7
	s_waitcnt vmcnt(51) lgkmcnt(11)
	v_mul_f32_e32 v194, v94, v8
	s_waitcnt vmcnt(50)
	v_mul_f32_e32 v195, v96, v142
	s_waitcnt vmcnt(49) lgkmcnt(10)
	v_mul_f32_e32 v196, v98, v143
	s_waitcnt vmcnt(48)
	;; [unrolled: 4-line block ×11, first 2 shown]
	v_mul_f32_e32 v215, v136, v162
	s_waitcnt vmcnt(27)
	v_fma_f32 v2, v2, v165, -v6
	v_fmac_f32_e32 v1, v3, v165
	v_mul_f32_e32 v3, v95, v8
	s_waitcnt vmcnt(26)
	v_fma_f32 v4, v4, v166, -v7
	v_fmac_f32_e32 v193, v5, v166
	v_add_f32_e32 v2, 0, v2
	v_add_f32_e32 v1, 0, v1
	v_mul_f32_e32 v5, v97, v142
	s_waitcnt vmcnt(25)
	v_fma_f32 v3, v94, v167, -v3
	v_fmac_f32_e32 v194, v95, v167
	v_add_f32_e32 v2, v2, v4
	v_add_f32_e32 v1, v1, v193
	;; [unrolled: 6-line block ×22, first 2 shown]
	s_waitcnt lgkmcnt(0)
	v_mul_f32_e32 v5, v139, v163
	s_waitcnt vmcnt(4)
	v_fma_f32 v3, v136, v188, -v3
	v_mul_f32_e32 v216, v138, v163
	v_add_f32_e32 v2, v2, v4
	v_fmac_f32_e32 v215, v137, v188
	v_add_f32_e32 v1, v1, v214
	v_mul_f32_e32 v4, v141, v164
	s_waitcnt vmcnt(3)
	v_fma_f32 v5, v138, v189, -v5
	v_add_f32_e32 v2, v2, v3
	v_mul_f32_e32 v217, v140, v164
	v_fmac_f32_e32 v216, v139, v189
	v_add_f32_e32 v1, v1, v215
	s_waitcnt vmcnt(2)
	v_fma_f32 v3, v140, v190, -v4
	v_add_f32_e32 v2, v2, v5
	v_fmac_f32_e32 v217, v141, v190
	v_add_f32_e32 v1, v1, v216
	v_add_f32_e32 v2, v2, v3
	;; [unrolled: 1-line block ×3, first 2 shown]
	s_waitcnt vmcnt(1)
	v_sub_f32_e32 v2, v191, v2
	s_waitcnt vmcnt(0)
	v_sub_f32_e32 v1, v192, v1
	buffer_store_dword v2, off, s[0:3], 0 offset:120
	buffer_store_dword v1, off, s[0:3], 0 offset:124
	v_cmpx_lt_u32_e32 14, v0
	s_cbranch_execz .LBB105_237
; %bb.236:
	s_clause 0x1
	buffer_load_dword v1, off, s[0:3], 0 offset:112
	buffer_load_dword v2, off, s[0:3], 0 offset:116
	v_mov_b32_e32 v3, 0
	buffer_store_dword v3, off, s[0:3], 0 offset:112
	buffer_store_dword v3, off, s[0:3], 0 offset:116
	s_waitcnt vmcnt(0)
	ds_write_b64 v93, v[1:2]
.LBB105_237:
	s_or_b32 exec_lo, exec_lo, s4
	s_waitcnt lgkmcnt(0)
	s_waitcnt_vscnt null, 0x0
	s_barrier
	buffer_gl0_inv
	s_clause 0x37
	buffer_load_dword v8, off, s[0:3], 0 offset:124
	buffer_load_dword v142, off, s[0:3], 0 offset:132
	;; [unrolled: 1-line block ×56, first 2 shown]
	v_mov_b32_e32 v1, 0
	ds_read2_b64 v[2:5], v1 offset0:57 offset1:58
	ds_read2_b64 v[94:97], v1 offset0:59 offset1:60
	;; [unrolled: 1-line block ×13, first 2 shown]
	ds_read_b64 v[6:7], v1 offset:664
	s_mov_b32 s4, exec_lo
	s_waitcnt vmcnt(55) lgkmcnt(13)
	v_mul_f32_e32 v197, v2, v8
	v_mul_f32_e32 v8, v3, v8
	s_waitcnt vmcnt(54)
	v_mul_f32_e32 v198, v4, v142
	v_mul_f32_e32 v142, v5, v142
	s_waitcnt vmcnt(53) lgkmcnt(12)
	v_mul_f32_e32 v199, v94, v143
	s_waitcnt vmcnt(52)
	v_mul_f32_e32 v200, v96, v144
	s_waitcnt vmcnt(51) lgkmcnt(11)
	v_mul_f32_e32 v201, v98, v145
	s_waitcnt vmcnt(50)
	;; [unrolled: 4-line block ×12, first 2 shown]
	v_fma_f32 v2, v2, v168, -v8
	v_fmac_f32_e32 v197, v3, v168
	v_mul_f32_e32 v3, v95, v143
	s_waitcnt vmcnt(27)
	v_fma_f32 v4, v4, v169, -v142
	v_fmac_f32_e32 v198, v5, v169
	v_add_f32_e32 v2, 0, v2
	v_add_f32_e32 v5, 0, v197
	v_mul_f32_e32 v8, v97, v144
	s_waitcnt vmcnt(26)
	v_fma_f32 v3, v94, v170, -v3
	v_fmac_f32_e32 v199, v95, v170
	v_add_f32_e32 v2, v2, v4
	v_add_f32_e32 v4, v5, v198
	;; [unrolled: 6-line block ×23, first 2 shown]
	v_mul_f32_e32 v5, v141, v166
	s_waitcnt vmcnt(4)
	v_fma_f32 v8, v138, v192, -v8
	v_mul_f32_e32 v222, v140, v166
	v_add_f32_e32 v2, v2, v4
	v_fmac_f32_e32 v221, v139, v192
	v_add_f32_e32 v3, v3, v220
	s_waitcnt lgkmcnt(0)
	v_mul_f32_e32 v4, v7, v167
	s_waitcnt vmcnt(3)
	v_fma_f32 v5, v140, v193, -v5
	v_add_f32_e32 v2, v2, v8
	v_mul_f32_e32 v223, v6, v167
	v_fmac_f32_e32 v222, v141, v193
	v_add_f32_e32 v3, v3, v221
	s_waitcnt vmcnt(2)
	v_fma_f32 v4, v6, v194, -v4
	v_add_f32_e32 v2, v2, v5
	v_fmac_f32_e32 v223, v7, v194
	v_add_f32_e32 v3, v3, v222
	v_add_f32_e32 v2, v2, v4
	;; [unrolled: 1-line block ×3, first 2 shown]
	s_waitcnt vmcnt(1)
	v_sub_f32_e32 v2, v195, v2
	s_waitcnt vmcnt(0)
	v_sub_f32_e32 v3, v196, v3
	buffer_store_dword v2, off, s[0:3], 0 offset:112
	buffer_store_dword v3, off, s[0:3], 0 offset:116
	v_cmpx_lt_u32_e32 13, v0
	s_cbranch_execz .LBB105_239
; %bb.238:
	s_clause 0x1
	buffer_load_dword v2, off, s[0:3], 0 offset:104
	buffer_load_dword v3, off, s[0:3], 0 offset:108
	buffer_store_dword v1, off, s[0:3], 0 offset:104
	buffer_store_dword v1, off, s[0:3], 0 offset:108
	s_waitcnt vmcnt(0)
	ds_write_b64 v93, v[2:3]
.LBB105_239:
	s_or_b32 exec_lo, exec_lo, s4
	s_waitcnt lgkmcnt(0)
	s_waitcnt_vscnt null, 0x0
	s_barrier
	buffer_gl0_inv
	s_clause 0x39
	buffer_load_dword v6, off, s[0:3], 0 offset:116
	buffer_load_dword v7, off, s[0:3], 0 offset:124
	;; [unrolled: 1-line block ×58, first 2 shown]
	ds_read_b128 v[2:5], v1 offset:448
	ds_read_b128 v[94:97], v1 offset:464
	;; [unrolled: 1-line block ×14, first 2 shown]
	s_mov_b32 s4, exec_lo
	s_waitcnt vmcnt(57) lgkmcnt(13)
	v_mul_f32_e32 v1, v2, v6
	v_mul_f32_e32 v6, v3, v6
	s_waitcnt vmcnt(56)
	v_mul_f32_e32 v201, v4, v7
	v_mul_f32_e32 v7, v5, v7
	s_waitcnt vmcnt(55) lgkmcnt(12)
	v_mul_f32_e32 v202, v94, v8
	s_waitcnt vmcnt(54)
	v_mul_f32_e32 v203, v96, v146
	s_waitcnt vmcnt(53) lgkmcnt(11)
	v_mul_f32_e32 v204, v98, v147
	s_waitcnt vmcnt(52)
	;; [unrolled: 4-line block ×12, first 2 shown]
	v_mul_f32_e32 v225, v140, v168
	s_waitcnt vmcnt(29)
	v_fma_f32 v2, v2, v171, -v6
	v_fmac_f32_e32 v1, v3, v171
	v_mul_f32_e32 v3, v95, v8
	s_waitcnt vmcnt(28)
	v_fma_f32 v4, v4, v172, -v7
	v_fmac_f32_e32 v201, v5, v172
	v_add_f32_e32 v2, 0, v2
	v_add_f32_e32 v1, 0, v1
	v_mul_f32_e32 v5, v97, v146
	s_waitcnt vmcnt(27)
	v_fma_f32 v3, v94, v173, -v3
	v_fmac_f32_e32 v202, v95, v173
	v_add_f32_e32 v2, v2, v4
	v_add_f32_e32 v1, v1, v201
	;; [unrolled: 6-line block ×24, first 2 shown]
	s_waitcnt lgkmcnt(0)
	v_mul_f32_e32 v3, v143, v169
	s_waitcnt vmcnt(4)
	v_fma_f32 v4, v140, v196, -v4
	v_mul_f32_e32 v226, v142, v169
	v_add_f32_e32 v2, v2, v5
	v_fmac_f32_e32 v225, v141, v196
	v_add_f32_e32 v1, v1, v224
	v_mul_f32_e32 v5, v145, v170
	s_waitcnt vmcnt(3)
	v_fma_f32 v3, v142, v197, -v3
	v_add_f32_e32 v2, v2, v4
	v_mul_f32_e32 v227, v144, v170
	v_fmac_f32_e32 v226, v143, v197
	v_add_f32_e32 v1, v1, v225
	s_waitcnt vmcnt(2)
	v_fma_f32 v4, v144, v198, -v5
	v_add_f32_e32 v2, v2, v3
	v_fmac_f32_e32 v227, v145, v198
	v_add_f32_e32 v1, v1, v226
	v_add_f32_e32 v2, v2, v4
	;; [unrolled: 1-line block ×3, first 2 shown]
	s_waitcnt vmcnt(1)
	v_sub_f32_e32 v2, v199, v2
	s_waitcnt vmcnt(0)
	v_sub_f32_e32 v1, v200, v1
	buffer_store_dword v2, off, s[0:3], 0 offset:104
	buffer_store_dword v1, off, s[0:3], 0 offset:108
	v_cmpx_lt_u32_e32 12, v0
	s_cbranch_execz .LBB105_241
; %bb.240:
	s_clause 0x1
	buffer_load_dword v1, off, s[0:3], 0 offset:96
	buffer_load_dword v2, off, s[0:3], 0 offset:100
	v_mov_b32_e32 v3, 0
	buffer_store_dword v3, off, s[0:3], 0 offset:96
	buffer_store_dword v3, off, s[0:3], 0 offset:100
	s_waitcnt vmcnt(0)
	ds_write_b64 v93, v[1:2]
.LBB105_241:
	s_or_b32 exec_lo, exec_lo, s4
	s_waitcnt lgkmcnt(0)
	s_waitcnt_vscnt null, 0x0
	s_barrier
	buffer_gl0_inv
	s_clause 0x3b
	buffer_load_dword v8, off, s[0:3], 0 offset:108
	buffer_load_dword v146, off, s[0:3], 0 offset:116
	;; [unrolled: 1-line block ×60, first 2 shown]
	v_mov_b32_e32 v1, 0
	ds_read2_b64 v[2:5], v1 offset0:55 offset1:56
	ds_read2_b64 v[94:97], v1 offset0:57 offset1:58
	;; [unrolled: 1-line block ×14, first 2 shown]
	ds_read_b64 v[6:7], v1 offset:664
	s_mov_b32 s4, exec_lo
	s_waitcnt vmcnt(59) lgkmcnt(14)
	v_mul_f32_e32 v205, v2, v8
	v_mul_f32_e32 v8, v3, v8
	s_waitcnt vmcnt(58)
	v_mul_f32_e32 v206, v4, v146
	v_mul_f32_e32 v146, v5, v146
	s_waitcnt vmcnt(57) lgkmcnt(13)
	v_mul_f32_e32 v207, v94, v147
	s_waitcnt vmcnt(56)
	v_mul_f32_e32 v208, v96, v148
	s_waitcnt vmcnt(55) lgkmcnt(12)
	v_mul_f32_e32 v209, v98, v149
	s_waitcnt vmcnt(54)
	;; [unrolled: 4-line block ×13, first 2 shown]
	v_fma_f32 v2, v2, v174, -v8
	v_fmac_f32_e32 v205, v3, v174
	v_mul_f32_e32 v3, v95, v147
	s_waitcnt vmcnt(29)
	v_fma_f32 v4, v4, v175, -v146
	v_fmac_f32_e32 v206, v5, v175
	v_add_f32_e32 v2, 0, v2
	v_add_f32_e32 v5, 0, v205
	v_mul_f32_e32 v8, v97, v148
	s_waitcnt vmcnt(28)
	v_fma_f32 v3, v94, v176, -v3
	v_fmac_f32_e32 v207, v95, v176
	v_add_f32_e32 v2, v2, v4
	v_add_f32_e32 v4, v5, v206
	;; [unrolled: 6-line block ×25, first 2 shown]
	v_mul_f32_e32 v8, v145, v172
	s_waitcnt vmcnt(4)
	v_fma_f32 v4, v142, v200, -v4
	v_mul_f32_e32 v232, v144, v172
	v_add_f32_e32 v2, v2, v5
	v_fmac_f32_e32 v231, v143, v200
	v_add_f32_e32 v3, v3, v230
	s_waitcnt lgkmcnt(0)
	v_mul_f32_e32 v5, v7, v173
	s_waitcnt vmcnt(3)
	v_fma_f32 v8, v144, v201, -v8
	v_add_f32_e32 v2, v2, v4
	v_mul_f32_e32 v233, v6, v173
	v_fmac_f32_e32 v232, v145, v201
	v_add_f32_e32 v3, v3, v231
	s_waitcnt vmcnt(2)
	v_fma_f32 v4, v6, v202, -v5
	v_add_f32_e32 v2, v2, v8
	v_fmac_f32_e32 v233, v7, v202
	v_add_f32_e32 v3, v3, v232
	v_add_f32_e32 v2, v2, v4
	;; [unrolled: 1-line block ×3, first 2 shown]
	s_waitcnt vmcnt(1)
	v_sub_f32_e32 v2, v203, v2
	s_waitcnt vmcnt(0)
	v_sub_f32_e32 v3, v204, v3
	buffer_store_dword v2, off, s[0:3], 0 offset:96
	buffer_store_dword v3, off, s[0:3], 0 offset:100
	v_cmpx_lt_u32_e32 11, v0
	s_cbranch_execz .LBB105_243
; %bb.242:
	s_clause 0x1
	buffer_load_dword v2, off, s[0:3], 0 offset:88
	buffer_load_dword v3, off, s[0:3], 0 offset:92
	buffer_store_dword v1, off, s[0:3], 0 offset:88
	buffer_store_dword v1, off, s[0:3], 0 offset:92
	s_waitcnt vmcnt(0)
	ds_write_b64 v93, v[2:3]
.LBB105_243:
	s_or_b32 exec_lo, exec_lo, s4
	s_waitcnt lgkmcnt(0)
	s_waitcnt_vscnt null, 0x0
	s_barrier
	buffer_gl0_inv
	s_clause 0x3d
	buffer_load_dword v6, off, s[0:3], 0 offset:100
	buffer_load_dword v7, off, s[0:3], 0 offset:108
	;; [unrolled: 1-line block ×62, first 2 shown]
	ds_read_b128 v[2:5], v1 offset:432
	ds_read_b128 v[94:97], v1 offset:448
	;; [unrolled: 1-line block ×15, first 2 shown]
	s_mov_b32 s4, exec_lo
	s_waitcnt vmcnt(61) lgkmcnt(14)
	v_mul_f32_e32 v1, v2, v6
	v_mul_f32_e32 v6, v3, v6
	s_waitcnt vmcnt(60)
	v_mul_f32_e32 v209, v4, v7
	v_mul_f32_e32 v7, v5, v7
	s_waitcnt vmcnt(59) lgkmcnt(13)
	v_mul_f32_e32 v210, v94, v8
	s_waitcnt vmcnt(58)
	v_mul_f32_e32 v211, v96, v150
	s_waitcnt vmcnt(57) lgkmcnt(12)
	v_mul_f32_e32 v212, v98, v151
	s_waitcnt vmcnt(56)
	;; [unrolled: 4-line block ×13, first 2 shown]
	v_mul_f32_e32 v235, v144, v174
	s_waitcnt vmcnt(31)
	v_fma_f32 v2, v2, v177, -v6
	v_fmac_f32_e32 v1, v3, v177
	v_mul_f32_e32 v3, v95, v8
	s_waitcnt vmcnt(30)
	v_fma_f32 v4, v4, v178, -v7
	v_fmac_f32_e32 v209, v5, v178
	v_add_f32_e32 v2, 0, v2
	v_add_f32_e32 v1, 0, v1
	v_mul_f32_e32 v5, v97, v150
	s_waitcnt vmcnt(29)
	v_fma_f32 v3, v94, v179, -v3
	v_fmac_f32_e32 v210, v95, v179
	v_add_f32_e32 v2, v2, v4
	v_add_f32_e32 v1, v1, v209
	;; [unrolled: 6-line block ×26, first 2 shown]
	s_waitcnt lgkmcnt(0)
	v_mul_f32_e32 v4, v147, v175
	s_waitcnt vmcnt(4)
	v_fma_f32 v5, v144, v204, -v5
	v_mul_f32_e32 v236, v146, v175
	v_add_f32_e32 v2, v2, v3
	v_fmac_f32_e32 v235, v145, v204
	v_add_f32_e32 v1, v1, v234
	v_mul_f32_e32 v3, v149, v176
	s_waitcnt vmcnt(3)
	v_fma_f32 v4, v146, v205, -v4
	v_add_f32_e32 v2, v2, v5
	v_mul_f32_e32 v237, v148, v176
	v_fmac_f32_e32 v236, v147, v205
	v_add_f32_e32 v1, v1, v235
	s_waitcnt vmcnt(2)
	v_fma_f32 v3, v148, v206, -v3
	v_add_f32_e32 v2, v2, v4
	v_fmac_f32_e32 v237, v149, v206
	v_add_f32_e32 v1, v1, v236
	v_add_f32_e32 v2, v2, v3
	;; [unrolled: 1-line block ×3, first 2 shown]
	s_waitcnt vmcnt(1)
	v_sub_f32_e32 v2, v207, v2
	s_waitcnt vmcnt(0)
	v_sub_f32_e32 v1, v208, v1
	buffer_store_dword v2, off, s[0:3], 0 offset:88
	buffer_store_dword v1, off, s[0:3], 0 offset:92
	v_cmpx_lt_u32_e32 10, v0
	s_cbranch_execz .LBB105_245
; %bb.244:
	s_clause 0x1
	buffer_load_dword v1, off, s[0:3], 0 offset:80
	buffer_load_dword v2, off, s[0:3], 0 offset:84
	v_mov_b32_e32 v3, 0
	buffer_store_dword v3, off, s[0:3], 0 offset:80
	buffer_store_dword v3, off, s[0:3], 0 offset:84
	s_waitcnt vmcnt(0)
	ds_write_b64 v93, v[1:2]
.LBB105_245:
	s_or_b32 exec_lo, exec_lo, s4
	s_waitcnt lgkmcnt(0)
	s_waitcnt_vscnt null, 0x0
	s_barrier
	buffer_gl0_inv
	s_clause 0x3e
	buffer_load_dword v8, off, s[0:3], 0 offset:92
	buffer_load_dword v150, off, s[0:3], 0 offset:100
	;; [unrolled: 1-line block ×64, first 2 shown]
	v_mov_b32_e32 v1, 0
	ds_read2_b64 v[2:5], v1 offset0:53 offset1:54
	ds_read2_b64 v[94:97], v1 offset0:55 offset1:56
	;; [unrolled: 1-line block ×15, first 2 shown]
	ds_read_b64 v[6:7], v1 offset:664
	s_mov_b32 s4, exec_lo
	s_waitcnt vmcnt(62) lgkmcnt(15)
	v_mul_f32_e32 v213, v2, v8
	v_mul_f32_e32 v8, v3, v8
	;; [unrolled: 1-line block ×4, first 2 shown]
	s_waitcnt vmcnt(61) lgkmcnt(14)
	v_mul_f32_e32 v215, v94, v151
	s_waitcnt vmcnt(60)
	v_mul_f32_e32 v216, v96, v152
	s_waitcnt vmcnt(59) lgkmcnt(13)
	v_mul_f32_e32 v217, v98, v153
	s_waitcnt vmcnt(58)
	v_mul_f32_e32 v218, v100, v154
	;; [unrolled: 4-line block ×13, first 2 shown]
	s_waitcnt vmcnt(35) lgkmcnt(1)
	v_mul_f32_e32 v241, v146, v177
	s_waitcnt vmcnt(32)
	v_fma_f32 v2, v2, v180, -v8
	v_fmac_f32_e32 v213, v3, v180
	v_mul_f32_e32 v3, v95, v151
	s_waitcnt vmcnt(31)
	v_fma_f32 v4, v4, v181, -v150
	v_fmac_f32_e32 v214, v5, v181
	v_add_f32_e32 v2, 0, v2
	v_add_f32_e32 v5, 0, v213
	v_mul_f32_e32 v8, v97, v152
	s_waitcnt vmcnt(30)
	v_fma_f32 v3, v94, v182, -v3
	v_fmac_f32_e32 v215, v95, v182
	v_add_f32_e32 v2, v2, v4
	v_add_f32_e32 v4, v5, v214
	;; [unrolled: 6-line block ×27, first 2 shown]
	v_mul_f32_e32 v4, v149, v178
	s_waitcnt vmcnt(4)
	v_fma_f32 v5, v146, v208, -v5
	v_mul_f32_e32 v242, v148, v178
	v_add_f32_e32 v2, v2, v8
	v_fmac_f32_e32 v241, v147, v208
	v_add_f32_e32 v3, v3, v240
	s_waitcnt lgkmcnt(0)
	v_mul_f32_e32 v8, v7, v179
	s_waitcnt vmcnt(3)
	v_fma_f32 v4, v148, v209, -v4
	v_add_f32_e32 v2, v2, v5
	v_mul_f32_e32 v243, v6, v179
	v_fmac_f32_e32 v242, v149, v209
	v_add_f32_e32 v3, v3, v241
	s_waitcnt vmcnt(2)
	v_fma_f32 v5, v6, v210, -v8
	v_add_f32_e32 v2, v2, v4
	v_fmac_f32_e32 v243, v7, v210
	v_add_f32_e32 v3, v3, v242
	v_add_f32_e32 v2, v2, v5
	;; [unrolled: 1-line block ×3, first 2 shown]
	s_waitcnt vmcnt(1)
	v_sub_f32_e32 v2, v211, v2
	s_waitcnt vmcnt(0)
	v_sub_f32_e32 v3, v212, v3
	buffer_store_dword v2, off, s[0:3], 0 offset:80
	buffer_store_dword v3, off, s[0:3], 0 offset:84
	v_cmpx_lt_u32_e32 9, v0
	s_cbranch_execz .LBB105_247
; %bb.246:
	s_clause 0x1
	buffer_load_dword v2, off, s[0:3], 0 offset:72
	buffer_load_dword v3, off, s[0:3], 0 offset:76
	buffer_store_dword v1, off, s[0:3], 0 offset:72
	buffer_store_dword v1, off, s[0:3], 0 offset:76
	s_waitcnt vmcnt(0)
	ds_write_b64 v93, v[2:3]
.LBB105_247:
	s_or_b32 exec_lo, exec_lo, s4
	s_waitcnt lgkmcnt(0)
	s_waitcnt_vscnt null, 0x0
	s_barrier
	buffer_gl0_inv
	s_clause 0x3e
	buffer_load_dword v6, off, s[0:3], 0 offset:84
	buffer_load_dword v7, off, s[0:3], 0 offset:92
	;; [unrolled: 1-line block ×63, first 2 shown]
	s_clause 0x2
	buffer_load_dword v214, off, s[0:3], 0 offset:328
	buffer_load_dword v215, off, s[0:3], 0 offset:72
	;; [unrolled: 1-line block ×3, first 2 shown]
	ds_read_b128 v[2:5], v1 offset:416
	ds_read_b128 v[94:97], v1 offset:432
	;; [unrolled: 1-line block ×16, first 2 shown]
	s_mov_b32 s4, exec_lo
	s_waitcnt vmcnt(62) lgkmcnt(15)
	v_mul_f32_e32 v1, v2, v6
	v_mul_f32_e32 v6, v3, v6
	;; [unrolled: 1-line block ×4, first 2 shown]
	s_waitcnt lgkmcnt(14)
	v_mul_f32_e32 v218, v94, v8
	v_mul_f32_e32 v219, v96, v154
	s_waitcnt vmcnt(61) lgkmcnt(13)
	v_mul_f32_e32 v220, v98, v155
	s_waitcnt vmcnt(60)
	v_mul_f32_e32 v221, v100, v156
	s_waitcnt vmcnt(59) lgkmcnt(12)
	v_mul_f32_e32 v222, v102, v157
	s_waitcnt vmcnt(58)
	;; [unrolled: 4-line block ×13, first 2 shown]
	v_mul_f32_e32 v245, v148, v180
	s_waitcnt vmcnt(33)
	v_fma_f32 v2, v2, v183, -v6
	v_fmac_f32_e32 v1, v3, v183
	v_mul_f32_e32 v3, v95, v8
	s_waitcnt vmcnt(32)
	v_fma_f32 v4, v4, v184, -v7
	v_fmac_f32_e32 v217, v5, v184
	v_add_f32_e32 v2, 0, v2
	v_add_f32_e32 v1, 0, v1
	v_mul_f32_e32 v5, v97, v154
	s_waitcnt vmcnt(31)
	v_fma_f32 v3, v94, v185, -v3
	v_fmac_f32_e32 v218, v95, v185
	v_add_f32_e32 v2, v2, v4
	v_add_f32_e32 v1, v1, v217
	;; [unrolled: 6-line block ×28, first 2 shown]
	s_waitcnt lgkmcnt(0)
	v_mul_f32_e32 v5, v151, v181
	s_waitcnt vmcnt(4)
	v_fma_f32 v3, v148, v212, -v3
	v_mul_f32_e32 v246, v150, v181
	v_add_f32_e32 v2, v2, v4
	v_fmac_f32_e32 v245, v149, v212
	v_add_f32_e32 v1, v1, v244
	v_mul_f32_e32 v4, v153, v182
	s_waitcnt vmcnt(3)
	v_fma_f32 v5, v150, v213, -v5
	v_add_f32_e32 v2, v2, v3
	v_mul_f32_e32 v247, v152, v182
	v_fmac_f32_e32 v246, v151, v213
	v_add_f32_e32 v1, v1, v245
	s_waitcnt vmcnt(2)
	v_fma_f32 v3, v152, v214, -v4
	v_add_f32_e32 v2, v2, v5
	v_fmac_f32_e32 v247, v153, v214
	v_add_f32_e32 v1, v1, v246
	v_add_f32_e32 v2, v2, v3
	;; [unrolled: 1-line block ×3, first 2 shown]
	s_waitcnt vmcnt(1)
	v_sub_f32_e32 v2, v215, v2
	s_waitcnt vmcnt(0)
	v_sub_f32_e32 v1, v216, v1
	buffer_store_dword v2, off, s[0:3], 0 offset:72
	buffer_store_dword v1, off, s[0:3], 0 offset:76
	v_cmpx_lt_u32_e32 8, v0
	s_cbranch_execz .LBB105_249
; %bb.248:
	s_clause 0x1
	buffer_load_dword v1, off, s[0:3], 0 offset:64
	buffer_load_dword v2, off, s[0:3], 0 offset:68
	v_mov_b32_e32 v3, 0
	buffer_store_dword v3, off, s[0:3], 0 offset:64
	buffer_store_dword v3, off, s[0:3], 0 offset:68
	s_waitcnt vmcnt(0)
	ds_write_b64 v93, v[1:2]
.LBB105_249:
	s_or_b32 exec_lo, exec_lo, s4
	s_waitcnt lgkmcnt(0)
	s_waitcnt_vscnt null, 0x0
	s_barrier
	buffer_gl0_inv
	s_clause 0x3e
	buffer_load_dword v153, off, s[0:3], 0 offset:76
	buffer_load_dword v154, off, s[0:3], 0 offset:84
	;; [unrolled: 1-line block ×63, first 2 shown]
	s_clause 0x4
	buffer_load_dword v216, off, s[0:3], 0 offset:312
	buffer_load_dword v217, off, s[0:3], 0 offset:320
	;; [unrolled: 1-line block ×5, first 2 shown]
	v_mov_b32_e32 v94, 0
	ds_read2_b64 v[1:4], v94 offset0:51 offset1:52
	ds_read2_b64 v[5:8], v94 offset0:53 offset1:54
	;; [unrolled: 1-line block ×16, first 2 shown]
	ds_read_b64 v[151:152], v94 offset:664
	s_mov_b32 s4, exec_lo
	s_waitcnt vmcnt(62) lgkmcnt(16)
	v_mul_f32_e32 v221, v1, v153
	v_mul_f32_e32 v153, v2, v153
	;; [unrolled: 1-line block ×4, first 2 shown]
	s_waitcnt lgkmcnt(15)
	v_mul_f32_e32 v223, v5, v155
	v_mul_f32_e32 v224, v7, v156
	s_waitcnt lgkmcnt(14)
	v_mul_f32_e32 v225, v95, v157
	v_mul_f32_e32 v226, v97, v158
	s_waitcnt vmcnt(61) lgkmcnt(13)
	v_mul_f32_e32 v227, v99, v159
	s_waitcnt vmcnt(60)
	v_mul_f32_e32 v228, v101, v160
	s_waitcnt vmcnt(59) lgkmcnt(12)
	v_mul_f32_e32 v229, v103, v161
	s_waitcnt vmcnt(58)
	;; [unrolled: 4-line block ×13, first 2 shown]
	v_fma_f32 v1, v1, v186, -v153
	v_fmac_f32_e32 v221, v2, v186
	v_mul_f32_e32 v2, v6, v155
	s_waitcnt vmcnt(33)
	v_fma_f32 v3, v3, v187, -v154
	v_fmac_f32_e32 v222, v4, v187
	v_add_f32_e32 v1, 0, v1
	v_add_f32_e32 v4, 0, v221
	v_mul_f32_e32 v153, v8, v156
	s_waitcnt vmcnt(32)
	v_fma_f32 v2, v5, v188, -v2
	v_fmac_f32_e32 v223, v6, v188
	v_add_f32_e32 v1, v1, v3
	v_add_f32_e32 v3, v4, v222
	;; [unrolled: 6-line block ×29, first 2 shown]
	v_mul_f32_e32 v4, v150, v184
	s_waitcnt vmcnt(4)
	v_fma_f32 v5, v147, v216, -v5
	v_mul_f32_e32 v252, v149, v184
	v_add_f32_e32 v1, v1, v3
	v_fmac_f32_e32 v251, v148, v216
	v_add_f32_e32 v2, v2, v250
	s_waitcnt lgkmcnt(0)
	v_mul_f32_e32 v3, v152, v185
	s_waitcnt vmcnt(3)
	v_fma_f32 v4, v149, v217, -v4
	v_add_f32_e32 v1, v1, v5
	v_mul_f32_e32 v253, v151, v185
	v_fmac_f32_e32 v252, v150, v217
	v_add_f32_e32 v2, v2, v251
	s_waitcnt vmcnt(2)
	v_fma_f32 v3, v151, v218, -v3
	v_add_f32_e32 v1, v1, v4
	v_fmac_f32_e32 v253, v152, v218
	v_add_f32_e32 v2, v2, v252
	v_add_f32_e32 v1, v1, v3
	v_add_f32_e32 v2, v2, v253
	s_waitcnt vmcnt(1)
	v_sub_f32_e32 v1, v219, v1
	s_waitcnt vmcnt(0)
	v_sub_f32_e32 v2, v220, v2
	buffer_store_dword v1, off, s[0:3], 0 offset:64
	buffer_store_dword v2, off, s[0:3], 0 offset:68
	v_cmpx_lt_u32_e32 7, v0
	s_cbranch_execz .LBB105_251
; %bb.250:
	s_clause 0x1
	buffer_load_dword v1, off, s[0:3], 0 offset:56
	buffer_load_dword v2, off, s[0:3], 0 offset:60
	buffer_store_dword v94, off, s[0:3], 0 offset:56
	buffer_store_dword v94, off, s[0:3], 0 offset:60
	s_waitcnt vmcnt(0)
	ds_write_b64 v93, v[1:2]
.LBB105_251:
	s_or_b32 exec_lo, exec_lo, s4
	s_waitcnt lgkmcnt(0)
	s_waitcnt_vscnt null, 0x0
	s_barrier
	buffer_gl0_inv
	s_clause 0x23
	buffer_load_dword v129, off, s[0:3], 0 offset:68
	buffer_load_dword v130, off, s[0:3], 0 offset:76
	;; [unrolled: 1-line block ×36, first 2 shown]
	ds_read_b128 v[5:8], v94 offset:400
	ds_read_b128 v[1:4], v94 offset:416
	;; [unrolled: 1-line block ×3, first 2 shown]
	s_clause 0x1
	buffer_load_dword v139, off, s[0:3], 0 offset:204
	buffer_load_dword v140, off, s[0:3], 0 offset:212
	ds_read_b128 v[135:138], v94 offset:448
	buffer_load_dword v143, off, s[0:3], 0 offset:60
	s_mov_b32 s4, exec_lo
	s_waitcnt vmcnt(38) lgkmcnt(3)
	v_mul_f32_e32 v141, v5, v129
	s_waitcnt vmcnt(37)
	v_mul_f32_e32 v142, v7, v130
	v_mul_f32_e32 v129, v6, v129
	;; [unrolled: 1-line block ×3, first 2 shown]
	s_waitcnt vmcnt(34)
	v_fmac_f32_e32 v141, v6, v101
	v_fmac_f32_e32 v142, v8, v100
	v_fma_f32 v101, v5, v101, -v129
	v_fma_f32 v100, v7, v100, -v130
	ds_read_b128 v[5:8], v94 offset:464
	s_waitcnt vmcnt(33) lgkmcnt(3)
	v_mul_f32_e32 v129, v1, v98
	v_mul_f32_e32 v98, v2, v98
	s_waitcnt vmcnt(32)
	v_mul_f32_e32 v130, v3, v97
	v_mul_f32_e32 v97, v4, v97
	s_waitcnt vmcnt(31) lgkmcnt(2)
	v_mul_f32_e32 v144, v131, v96
	v_fmac_f32_e32 v129, v2, v95
	v_fma_f32 v145, v1, v95, -v98
	s_waitcnt vmcnt(30)
	v_mul_f32_e32 v146, v133, v99
	v_mul_f32_e32 v95, v132, v96
	;; [unrolled: 1-line block ×3, first 2 shown]
	s_waitcnt vmcnt(26)
	v_fmac_f32_e32 v130, v4, v107
	v_fma_f32 v99, v3, v107, -v97
	ds_read_b128 v[1:4], v94 offset:480
	v_fmac_f32_e32 v144, v132, v106
	v_fma_f32 v106, v131, v106, -v95
	s_waitcnt vmcnt(25) lgkmcnt(2)
	v_mul_f32_e32 v107, v135, v103
	s_waitcnt vmcnt(24)
	v_mul_f32_e32 v131, v137, v104
	v_mul_f32_e32 v103, v136, v103
	;; [unrolled: 1-line block ×3, first 2 shown]
	v_fmac_f32_e32 v146, v134, v105
	v_fma_f32 v105, v133, v105, -v96
	ds_read_b128 v[95:98], v94 offset:496
	v_fmac_f32_e32 v107, v136, v102
	s_waitcnt vmcnt(19)
	v_fmac_f32_e32 v131, v138, v118
	v_fma_f32 v102, v135, v102, -v103
	v_fma_f32 v103, v137, v118, -v104
	s_clause 0x4
	buffer_load_dword v104, off, s[0:3], 0 offset:220
	buffer_load_dword v118, off, s[0:3], 0 offset:240
	;; [unrolled: 1-line block ×5, first 2 shown]
	s_waitcnt lgkmcnt(2)
	v_mul_f32_e32 v132, v5, v108
	v_mul_f32_e32 v108, v6, v108
	s_waitcnt vmcnt(23)
	v_mul_f32_e32 v136, v7, v114
	v_mul_f32_e32 v114, v8, v114
	v_fmac_f32_e32 v132, v6, v113
	v_fma_f32 v5, v5, v113, -v108
	s_waitcnt vmcnt(22) lgkmcnt(1)
	v_mul_f32_e32 v108, v1, v111
	v_fmac_f32_e32 v136, v8, v110
	v_fma_f32 v110, v7, v110, -v114
	s_waitcnt vmcnt(21)
	v_mul_f32_e32 v113, v3, v112
	v_mul_f32_e32 v6, v2, v111
	;; [unrolled: 1-line block ×3, first 2 shown]
	s_clause 0x2
	buffer_load_dword v111, off, s[0:3], 0 offset:228
	buffer_load_dword v112, off, s[0:3], 0 offset:236
	;; [unrolled: 1-line block ×3, first 2 shown]
	v_fmac_f32_e32 v108, v2, v109
	s_waitcnt vmcnt(20)
	v_fmac_f32_e32 v113, v4, v127
	v_fma_f32 v109, v1, v109, -v6
	v_fma_f32 v127, v3, v127, -v7
	ds_read_b128 v[1:4], v94 offset:512
	v_add_f32_e32 v6, 0, v141
	v_add_f32_e32 v7, 0, v101
	s_waitcnt vmcnt(19) lgkmcnt(1)
	v_mul_f32_e32 v137, v95, v124
	s_waitcnt vmcnt(18)
	v_mul_f32_e32 v138, v97, v125
	v_mul_f32_e32 v8, v96, v124
	v_add_f32_e32 v6, v6, v142
	v_mul_f32_e32 v101, v98, v125
	v_add_f32_e32 v7, v7, v100
	v_fmac_f32_e32 v137, v96, v122
	v_fmac_f32_e32 v138, v98, v121
	v_add_f32_e32 v6, v6, v129
	v_fma_f32 v95, v95, v122, -v8
	v_fma_f32 v100, v97, v121, -v101
	v_add_f32_e32 v7, v7, v145
	s_clause 0x7
	buffer_load_dword v121, off, s[0:3], 0 offset:252
	buffer_load_dword v122, off, s[0:3], 0 offset:260
	;; [unrolled: 1-line block ×8, first 2 shown]
	v_add_f32_e32 v6, v6, v130
	v_add_f32_e32 v7, v7, v99
	s_waitcnt vmcnt(25) lgkmcnt(0)
	v_mul_f32_e32 v8, v2, v119
	v_mul_f32_e32 v101, v1, v119
	s_clause 0x3
	buffer_load_dword v119, off, s[0:3], 0 offset:284
	buffer_load_dword v130, off, s[0:3], 0 offset:292
	;; [unrolled: 1-line block ×4, first 2 shown]
	v_fma_f32 v99, v1, v116, -v8
	v_add_f32_e32 v1, v6, v144
	v_fmac_f32_e32 v101, v2, v116
	v_add_f32_e32 v6, v7, v106
	s_waitcnt vmcnt(28)
	v_mul_f32_e32 v106, v3, v117
	v_mul_f32_e32 v2, v4, v117
	v_add_f32_e32 v7, v1, v146
	s_clause 0x2
	buffer_load_dword v116, off, s[0:3], 0 offset:316
	buffer_load_dword v144, off, s[0:3], 0 offset:324
	;; [unrolled: 1-line block ×3, first 2 shown]
	s_waitcnt vmcnt(27)
	v_fmac_f32_e32 v106, v4, v128
	v_fma_f32 v128, v3, v128, -v2
	ds_read_b128 v[1:4], v94 offset:528
	v_add_f32_e32 v7, v7, v107
	v_add_f32_e32 v6, v6, v105
	;; [unrolled: 1-line block ×3, first 2 shown]
	s_clause 0x3
	buffer_load_dword v131, off, s[0:3], 0 offset:304
	buffer_load_dword v146, off, s[0:3], 0 offset:296
	;; [unrolled: 1-line block ×4, first 2 shown]
	v_add_f32_e32 v6, v6, v102
	v_add_f32_e32 v96, v7, v132
	;; [unrolled: 1-line block ×5, first 2 shown]
	ds_read_b128 v[5:8], v94 offset:544
	s_waitcnt vmcnt(30) lgkmcnt(1)
	v_mul_f32_e32 v103, v1, v126
	v_mul_f32_e32 v98, v2, v126
	s_waitcnt vmcnt(29)
	v_mul_f32_e32 v107, v3, v139
	v_fmac_f32_e32 v103, v2, v123
	v_fma_f32 v105, v1, v123, -v98
	s_clause 0x3
	buffer_load_dword v123, off, s[0:3], 0 offset:328
	buffer_load_dword v126, off, s[0:3], 0 offset:320
	;; [unrolled: 1-line block ×4, first 2 shown]
	v_add_f32_e32 v1, v97, v110
	v_add_f32_e32 v2, v96, v108
	v_mul_f32_e32 v96, v4, v139
	v_fmac_f32_e32 v107, v4, v120
	v_add_f32_e32 v1, v1, v109
	v_add_f32_e32 v2, v2, v113
	v_fma_f32 v108, v3, v120, -v96
	v_add_f32_e32 v97, v1, v127
	v_add_f32_e32 v102, v2, v137
	ds_read_b128 v[1:4], v94 offset:560
	s_waitcnt vmcnt(32) lgkmcnt(1)
	v_mul_f32_e32 v110, v5, v140
	v_mul_f32_e32 v113, v6, v140
	v_add_f32_e32 v109, v97, v95
	ds_read_b128 v[95:98], v94 offset:576
	v_add_f32_e32 v102, v102, v138
	v_fmac_f32_e32 v110, v6, v115
	v_fma_f32 v113, v5, v115, -v113
	v_add_f32_e32 v100, v109, v100
	v_add_f32_e32 v109, v102, v101
	;; [unrolled: 1-line block ×5, first 2 shown]
	s_waitcnt vmcnt(30)
	v_mul_f32_e32 v120, v7, v104
	v_mul_f32_e32 v104, v8, v104
	s_waitcnt vmcnt(26)
	v_fmac_f32_e32 v120, v8, v135
	v_fma_f32 v115, v7, v135, -v104
	v_add_f32_e32 v104, v100, v99
	ds_read_b128 v[5:8], v94 offset:592
	ds_read_b128 v[99:102], v94 offset:608
	v_add_f32_e32 v104, v104, v128
	s_waitcnt vmcnt(25) lgkmcnt(3)
	v_mul_f32_e32 v127, v1, v111
	v_mul_f32_e32 v109, v2, v111
	s_waitcnt vmcnt(24)
	v_mul_f32_e32 v128, v3, v112
	v_mul_f32_e32 v111, v4, v112
	s_waitcnt vmcnt(23) lgkmcnt(2)
	v_mul_f32_e32 v112, v95, v114
	v_fmac_f32_e32 v127, v2, v134
	v_fma_f32 v134, v1, v134, -v109
	v_add_f32_e32 v109, v104, v105
	v_fmac_f32_e32 v128, v4, v133
	v_fma_f32 v111, v3, v133, -v111
	v_mul_f32_e32 v114, v96, v114
	ds_read_b128 v[1:4], v94 offset:624
	ds_read_b128 v[103:106], v94 offset:640
	v_add_f32_e32 v133, v109, v108
	v_fmac_f32_e32 v112, v96, v118
	v_add_f32_e32 v96, v107, v110
	ds_read_b128 v[107:110], v94 offset:656
	v_fma_f32 v95, v95, v118, -v114
	v_add_f32_e32 v94, v133, v113
	s_waitcnt vmcnt(22)
	v_mul_f32_e32 v114, v98, v121
	v_add_f32_e32 v96, v96, v120
	v_mul_f32_e32 v113, v97, v121
	s_waitcnt vmcnt(21) lgkmcnt(4)
	v_mul_f32_e32 v118, v5, v122
	v_add_f32_e32 v94, v94, v115
	v_mul_f32_e32 v120, v6, v122
	v_add_f32_e32 v96, v96, v127
	s_waitcnt vmcnt(15)
	v_fma_f32 v97, v97, v145, -v114
	v_fmac_f32_e32 v113, v98, v145
	v_add_f32_e32 v94, v94, v134
	v_fmac_f32_e32 v118, v6, v142
	v_add_f32_e32 v96, v96, v128
	v_fma_f32 v5, v5, v142, -v120
	v_mul_f32_e32 v115, v7, v124
	v_add_f32_e32 v94, v94, v111
	v_mul_f32_e32 v111, v8, v124
	s_waitcnt lgkmcnt(3)
	v_mul_f32_e32 v98, v99, v125
	s_waitcnt vmcnt(14)
	v_mul_f32_e32 v114, v101, v119
	v_fmac_f32_e32 v115, v8, v141
	v_add_f32_e32 v94, v94, v95
	v_add_f32_e32 v95, v96, v112
	v_fma_f32 v7, v7, v141, -v111
	v_mul_f32_e32 v8, v102, v119
	v_fmac_f32_e32 v98, v100, v129
	v_add_f32_e32 v6, v94, v97
	v_add_f32_e32 v94, v95, v113
	v_mul_f32_e32 v95, v100, v125
	s_waitcnt vmcnt(13) lgkmcnt(2)
	v_mul_f32_e32 v121, v1, v130
	s_waitcnt vmcnt(12)
	v_mul_f32_e32 v122, v3, v147
	v_add_f32_e32 v5, v6, v5
	v_add_f32_e32 v6, v94, v118
	v_fma_f32 v94, v99, v129, -v95
	s_waitcnt vmcnt(4)
	v_fma_f32 v8, v101, v150, -v8
	v_fmac_f32_e32 v114, v102, v150
	v_add_f32_e32 v5, v5, v7
	v_add_f32_e32 v6, v6, v115
	v_mul_f32_e32 v7, v2, v130
	v_fmac_f32_e32 v121, v2, v149
	s_waitcnt lgkmcnt(1)
	v_mul_f32_e32 v127, v103, v148
	v_add_f32_e32 v5, v5, v94
	v_add_f32_e32 v6, v6, v98
	v_mul_f32_e32 v94, v4, v147
	v_fma_f32 v1, v1, v149, -v7
	v_fmac_f32_e32 v122, v4, v146
	v_add_f32_e32 v2, v5, v8
	v_add_f32_e32 v5, v6, v114
	v_mul_f32_e32 v6, v104, v148
	v_fma_f32 v3, v3, v146, -v94
	v_mul_f32_e32 v4, v106, v116
	v_add_f32_e32 v1, v2, v1
	v_add_f32_e32 v2, v5, v121
	v_fma_f32 v5, v103, v131, -v6
	v_mul_f32_e32 v124, v105, v116
	v_fmac_f32_e32 v127, v104, v131
	v_add_f32_e32 v1, v1, v3
	v_add_f32_e32 v2, v2, v122
	s_waitcnt lgkmcnt(0)
	v_mul_f32_e32 v3, v108, v144
	s_waitcnt vmcnt(1)
	v_fma_f32 v4, v105, v132, -v4
	v_mul_f32_e32 v128, v107, v144
	v_add_f32_e32 v1, v1, v5
	v_fmac_f32_e32 v124, v106, v132
	v_add_f32_e32 v2, v2, v127
	v_mul_f32_e32 v5, v110, v117
	v_fma_f32 v3, v107, v126, -v3
	v_add_f32_e32 v1, v1, v4
	v_mul_f32_e32 v96, v109, v117
	v_fmac_f32_e32 v128, v108, v126
	v_add_f32_e32 v2, v2, v124
	v_fma_f32 v4, v109, v123, -v5
	v_add_f32_e32 v1, v1, v3
	v_fmac_f32_e32 v96, v110, v123
	v_add_f32_e32 v2, v2, v128
	v_add_f32_e32 v1, v1, v4
	;; [unrolled: 1-line block ×3, first 2 shown]
	s_waitcnt vmcnt(0)
	v_sub_f32_e32 v1, v136, v1
	v_sub_f32_e32 v2, v143, v2
	buffer_store_dword v1, off, s[0:3], 0 offset:56
	buffer_store_dword v2, off, s[0:3], 0 offset:60
	v_cmpx_lt_u32_e32 6, v0
	s_cbranch_execz .LBB105_253
; %bb.252:
	s_clause 0x1
	buffer_load_dword v1, off, s[0:3], 0 offset:48
	buffer_load_dword v2, off, s[0:3], 0 offset:52
	v_mov_b32_e32 v3, 0
	buffer_store_dword v3, off, s[0:3], 0 offset:48
	buffer_store_dword v3, off, s[0:3], 0 offset:52
	s_waitcnt vmcnt(0)
	ds_write_b64 v93, v[1:2]
.LBB105_253:
	s_or_b32 exec_lo, exec_lo, s4
	s_waitcnt lgkmcnt(0)
	s_waitcnt_vscnt null, 0x0
	s_barrier
	buffer_gl0_inv
	s_clause 0x2a
	buffer_load_dword v7, off, s[0:3], 0 offset:60
	buffer_load_dword v8, off, s[0:3], 0 offset:68
	;; [unrolled: 1-line block ×43, first 2 shown]
	v_mov_b32_e32 v1, 0
	ds_read2_b64 v[126:129], v1 offset0:49 offset1:50
	ds_read2_b64 v[130:133], v1 offset0:51 offset1:52
	;; [unrolled: 1-line block ×3, first 2 shown]
	buffer_load_dword v144, off, s[0:3], 0 offset:52
	s_mov_b32 s4, exec_lo
	s_waitcnt vmcnt(43) lgkmcnt(2)
	v_mul_f32_e32 v142, v126, v7
	s_waitcnt vmcnt(42)
	v_mul_f32_e32 v143, v128, v8
	v_mul_f32_e32 v7, v127, v7
	;; [unrolled: 1-line block ×3, first 2 shown]
	s_waitcnt vmcnt(39)
	v_fmac_f32_e32 v142, v127, v6
	v_fmac_f32_e32 v143, v129, v5
	v_fma_f32 v145, v126, v6, -v7
	v_fma_f32 v146, v128, v5, -v8
	ds_read2_b64 v[5:8], v1 offset0:55 offset1:56
	ds_read2_b64 v[126:129], v1 offset0:57 offset1:58
	s_waitcnt vmcnt(38) lgkmcnt(3)
	v_mul_f32_e32 v147, v130, v3
	v_mul_f32_e32 v3, v131, v3
	s_waitcnt vmcnt(37)
	v_mul_f32_e32 v148, v132, v4
	v_mul_f32_e32 v4, v133, v4
	s_waitcnt vmcnt(32) lgkmcnt(2)
	v_mul_f32_e32 v150, v134, v101
	v_fmac_f32_e32 v147, v131, v2
	v_fma_f32 v149, v130, v2, -v3
	v_mul_f32_e32 v2, v135, v101
	s_waitcnt vmcnt(31)
	v_mul_f32_e32 v151, v136, v100
	v_mul_f32_e32 v3, v137, v100
	v_fmac_f32_e32 v148, v133, v102
	v_fma_f32 v102, v132, v102, -v4
	v_fmac_f32_e32 v150, v135, v97
	v_fma_f32 v134, v134, v97, -v2
	;; [unrolled: 2-line block ×3, first 2 shown]
	ds_read2_b64 v[130:133], v1 offset0:59 offset1:60
	s_waitcnt vmcnt(30) lgkmcnt(2)
	v_mul_f32_e32 v135, v5, v98
	v_mul_f32_e32 v2, v6, v98
	s_waitcnt vmcnt(29)
	v_mul_f32_e32 v137, v7, v96
	v_mul_f32_e32 v3, v8, v96
	s_waitcnt vmcnt(28) lgkmcnt(1)
	v_mul_f32_e32 v152, v126, v99
	v_fmac_f32_e32 v135, v6, v94
	v_fma_f32 v6, v5, v94, -v2
	s_waitcnt vmcnt(24)
	v_fmac_f32_e32 v137, v8, v109
	v_fma_f32 v7, v7, v109, -v3
	s_waitcnt vmcnt(23)
	v_mul_f32_e32 v8, v128, v108
	v_mul_f32_e32 v94, v127, v99
	;; [unrolled: 1-line block ×3, first 2 shown]
	ds_read2_b64 v[2:5], v1 offset0:61 offset1:62
	v_fmac_f32_e32 v152, v127, v107
	v_fmac_f32_e32 v8, v129, v104
	v_fma_f32 v107, v126, v107, -v94
	v_fma_f32 v104, v128, v104, -v95
	ds_read2_b64 v[94:97], v1 offset0:63 offset1:64
	s_waitcnt vmcnt(22) lgkmcnt(2)
	v_mul_f32_e32 v108, v130, v106
	v_mul_f32_e32 v98, v131, v106
	s_waitcnt vmcnt(21)
	v_mul_f32_e32 v106, v132, v105
	v_mul_f32_e32 v99, v133, v105
	buffer_load_dword v105, off, s[0:3], 0 offset:220
	v_fmac_f32_e32 v108, v131, v103
	v_fma_f32 v103, v130, v103, -v98
	s_waitcnt vmcnt(18)
	v_fmac_f32_e32 v106, v133, v117
	v_fma_f32 v109, v132, v117, -v99
	s_waitcnt vmcnt(17) lgkmcnt(1)
	v_mul_f32_e32 v117, v2, v115
	s_waitcnt vmcnt(16)
	v_mul_f32_e32 v126, v4, v116
	v_mul_f32_e32 v98, v3, v115
	;; [unrolled: 1-line block ×3, first 2 shown]
	v_fmac_f32_e32 v117, v3, v112
	v_fmac_f32_e32 v126, v5, v111
	v_fma_f32 v112, v2, v112, -v98
	v_fma_f32 v111, v4, v111, -v99
	ds_read2_b64 v[2:5], v1 offset0:65 offset1:66
	s_waitcnt vmcnt(15) lgkmcnt(1)
	v_mul_f32_e32 v115, v94, v114
	v_mul_f32_e32 v100, v95, v114
	s_waitcnt vmcnt(14)
	v_mul_f32_e32 v114, v96, v113
	v_mul_f32_e32 v113, v97, v113
	v_fmac_f32_e32 v115, v95, v110
	v_fma_f32 v110, v94, v110, -v100
	ds_read2_b64 v[98:101], v1 offset0:67 offset1:68
	s_waitcnt vmcnt(10)
	v_fmac_f32_e32 v114, v97, v125
	v_fma_f32 v113, v96, v125, -v113
	s_clause 0x1
	buffer_load_dword v116, off, s[0:3], 0 offset:228
	buffer_load_dword v125, off, s[0:3], 0 offset:236
	s_waitcnt vmcnt(11) lgkmcnt(1)
	v_mul_f32_e32 v127, v2, v124
	v_mul_f32_e32 v94, v3, v124
	s_waitcnt vmcnt(10)
	v_mul_f32_e32 v128, v4, v123
	v_mul_f32_e32 v95, v5, v123
	buffer_load_dword v124, off, s[0:3], 0 offset:244
	v_fmac_f32_e32 v127, v3, v121
	v_fma_f32 v121, v2, v121, -v94
	v_fmac_f32_e32 v128, v5, v119
	s_waitcnt vmcnt(10) lgkmcnt(0)
	v_mul_f32_e32 v123, v98, v122
	v_mul_f32_e32 v2, v99, v122
	s_waitcnt vmcnt(9)
	v_mul_f32_e32 v3, v101, v120
	s_clause 0x3
	buffer_load_dword v122, off, s[0:3], 0 offset:264
	buffer_load_dword v129, off, s[0:3], 0 offset:256
	;; [unrolled: 1-line block ×4, first 2 shown]
	v_mul_f32_e32 v132, v100, v120
	v_fmac_f32_e32 v123, v99, v118
	v_fma_f32 v118, v98, v118, -v2
	v_add_f32_e32 v2, 0, v142
	s_clause 0x1
	buffer_load_dword v120, off, s[0:3], 0 offset:252
	buffer_load_dword v142, off, s[0:3], 0 offset:268
	s_waitcnt vmcnt(11)
	v_fma_f32 v133, v100, v141, -v3
	v_add_f32_e32 v3, 0, v145
	v_add_f32_e32 v2, v2, v143
	v_fmac_f32_e32 v132, v101, v141
	s_clause 0x4
	buffer_load_dword v141, off, s[0:3], 0 offset:260
	buffer_load_dword v143, off, s[0:3], 0 offset:276
	;; [unrolled: 1-line block ×5, first 2 shown]
	v_add_f32_e32 v3, v3, v146
	v_add_f32_e32 v2, v2, v147
	s_clause 0x1
	buffer_load_dword v146, off, s[0:3], 0 offset:308
	buffer_load_dword v147, off, s[0:3], 0 offset:316
	v_fma_f32 v119, v4, v119, -v95
	v_add_f32_e32 v3, v3, v149
	v_add_f32_e32 v2, v2, v148
	s_clause 0x1
	buffer_load_dword v148, off, s[0:3], 0 offset:324
	buffer_load_dword v149, off, s[0:3], 0 offset:332
	v_add_f32_e32 v3, v3, v102
	v_add_f32_e32 v2, v2, v150
	;; [unrolled: 1-line block ×4, first 2 shown]
	s_clause 0x3
	buffer_load_dword v134, off, s[0:3], 0 offset:296
	buffer_load_dword v150, off, s[0:3], 0 offset:288
	;; [unrolled: 1-line block ×4, first 2 shown]
	v_add_f32_e32 v3, v3, v136
	v_add_f32_e32 v2, v2, v135
	;; [unrolled: 1-line block ×4, first 2 shown]
	s_clause 0x4
	buffer_load_dword v135, off, s[0:3], 0 offset:328
	buffer_load_dword v136, off, s[0:3], 0 offset:320
	;; [unrolled: 1-line block ×5, first 2 shown]
	ds_read2_b64 v[94:97], v1 offset0:71 offset1:72
	v_add_f32_e32 v3, v3, v7
	v_add_f32_e32 v2, v2, v152
	;; [unrolled: 1-line block ×5, first 2 shown]
	ds_read2_b64 v[2:5], v1 offset0:69 offset1:70
	v_add_f32_e32 v6, v6, v108
	v_add_f32_e32 v7, v7, v103
	;; [unrolled: 1-line block ×14, first 2 shown]
	s_waitcnt vmcnt(27) lgkmcnt(0)
	v_mul_f32_e32 v8, v2, v105
	v_mul_f32_e32 v98, v3, v105
	v_fmac_f32_e32 v8, v3, v140
	v_add_f32_e32 v3, v7, v110
	v_fma_f32 v110, v2, v140, -v98
	v_add_f32_e32 v8, v117, v8
	v_add_f32_e32 v7, v3, v113
	v_add_f32_e32 v7, v7, v121
	v_add_f32_e32 v7, v7, v119
	v_add_f32_e32 v7, v7, v118
	s_waitcnt vmcnt(26)
	v_mul_f32_e32 v111, v4, v116
	v_mul_f32_e32 v99, v5, v116
	v_add_f32_e32 v118, v7, v133
	s_waitcnt vmcnt(25)
	v_mul_f32_e32 v106, v95, v125
	v_mul_f32_e32 v113, v94, v125
	v_fmac_f32_e32 v111, v5, v139
	v_fma_f32 v112, v4, v139, -v99
	ds_read2_b64 v[2:5], v1 offset0:73 offset1:74
	ds_read2_b64 v[98:101], v1 offset0:75 offset1:76
	v_add_f32_e32 v110, v118, v110
	v_fma_f32 v116, v94, v138, -v106
	v_fmac_f32_e32 v113, v95, v138
	v_add_f32_e32 v8, v8, v111
	ds_read2_b64 v[102:105], v1 offset0:77 offset1:78
	ds_read2_b64 v[106:109], v1 offset0:79 offset1:80
	s_waitcnt vmcnt(24)
	v_mul_f32_e32 v115, v97, v124
	v_add_f32_e32 v110, v110, v112
	v_mul_f32_e32 v114, v96, v124
	v_add_f32_e32 v8, v8, v113
	v_add_f32_e32 v110, v110, v116
	s_waitcnt vmcnt(20)
	v_fma_f32 v115, v96, v131, -v115
	v_fmac_f32_e32 v114, v97, v131
	ds_read2_b64 v[94:97], v1 offset0:81 offset1:82
	ds_read_b64 v[6:7], v1 offset:664
	s_waitcnt vmcnt(19) lgkmcnt(5)
	v_mul_f32_e32 v118, v3, v120
	v_mul_f32_e32 v119, v2, v120
	v_add_f32_e32 v110, v110, v115
	v_add_f32_e32 v8, v8, v114
	s_waitcnt vmcnt(18) lgkmcnt(4)
	v_mul_f32_e32 v117, v98, v142
	v_fma_f32 v2, v2, v130, -v118
	s_waitcnt vmcnt(17)
	v_mul_f32_e32 v120, v5, v141
	v_mul_f32_e32 v121, v4, v141
	v_fmac_f32_e32 v119, v3, v130
	v_mul_f32_e32 v118, v99, v142
	v_add_f32_e32 v2, v110, v2
	v_fma_f32 v4, v4, v129, -v120
	v_fmac_f32_e32 v121, v5, v129
	v_add_f32_e32 v5, v8, v119
	s_waitcnt vmcnt(16)
	v_mul_f32_e32 v8, v101, v143
	v_fma_f32 v98, v98, v122, -v118
	v_add_f32_e32 v2, v2, v4
	v_mul_f32_e32 v112, v100, v143
	v_fmac_f32_e32 v117, v99, v122
	v_add_f32_e32 v4, v5, v121
	s_waitcnt vmcnt(15) lgkmcnt(3)
	v_mul_f32_e32 v5, v103, v145
	v_add_f32_e32 v2, v2, v98
	v_mul_f32_e32 v123, v102, v145
	s_waitcnt vmcnt(14)
	v_mul_f32_e32 v98, v105, v153
	v_add_f32_e32 v4, v4, v117
	s_waitcnt vmcnt(5)
	v_fma_f32 v8, v100, v155, -v8
	v_fmac_f32_e32 v112, v101, v155
	v_fma_f32 v5, v102, v151, -v5
	v_mul_f32_e32 v111, v104, v153
	v_fmac_f32_e32 v123, v103, v151
	v_add_f32_e32 v2, v2, v8
	v_add_f32_e32 v4, v4, v112
	s_waitcnt lgkmcnt(2)
	v_mul_f32_e32 v8, v107, v154
	v_fma_f32 v98, v104, v150, -v98
	v_mul_f32_e32 v116, v106, v154
	v_add_f32_e32 v2, v2, v5
	v_fmac_f32_e32 v111, v105, v150
	v_add_f32_e32 v4, v4, v123
	v_mul_f32_e32 v5, v109, v146
	v_fma_f32 v8, v106, v134, -v8
	v_add_f32_e32 v2, v2, v98
	v_mul_f32_e32 v3, v108, v146
	v_fmac_f32_e32 v116, v107, v134
	v_add_f32_e32 v4, v4, v111
	s_waitcnt lgkmcnt(1)
	v_mul_f32_e32 v98, v95, v147
	s_waitcnt vmcnt(1)
	v_fma_f32 v5, v108, v156, -v5
	v_add_f32_e32 v2, v2, v8
	v_mul_f32_e32 v113, v94, v147
	v_fmac_f32_e32 v3, v109, v156
	v_add_f32_e32 v4, v4, v116
	v_mul_f32_e32 v8, v97, v148
	v_fma_f32 v94, v94, v137, -v98
	v_add_f32_e32 v2, v2, v5
	v_mul_f32_e32 v115, v96, v148
	v_fmac_f32_e32 v113, v95, v137
	v_add_f32_e32 v3, v4, v3
	s_waitcnt lgkmcnt(0)
	v_mul_f32_e32 v4, v7, v149
	v_fma_f32 v5, v96, v136, -v8
	v_add_f32_e32 v2, v2, v94
	v_mul_f32_e32 v114, v6, v149
	v_fmac_f32_e32 v115, v97, v136
	v_add_f32_e32 v3, v3, v113
	v_fma_f32 v4, v6, v135, -v4
	v_add_f32_e32 v2, v2, v5
	v_fmac_f32_e32 v114, v7, v135
	v_add_f32_e32 v3, v3, v115
	v_add_f32_e32 v2, v2, v4
	;; [unrolled: 1-line block ×3, first 2 shown]
	s_waitcnt vmcnt(0)
	v_sub_f32_e32 v2, v157, v2
	v_sub_f32_e32 v3, v144, v3
	buffer_store_dword v2, off, s[0:3], 0 offset:48
	buffer_store_dword v3, off, s[0:3], 0 offset:52
	v_cmpx_lt_u32_e32 5, v0
	s_cbranch_execz .LBB105_255
; %bb.254:
	s_clause 0x1
	buffer_load_dword v2, off, s[0:3], 0 offset:40
	buffer_load_dword v3, off, s[0:3], 0 offset:44
	buffer_store_dword v1, off, s[0:3], 0 offset:40
	buffer_store_dword v1, off, s[0:3], 0 offset:44
	s_waitcnt vmcnt(0)
	ds_write_b64 v93, v[2:3]
.LBB105_255:
	s_or_b32 exec_lo, exec_lo, s4
	s_waitcnt lgkmcnt(0)
	s_waitcnt_vscnt null, 0x0
	s_barrier
	buffer_gl0_inv
	s_clause 0x2a
	buffer_load_dword v8, off, s[0:3], 0 offset:52
	buffer_load_dword v94, off, s[0:3], 0 offset:60
	buffer_load_dword v2, off, s[0:3], 0 offset:64
	buffer_load_dword v5, off, s[0:3], 0 offset:56
	buffer_load_dword v6, off, s[0:3], 0 offset:48
	buffer_load_dword v3, off, s[0:3], 0 offset:68
	buffer_load_dword v4, off, s[0:3], 0 offset:76
	buffer_load_dword v7, off, s[0:3], 0 offset:96
	buffer_load_dword v95, off, s[0:3], 0 offset:88
	buffer_load_dword v98, off, s[0:3], 0 offset:80
	buffer_load_dword v101, off, s[0:3], 0 offset:72
	buffer_load_dword v99, off, s[0:3], 0 offset:84
	buffer_load_dword v100, off, s[0:3], 0 offset:92
	buffer_load_dword v96, off, s[0:3], 0 offset:100
	buffer_load_dword v97, off, s[0:3], 0 offset:108
	buffer_load_dword v102, off, s[0:3], 0 offset:128
	buffer_load_dword v103, off, s[0:3], 0 offset:120
	buffer_load_dword v106, off, s[0:3], 0 offset:112
	buffer_load_dword v109, off, s[0:3], 0 offset:104
	buffer_load_dword v107, off, s[0:3], 0 offset:116
	buffer_load_dword v108, off, s[0:3], 0 offset:124
	buffer_load_dword v104, off, s[0:3], 0 offset:132
	buffer_load_dword v105, off, s[0:3], 0 offset:140
	buffer_load_dword v110, off, s[0:3], 0 offset:160
	buffer_load_dword v111, off, s[0:3], 0 offset:152
	buffer_load_dword v114, off, s[0:3], 0 offset:144
	buffer_load_dword v117, off, s[0:3], 0 offset:136
	buffer_load_dword v115, off, s[0:3], 0 offset:148
	buffer_load_dword v116, off, s[0:3], 0 offset:156
	buffer_load_dword v112, off, s[0:3], 0 offset:164
	buffer_load_dword v113, off, s[0:3], 0 offset:172
	buffer_load_dword v118, off, s[0:3], 0 offset:192
	buffer_load_dword v121, off, s[0:3], 0 offset:184
	buffer_load_dword v122, off, s[0:3], 0 offset:176
	buffer_load_dword v125, off, s[0:3], 0 offset:168
	buffer_load_dword v123, off, s[0:3], 0 offset:180
	buffer_load_dword v124, off, s[0:3], 0 offset:188
	buffer_load_dword v120, off, s[0:3], 0 offset:196
	buffer_load_dword v119, off, s[0:3], 0 offset:204
	buffer_load_dword v138, off, s[0:3], 0 offset:224
	buffer_load_dword v139, off, s[0:3], 0 offset:216
	buffer_load_dword v140, off, s[0:3], 0 offset:208
	buffer_load_dword v141, off, s[0:3], 0 offset:200
	ds_read_b128 v[126:129], v1 offset:384
	ds_read_b128 v[130:133], v1 offset:400
	;; [unrolled: 1-line block ×3, first 2 shown]
	buffer_load_dword v144, off, s[0:3], 0 offset:44
	s_mov_b32 s4, exec_lo
	s_waitcnt vmcnt(43) lgkmcnt(2)
	v_mul_f32_e32 v142, v126, v8
	s_waitcnt vmcnt(42)
	v_mul_f32_e32 v143, v128, v94
	v_mul_f32_e32 v8, v127, v8
	;; [unrolled: 1-line block ×3, first 2 shown]
	s_waitcnt vmcnt(39)
	v_fmac_f32_e32 v142, v127, v6
	v_fmac_f32_e32 v143, v129, v5
	v_fma_f32 v6, v126, v6, -v8
	v_fma_f32 v8, v128, v5, -v94
	ds_read_b128 v[126:129], v1 offset:432
	s_waitcnt vmcnt(38) lgkmcnt(2)
	v_mul_f32_e32 v145, v130, v3
	s_waitcnt vmcnt(37)
	v_mul_f32_e32 v146, v132, v4
	v_mul_f32_e32 v3, v131, v3
	;; [unrolled: 1-line block ×3, first 2 shown]
	s_waitcnt vmcnt(32) lgkmcnt(1)
	v_mul_f32_e32 v94, v135, v99
	v_fmac_f32_e32 v145, v131, v2
	v_fmac_f32_e32 v146, v133, v101
	v_fma_f32 v130, v130, v2, -v3
	v_fma_f32 v131, v132, v101, -v4
	ds_read_b128 v[2:5], v1 offset:448
	v_mul_f32_e32 v132, v134, v99
	s_waitcnt vmcnt(31)
	v_mul_f32_e32 v133, v136, v100
	v_mul_f32_e32 v99, v137, v100
	v_fma_f32 v134, v134, v98, -v94
	v_fmac_f32_e32 v132, v135, v98
	v_fmac_f32_e32 v133, v137, v95
	v_fma_f32 v135, v136, v95, -v99
	ds_read_b128 v[98:101], v1 offset:464
	s_waitcnt vmcnt(30) lgkmcnt(2)
	v_mul_f32_e32 v136, v126, v96
	s_waitcnt vmcnt(29)
	v_mul_f32_e32 v137, v128, v97
	v_mul_f32_e32 v94, v127, v96
	;; [unrolled: 1-line block ×3, first 2 shown]
	v_fmac_f32_e32 v136, v127, v7
	s_waitcnt vmcnt(25)
	v_fmac_f32_e32 v137, v129, v109
	v_fma_f32 v7, v126, v7, -v94
	v_fma_f32 v109, v128, v109, -v95
	ds_read_b128 v[94:97], v1 offset:480
	s_waitcnt vmcnt(24) lgkmcnt(2)
	v_mul_f32_e32 v126, v2, v107
	s_waitcnt vmcnt(23)
	v_mul_f32_e32 v127, v4, v108
	v_mul_f32_e32 v107, v3, v107
	;; [unrolled: 1-line block ×3, first 2 shown]
	v_fmac_f32_e32 v126, v3, v106
	v_fmac_f32_e32 v127, v5, v103
	v_fma_f32 v106, v2, v106, -v107
	v_fma_f32 v103, v4, v103, -v108
	ds_read_b128 v[2:5], v1 offset:496
	s_waitcnt vmcnt(22) lgkmcnt(2)
	v_mul_f32_e32 v107, v98, v104
	s_waitcnt vmcnt(21)
	v_mul_f32_e32 v108, v100, v105
	v_mul_f32_e32 v104, v99, v104
	;; [unrolled: 1-line block ×3, first 2 shown]
	v_fmac_f32_e32 v107, v99, v102
	s_waitcnt vmcnt(17)
	v_fmac_f32_e32 v108, v101, v117
	v_fma_f32 v102, v98, v102, -v104
	v_fma_f32 v104, v100, v117, -v105
	s_waitcnt vmcnt(16) lgkmcnt(1)
	v_mul_f32_e32 v105, v94, v115
	v_mul_f32_e32 v115, v95, v115
	ds_read_b128 v[98:101], v1 offset:512
	s_waitcnt vmcnt(15)
	v_mul_f32_e32 v117, v96, v116
	v_mul_f32_e32 v116, v97, v116
	v_fmac_f32_e32 v105, v95, v114
	v_fma_f32 v94, v94, v114, -v115
	s_clause 0x1
	buffer_load_dword v114, off, s[0:3], 0 offset:212
	buffer_load_dword v115, off, s[0:3], 0 offset:220
	v_fmac_f32_e32 v117, v97, v111
	v_fma_f32 v111, v96, v111, -v116
	s_waitcnt vmcnt(16) lgkmcnt(1)
	v_mul_f32_e32 v116, v2, v112
	s_waitcnt vmcnt(15)
	v_mul_f32_e32 v128, v4, v113
	v_mul_f32_e32 v95, v3, v112
	;; [unrolled: 1-line block ×3, first 2 shown]
	buffer_load_dword v113, off, s[0:3], 0 offset:228
	v_fmac_f32_e32 v116, v3, v110
	s_waitcnt vmcnt(12)
	v_fmac_f32_e32 v128, v5, v125
	v_fma_f32 v110, v2, v110, -v95
	v_fma_f32 v112, v4, v125, -v96
	ds_read_b128 v[2:5], v1 offset:528
	s_waitcnt vmcnt(11) lgkmcnt(1)
	v_mul_f32_e32 v125, v98, v123
	s_waitcnt vmcnt(10)
	v_mul_f32_e32 v129, v100, v124
	v_mul_f32_e32 v95, v99, v123
	;; [unrolled: 1-line block ×3, first 2 shown]
	s_clause 0x5
	buffer_load_dword v123, off, s[0:3], 0 offset:236
	buffer_load_dword v124, off, s[0:3], 0 offset:256
	;; [unrolled: 1-line block ×6, first 2 shown]
	v_fmac_f32_e32 v125, v99, v122
	v_fma_f32 v122, v98, v122, -v95
	v_fmac_f32_e32 v129, v101, v121
	v_fma_f32 v121, v100, v121, -v96
	s_waitcnt vmcnt(15) lgkmcnt(0)
	v_mul_f32_e32 v150, v2, v120
	v_mul_f32_e32 v95, v3, v120
	v_fmac_f32_e32 v150, v3, v118
	v_add_f32_e32 v3, 0, v142
	v_fma_f32 v118, v2, v118, -v95
	v_add_f32_e32 v2, 0, v6
	s_waitcnt vmcnt(14)
	v_mul_f32_e32 v6, v4, v119
	v_mul_f32_e32 v95, v5, v119
	v_add_f32_e32 v3, v3, v143
	buffer_load_dword v119, off, s[0:3], 0 offset:252
	v_add_f32_e32 v2, v2, v8
	buffer_load_dword v8, off, s[0:3], 0 offset:260
	s_waitcnt vmcnt(12)
	v_fmac_f32_e32 v6, v5, v141
	v_add_f32_e32 v3, v3, v145
	v_fma_f32 v120, v4, v141, -v95
	v_add_f32_e32 v2, v2, v130
	s_clause 0x3
	buffer_load_dword v141, off, s[0:3], 0 offset:268
	buffer_load_dword v130, off, s[0:3], 0 offset:276
	;; [unrolled: 1-line block ×4, first 2 shown]
	v_add_f32_e32 v3, v3, v146
	v_add_f32_e32 v2, v2, v131
	s_clause 0x3
	buffer_load_dword v131, off, s[0:3], 0 offset:300
	buffer_load_dword v145, off, s[0:3], 0 offset:308
	;; [unrolled: 1-line block ×4, first 2 shown]
	v_add_f32_e32 v3, v3, v132
	buffer_load_dword v132, off, s[0:3], 0 offset:332
	v_add_f32_e32 v2, v2, v134
	v_add_f32_e32 v3, v3, v133
	;; [unrolled: 1-line block ×3, first 2 shown]
	s_clause 0x3
	buffer_load_dword v133, off, s[0:3], 0 offset:288
	buffer_load_dword v134, off, s[0:3], 0 offset:280
	;; [unrolled: 1-line block ×4, first 2 shown]
	v_add_f32_e32 v3, v3, v136
	v_add_f32_e32 v2, v2, v7
	;; [unrolled: 1-line block ×3, first 2 shown]
	s_clause 0x4
	buffer_load_dword v7, off, s[0:3], 0 offset:320
	buffer_load_dword v136, off, s[0:3], 0 offset:312
	;; [unrolled: 1-line block ×5, first 2 shown]
	v_add_f32_e32 v2, v2, v109
	v_add_f32_e32 v3, v3, v126
	buffer_load_dword v126, off, s[0:3], 0 offset:328
	v_add_f32_e32 v2, v2, v106
	v_add_f32_e32 v3, v3, v127
	;; [unrolled: 1-line block ×5, first 2 shown]
	ds_read_b128 v[2:5], v1 offset:544
	v_add_f32_e32 v95, v95, v108
	v_add_f32_e32 v96, v96, v104
	;; [unrolled: 1-line block ×4, first 2 shown]
	ds_read_b128 v[94:97], v1 offset:560
	v_add_f32_e32 v98, v98, v117
	v_add_f32_e32 v99, v99, v111
	;; [unrolled: 1-line block ×11, first 2 shown]
	s_waitcnt vmcnt(29) lgkmcnt(1)
	v_mul_f32_e32 v117, v2, v114
	v_mul_f32_e32 v100, v3, v114
	s_waitcnt vmcnt(28)
	v_mul_f32_e32 v114, v4, v115
	v_mul_f32_e32 v101, v5, v115
	v_fmac_f32_e32 v117, v3, v140
	v_fma_f32 v115, v2, v140, -v100
	v_fmac_f32_e32 v114, v5, v139
	v_fma_f32 v116, v4, v139, -v101
	ds_read_b128 v[2:5], v1 offset:576
	ds_read_b128 v[98:101], v1 offset:592
	s_waitcnt vmcnt(27) lgkmcnt(2)
	v_mul_f32_e32 v127, v94, v113
	v_mul_f32_e32 v104, v95, v113
	v_fmac_f32_e32 v127, v95, v138
	v_add_f32_e32 v95, v103, v129
	v_fma_f32 v122, v94, v138, -v104
	s_waitcnt vmcnt(26)
	v_mul_f32_e32 v128, v96, v123
	v_mul_f32_e32 v105, v97, v123
	v_add_f32_e32 v107, v95, v150
	s_waitcnt vmcnt(22)
	v_fmac_f32_e32 v128, v97, v149
	v_fma_f32 v121, v96, v149, -v105
	v_add_f32_e32 v6, v107, v6
	ds_read_b128 v[94:97], v1 offset:608
	ds_read_b128 v[102:105], v1 offset:624
	s_waitcnt vmcnt(21) lgkmcnt(3)
	v_mul_f32_e32 v111, v3, v151
	v_mul_f32_e32 v118, v2, v151
	ds_read_b128 v[106:109], v1 offset:640
	v_fma_f32 v2, v2, v148, -v111
	ds_read_b128 v[110:113], v1 offset:656
	v_add_f32_e32 v1, v120, v115
	v_fmac_f32_e32 v118, v3, v148
	v_add_f32_e32 v3, v6, v117
	v_add_f32_e32 v1, v1, v116
	;; [unrolled: 1-line block ×3, first 2 shown]
	s_waitcnt vmcnt(20)
	v_mul_f32_e32 v115, v5, v119
	v_add_f32_e32 v1, v1, v122
	v_mul_f32_e32 v6, v4, v119
	v_add_f32_e32 v3, v3, v127
	s_waitcnt vmcnt(19) lgkmcnt(4)
	v_mul_f32_e32 v114, v98, v8
	v_mul_f32_e32 v8, v99, v8
	v_add_f32_e32 v1, v1, v121
	v_fma_f32 v4, v4, v147, -v115
	v_add_f32_e32 v3, v3, v128
	v_fmac_f32_e32 v6, v5, v147
	s_waitcnt vmcnt(18)
	v_mul_f32_e32 v121, v101, v141
	v_add_f32_e32 v1, v1, v2
	v_fma_f32 v8, v98, v124, -v8
	v_add_f32_e32 v2, v3, v118
	v_mul_f32_e32 v116, v100, v141
	v_fmac_f32_e32 v114, v99, v124
	v_add_f32_e32 v1, v1, v4
	s_waitcnt vmcnt(17) lgkmcnt(3)
	v_mul_f32_e32 v4, v95, v130
	v_add_f32_e32 v2, v2, v6
	v_mul_f32_e32 v5, v94, v130
	s_waitcnt vmcnt(16)
	v_mul_f32_e32 v115, v96, v142
	v_add_f32_e32 v1, v1, v8
	s_waitcnt vmcnt(6)
	v_fma_f32 v6, v100, v153, -v121
	v_fmac_f32_e32 v116, v101, v153
	v_add_f32_e32 v2, v2, v114
	v_mul_f32_e32 v8, v97, v142
	v_fma_f32 v4, v94, v135, -v4
	v_add_f32_e32 v1, v1, v6
	v_fmac_f32_e32 v5, v95, v135
	v_add_f32_e32 v2, v2, v116
	s_waitcnt lgkmcnt(2)
	v_mul_f32_e32 v6, v103, v143
	v_fma_f32 v8, v96, v134, -v8
	v_add_f32_e32 v1, v1, v4
	v_mul_f32_e32 v117, v102, v143
	v_fmac_f32_e32 v115, v97, v134
	v_add_f32_e32 v2, v2, v5
	v_mul_f32_e32 v4, v105, v131
	v_fma_f32 v5, v102, v133, -v6
	v_add_f32_e32 v1, v1, v8
	v_mul_f32_e32 v119, v104, v131
	v_fmac_f32_e32 v117, v103, v133
	v_add_f32_e32 v2, v2, v115
	s_waitcnt lgkmcnt(1)
	v_mul_f32_e32 v6, v107, v145
	s_waitcnt vmcnt(2)
	v_fma_f32 v4, v104, v154, -v4
	v_add_f32_e32 v1, v1, v5
	v_mul_f32_e32 v120, v106, v145
	v_fmac_f32_e32 v119, v105, v154
	v_add_f32_e32 v2, v2, v117
	v_mul_f32_e32 v5, v109, v146
	v_fma_f32 v6, v106, v137, -v6
	v_add_f32_e32 v1, v1, v4
	v_mul_f32_e32 v122, v108, v146
	v_fmac_f32_e32 v120, v107, v137
	v_add_f32_e32 v2, v2, v119
	s_waitcnt lgkmcnt(0)
	v_mul_f32_e32 v4, v111, v152
	v_fma_f32 v5, v108, v136, -v5
	v_add_f32_e32 v1, v1, v6
	v_mul_f32_e32 v123, v110, v152
	v_fmac_f32_e32 v122, v109, v136
	v_add_f32_e32 v2, v2, v120
	v_mul_f32_e32 v6, v113, v132
	v_fma_f32 v4, v110, v7, -v4
	v_add_f32_e32 v1, v1, v5
	v_mul_f32_e32 v3, v112, v132
	v_fmac_f32_e32 v123, v111, v7
	v_add_f32_e32 v2, v2, v122
	s_waitcnt vmcnt(0)
	v_fma_f32 v5, v112, v126, -v6
	v_add_f32_e32 v1, v1, v4
	v_fmac_f32_e32 v3, v113, v126
	v_add_f32_e32 v2, v2, v123
	v_add_f32_e32 v1, v1, v5
	;; [unrolled: 1-line block ×3, first 2 shown]
	v_sub_f32_e32 v1, v155, v1
	v_sub_f32_e32 v2, v144, v2
	buffer_store_dword v1, off, s[0:3], 0 offset:40
	buffer_store_dword v2, off, s[0:3], 0 offset:44
	v_cmpx_lt_u32_e32 4, v0
	s_cbranch_execz .LBB105_257
; %bb.256:
	s_clause 0x1
	buffer_load_dword v1, off, s[0:3], 0 offset:32
	buffer_load_dword v2, off, s[0:3], 0 offset:36
	v_mov_b32_e32 v3, 0
	buffer_store_dword v3, off, s[0:3], 0 offset:32
	buffer_store_dword v3, off, s[0:3], 0 offset:36
	s_waitcnt vmcnt(0)
	ds_write_b64 v93, v[1:2]
.LBB105_257:
	s_or_b32 exec_lo, exec_lo, s4
	s_waitcnt lgkmcnt(0)
	s_waitcnt_vscnt null, 0x0
	s_barrier
	buffer_gl0_inv
	s_clause 0x2b
	buffer_load_dword v125, off, s[0:3], 0 offset:44
	buffer_load_dword v2, off, s[0:3], 0 offset:56
	;; [unrolled: 1-line block ×44, first 2 shown]
	v_mov_b32_e32 v1, 0
	ds_read2_b64 v[126:129], v1 offset0:47 offset1:48
	ds_read2_b64 v[130:133], v1 offset0:49 offset1:50
	;; [unrolled: 1-line block ×3, first 2 shown]
	buffer_load_dword v144, off, s[0:3], 0 offset:36
	s_mov_b32 s4, exec_lo
	s_waitcnt vmcnt(44) lgkmcnt(2)
	v_mul_f32_e32 v143, v126, v125
	v_mul_f32_e32 v125, v127, v125
	s_waitcnt vmcnt(40)
	v_mul_f32_e32 v146, v128, v94
	v_mul_f32_e32 v94, v129, v94
	v_fmac_f32_e32 v143, v127, v95
	v_fma_f32 v145, v126, v95, -v125
	s_waitcnt vmcnt(39) lgkmcnt(1)
	v_mul_f32_e32 v148, v130, v7
	v_fmac_f32_e32 v146, v129, v5
	v_fma_f32 v147, v128, v5, -v94
	v_mul_f32_e32 v5, v131, v7
	ds_read2_b64 v[125:128], v1 offset0:53 offset1:54
	v_fmac_f32_e32 v148, v131, v2
	s_waitcnt vmcnt(38)
	v_mul_f32_e32 v150, v132, v4
	v_fma_f32 v149, v130, v2, -v5
	v_mul_f32_e32 v2, v133, v4
	s_waitcnt vmcnt(34)
	v_fmac_f32_e32 v150, v133, v99
	s_waitcnt vmcnt(33) lgkmcnt(1)
	v_mul_f32_e32 v133, v134, v98
	v_fma_f32 v99, v132, v99, -v2
	v_mul_f32_e32 v2, v135, v98
	ds_read2_b64 v[129:132], v1 offset0:55 offset1:56
	v_fmac_f32_e32 v133, v135, v96
	v_fma_f32 v98, v134, v96, -v2
	s_waitcnt vmcnt(32)
	v_mul_f32_e32 v134, v136, v97
	v_mul_f32_e32 v2, v137, v97
	ds_read2_b64 v[94:97], v1 offset0:59 offset1:60
	v_fmac_f32_e32 v134, v137, v6
	v_fma_f32 v135, v136, v6, -v2
	s_waitcnt vmcnt(31) lgkmcnt(2)
	v_mul_f32_e32 v2, v126, v8
	ds_read2_b64 v[4:7], v1 offset0:57 offset1:58
	v_mul_f32_e32 v136, v125, v8
	v_fma_f32 v8, v125, v3, -v2
	s_waitcnt vmcnt(30)
	v_mul_f32_e32 v2, v128, v100
	v_mul_f32_e32 v125, v127, v100
	v_fmac_f32_e32 v136, v126, v3
	s_waitcnt vmcnt(24) lgkmcnt(2)
	v_mul_f32_e32 v126, v131, v105
	v_fma_f32 v100, v127, v108, -v2
	v_mul_f32_e32 v2, v130, v107
	v_fmac_f32_e32 v125, v128, v108
	v_mul_f32_e32 v108, v129, v107
	v_fmac_f32_e32 v126, v132, v102
	v_fma_f32 v107, v129, v104, -v2
	v_mul_f32_e32 v2, v132, v105
	v_fmac_f32_e32 v108, v130, v104
	s_waitcnt vmcnt(23) lgkmcnt(0)
	v_mul_f32_e32 v128, v4, v103
	s_waitcnt vmcnt(22)
	v_mul_f32_e32 v129, v6, v106
	v_fma_f32 v127, v131, v102, -v2
	v_mul_f32_e32 v2, v5, v103
	ds_read2_b64 v[102:105], v1 offset0:61 offset1:62
	v_fmac_f32_e32 v128, v5, v101
	s_waitcnt vmcnt(18)
	v_fmac_f32_e32 v129, v7, v117
	v_fma_f32 v101, v4, v101, -v2
	v_mul_f32_e32 v2, v7, v106
	s_waitcnt vmcnt(17)
	v_mul_f32_e32 v7, v94, v116
	s_waitcnt vmcnt(16)
	v_mul_f32_e32 v106, v96, v115
	v_mul_f32_e32 v115, v97, v115
	v_fma_f32 v6, v6, v117, -v2
	v_mul_f32_e32 v2, v95, v116
	v_fmac_f32_e32 v7, v95, v113
	v_fmac_f32_e32 v106, v97, v110
	v_fma_f32 v110, v96, v110, -v115
	v_add_f32_e32 v96, 0, v143
	v_fma_f32 v113, v94, v113, -v2
	ds_read2_b64 v[2:5], v1 offset0:63 offset1:64
	s_clause 0x2
	buffer_load_dword v115, off, s[0:3], 0 offset:212
	buffer_load_dword v116, off, s[0:3], 0 offset:220
	;; [unrolled: 1-line block ×3, first 2 shown]
	s_waitcnt vmcnt(18) lgkmcnt(1)
	v_mul_f32_e32 v117, v102, v111
	v_mul_f32_e32 v94, v103, v111
	s_waitcnt vmcnt(17)
	v_mul_f32_e32 v111, v104, v114
	v_mul_f32_e32 v95, v105, v114
	v_fmac_f32_e32 v117, v103, v109
	v_fma_f32 v102, v102, v109, -v94
	s_waitcnt vmcnt(13)
	v_fmac_f32_e32 v111, v105, v124
	v_fma_f32 v103, v104, v124, -v95
	v_add_f32_e32 v105, v96, v146
	ds_read2_b64 v[94:97], v1 offset0:65 offset1:66
	v_add_f32_e32 v104, 0, v145
	v_add_f32_e32 v105, v105, v148
	;; [unrolled: 1-line block ×3, first 2 shown]
	s_waitcnt vmcnt(12) lgkmcnt(1)
	v_mul_f32_e32 v109, v2, v123
	v_mul_f32_e32 v114, v3, v123
	s_clause 0x3
	buffer_load_dword v123, off, s[0:3], 0 offset:248
	buffer_load_dword v124, off, s[0:3], 0 offset:240
	buffer_load_dword v131, off, s[0:3], 0 offset:232
	buffer_load_dword v132, off, s[0:3], 0 offset:224
	v_fmac_f32_e32 v109, v3, v122
	v_fma_f32 v114, v2, v122, -v114
	s_clause 0x1
	buffer_load_dword v122, off, s[0:3], 0 offset:236
	buffer_load_dword v137, off, s[0:3], 0 offset:244
	v_add_f32_e32 v2, v104, v149
	v_add_f32_e32 v3, v105, v150
	s_waitcnt vmcnt(17)
	v_mul_f32_e32 v104, v4, v121
	v_mul_f32_e32 v105, v5, v121
	buffer_load_dword v121, off, s[0:3], 0 offset:252
	v_add_f32_e32 v2, v2, v99
	v_add_f32_e32 v3, v3, v133
	v_fmac_f32_e32 v104, v5, v119
	v_fma_f32 v105, v4, v119, -v105
	s_clause 0x3
	buffer_load_dword v119, off, s[0:3], 0 offset:260
	buffer_load_dword v133, off, s[0:3], 0 offset:268
	;; [unrolled: 1-line block ×4, first 2 shown]
	v_add_f32_e32 v98, v2, v98
	v_add_f32_e32 v99, v3, v134
	ds_read2_b64 v[2:5], v1 offset0:67 offset1:68
	s_waitcnt vmcnt(21) lgkmcnt(1)
	v_mul_f32_e32 v134, v94, v118
	v_mul_f32_e32 v118, v95, v118
	v_add_f32_e32 v98, v98, v135
	v_add_f32_e32 v99, v99, v136
	s_waitcnt vmcnt(20)
	v_mul_f32_e32 v135, v96, v120
	v_fmac_f32_e32 v134, v95, v112
	v_fma_f32 v112, v94, v112, -v118
	v_add_f32_e32 v8, v98, v8
	v_add_f32_e32 v94, v99, v125
	v_mul_f32_e32 v98, v97, v120
	s_clause 0x4
	buffer_load_dword v118, off, s[0:3], 0 offset:292
	buffer_load_dword v120, off, s[0:3], 0 offset:300
	;; [unrolled: 1-line block ×5, first 2 shown]
	v_add_f32_e32 v8, v8, v100
	s_clause 0x4
	buffer_load_dword v147, off, s[0:3], 0 offset:280
	buffer_load_dword v148, off, s[0:3], 0 offset:272
	;; [unrolled: 1-line block ×5, first 2 shown]
	v_add_f32_e32 v94, v94, v108
	s_waitcnt vmcnt(26)
	v_fmac_f32_e32 v135, v97, v141
	v_fma_f32 v141, v96, v141, -v98
	v_add_f32_e32 v8, v8, v107
	v_add_f32_e32 v94, v94, v126
	s_waitcnt vmcnt(25) lgkmcnt(0)
	v_mul_f32_e32 v99, v3, v142
	v_mul_f32_e32 v126, v2, v142
	v_add_f32_e32 v8, v8, v127
	v_add_f32_e32 v98, v94, v128
	ds_read2_b64 v[94:97], v1 offset0:69 offset1:70
	v_fma_f32 v107, v2, v140, -v99
	v_add_f32_e32 v8, v8, v101
	v_fmac_f32_e32 v126, v3, v140
	v_add_f32_e32 v98, v98, v129
	v_add_f32_e32 v2, v8, v6
	s_clause 0x3
	buffer_load_dword v8, off, s[0:3], 0 offset:312
	buffer_load_dword v127, off, s[0:3], 0 offset:304
	buffer_load_dword v128, off, s[0:3], 0 offset:296
	buffer_load_dword v129, off, s[0:3], 0 offset:288
	v_add_f32_e32 v3, v98, v7
	v_add_f32_e32 v2, v2, v113
	s_clause 0x1
	buffer_load_dword v113, off, s[0:3], 0 offset:328
	buffer_load_dword v140, off, s[0:3], 0 offset:320
	v_add_f32_e32 v3, v3, v106
	ds_read2_b64 v[98:101], v1 offset0:73 offset1:74
	v_add_f32_e32 v2, v2, v110
	buffer_load_dword v110, off, s[0:3], 0 offset:32
	v_add_f32_e32 v6, v3, v117
	v_add_f32_e32 v7, v2, v102
	;; [unrolled: 1-line block ×11, first 2 shown]
	s_waitcnt vmcnt(30)
	v_mul_f32_e32 v117, v4, v115
	v_mul_f32_e32 v3, v5, v115
	s_waitcnt vmcnt(29) lgkmcnt(1)
	v_mul_f32_e32 v102, v95, v116
	v_mul_f32_e32 v111, v94, v116
	s_waitcnt vmcnt(28)
	v_mul_f32_e32 v103, v97, v130
	v_fmac_f32_e32 v117, v5, v139
	v_fma_f32 v115, v4, v139, -v3
	ds_read2_b64 v[2:5], v1 offset0:71 offset1:72
	v_fma_f32 v114, v94, v138, -v102
	v_mul_f32_e32 v116, v96, v130
	v_fmac_f32_e32 v111, v95, v138
	s_waitcnt vmcnt(24)
	v_fma_f32 v130, v96, v132, -v103
	v_fmac_f32_e32 v116, v97, v132
	ds_read2_b64 v[94:97], v1 offset0:75 offset1:76
	ds_read2_b64 v[102:105], v1 offset0:77 offset1:78
	s_waitcnt vmcnt(23) lgkmcnt(2)
	v_mul_f32_e32 v112, v2, v122
	v_mul_f32_e32 v106, v3, v122
	s_waitcnt vmcnt(22)
	v_mul_f32_e32 v122, v4, v137
	v_mul_f32_e32 v132, v5, v137
	v_fmac_f32_e32 v112, v3, v131
	v_fma_f32 v131, v2, v131, -v106
	v_add_f32_e32 v2, v6, v135
	v_add_f32_e32 v6, v7, v107
	v_fmac_f32_e32 v122, v5, v124
	v_fma_f32 v124, v4, v124, -v132
	s_waitcnt vmcnt(21)
	v_mul_f32_e32 v132, v98, v121
	v_add_f32_e32 v126, v2, v126
	v_add_f32_e32 v115, v6, v115
	ds_read2_b64 v[106:109], v1 offset0:79 offset1:80
	ds_read2_b64 v[2:5], v1 offset0:81 offset1:82
	v_fmac_f32_e32 v132, v99, v123
	v_add_f32_e32 v117, v126, v117
	v_add_f32_e32 v114, v115, v114
	v_mul_f32_e32 v115, v99, v121
	s_waitcnt vmcnt(20)
	v_mul_f32_e32 v126, v100, v119
	v_mul_f32_e32 v119, v101, v119
	v_add_f32_e32 v111, v117, v111
	v_add_f32_e32 v114, v114, v130
	v_fma_f32 v98, v98, v123, -v115
	s_waitcnt vmcnt(19) lgkmcnt(3)
	v_mul_f32_e32 v117, v94, v133
	v_mul_f32_e32 v123, v95, v133
	v_add_f32_e32 v111, v111, v116
	v_add_f32_e32 v114, v114, v131
	s_waitcnt vmcnt(8)
	v_fma_f32 v100, v100, v150, -v119
	v_fmac_f32_e32 v126, v101, v150
	v_fmac_f32_e32 v117, v95, v149
	v_add_f32_e32 v111, v111, v112
	v_add_f32_e32 v114, v114, v124
	v_fma_f32 v94, v94, v149, -v123
	v_mul_f32_e32 v121, v96, v143
	s_waitcnt lgkmcnt(2)
	v_mul_f32_e32 v130, v102, v145
	v_add_f32_e32 v111, v111, v122
	v_add_f32_e32 v98, v114, v98
	v_mul_f32_e32 v116, v104, v118
	v_fmac_f32_e32 v121, v97, v148
	v_fmac_f32_e32 v130, v103, v147
	v_add_f32_e32 v101, v111, v132
	v_mul_f32_e32 v111, v97, v143
	v_add_f32_e32 v95, v98, v100
	v_mul_f32_e32 v100, v103, v145
	v_mul_f32_e32 v97, v105, v118
	v_add_f32_e32 v98, v101, v126
	v_fma_f32 v96, v96, v148, -v111
	v_add_f32_e32 v94, v95, v94
	ds_read_b64 v[6:7], v1 offset:664
	s_waitcnt vmcnt(3)
	v_fma_f32 v97, v104, v129, -v97
	v_add_f32_e32 v95, v98, v117
	v_fma_f32 v98, v102, v147, -v100
	v_add_f32_e32 v94, v94, v96
	s_waitcnt lgkmcnt(2)
	v_mul_f32_e32 v96, v107, v120
	v_mul_f32_e32 v131, v106, v120
	v_add_f32_e32 v95, v95, v121
	v_fmac_f32_e32 v116, v105, v129
	v_add_f32_e32 v94, v94, v98
	v_mul_f32_e32 v98, v109, v125
	v_fma_f32 v96, v106, v128, -v96
	v_add_f32_e32 v95, v95, v130
	v_mul_f32_e32 v99, v108, v125
	v_add_f32_e32 v94, v94, v97
	v_fmac_f32_e32 v131, v107, v128
	s_waitcnt lgkmcnt(1)
	v_mul_f32_e32 v112, v2, v136
	v_add_f32_e32 v95, v95, v116
	v_mul_f32_e32 v97, v3, v136
	v_fma_f32 v98, v108, v127, -v98
	v_add_f32_e32 v94, v94, v96
	v_fmac_f32_e32 v99, v109, v127
	v_add_f32_e32 v95, v95, v131
	v_mul_f32_e32 v96, v5, v146
	v_fmac_f32_e32 v112, v3, v8
	v_fma_f32 v2, v2, v8, -v97
	v_add_f32_e32 v3, v94, v98
	v_mul_f32_e32 v115, v4, v146
	v_add_f32_e32 v8, v95, v99
	s_waitcnt lgkmcnt(0)
	v_mul_f32_e32 v94, v7, v151
	s_waitcnt vmcnt(1)
	v_fma_f32 v4, v4, v140, -v96
	v_add_f32_e32 v2, v3, v2
	v_mul_f32_e32 v122, v6, v151
	v_fmac_f32_e32 v115, v5, v140
	v_add_f32_e32 v3, v8, v112
	v_fma_f32 v5, v6, v113, -v94
	v_add_f32_e32 v2, v2, v4
	v_fmac_f32_e32 v122, v7, v113
	v_add_f32_e32 v3, v3, v115
	v_add_f32_e32 v2, v2, v5
	;; [unrolled: 1-line block ×3, first 2 shown]
	s_waitcnt vmcnt(0)
	v_sub_f32_e32 v2, v110, v2
	v_sub_f32_e32 v3, v144, v3
	buffer_store_dword v2, off, s[0:3], 0 offset:32
	buffer_store_dword v3, off, s[0:3], 0 offset:36
	v_cmpx_lt_u32_e32 3, v0
	s_cbranch_execz .LBB105_259
; %bb.258:
	s_clause 0x1
	buffer_load_dword v2, off, s[0:3], 0 offset:24
	buffer_load_dword v3, off, s[0:3], 0 offset:28
	buffer_store_dword v1, off, s[0:3], 0 offset:24
	buffer_store_dword v1, off, s[0:3], 0 offset:28
	s_waitcnt vmcnt(0)
	ds_write_b64 v93, v[2:3]
.LBB105_259:
	s_or_b32 exec_lo, exec_lo, s4
	s_waitcnt lgkmcnt(0)
	s_waitcnt_vscnt null, 0x0
	s_barrier
	buffer_gl0_inv
	s_clause 0x2b
	buffer_load_dword v125, off, s[0:3], 0 offset:36
	buffer_load_dword v2, off, s[0:3], 0 offset:48
	;; [unrolled: 1-line block ×44, first 2 shown]
	ds_read_b128 v[126:129], v1 offset:368
	ds_read_b128 v[130:133], v1 offset:384
	;; [unrolled: 1-line block ×3, first 2 shown]
	buffer_load_dword v144, off, s[0:3], 0 offset:28
	s_mov_b32 s4, exec_lo
	s_waitcnt vmcnt(44) lgkmcnt(2)
	v_mul_f32_e32 v143, v126, v125
	v_mul_f32_e32 v125, v127, v125
	s_waitcnt vmcnt(40)
	v_mul_f32_e32 v146, v128, v94
	v_mul_f32_e32 v94, v129, v94
	s_waitcnt vmcnt(39) lgkmcnt(1)
	v_mul_f32_e32 v148, v130, v7
	v_fmac_f32_e32 v143, v127, v95
	v_fma_f32 v145, v126, v95, -v125
	v_fmac_f32_e32 v146, v129, v5
	v_fma_f32 v147, v128, v5, -v94
	v_mul_f32_e32 v5, v131, v7
	ds_read_b128 v[125:128], v1 offset:416
	v_fmac_f32_e32 v148, v131, v2
	s_waitcnt vmcnt(38)
	v_mul_f32_e32 v150, v132, v4
	v_fma_f32 v149, v130, v2, -v5
	v_mul_f32_e32 v2, v133, v4
	s_waitcnt vmcnt(34)
	v_fmac_f32_e32 v150, v133, v99
	s_waitcnt vmcnt(33) lgkmcnt(1)
	v_mul_f32_e32 v133, v134, v98
	v_fma_f32 v99, v132, v99, -v2
	v_mul_f32_e32 v2, v135, v98
	ds_read_b128 v[129:132], v1 offset:432
	v_fmac_f32_e32 v133, v135, v96
	v_fma_f32 v98, v134, v96, -v2
	s_waitcnt vmcnt(32)
	v_mul_f32_e32 v134, v136, v97
	v_mul_f32_e32 v2, v137, v97
	ds_read_b128 v[94:97], v1 offset:464
	v_fmac_f32_e32 v134, v137, v6
	v_fma_f32 v135, v136, v6, -v2
	ds_read_b128 v[4:7], v1 offset:448
	s_waitcnt vmcnt(31) lgkmcnt(3)
	v_mul_f32_e32 v2, v126, v8
	v_mul_f32_e32 v136, v125, v8
	s_waitcnt vmcnt(30)
	v_mul_f32_e32 v137, v127, v100
	v_fma_f32 v8, v125, v3, -v2
	v_mul_f32_e32 v2, v128, v100
	s_waitcnt vmcnt(26)
	v_fmac_f32_e32 v137, v128, v108
	v_fmac_f32_e32 v136, v126, v3
	s_waitcnt vmcnt(24) lgkmcnt(2)
	v_mul_f32_e32 v3, v132, v106
	v_fma_f32 v100, v127, v108, -v2
	v_mul_f32_e32 v108, v129, v107
	v_mul_f32_e32 v2, v130, v107
	;; [unrolled: 1-line block ×3, first 2 shown]
	ds_read_b128 v[125:128], v1 offset:480
	v_fmac_f32_e32 v108, v130, v104
	v_fma_f32 v104, v129, v104, -v2
	s_waitcnt vmcnt(23) lgkmcnt(1)
	v_mul_f32_e32 v106, v4, v103
	v_mul_f32_e32 v2, v5, v103
	s_waitcnt vmcnt(22)
	v_mul_f32_e32 v103, v6, v105
	v_fmac_f32_e32 v107, v132, v102
	v_fma_f32 v102, v131, v102, -v3
	v_fmac_f32_e32 v106, v5, v101
	v_fma_f32 v101, v4, v101, -v2
	v_mul_f32_e32 v2, v7, v105
	s_waitcnt vmcnt(18)
	v_fmac_f32_e32 v103, v7, v118
	s_clause 0x1
	buffer_load_dword v7, off, s[0:3], 0 offset:204
	buffer_load_dword v105, off, s[0:3], 0 offset:212
	s_waitcnt vmcnt(18)
	v_mul_f32_e32 v3, v97, v115
	v_fma_f32 v6, v6, v118, -v2
	v_mul_f32_e32 v118, v94, v116
	v_mul_f32_e32 v2, v95, v116
	;; [unrolled: 1-line block ×3, first 2 shown]
	s_waitcnt vmcnt(17) lgkmcnt(0)
	v_mul_f32_e32 v115, v125, v114
	v_mul_f32_e32 v114, v126, v114
	v_fmac_f32_e32 v118, v95, v112
	v_fma_f32 v112, v94, v112, -v2
	s_waitcnt vmcnt(16)
	v_mul_f32_e32 v129, v127, v119
	v_mul_f32_e32 v94, v128, v119
	v_fmac_f32_e32 v116, v97, v111
	v_fma_f32 v111, v96, v111, -v3
	ds_read_b128 v[2:5], v1 offset:496
	v_fmac_f32_e32 v115, v126, v109
	v_fma_f32 v109, v125, v109, -v114
	s_waitcnt vmcnt(12)
	v_fmac_f32_e32 v129, v128, v124
	v_fma_f32 v114, v127, v124, -v94
	s_clause 0x7
	buffer_load_dword v119, off, s[0:3], 0 offset:220
	buffer_load_dword v124, off, s[0:3], 0 offset:240
	;; [unrolled: 1-line block ×8, first 2 shown]
	v_add_f32_e32 v94, 0, v143
	v_add_f32_e32 v95, 0, v145
	;; [unrolled: 1-line block ×6, first 2 shown]
	s_waitcnt vmcnt(19) lgkmcnt(0)
	v_mul_f32_e32 v143, v2, v123
	v_mul_f32_e32 v123, v3, v123
	v_add_f32_e32 v132, v94, v150
	v_add_f32_e32 v99, v95, v99
	ds_read_b128 v[94:97], v1 offset:512
	v_fmac_f32_e32 v143, v3, v121
	v_fma_f32 v121, v2, v121, -v123
	v_add_f32_e32 v132, v132, v133
	v_add_f32_e32 v98, v99, v98
	s_waitcnt vmcnt(18)
	v_mul_f32_e32 v133, v4, v122
	v_mul_f32_e32 v99, v5, v122
	v_add_f32_e32 v3, v132, v134
	v_add_f32_e32 v98, v98, v135
	v_fmac_f32_e32 v133, v5, v120
	v_fma_f32 v120, v4, v120, -v99
	v_add_f32_e32 v2, v3, v136
	v_add_f32_e32 v3, v98, v8
	s_clause 0x7
	buffer_load_dword v8, off, s[0:3], 0 offset:252
	buffer_load_dword v122, off, s[0:3], 0 offset:260
	;; [unrolled: 1-line block ×8, first 2 shown]
	v_add_f32_e32 v2, v2, v137
	v_add_f32_e32 v3, v3, v100
	s_waitcnt vmcnt(25) lgkmcnt(0)
	v_mul_f32_e32 v146, v94, v117
	v_mul_f32_e32 v4, v95, v117
	s_clause 0x3
	buffer_load_dword v117, off, s[0:3], 0 offset:284
	buffer_load_dword v137, off, s[0:3], 0 offset:292
	;; [unrolled: 1-line block ×4, first 2 shown]
	v_add_f32_e32 v2, v2, v108
	s_clause 0x1
	buffer_load_dword v149, off, s[0:3], 0 offset:316
	buffer_load_dword v150, off, s[0:3], 0 offset:324
	v_fmac_f32_e32 v146, v95, v110
	v_fma_f32 v110, v94, v110, -v4
	v_add_f32_e32 v94, v3, v104
	s_waitcnt vmcnt(30)
	v_mul_f32_e32 v3, v97, v113
	v_mul_f32_e32 v108, v96, v113
	v_add_f32_e32 v95, v2, v107
	buffer_load_dword v151, off, s[0:3], 0 offset:332
	v_add_f32_e32 v94, v94, v102
	s_waitcnt vmcnt(27)
	v_fma_f32 v107, v96, v141, -v3
	ds_read_b128 v[2:5], v1 offset:528
	v_fmac_f32_e32 v108, v97, v141
	v_add_f32_e32 v95, v95, v106
	s_clause 0x3
	buffer_load_dword v141, off, s[0:3], 0 offset:304
	buffer_load_dword v152, off, s[0:3], 0 offset:296
	;; [unrolled: 1-line block ×4, first 2 shown]
	v_add_f32_e32 v94, v94, v101
	v_add_f32_e32 v95, v95, v103
	;; [unrolled: 1-line block ×4, first 2 shown]
	ds_read_b128 v[94:97], v1 offset:544
	v_add_f32_e32 v6, v6, v112
	v_add_f32_e32 v98, v98, v116
	s_waitcnt vmcnt(30) lgkmcnt(1)
	v_mul_f32_e32 v106, v2, v142
	v_mul_f32_e32 v99, v3, v142
	v_fmac_f32_e32 v106, v3, v140
	v_fma_f32 v112, v2, v140, -v99
	v_add_f32_e32 v2, v6, v111
	v_add_f32_e32 v3, v98, v115
	s_clause 0x3
	buffer_load_dword v6, off, s[0:3], 0 offset:328
	buffer_load_dword v115, off, s[0:3], 0 offset:320
	;; [unrolled: 1-line block ×4, first 2 shown]
	v_add_f32_e32 v2, v2, v109
	v_add_f32_e32 v3, v3, v129
	;; [unrolled: 1-line block ×6, first 2 shown]
	ds_read_b128 v[98:101], v1 offset:576
	v_add_f32_e32 v103, v103, v120
	v_add_f32_e32 v113, v102, v146
	;; [unrolled: 1-line block ×6, first 2 shown]
	s_waitcnt vmcnt(32)
	v_mul_f32_e32 v109, v4, v7
	v_mul_f32_e32 v7, v5, v7
	s_waitcnt vmcnt(31) lgkmcnt(1)
	v_mul_f32_e32 v111, v94, v105
	v_mul_f32_e32 v104, v95, v105
	v_fmac_f32_e32 v109, v5, v139
	v_fma_f32 v7, v4, v139, -v7
	ds_read_b128 v[2:5], v1 offset:560
	v_fmac_f32_e32 v111, v95, v138
	s_waitcnt vmcnt(30)
	v_mul_f32_e32 v114, v96, v119
	v_mul_f32_e32 v105, v97, v119
	v_fma_f32 v119, v94, v138, -v104
	s_waitcnt vmcnt(26)
	v_fmac_f32_e32 v114, v97, v127
	v_fma_f32 v120, v96, v127, -v105
	ds_read_b128 v[94:97], v1 offset:592
	ds_read_b128 v[102:105], v1 offset:608
	s_waitcnt vmcnt(23) lgkmcnt(3)
	v_mul_f32_e32 v129, v99, v131
	s_waitcnt lgkmcnt(2)
	v_mul_f32_e32 v121, v2, v128
	v_mul_f32_e32 v110, v3, v128
	;; [unrolled: 1-line block ×5, first 2 shown]
	v_fmac_f32_e32 v121, v3, v126
	v_fma_f32 v126, v2, v126, -v110
	v_add_f32_e32 v110, v107, v112
	v_add_f32_e32 v112, v106, v109
	v_fmac_f32_e32 v127, v5, v125
	v_fma_f32 v125, v4, v125, -v113
	ds_read_b128 v[2:5], v1 offset:624
	ds_read_b128 v[106:109], v1 offset:640
	v_add_f32_e32 v7, v110, v7
	v_fmac_f32_e32 v128, v99, v124
	v_add_f32_e32 v99, v112, v111
	ds_read_b128 v[110:113], v1 offset:656
	v_fma_f32 v98, v98, v124, -v129
	v_add_f32_e32 v1, v7, v119
	v_add_f32_e32 v99, v99, v114
	s_waitcnt vmcnt(22)
	v_mul_f32_e32 v7, v100, v8
	v_add_f32_e32 v1, v1, v120
	v_mul_f32_e32 v8, v101, v8
	v_add_f32_e32 v99, v99, v121
	s_waitcnt vmcnt(21) lgkmcnt(4)
	v_mul_f32_e32 v120, v95, v122
	v_mul_f32_e32 v114, v94, v122
	v_add_f32_e32 v1, v1, v126
	s_waitcnt vmcnt(15)
	v_fma_f32 v8, v100, v145, -v8
	v_add_f32_e32 v99, v99, v127
	v_fmac_f32_e32 v7, v101, v145
	v_mul_f32_e32 v119, v96, v123
	v_add_f32_e32 v1, v1, v125
	v_mul_f32_e32 v123, v97, v123
	v_fma_f32 v94, v94, v136, -v120
	v_fmac_f32_e32 v114, v95, v136
	s_waitcnt lgkmcnt(3)
	v_mul_f32_e32 v100, v102, v132
	v_add_f32_e32 v1, v1, v98
	v_add_f32_e32 v98, v99, v128
	v_fma_f32 v95, v96, v135, -v123
	v_fmac_f32_e32 v119, v97, v135
	s_waitcnt vmcnt(14)
	v_mul_f32_e32 v101, v104, v117
	v_add_f32_e32 v1, v1, v8
	v_add_f32_e32 v7, v98, v7
	v_mul_f32_e32 v8, v103, v132
	v_fmac_f32_e32 v100, v103, v134
	s_waitcnt vmcnt(13) lgkmcnt(2)
	v_mul_f32_e32 v121, v2, v137
	v_add_f32_e32 v1, v1, v94
	v_add_f32_e32 v7, v7, v114
	v_mul_f32_e32 v94, v105, v117
	v_fma_f32 v8, v102, v134, -v8
	s_waitcnt vmcnt(4)
	v_fmac_f32_e32 v101, v105, v154
	v_add_f32_e32 v1, v1, v95
	v_add_f32_e32 v7, v7, v119
	v_mul_f32_e32 v95, v3, v137
	v_fma_f32 v94, v104, v154, -v94
	v_mul_f32_e32 v122, v4, v147
	v_add_f32_e32 v1, v1, v8
	v_add_f32_e32 v7, v7, v100
	v_mul_f32_e32 v8, v5, v147
	v_fma_f32 v2, v2, v153, -v95
	v_fmac_f32_e32 v121, v3, v153
	v_add_f32_e32 v1, v1, v94
	v_add_f32_e32 v3, v7, v101
	s_waitcnt lgkmcnt(1)
	v_mul_f32_e32 v7, v107, v148
	v_fma_f32 v4, v4, v152, -v8
	v_mul_f32_e32 v124, v106, v148
	v_add_f32_e32 v1, v1, v2
	v_fmac_f32_e32 v122, v5, v152
	v_add_f32_e32 v2, v3, v121
	v_mul_f32_e32 v3, v109, v149
	v_fma_f32 v5, v106, v141, -v7
	v_add_f32_e32 v1, v1, v4
	v_mul_f32_e32 v125, v108, v149
	v_fmac_f32_e32 v124, v107, v141
	v_add_f32_e32 v2, v2, v122
	s_waitcnt lgkmcnt(0)
	v_mul_f32_e32 v4, v111, v150
	s_waitcnt vmcnt(1)
	v_fma_f32 v3, v108, v116, -v3
	v_add_f32_e32 v1, v1, v5
	v_mul_f32_e32 v126, v110, v150
	v_fmac_f32_e32 v125, v109, v116
	v_add_f32_e32 v2, v2, v124
	v_mul_f32_e32 v5, v113, v151
	v_fma_f32 v4, v110, v115, -v4
	v_add_f32_e32 v1, v1, v3
	v_mul_f32_e32 v99, v112, v151
	v_fmac_f32_e32 v126, v111, v115
	v_add_f32_e32 v2, v2, v125
	v_fma_f32 v3, v112, v6, -v5
	v_add_f32_e32 v1, v1, v4
	v_fmac_f32_e32 v99, v113, v6
	v_add_f32_e32 v2, v2, v126
	v_add_f32_e32 v1, v1, v3
	v_add_f32_e32 v2, v2, v99
	s_waitcnt vmcnt(0)
	v_sub_f32_e32 v1, v118, v1
	v_sub_f32_e32 v2, v144, v2
	buffer_store_dword v1, off, s[0:3], 0 offset:24
	buffer_store_dword v2, off, s[0:3], 0 offset:28
	v_cmpx_lt_u32_e32 2, v0
	s_cbranch_execz .LBB105_261
; %bb.260:
	s_clause 0x1
	buffer_load_dword v1, off, s[0:3], 0 offset:16
	buffer_load_dword v2, off, s[0:3], 0 offset:20
	v_mov_b32_e32 v3, 0
	buffer_store_dword v3, off, s[0:3], 0 offset:16
	buffer_store_dword v3, off, s[0:3], 0 offset:20
	s_waitcnt vmcnt(0)
	ds_write_b64 v93, v[1:2]
.LBB105_261:
	s_or_b32 exec_lo, exec_lo, s4
	s_waitcnt lgkmcnt(0)
	s_waitcnt_vscnt null, 0x0
	s_barrier
	buffer_gl0_inv
	s_clause 0x2c
	buffer_load_dword v124, off, s[0:3], 0 offset:28
	buffer_load_dword v125, off, s[0:3], 0 offset:36
	;; [unrolled: 1-line block ×45, first 2 shown]
	v_mov_b32_e32 v1, 0
	ds_read2_b64 v[126:129], v1 offset0:45 offset1:46
	ds_read2_b64 v[130:133], v1 offset0:47 offset1:48
	buffer_load_dword v142, off, s[0:3], 0 offset:20
	s_mov_b32 s4, exec_lo
	s_waitcnt vmcnt(45) lgkmcnt(1)
	v_mul_f32_e32 v140, v126, v124
	v_mul_f32_e32 v124, v127, v124
	s_waitcnt vmcnt(44)
	v_mul_f32_e32 v141, v128, v125
	v_mul_f32_e32 v125, v129, v125
	s_waitcnt vmcnt(41)
	v_fmac_f32_e32 v140, v127, v95
	v_fma_f32 v143, v126, v95, -v124
	s_waitcnt vmcnt(40) lgkmcnt(0)
	v_mul_f32_e32 v145, v130, v4
	v_fma_f32 v144, v128, v7, -v125
	ds_read2_b64 v[124:127], v1 offset0:49 offset1:50
	s_waitcnt vmcnt(39)
	v_mul_f32_e32 v146, v132, v5
	v_mul_f32_e32 v4, v131, v4
	v_fmac_f32_e32 v141, v129, v7
	v_mul_f32_e32 v5, v133, v5
	v_fmac_f32_e32 v145, v131, v2
	s_waitcnt vmcnt(35)
	v_fmac_f32_e32 v146, v133, v98
	v_fma_f32 v133, v130, v2, -v4
	ds_read2_b64 v[128:131], v1 offset0:51 offset1:52
	v_fma_f32 v98, v132, v98, -v5
	s_waitcnt vmcnt(34) lgkmcnt(1)
	v_mul_f32_e32 v132, v124, v97
	v_mul_f32_e32 v2, v125, v97
	s_waitcnt vmcnt(33)
	v_mul_f32_e32 v147, v126, v96
	v_mul_f32_e32 v4, v127, v96
	v_fmac_f32_e32 v132, v125, v94
	v_fma_f32 v124, v124, v94, -v2
	v_fmac_f32_e32 v147, v127, v6
	v_fma_f32 v125, v126, v6, -v4
	ds_read2_b64 v[4:7], v1 offset0:53 offset1:54
	s_waitcnt vmcnt(32) lgkmcnt(1)
	v_mul_f32_e32 v126, v128, v8
	v_mul_f32_e32 v2, v129, v8
	s_waitcnt vmcnt(31)
	v_mul_f32_e32 v8, v130, v99
	v_mul_f32_e32 v94, v131, v99
	v_fmac_f32_e32 v126, v129, v3
	v_fma_f32 v99, v128, v3, -v2
	s_waitcnt vmcnt(27)
	v_fmac_f32_e32 v8, v131, v107
	v_fma_f32 v107, v130, v107, -v94
	ds_read2_b64 v[94:97], v1 offset0:55 offset1:56
	buffer_load_dword v131, off, s[0:3], 0 offset:212
	s_waitcnt vmcnt(27) lgkmcnt(1)
	v_mul_f32_e32 v127, v4, v105
	v_mul_f32_e32 v2, v5, v105
	s_waitcnt vmcnt(26)
	v_mul_f32_e32 v105, v6, v104
	v_mul_f32_e32 v3, v7, v104
	v_fmac_f32_e32 v127, v5, v103
	v_fma_f32 v103, v4, v103, -v2
	v_fmac_f32_e32 v105, v7, v101
	v_fma_f32 v6, v6, v101, -v3
	ds_read2_b64 v[2:5], v1 offset0:57 offset1:58
	s_waitcnt vmcnt(25) lgkmcnt(1)
	v_mul_f32_e32 v7, v94, v102
	v_mul_f32_e32 v101, v95, v102
	s_waitcnt vmcnt(24)
	v_mul_f32_e32 v102, v96, v106
	v_mul_f32_e32 v104, v97, v106
	v_fmac_f32_e32 v7, v95, v100
	v_fma_f32 v100, v94, v100, -v101
	s_waitcnt vmcnt(20)
	v_fmac_f32_e32 v102, v97, v115
	v_fma_f32 v101, v96, v115, -v104
	ds_read2_b64 v[94:97], v1 offset0:59 offset1:60
	s_waitcnt vmcnt(19) lgkmcnt(1)
	v_mul_f32_e32 v104, v2, v113
	v_mul_f32_e32 v106, v3, v113
	s_waitcnt vmcnt(18)
	v_mul_f32_e32 v113, v4, v112
	v_mul_f32_e32 v112, v5, v112
	v_fmac_f32_e32 v104, v3, v111
	v_fma_f32 v106, v2, v111, -v106
	v_fmac_f32_e32 v113, v5, v109
	v_fma_f32 v109, v4, v109, -v112
	ds_read2_b64 v[2:5], v1 offset0:61 offset1:62
	s_waitcnt vmcnt(17) lgkmcnt(1)
	v_mul_f32_e32 v111, v94, v110
	v_mul_f32_e32 v110, v95, v110
	s_waitcnt vmcnt(16)
	v_mul_f32_e32 v112, v96, v114
	v_mul_f32_e32 v114, v97, v114
	v_fmac_f32_e32 v111, v95, v108
	v_fma_f32 v108, v94, v108, -v110
	s_waitcnt vmcnt(12)
	v_fmac_f32_e32 v112, v97, v122
	v_fma_f32 v110, v96, v122, -v114
	ds_read2_b64 v[94:97], v1 offset0:63 offset1:64
	s_waitcnt vmcnt(11) lgkmcnt(1)
	v_mul_f32_e32 v114, v2, v121
	v_mul_f32_e32 v115, v3, v121
	s_waitcnt vmcnt(10)
	v_mul_f32_e32 v121, v4, v120
	v_mul_f32_e32 v120, v5, v120
	v_fmac_f32_e32 v114, v3, v119
	v_fma_f32 v115, v2, v119, -v115
	v_fmac_f32_e32 v121, v5, v117
	v_fma_f32 v117, v4, v117, -v120
	ds_read2_b64 v[2:5], v1 offset0:65 offset1:66
	s_waitcnt vmcnt(8) lgkmcnt(1)
	v_mul_f32_e32 v120, v96, v123
	v_mul_f32_e32 v122, v97, v123
	buffer_load_dword v123, off, s[0:3], 0 offset:204
	v_mul_f32_e32 v119, v94, v118
	v_mul_f32_e32 v118, v95, v118
	s_waitcnt vmcnt(5)
	v_fmac_f32_e32 v120, v97, v137
	v_fmac_f32_e32 v119, v95, v116
	v_fma_f32 v116, v94, v116, -v118
	v_fma_f32 v118, v96, v137, -v122
	ds_read2_b64 v[94:97], v1 offset0:67 offset1:68
	s_waitcnt vmcnt(4) lgkmcnt(1)
	v_mul_f32_e32 v122, v2, v138
	v_mul_f32_e32 v128, v3, v138
	s_waitcnt vmcnt(3)
	v_mul_f32_e32 v129, v4, v139
	v_mul_f32_e32 v130, v5, v139
	v_fmac_f32_e32 v122, v3, v136
	v_fma_f32 v128, v2, v136, -v128
	v_fmac_f32_e32 v129, v5, v135
	v_fma_f32 v130, v4, v135, -v130
	s_clause 0x4
	buffer_load_dword v135, off, s[0:3], 0 offset:232
	buffer_load_dword v136, off, s[0:3], 0 offset:224
	;; [unrolled: 1-line block ×5, first 2 shown]
	s_waitcnt vmcnt(6) lgkmcnt(0)
	v_mul_f32_e32 v4, v97, v131
	s_waitcnt vmcnt(5)
	v_mul_f32_e32 v138, v94, v123
	v_mul_f32_e32 v3, v95, v123
	;; [unrolled: 1-line block ×3, first 2 shown]
	v_fmac_f32_e32 v138, v95, v134
	v_fma_f32 v131, v94, v134, -v3
	buffer_load_dword v134, off, s[0:3], 0 offset:220
	v_add_f32_e32 v3, 0, v143
	v_add_f32_e32 v3, v3, v144
	;; [unrolled: 1-line block ×4, first 2 shown]
	s_waitcnt vmcnt(2)
	v_fmac_f32_e32 v123, v97, v2
	v_fma_f32 v139, v96, v2, -v4
	v_add_f32_e32 v2, 0, v140
	buffer_load_dword v140, off, s[0:3], 0 offset:236
	v_add_f32_e32 v3, v3, v124
	v_add_f32_e32 v2, v2, v141
	buffer_load_dword v141, off, s[0:3], 0 offset:244
	v_add_f32_e32 v3, v3, v125
	v_add_f32_e32 v2, v2, v145
	s_clause 0x3
	buffer_load_dword v143, off, s[0:3], 0 offset:264
	buffer_load_dword v144, off, s[0:3], 0 offset:256
	;; [unrolled: 1-line block ×4, first 2 shown]
	v_add_f32_e32 v3, v3, v99
	v_add_f32_e32 v2, v2, v146
	s_clause 0x1
	buffer_load_dword v133, off, s[0:3], 0 offset:252
	buffer_load_dword v146, off, s[0:3], 0 offset:260
	v_add_f32_e32 v3, v3, v107
	v_add_f32_e32 v2, v2, v132
	buffer_load_dword v132, off, s[0:3], 0 offset:268
	v_add_f32_e32 v3, v3, v103
	v_add_f32_e32 v2, v2, v147
	s_clause 0x3
	buffer_load_dword v124, off, s[0:3], 0 offset:276
	buffer_load_dword v147, off, s[0:3], 0 offset:284
	;; [unrolled: 1-line block ×4, first 2 shown]
	v_add_f32_e32 v3, v3, v6
	v_add_f32_e32 v2, v2, v126
	s_clause 0x1
	buffer_load_dword v125, off, s[0:3], 0 offset:308
	buffer_load_dword v126, off, s[0:3], 0 offset:316
	v_add_f32_e32 v3, v3, v100
	v_add_f32_e32 v2, v2, v8
	s_clause 0x1
	buffer_load_dword v8, off, s[0:3], 0 offset:324
	buffer_load_dword v152, off, s[0:3], 0 offset:332
	v_add_f32_e32 v3, v3, v101
	v_add_f32_e32 v2, v2, v127
	s_clause 0x8
	buffer_load_dword v127, off, s[0:3], 0 offset:296
	buffer_load_dword v153, off, s[0:3], 0 offset:288
	buffer_load_dword v154, off, s[0:3], 0 offset:280
	buffer_load_dword v155, off, s[0:3], 0 offset:272
	;; [unrolled: 1-line block ×7, first 2 shown]
	v_add_f32_e32 v3, v3, v106
	v_add_f32_e32 v2, v2, v105
	ds_read2_b64 v[94:97], v1 offset0:71 offset1:72
	v_add_f32_e32 v2, v2, v7
	v_add_f32_e32 v7, v3, v109
	;; [unrolled: 1-line block ×7, first 2 shown]
	ds_read2_b64 v[2:5], v1 offset0:69 offset1:70
	v_add_f32_e32 v7, v7, v115
	v_add_f32_e32 v6, v6, v111
	;; [unrolled: 1-line block ×6, first 2 shown]
	s_waitcnt vmcnt(27) lgkmcnt(0)
	v_mul_f32_e32 v111, v4, v148
	v_mul_f32_e32 v99, v5, v148
	v_add_f32_e32 v6, v6, v119
	v_fmac_f32_e32 v111, v5, v136
	v_fma_f32 v113, v4, v136, -v99
	v_add_f32_e32 v6, v6, v120
	v_add_f32_e32 v6, v6, v122
	;; [unrolled: 1-line block ×3, first 2 shown]
	s_waitcnt vmcnt(26)
	v_mul_f32_e32 v110, v2, v134
	v_mul_f32_e32 v98, v3, v134
	v_fmac_f32_e32 v110, v3, v137
	v_add_f32_e32 v3, v7, v116
	v_fma_f32 v112, v2, v137, -v98
	v_add_f32_e32 v7, v3, v118
	ds_read2_b64 v[2:5], v1 offset0:73 offset1:74
	ds_read2_b64 v[98:101], v1 offset0:75 offset1:76
	v_add_f32_e32 v118, v6, v138
	ds_read2_b64 v[102:105], v1 offset0:77 offset1:78
	v_add_f32_e32 v7, v7, v128
	v_add_f32_e32 v118, v118, v123
	v_add_f32_e32 v7, v7, v130
	s_waitcnt vmcnt(25)
	v_mul_f32_e32 v106, v95, v140
	v_mul_f32_e32 v114, v94, v140
	v_add_f32_e32 v110, v118, v110
	v_add_f32_e32 v7, v7, v131
	s_waitcnt vmcnt(24)
	v_mul_f32_e32 v116, v97, v141
	v_fma_f32 v117, v94, v135, -v106
	v_mul_f32_e32 v115, v96, v141
	v_fmac_f32_e32 v114, v95, v135
	v_add_f32_e32 v119, v7, v139
	v_add_f32_e32 v110, v110, v111
	s_waitcnt vmcnt(20)
	v_fma_f32 v116, v96, v149, -v116
	v_fmac_f32_e32 v115, v97, v149
	ds_read2_b64 v[106:109], v1 offset0:79 offset1:80
	v_add_f32_e32 v112, v119, v112
	s_waitcnt vmcnt(19) lgkmcnt(3)
	v_mul_f32_e32 v119, v3, v133
	v_mul_f32_e32 v120, v2, v133
	v_add_f32_e32 v110, v110, v114
	s_waitcnt vmcnt(18)
	v_mul_f32_e32 v122, v5, v146
	v_add_f32_e32 v112, v112, v113
	v_fma_f32 v2, v2, v145, -v119
	v_mul_f32_e32 v121, v4, v146
	v_fmac_f32_e32 v120, v3, v145
	v_add_f32_e32 v110, v110, v115
	v_add_f32_e32 v112, v112, v117
	s_waitcnt vmcnt(17) lgkmcnt(2)
	v_mul_f32_e32 v119, v99, v132
	v_fma_f32 v4, v4, v144, -v122
	v_mul_f32_e32 v118, v98, v132
	v_fmac_f32_e32 v121, v5, v144
	v_add_f32_e32 v112, v112, v116
	v_add_f32_e32 v5, v110, v120
	s_waitcnt vmcnt(16)
	v_mul_f32_e32 v110, v101, v124
	v_fma_f32 v98, v98, v143, -v119
	v_mul_f32_e32 v113, v100, v124
	v_add_f32_e32 v2, v112, v2
	v_fmac_f32_e32 v118, v99, v143
	ds_read2_b64 v[94:97], v1 offset0:81 offset1:82
	ds_read_b64 v[6:7], v1 offset:664
	s_waitcnt vmcnt(15) lgkmcnt(3)
	v_mul_f32_e32 v123, v102, v147
	s_waitcnt vmcnt(14)
	v_mul_f32_e32 v111, v104, v150
	v_add_f32_e32 v2, v2, v4
	v_add_f32_e32 v4, v5, v121
	v_mul_f32_e32 v5, v103, v147
	s_waitcnt vmcnt(5)
	v_fma_f32 v99, v100, v155, -v110
	v_fmac_f32_e32 v113, v101, v155
	v_add_f32_e32 v2, v2, v98
	v_add_f32_e32 v4, v4, v118
	v_mul_f32_e32 v98, v105, v150
	v_fma_f32 v5, v102, v154, -v5
	v_fmac_f32_e32 v123, v103, v154
	v_add_f32_e32 v2, v2, v99
	v_add_f32_e32 v4, v4, v113
	s_waitcnt lgkmcnt(2)
	v_mul_f32_e32 v99, v107, v151
	v_fma_f32 v98, v104, v153, -v98
	v_mul_f32_e32 v117, v106, v151
	v_add_f32_e32 v2, v2, v5
	v_fmac_f32_e32 v111, v105, v153
	v_add_f32_e32 v4, v4, v123
	v_mul_f32_e32 v5, v109, v125
	v_fma_f32 v99, v106, v127, -v99
	v_add_f32_e32 v2, v2, v98
	v_mul_f32_e32 v3, v108, v125
	v_fmac_f32_e32 v117, v107, v127
	v_add_f32_e32 v4, v4, v111
	s_waitcnt lgkmcnt(1)
	v_mul_f32_e32 v98, v95, v126
	s_waitcnt vmcnt(1)
	v_fma_f32 v5, v108, v159, -v5
	v_add_f32_e32 v2, v2, v99
	v_mul_f32_e32 v114, v94, v126
	v_fmac_f32_e32 v3, v109, v159
	v_add_f32_e32 v4, v4, v117
	v_mul_f32_e32 v116, v96, v8
	v_mul_f32_e32 v8, v97, v8
	v_fma_f32 v94, v94, v158, -v98
	v_add_f32_e32 v2, v2, v5
	v_fmac_f32_e32 v114, v95, v158
	v_add_f32_e32 v3, v4, v3
	s_waitcnt lgkmcnt(0)
	v_mul_f32_e32 v4, v7, v152
	v_fma_f32 v5, v96, v157, -v8
	v_add_f32_e32 v2, v2, v94
	v_mul_f32_e32 v115, v6, v152
	v_fmac_f32_e32 v116, v97, v157
	v_add_f32_e32 v3, v3, v114
	v_fma_f32 v4, v6, v156, -v4
	v_add_f32_e32 v2, v2, v5
	v_fmac_f32_e32 v115, v7, v156
	v_add_f32_e32 v3, v3, v116
	v_add_f32_e32 v2, v2, v4
	v_add_f32_e32 v3, v3, v115
	s_waitcnt vmcnt(0)
	v_sub_f32_e32 v2, v160, v2
	v_sub_f32_e32 v3, v142, v3
	buffer_store_dword v2, off, s[0:3], 0 offset:16
	buffer_store_dword v3, off, s[0:3], 0 offset:20
	v_cmpx_lt_u32_e32 1, v0
	s_cbranch_execz .LBB105_263
; %bb.262:
	s_clause 0x1
	buffer_load_dword v2, off, s[0:3], 0 offset:8
	buffer_load_dword v3, off, s[0:3], 0 offset:12
	buffer_store_dword v1, off, s[0:3], 0 offset:8
	buffer_store_dword v1, off, s[0:3], 0 offset:12
	s_waitcnt vmcnt(0)
	ds_write_b64 v93, v[2:3]
.LBB105_263:
	s_or_b32 exec_lo, exec_lo, s4
	s_waitcnt lgkmcnt(0)
	s_waitcnt_vscnt null, 0x0
	s_barrier
	buffer_gl0_inv
	s_clause 0x2c
	buffer_load_dword v124, off, s[0:3], 0 offset:20
	buffer_load_dword v125, off, s[0:3], 0 offset:28
	;; [unrolled: 1-line block ×45, first 2 shown]
	ds_read_b128 v[126:129], v1 offset:352
	ds_read_b128 v[130:133], v1 offset:368
	buffer_load_dword v142, off, s[0:3], 0 offset:12
	s_mov_b32 s4, exec_lo
	s_waitcnt vmcnt(45) lgkmcnt(1)
	v_mul_f32_e32 v140, v126, v124
	v_mul_f32_e32 v124, v127, v124
	s_waitcnt vmcnt(44)
	v_mul_f32_e32 v141, v128, v125
	v_mul_f32_e32 v125, v129, v125
	s_waitcnt vmcnt(41)
	v_fmac_f32_e32 v140, v127, v95
	v_fma_f32 v143, v126, v95, -v124
	s_waitcnt vmcnt(40) lgkmcnt(0)
	v_mul_f32_e32 v145, v130, v4
	v_fma_f32 v144, v128, v7, -v125
	ds_read_b128 v[124:127], v1 offset:384
	s_waitcnt vmcnt(39)
	v_mul_f32_e32 v146, v132, v5
	v_mul_f32_e32 v4, v131, v4
	v_mul_f32_e32 v5, v133, v5
	v_fmac_f32_e32 v141, v129, v7
	v_fmac_f32_e32 v145, v131, v2
	s_waitcnt vmcnt(35)
	v_fmac_f32_e32 v146, v133, v98
	v_fma_f32 v133, v130, v2, -v4
	v_fma_f32 v98, v132, v98, -v5
	ds_read_b128 v[128:131], v1 offset:400
	s_waitcnt vmcnt(34) lgkmcnt(1)
	v_mul_f32_e32 v132, v124, v97
	s_waitcnt vmcnt(33)
	v_mul_f32_e32 v147, v126, v96
	v_mul_f32_e32 v4, v127, v96
	;; [unrolled: 1-line block ×3, first 2 shown]
	v_fmac_f32_e32 v132, v125, v94
	v_fmac_f32_e32 v147, v127, v6
	v_fma_f32 v125, v126, v6, -v4
	ds_read_b128 v[4:7], v1 offset:416
	v_fma_f32 v124, v124, v94, -v2
	s_waitcnt vmcnt(32) lgkmcnt(1)
	v_mul_f32_e32 v126, v128, v8
	v_mul_f32_e32 v2, v129, v8
	s_waitcnt vmcnt(31)
	v_mul_f32_e32 v8, v130, v99
	v_mul_f32_e32 v94, v131, v99
	v_fmac_f32_e32 v126, v129, v3
	v_fma_f32 v99, v128, v3, -v2
	s_waitcnt vmcnt(27)
	v_fmac_f32_e32 v8, v131, v107
	v_fma_f32 v107, v130, v107, -v94
	ds_read_b128 v[94:97], v1 offset:432
	buffer_load_dword v131, off, s[0:3], 0 offset:204
	s_waitcnt vmcnt(27) lgkmcnt(1)
	v_mul_f32_e32 v127, v4, v105
	v_mul_f32_e32 v2, v5, v105
	s_waitcnt vmcnt(26)
	v_mul_f32_e32 v3, v7, v104
	v_mul_f32_e32 v105, v6, v104
	v_fmac_f32_e32 v127, v5, v103
	v_fma_f32 v103, v4, v103, -v2
	v_fma_f32 v6, v6, v101, -v3
	ds_read_b128 v[2:5], v1 offset:448
	v_fmac_f32_e32 v105, v7, v101
	s_waitcnt vmcnt(25) lgkmcnt(1)
	v_mul_f32_e32 v7, v94, v102
	v_mul_f32_e32 v101, v95, v102
	s_waitcnt vmcnt(24)
	v_mul_f32_e32 v102, v96, v106
	v_mul_f32_e32 v104, v97, v106
	v_fmac_f32_e32 v7, v95, v100
	v_fma_f32 v100, v94, v100, -v101
	s_waitcnt vmcnt(20)
	v_fmac_f32_e32 v102, v97, v115
	v_fma_f32 v101, v96, v115, -v104
	ds_read_b128 v[94:97], v1 offset:464
	s_waitcnt vmcnt(19) lgkmcnt(1)
	v_mul_f32_e32 v104, v2, v113
	v_mul_f32_e32 v106, v3, v113
	s_waitcnt vmcnt(18)
	v_mul_f32_e32 v113, v4, v112
	v_mul_f32_e32 v112, v5, v112
	v_fmac_f32_e32 v104, v3, v111
	v_fma_f32 v106, v2, v111, -v106
	v_fmac_f32_e32 v113, v5, v109
	v_fma_f32 v109, v4, v109, -v112
	ds_read_b128 v[2:5], v1 offset:480
	s_waitcnt vmcnt(17) lgkmcnt(1)
	v_mul_f32_e32 v111, v94, v110
	v_mul_f32_e32 v110, v95, v110
	s_waitcnt vmcnt(16)
	v_mul_f32_e32 v112, v96, v114
	v_mul_f32_e32 v114, v97, v114
	v_fmac_f32_e32 v111, v95, v108
	v_fma_f32 v108, v94, v108, -v110
	s_waitcnt vmcnt(12)
	v_fmac_f32_e32 v112, v97, v123
	v_fma_f32 v110, v96, v123, -v114
	ds_read_b128 v[94:97], v1 offset:496
	buffer_load_dword v123, off, s[0:3], 0 offset:196
	s_waitcnt vmcnt(12) lgkmcnt(1)
	v_mul_f32_e32 v114, v2, v121
	v_mul_f32_e32 v115, v3, v121
	s_waitcnt vmcnt(11)
	v_mul_f32_e32 v121, v4, v120
	v_mul_f32_e32 v120, v5, v120
	v_fmac_f32_e32 v114, v3, v119
	v_fma_f32 v115, v2, v119, -v115
	v_fmac_f32_e32 v121, v5, v117
	v_fma_f32 v117, v4, v117, -v120
	ds_read_b128 v[2:5], v1 offset:512
	s_waitcnt vmcnt(10) lgkmcnt(1)
	v_mul_f32_e32 v119, v94, v118
	v_mul_f32_e32 v118, v95, v118
	s_waitcnt vmcnt(9)
	v_mul_f32_e32 v120, v96, v122
	v_mul_f32_e32 v122, v97, v122
	v_fmac_f32_e32 v119, v95, v116
	v_fma_f32 v116, v94, v116, -v118
	s_waitcnt vmcnt(5)
	v_fmac_f32_e32 v120, v97, v137
	v_fma_f32 v118, v96, v137, -v122
	ds_read_b128 v[94:97], v1 offset:528
	s_waitcnt vmcnt(4) lgkmcnt(1)
	v_mul_f32_e32 v122, v2, v138
	v_mul_f32_e32 v128, v3, v138
	s_waitcnt vmcnt(3)
	v_mul_f32_e32 v129, v4, v139
	v_mul_f32_e32 v130, v5, v139
	v_fmac_f32_e32 v122, v3, v136
	v_fma_f32 v128, v2, v136, -v128
	v_fmac_f32_e32 v129, v5, v135
	v_fma_f32 v130, v4, v135, -v130
	s_clause 0x5
	buffer_load_dword v135, off, s[0:3], 0 offset:224
	buffer_load_dword v136, off, s[0:3], 0 offset:216
	;; [unrolled: 1-line block ×6, first 2 shown]
	v_add_f32_e32 v3, 0, v140
	buffer_load_dword v140, off, s[0:3], 0 offset:228
	v_add_f32_e32 v4, 0, v143
	v_add_f32_e32 v3, v3, v141
	v_add_f32_e32 v4, v4, v144
	v_add_f32_e32 v3, v3, v145
	v_add_f32_e32 v4, v4, v133
	v_add_f32_e32 v3, v3, v146
	v_add_f32_e32 v4, v4, v98
	v_add_f32_e32 v3, v3, v132
	v_add_f32_e32 v4, v4, v124
	v_add_f32_e32 v3, v3, v147
	v_add_f32_e32 v4, v4, v125
	s_waitcnt vmcnt(8) lgkmcnt(0)
	v_mul_f32_e32 v124, v96, v131
	s_waitcnt vmcnt(7)
	v_mul_f32_e32 v141, v94, v123
	v_mul_f32_e32 v5, v95, v123
	buffer_load_dword v123, off, s[0:3], 0 offset:236
	v_fmac_f32_e32 v141, v95, v134
	v_fma_f32 v133, v94, v134, -v5
	s_clause 0x6
	buffer_load_dword v134, off, s[0:3], 0 offset:256
	buffer_load_dword v143, off, s[0:3], 0 offset:248
	;; [unrolled: 1-line block ×7, first 2 shown]
	v_mul_f32_e32 v5, v97, v131
	buffer_load_dword v131, off, s[0:3], 0 offset:252
	s_waitcnt vmcnt(12)
	v_fmac_f32_e32 v124, v97, v2
	v_fma_f32 v146, v96, v2, -v5
	v_add_f32_e32 v2, v3, v126
	v_add_f32_e32 v3, v4, v99
	s_clause 0x2
	buffer_load_dword v126, off, s[0:3], 0 offset:276
	buffer_load_dword v148, off, s[0:3], 0 offset:284
	;; [unrolled: 1-line block ×3, first 2 shown]
	v_add_f32_e32 v2, v2, v8
	v_add_f32_e32 v3, v3, v107
	s_clause 0x3
	buffer_load_dword v8, off, s[0:3], 0 offset:300
	buffer_load_dword v150, off, s[0:3], 0 offset:308
	;; [unrolled: 1-line block ×4, first 2 shown]
	v_add_f32_e32 v2, v2, v127
	v_add_f32_e32 v3, v3, v103
	buffer_load_dword v127, off, s[0:3], 0 offset:332
	v_add_f32_e32 v2, v2, v105
	v_add_f32_e32 v3, v3, v6
	s_clause 0x3
	buffer_load_dword v6, off, s[0:3], 0 offset:288
	buffer_load_dword v153, off, s[0:3], 0 offset:280
	;; [unrolled: 1-line block ×4, first 2 shown]
	v_add_f32_e32 v2, v2, v7
	s_clause 0x5
	buffer_load_dword v7, off, s[0:3], 0 offset:320
	buffer_load_dword v156, off, s[0:3], 0 offset:312
	buffer_load_dword v157, off, s[0:3], 0 offset:304
	buffer_load_dword v158, off, s[0:3], 0 offset:296
	buffer_load_dword v159, off, s[0:3], 0 offset:328
	buffer_load_dword v160, off, s[0:3], 0 offset:8
	v_add_f32_e32 v3, v3, v100
	v_add_f32_e32 v2, v2, v102
	;; [unrolled: 1-line block ×9, first 2 shown]
	ds_read_b128 v[2:5], v1 offset:544
	v_add_f32_e32 v94, v94, v112
	v_add_f32_e32 v95, v95, v110
	;; [unrolled: 1-line block ×4, first 2 shown]
	ds_read_b128 v[94:97], v1 offset:560
	v_add_f32_e32 v98, v98, v121
	v_add_f32_e32 v99, v99, v117
	;; [unrolled: 1-line block ×4, first 2 shown]
	s_waitcnt vmcnt(29) lgkmcnt(1)
	v_mul_f32_e32 v110, v2, v138
	v_mul_f32_e32 v100, v3, v138
	s_waitcnt vmcnt(28)
	v_mul_f32_e32 v114, v4, v139
	v_mul_f32_e32 v101, v5, v139
	v_add_f32_e32 v103, v98, v120
	v_fmac_f32_e32 v110, v3, v137
	v_fma_f32 v115, v2, v137, -v100
	v_fmac_f32_e32 v114, v5, v136
	v_fma_f32 v117, v4, v136, -v101
	ds_read_b128 v[2:5], v1 offset:576
	ds_read_b128 v[98:101], v1 offset:592
	v_add_f32_e32 v102, v102, v118
	s_waitcnt vmcnt(27) lgkmcnt(2)
	v_mul_f32_e32 v116, v94, v140
	v_add_f32_e32 v103, v103, v122
	v_mul_f32_e32 v104, v95, v140
	v_add_f32_e32 v102, v102, v128
	v_fmac_f32_e32 v116, v95, v135
	v_add_f32_e32 v95, v103, v129
	v_fma_f32 v119, v94, v135, -v104
	v_add_f32_e32 v106, v102, v130
	v_add_f32_e32 v107, v95, v141
	;; [unrolled: 1-line block ×5, first 2 shown]
	s_waitcnt vmcnt(26)
	v_mul_f32_e32 v118, v96, v123
	v_mul_f32_e32 v105, v97, v123
	s_waitcnt vmcnt(22)
	v_fmac_f32_e32 v118, v97, v145
	s_waitcnt vmcnt(21) lgkmcnt(1)
	v_mul_f32_e32 v121, v2, v132
	v_mul_f32_e32 v112, v3, v132
	v_fma_f32 v120, v96, v145, -v105
	ds_read_b128 v[94:97], v1 offset:608
	ds_read_b128 v[102:105], v1 offset:624
	ds_read_b128 v[106:109], v1 offset:640
	v_fmac_f32_e32 v121, v3, v144
	v_fma_f32 v2, v2, v144, -v112
	v_add_f32_e32 v3, v113, v110
	ds_read_b128 v[110:113], v1 offset:656
	v_add_f32_e32 v1, v122, v115
	s_waitcnt vmcnt(18)
	v_mul_f32_e32 v122, v5, v131
	v_mul_f32_e32 v115, v4, v131
	v_add_f32_e32 v3, v3, v114
	s_waitcnt lgkmcnt(4)
	v_mul_f32_e32 v123, v99, v125
	v_add_f32_e32 v1, v1, v117
	v_fma_f32 v4, v4, v143, -v122
	v_mul_f32_e32 v114, v98, v125
	v_add_f32_e32 v3, v3, v116
	v_fmac_f32_e32 v115, v5, v143
	v_add_f32_e32 v1, v1, v119
	v_fma_f32 v98, v98, v134, -v123
	v_mul_f32_e32 v117, v100, v147
	v_add_f32_e32 v3, v3, v118
	v_mul_f32_e32 v118, v101, v147
	v_add_f32_e32 v1, v1, v120
	v_fmac_f32_e32 v114, v99, v134
	v_add_f32_e32 v1, v1, v2
	v_add_f32_e32 v2, v3, v121
	;; [unrolled: 1-line block ×4, first 2 shown]
	s_waitcnt vmcnt(17) lgkmcnt(3)
	v_mul_f32_e32 v4, v95, v126
	v_mul_f32_e32 v5, v94, v126
	v_add_f32_e32 v1, v1, v98
	v_add_f32_e32 v2, v2, v114
	s_waitcnt vmcnt(16)
	v_mul_f32_e32 v98, v97, v148
	v_mul_f32_e32 v122, v96, v148
	s_waitcnt vmcnt(15) lgkmcnt(2)
	v_mul_f32_e32 v116, v102, v149
	s_waitcnt vmcnt(14)
	v_mul_f32_e32 v119, v104, v8
	s_waitcnt vmcnt(13) lgkmcnt(1)
	v_mul_f32_e32 v124, v106, v150
	s_waitcnt vmcnt(12)
	v_mul_f32_e32 v120, v108, v151
	s_waitcnt vmcnt(11) lgkmcnt(0)
	v_mul_f32_e32 v125, v110, v152
	s_waitcnt vmcnt(10)
	v_mul_f32_e32 v3, v112, v127
	s_waitcnt vmcnt(9)
	v_fmac_f32_e32 v116, v103, v6
	s_waitcnt vmcnt(8)
	v_fmac_f32_e32 v122, v97, v153
	s_waitcnt vmcnt(7)
	v_fma_f32 v4, v94, v154, -v4
	s_waitcnt vmcnt(6)
	v_fma_f32 v99, v100, v155, -v118
	v_fmac_f32_e32 v117, v101, v155
	v_fmac_f32_e32 v5, v95, v154
	v_mul_f32_e32 v94, v103, v149
	v_fma_f32 v95, v96, v153, -v98
	v_add_f32_e32 v1, v1, v99
	v_add_f32_e32 v2, v2, v117
	s_waitcnt vmcnt(2)
	v_fmac_f32_e32 v119, v105, v158
	v_fmac_f32_e32 v124, v107, v157
	;; [unrolled: 1-line block ×3, first 2 shown]
	v_add_f32_e32 v1, v1, v4
	v_add_f32_e32 v2, v2, v5
	v_mul_f32_e32 v4, v105, v8
	v_fma_f32 v5, v102, v6, -v94
	v_mul_f32_e32 v6, v107, v150
	v_add_f32_e32 v1, v1, v95
	v_add_f32_e32 v2, v2, v122
	v_fma_f32 v4, v104, v158, -v4
	v_fmac_f32_e32 v125, v111, v7
	v_fma_f32 v6, v106, v157, -v6
	v_add_f32_e32 v1, v1, v5
	v_add_f32_e32 v2, v2, v116
	v_mul_f32_e32 v5, v109, v151
	s_waitcnt vmcnt(1)
	v_fmac_f32_e32 v3, v113, v159
	v_add_f32_e32 v1, v1, v4
	v_add_f32_e32 v2, v2, v119
	v_mul_f32_e32 v4, v111, v152
	v_fma_f32 v5, v108, v156, -v5
	v_add_f32_e32 v1, v1, v6
	v_add_f32_e32 v2, v2, v124
	v_mul_f32_e32 v6, v113, v127
	v_fma_f32 v4, v110, v7, -v4
	v_add_f32_e32 v1, v1, v5
	v_add_f32_e32 v2, v2, v120
	v_fma_f32 v5, v112, v159, -v6
	v_add_f32_e32 v1, v1, v4
	v_add_f32_e32 v2, v2, v125
	;; [unrolled: 1-line block ×4, first 2 shown]
	s_waitcnt vmcnt(0)
	v_sub_f32_e32 v1, v160, v1
	v_sub_f32_e32 v2, v142, v2
	buffer_store_dword v1, off, s[0:3], 0 offset:8
	buffer_store_dword v2, off, s[0:3], 0 offset:12
	v_cmpx_ne_u32_e32 0, v0
	s_cbranch_execz .LBB105_265
; %bb.264:
	s_clause 0x1
	buffer_load_dword v0, off, s[0:3], 0
	buffer_load_dword v1, off, s[0:3], 0 offset:4
	v_mov_b32_e32 v2, 0
	buffer_store_dword v2, off, s[0:3], 0
	buffer_store_dword v2, off, s[0:3], 0 offset:4
	s_waitcnt vmcnt(0)
	ds_write_b64 v93, v[0:1]
.LBB105_265:
	s_or_b32 exec_lo, exec_lo, s4
	s_waitcnt lgkmcnt(0)
	s_waitcnt_vscnt null, 0x0
	s_barrier
	buffer_gl0_inv
	s_clause 0x24
	buffer_load_dword v95, off, s[0:3], 0 offset:12
	buffer_load_dword v96, off, s[0:3], 0 offset:20
	;; [unrolled: 1-line block ×37, first 2 shown]
	v_mov_b32_e32 v8, 0
	ds_read2_b64 v[0:3], v8 offset0:43 offset1:44
	ds_read2_b64 v[4:7], v8 offset0:45 offset1:46
	;; [unrolled: 1-line block ×3, first 2 shown]
	s_clause 0x2
	buffer_load_dword v138, off, s[0:3], 0 offset:156
	buffer_load_dword v139, off, s[0:3], 0 offset:164
	;; [unrolled: 1-line block ×3, first 2 shown]
	ds_read2_b64 v[134:137], v8 offset0:49 offset1:50
	s_and_b32 vcc_lo, exec_lo, s16
	s_waitcnt vmcnt(39) lgkmcnt(3)
	v_mul_f32_e32 v141, v0, v95
	v_mul_f32_e32 v95, v1, v95
	s_waitcnt vmcnt(38)
	v_mul_f32_e32 v142, v2, v96
	v_mul_f32_e32 v96, v3, v96
	s_waitcnt vmcnt(35)
	v_fmac_f32_e32 v141, v1, v105
	v_fma_f32 v105, v0, v105, -v95
	v_fmac_f32_e32 v142, v3, v101
	v_fma_f32 v101, v2, v101, -v96
	s_waitcnt vmcnt(34) lgkmcnt(2)
	v_mul_f32_e32 v143, v4, v97
	s_waitcnt vmcnt(33)
	v_mul_f32_e32 v144, v6, v98
	v_mul_f32_e32 v95, v5, v97
	;; [unrolled: 1-line block ×3, first 2 shown]
	s_waitcnt vmcnt(32) lgkmcnt(1)
	v_mul_f32_e32 v98, v130, v102
	v_mul_f32_e32 v97, v131, v102
	ds_read2_b64 v[0:3], v8 offset0:51 offset1:52
	v_fmac_f32_e32 v143, v5, v94
	v_fma_f32 v102, v4, v94, -v95
	s_waitcnt vmcnt(31)
	v_mul_f32_e32 v145, v132, v103
	v_mul_f32_e32 v94, v133, v103
	s_waitcnt vmcnt(27)
	v_fmac_f32_e32 v144, v7, v106
	v_fma_f32 v103, v6, v106, -v96
	v_fmac_f32_e32 v98, v131, v104
	v_fma_f32 v104, v130, v104, -v97
	s_waitcnt vmcnt(26) lgkmcnt(1)
	v_mul_f32_e32 v106, v134, v100
	v_mul_f32_e32 v100, v135, v100
	s_waitcnt vmcnt(25)
	v_mul_f32_e32 v130, v136, v107
	v_mul_f32_e32 v107, v137, v107
	ds_read2_b64 v[4:7], v8 offset0:53 offset1:54
	v_fmac_f32_e32 v145, v133, v99
	v_fma_f32 v99, v132, v99, -v94
	ds_read2_b64 v[94:97], v8 offset0:55 offset1:56
	v_fmac_f32_e32 v106, v135, v93
	v_fma_f32 v93, v134, v93, -v100
	s_waitcnt vmcnt(20)
	v_fmac_f32_e32 v130, v137, v115
	v_fma_f32 v100, v136, v115, -v107
	s_clause 0x4
	buffer_load_dword v107, off, s[0:3], 0 offset:184
	buffer_load_dword v115, off, s[0:3], 0 offset:176
	;; [unrolled: 1-line block ×5, first 2 shown]
	s_waitcnt vmcnt(24) lgkmcnt(2)
	v_mul_f32_e32 v135, v2, v113
	v_mul_f32_e32 v113, v3, v113
	;; [unrolled: 1-line block ×4, first 2 shown]
	v_fmac_f32_e32 v135, v3, v110
	v_fma_f32 v110, v2, v110, -v113
	v_fmac_f32_e32 v131, v1, v111
	v_fma_f32 v108, v0, v111, -v108
	ds_read2_b64 v[0:3], v8 offset0:57 offset1:58
	s_waitcnt vmcnt(22) lgkmcnt(2)
	v_mul_f32_e32 v113, v6, v114
	v_mul_f32_e32 v114, v7, v114
	;; [unrolled: 1-line block ×4, first 2 shown]
	s_waitcnt vmcnt(17)
	v_fmac_f32_e32 v113, v7, v123
	v_fma_f32 v114, v6, v123, -v114
	buffer_load_dword v123, off, s[0:3], 0 offset:180
	v_fmac_f32_e32 v111, v5, v109
	v_fma_f32 v109, v4, v109, -v112
	ds_read2_b64 v[4:7], v8 offset0:59 offset1:60
	s_waitcnt lgkmcnt(2)
	v_mul_f32_e32 v112, v94, v116
	v_mul_f32_e32 v116, v95, v116
	v_fmac_f32_e32 v112, v95, v120
	s_waitcnt vmcnt(17)
	v_mul_f32_e32 v95, v96, v121
	v_fma_f32 v94, v94, v120, -v116
	v_mul_f32_e32 v116, v97, v121
	s_waitcnt vmcnt(15) lgkmcnt(1)
	v_mul_f32_e32 v120, v3, v122
	buffer_load_dword v121, off, s[0:3], 0 offset:196
	v_fmac_f32_e32 v95, v97, v118
	buffer_load_dword v97, off, s[0:3], 0 offset:188
	v_fma_f32 v96, v96, v118, -v116
	v_mul_f32_e32 v116, v0, v119
	v_mul_f32_e32 v118, v1, v119
	v_mul_f32_e32 v119, v2, v122
	v_fmac_f32_e32 v116, v1, v117
	v_fma_f32 v117, v0, v117, -v118
	s_waitcnt vmcnt(13)
	v_fma_f32 v118, v2, v129, -v120
	s_waitcnt vmcnt(12) lgkmcnt(0)
	v_mul_f32_e32 v120, v4, v128
	v_mul_f32_e32 v122, v5, v128
	s_waitcnt vmcnt(11)
	v_mul_f32_e32 v128, v6, v127
	v_mul_f32_e32 v127, v7, v127
	v_fmac_f32_e32 v119, v3, v129
	ds_read2_b64 v[0:3], v8 offset0:61 offset1:62
	v_fmac_f32_e32 v120, v5, v126
	v_fma_f32 v122, v4, v126, -v122
	v_fmac_f32_e32 v128, v7, v125
	v_fma_f32 v125, v6, v125, -v127
	s_clause 0x4
	buffer_load_dword v126, off, s[0:3], 0 offset:216
	buffer_load_dword v127, off, s[0:3], 0 offset:208
	;; [unrolled: 1-line block ×5, first 2 shown]
	v_add_f32_e32 v4, 0, v141
	v_add_f32_e32 v5, 0, v105
	buffer_load_dword v105, off, s[0:3], 0 offset:212
	v_add_f32_e32 v4, v4, v142
	v_add_f32_e32 v101, v5, v101
	;; [unrolled: 1-line block ×3, first 2 shown]
	ds_read2_b64 v[4:7], v8 offset0:63 offset1:64
	v_add_f32_e32 v101, v101, v102
	s_waitcnt vmcnt(16) lgkmcnt(1)
	v_mul_f32_e32 v102, v0, v138
	v_mul_f32_e32 v138, v1, v138
	v_add_f32_e32 v141, v141, v144
	v_add_f32_e32 v101, v101, v103
	s_waitcnt vmcnt(15)
	v_mul_f32_e32 v142, v2, v139
	v_mul_f32_e32 v139, v3, v139
	buffer_load_dword v103, off, s[0:3], 0 offset:220
	v_fmac_f32_e32 v102, v1, v124
	v_fma_f32 v124, v0, v124, -v138
	v_add_f32_e32 v0, v141, v98
	v_add_f32_e32 v98, v101, v104
	;; [unrolled: 1-line block ×4, first 2 shown]
	s_waitcnt vmcnt(11)
	v_fmac_f32_e32 v142, v3, v133
	v_fma_f32 v133, v2, v133, -v139
	s_clause 0x4
	buffer_load_dword v101, off, s[0:3], 0 offset:228
	buffer_load_dword v138, off, s[0:3], 0 offset:248
	;; [unrolled: 1-line block ×5, first 2 shown]
	s_waitcnt vmcnt(15) lgkmcnt(0)
	v_mul_f32_e32 v99, v4, v134
	v_mul_f32_e32 v134, v5, v134
	ds_read2_b64 v[0:3], v8 offset0:65 offset1:66
	v_fmac_f32_e32 v99, v5, v132
	v_fma_f32 v132, v4, v132, -v134
	v_add_f32_e32 v4, v143, v106
	s_clause 0x1
	buffer_load_dword v106, off, s[0:3], 0 offset:236
	buffer_load_dword v134, off, s[0:3], 0 offset:244
	v_add_f32_e32 v5, v98, v93
	v_add_f32_e32 v4, v4, v130
	;; [unrolled: 1-line block ×3, first 2 shown]
	s_waitcnt vmcnt(16)
	v_mul_f32_e32 v93, v7, v123
	v_mul_f32_e32 v143, v6, v123
	v_add_f32_e32 v100, v5, v108
	buffer_load_dword v123, off, s[0:3], 0 offset:252
	v_fma_f32 v98, v6, v115, -v93
	v_add_f32_e32 v93, v4, v131
	v_add_f32_e32 v100, v100, v110
	v_fmac_f32_e32 v143, v7, v115
	s_clause 0x3
	buffer_load_dword v115, off, s[0:3], 0 offset:260
	buffer_load_dword v130, off, s[0:3], 0 offset:268
	buffer_load_dword v131, off, s[0:3], 0 offset:276
	buffer_load_dword v144, off, s[0:3], 0 offset:284
	ds_read2_b64 v[4:7], v8 offset0:67 offset1:68
	v_add_f32_e32 v93, v93, v135
	s_waitcnt vmcnt(20) lgkmcnt(1)
	v_mul_f32_e32 v110, v2, v121
	s_waitcnt vmcnt(19)
	v_mul_f32_e32 v108, v0, v97
	v_mul_f32_e32 v97, v1, v97
	v_add_f32_e32 v93, v93, v111
	v_mul_f32_e32 v111, v3, v121
	v_fmac_f32_e32 v108, v1, v107
	v_fma_f32 v107, v0, v107, -v97
	v_add_f32_e32 v0, v100, v109
	v_add_f32_e32 v1, v93, v113
	s_clause 0x3
	buffer_load_dword v109, off, s[0:3], 0 offset:292
	buffer_load_dword v113, off, s[0:3], 0 offset:300
	;; [unrolled: 1-line block ×4, first 2 shown]
	v_add_f32_e32 v0, v0, v114
	v_add_f32_e32 v1, v1, v112
	;; [unrolled: 1-line block ×4, first 2 shown]
	s_waitcnt vmcnt(19)
	v_fmac_f32_e32 v110, v3, v136
	v_fma_f32 v111, v2, v136, -v111
	s_clause 0x5
	buffer_load_dword v136, off, s[0:3], 0 offset:324
	buffer_load_dword v112, off, s[0:3], 0 offset:280
	;; [unrolled: 1-line block ×6, first 2 shown]
	v_add_f32_e32 v94, v0, v96
	v_add_f32_e32 v93, v93, v116
	s_waitcnt vmcnt(24) lgkmcnt(0)
	v_mul_f32_e32 v116, v4, v137
	v_mul_f32_e32 v95, v5, v137
	ds_read2_b64 v[0:3], v8 offset0:69 offset1:70
	v_add_f32_e32 v94, v94, v117
	v_fmac_f32_e32 v116, v5, v129
	v_fma_f32 v117, v4, v129, -v95
	v_add_f32_e32 v4, v93, v119
	v_add_f32_e32 v5, v94, v118
	s_clause 0x3
	buffer_load_dword v118, off, s[0:3], 0 offset:312
	buffer_load_dword v119, off, s[0:3], 0 offset:304
	;; [unrolled: 1-line block ×4, first 2 shown]
	v_add_f32_e32 v4, v4, v120
	v_add_f32_e32 v5, v5, v122
	s_clause 0x1
	buffer_load_dword v120, off, s[0:3], 0 offset:328
	buffer_load_dword v122, off, s[0:3], 0 offset:320
	v_add_f32_e32 v93, v4, v128
	buffer_load_dword v128, off, s[0:3], 0
	v_add_f32_e32 v4, v5, v125
	s_waitcnt vmcnt(30)
	v_mul_f32_e32 v125, v6, v105
	v_mul_f32_e32 v5, v7, v105
	v_add_f32_e32 v93, v93, v102
	s_waitcnt vmcnt(29) lgkmcnt(0)
	v_mul_f32_e32 v97, v1, v103
	v_add_f32_e32 v94, v4, v124
	v_fmac_f32_e32 v125, v7, v127
	v_fma_f32 v124, v6, v127, -v5
	ds_read2_b64 v[4:7], v8 offset0:71 offset1:72
	v_add_f32_e32 v100, v93, v142
	v_add_f32_e32 v94, v94, v133
	v_mul_f32_e32 v127, v0, v103
	v_add_f32_e32 v103, v100, v99
	v_add_f32_e32 v102, v94, v132
	ds_read2_b64 v[93:96], v8 offset0:73 offset1:74
	v_fmac_f32_e32 v127, v1, v126
	v_fma_f32 v126, v0, v126, -v97
	s_waitcnt vmcnt(28)
	v_mul_f32_e32 v133, v2, v101
	v_mul_f32_e32 v101, v3, v101
	s_waitcnt vmcnt(24)
	v_fmac_f32_e32 v133, v3, v141
	v_fma_f32 v132, v2, v141, -v101
	v_add_f32_e32 v101, v102, v98
	v_add_f32_e32 v102, v103, v143
	ds_read2_b64 v[0:3], v8 offset0:75 offset1:76
	ds_read2_b64 v[97:100], v8 offset0:77 offset1:78
	s_waitcnt vmcnt(23) lgkmcnt(3)
	v_mul_f32_e32 v141, v4, v106
	v_add_f32_e32 v101, v101, v107
	v_mul_f32_e32 v103, v5, v106
	v_add_f32_e32 v102, v102, v108
	s_waitcnt vmcnt(22)
	v_mul_f32_e32 v105, v7, v134
	v_fmac_f32_e32 v141, v5, v104
	v_add_f32_e32 v5, v101, v111
	v_fma_f32 v108, v4, v104, -v103
	v_add_f32_e32 v4, v102, v110
	v_mul_f32_e32 v107, v6, v134
	v_fma_f32 v111, v6, v139, -v105
	v_add_f32_e32 v110, v5, v117
	ds_read2_b64 v[101:104], v8 offset0:79 offset1:80
	v_add_f32_e32 v116, v4, v116
	s_waitcnt vmcnt(21) lgkmcnt(3)
	v_mul_f32_e32 v117, v93, v123
	v_mul_f32_e32 v123, v94, v123
	v_add_f32_e32 v110, v110, v124
	v_fmac_f32_e32 v107, v7, v139
	v_add_f32_e32 v116, v116, v125
	s_waitcnt vmcnt(20)
	v_mul_f32_e32 v124, v95, v115
	v_mul_f32_e32 v115, v96, v115
	v_add_f32_e32 v110, v110, v126
	v_fma_f32 v93, v93, v138, -v123
	v_add_f32_e32 v116, v116, v127
	v_fmac_f32_e32 v117, v94, v138
	s_waitcnt vmcnt(19) lgkmcnt(2)
	v_mul_f32_e32 v125, v0, v130
	v_add_f32_e32 v110, v110, v132
	v_mul_f32_e32 v123, v1, v130
	v_add_f32_e32 v116, v116, v133
	s_waitcnt vmcnt(18)
	v_mul_f32_e32 v126, v2, v131
	ds_read2_b64 v[4:7], v8 offset0:81 offset1:82
	ds_read_b64 v[105:106], v8 offset:664
	v_add_f32_e32 v108, v110, v108
	s_waitcnt vmcnt(17) lgkmcnt(3)
	v_mul_f32_e32 v127, v97, v144
	v_add_f32_e32 v116, v116, v141
	s_waitcnt vmcnt(16)
	v_mul_f32_e32 v132, v99, v109
	s_waitcnt vmcnt(15) lgkmcnt(2)
	v_mul_f32_e32 v133, v101, v113
	v_add_f32_e32 v108, v108, v111
	s_waitcnt vmcnt(14)
	v_mul_f32_e32 v110, v103, v121
	v_add_f32_e32 v107, v116, v107
	v_add_f32_e32 v93, v108, v93
	s_waitcnt vmcnt(11)
	v_fmac_f32_e32 v127, v98, v112
	s_waitcnt vmcnt(10)
	v_fmac_f32_e32 v126, v3, v114
	;; [unrolled: 2-line block ×3, first 2 shown]
	s_waitcnt vmcnt(8)
	v_fma_f32 v95, v95, v146, -v115
	v_fmac_f32_e32 v124, v96, v146
	v_add_f32_e32 v96, v107, v117
	v_mul_f32_e32 v107, v3, v131
	v_fma_f32 v0, v0, v145, -v123
	v_add_f32_e32 v1, v93, v95
	v_mul_f32_e32 v95, v98, v144
	v_add_f32_e32 v93, v96, v124
	v_fma_f32 v2, v2, v114, -v107
	v_mul_f32_e32 v3, v100, v109
	v_add_f32_e32 v0, v1, v0
	s_waitcnt lgkmcnt(1)
	v_mul_f32_e32 v134, v4, v135
	v_add_f32_e32 v1, v93, v125
	v_fma_f32 v93, v97, v112, -v95
	s_waitcnt vmcnt(3)
	v_fma_f32 v3, v99, v137, -v3
	v_add_f32_e32 v0, v0, v2
	v_mul_f32_e32 v2, v102, v113
	v_add_f32_e32 v1, v1, v126
	v_fmac_f32_e32 v132, v100, v137
	v_fmac_f32_e32 v133, v102, v129
	v_add_f32_e32 v0, v0, v93
	v_mul_f32_e32 v93, v104, v121
	v_add_f32_e32 v1, v1, v127
	v_fma_f32 v2, v101, v129, -v2
	v_fmac_f32_e32 v110, v104, v119
	v_add_f32_e32 v0, v0, v3
	v_mul_f32_e32 v3, v5, v135
	v_add_f32_e32 v1, v1, v132
	v_fma_f32 v93, v103, v119, -v93
	v_mul_f32_e32 v94, v6, v136
	v_add_f32_e32 v0, v0, v2
	v_mul_f32_e32 v2, v7, v136
	v_add_f32_e32 v1, v1, v133
	v_fma_f32 v3, v4, v118, -v3
	v_fmac_f32_e32 v134, v5, v118
	v_add_f32_e32 v0, v0, v93
	s_waitcnt lgkmcnt(0)
	v_mul_f32_e32 v4, v106, v147
	v_add_f32_e32 v1, v1, v110
	s_waitcnt vmcnt(1)
	v_fma_f32 v2, v6, v122, -v2
	v_mul_f32_e32 v111, v105, v147
	v_add_f32_e32 v0, v0, v3
	v_fmac_f32_e32 v94, v7, v122
	v_add_f32_e32 v1, v1, v134
	v_fma_f32 v3, v105, v120, -v4
	v_fmac_f32_e32 v111, v106, v120
	v_add_f32_e32 v0, v0, v2
	v_add_f32_e32 v1, v1, v94
	;; [unrolled: 1-line block ×4, first 2 shown]
	s_waitcnt vmcnt(0)
	v_sub_f32_e32 v0, v128, v0
	v_sub_f32_e32 v1, v140, v1
	buffer_store_dword v0, off, s[0:3], 0
	buffer_store_dword v1, off, s[0:3], 0 offset:4
	s_cbranch_vccz .LBB105_348
; %bb.266:
	global_load_dword v0, v8, s[12:13] offset:160
	s_waitcnt vmcnt(0)
	v_add_nc_u32_e32 v0, -1, v0
	v_cmp_ne_u32_e32 vcc_lo, 40, v0
	s_cbranch_vccz .LBB105_268
; %bb.267:
	v_lshlrev_b32_e32 v0, 3, v0
	s_clause 0x3
	buffer_load_dword v1, v0, s[0:3], 0 offen
	buffer_load_dword v2, v0, s[0:3], 0 offen offset:4
	buffer_load_dword v3, off, s[0:3], 0 offset:324
	buffer_load_dword v4, off, s[0:3], 0 offset:320
	s_waitcnt vmcnt(3)
	buffer_store_dword v1, off, s[0:3], 0 offset:320
	s_waitcnt vmcnt(2)
	buffer_store_dword v2, off, s[0:3], 0 offset:324
	s_waitcnt vmcnt(1)
	buffer_store_dword v3, v0, s[0:3], 0 offen offset:4
	s_waitcnt vmcnt(0)
	buffer_store_dword v4, v0, s[0:3], 0 offen
.LBB105_268:
	v_mov_b32_e32 v0, 0
	global_load_dword v1, v0, s[12:13] offset:156
	s_waitcnt vmcnt(0)
	v_add_nc_u32_e32 v1, -1, v1
	v_cmp_eq_u32_e32 vcc_lo, 39, v1
	s_cbranch_vccnz .LBB105_270
; %bb.269:
	v_lshlrev_b32_e32 v1, 3, v1
	s_clause 0x3
	buffer_load_dword v2, v1, s[0:3], 0 offen
	buffer_load_dword v3, v1, s[0:3], 0 offen offset:4
	buffer_load_dword v4, off, s[0:3], 0 offset:312
	buffer_load_dword v5, off, s[0:3], 0 offset:316
	s_waitcnt vmcnt(3)
	buffer_store_dword v2, off, s[0:3], 0 offset:312
	s_waitcnt vmcnt(2)
	buffer_store_dword v3, off, s[0:3], 0 offset:316
	s_waitcnt vmcnt(1)
	buffer_store_dword v4, v1, s[0:3], 0 offen
	s_waitcnt vmcnt(0)
	buffer_store_dword v5, v1, s[0:3], 0 offen offset:4
.LBB105_270:
	global_load_dword v0, v0, s[12:13] offset:152
	s_waitcnt vmcnt(0)
	v_add_nc_u32_e32 v0, -1, v0
	v_cmp_eq_u32_e32 vcc_lo, 38, v0
	s_cbranch_vccnz .LBB105_272
; %bb.271:
	v_lshlrev_b32_e32 v0, 3, v0
	s_clause 0x3
	buffer_load_dword v1, v0, s[0:3], 0 offen
	buffer_load_dword v2, v0, s[0:3], 0 offen offset:4
	buffer_load_dword v3, off, s[0:3], 0 offset:308
	buffer_load_dword v4, off, s[0:3], 0 offset:304
	s_waitcnt vmcnt(3)
	buffer_store_dword v1, off, s[0:3], 0 offset:304
	s_waitcnt vmcnt(2)
	buffer_store_dword v2, off, s[0:3], 0 offset:308
	s_waitcnt vmcnt(1)
	buffer_store_dword v3, v0, s[0:3], 0 offen offset:4
	s_waitcnt vmcnt(0)
	buffer_store_dword v4, v0, s[0:3], 0 offen
.LBB105_272:
	v_mov_b32_e32 v0, 0
	global_load_dword v1, v0, s[12:13] offset:148
	s_waitcnt vmcnt(0)
	v_add_nc_u32_e32 v1, -1, v1
	v_cmp_eq_u32_e32 vcc_lo, 37, v1
	s_cbranch_vccnz .LBB105_274
; %bb.273:
	v_lshlrev_b32_e32 v1, 3, v1
	s_clause 0x3
	buffer_load_dword v2, v1, s[0:3], 0 offen
	buffer_load_dword v3, v1, s[0:3], 0 offen offset:4
	buffer_load_dword v4, off, s[0:3], 0 offset:296
	buffer_load_dword v5, off, s[0:3], 0 offset:300
	s_waitcnt vmcnt(3)
	buffer_store_dword v2, off, s[0:3], 0 offset:296
	s_waitcnt vmcnt(2)
	buffer_store_dword v3, off, s[0:3], 0 offset:300
	s_waitcnt vmcnt(1)
	buffer_store_dword v4, v1, s[0:3], 0 offen
	s_waitcnt vmcnt(0)
	buffer_store_dword v5, v1, s[0:3], 0 offen offset:4
.LBB105_274:
	global_load_dword v0, v0, s[12:13] offset:144
	s_waitcnt vmcnt(0)
	v_add_nc_u32_e32 v0, -1, v0
	v_cmp_eq_u32_e32 vcc_lo, 36, v0
	s_cbranch_vccnz .LBB105_276
; %bb.275:
	v_lshlrev_b32_e32 v0, 3, v0
	s_clause 0x3
	buffer_load_dword v1, v0, s[0:3], 0 offen
	buffer_load_dword v2, v0, s[0:3], 0 offen offset:4
	buffer_load_dword v3, off, s[0:3], 0 offset:292
	buffer_load_dword v4, off, s[0:3], 0 offset:288
	s_waitcnt vmcnt(3)
	buffer_store_dword v1, off, s[0:3], 0 offset:288
	s_waitcnt vmcnt(2)
	buffer_store_dword v2, off, s[0:3], 0 offset:292
	s_waitcnt vmcnt(1)
	buffer_store_dword v3, v0, s[0:3], 0 offen offset:4
	s_waitcnt vmcnt(0)
	buffer_store_dword v4, v0, s[0:3], 0 offen
.LBB105_276:
	;; [unrolled: 43-line block ×19, first 2 shown]
	v_mov_b32_e32 v0, 0
	global_load_dword v1, v0, s[12:13] offset:4
	s_waitcnt vmcnt(0)
	v_add_nc_u32_e32 v1, -1, v1
	v_cmp_eq_u32_e32 vcc_lo, 1, v1
	s_cbranch_vccnz .LBB105_346
; %bb.345:
	v_lshlrev_b32_e32 v1, 3, v1
	s_clause 0x3
	buffer_load_dword v2, v1, s[0:3], 0 offen
	buffer_load_dword v3, v1, s[0:3], 0 offen offset:4
	buffer_load_dword v4, off, s[0:3], 0 offset:8
	buffer_load_dword v5, off, s[0:3], 0 offset:12
	s_waitcnt vmcnt(3)
	buffer_store_dword v2, off, s[0:3], 0 offset:8
	s_waitcnt vmcnt(2)
	buffer_store_dword v3, off, s[0:3], 0 offset:12
	s_waitcnt vmcnt(1)
	buffer_store_dword v4, v1, s[0:3], 0 offen
	s_waitcnt vmcnt(0)
	buffer_store_dword v5, v1, s[0:3], 0 offen offset:4
.LBB105_346:
	global_load_dword v0, v0, s[12:13]
	s_waitcnt vmcnt(0)
	v_add_nc_u32_e32 v0, -1, v0
	v_cmp_eq_u32_e32 vcc_lo, 0, v0
	s_cbranch_vccnz .LBB105_348
; %bb.347:
	v_lshlrev_b32_e32 v0, 3, v0
	s_clause 0x3
	buffer_load_dword v1, v0, s[0:3], 0 offen
	buffer_load_dword v2, v0, s[0:3], 0 offen offset:4
	buffer_load_dword v3, off, s[0:3], 0 offset:4
	buffer_load_dword v4, off, s[0:3], 0
	s_waitcnt vmcnt(3)
	buffer_store_dword v1, off, s[0:3], 0
	s_waitcnt vmcnt(2)
	buffer_store_dword v2, off, s[0:3], 0 offset:4
	s_waitcnt vmcnt(1)
	buffer_store_dword v3, v0, s[0:3], 0 offen offset:4
	s_waitcnt vmcnt(0)
	buffer_store_dword v4, v0, s[0:3], 0 offen
.LBB105_348:
	s_clause 0x1
	buffer_load_dword v0, off, s[0:3], 0
	buffer_load_dword v1, off, s[0:3], 0 offset:4
	s_waitcnt vmcnt(0)
	flat_store_dwordx2 v[9:10], v[0:1]
	s_clause 0x1
	buffer_load_dword v0, off, s[0:3], 0 offset:8
	buffer_load_dword v1, off, s[0:3], 0 offset:12
	s_waitcnt vmcnt(0)
	flat_store_dwordx2 v[11:12], v[0:1]
	s_clause 0x1
	buffer_load_dword v0, off, s[0:3], 0 offset:16
	;; [unrolled: 5-line block ×41, first 2 shown]
	buffer_load_dword v1, off, s[0:3], 0 offset:332
	s_waitcnt vmcnt(0)
	flat_store_dwordx2 v[91:92], v[0:1]
	s_endpgm
	.section	.rodata,"a",@progbits
	.p2align	6, 0x0
	.amdhsa_kernel _ZN9rocsolver6v33100L18getri_kernel_smallILi42E19rocblas_complex_numIfEPKPS3_EEvT1_iilPiilS8_bb
		.amdhsa_group_segment_fixed_size 676
		.amdhsa_private_segment_fixed_size 352
		.amdhsa_kernarg_size 60
		.amdhsa_user_sgpr_count 6
		.amdhsa_user_sgpr_private_segment_buffer 1
		.amdhsa_user_sgpr_dispatch_ptr 0
		.amdhsa_user_sgpr_queue_ptr 0
		.amdhsa_user_sgpr_kernarg_segment_ptr 1
		.amdhsa_user_sgpr_dispatch_id 0
		.amdhsa_user_sgpr_flat_scratch_init 0
		.amdhsa_user_sgpr_private_segment_size 0
		.amdhsa_wavefront_size32 1
		.amdhsa_uses_dynamic_stack 0
		.amdhsa_system_sgpr_private_segment_wavefront_offset 1
		.amdhsa_system_sgpr_workgroup_id_x 1
		.amdhsa_system_sgpr_workgroup_id_y 0
		.amdhsa_system_sgpr_workgroup_id_z 0
		.amdhsa_system_sgpr_workgroup_info 0
		.amdhsa_system_vgpr_workitem_id 0
		.amdhsa_next_free_vgpr 254
		.amdhsa_next_free_sgpr 20
		.amdhsa_reserve_vcc 1
		.amdhsa_reserve_flat_scratch 0
		.amdhsa_float_round_mode_32 0
		.amdhsa_float_round_mode_16_64 0
		.amdhsa_float_denorm_mode_32 3
		.amdhsa_float_denorm_mode_16_64 3
		.amdhsa_dx10_clamp 1
		.amdhsa_ieee_mode 1
		.amdhsa_fp16_overflow 0
		.amdhsa_workgroup_processor_mode 1
		.amdhsa_memory_ordered 1
		.amdhsa_forward_progress 1
		.amdhsa_shared_vgpr_count 0
		.amdhsa_exception_fp_ieee_invalid_op 0
		.amdhsa_exception_fp_denorm_src 0
		.amdhsa_exception_fp_ieee_div_zero 0
		.amdhsa_exception_fp_ieee_overflow 0
		.amdhsa_exception_fp_ieee_underflow 0
		.amdhsa_exception_fp_ieee_inexact 0
		.amdhsa_exception_int_div_zero 0
	.end_amdhsa_kernel
	.section	.text._ZN9rocsolver6v33100L18getri_kernel_smallILi42E19rocblas_complex_numIfEPKPS3_EEvT1_iilPiilS8_bb,"axG",@progbits,_ZN9rocsolver6v33100L18getri_kernel_smallILi42E19rocblas_complex_numIfEPKPS3_EEvT1_iilPiilS8_bb,comdat
.Lfunc_end105:
	.size	_ZN9rocsolver6v33100L18getri_kernel_smallILi42E19rocblas_complex_numIfEPKPS3_EEvT1_iilPiilS8_bb, .Lfunc_end105-_ZN9rocsolver6v33100L18getri_kernel_smallILi42E19rocblas_complex_numIfEPKPS3_EEvT1_iilPiilS8_bb
                                        ; -- End function
	.set _ZN9rocsolver6v33100L18getri_kernel_smallILi42E19rocblas_complex_numIfEPKPS3_EEvT1_iilPiilS8_bb.num_vgpr, 254
	.set _ZN9rocsolver6v33100L18getri_kernel_smallILi42E19rocblas_complex_numIfEPKPS3_EEvT1_iilPiilS8_bb.num_agpr, 0
	.set _ZN9rocsolver6v33100L18getri_kernel_smallILi42E19rocblas_complex_numIfEPKPS3_EEvT1_iilPiilS8_bb.numbered_sgpr, 20
	.set _ZN9rocsolver6v33100L18getri_kernel_smallILi42E19rocblas_complex_numIfEPKPS3_EEvT1_iilPiilS8_bb.num_named_barrier, 0
	.set _ZN9rocsolver6v33100L18getri_kernel_smallILi42E19rocblas_complex_numIfEPKPS3_EEvT1_iilPiilS8_bb.private_seg_size, 352
	.set _ZN9rocsolver6v33100L18getri_kernel_smallILi42E19rocblas_complex_numIfEPKPS3_EEvT1_iilPiilS8_bb.uses_vcc, 1
	.set _ZN9rocsolver6v33100L18getri_kernel_smallILi42E19rocblas_complex_numIfEPKPS3_EEvT1_iilPiilS8_bb.uses_flat_scratch, 0
	.set _ZN9rocsolver6v33100L18getri_kernel_smallILi42E19rocblas_complex_numIfEPKPS3_EEvT1_iilPiilS8_bb.has_dyn_sized_stack, 0
	.set _ZN9rocsolver6v33100L18getri_kernel_smallILi42E19rocblas_complex_numIfEPKPS3_EEvT1_iilPiilS8_bb.has_recursion, 0
	.set _ZN9rocsolver6v33100L18getri_kernel_smallILi42E19rocblas_complex_numIfEPKPS3_EEvT1_iilPiilS8_bb.has_indirect_call, 0
	.section	.AMDGPU.csdata,"",@progbits
; Kernel info:
; codeLenInByte = 73144
; TotalNumSgprs: 22
; NumVgprs: 254
; ScratchSize: 352
; MemoryBound: 0
; FloatMode: 240
; IeeeMode: 1
; LDSByteSize: 676 bytes/workgroup (compile time only)
; SGPRBlocks: 0
; VGPRBlocks: 31
; NumSGPRsForWavesPerEU: 22
; NumVGPRsForWavesPerEU: 254
; Occupancy: 4
; WaveLimiterHint : 1
; COMPUTE_PGM_RSRC2:SCRATCH_EN: 1
; COMPUTE_PGM_RSRC2:USER_SGPR: 6
; COMPUTE_PGM_RSRC2:TRAP_HANDLER: 0
; COMPUTE_PGM_RSRC2:TGID_X_EN: 1
; COMPUTE_PGM_RSRC2:TGID_Y_EN: 0
; COMPUTE_PGM_RSRC2:TGID_Z_EN: 0
; COMPUTE_PGM_RSRC2:TIDIG_COMP_CNT: 0
	.section	.text._ZN9rocsolver6v33100L18getri_kernel_smallILi43E19rocblas_complex_numIfEPKPS3_EEvT1_iilPiilS8_bb,"axG",@progbits,_ZN9rocsolver6v33100L18getri_kernel_smallILi43E19rocblas_complex_numIfEPKPS3_EEvT1_iilPiilS8_bb,comdat
	.globl	_ZN9rocsolver6v33100L18getri_kernel_smallILi43E19rocblas_complex_numIfEPKPS3_EEvT1_iilPiilS8_bb ; -- Begin function _ZN9rocsolver6v33100L18getri_kernel_smallILi43E19rocblas_complex_numIfEPKPS3_EEvT1_iilPiilS8_bb
	.p2align	8
	.type	_ZN9rocsolver6v33100L18getri_kernel_smallILi43E19rocblas_complex_numIfEPKPS3_EEvT1_iilPiilS8_bb,@function
_ZN9rocsolver6v33100L18getri_kernel_smallILi43E19rocblas_complex_numIfEPKPS3_EEvT1_iilPiilS8_bb: ; @_ZN9rocsolver6v33100L18getri_kernel_smallILi43E19rocblas_complex_numIfEPKPS3_EEvT1_iilPiilS8_bb
; %bb.0:
	s_add_u32 s0, s0, s7
	s_addc_u32 s1, s1, 0
	s_mov_b32 s7, exec_lo
	v_cmpx_gt_u32_e32 43, v0
	s_cbranch_execz .LBB106_186
; %bb.1:
	s_clause 0x2
	s_load_dword s17, s[4:5], 0x38
	s_load_dwordx2 s[12:13], s[4:5], 0x0
	s_load_dwordx4 s[8:11], s[4:5], 0x28
	s_waitcnt lgkmcnt(0)
	s_bitcmp1_b32 s17, 8
	s_cselect_b32 s16, -1, 0
	s_ashr_i32 s7, s6, 31
	s_lshl_b64 s[14:15], s[6:7], 3
	s_add_u32 s12, s12, s14
	s_addc_u32 s13, s13, s15
	s_load_dwordx2 s[14:15], s[12:13], 0x0
	s_bfe_u32 s12, s17, 0x10008
	s_cmp_eq_u32 s12, 0
                                        ; implicit-def: $sgpr12_sgpr13
	s_cbranch_scc1 .LBB106_3
; %bb.2:
	s_clause 0x1
	s_load_dword s12, s[4:5], 0x20
	s_load_dwordx2 s[18:19], s[4:5], 0x18
	s_mul_i32 s13, s8, s7
	s_mul_hi_u32 s17, s8, s6
	s_mul_i32 s9, s9, s6
	s_add_i32 s13, s17, s13
	s_mul_i32 s8, s8, s6
	s_add_i32 s9, s13, s9
	s_lshl_b64 s[8:9], s[8:9], 2
	s_waitcnt lgkmcnt(0)
	s_ashr_i32 s13, s12, 31
	s_add_u32 s17, s18, s8
	s_addc_u32 s18, s19, s9
	s_lshl_b64 s[8:9], s[12:13], 2
	s_add_u32 s12, s17, s8
	s_addc_u32 s13, s18, s9
.LBB106_3:
	s_clause 0x1
	s_load_dwordx2 s[8:9], s[4:5], 0x8
	s_load_dword s17, s[4:5], 0x38
	v_lshlrev_b32_e32 v3, 3, v0
	s_waitcnt lgkmcnt(0)
	s_ashr_i32 s5, s8, 31
	s_mov_b32 s4, s8
	v_add3_u32 v4, s9, s9, v0
	s_lshl_b64 s[4:5], s[4:5], 3
	s_add_u32 s4, s14, s4
	s_addc_u32 s5, s15, s5
	v_add_co_u32 v9, s8, s4, v3
	v_add_co_ci_u32_e64 v10, null, s5, 0, s8
	s_mov_b32 s14, s9
	s_ashr_i32 s15, s9, 31
	v_ashrrev_i32_e32 v5, 31, v4
	flat_load_dwordx2 v[1:2], v[9:10]
	s_lshl_b64 s[14:15], s[14:15], 3
	s_bitcmp0_b32 s17, 0
	v_add_co_u32 v11, vcc_lo, v9, s14
	v_add_co_ci_u32_e64 v12, null, s15, v10, vcc_lo
	v_lshlrev_b64 v[5:6], 3, v[4:5]
	v_add_nc_u32_e32 v4, s9, v4
	s_waitcnt vmcnt(0) lgkmcnt(0)
	buffer_store_dword v2, off, s[0:3], 0 offset:4
	buffer_store_dword v1, off, s[0:3], 0
	flat_load_dwordx2 v[1:2], v[11:12]
	v_add_co_u32 v13, vcc_lo, s4, v5
	v_add_co_ci_u32_e64 v14, null, s5, v6, vcc_lo
	v_ashrrev_i32_e32 v5, 31, v4
	s_waitcnt vmcnt(0) lgkmcnt(0)
	buffer_store_dword v2, off, s[0:3], 0 offset:12
	buffer_store_dword v1, off, s[0:3], 0 offset:8
	flat_load_dwordx2 v[1:2], v[13:14]
	v_lshlrev_b64 v[5:6], 3, v[4:5]
	v_add_nc_u32_e32 v4, s9, v4
	s_waitcnt vmcnt(0) lgkmcnt(0)
	buffer_store_dword v2, off, s[0:3], 0 offset:20
	buffer_store_dword v1, off, s[0:3], 0 offset:16
	v_add_co_u32 v15, vcc_lo, s4, v5
	v_add_co_ci_u32_e64 v16, null, s5, v6, vcc_lo
	v_ashrrev_i32_e32 v5, 31, v4
	flat_load_dwordx2 v[1:2], v[15:16]
	s_waitcnt vmcnt(0) lgkmcnt(0)
	buffer_store_dword v2, off, s[0:3], 0 offset:28
	buffer_store_dword v1, off, s[0:3], 0 offset:24
	v_lshlrev_b64 v[5:6], 3, v[4:5]
	v_add_nc_u32_e32 v4, s9, v4
	v_add_co_u32 v17, vcc_lo, s4, v5
	v_add_co_ci_u32_e64 v18, null, s5, v6, vcc_lo
	v_ashrrev_i32_e32 v5, 31, v4
	flat_load_dwordx2 v[1:2], v[17:18]
	s_waitcnt vmcnt(0) lgkmcnt(0)
	buffer_store_dword v2, off, s[0:3], 0 offset:36
	buffer_store_dword v1, off, s[0:3], 0 offset:32
	v_lshlrev_b64 v[5:6], 3, v[4:5]
	v_add_nc_u32_e32 v4, s9, v4
	;; [unrolled: 9-line block ×38, first 2 shown]
	v_add_co_u32 v91, vcc_lo, s4, v5
	v_add_co_ci_u32_e64 v92, null, s5, v6, vcc_lo
	v_ashrrev_i32_e32 v5, 31, v4
	flat_load_dwordx2 v[1:2], v[91:92]
	s_waitcnt vmcnt(0) lgkmcnt(0)
	buffer_store_dword v2, off, s[0:3], 0 offset:332
	buffer_store_dword v1, off, s[0:3], 0 offset:328
	v_lshlrev_b64 v[4:5], 3, v[4:5]
	v_add_co_u32 v93, vcc_lo, s4, v4
	v_add_co_ci_u32_e64 v94, null, s5, v5, vcc_lo
	s_mov_b32 s5, -1
	flat_load_dwordx2 v[1:2], v[93:94]
	s_waitcnt vmcnt(0) lgkmcnt(0)
	buffer_store_dword v2, off, s[0:3], 0 offset:340
	buffer_store_dword v1, off, s[0:3], 0 offset:336
	s_cbranch_scc1 .LBB106_184
; %bb.4:
	v_cmp_eq_u32_e64 s4, 0, v0
	s_and_saveexec_b32 s5, s4
; %bb.5:
	v_mov_b32_e32 v1, 0
	ds_write_b32 v1, v1 offset:344
; %bb.6:
	s_or_b32 exec_lo, exec_lo, s5
	v_lshl_add_u32 v5, v0, 3, 0
	s_waitcnt lgkmcnt(0)
	s_waitcnt_vscnt null, 0x0
	s_barrier
	buffer_gl0_inv
	s_clause 0x1
	buffer_load_dword v1, v5, s[0:3], 0 offen
	buffer_load_dword v2, v5, s[0:3], 0 offen offset:4
	s_waitcnt vmcnt(1)
	v_cmp_eq_f32_e32 vcc_lo, 0, v1
	s_waitcnt vmcnt(0)
	v_cmp_eq_f32_e64 s5, 0, v2
	s_and_b32 s5, vcc_lo, s5
	s_and_saveexec_b32 s8, s5
	s_cbranch_execz .LBB106_10
; %bb.7:
	v_mov_b32_e32 v1, 0
	s_mov_b32 s9, 0
	ds_read_b32 v2, v1 offset:344
	s_waitcnt lgkmcnt(0)
	v_readfirstlane_b32 s5, v2
	v_add_nc_u32_e32 v2, 1, v0
	s_cmp_eq_u32 s5, 0
	v_cmp_gt_i32_e32 vcc_lo, s5, v2
	s_cselect_b32 s14, -1, 0
	s_or_b32 s14, s14, vcc_lo
	s_and_b32 exec_lo, exec_lo, s14
	s_cbranch_execz .LBB106_10
; %bb.8:
	v_mov_b32_e32 v4, s5
.LBB106_9:                              ; =>This Inner Loop Header: Depth=1
	ds_cmpst_rtn_b32 v4, v1, v4, v2 offset:344
	s_waitcnt lgkmcnt(0)
	v_cmp_ne_u32_e32 vcc_lo, 0, v4
	v_cmp_le_i32_e64 s5, v4, v2
	s_and_b32 s5, vcc_lo, s5
	s_and_b32 s5, exec_lo, s5
	s_or_b32 s9, s5, s9
	s_andn2_b32 exec_lo, exec_lo, s9
	s_cbranch_execnz .LBB106_9
.LBB106_10:
	s_or_b32 exec_lo, exec_lo, s8
	v_mov_b32_e32 v1, 0
	s_barrier
	buffer_gl0_inv
	ds_read_b32 v2, v1 offset:344
	s_and_saveexec_b32 s5, s4
	s_cbranch_execz .LBB106_12
; %bb.11:
	s_lshl_b64 s[8:9], s[6:7], 2
	s_add_u32 s8, s10, s8
	s_addc_u32 s9, s11, s9
	s_waitcnt lgkmcnt(0)
	global_store_dword v1, v2, s[8:9]
.LBB106_12:
	s_or_b32 exec_lo, exec_lo, s5
	s_waitcnt lgkmcnt(0)
	v_cmp_ne_u32_e32 vcc_lo, 0, v2
	s_mov_b32 s5, 0
	s_cbranch_vccnz .LBB106_184
; %bb.13:
	s_clause 0x1
	buffer_load_dword v2, v5, s[0:3], 0 offen
	buffer_load_dword v4, v5, s[0:3], 0 offen offset:4
                                        ; implicit-def: $vgpr7
                                        ; implicit-def: $vgpr6
                                        ; implicit-def: $vgpr1
	s_waitcnt vmcnt(0)
	v_cmp_ngt_f32_e64 s5, |v2|, |v4|
	s_and_saveexec_b32 s8, s5
	s_xor_b32 s5, exec_lo, s8
	s_cbranch_execz .LBB106_15
; %bb.14:
	v_div_scale_f32 v1, null, v4, v4, v2
	v_div_scale_f32 v8, vcc_lo, v2, v4, v2
	v_rcp_f32_e32 v6, v1
	v_fma_f32 v7, -v1, v6, 1.0
	v_fmac_f32_e32 v6, v7, v6
	v_mul_f32_e32 v7, v8, v6
	v_fma_f32 v95, -v1, v7, v8
	v_fmac_f32_e32 v7, v95, v6
	v_fma_f32 v1, -v1, v7, v8
	v_div_fmas_f32 v1, v1, v6, v7
	v_div_fixup_f32 v1, v1, v4, v2
	v_fmac_f32_e32 v4, v2, v1
	v_div_scale_f32 v2, null, v4, v4, 1.0
	v_rcp_f32_e32 v6, v2
	v_fma_f32 v7, -v2, v6, 1.0
	v_fmac_f32_e32 v6, v7, v6
	v_div_scale_f32 v7, vcc_lo, 1.0, v4, 1.0
	v_mul_f32_e32 v8, v7, v6
	v_fma_f32 v95, -v2, v8, v7
	v_fmac_f32_e32 v8, v95, v6
	v_fma_f32 v2, -v2, v8, v7
	v_div_fmas_f32 v2, v2, v6, v8
	v_div_fixup_f32 v2, v2, v4, 1.0
                                        ; implicit-def: $vgpr4
	v_mul_f32_e32 v7, v1, v2
	v_xor_b32_e32 v6, 0x80000000, v2
                                        ; implicit-def: $vgpr2
	v_xor_b32_e32 v1, 0x80000000, v7
.LBB106_15:
	s_andn2_saveexec_b32 s5, s5
	s_cbranch_execz .LBB106_17
; %bb.16:
	v_div_scale_f32 v1, null, v2, v2, v4
	v_div_scale_f32 v8, vcc_lo, v4, v2, v4
	v_rcp_f32_e32 v6, v1
	v_fma_f32 v7, -v1, v6, 1.0
	v_fmac_f32_e32 v6, v7, v6
	v_mul_f32_e32 v7, v8, v6
	v_fma_f32 v95, -v1, v7, v8
	v_fmac_f32_e32 v7, v95, v6
	v_fma_f32 v1, -v1, v7, v8
	v_div_fmas_f32 v1, v1, v6, v7
	v_div_fixup_f32 v6, v1, v2, v4
	v_fmac_f32_e32 v2, v4, v6
	v_div_scale_f32 v1, null, v2, v2, 1.0
	v_div_scale_f32 v8, vcc_lo, 1.0, v2, 1.0
	v_rcp_f32_e32 v4, v1
	v_fma_f32 v7, -v1, v4, 1.0
	v_fmac_f32_e32 v4, v7, v4
	v_mul_f32_e32 v7, v8, v4
	v_fma_f32 v95, -v1, v7, v8
	v_fmac_f32_e32 v7, v95, v4
	v_fma_f32 v1, -v1, v7, v8
	v_div_fmas_f32 v1, v1, v4, v7
	v_div_fixup_f32 v7, v1, v2, 1.0
	v_xor_b32_e32 v1, 0x80000000, v7
	v_mul_f32_e64 v6, v6, -v7
.LBB106_17:
	s_or_b32 exec_lo, exec_lo, s5
	buffer_store_dword v7, v5, s[0:3], 0 offen
	buffer_store_dword v6, v5, s[0:3], 0 offen offset:4
	s_clause 0x1
	buffer_load_dword v8, off, s[0:3], 0 offset:12
	buffer_load_dword v7, off, s[0:3], 0 offset:8
	v_xor_b32_e32 v2, 0x80000000, v6
	v_add_nc_u32_e32 v4, 0x160, v3
	s_waitcnt vmcnt(0)
	ds_write2_b64 v3, v[1:2], v[7:8] offset1:44
	s_waitcnt lgkmcnt(0)
	s_waitcnt_vscnt null, 0x0
	s_barrier
	buffer_gl0_inv
	s_and_saveexec_b32 s5, s4
	s_cbranch_execz .LBB106_19
; %bb.18:
	s_clause 0x1
	buffer_load_dword v8, v5, s[0:3], 0 offen offset:4
	buffer_load_dword v95, v5, s[0:3], 0 offen
	ds_read_b64 v[1:2], v4
	v_mov_b32_e32 v6, 0
	ds_read_b64 v[6:7], v6 offset:8
	s_waitcnt vmcnt(1) lgkmcnt(1)
	v_mul_f32_e32 v96, v1, v8
	v_mul_f32_e32 v8, v2, v8
	s_waitcnt vmcnt(0)
	v_fmac_f32_e32 v96, v2, v95
	v_fma_f32 v1, v1, v95, -v8
	v_add_f32_e32 v2, 0, v96
	v_add_f32_e32 v1, 0, v1
	s_waitcnt lgkmcnt(0)
	v_mul_f32_e32 v8, v2, v7
	v_mul_f32_e32 v7, v1, v7
	v_fma_f32 v1, v1, v6, -v8
	v_fmac_f32_e32 v7, v2, v6
	buffer_store_dword v1, off, s[0:3], 0 offset:8
	buffer_store_dword v7, off, s[0:3], 0 offset:12
.LBB106_19:
	s_or_b32 exec_lo, exec_lo, s5
	s_waitcnt_vscnt null, 0x0
	s_barrier
	buffer_gl0_inv
	s_clause 0x1
	buffer_load_dword v1, off, s[0:3], 0 offset:16
	buffer_load_dword v2, off, s[0:3], 0 offset:20
	s_mov_b32 s5, exec_lo
	s_waitcnt vmcnt(0)
	ds_write_b64 v4, v[1:2]
	s_waitcnt lgkmcnt(0)
	s_barrier
	buffer_gl0_inv
	v_cmpx_gt_u32_e32 2, v0
	s_cbranch_execz .LBB106_23
; %bb.20:
	s_clause 0x1
	buffer_load_dword v6, v5, s[0:3], 0 offen offset:4
	buffer_load_dword v5, v5, s[0:3], 0 offen
	ds_read_b64 v[1:2], v4
	s_waitcnt vmcnt(1) lgkmcnt(0)
	v_mul_f32_e32 v7, v2, v6
	v_mul_f32_e32 v6, v1, v6
	s_waitcnt vmcnt(0)
	v_fma_f32 v1, v1, v5, -v7
	v_fmac_f32_e32 v6, v2, v5
	v_add_f32_e32 v2, 0, v1
	v_add_f32_e32 v1, 0, v6
	s_and_saveexec_b32 s8, s4
	s_cbranch_execz .LBB106_22
; %bb.21:
	s_clause 0x1
	buffer_load_dword v7, off, s[0:3], 0 offset:12
	buffer_load_dword v8, off, s[0:3], 0 offset:8
	v_mov_b32_e32 v5, 0
	ds_read_b64 v[5:6], v5 offset:360
	s_waitcnt vmcnt(1) lgkmcnt(0)
	v_mul_f32_e32 v95, v5, v7
	v_mul_f32_e32 v7, v6, v7
	s_waitcnt vmcnt(0)
	v_fmac_f32_e32 v95, v6, v8
	v_fma_f32 v5, v5, v8, -v7
	v_add_f32_e32 v1, v1, v95
	v_add_f32_e32 v2, v2, v5
.LBB106_22:
	s_or_b32 exec_lo, exec_lo, s8
	v_mov_b32_e32 v5, 0
	ds_read_b64 v[5:6], v5 offset:16
	s_waitcnt lgkmcnt(0)
	v_mul_f32_e32 v7, v1, v6
	v_mul_f32_e32 v6, v2, v6
	v_fma_f32 v2, v2, v5, -v7
	v_fmac_f32_e32 v6, v1, v5
	buffer_store_dword v2, off, s[0:3], 0 offset:16
	buffer_store_dword v6, off, s[0:3], 0 offset:20
.LBB106_23:
	s_or_b32 exec_lo, exec_lo, s5
	s_waitcnt_vscnt null, 0x0
	s_barrier
	buffer_gl0_inv
	s_clause 0x1
	buffer_load_dword v5, off, s[0:3], 0 offset:24
	buffer_load_dword v6, off, s[0:3], 0 offset:28
	v_add_nc_u32_e32 v1, -1, v0
	s_mov_b32 s4, exec_lo
	s_waitcnt vmcnt(0)
	ds_write_b64 v4, v[5:6]
	s_waitcnt lgkmcnt(0)
	s_barrier
	buffer_gl0_inv
	v_cmpx_gt_u32_e32 3, v0
	s_cbranch_execz .LBB106_27
; %bb.24:
	v_add_nc_u32_e32 v5, -1, v0
	v_add_nc_u32_e32 v6, 0x160, v3
	v_mov_b32_e32 v7, v3
	v_mov_b32_e32 v2, 0
	;; [unrolled: 1-line block ×3, first 2 shown]
	s_mov_b32 s5, 0
	.p2align	6
.LBB106_25:                             ; =>This Inner Loop Header: Depth=1
	s_clause 0x1
	buffer_load_dword v97, v7, s[0:3], 0 offen offset:4
	buffer_load_dword v98, v7, s[0:3], 0 offen
	ds_read_b64 v[95:96], v6
	v_add_nc_u32_e32 v5, 1, v5
	v_add_nc_u32_e32 v6, 8, v6
	;; [unrolled: 1-line block ×3, first 2 shown]
	v_cmp_lt_u32_e32 vcc_lo, 1, v5
	s_or_b32 s5, vcc_lo, s5
	s_waitcnt vmcnt(1) lgkmcnt(0)
	v_mul_f32_e32 v99, v96, v97
	v_mul_f32_e32 v97, v95, v97
	s_waitcnt vmcnt(0)
	v_fma_f32 v95, v95, v98, -v99
	v_fmac_f32_e32 v97, v96, v98
	v_add_f32_e32 v8, v8, v95
	v_add_f32_e32 v2, v2, v97
	s_andn2_b32 exec_lo, exec_lo, s5
	s_cbranch_execnz .LBB106_25
; %bb.26:
	s_or_b32 exec_lo, exec_lo, s5
	v_mov_b32_e32 v5, 0
	ds_read_b64 v[5:6], v5 offset:24
	s_waitcnt lgkmcnt(0)
	v_mul_f32_e32 v7, v2, v6
	v_mul_f32_e32 v6, v8, v6
	v_fma_f32 v7, v8, v5, -v7
	v_fmac_f32_e32 v6, v2, v5
	buffer_store_dword v7, off, s[0:3], 0 offset:24
	buffer_store_dword v6, off, s[0:3], 0 offset:28
.LBB106_27:
	s_or_b32 exec_lo, exec_lo, s4
	s_waitcnt_vscnt null, 0x0
	s_barrier
	buffer_gl0_inv
	s_clause 0x1
	buffer_load_dword v5, off, s[0:3], 0 offset:32
	buffer_load_dword v6, off, s[0:3], 0 offset:36
	s_mov_b32 s4, exec_lo
	s_waitcnt vmcnt(0)
	ds_write_b64 v4, v[5:6]
	s_waitcnt lgkmcnt(0)
	s_barrier
	buffer_gl0_inv
	v_cmpx_gt_u32_e32 4, v0
	s_cbranch_execz .LBB106_31
; %bb.28:
	v_add_nc_u32_e32 v5, -1, v0
	v_add_nc_u32_e32 v6, 0x160, v3
	v_mov_b32_e32 v7, v3
	v_mov_b32_e32 v2, 0
	;; [unrolled: 1-line block ×3, first 2 shown]
	s_mov_b32 s5, 0
	.p2align	6
.LBB106_29:                             ; =>This Inner Loop Header: Depth=1
	s_clause 0x1
	buffer_load_dword v97, v7, s[0:3], 0 offen offset:4
	buffer_load_dword v98, v7, s[0:3], 0 offen
	ds_read_b64 v[95:96], v6
	v_add_nc_u32_e32 v5, 1, v5
	v_add_nc_u32_e32 v6, 8, v6
	;; [unrolled: 1-line block ×3, first 2 shown]
	v_cmp_lt_u32_e32 vcc_lo, 2, v5
	s_or_b32 s5, vcc_lo, s5
	s_waitcnt vmcnt(1) lgkmcnt(0)
	v_mul_f32_e32 v99, v96, v97
	v_mul_f32_e32 v97, v95, v97
	s_waitcnt vmcnt(0)
	v_fma_f32 v95, v95, v98, -v99
	v_fmac_f32_e32 v97, v96, v98
	v_add_f32_e32 v8, v8, v95
	v_add_f32_e32 v2, v2, v97
	s_andn2_b32 exec_lo, exec_lo, s5
	s_cbranch_execnz .LBB106_29
; %bb.30:
	s_or_b32 exec_lo, exec_lo, s5
	v_mov_b32_e32 v5, 0
	ds_read_b64 v[5:6], v5 offset:32
	s_waitcnt lgkmcnt(0)
	v_mul_f32_e32 v7, v2, v6
	v_mul_f32_e32 v6, v8, v6
	v_fma_f32 v7, v8, v5, -v7
	v_fmac_f32_e32 v6, v2, v5
	buffer_store_dword v7, off, s[0:3], 0 offset:32
	buffer_store_dword v6, off, s[0:3], 0 offset:36
.LBB106_31:
	s_or_b32 exec_lo, exec_lo, s4
	s_waitcnt_vscnt null, 0x0
	s_barrier
	buffer_gl0_inv
	s_clause 0x1
	buffer_load_dword v5, off, s[0:3], 0 offset:40
	buffer_load_dword v6, off, s[0:3], 0 offset:44
	s_mov_b32 s4, exec_lo
	s_waitcnt vmcnt(0)
	ds_write_b64 v4, v[5:6]
	s_waitcnt lgkmcnt(0)
	s_barrier
	buffer_gl0_inv
	v_cmpx_gt_u32_e32 5, v0
	s_cbranch_execz .LBB106_35
; %bb.32:
	v_add_nc_u32_e32 v5, -1, v0
	v_add_nc_u32_e32 v6, 0x160, v3
	v_mov_b32_e32 v7, v3
	v_mov_b32_e32 v2, 0
	;; [unrolled: 1-line block ×3, first 2 shown]
	s_mov_b32 s5, 0
	.p2align	6
.LBB106_33:                             ; =>This Inner Loop Header: Depth=1
	s_clause 0x1
	buffer_load_dword v97, v7, s[0:3], 0 offen offset:4
	buffer_load_dword v98, v7, s[0:3], 0 offen
	ds_read_b64 v[95:96], v6
	v_add_nc_u32_e32 v5, 1, v5
	v_add_nc_u32_e32 v6, 8, v6
	;; [unrolled: 1-line block ×3, first 2 shown]
	v_cmp_lt_u32_e32 vcc_lo, 3, v5
	s_or_b32 s5, vcc_lo, s5
	s_waitcnt vmcnt(1) lgkmcnt(0)
	v_mul_f32_e32 v99, v96, v97
	v_mul_f32_e32 v97, v95, v97
	s_waitcnt vmcnt(0)
	v_fma_f32 v95, v95, v98, -v99
	v_fmac_f32_e32 v97, v96, v98
	v_add_f32_e32 v8, v8, v95
	v_add_f32_e32 v2, v2, v97
	s_andn2_b32 exec_lo, exec_lo, s5
	s_cbranch_execnz .LBB106_33
; %bb.34:
	s_or_b32 exec_lo, exec_lo, s5
	v_mov_b32_e32 v5, 0
	ds_read_b64 v[5:6], v5 offset:40
	s_waitcnt lgkmcnt(0)
	v_mul_f32_e32 v7, v2, v6
	v_mul_f32_e32 v6, v8, v6
	v_fma_f32 v7, v8, v5, -v7
	v_fmac_f32_e32 v6, v2, v5
	buffer_store_dword v7, off, s[0:3], 0 offset:40
	buffer_store_dword v6, off, s[0:3], 0 offset:44
.LBB106_35:
	s_or_b32 exec_lo, exec_lo, s4
	s_waitcnt_vscnt null, 0x0
	s_barrier
	buffer_gl0_inv
	s_clause 0x1
	buffer_load_dword v5, off, s[0:3], 0 offset:48
	buffer_load_dword v6, off, s[0:3], 0 offset:52
	s_mov_b32 s4, exec_lo
	s_waitcnt vmcnt(0)
	ds_write_b64 v4, v[5:6]
	s_waitcnt lgkmcnt(0)
	s_barrier
	buffer_gl0_inv
	v_cmpx_gt_u32_e32 6, v0
	s_cbranch_execz .LBB106_39
; %bb.36:
	v_add_nc_u32_e32 v5, -1, v0
	v_add_nc_u32_e32 v6, 0x160, v3
	v_mov_b32_e32 v7, v3
	v_mov_b32_e32 v2, 0
	;; [unrolled: 1-line block ×3, first 2 shown]
	s_mov_b32 s5, 0
	.p2align	6
.LBB106_37:                             ; =>This Inner Loop Header: Depth=1
	s_clause 0x1
	buffer_load_dword v97, v7, s[0:3], 0 offen offset:4
	buffer_load_dword v98, v7, s[0:3], 0 offen
	ds_read_b64 v[95:96], v6
	v_add_nc_u32_e32 v5, 1, v5
	v_add_nc_u32_e32 v6, 8, v6
	;; [unrolled: 1-line block ×3, first 2 shown]
	v_cmp_lt_u32_e32 vcc_lo, 4, v5
	s_or_b32 s5, vcc_lo, s5
	s_waitcnt vmcnt(1) lgkmcnt(0)
	v_mul_f32_e32 v99, v96, v97
	v_mul_f32_e32 v97, v95, v97
	s_waitcnt vmcnt(0)
	v_fma_f32 v95, v95, v98, -v99
	v_fmac_f32_e32 v97, v96, v98
	v_add_f32_e32 v8, v8, v95
	v_add_f32_e32 v2, v2, v97
	s_andn2_b32 exec_lo, exec_lo, s5
	s_cbranch_execnz .LBB106_37
; %bb.38:
	s_or_b32 exec_lo, exec_lo, s5
	v_mov_b32_e32 v5, 0
	ds_read_b64 v[5:6], v5 offset:48
	s_waitcnt lgkmcnt(0)
	v_mul_f32_e32 v7, v2, v6
	v_mul_f32_e32 v6, v8, v6
	v_fma_f32 v7, v8, v5, -v7
	v_fmac_f32_e32 v6, v2, v5
	buffer_store_dword v7, off, s[0:3], 0 offset:48
	buffer_store_dword v6, off, s[0:3], 0 offset:52
.LBB106_39:
	s_or_b32 exec_lo, exec_lo, s4
	s_waitcnt_vscnt null, 0x0
	s_barrier
	buffer_gl0_inv
	s_clause 0x1
	buffer_load_dword v5, off, s[0:3], 0 offset:56
	buffer_load_dword v6, off, s[0:3], 0 offset:60
	s_mov_b32 s4, exec_lo
	s_waitcnt vmcnt(0)
	ds_write_b64 v4, v[5:6]
	s_waitcnt lgkmcnt(0)
	s_barrier
	buffer_gl0_inv
	v_cmpx_gt_u32_e32 7, v0
	s_cbranch_execz .LBB106_43
; %bb.40:
	v_add_nc_u32_e32 v5, -1, v0
	v_add_nc_u32_e32 v6, 0x160, v3
	v_mov_b32_e32 v7, v3
	v_mov_b32_e32 v2, 0
	;; [unrolled: 1-line block ×3, first 2 shown]
	s_mov_b32 s5, 0
	.p2align	6
.LBB106_41:                             ; =>This Inner Loop Header: Depth=1
	s_clause 0x1
	buffer_load_dword v97, v7, s[0:3], 0 offen offset:4
	buffer_load_dword v98, v7, s[0:3], 0 offen
	ds_read_b64 v[95:96], v6
	v_add_nc_u32_e32 v5, 1, v5
	v_add_nc_u32_e32 v6, 8, v6
	;; [unrolled: 1-line block ×3, first 2 shown]
	v_cmp_lt_u32_e32 vcc_lo, 5, v5
	s_or_b32 s5, vcc_lo, s5
	s_waitcnt vmcnt(1) lgkmcnt(0)
	v_mul_f32_e32 v99, v96, v97
	v_mul_f32_e32 v97, v95, v97
	s_waitcnt vmcnt(0)
	v_fma_f32 v95, v95, v98, -v99
	v_fmac_f32_e32 v97, v96, v98
	v_add_f32_e32 v8, v8, v95
	v_add_f32_e32 v2, v2, v97
	s_andn2_b32 exec_lo, exec_lo, s5
	s_cbranch_execnz .LBB106_41
; %bb.42:
	s_or_b32 exec_lo, exec_lo, s5
	v_mov_b32_e32 v5, 0
	ds_read_b64 v[5:6], v5 offset:56
	s_waitcnt lgkmcnt(0)
	v_mul_f32_e32 v7, v2, v6
	v_mul_f32_e32 v6, v8, v6
	v_fma_f32 v7, v8, v5, -v7
	v_fmac_f32_e32 v6, v2, v5
	buffer_store_dword v7, off, s[0:3], 0 offset:56
	buffer_store_dword v6, off, s[0:3], 0 offset:60
.LBB106_43:
	s_or_b32 exec_lo, exec_lo, s4
	s_waitcnt_vscnt null, 0x0
	s_barrier
	buffer_gl0_inv
	s_clause 0x1
	buffer_load_dword v5, off, s[0:3], 0 offset:64
	buffer_load_dword v6, off, s[0:3], 0 offset:68
	s_mov_b32 s4, exec_lo
	s_waitcnt vmcnt(0)
	ds_write_b64 v4, v[5:6]
	s_waitcnt lgkmcnt(0)
	s_barrier
	buffer_gl0_inv
	v_cmpx_gt_u32_e32 8, v0
	s_cbranch_execz .LBB106_47
; %bb.44:
	v_add_nc_u32_e32 v5, -1, v0
	v_add_nc_u32_e32 v6, 0x160, v3
	v_mov_b32_e32 v7, v3
	v_mov_b32_e32 v2, 0
	;; [unrolled: 1-line block ×3, first 2 shown]
	s_mov_b32 s5, 0
	.p2align	6
.LBB106_45:                             ; =>This Inner Loop Header: Depth=1
	s_clause 0x1
	buffer_load_dword v97, v7, s[0:3], 0 offen offset:4
	buffer_load_dword v98, v7, s[0:3], 0 offen
	ds_read_b64 v[95:96], v6
	v_add_nc_u32_e32 v5, 1, v5
	v_add_nc_u32_e32 v6, 8, v6
	;; [unrolled: 1-line block ×3, first 2 shown]
	v_cmp_lt_u32_e32 vcc_lo, 6, v5
	s_or_b32 s5, vcc_lo, s5
	s_waitcnt vmcnt(1) lgkmcnt(0)
	v_mul_f32_e32 v99, v96, v97
	v_mul_f32_e32 v97, v95, v97
	s_waitcnt vmcnt(0)
	v_fma_f32 v95, v95, v98, -v99
	v_fmac_f32_e32 v97, v96, v98
	v_add_f32_e32 v8, v8, v95
	v_add_f32_e32 v2, v2, v97
	s_andn2_b32 exec_lo, exec_lo, s5
	s_cbranch_execnz .LBB106_45
; %bb.46:
	s_or_b32 exec_lo, exec_lo, s5
	v_mov_b32_e32 v5, 0
	ds_read_b64 v[5:6], v5 offset:64
	s_waitcnt lgkmcnt(0)
	v_mul_f32_e32 v7, v2, v6
	v_mul_f32_e32 v6, v8, v6
	v_fma_f32 v7, v8, v5, -v7
	v_fmac_f32_e32 v6, v2, v5
	buffer_store_dword v7, off, s[0:3], 0 offset:64
	buffer_store_dword v6, off, s[0:3], 0 offset:68
.LBB106_47:
	s_or_b32 exec_lo, exec_lo, s4
	s_waitcnt_vscnt null, 0x0
	s_barrier
	buffer_gl0_inv
	s_clause 0x1
	buffer_load_dword v5, off, s[0:3], 0 offset:72
	buffer_load_dword v6, off, s[0:3], 0 offset:76
	s_mov_b32 s4, exec_lo
	s_waitcnt vmcnt(0)
	ds_write_b64 v4, v[5:6]
	s_waitcnt lgkmcnt(0)
	s_barrier
	buffer_gl0_inv
	v_cmpx_gt_u32_e32 9, v0
	s_cbranch_execz .LBB106_51
; %bb.48:
	v_add_nc_u32_e32 v5, -1, v0
	v_add_nc_u32_e32 v6, 0x160, v3
	v_mov_b32_e32 v7, v3
	v_mov_b32_e32 v2, 0
	;; [unrolled: 1-line block ×3, first 2 shown]
	s_mov_b32 s5, 0
	.p2align	6
.LBB106_49:                             ; =>This Inner Loop Header: Depth=1
	s_clause 0x1
	buffer_load_dword v97, v7, s[0:3], 0 offen offset:4
	buffer_load_dword v98, v7, s[0:3], 0 offen
	ds_read_b64 v[95:96], v6
	v_add_nc_u32_e32 v5, 1, v5
	v_add_nc_u32_e32 v6, 8, v6
	v_add_nc_u32_e32 v7, 8, v7
	v_cmp_lt_u32_e32 vcc_lo, 7, v5
	s_or_b32 s5, vcc_lo, s5
	s_waitcnt vmcnt(1) lgkmcnt(0)
	v_mul_f32_e32 v99, v96, v97
	v_mul_f32_e32 v97, v95, v97
	s_waitcnt vmcnt(0)
	v_fma_f32 v95, v95, v98, -v99
	v_fmac_f32_e32 v97, v96, v98
	v_add_f32_e32 v8, v8, v95
	v_add_f32_e32 v2, v2, v97
	s_andn2_b32 exec_lo, exec_lo, s5
	s_cbranch_execnz .LBB106_49
; %bb.50:
	s_or_b32 exec_lo, exec_lo, s5
	v_mov_b32_e32 v5, 0
	ds_read_b64 v[5:6], v5 offset:72
	s_waitcnt lgkmcnt(0)
	v_mul_f32_e32 v7, v2, v6
	v_mul_f32_e32 v6, v8, v6
	v_fma_f32 v7, v8, v5, -v7
	v_fmac_f32_e32 v6, v2, v5
	buffer_store_dword v7, off, s[0:3], 0 offset:72
	buffer_store_dword v6, off, s[0:3], 0 offset:76
.LBB106_51:
	s_or_b32 exec_lo, exec_lo, s4
	s_waitcnt_vscnt null, 0x0
	s_barrier
	buffer_gl0_inv
	s_clause 0x1
	buffer_load_dword v5, off, s[0:3], 0 offset:80
	buffer_load_dword v6, off, s[0:3], 0 offset:84
	s_mov_b32 s4, exec_lo
	s_waitcnt vmcnt(0)
	ds_write_b64 v4, v[5:6]
	s_waitcnt lgkmcnt(0)
	s_barrier
	buffer_gl0_inv
	v_cmpx_gt_u32_e32 10, v0
	s_cbranch_execz .LBB106_55
; %bb.52:
	v_add_nc_u32_e32 v5, -1, v0
	v_add_nc_u32_e32 v6, 0x160, v3
	v_mov_b32_e32 v7, v3
	v_mov_b32_e32 v2, 0
	;; [unrolled: 1-line block ×3, first 2 shown]
	s_mov_b32 s5, 0
	.p2align	6
.LBB106_53:                             ; =>This Inner Loop Header: Depth=1
	s_clause 0x1
	buffer_load_dword v97, v7, s[0:3], 0 offen offset:4
	buffer_load_dword v98, v7, s[0:3], 0 offen
	ds_read_b64 v[95:96], v6
	v_add_nc_u32_e32 v5, 1, v5
	v_add_nc_u32_e32 v6, 8, v6
	;; [unrolled: 1-line block ×3, first 2 shown]
	v_cmp_lt_u32_e32 vcc_lo, 8, v5
	s_or_b32 s5, vcc_lo, s5
	s_waitcnt vmcnt(1) lgkmcnt(0)
	v_mul_f32_e32 v99, v96, v97
	v_mul_f32_e32 v97, v95, v97
	s_waitcnt vmcnt(0)
	v_fma_f32 v95, v95, v98, -v99
	v_fmac_f32_e32 v97, v96, v98
	v_add_f32_e32 v8, v8, v95
	v_add_f32_e32 v2, v2, v97
	s_andn2_b32 exec_lo, exec_lo, s5
	s_cbranch_execnz .LBB106_53
; %bb.54:
	s_or_b32 exec_lo, exec_lo, s5
	v_mov_b32_e32 v5, 0
	ds_read_b64 v[5:6], v5 offset:80
	s_waitcnt lgkmcnt(0)
	v_mul_f32_e32 v7, v2, v6
	v_mul_f32_e32 v6, v8, v6
	v_fma_f32 v7, v8, v5, -v7
	v_fmac_f32_e32 v6, v2, v5
	buffer_store_dword v7, off, s[0:3], 0 offset:80
	buffer_store_dword v6, off, s[0:3], 0 offset:84
.LBB106_55:
	s_or_b32 exec_lo, exec_lo, s4
	s_waitcnt_vscnt null, 0x0
	s_barrier
	buffer_gl0_inv
	s_clause 0x1
	buffer_load_dword v5, off, s[0:3], 0 offset:88
	buffer_load_dword v6, off, s[0:3], 0 offset:92
	s_mov_b32 s4, exec_lo
	s_waitcnt vmcnt(0)
	ds_write_b64 v4, v[5:6]
	s_waitcnt lgkmcnt(0)
	s_barrier
	buffer_gl0_inv
	v_cmpx_gt_u32_e32 11, v0
	s_cbranch_execz .LBB106_59
; %bb.56:
	v_add_nc_u32_e32 v5, -1, v0
	v_add_nc_u32_e32 v6, 0x160, v3
	v_mov_b32_e32 v7, v3
	v_mov_b32_e32 v2, 0
	;; [unrolled: 1-line block ×3, first 2 shown]
	s_mov_b32 s5, 0
	.p2align	6
.LBB106_57:                             ; =>This Inner Loop Header: Depth=1
	s_clause 0x1
	buffer_load_dword v97, v7, s[0:3], 0 offen offset:4
	buffer_load_dword v98, v7, s[0:3], 0 offen
	ds_read_b64 v[95:96], v6
	v_add_nc_u32_e32 v5, 1, v5
	v_add_nc_u32_e32 v6, 8, v6
	;; [unrolled: 1-line block ×3, first 2 shown]
	v_cmp_lt_u32_e32 vcc_lo, 9, v5
	s_or_b32 s5, vcc_lo, s5
	s_waitcnt vmcnt(1) lgkmcnt(0)
	v_mul_f32_e32 v99, v96, v97
	v_mul_f32_e32 v97, v95, v97
	s_waitcnt vmcnt(0)
	v_fma_f32 v95, v95, v98, -v99
	v_fmac_f32_e32 v97, v96, v98
	v_add_f32_e32 v8, v8, v95
	v_add_f32_e32 v2, v2, v97
	s_andn2_b32 exec_lo, exec_lo, s5
	s_cbranch_execnz .LBB106_57
; %bb.58:
	s_or_b32 exec_lo, exec_lo, s5
	v_mov_b32_e32 v5, 0
	ds_read_b64 v[5:6], v5 offset:88
	s_waitcnt lgkmcnt(0)
	v_mul_f32_e32 v7, v2, v6
	v_mul_f32_e32 v6, v8, v6
	v_fma_f32 v7, v8, v5, -v7
	v_fmac_f32_e32 v6, v2, v5
	buffer_store_dword v7, off, s[0:3], 0 offset:88
	buffer_store_dword v6, off, s[0:3], 0 offset:92
.LBB106_59:
	s_or_b32 exec_lo, exec_lo, s4
	s_waitcnt_vscnt null, 0x0
	s_barrier
	buffer_gl0_inv
	s_clause 0x1
	buffer_load_dword v5, off, s[0:3], 0 offset:96
	buffer_load_dword v6, off, s[0:3], 0 offset:100
	s_mov_b32 s4, exec_lo
	s_waitcnt vmcnt(0)
	ds_write_b64 v4, v[5:6]
	s_waitcnt lgkmcnt(0)
	s_barrier
	buffer_gl0_inv
	v_cmpx_gt_u32_e32 12, v0
	s_cbranch_execz .LBB106_63
; %bb.60:
	v_add_nc_u32_e32 v5, -1, v0
	v_add_nc_u32_e32 v6, 0x160, v3
	v_mov_b32_e32 v7, v3
	v_mov_b32_e32 v2, 0
	;; [unrolled: 1-line block ×3, first 2 shown]
	s_mov_b32 s5, 0
	.p2align	6
.LBB106_61:                             ; =>This Inner Loop Header: Depth=1
	s_clause 0x1
	buffer_load_dword v97, v7, s[0:3], 0 offen offset:4
	buffer_load_dword v98, v7, s[0:3], 0 offen
	ds_read_b64 v[95:96], v6
	v_add_nc_u32_e32 v5, 1, v5
	v_add_nc_u32_e32 v6, 8, v6
	;; [unrolled: 1-line block ×3, first 2 shown]
	v_cmp_lt_u32_e32 vcc_lo, 10, v5
	s_or_b32 s5, vcc_lo, s5
	s_waitcnt vmcnt(1) lgkmcnt(0)
	v_mul_f32_e32 v99, v96, v97
	v_mul_f32_e32 v97, v95, v97
	s_waitcnt vmcnt(0)
	v_fma_f32 v95, v95, v98, -v99
	v_fmac_f32_e32 v97, v96, v98
	v_add_f32_e32 v8, v8, v95
	v_add_f32_e32 v2, v2, v97
	s_andn2_b32 exec_lo, exec_lo, s5
	s_cbranch_execnz .LBB106_61
; %bb.62:
	s_or_b32 exec_lo, exec_lo, s5
	v_mov_b32_e32 v5, 0
	ds_read_b64 v[5:6], v5 offset:96
	s_waitcnt lgkmcnt(0)
	v_mul_f32_e32 v7, v2, v6
	v_mul_f32_e32 v6, v8, v6
	v_fma_f32 v7, v8, v5, -v7
	v_fmac_f32_e32 v6, v2, v5
	buffer_store_dword v7, off, s[0:3], 0 offset:96
	buffer_store_dword v6, off, s[0:3], 0 offset:100
.LBB106_63:
	s_or_b32 exec_lo, exec_lo, s4
	s_waitcnt_vscnt null, 0x0
	s_barrier
	buffer_gl0_inv
	s_clause 0x1
	buffer_load_dword v5, off, s[0:3], 0 offset:104
	buffer_load_dword v6, off, s[0:3], 0 offset:108
	s_mov_b32 s4, exec_lo
	s_waitcnt vmcnt(0)
	ds_write_b64 v4, v[5:6]
	s_waitcnt lgkmcnt(0)
	s_barrier
	buffer_gl0_inv
	v_cmpx_gt_u32_e32 13, v0
	s_cbranch_execz .LBB106_67
; %bb.64:
	v_add_nc_u32_e32 v5, -1, v0
	v_add_nc_u32_e32 v6, 0x160, v3
	v_mov_b32_e32 v7, v3
	v_mov_b32_e32 v2, 0
	;; [unrolled: 1-line block ×3, first 2 shown]
	s_mov_b32 s5, 0
	.p2align	6
.LBB106_65:                             ; =>This Inner Loop Header: Depth=1
	s_clause 0x1
	buffer_load_dword v97, v7, s[0:3], 0 offen offset:4
	buffer_load_dword v98, v7, s[0:3], 0 offen
	ds_read_b64 v[95:96], v6
	v_add_nc_u32_e32 v5, 1, v5
	v_add_nc_u32_e32 v6, 8, v6
	;; [unrolled: 1-line block ×3, first 2 shown]
	v_cmp_lt_u32_e32 vcc_lo, 11, v5
	s_or_b32 s5, vcc_lo, s5
	s_waitcnt vmcnt(1) lgkmcnt(0)
	v_mul_f32_e32 v99, v96, v97
	v_mul_f32_e32 v97, v95, v97
	s_waitcnt vmcnt(0)
	v_fma_f32 v95, v95, v98, -v99
	v_fmac_f32_e32 v97, v96, v98
	v_add_f32_e32 v8, v8, v95
	v_add_f32_e32 v2, v2, v97
	s_andn2_b32 exec_lo, exec_lo, s5
	s_cbranch_execnz .LBB106_65
; %bb.66:
	s_or_b32 exec_lo, exec_lo, s5
	v_mov_b32_e32 v5, 0
	ds_read_b64 v[5:6], v5 offset:104
	s_waitcnt lgkmcnt(0)
	v_mul_f32_e32 v7, v2, v6
	v_mul_f32_e32 v6, v8, v6
	v_fma_f32 v7, v8, v5, -v7
	v_fmac_f32_e32 v6, v2, v5
	buffer_store_dword v7, off, s[0:3], 0 offset:104
	buffer_store_dword v6, off, s[0:3], 0 offset:108
.LBB106_67:
	s_or_b32 exec_lo, exec_lo, s4
	s_waitcnt_vscnt null, 0x0
	s_barrier
	buffer_gl0_inv
	s_clause 0x1
	buffer_load_dword v5, off, s[0:3], 0 offset:112
	buffer_load_dword v6, off, s[0:3], 0 offset:116
	s_mov_b32 s4, exec_lo
	s_waitcnt vmcnt(0)
	ds_write_b64 v4, v[5:6]
	s_waitcnt lgkmcnt(0)
	s_barrier
	buffer_gl0_inv
	v_cmpx_gt_u32_e32 14, v0
	s_cbranch_execz .LBB106_71
; %bb.68:
	v_add_nc_u32_e32 v5, -1, v0
	v_add_nc_u32_e32 v6, 0x160, v3
	v_mov_b32_e32 v7, v3
	v_mov_b32_e32 v2, 0
	;; [unrolled: 1-line block ×3, first 2 shown]
	s_mov_b32 s5, 0
	.p2align	6
.LBB106_69:                             ; =>This Inner Loop Header: Depth=1
	s_clause 0x1
	buffer_load_dword v97, v7, s[0:3], 0 offen offset:4
	buffer_load_dword v98, v7, s[0:3], 0 offen
	ds_read_b64 v[95:96], v6
	v_add_nc_u32_e32 v5, 1, v5
	v_add_nc_u32_e32 v6, 8, v6
	;; [unrolled: 1-line block ×3, first 2 shown]
	v_cmp_lt_u32_e32 vcc_lo, 12, v5
	s_or_b32 s5, vcc_lo, s5
	s_waitcnt vmcnt(1) lgkmcnt(0)
	v_mul_f32_e32 v99, v96, v97
	v_mul_f32_e32 v97, v95, v97
	s_waitcnt vmcnt(0)
	v_fma_f32 v95, v95, v98, -v99
	v_fmac_f32_e32 v97, v96, v98
	v_add_f32_e32 v8, v8, v95
	v_add_f32_e32 v2, v2, v97
	s_andn2_b32 exec_lo, exec_lo, s5
	s_cbranch_execnz .LBB106_69
; %bb.70:
	s_or_b32 exec_lo, exec_lo, s5
	v_mov_b32_e32 v5, 0
	ds_read_b64 v[5:6], v5 offset:112
	s_waitcnt lgkmcnt(0)
	v_mul_f32_e32 v7, v2, v6
	v_mul_f32_e32 v6, v8, v6
	v_fma_f32 v7, v8, v5, -v7
	v_fmac_f32_e32 v6, v2, v5
	buffer_store_dword v7, off, s[0:3], 0 offset:112
	buffer_store_dword v6, off, s[0:3], 0 offset:116
.LBB106_71:
	s_or_b32 exec_lo, exec_lo, s4
	s_waitcnt_vscnt null, 0x0
	s_barrier
	buffer_gl0_inv
	s_clause 0x1
	buffer_load_dword v5, off, s[0:3], 0 offset:120
	buffer_load_dword v6, off, s[0:3], 0 offset:124
	s_mov_b32 s4, exec_lo
	s_waitcnt vmcnt(0)
	ds_write_b64 v4, v[5:6]
	s_waitcnt lgkmcnt(0)
	s_barrier
	buffer_gl0_inv
	v_cmpx_gt_u32_e32 15, v0
	s_cbranch_execz .LBB106_75
; %bb.72:
	v_add_nc_u32_e32 v5, -1, v0
	v_add_nc_u32_e32 v6, 0x160, v3
	v_mov_b32_e32 v7, v3
	v_mov_b32_e32 v2, 0
	v_mov_b32_e32 v8, 0
	s_mov_b32 s5, 0
	.p2align	6
.LBB106_73:                             ; =>This Inner Loop Header: Depth=1
	s_clause 0x1
	buffer_load_dword v97, v7, s[0:3], 0 offen offset:4
	buffer_load_dword v98, v7, s[0:3], 0 offen
	ds_read_b64 v[95:96], v6
	v_add_nc_u32_e32 v5, 1, v5
	v_add_nc_u32_e32 v6, 8, v6
	;; [unrolled: 1-line block ×3, first 2 shown]
	v_cmp_lt_u32_e32 vcc_lo, 13, v5
	s_or_b32 s5, vcc_lo, s5
	s_waitcnt vmcnt(1) lgkmcnt(0)
	v_mul_f32_e32 v99, v96, v97
	v_mul_f32_e32 v97, v95, v97
	s_waitcnt vmcnt(0)
	v_fma_f32 v95, v95, v98, -v99
	v_fmac_f32_e32 v97, v96, v98
	v_add_f32_e32 v8, v8, v95
	v_add_f32_e32 v2, v2, v97
	s_andn2_b32 exec_lo, exec_lo, s5
	s_cbranch_execnz .LBB106_73
; %bb.74:
	s_or_b32 exec_lo, exec_lo, s5
	v_mov_b32_e32 v5, 0
	ds_read_b64 v[5:6], v5 offset:120
	s_waitcnt lgkmcnt(0)
	v_mul_f32_e32 v7, v2, v6
	v_mul_f32_e32 v6, v8, v6
	v_fma_f32 v7, v8, v5, -v7
	v_fmac_f32_e32 v6, v2, v5
	buffer_store_dword v7, off, s[0:3], 0 offset:120
	buffer_store_dword v6, off, s[0:3], 0 offset:124
.LBB106_75:
	s_or_b32 exec_lo, exec_lo, s4
	s_waitcnt_vscnt null, 0x0
	s_barrier
	buffer_gl0_inv
	s_clause 0x1
	buffer_load_dword v5, off, s[0:3], 0 offset:128
	buffer_load_dword v6, off, s[0:3], 0 offset:132
	s_mov_b32 s4, exec_lo
	s_waitcnt vmcnt(0)
	ds_write_b64 v4, v[5:6]
	s_waitcnt lgkmcnt(0)
	s_barrier
	buffer_gl0_inv
	v_cmpx_gt_u32_e32 16, v0
	s_cbranch_execz .LBB106_79
; %bb.76:
	v_add_nc_u32_e32 v5, -1, v0
	v_add_nc_u32_e32 v6, 0x160, v3
	v_mov_b32_e32 v7, v3
	v_mov_b32_e32 v2, 0
	;; [unrolled: 1-line block ×3, first 2 shown]
	s_mov_b32 s5, 0
	.p2align	6
.LBB106_77:                             ; =>This Inner Loop Header: Depth=1
	s_clause 0x1
	buffer_load_dword v97, v7, s[0:3], 0 offen offset:4
	buffer_load_dword v98, v7, s[0:3], 0 offen
	ds_read_b64 v[95:96], v6
	v_add_nc_u32_e32 v5, 1, v5
	v_add_nc_u32_e32 v6, 8, v6
	;; [unrolled: 1-line block ×3, first 2 shown]
	v_cmp_lt_u32_e32 vcc_lo, 14, v5
	s_or_b32 s5, vcc_lo, s5
	s_waitcnt vmcnt(1) lgkmcnt(0)
	v_mul_f32_e32 v99, v96, v97
	v_mul_f32_e32 v97, v95, v97
	s_waitcnt vmcnt(0)
	v_fma_f32 v95, v95, v98, -v99
	v_fmac_f32_e32 v97, v96, v98
	v_add_f32_e32 v8, v8, v95
	v_add_f32_e32 v2, v2, v97
	s_andn2_b32 exec_lo, exec_lo, s5
	s_cbranch_execnz .LBB106_77
; %bb.78:
	s_or_b32 exec_lo, exec_lo, s5
	v_mov_b32_e32 v5, 0
	ds_read_b64 v[5:6], v5 offset:128
	s_waitcnt lgkmcnt(0)
	v_mul_f32_e32 v7, v2, v6
	v_mul_f32_e32 v6, v8, v6
	v_fma_f32 v7, v8, v5, -v7
	v_fmac_f32_e32 v6, v2, v5
	buffer_store_dword v7, off, s[0:3], 0 offset:128
	buffer_store_dword v6, off, s[0:3], 0 offset:132
.LBB106_79:
	s_or_b32 exec_lo, exec_lo, s4
	s_waitcnt_vscnt null, 0x0
	s_barrier
	buffer_gl0_inv
	s_clause 0x1
	buffer_load_dword v5, off, s[0:3], 0 offset:136
	buffer_load_dword v6, off, s[0:3], 0 offset:140
	s_mov_b32 s4, exec_lo
	s_waitcnt vmcnt(0)
	ds_write_b64 v4, v[5:6]
	s_waitcnt lgkmcnt(0)
	s_barrier
	buffer_gl0_inv
	v_cmpx_gt_u32_e32 17, v0
	s_cbranch_execz .LBB106_83
; %bb.80:
	v_add_nc_u32_e32 v5, -1, v0
	v_add_nc_u32_e32 v6, 0x160, v3
	v_mov_b32_e32 v7, v3
	v_mov_b32_e32 v2, 0
	;; [unrolled: 1-line block ×3, first 2 shown]
	s_mov_b32 s5, 0
	.p2align	6
.LBB106_81:                             ; =>This Inner Loop Header: Depth=1
	s_clause 0x1
	buffer_load_dword v97, v7, s[0:3], 0 offen offset:4
	buffer_load_dword v98, v7, s[0:3], 0 offen
	ds_read_b64 v[95:96], v6
	v_add_nc_u32_e32 v5, 1, v5
	v_add_nc_u32_e32 v6, 8, v6
	;; [unrolled: 1-line block ×3, first 2 shown]
	v_cmp_lt_u32_e32 vcc_lo, 15, v5
	s_or_b32 s5, vcc_lo, s5
	s_waitcnt vmcnt(1) lgkmcnt(0)
	v_mul_f32_e32 v99, v96, v97
	v_mul_f32_e32 v97, v95, v97
	s_waitcnt vmcnt(0)
	v_fma_f32 v95, v95, v98, -v99
	v_fmac_f32_e32 v97, v96, v98
	v_add_f32_e32 v8, v8, v95
	v_add_f32_e32 v2, v2, v97
	s_andn2_b32 exec_lo, exec_lo, s5
	s_cbranch_execnz .LBB106_81
; %bb.82:
	s_or_b32 exec_lo, exec_lo, s5
	v_mov_b32_e32 v5, 0
	ds_read_b64 v[5:6], v5 offset:136
	s_waitcnt lgkmcnt(0)
	v_mul_f32_e32 v7, v2, v6
	v_mul_f32_e32 v6, v8, v6
	v_fma_f32 v7, v8, v5, -v7
	v_fmac_f32_e32 v6, v2, v5
	buffer_store_dword v7, off, s[0:3], 0 offset:136
	buffer_store_dword v6, off, s[0:3], 0 offset:140
.LBB106_83:
	s_or_b32 exec_lo, exec_lo, s4
	s_waitcnt_vscnt null, 0x0
	s_barrier
	buffer_gl0_inv
	s_clause 0x1
	buffer_load_dword v5, off, s[0:3], 0 offset:144
	buffer_load_dword v6, off, s[0:3], 0 offset:148
	s_mov_b32 s4, exec_lo
	s_waitcnt vmcnt(0)
	ds_write_b64 v4, v[5:6]
	s_waitcnt lgkmcnt(0)
	s_barrier
	buffer_gl0_inv
	v_cmpx_gt_u32_e32 18, v0
	s_cbranch_execz .LBB106_87
; %bb.84:
	v_add_nc_u32_e32 v5, -1, v0
	v_add_nc_u32_e32 v6, 0x160, v3
	v_mov_b32_e32 v7, v3
	v_mov_b32_e32 v2, 0
	;; [unrolled: 1-line block ×3, first 2 shown]
	s_mov_b32 s5, 0
	.p2align	6
.LBB106_85:                             ; =>This Inner Loop Header: Depth=1
	s_clause 0x1
	buffer_load_dword v97, v7, s[0:3], 0 offen offset:4
	buffer_load_dword v98, v7, s[0:3], 0 offen
	ds_read_b64 v[95:96], v6
	v_add_nc_u32_e32 v5, 1, v5
	v_add_nc_u32_e32 v6, 8, v6
	;; [unrolled: 1-line block ×3, first 2 shown]
	v_cmp_lt_u32_e32 vcc_lo, 16, v5
	s_or_b32 s5, vcc_lo, s5
	s_waitcnt vmcnt(1) lgkmcnt(0)
	v_mul_f32_e32 v99, v96, v97
	v_mul_f32_e32 v97, v95, v97
	s_waitcnt vmcnt(0)
	v_fma_f32 v95, v95, v98, -v99
	v_fmac_f32_e32 v97, v96, v98
	v_add_f32_e32 v8, v8, v95
	v_add_f32_e32 v2, v2, v97
	s_andn2_b32 exec_lo, exec_lo, s5
	s_cbranch_execnz .LBB106_85
; %bb.86:
	s_or_b32 exec_lo, exec_lo, s5
	v_mov_b32_e32 v5, 0
	ds_read_b64 v[5:6], v5 offset:144
	s_waitcnt lgkmcnt(0)
	v_mul_f32_e32 v7, v2, v6
	v_mul_f32_e32 v6, v8, v6
	v_fma_f32 v7, v8, v5, -v7
	v_fmac_f32_e32 v6, v2, v5
	buffer_store_dword v7, off, s[0:3], 0 offset:144
	buffer_store_dword v6, off, s[0:3], 0 offset:148
.LBB106_87:
	s_or_b32 exec_lo, exec_lo, s4
	s_waitcnt_vscnt null, 0x0
	s_barrier
	buffer_gl0_inv
	s_clause 0x1
	buffer_load_dword v5, off, s[0:3], 0 offset:152
	buffer_load_dword v6, off, s[0:3], 0 offset:156
	s_mov_b32 s4, exec_lo
	s_waitcnt vmcnt(0)
	ds_write_b64 v4, v[5:6]
	s_waitcnt lgkmcnt(0)
	s_barrier
	buffer_gl0_inv
	v_cmpx_gt_u32_e32 19, v0
	s_cbranch_execz .LBB106_91
; %bb.88:
	v_add_nc_u32_e32 v5, -1, v0
	v_add_nc_u32_e32 v6, 0x160, v3
	v_mov_b32_e32 v7, v3
	v_mov_b32_e32 v2, 0
	;; [unrolled: 1-line block ×3, first 2 shown]
	s_mov_b32 s5, 0
	.p2align	6
.LBB106_89:                             ; =>This Inner Loop Header: Depth=1
	s_clause 0x1
	buffer_load_dword v97, v7, s[0:3], 0 offen offset:4
	buffer_load_dword v98, v7, s[0:3], 0 offen
	ds_read_b64 v[95:96], v6
	v_add_nc_u32_e32 v5, 1, v5
	v_add_nc_u32_e32 v6, 8, v6
	;; [unrolled: 1-line block ×3, first 2 shown]
	v_cmp_lt_u32_e32 vcc_lo, 17, v5
	s_or_b32 s5, vcc_lo, s5
	s_waitcnt vmcnt(1) lgkmcnt(0)
	v_mul_f32_e32 v99, v96, v97
	v_mul_f32_e32 v97, v95, v97
	s_waitcnt vmcnt(0)
	v_fma_f32 v95, v95, v98, -v99
	v_fmac_f32_e32 v97, v96, v98
	v_add_f32_e32 v8, v8, v95
	v_add_f32_e32 v2, v2, v97
	s_andn2_b32 exec_lo, exec_lo, s5
	s_cbranch_execnz .LBB106_89
; %bb.90:
	s_or_b32 exec_lo, exec_lo, s5
	v_mov_b32_e32 v5, 0
	ds_read_b64 v[5:6], v5 offset:152
	s_waitcnt lgkmcnt(0)
	v_mul_f32_e32 v7, v2, v6
	v_mul_f32_e32 v6, v8, v6
	v_fma_f32 v7, v8, v5, -v7
	v_fmac_f32_e32 v6, v2, v5
	buffer_store_dword v7, off, s[0:3], 0 offset:152
	buffer_store_dword v6, off, s[0:3], 0 offset:156
.LBB106_91:
	s_or_b32 exec_lo, exec_lo, s4
	s_waitcnt_vscnt null, 0x0
	s_barrier
	buffer_gl0_inv
	s_clause 0x1
	buffer_load_dword v5, off, s[0:3], 0 offset:160
	buffer_load_dword v6, off, s[0:3], 0 offset:164
	s_mov_b32 s4, exec_lo
	s_waitcnt vmcnt(0)
	ds_write_b64 v4, v[5:6]
	s_waitcnt lgkmcnt(0)
	s_barrier
	buffer_gl0_inv
	v_cmpx_gt_u32_e32 20, v0
	s_cbranch_execz .LBB106_95
; %bb.92:
	v_add_nc_u32_e32 v5, -1, v0
	v_add_nc_u32_e32 v6, 0x160, v3
	v_mov_b32_e32 v7, v3
	v_mov_b32_e32 v2, 0
	;; [unrolled: 1-line block ×3, first 2 shown]
	s_mov_b32 s5, 0
	.p2align	6
.LBB106_93:                             ; =>This Inner Loop Header: Depth=1
	s_clause 0x1
	buffer_load_dword v97, v7, s[0:3], 0 offen offset:4
	buffer_load_dword v98, v7, s[0:3], 0 offen
	ds_read_b64 v[95:96], v6
	v_add_nc_u32_e32 v5, 1, v5
	v_add_nc_u32_e32 v6, 8, v6
	;; [unrolled: 1-line block ×3, first 2 shown]
	v_cmp_lt_u32_e32 vcc_lo, 18, v5
	s_or_b32 s5, vcc_lo, s5
	s_waitcnt vmcnt(1) lgkmcnt(0)
	v_mul_f32_e32 v99, v96, v97
	v_mul_f32_e32 v97, v95, v97
	s_waitcnt vmcnt(0)
	v_fma_f32 v95, v95, v98, -v99
	v_fmac_f32_e32 v97, v96, v98
	v_add_f32_e32 v8, v8, v95
	v_add_f32_e32 v2, v2, v97
	s_andn2_b32 exec_lo, exec_lo, s5
	s_cbranch_execnz .LBB106_93
; %bb.94:
	s_or_b32 exec_lo, exec_lo, s5
	v_mov_b32_e32 v5, 0
	ds_read_b64 v[5:6], v5 offset:160
	s_waitcnt lgkmcnt(0)
	v_mul_f32_e32 v7, v2, v6
	v_mul_f32_e32 v6, v8, v6
	v_fma_f32 v7, v8, v5, -v7
	v_fmac_f32_e32 v6, v2, v5
	buffer_store_dword v7, off, s[0:3], 0 offset:160
	buffer_store_dword v6, off, s[0:3], 0 offset:164
.LBB106_95:
	s_or_b32 exec_lo, exec_lo, s4
	s_waitcnt_vscnt null, 0x0
	s_barrier
	buffer_gl0_inv
	s_clause 0x1
	buffer_load_dword v5, off, s[0:3], 0 offset:168
	buffer_load_dword v6, off, s[0:3], 0 offset:172
	s_mov_b32 s4, exec_lo
	s_waitcnt vmcnt(0)
	ds_write_b64 v4, v[5:6]
	s_waitcnt lgkmcnt(0)
	s_barrier
	buffer_gl0_inv
	v_cmpx_gt_u32_e32 21, v0
	s_cbranch_execz .LBB106_99
; %bb.96:
	v_add_nc_u32_e32 v5, -1, v0
	v_add_nc_u32_e32 v6, 0x160, v3
	v_mov_b32_e32 v7, v3
	v_mov_b32_e32 v2, 0
	;; [unrolled: 1-line block ×3, first 2 shown]
	s_mov_b32 s5, 0
	.p2align	6
.LBB106_97:                             ; =>This Inner Loop Header: Depth=1
	s_clause 0x1
	buffer_load_dword v97, v7, s[0:3], 0 offen offset:4
	buffer_load_dword v98, v7, s[0:3], 0 offen
	ds_read_b64 v[95:96], v6
	v_add_nc_u32_e32 v5, 1, v5
	v_add_nc_u32_e32 v6, 8, v6
	;; [unrolled: 1-line block ×3, first 2 shown]
	v_cmp_lt_u32_e32 vcc_lo, 19, v5
	s_or_b32 s5, vcc_lo, s5
	s_waitcnt vmcnt(1) lgkmcnt(0)
	v_mul_f32_e32 v99, v96, v97
	v_mul_f32_e32 v97, v95, v97
	s_waitcnt vmcnt(0)
	v_fma_f32 v95, v95, v98, -v99
	v_fmac_f32_e32 v97, v96, v98
	v_add_f32_e32 v8, v8, v95
	v_add_f32_e32 v2, v2, v97
	s_andn2_b32 exec_lo, exec_lo, s5
	s_cbranch_execnz .LBB106_97
; %bb.98:
	s_or_b32 exec_lo, exec_lo, s5
	v_mov_b32_e32 v5, 0
	ds_read_b64 v[5:6], v5 offset:168
	s_waitcnt lgkmcnt(0)
	v_mul_f32_e32 v7, v2, v6
	v_mul_f32_e32 v6, v8, v6
	v_fma_f32 v7, v8, v5, -v7
	v_fmac_f32_e32 v6, v2, v5
	buffer_store_dword v7, off, s[0:3], 0 offset:168
	buffer_store_dword v6, off, s[0:3], 0 offset:172
.LBB106_99:
	s_or_b32 exec_lo, exec_lo, s4
	s_waitcnt_vscnt null, 0x0
	s_barrier
	buffer_gl0_inv
	s_clause 0x1
	buffer_load_dword v5, off, s[0:3], 0 offset:176
	buffer_load_dword v6, off, s[0:3], 0 offset:180
	s_mov_b32 s4, exec_lo
	s_waitcnt vmcnt(0)
	ds_write_b64 v4, v[5:6]
	s_waitcnt lgkmcnt(0)
	s_barrier
	buffer_gl0_inv
	v_cmpx_gt_u32_e32 22, v0
	s_cbranch_execz .LBB106_103
; %bb.100:
	v_add_nc_u32_e32 v5, -1, v0
	v_add_nc_u32_e32 v6, 0x160, v3
	v_mov_b32_e32 v7, v3
	v_mov_b32_e32 v2, 0
	v_mov_b32_e32 v8, 0
	s_mov_b32 s5, 0
	.p2align	6
.LBB106_101:                            ; =>This Inner Loop Header: Depth=1
	s_clause 0x1
	buffer_load_dword v97, v7, s[0:3], 0 offen offset:4
	buffer_load_dword v98, v7, s[0:3], 0 offen
	ds_read_b64 v[95:96], v6
	v_add_nc_u32_e32 v5, 1, v5
	v_add_nc_u32_e32 v6, 8, v6
	;; [unrolled: 1-line block ×3, first 2 shown]
	v_cmp_lt_u32_e32 vcc_lo, 20, v5
	s_or_b32 s5, vcc_lo, s5
	s_waitcnt vmcnt(1) lgkmcnt(0)
	v_mul_f32_e32 v99, v96, v97
	v_mul_f32_e32 v97, v95, v97
	s_waitcnt vmcnt(0)
	v_fma_f32 v95, v95, v98, -v99
	v_fmac_f32_e32 v97, v96, v98
	v_add_f32_e32 v8, v8, v95
	v_add_f32_e32 v2, v2, v97
	s_andn2_b32 exec_lo, exec_lo, s5
	s_cbranch_execnz .LBB106_101
; %bb.102:
	s_or_b32 exec_lo, exec_lo, s5
	v_mov_b32_e32 v5, 0
	ds_read_b64 v[5:6], v5 offset:176
	s_waitcnt lgkmcnt(0)
	v_mul_f32_e32 v7, v2, v6
	v_mul_f32_e32 v6, v8, v6
	v_fma_f32 v7, v8, v5, -v7
	v_fmac_f32_e32 v6, v2, v5
	buffer_store_dword v7, off, s[0:3], 0 offset:176
	buffer_store_dword v6, off, s[0:3], 0 offset:180
.LBB106_103:
	s_or_b32 exec_lo, exec_lo, s4
	s_waitcnt_vscnt null, 0x0
	s_barrier
	buffer_gl0_inv
	s_clause 0x1
	buffer_load_dword v5, off, s[0:3], 0 offset:184
	buffer_load_dword v6, off, s[0:3], 0 offset:188
	s_mov_b32 s4, exec_lo
	s_waitcnt vmcnt(0)
	ds_write_b64 v4, v[5:6]
	s_waitcnt lgkmcnt(0)
	s_barrier
	buffer_gl0_inv
	v_cmpx_gt_u32_e32 23, v0
	s_cbranch_execz .LBB106_107
; %bb.104:
	v_add_nc_u32_e32 v5, -1, v0
	v_add_nc_u32_e32 v6, 0x160, v3
	v_mov_b32_e32 v7, v3
	v_mov_b32_e32 v2, 0
	v_mov_b32_e32 v8, 0
	s_mov_b32 s5, 0
	.p2align	6
.LBB106_105:                            ; =>This Inner Loop Header: Depth=1
	s_clause 0x1
	buffer_load_dword v97, v7, s[0:3], 0 offen offset:4
	buffer_load_dword v98, v7, s[0:3], 0 offen
	ds_read_b64 v[95:96], v6
	v_add_nc_u32_e32 v5, 1, v5
	v_add_nc_u32_e32 v6, 8, v6
	;; [unrolled: 1-line block ×3, first 2 shown]
	v_cmp_lt_u32_e32 vcc_lo, 21, v5
	s_or_b32 s5, vcc_lo, s5
	s_waitcnt vmcnt(1) lgkmcnt(0)
	v_mul_f32_e32 v99, v96, v97
	v_mul_f32_e32 v97, v95, v97
	s_waitcnt vmcnt(0)
	v_fma_f32 v95, v95, v98, -v99
	v_fmac_f32_e32 v97, v96, v98
	v_add_f32_e32 v8, v8, v95
	v_add_f32_e32 v2, v2, v97
	s_andn2_b32 exec_lo, exec_lo, s5
	s_cbranch_execnz .LBB106_105
; %bb.106:
	s_or_b32 exec_lo, exec_lo, s5
	v_mov_b32_e32 v5, 0
	ds_read_b64 v[5:6], v5 offset:184
	s_waitcnt lgkmcnt(0)
	v_mul_f32_e32 v7, v2, v6
	v_mul_f32_e32 v6, v8, v6
	v_fma_f32 v7, v8, v5, -v7
	v_fmac_f32_e32 v6, v2, v5
	buffer_store_dword v7, off, s[0:3], 0 offset:184
	buffer_store_dword v6, off, s[0:3], 0 offset:188
.LBB106_107:
	s_or_b32 exec_lo, exec_lo, s4
	s_waitcnt_vscnt null, 0x0
	s_barrier
	buffer_gl0_inv
	s_clause 0x1
	buffer_load_dword v5, off, s[0:3], 0 offset:192
	buffer_load_dword v6, off, s[0:3], 0 offset:196
	s_mov_b32 s4, exec_lo
	s_waitcnt vmcnt(0)
	ds_write_b64 v4, v[5:6]
	s_waitcnt lgkmcnt(0)
	s_barrier
	buffer_gl0_inv
	v_cmpx_gt_u32_e32 24, v0
	s_cbranch_execz .LBB106_111
; %bb.108:
	v_add_nc_u32_e32 v5, -1, v0
	v_add_nc_u32_e32 v6, 0x160, v3
	v_mov_b32_e32 v7, v3
	v_mov_b32_e32 v2, 0
	;; [unrolled: 1-line block ×3, first 2 shown]
	s_mov_b32 s5, 0
	.p2align	6
.LBB106_109:                            ; =>This Inner Loop Header: Depth=1
	s_clause 0x1
	buffer_load_dword v97, v7, s[0:3], 0 offen offset:4
	buffer_load_dword v98, v7, s[0:3], 0 offen
	ds_read_b64 v[95:96], v6
	v_add_nc_u32_e32 v5, 1, v5
	v_add_nc_u32_e32 v6, 8, v6
	;; [unrolled: 1-line block ×3, first 2 shown]
	v_cmp_lt_u32_e32 vcc_lo, 22, v5
	s_or_b32 s5, vcc_lo, s5
	s_waitcnt vmcnt(1) lgkmcnt(0)
	v_mul_f32_e32 v99, v96, v97
	v_mul_f32_e32 v97, v95, v97
	s_waitcnt vmcnt(0)
	v_fma_f32 v95, v95, v98, -v99
	v_fmac_f32_e32 v97, v96, v98
	v_add_f32_e32 v8, v8, v95
	v_add_f32_e32 v2, v2, v97
	s_andn2_b32 exec_lo, exec_lo, s5
	s_cbranch_execnz .LBB106_109
; %bb.110:
	s_or_b32 exec_lo, exec_lo, s5
	v_mov_b32_e32 v5, 0
	ds_read_b64 v[5:6], v5 offset:192
	s_waitcnt lgkmcnt(0)
	v_mul_f32_e32 v7, v2, v6
	v_mul_f32_e32 v6, v8, v6
	v_fma_f32 v7, v8, v5, -v7
	v_fmac_f32_e32 v6, v2, v5
	buffer_store_dword v7, off, s[0:3], 0 offset:192
	buffer_store_dword v6, off, s[0:3], 0 offset:196
.LBB106_111:
	s_or_b32 exec_lo, exec_lo, s4
	s_waitcnt_vscnt null, 0x0
	s_barrier
	buffer_gl0_inv
	s_clause 0x1
	buffer_load_dword v5, off, s[0:3], 0 offset:200
	buffer_load_dword v6, off, s[0:3], 0 offset:204
	s_mov_b32 s4, exec_lo
	s_waitcnt vmcnt(0)
	ds_write_b64 v4, v[5:6]
	s_waitcnt lgkmcnt(0)
	s_barrier
	buffer_gl0_inv
	v_cmpx_gt_u32_e32 25, v0
	s_cbranch_execz .LBB106_115
; %bb.112:
	v_add_nc_u32_e32 v5, -1, v0
	v_add_nc_u32_e32 v6, 0x160, v3
	v_mov_b32_e32 v7, v3
	v_mov_b32_e32 v2, 0
	;; [unrolled: 1-line block ×3, first 2 shown]
	s_mov_b32 s5, 0
	.p2align	6
.LBB106_113:                            ; =>This Inner Loop Header: Depth=1
	s_clause 0x1
	buffer_load_dword v97, v7, s[0:3], 0 offen offset:4
	buffer_load_dword v98, v7, s[0:3], 0 offen
	ds_read_b64 v[95:96], v6
	v_add_nc_u32_e32 v5, 1, v5
	v_add_nc_u32_e32 v6, 8, v6
	v_add_nc_u32_e32 v7, 8, v7
	v_cmp_lt_u32_e32 vcc_lo, 23, v5
	s_or_b32 s5, vcc_lo, s5
	s_waitcnt vmcnt(1) lgkmcnt(0)
	v_mul_f32_e32 v99, v96, v97
	v_mul_f32_e32 v97, v95, v97
	s_waitcnt vmcnt(0)
	v_fma_f32 v95, v95, v98, -v99
	v_fmac_f32_e32 v97, v96, v98
	v_add_f32_e32 v8, v8, v95
	v_add_f32_e32 v2, v2, v97
	s_andn2_b32 exec_lo, exec_lo, s5
	s_cbranch_execnz .LBB106_113
; %bb.114:
	s_or_b32 exec_lo, exec_lo, s5
	v_mov_b32_e32 v5, 0
	ds_read_b64 v[5:6], v5 offset:200
	s_waitcnt lgkmcnt(0)
	v_mul_f32_e32 v7, v2, v6
	v_mul_f32_e32 v6, v8, v6
	v_fma_f32 v7, v8, v5, -v7
	v_fmac_f32_e32 v6, v2, v5
	buffer_store_dword v7, off, s[0:3], 0 offset:200
	buffer_store_dword v6, off, s[0:3], 0 offset:204
.LBB106_115:
	s_or_b32 exec_lo, exec_lo, s4
	s_waitcnt_vscnt null, 0x0
	s_barrier
	buffer_gl0_inv
	s_clause 0x1
	buffer_load_dword v5, off, s[0:3], 0 offset:208
	buffer_load_dword v6, off, s[0:3], 0 offset:212
	s_mov_b32 s4, exec_lo
	s_waitcnt vmcnt(0)
	ds_write_b64 v4, v[5:6]
	s_waitcnt lgkmcnt(0)
	s_barrier
	buffer_gl0_inv
	v_cmpx_gt_u32_e32 26, v0
	s_cbranch_execz .LBB106_119
; %bb.116:
	v_add_nc_u32_e32 v5, -1, v0
	v_add_nc_u32_e32 v6, 0x160, v3
	v_mov_b32_e32 v7, v3
	v_mov_b32_e32 v2, 0
	;; [unrolled: 1-line block ×3, first 2 shown]
	s_mov_b32 s5, 0
	.p2align	6
.LBB106_117:                            ; =>This Inner Loop Header: Depth=1
	s_clause 0x1
	buffer_load_dword v97, v7, s[0:3], 0 offen offset:4
	buffer_load_dword v98, v7, s[0:3], 0 offen
	ds_read_b64 v[95:96], v6
	v_add_nc_u32_e32 v5, 1, v5
	v_add_nc_u32_e32 v6, 8, v6
	v_add_nc_u32_e32 v7, 8, v7
	v_cmp_lt_u32_e32 vcc_lo, 24, v5
	s_or_b32 s5, vcc_lo, s5
	s_waitcnt vmcnt(1) lgkmcnt(0)
	v_mul_f32_e32 v99, v96, v97
	v_mul_f32_e32 v97, v95, v97
	s_waitcnt vmcnt(0)
	v_fma_f32 v95, v95, v98, -v99
	v_fmac_f32_e32 v97, v96, v98
	v_add_f32_e32 v8, v8, v95
	v_add_f32_e32 v2, v2, v97
	s_andn2_b32 exec_lo, exec_lo, s5
	s_cbranch_execnz .LBB106_117
; %bb.118:
	s_or_b32 exec_lo, exec_lo, s5
	v_mov_b32_e32 v5, 0
	ds_read_b64 v[5:6], v5 offset:208
	s_waitcnt lgkmcnt(0)
	v_mul_f32_e32 v7, v2, v6
	v_mul_f32_e32 v6, v8, v6
	v_fma_f32 v7, v8, v5, -v7
	v_fmac_f32_e32 v6, v2, v5
	buffer_store_dword v7, off, s[0:3], 0 offset:208
	buffer_store_dword v6, off, s[0:3], 0 offset:212
.LBB106_119:
	s_or_b32 exec_lo, exec_lo, s4
	s_waitcnt_vscnt null, 0x0
	s_barrier
	buffer_gl0_inv
	s_clause 0x1
	buffer_load_dword v5, off, s[0:3], 0 offset:216
	buffer_load_dword v6, off, s[0:3], 0 offset:220
	s_mov_b32 s4, exec_lo
	s_waitcnt vmcnt(0)
	ds_write_b64 v4, v[5:6]
	s_waitcnt lgkmcnt(0)
	s_barrier
	buffer_gl0_inv
	v_cmpx_gt_u32_e32 27, v0
	s_cbranch_execz .LBB106_123
; %bb.120:
	v_add_nc_u32_e32 v5, -1, v0
	v_add_nc_u32_e32 v6, 0x160, v3
	v_mov_b32_e32 v7, v3
	v_mov_b32_e32 v2, 0
	;; [unrolled: 1-line block ×3, first 2 shown]
	s_mov_b32 s5, 0
	.p2align	6
.LBB106_121:                            ; =>This Inner Loop Header: Depth=1
	s_clause 0x1
	buffer_load_dword v97, v7, s[0:3], 0 offen offset:4
	buffer_load_dword v98, v7, s[0:3], 0 offen
	ds_read_b64 v[95:96], v6
	v_add_nc_u32_e32 v5, 1, v5
	v_add_nc_u32_e32 v6, 8, v6
	;; [unrolled: 1-line block ×3, first 2 shown]
	v_cmp_lt_u32_e32 vcc_lo, 25, v5
	s_or_b32 s5, vcc_lo, s5
	s_waitcnt vmcnt(1) lgkmcnt(0)
	v_mul_f32_e32 v99, v96, v97
	v_mul_f32_e32 v97, v95, v97
	s_waitcnt vmcnt(0)
	v_fma_f32 v95, v95, v98, -v99
	v_fmac_f32_e32 v97, v96, v98
	v_add_f32_e32 v8, v8, v95
	v_add_f32_e32 v2, v2, v97
	s_andn2_b32 exec_lo, exec_lo, s5
	s_cbranch_execnz .LBB106_121
; %bb.122:
	s_or_b32 exec_lo, exec_lo, s5
	v_mov_b32_e32 v5, 0
	ds_read_b64 v[5:6], v5 offset:216
	s_waitcnt lgkmcnt(0)
	v_mul_f32_e32 v7, v2, v6
	v_mul_f32_e32 v6, v8, v6
	v_fma_f32 v7, v8, v5, -v7
	v_fmac_f32_e32 v6, v2, v5
	buffer_store_dword v7, off, s[0:3], 0 offset:216
	buffer_store_dword v6, off, s[0:3], 0 offset:220
.LBB106_123:
	s_or_b32 exec_lo, exec_lo, s4
	s_waitcnt_vscnt null, 0x0
	s_barrier
	buffer_gl0_inv
	s_clause 0x1
	buffer_load_dword v5, off, s[0:3], 0 offset:224
	buffer_load_dword v6, off, s[0:3], 0 offset:228
	s_mov_b32 s4, exec_lo
	s_waitcnt vmcnt(0)
	ds_write_b64 v4, v[5:6]
	s_waitcnt lgkmcnt(0)
	s_barrier
	buffer_gl0_inv
	v_cmpx_gt_u32_e32 28, v0
	s_cbranch_execz .LBB106_127
; %bb.124:
	v_add_nc_u32_e32 v5, -1, v0
	v_add_nc_u32_e32 v6, 0x160, v3
	v_mov_b32_e32 v7, v3
	v_mov_b32_e32 v2, 0
	;; [unrolled: 1-line block ×3, first 2 shown]
	s_mov_b32 s5, 0
	.p2align	6
.LBB106_125:                            ; =>This Inner Loop Header: Depth=1
	s_clause 0x1
	buffer_load_dword v97, v7, s[0:3], 0 offen offset:4
	buffer_load_dword v98, v7, s[0:3], 0 offen
	ds_read_b64 v[95:96], v6
	v_add_nc_u32_e32 v5, 1, v5
	v_add_nc_u32_e32 v6, 8, v6
	;; [unrolled: 1-line block ×3, first 2 shown]
	v_cmp_lt_u32_e32 vcc_lo, 26, v5
	s_or_b32 s5, vcc_lo, s5
	s_waitcnt vmcnt(1) lgkmcnt(0)
	v_mul_f32_e32 v99, v96, v97
	v_mul_f32_e32 v97, v95, v97
	s_waitcnt vmcnt(0)
	v_fma_f32 v95, v95, v98, -v99
	v_fmac_f32_e32 v97, v96, v98
	v_add_f32_e32 v8, v8, v95
	v_add_f32_e32 v2, v2, v97
	s_andn2_b32 exec_lo, exec_lo, s5
	s_cbranch_execnz .LBB106_125
; %bb.126:
	s_or_b32 exec_lo, exec_lo, s5
	v_mov_b32_e32 v5, 0
	ds_read_b64 v[5:6], v5 offset:224
	s_waitcnt lgkmcnt(0)
	v_mul_f32_e32 v7, v2, v6
	v_mul_f32_e32 v6, v8, v6
	v_fma_f32 v7, v8, v5, -v7
	v_fmac_f32_e32 v6, v2, v5
	buffer_store_dword v7, off, s[0:3], 0 offset:224
	buffer_store_dword v6, off, s[0:3], 0 offset:228
.LBB106_127:
	s_or_b32 exec_lo, exec_lo, s4
	s_waitcnt_vscnt null, 0x0
	s_barrier
	buffer_gl0_inv
	s_clause 0x1
	buffer_load_dword v5, off, s[0:3], 0 offset:232
	buffer_load_dword v6, off, s[0:3], 0 offset:236
	s_mov_b32 s4, exec_lo
	s_waitcnt vmcnt(0)
	ds_write_b64 v4, v[5:6]
	s_waitcnt lgkmcnt(0)
	s_barrier
	buffer_gl0_inv
	v_cmpx_gt_u32_e32 29, v0
	s_cbranch_execz .LBB106_131
; %bb.128:
	v_add_nc_u32_e32 v5, -1, v0
	v_add_nc_u32_e32 v6, 0x160, v3
	v_mov_b32_e32 v7, v3
	v_mov_b32_e32 v2, 0
	;; [unrolled: 1-line block ×3, first 2 shown]
	s_mov_b32 s5, 0
	.p2align	6
.LBB106_129:                            ; =>This Inner Loop Header: Depth=1
	s_clause 0x1
	buffer_load_dword v97, v7, s[0:3], 0 offen offset:4
	buffer_load_dword v98, v7, s[0:3], 0 offen
	ds_read_b64 v[95:96], v6
	v_add_nc_u32_e32 v5, 1, v5
	v_add_nc_u32_e32 v6, 8, v6
	;; [unrolled: 1-line block ×3, first 2 shown]
	v_cmp_lt_u32_e32 vcc_lo, 27, v5
	s_or_b32 s5, vcc_lo, s5
	s_waitcnt vmcnt(1) lgkmcnt(0)
	v_mul_f32_e32 v99, v96, v97
	v_mul_f32_e32 v97, v95, v97
	s_waitcnt vmcnt(0)
	v_fma_f32 v95, v95, v98, -v99
	v_fmac_f32_e32 v97, v96, v98
	v_add_f32_e32 v8, v8, v95
	v_add_f32_e32 v2, v2, v97
	s_andn2_b32 exec_lo, exec_lo, s5
	s_cbranch_execnz .LBB106_129
; %bb.130:
	s_or_b32 exec_lo, exec_lo, s5
	v_mov_b32_e32 v5, 0
	ds_read_b64 v[5:6], v5 offset:232
	s_waitcnt lgkmcnt(0)
	v_mul_f32_e32 v7, v2, v6
	v_mul_f32_e32 v6, v8, v6
	v_fma_f32 v7, v8, v5, -v7
	v_fmac_f32_e32 v6, v2, v5
	buffer_store_dword v7, off, s[0:3], 0 offset:232
	buffer_store_dword v6, off, s[0:3], 0 offset:236
.LBB106_131:
	s_or_b32 exec_lo, exec_lo, s4
	s_waitcnt_vscnt null, 0x0
	s_barrier
	buffer_gl0_inv
	s_clause 0x1
	buffer_load_dword v5, off, s[0:3], 0 offset:240
	buffer_load_dword v6, off, s[0:3], 0 offset:244
	s_mov_b32 s4, exec_lo
	s_waitcnt vmcnt(0)
	ds_write_b64 v4, v[5:6]
	s_waitcnt lgkmcnt(0)
	s_barrier
	buffer_gl0_inv
	v_cmpx_gt_u32_e32 30, v0
	s_cbranch_execz .LBB106_135
; %bb.132:
	v_add_nc_u32_e32 v5, -1, v0
	v_add_nc_u32_e32 v6, 0x160, v3
	v_mov_b32_e32 v7, v3
	v_mov_b32_e32 v2, 0
	v_mov_b32_e32 v8, 0
	s_mov_b32 s5, 0
	.p2align	6
.LBB106_133:                            ; =>This Inner Loop Header: Depth=1
	s_clause 0x1
	buffer_load_dword v97, v7, s[0:3], 0 offen offset:4
	buffer_load_dword v98, v7, s[0:3], 0 offen
	ds_read_b64 v[95:96], v6
	v_add_nc_u32_e32 v5, 1, v5
	v_add_nc_u32_e32 v6, 8, v6
	;; [unrolled: 1-line block ×3, first 2 shown]
	v_cmp_lt_u32_e32 vcc_lo, 28, v5
	s_or_b32 s5, vcc_lo, s5
	s_waitcnt vmcnt(1) lgkmcnt(0)
	v_mul_f32_e32 v99, v96, v97
	v_mul_f32_e32 v97, v95, v97
	s_waitcnt vmcnt(0)
	v_fma_f32 v95, v95, v98, -v99
	v_fmac_f32_e32 v97, v96, v98
	v_add_f32_e32 v8, v8, v95
	v_add_f32_e32 v2, v2, v97
	s_andn2_b32 exec_lo, exec_lo, s5
	s_cbranch_execnz .LBB106_133
; %bb.134:
	s_or_b32 exec_lo, exec_lo, s5
	v_mov_b32_e32 v5, 0
	ds_read_b64 v[5:6], v5 offset:240
	s_waitcnt lgkmcnt(0)
	v_mul_f32_e32 v7, v2, v6
	v_mul_f32_e32 v6, v8, v6
	v_fma_f32 v7, v8, v5, -v7
	v_fmac_f32_e32 v6, v2, v5
	buffer_store_dword v7, off, s[0:3], 0 offset:240
	buffer_store_dword v6, off, s[0:3], 0 offset:244
.LBB106_135:
	s_or_b32 exec_lo, exec_lo, s4
	s_waitcnt_vscnt null, 0x0
	s_barrier
	buffer_gl0_inv
	s_clause 0x1
	buffer_load_dword v5, off, s[0:3], 0 offset:248
	buffer_load_dword v6, off, s[0:3], 0 offset:252
	s_mov_b32 s4, exec_lo
	s_waitcnt vmcnt(0)
	ds_write_b64 v4, v[5:6]
	s_waitcnt lgkmcnt(0)
	s_barrier
	buffer_gl0_inv
	v_cmpx_gt_u32_e32 31, v0
	s_cbranch_execz .LBB106_139
; %bb.136:
	v_add_nc_u32_e32 v5, -1, v0
	v_add_nc_u32_e32 v6, 0x160, v3
	v_mov_b32_e32 v7, v3
	v_mov_b32_e32 v2, 0
	;; [unrolled: 1-line block ×3, first 2 shown]
	s_mov_b32 s5, 0
	.p2align	6
.LBB106_137:                            ; =>This Inner Loop Header: Depth=1
	s_clause 0x1
	buffer_load_dword v97, v7, s[0:3], 0 offen offset:4
	buffer_load_dword v98, v7, s[0:3], 0 offen
	ds_read_b64 v[95:96], v6
	v_add_nc_u32_e32 v5, 1, v5
	v_add_nc_u32_e32 v6, 8, v6
	;; [unrolled: 1-line block ×3, first 2 shown]
	v_cmp_lt_u32_e32 vcc_lo, 29, v5
	s_or_b32 s5, vcc_lo, s5
	s_waitcnt vmcnt(1) lgkmcnt(0)
	v_mul_f32_e32 v99, v96, v97
	v_mul_f32_e32 v97, v95, v97
	s_waitcnt vmcnt(0)
	v_fma_f32 v95, v95, v98, -v99
	v_fmac_f32_e32 v97, v96, v98
	v_add_f32_e32 v8, v8, v95
	v_add_f32_e32 v2, v2, v97
	s_andn2_b32 exec_lo, exec_lo, s5
	s_cbranch_execnz .LBB106_137
; %bb.138:
	s_or_b32 exec_lo, exec_lo, s5
	v_mov_b32_e32 v5, 0
	ds_read_b64 v[5:6], v5 offset:248
	s_waitcnt lgkmcnt(0)
	v_mul_f32_e32 v7, v2, v6
	v_mul_f32_e32 v6, v8, v6
	v_fma_f32 v7, v8, v5, -v7
	v_fmac_f32_e32 v6, v2, v5
	buffer_store_dword v7, off, s[0:3], 0 offset:248
	buffer_store_dword v6, off, s[0:3], 0 offset:252
.LBB106_139:
	s_or_b32 exec_lo, exec_lo, s4
	s_waitcnt_vscnt null, 0x0
	s_barrier
	buffer_gl0_inv
	s_clause 0x1
	buffer_load_dword v5, off, s[0:3], 0 offset:256
	buffer_load_dword v6, off, s[0:3], 0 offset:260
	s_mov_b32 s4, exec_lo
	s_waitcnt vmcnt(0)
	ds_write_b64 v4, v[5:6]
	s_waitcnt lgkmcnt(0)
	s_barrier
	buffer_gl0_inv
	v_cmpx_gt_u32_e32 32, v0
	s_cbranch_execz .LBB106_143
; %bb.140:
	v_add_nc_u32_e32 v5, -1, v0
	v_add_nc_u32_e32 v6, 0x160, v3
	v_mov_b32_e32 v7, v3
	v_mov_b32_e32 v2, 0
	;; [unrolled: 1-line block ×3, first 2 shown]
	s_mov_b32 s5, 0
	.p2align	6
.LBB106_141:                            ; =>This Inner Loop Header: Depth=1
	s_clause 0x1
	buffer_load_dword v97, v7, s[0:3], 0 offen offset:4
	buffer_load_dword v98, v7, s[0:3], 0 offen
	ds_read_b64 v[95:96], v6
	v_add_nc_u32_e32 v5, 1, v5
	v_add_nc_u32_e32 v6, 8, v6
	;; [unrolled: 1-line block ×3, first 2 shown]
	v_cmp_lt_u32_e32 vcc_lo, 30, v5
	s_or_b32 s5, vcc_lo, s5
	s_waitcnt vmcnt(1) lgkmcnt(0)
	v_mul_f32_e32 v99, v96, v97
	v_mul_f32_e32 v97, v95, v97
	s_waitcnt vmcnt(0)
	v_fma_f32 v95, v95, v98, -v99
	v_fmac_f32_e32 v97, v96, v98
	v_add_f32_e32 v8, v8, v95
	v_add_f32_e32 v2, v2, v97
	s_andn2_b32 exec_lo, exec_lo, s5
	s_cbranch_execnz .LBB106_141
; %bb.142:
	s_or_b32 exec_lo, exec_lo, s5
	v_mov_b32_e32 v5, 0
	ds_read_b64 v[5:6], v5 offset:256
	s_waitcnt lgkmcnt(0)
	v_mul_f32_e32 v7, v2, v6
	v_mul_f32_e32 v6, v8, v6
	v_fma_f32 v7, v8, v5, -v7
	v_fmac_f32_e32 v6, v2, v5
	buffer_store_dword v7, off, s[0:3], 0 offset:256
	buffer_store_dword v6, off, s[0:3], 0 offset:260
.LBB106_143:
	s_or_b32 exec_lo, exec_lo, s4
	s_waitcnt_vscnt null, 0x0
	s_barrier
	buffer_gl0_inv
	s_clause 0x1
	buffer_load_dword v5, off, s[0:3], 0 offset:264
	buffer_load_dword v6, off, s[0:3], 0 offset:268
	s_mov_b32 s4, exec_lo
	s_waitcnt vmcnt(0)
	ds_write_b64 v4, v[5:6]
	s_waitcnt lgkmcnt(0)
	s_barrier
	buffer_gl0_inv
	v_cmpx_gt_u32_e32 33, v0
	s_cbranch_execz .LBB106_147
; %bb.144:
	v_add_nc_u32_e32 v5, -1, v0
	v_add_nc_u32_e32 v6, 0x160, v3
	v_mov_b32_e32 v7, v3
	v_mov_b32_e32 v2, 0
	;; [unrolled: 1-line block ×3, first 2 shown]
	s_mov_b32 s5, 0
	.p2align	6
.LBB106_145:                            ; =>This Inner Loop Header: Depth=1
	s_clause 0x1
	buffer_load_dword v97, v7, s[0:3], 0 offen offset:4
	buffer_load_dword v98, v7, s[0:3], 0 offen
	ds_read_b64 v[95:96], v6
	v_add_nc_u32_e32 v5, 1, v5
	v_add_nc_u32_e32 v6, 8, v6
	;; [unrolled: 1-line block ×3, first 2 shown]
	v_cmp_lt_u32_e32 vcc_lo, 31, v5
	s_or_b32 s5, vcc_lo, s5
	s_waitcnt vmcnt(1) lgkmcnt(0)
	v_mul_f32_e32 v99, v96, v97
	v_mul_f32_e32 v97, v95, v97
	s_waitcnt vmcnt(0)
	v_fma_f32 v95, v95, v98, -v99
	v_fmac_f32_e32 v97, v96, v98
	v_add_f32_e32 v8, v8, v95
	v_add_f32_e32 v2, v2, v97
	s_andn2_b32 exec_lo, exec_lo, s5
	s_cbranch_execnz .LBB106_145
; %bb.146:
	s_or_b32 exec_lo, exec_lo, s5
	v_mov_b32_e32 v5, 0
	ds_read_b64 v[5:6], v5 offset:264
	s_waitcnt lgkmcnt(0)
	v_mul_f32_e32 v7, v2, v6
	v_mul_f32_e32 v6, v8, v6
	v_fma_f32 v7, v8, v5, -v7
	v_fmac_f32_e32 v6, v2, v5
	buffer_store_dword v7, off, s[0:3], 0 offset:264
	buffer_store_dword v6, off, s[0:3], 0 offset:268
.LBB106_147:
	s_or_b32 exec_lo, exec_lo, s4
	s_waitcnt_vscnt null, 0x0
	s_barrier
	buffer_gl0_inv
	s_clause 0x1
	buffer_load_dword v5, off, s[0:3], 0 offset:272
	buffer_load_dword v6, off, s[0:3], 0 offset:276
	s_mov_b32 s4, exec_lo
	s_waitcnt vmcnt(0)
	ds_write_b64 v4, v[5:6]
	s_waitcnt lgkmcnt(0)
	s_barrier
	buffer_gl0_inv
	v_cmpx_gt_u32_e32 34, v0
	s_cbranch_execz .LBB106_151
; %bb.148:
	v_add_nc_u32_e32 v5, -1, v0
	v_add_nc_u32_e32 v6, 0x160, v3
	v_mov_b32_e32 v7, v3
	v_mov_b32_e32 v2, 0
	v_mov_b32_e32 v8, 0
	s_mov_b32 s5, 0
	.p2align	6
.LBB106_149:                            ; =>This Inner Loop Header: Depth=1
	s_clause 0x1
	buffer_load_dword v97, v7, s[0:3], 0 offen offset:4
	buffer_load_dword v98, v7, s[0:3], 0 offen
	ds_read_b64 v[95:96], v6
	v_add_nc_u32_e32 v5, 1, v5
	v_add_nc_u32_e32 v6, 8, v6
	;; [unrolled: 1-line block ×3, first 2 shown]
	v_cmp_lt_u32_e32 vcc_lo, 32, v5
	s_or_b32 s5, vcc_lo, s5
	s_waitcnt vmcnt(1) lgkmcnt(0)
	v_mul_f32_e32 v99, v96, v97
	v_mul_f32_e32 v97, v95, v97
	s_waitcnt vmcnt(0)
	v_fma_f32 v95, v95, v98, -v99
	v_fmac_f32_e32 v97, v96, v98
	v_add_f32_e32 v8, v8, v95
	v_add_f32_e32 v2, v2, v97
	s_andn2_b32 exec_lo, exec_lo, s5
	s_cbranch_execnz .LBB106_149
; %bb.150:
	s_or_b32 exec_lo, exec_lo, s5
	v_mov_b32_e32 v5, 0
	ds_read_b64 v[5:6], v5 offset:272
	s_waitcnt lgkmcnt(0)
	v_mul_f32_e32 v7, v2, v6
	v_mul_f32_e32 v6, v8, v6
	v_fma_f32 v7, v8, v5, -v7
	v_fmac_f32_e32 v6, v2, v5
	buffer_store_dword v7, off, s[0:3], 0 offset:272
	buffer_store_dword v6, off, s[0:3], 0 offset:276
.LBB106_151:
	s_or_b32 exec_lo, exec_lo, s4
	s_waitcnt_vscnt null, 0x0
	s_barrier
	buffer_gl0_inv
	s_clause 0x1
	buffer_load_dword v5, off, s[0:3], 0 offset:280
	buffer_load_dword v6, off, s[0:3], 0 offset:284
	s_mov_b32 s4, exec_lo
	s_waitcnt vmcnt(0)
	ds_write_b64 v4, v[5:6]
	s_waitcnt lgkmcnt(0)
	s_barrier
	buffer_gl0_inv
	v_cmpx_gt_u32_e32 35, v0
	s_cbranch_execz .LBB106_155
; %bb.152:
	v_add_nc_u32_e32 v5, -1, v0
	v_add_nc_u32_e32 v6, 0x160, v3
	v_mov_b32_e32 v7, v3
	v_mov_b32_e32 v2, 0
	;; [unrolled: 1-line block ×3, first 2 shown]
	s_mov_b32 s5, 0
	.p2align	6
.LBB106_153:                            ; =>This Inner Loop Header: Depth=1
	s_clause 0x1
	buffer_load_dword v97, v7, s[0:3], 0 offen offset:4
	buffer_load_dword v98, v7, s[0:3], 0 offen
	ds_read_b64 v[95:96], v6
	v_add_nc_u32_e32 v5, 1, v5
	v_add_nc_u32_e32 v6, 8, v6
	;; [unrolled: 1-line block ×3, first 2 shown]
	v_cmp_lt_u32_e32 vcc_lo, 33, v5
	s_or_b32 s5, vcc_lo, s5
	s_waitcnt vmcnt(1) lgkmcnt(0)
	v_mul_f32_e32 v99, v96, v97
	v_mul_f32_e32 v97, v95, v97
	s_waitcnt vmcnt(0)
	v_fma_f32 v95, v95, v98, -v99
	v_fmac_f32_e32 v97, v96, v98
	v_add_f32_e32 v8, v8, v95
	v_add_f32_e32 v2, v2, v97
	s_andn2_b32 exec_lo, exec_lo, s5
	s_cbranch_execnz .LBB106_153
; %bb.154:
	s_or_b32 exec_lo, exec_lo, s5
	v_mov_b32_e32 v5, 0
	ds_read_b64 v[5:6], v5 offset:280
	s_waitcnt lgkmcnt(0)
	v_mul_f32_e32 v7, v2, v6
	v_mul_f32_e32 v6, v8, v6
	v_fma_f32 v7, v8, v5, -v7
	v_fmac_f32_e32 v6, v2, v5
	buffer_store_dword v7, off, s[0:3], 0 offset:280
	buffer_store_dword v6, off, s[0:3], 0 offset:284
.LBB106_155:
	s_or_b32 exec_lo, exec_lo, s4
	s_waitcnt_vscnt null, 0x0
	s_barrier
	buffer_gl0_inv
	s_clause 0x1
	buffer_load_dword v5, off, s[0:3], 0 offset:288
	buffer_load_dword v6, off, s[0:3], 0 offset:292
	s_mov_b32 s4, exec_lo
	s_waitcnt vmcnt(0)
	ds_write_b64 v4, v[5:6]
	s_waitcnt lgkmcnt(0)
	s_barrier
	buffer_gl0_inv
	v_cmpx_gt_u32_e32 36, v0
	s_cbranch_execz .LBB106_159
; %bb.156:
	v_add_nc_u32_e32 v5, -1, v0
	v_add_nc_u32_e32 v6, 0x160, v3
	v_mov_b32_e32 v7, v3
	v_mov_b32_e32 v2, 0
	;; [unrolled: 1-line block ×3, first 2 shown]
	s_mov_b32 s5, 0
	.p2align	6
.LBB106_157:                            ; =>This Inner Loop Header: Depth=1
	s_clause 0x1
	buffer_load_dword v97, v7, s[0:3], 0 offen offset:4
	buffer_load_dword v98, v7, s[0:3], 0 offen
	ds_read_b64 v[95:96], v6
	v_add_nc_u32_e32 v5, 1, v5
	v_add_nc_u32_e32 v6, 8, v6
	;; [unrolled: 1-line block ×3, first 2 shown]
	v_cmp_lt_u32_e32 vcc_lo, 34, v5
	s_or_b32 s5, vcc_lo, s5
	s_waitcnt vmcnt(1) lgkmcnt(0)
	v_mul_f32_e32 v99, v96, v97
	v_mul_f32_e32 v97, v95, v97
	s_waitcnt vmcnt(0)
	v_fma_f32 v95, v95, v98, -v99
	v_fmac_f32_e32 v97, v96, v98
	v_add_f32_e32 v8, v8, v95
	v_add_f32_e32 v2, v2, v97
	s_andn2_b32 exec_lo, exec_lo, s5
	s_cbranch_execnz .LBB106_157
; %bb.158:
	s_or_b32 exec_lo, exec_lo, s5
	v_mov_b32_e32 v5, 0
	ds_read_b64 v[5:6], v5 offset:288
	s_waitcnt lgkmcnt(0)
	v_mul_f32_e32 v7, v2, v6
	v_mul_f32_e32 v6, v8, v6
	v_fma_f32 v7, v8, v5, -v7
	v_fmac_f32_e32 v6, v2, v5
	buffer_store_dword v7, off, s[0:3], 0 offset:288
	buffer_store_dword v6, off, s[0:3], 0 offset:292
.LBB106_159:
	s_or_b32 exec_lo, exec_lo, s4
	s_waitcnt_vscnt null, 0x0
	s_barrier
	buffer_gl0_inv
	s_clause 0x1
	buffer_load_dword v5, off, s[0:3], 0 offset:296
	buffer_load_dword v6, off, s[0:3], 0 offset:300
	s_mov_b32 s4, exec_lo
	s_waitcnt vmcnt(0)
	ds_write_b64 v4, v[5:6]
	s_waitcnt lgkmcnt(0)
	s_barrier
	buffer_gl0_inv
	v_cmpx_gt_u32_e32 37, v0
	s_cbranch_execz .LBB106_163
; %bb.160:
	v_add_nc_u32_e32 v5, -1, v0
	v_add_nc_u32_e32 v6, 0x160, v3
	v_mov_b32_e32 v7, v3
	v_mov_b32_e32 v2, 0
	;; [unrolled: 1-line block ×3, first 2 shown]
	s_mov_b32 s5, 0
	.p2align	6
.LBB106_161:                            ; =>This Inner Loop Header: Depth=1
	s_clause 0x1
	buffer_load_dword v97, v7, s[0:3], 0 offen offset:4
	buffer_load_dword v98, v7, s[0:3], 0 offen
	ds_read_b64 v[95:96], v6
	v_add_nc_u32_e32 v5, 1, v5
	v_add_nc_u32_e32 v6, 8, v6
	;; [unrolled: 1-line block ×3, first 2 shown]
	v_cmp_lt_u32_e32 vcc_lo, 35, v5
	s_or_b32 s5, vcc_lo, s5
	s_waitcnt vmcnt(1) lgkmcnt(0)
	v_mul_f32_e32 v99, v96, v97
	v_mul_f32_e32 v97, v95, v97
	s_waitcnt vmcnt(0)
	v_fma_f32 v95, v95, v98, -v99
	v_fmac_f32_e32 v97, v96, v98
	v_add_f32_e32 v8, v8, v95
	v_add_f32_e32 v2, v2, v97
	s_andn2_b32 exec_lo, exec_lo, s5
	s_cbranch_execnz .LBB106_161
; %bb.162:
	s_or_b32 exec_lo, exec_lo, s5
	v_mov_b32_e32 v5, 0
	ds_read_b64 v[5:6], v5 offset:296
	s_waitcnt lgkmcnt(0)
	v_mul_f32_e32 v7, v2, v6
	v_mul_f32_e32 v6, v8, v6
	v_fma_f32 v7, v8, v5, -v7
	v_fmac_f32_e32 v6, v2, v5
	buffer_store_dword v7, off, s[0:3], 0 offset:296
	buffer_store_dword v6, off, s[0:3], 0 offset:300
.LBB106_163:
	s_or_b32 exec_lo, exec_lo, s4
	s_waitcnt_vscnt null, 0x0
	s_barrier
	buffer_gl0_inv
	s_clause 0x1
	buffer_load_dword v5, off, s[0:3], 0 offset:304
	buffer_load_dword v6, off, s[0:3], 0 offset:308
	s_mov_b32 s4, exec_lo
	s_waitcnt vmcnt(0)
	ds_write_b64 v4, v[5:6]
	s_waitcnt lgkmcnt(0)
	s_barrier
	buffer_gl0_inv
	v_cmpx_gt_u32_e32 38, v0
	s_cbranch_execz .LBB106_167
; %bb.164:
	v_add_nc_u32_e32 v5, -1, v0
	v_add_nc_u32_e32 v6, 0x160, v3
	v_mov_b32_e32 v7, v3
	v_mov_b32_e32 v2, 0
	;; [unrolled: 1-line block ×3, first 2 shown]
	s_mov_b32 s5, 0
	.p2align	6
.LBB106_165:                            ; =>This Inner Loop Header: Depth=1
	s_clause 0x1
	buffer_load_dword v97, v7, s[0:3], 0 offen offset:4
	buffer_load_dword v98, v7, s[0:3], 0 offen
	ds_read_b64 v[95:96], v6
	v_add_nc_u32_e32 v5, 1, v5
	v_add_nc_u32_e32 v6, 8, v6
	;; [unrolled: 1-line block ×3, first 2 shown]
	v_cmp_lt_u32_e32 vcc_lo, 36, v5
	s_or_b32 s5, vcc_lo, s5
	s_waitcnt vmcnt(1) lgkmcnt(0)
	v_mul_f32_e32 v99, v96, v97
	v_mul_f32_e32 v97, v95, v97
	s_waitcnt vmcnt(0)
	v_fma_f32 v95, v95, v98, -v99
	v_fmac_f32_e32 v97, v96, v98
	v_add_f32_e32 v8, v8, v95
	v_add_f32_e32 v2, v2, v97
	s_andn2_b32 exec_lo, exec_lo, s5
	s_cbranch_execnz .LBB106_165
; %bb.166:
	s_or_b32 exec_lo, exec_lo, s5
	v_mov_b32_e32 v5, 0
	ds_read_b64 v[5:6], v5 offset:304
	s_waitcnt lgkmcnt(0)
	v_mul_f32_e32 v7, v2, v6
	v_mul_f32_e32 v6, v8, v6
	v_fma_f32 v7, v8, v5, -v7
	v_fmac_f32_e32 v6, v2, v5
	buffer_store_dword v7, off, s[0:3], 0 offset:304
	buffer_store_dword v6, off, s[0:3], 0 offset:308
.LBB106_167:
	s_or_b32 exec_lo, exec_lo, s4
	s_waitcnt_vscnt null, 0x0
	s_barrier
	buffer_gl0_inv
	s_clause 0x1
	buffer_load_dword v5, off, s[0:3], 0 offset:312
	buffer_load_dword v6, off, s[0:3], 0 offset:316
	s_mov_b32 s4, exec_lo
	s_waitcnt vmcnt(0)
	ds_write_b64 v4, v[5:6]
	s_waitcnt lgkmcnt(0)
	s_barrier
	buffer_gl0_inv
	v_cmpx_gt_u32_e32 39, v0
	s_cbranch_execz .LBB106_171
; %bb.168:
	v_add_nc_u32_e32 v5, -1, v0
	v_add_nc_u32_e32 v6, 0x160, v3
	v_mov_b32_e32 v7, v3
	v_mov_b32_e32 v2, 0
	;; [unrolled: 1-line block ×3, first 2 shown]
	s_mov_b32 s5, 0
	.p2align	6
.LBB106_169:                            ; =>This Inner Loop Header: Depth=1
	s_clause 0x1
	buffer_load_dword v97, v7, s[0:3], 0 offen offset:4
	buffer_load_dword v98, v7, s[0:3], 0 offen
	ds_read_b64 v[95:96], v6
	v_add_nc_u32_e32 v5, 1, v5
	v_add_nc_u32_e32 v6, 8, v6
	;; [unrolled: 1-line block ×3, first 2 shown]
	v_cmp_lt_u32_e32 vcc_lo, 37, v5
	s_or_b32 s5, vcc_lo, s5
	s_waitcnt vmcnt(1) lgkmcnt(0)
	v_mul_f32_e32 v99, v96, v97
	v_mul_f32_e32 v97, v95, v97
	s_waitcnt vmcnt(0)
	v_fma_f32 v95, v95, v98, -v99
	v_fmac_f32_e32 v97, v96, v98
	v_add_f32_e32 v8, v8, v95
	v_add_f32_e32 v2, v2, v97
	s_andn2_b32 exec_lo, exec_lo, s5
	s_cbranch_execnz .LBB106_169
; %bb.170:
	s_or_b32 exec_lo, exec_lo, s5
	v_mov_b32_e32 v5, 0
	ds_read_b64 v[5:6], v5 offset:312
	s_waitcnt lgkmcnt(0)
	v_mul_f32_e32 v7, v2, v6
	v_mul_f32_e32 v6, v8, v6
	v_fma_f32 v7, v8, v5, -v7
	v_fmac_f32_e32 v6, v2, v5
	buffer_store_dword v7, off, s[0:3], 0 offset:312
	buffer_store_dword v6, off, s[0:3], 0 offset:316
.LBB106_171:
	s_or_b32 exec_lo, exec_lo, s4
	s_waitcnt_vscnt null, 0x0
	s_barrier
	buffer_gl0_inv
	s_clause 0x1
	buffer_load_dword v5, off, s[0:3], 0 offset:320
	buffer_load_dword v6, off, s[0:3], 0 offset:324
	s_mov_b32 s4, exec_lo
	s_waitcnt vmcnt(0)
	ds_write_b64 v4, v[5:6]
	s_waitcnt lgkmcnt(0)
	s_barrier
	buffer_gl0_inv
	v_cmpx_gt_u32_e32 40, v0
	s_cbranch_execz .LBB106_175
; %bb.172:
	v_add_nc_u32_e32 v5, -1, v0
	v_add_nc_u32_e32 v6, 0x160, v3
	v_mov_b32_e32 v7, v3
	v_mov_b32_e32 v2, 0
	;; [unrolled: 1-line block ×3, first 2 shown]
	s_mov_b32 s5, 0
	.p2align	6
.LBB106_173:                            ; =>This Inner Loop Header: Depth=1
	s_clause 0x1
	buffer_load_dword v97, v7, s[0:3], 0 offen offset:4
	buffer_load_dword v98, v7, s[0:3], 0 offen
	ds_read_b64 v[95:96], v6
	v_add_nc_u32_e32 v5, 1, v5
	v_add_nc_u32_e32 v6, 8, v6
	;; [unrolled: 1-line block ×3, first 2 shown]
	v_cmp_lt_u32_e32 vcc_lo, 38, v5
	s_or_b32 s5, vcc_lo, s5
	s_waitcnt vmcnt(1) lgkmcnt(0)
	v_mul_f32_e32 v99, v96, v97
	v_mul_f32_e32 v97, v95, v97
	s_waitcnt vmcnt(0)
	v_fma_f32 v95, v95, v98, -v99
	v_fmac_f32_e32 v97, v96, v98
	v_add_f32_e32 v8, v8, v95
	v_add_f32_e32 v2, v2, v97
	s_andn2_b32 exec_lo, exec_lo, s5
	s_cbranch_execnz .LBB106_173
; %bb.174:
	s_or_b32 exec_lo, exec_lo, s5
	v_mov_b32_e32 v5, 0
	ds_read_b64 v[5:6], v5 offset:320
	s_waitcnt lgkmcnt(0)
	v_mul_f32_e32 v7, v2, v6
	v_mul_f32_e32 v6, v8, v6
	v_fma_f32 v7, v8, v5, -v7
	v_fmac_f32_e32 v6, v2, v5
	buffer_store_dword v7, off, s[0:3], 0 offset:320
	buffer_store_dword v6, off, s[0:3], 0 offset:324
.LBB106_175:
	s_or_b32 exec_lo, exec_lo, s4
	s_waitcnt_vscnt null, 0x0
	s_barrier
	buffer_gl0_inv
	s_clause 0x1
	buffer_load_dword v5, off, s[0:3], 0 offset:328
	buffer_load_dword v6, off, s[0:3], 0 offset:332
	s_mov_b32 s4, exec_lo
	s_waitcnt vmcnt(0)
	ds_write_b64 v4, v[5:6]
	s_waitcnt lgkmcnt(0)
	s_barrier
	buffer_gl0_inv
	v_cmpx_gt_u32_e32 41, v0
	s_cbranch_execz .LBB106_179
; %bb.176:
	v_add_nc_u32_e32 v5, -1, v0
	v_add_nc_u32_e32 v6, 0x160, v3
	v_mov_b32_e32 v7, v3
	v_mov_b32_e32 v2, 0
	;; [unrolled: 1-line block ×3, first 2 shown]
	s_mov_b32 s5, 0
	.p2align	6
.LBB106_177:                            ; =>This Inner Loop Header: Depth=1
	s_clause 0x1
	buffer_load_dword v97, v7, s[0:3], 0 offen offset:4
	buffer_load_dword v98, v7, s[0:3], 0 offen
	ds_read_b64 v[95:96], v6
	v_add_nc_u32_e32 v5, 1, v5
	v_add_nc_u32_e32 v6, 8, v6
	;; [unrolled: 1-line block ×3, first 2 shown]
	v_cmp_lt_u32_e32 vcc_lo, 39, v5
	s_or_b32 s5, vcc_lo, s5
	s_waitcnt vmcnt(1) lgkmcnt(0)
	v_mul_f32_e32 v99, v96, v97
	v_mul_f32_e32 v97, v95, v97
	s_waitcnt vmcnt(0)
	v_fma_f32 v95, v95, v98, -v99
	v_fmac_f32_e32 v97, v96, v98
	v_add_f32_e32 v8, v8, v95
	v_add_f32_e32 v2, v2, v97
	s_andn2_b32 exec_lo, exec_lo, s5
	s_cbranch_execnz .LBB106_177
; %bb.178:
	s_or_b32 exec_lo, exec_lo, s5
	v_mov_b32_e32 v5, 0
	ds_read_b64 v[5:6], v5 offset:328
	s_waitcnt lgkmcnt(0)
	v_mul_f32_e32 v7, v2, v6
	v_mul_f32_e32 v6, v8, v6
	v_fma_f32 v7, v8, v5, -v7
	v_fmac_f32_e32 v6, v2, v5
	buffer_store_dword v7, off, s[0:3], 0 offset:328
	buffer_store_dword v6, off, s[0:3], 0 offset:332
.LBB106_179:
	s_or_b32 exec_lo, exec_lo, s4
	s_waitcnt_vscnt null, 0x0
	s_barrier
	buffer_gl0_inv
	s_clause 0x1
	buffer_load_dword v5, off, s[0:3], 0 offset:336
	buffer_load_dword v6, off, s[0:3], 0 offset:340
	s_mov_b32 s4, exec_lo
	s_waitcnt vmcnt(0)
	ds_write_b64 v4, v[5:6]
	s_waitcnt lgkmcnt(0)
	s_barrier
	buffer_gl0_inv
	v_cmpx_ne_u32_e32 42, v0
	s_cbranch_execz .LBB106_183
; %bb.180:
	v_mov_b32_e32 v2, 0
	v_mov_b32_e32 v5, 0
	s_mov_b32 s5, 0
	.p2align	6
.LBB106_181:                            ; =>This Inner Loop Header: Depth=1
	s_clause 0x1
	buffer_load_dword v8, v3, s[0:3], 0 offen offset:4
	buffer_load_dword v95, v3, s[0:3], 0 offen
	ds_read_b64 v[6:7], v4
	v_add_nc_u32_e32 v1, 1, v1
	v_add_nc_u32_e32 v4, 8, v4
	;; [unrolled: 1-line block ×3, first 2 shown]
	v_cmp_lt_u32_e32 vcc_lo, 40, v1
	s_or_b32 s5, vcc_lo, s5
	s_waitcnt vmcnt(1) lgkmcnt(0)
	v_mul_f32_e32 v96, v7, v8
	v_mul_f32_e32 v8, v6, v8
	s_waitcnt vmcnt(0)
	v_fma_f32 v6, v6, v95, -v96
	v_fmac_f32_e32 v8, v7, v95
	v_add_f32_e32 v5, v5, v6
	v_add_f32_e32 v2, v2, v8
	s_andn2_b32 exec_lo, exec_lo, s5
	s_cbranch_execnz .LBB106_181
; %bb.182:
	s_or_b32 exec_lo, exec_lo, s5
	v_mov_b32_e32 v1, 0
	ds_read_b64 v[3:4], v1 offset:336
	s_waitcnt lgkmcnt(0)
	v_mul_f32_e32 v1, v2, v4
	v_mul_f32_e32 v4, v5, v4
	v_fma_f32 v1, v5, v3, -v1
	v_fmac_f32_e32 v4, v2, v3
	buffer_store_dword v1, off, s[0:3], 0 offset:336
	buffer_store_dword v4, off, s[0:3], 0 offset:340
.LBB106_183:
	s_or_b32 exec_lo, exec_lo, s4
	s_mov_b32 s5, -1
	s_waitcnt_vscnt null, 0x0
	s_barrier
	buffer_gl0_inv
.LBB106_184:
	s_and_b32 vcc_lo, exec_lo, s5
	s_cbranch_vccz .LBB106_186
; %bb.185:
	s_lshl_b64 s[4:5], s[6:7], 2
	v_mov_b32_e32 v1, 0
	s_add_u32 s4, s10, s4
	s_addc_u32 s5, s11, s5
	global_load_dword v1, v1, s[4:5]
	s_waitcnt vmcnt(0)
	v_cmp_ne_u32_e32 vcc_lo, 0, v1
	s_cbranch_vccz .LBB106_187
.LBB106_186:
	s_endpgm
.LBB106_187:
	v_lshl_add_u32 v95, v0, 3, 0x160
	s_mov_b32 s4, exec_lo
	v_cmpx_eq_u32_e32 42, v0
	s_cbranch_execz .LBB106_189
; %bb.188:
	s_clause 0x1
	buffer_load_dword v1, off, s[0:3], 0 offset:328
	buffer_load_dword v2, off, s[0:3], 0 offset:332
	v_mov_b32_e32 v3, 0
	buffer_store_dword v3, off, s[0:3], 0 offset:328
	buffer_store_dword v3, off, s[0:3], 0 offset:332
	s_waitcnt vmcnt(0)
	ds_write_b64 v95, v[1:2]
.LBB106_189:
	s_or_b32 exec_lo, exec_lo, s4
	s_waitcnt lgkmcnt(0)
	s_waitcnt_vscnt null, 0x0
	s_barrier
	buffer_gl0_inv
	s_clause 0x3
	buffer_load_dword v4, off, s[0:3], 0 offset:340
	buffer_load_dword v5, off, s[0:3], 0 offset:336
	buffer_load_dword v6, off, s[0:3], 0 offset:328
	buffer_load_dword v7, off, s[0:3], 0 offset:332
	v_mov_b32_e32 v1, 0
	s_mov_b32 s4, exec_lo
	ds_read_b64 v[2:3], v1 offset:688
	s_waitcnt vmcnt(3) lgkmcnt(0)
	v_mul_f32_e32 v8, v3, v4
	v_mul_f32_e32 v4, v2, v4
	s_waitcnt vmcnt(2)
	v_fma_f32 v2, v2, v5, -v8
	v_fmac_f32_e32 v4, v3, v5
	v_add_f32_e32 v2, 0, v2
	v_add_f32_e32 v3, 0, v4
	s_waitcnt vmcnt(1)
	v_sub_f32_e32 v2, v6, v2
	s_waitcnt vmcnt(0)
	v_sub_f32_e32 v3, v7, v3
	buffer_store_dword v2, off, s[0:3], 0 offset:328
	buffer_store_dword v3, off, s[0:3], 0 offset:332
	v_cmpx_lt_u32_e32 40, v0
	s_cbranch_execz .LBB106_191
; %bb.190:
	s_clause 0x1
	buffer_load_dword v2, off, s[0:3], 0 offset:320
	buffer_load_dword v3, off, s[0:3], 0 offset:324
	buffer_store_dword v1, off, s[0:3], 0 offset:320
	buffer_store_dword v1, off, s[0:3], 0 offset:324
	s_waitcnt vmcnt(0)
	ds_write_b64 v95, v[2:3]
.LBB106_191:
	s_or_b32 exec_lo, exec_lo, s4
	s_waitcnt lgkmcnt(0)
	s_waitcnt_vscnt null, 0x0
	s_barrier
	buffer_gl0_inv
	s_clause 0x5
	buffer_load_dword v5, off, s[0:3], 0 offset:332
	buffer_load_dword v6, off, s[0:3], 0 offset:340
	;; [unrolled: 1-line block ×6, first 2 shown]
	ds_read2_b64 v[1:4], v1 offset0:85 offset1:86
	s_mov_b32 s4, exec_lo
	s_waitcnt vmcnt(5) lgkmcnt(0)
	v_mul_f32_e32 v98, v2, v5
	v_mul_f32_e32 v5, v1, v5
	s_waitcnt vmcnt(4)
	v_mul_f32_e32 v99, v3, v6
	v_mul_f32_e32 v6, v4, v6
	s_waitcnt vmcnt(3)
	v_fma_f32 v1, v1, v7, -v98
	v_fmac_f32_e32 v5, v2, v7
	s_waitcnt vmcnt(2)
	v_fmac_f32_e32 v99, v4, v8
	v_fma_f32 v2, v3, v8, -v6
	v_add_f32_e32 v1, 0, v1
	v_add_f32_e32 v3, 0, v5
	v_add_f32_e32 v1, v1, v2
	v_add_f32_e32 v2, v3, v99
	s_waitcnt vmcnt(1)
	v_sub_f32_e32 v1, v96, v1
	s_waitcnt vmcnt(0)
	v_sub_f32_e32 v2, v97, v2
	buffer_store_dword v1, off, s[0:3], 0 offset:320
	buffer_store_dword v2, off, s[0:3], 0 offset:324
	v_cmpx_lt_u32_e32 39, v0
	s_cbranch_execz .LBB106_193
; %bb.192:
	s_clause 0x1
	buffer_load_dword v1, off, s[0:3], 0 offset:312
	buffer_load_dword v2, off, s[0:3], 0 offset:316
	v_mov_b32_e32 v3, 0
	buffer_store_dword v3, off, s[0:3], 0 offset:312
	buffer_store_dword v3, off, s[0:3], 0 offset:316
	s_waitcnt vmcnt(0)
	ds_write_b64 v95, v[1:2]
.LBB106_193:
	s_or_b32 exec_lo, exec_lo, s4
	s_waitcnt lgkmcnt(0)
	s_waitcnt_vscnt null, 0x0
	s_barrier
	buffer_gl0_inv
	s_clause 0x7
	buffer_load_dword v8, off, s[0:3], 0 offset:324
	buffer_load_dword v96, off, s[0:3], 0 offset:332
	;; [unrolled: 1-line block ×8, first 2 shown]
	v_mov_b32_e32 v1, 0
	ds_read_b128 v[2:5], v1 offset:672
	ds_read_b64 v[6:7], v1 offset:688
	s_mov_b32 s4, exec_lo
	s_waitcnt vmcnt(7) lgkmcnt(1)
	v_mul_f32_e32 v103, v3, v8
	v_mul_f32_e32 v8, v2, v8
	s_waitcnt vmcnt(6)
	v_mul_f32_e32 v104, v4, v96
	v_mul_f32_e32 v96, v5, v96
	s_waitcnt vmcnt(5) lgkmcnt(0)
	v_mul_f32_e32 v105, v6, v97
	s_waitcnt vmcnt(4)
	v_fma_f32 v2, v2, v98, -v103
	v_fmac_f32_e32 v8, v3, v98
	v_mul_f32_e32 v3, v7, v97
	s_waitcnt vmcnt(3)
	v_fma_f32 v4, v4, v99, -v96
	v_fmac_f32_e32 v104, v5, v99
	v_add_f32_e32 v2, 0, v2
	v_add_f32_e32 v5, 0, v8
	s_waitcnt vmcnt(2)
	v_fma_f32 v3, v6, v100, -v3
	v_fmac_f32_e32 v105, v7, v100
	v_add_f32_e32 v2, v2, v4
	v_add_f32_e32 v4, v5, v104
	v_add_f32_e32 v2, v2, v3
	v_add_f32_e32 v3, v4, v105
	s_waitcnt vmcnt(1)
	v_sub_f32_e32 v2, v101, v2
	s_waitcnt vmcnt(0)
	v_sub_f32_e32 v3, v102, v3
	buffer_store_dword v2, off, s[0:3], 0 offset:312
	buffer_store_dword v3, off, s[0:3], 0 offset:316
	v_cmpx_lt_u32_e32 38, v0
	s_cbranch_execz .LBB106_195
; %bb.194:
	s_clause 0x1
	buffer_load_dword v2, off, s[0:3], 0 offset:304
	buffer_load_dword v3, off, s[0:3], 0 offset:308
	buffer_store_dword v1, off, s[0:3], 0 offset:304
	buffer_store_dword v1, off, s[0:3], 0 offset:308
	s_waitcnt vmcnt(0)
	ds_write_b64 v95, v[2:3]
.LBB106_195:
	s_or_b32 exec_lo, exec_lo, s4
	s_waitcnt lgkmcnt(0)
	s_waitcnt_vscnt null, 0x0
	s_barrier
	buffer_gl0_inv
	s_clause 0x9
	buffer_load_dword v6, off, s[0:3], 0 offset:316
	buffer_load_dword v7, off, s[0:3], 0 offset:324
	;; [unrolled: 1-line block ×10, first 2 shown]
	ds_read2_b64 v[2:5], v1 offset0:83 offset1:84
	ds_read2_b64 v[96:99], v1 offset0:85 offset1:86
	s_mov_b32 s4, exec_lo
	s_waitcnt vmcnt(9) lgkmcnt(1)
	v_mul_f32_e32 v1, v2, v6
	v_mul_f32_e32 v6, v3, v6
	s_waitcnt vmcnt(8)
	v_mul_f32_e32 v107, v4, v7
	v_mul_f32_e32 v7, v5, v7
	s_waitcnt vmcnt(7) lgkmcnt(0)
	v_mul_f32_e32 v108, v96, v8
	s_waitcnt vmcnt(5)
	v_fmac_f32_e32 v1, v3, v101
	v_fma_f32 v2, v2, v101, -v6
	v_mul_f32_e32 v3, v97, v8
	s_waitcnt vmcnt(4)
	v_fma_f32 v4, v4, v102, -v7
	v_fmac_f32_e32 v107, v5, v102
	v_add_f32_e32 v1, 0, v1
	v_add_f32_e32 v2, 0, v2
	v_mul_f32_e32 v5, v99, v100
	s_waitcnt vmcnt(3)
	v_fma_f32 v3, v96, v103, -v3
	v_mul_f32_e32 v109, v98, v100
	v_fmac_f32_e32 v108, v97, v103
	v_add_f32_e32 v2, v2, v4
	v_add_f32_e32 v1, v1, v107
	s_waitcnt vmcnt(2)
	v_fma_f32 v4, v98, v104, -v5
	v_fmac_f32_e32 v109, v99, v104
	v_add_f32_e32 v2, v2, v3
	v_add_f32_e32 v1, v1, v108
	;; [unrolled: 1-line block ×4, first 2 shown]
	s_waitcnt vmcnt(1)
	v_sub_f32_e32 v2, v105, v2
	s_waitcnt vmcnt(0)
	v_sub_f32_e32 v1, v106, v1
	buffer_store_dword v2, off, s[0:3], 0 offset:304
	buffer_store_dword v1, off, s[0:3], 0 offset:308
	v_cmpx_lt_u32_e32 37, v0
	s_cbranch_execz .LBB106_197
; %bb.196:
	s_clause 0x1
	buffer_load_dword v1, off, s[0:3], 0 offset:296
	buffer_load_dword v2, off, s[0:3], 0 offset:300
	v_mov_b32_e32 v3, 0
	buffer_store_dword v3, off, s[0:3], 0 offset:296
	buffer_store_dword v3, off, s[0:3], 0 offset:300
	s_waitcnt vmcnt(0)
	ds_write_b64 v95, v[1:2]
.LBB106_197:
	s_or_b32 exec_lo, exec_lo, s4
	s_waitcnt lgkmcnt(0)
	s_waitcnt_vscnt null, 0x0
	s_barrier
	buffer_gl0_inv
	s_clause 0xb
	buffer_load_dword v8, off, s[0:3], 0 offset:308
	buffer_load_dword v100, off, s[0:3], 0 offset:316
	;; [unrolled: 1-line block ×12, first 2 shown]
	v_mov_b32_e32 v1, 0
	ds_read_b128 v[2:5], v1 offset:656
	ds_read_b128 v[96:99], v1 offset:672
	ds_read_b64 v[6:7], v1 offset:688
	s_mov_b32 s4, exec_lo
	s_waitcnt vmcnt(11) lgkmcnt(2)
	v_mul_f32_e32 v111, v2, v8
	v_mul_f32_e32 v8, v3, v8
	s_waitcnt vmcnt(10)
	v_mul_f32_e32 v112, v4, v100
	v_mul_f32_e32 v100, v5, v100
	s_waitcnt vmcnt(9) lgkmcnt(1)
	v_mul_f32_e32 v113, v96, v101
	s_waitcnt vmcnt(6)
	v_fmac_f32_e32 v111, v3, v104
	v_fma_f32 v2, v2, v104, -v8
	v_mul_f32_e32 v3, v97, v101
	s_waitcnt vmcnt(5)
	v_fma_f32 v4, v4, v105, -v100
	v_fmac_f32_e32 v112, v5, v105
	v_add_f32_e32 v5, 0, v111
	v_add_f32_e32 v2, 0, v2
	v_mul_f32_e32 v8, v99, v102
	s_waitcnt vmcnt(4)
	v_fma_f32 v3, v96, v106, -v3
	v_mul_f32_e32 v114, v98, v102
	v_fmac_f32_e32 v113, v97, v106
	v_add_f32_e32 v2, v2, v4
	v_add_f32_e32 v4, v5, v112
	s_waitcnt lgkmcnt(0)
	v_mul_f32_e32 v5, v7, v103
	s_waitcnt vmcnt(3)
	v_fma_f32 v8, v98, v107, -v8
	v_mul_f32_e32 v115, v6, v103
	v_add_f32_e32 v2, v2, v3
	v_fmac_f32_e32 v114, v99, v107
	v_add_f32_e32 v3, v4, v113
	s_waitcnt vmcnt(2)
	v_fma_f32 v4, v6, v108, -v5
	v_fmac_f32_e32 v115, v7, v108
	v_add_f32_e32 v2, v2, v8
	v_add_f32_e32 v3, v3, v114
	;; [unrolled: 1-line block ×4, first 2 shown]
	s_waitcnt vmcnt(1)
	v_sub_f32_e32 v2, v109, v2
	s_waitcnt vmcnt(0)
	v_sub_f32_e32 v3, v110, v3
	buffer_store_dword v2, off, s[0:3], 0 offset:296
	buffer_store_dword v3, off, s[0:3], 0 offset:300
	v_cmpx_lt_u32_e32 36, v0
	s_cbranch_execz .LBB106_199
; %bb.198:
	s_clause 0x1
	buffer_load_dword v2, off, s[0:3], 0 offset:288
	buffer_load_dword v3, off, s[0:3], 0 offset:292
	buffer_store_dword v1, off, s[0:3], 0 offset:288
	buffer_store_dword v1, off, s[0:3], 0 offset:292
	s_waitcnt vmcnt(0)
	ds_write_b64 v95, v[2:3]
.LBB106_199:
	s_or_b32 exec_lo, exec_lo, s4
	s_waitcnt lgkmcnt(0)
	s_waitcnt_vscnt null, 0x0
	s_barrier
	buffer_gl0_inv
	s_clause 0xd
	buffer_load_dword v6, off, s[0:3], 0 offset:300
	buffer_load_dword v7, off, s[0:3], 0 offset:308
	;; [unrolled: 1-line block ×14, first 2 shown]
	ds_read2_b64 v[2:5], v1 offset0:81 offset1:82
	ds_read2_b64 v[96:99], v1 offset0:83 offset1:84
	;; [unrolled: 1-line block ×3, first 2 shown]
	s_mov_b32 s4, exec_lo
	s_waitcnt vmcnt(13) lgkmcnt(2)
	v_mul_f32_e32 v1, v2, v6
	v_mul_f32_e32 v6, v3, v6
	s_waitcnt vmcnt(12)
	v_mul_f32_e32 v115, v4, v7
	v_mul_f32_e32 v7, v5, v7
	s_waitcnt vmcnt(11) lgkmcnt(1)
	v_mul_f32_e32 v116, v96, v8
	s_waitcnt vmcnt(10)
	v_mul_f32_e32 v117, v98, v104
	s_waitcnt vmcnt(7)
	v_fma_f32 v2, v2, v107, -v6
	v_fmac_f32_e32 v1, v3, v107
	v_mul_f32_e32 v3, v97, v8
	s_waitcnt vmcnt(6)
	v_fma_f32 v4, v4, v108, -v7
	v_fmac_f32_e32 v115, v5, v108
	v_add_f32_e32 v2, 0, v2
	v_add_f32_e32 v1, 0, v1
	v_mul_f32_e32 v5, v99, v104
	s_waitcnt vmcnt(5)
	v_fma_f32 v3, v96, v109, -v3
	v_fmac_f32_e32 v116, v97, v109
	v_add_f32_e32 v2, v2, v4
	v_add_f32_e32 v1, v1, v115
	s_waitcnt lgkmcnt(0)
	v_mul_f32_e32 v4, v101, v105
	s_waitcnt vmcnt(4)
	v_fma_f32 v5, v98, v110, -v5
	v_mul_f32_e32 v118, v100, v105
	v_add_f32_e32 v2, v2, v3
	v_fmac_f32_e32 v117, v99, v110
	v_add_f32_e32 v1, v1, v116
	v_mul_f32_e32 v3, v103, v106
	s_waitcnt vmcnt(3)
	v_fma_f32 v4, v100, v111, -v4
	v_add_f32_e32 v2, v2, v5
	v_mul_f32_e32 v119, v102, v106
	v_fmac_f32_e32 v118, v101, v111
	v_add_f32_e32 v1, v1, v117
	s_waitcnt vmcnt(2)
	v_fma_f32 v3, v102, v112, -v3
	v_add_f32_e32 v2, v2, v4
	v_fmac_f32_e32 v119, v103, v112
	v_add_f32_e32 v1, v1, v118
	v_add_f32_e32 v2, v2, v3
	;; [unrolled: 1-line block ×3, first 2 shown]
	s_waitcnt vmcnt(1)
	v_sub_f32_e32 v2, v113, v2
	s_waitcnt vmcnt(0)
	v_sub_f32_e32 v1, v114, v1
	buffer_store_dword v2, off, s[0:3], 0 offset:288
	buffer_store_dword v1, off, s[0:3], 0 offset:292
	v_cmpx_lt_u32_e32 35, v0
	s_cbranch_execz .LBB106_201
; %bb.200:
	s_clause 0x1
	buffer_load_dword v1, off, s[0:3], 0 offset:280
	buffer_load_dword v2, off, s[0:3], 0 offset:284
	v_mov_b32_e32 v3, 0
	buffer_store_dword v3, off, s[0:3], 0 offset:280
	buffer_store_dword v3, off, s[0:3], 0 offset:284
	s_waitcnt vmcnt(0)
	ds_write_b64 v95, v[1:2]
.LBB106_201:
	s_or_b32 exec_lo, exec_lo, s4
	s_waitcnt lgkmcnt(0)
	s_waitcnt_vscnt null, 0x0
	s_barrier
	buffer_gl0_inv
	s_clause 0xf
	buffer_load_dword v8, off, s[0:3], 0 offset:292
	buffer_load_dword v104, off, s[0:3], 0 offset:300
	;; [unrolled: 1-line block ×16, first 2 shown]
	v_mov_b32_e32 v1, 0
	ds_read_b128 v[2:5], v1 offset:640
	ds_read_b128 v[96:99], v1 offset:656
	;; [unrolled: 1-line block ×3, first 2 shown]
	ds_read_b64 v[6:7], v1 offset:688
	s_mov_b32 s4, exec_lo
	s_waitcnt vmcnt(15) lgkmcnt(3)
	v_mul_f32_e32 v119, v2, v8
	v_mul_f32_e32 v8, v3, v8
	s_waitcnt vmcnt(14)
	v_mul_f32_e32 v120, v4, v104
	v_mul_f32_e32 v104, v5, v104
	s_waitcnt vmcnt(13) lgkmcnt(2)
	v_mul_f32_e32 v121, v96, v105
	s_waitcnt vmcnt(12)
	v_mul_f32_e32 v122, v98, v106
	s_waitcnt vmcnt(11) lgkmcnt(1)
	v_mul_f32_e32 v123, v100, v107
	s_waitcnt vmcnt(8)
	v_fma_f32 v2, v2, v110, -v8
	v_fmac_f32_e32 v119, v3, v110
	v_mul_f32_e32 v3, v97, v105
	s_waitcnt vmcnt(7)
	v_fma_f32 v4, v4, v111, -v104
	v_fmac_f32_e32 v120, v5, v111
	v_add_f32_e32 v2, 0, v2
	v_add_f32_e32 v5, 0, v119
	v_mul_f32_e32 v8, v99, v106
	s_waitcnt vmcnt(6)
	v_fma_f32 v3, v96, v112, -v3
	v_fmac_f32_e32 v121, v97, v112
	v_add_f32_e32 v2, v2, v4
	v_add_f32_e32 v4, v5, v120
	;; [unrolled: 6-line block ×3, first 2 shown]
	v_mul_f32_e32 v4, v103, v108
	s_waitcnt vmcnt(4)
	v_fma_f32 v5, v100, v114, -v5
	v_mul_f32_e32 v124, v102, v108
	v_add_f32_e32 v2, v2, v8
	v_fmac_f32_e32 v123, v101, v114
	v_add_f32_e32 v3, v3, v122
	s_waitcnt lgkmcnt(0)
	v_mul_f32_e32 v8, v7, v109
	s_waitcnt vmcnt(3)
	v_fma_f32 v4, v102, v115, -v4
	v_add_f32_e32 v2, v2, v5
	v_mul_f32_e32 v125, v6, v109
	v_fmac_f32_e32 v124, v103, v115
	v_add_f32_e32 v3, v3, v123
	s_waitcnt vmcnt(2)
	v_fma_f32 v5, v6, v116, -v8
	v_add_f32_e32 v2, v2, v4
	v_fmac_f32_e32 v125, v7, v116
	v_add_f32_e32 v3, v3, v124
	v_add_f32_e32 v2, v2, v5
	;; [unrolled: 1-line block ×3, first 2 shown]
	s_waitcnt vmcnt(1)
	v_sub_f32_e32 v2, v117, v2
	s_waitcnt vmcnt(0)
	v_sub_f32_e32 v3, v118, v3
	buffer_store_dword v2, off, s[0:3], 0 offset:280
	buffer_store_dword v3, off, s[0:3], 0 offset:284
	v_cmpx_lt_u32_e32 34, v0
	s_cbranch_execz .LBB106_203
; %bb.202:
	s_clause 0x1
	buffer_load_dword v2, off, s[0:3], 0 offset:272
	buffer_load_dword v3, off, s[0:3], 0 offset:276
	buffer_store_dword v1, off, s[0:3], 0 offset:272
	buffer_store_dword v1, off, s[0:3], 0 offset:276
	s_waitcnt vmcnt(0)
	ds_write_b64 v95, v[2:3]
.LBB106_203:
	s_or_b32 exec_lo, exec_lo, s4
	s_waitcnt lgkmcnt(0)
	s_waitcnt_vscnt null, 0x0
	s_barrier
	buffer_gl0_inv
	s_clause 0x11
	buffer_load_dword v6, off, s[0:3], 0 offset:284
	buffer_load_dword v7, off, s[0:3], 0 offset:292
	;; [unrolled: 1-line block ×18, first 2 shown]
	ds_read2_b64 v[2:5], v1 offset0:79 offset1:80
	ds_read2_b64 v[96:99], v1 offset0:81 offset1:82
	;; [unrolled: 1-line block ×4, first 2 shown]
	s_mov_b32 s4, exec_lo
	s_waitcnt vmcnt(17) lgkmcnt(3)
	v_mul_f32_e32 v1, v2, v6
	v_mul_f32_e32 v6, v3, v6
	s_waitcnt vmcnt(16)
	v_mul_f32_e32 v123, v4, v7
	v_mul_f32_e32 v7, v5, v7
	s_waitcnt vmcnt(15) lgkmcnt(2)
	v_mul_f32_e32 v124, v96, v8
	s_waitcnt vmcnt(14)
	v_mul_f32_e32 v125, v98, v108
	s_waitcnt vmcnt(13) lgkmcnt(1)
	v_mul_f32_e32 v126, v100, v109
	s_waitcnt vmcnt(12)
	v_mul_f32_e32 v127, v102, v110
	s_waitcnt vmcnt(9)
	v_fma_f32 v2, v2, v113, -v6
	v_fmac_f32_e32 v1, v3, v113
	v_mul_f32_e32 v3, v97, v8
	s_waitcnt vmcnt(8)
	v_fma_f32 v4, v4, v114, -v7
	v_fmac_f32_e32 v123, v5, v114
	v_add_f32_e32 v2, 0, v2
	v_add_f32_e32 v1, 0, v1
	v_mul_f32_e32 v5, v99, v108
	s_waitcnt vmcnt(7)
	v_fma_f32 v3, v96, v115, -v3
	v_fmac_f32_e32 v124, v97, v115
	v_add_f32_e32 v2, v2, v4
	v_add_f32_e32 v1, v1, v123
	;; [unrolled: 6-line block ×4, first 2 shown]
	s_waitcnt lgkmcnt(0)
	v_mul_f32_e32 v5, v105, v111
	s_waitcnt vmcnt(4)
	v_fma_f32 v3, v102, v118, -v3
	v_mul_f32_e32 v128, v104, v111
	v_add_f32_e32 v2, v2, v4
	v_fmac_f32_e32 v127, v103, v118
	v_add_f32_e32 v1, v1, v126
	v_mul_f32_e32 v4, v107, v112
	s_waitcnt vmcnt(3)
	v_fma_f32 v5, v104, v119, -v5
	v_add_f32_e32 v2, v2, v3
	v_mul_f32_e32 v129, v106, v112
	v_fmac_f32_e32 v128, v105, v119
	v_add_f32_e32 v1, v1, v127
	s_waitcnt vmcnt(2)
	v_fma_f32 v3, v106, v120, -v4
	v_add_f32_e32 v2, v2, v5
	v_fmac_f32_e32 v129, v107, v120
	v_add_f32_e32 v1, v1, v128
	v_add_f32_e32 v2, v2, v3
	;; [unrolled: 1-line block ×3, first 2 shown]
	s_waitcnt vmcnt(1)
	v_sub_f32_e32 v2, v121, v2
	s_waitcnt vmcnt(0)
	v_sub_f32_e32 v1, v122, v1
	buffer_store_dword v2, off, s[0:3], 0 offset:272
	buffer_store_dword v1, off, s[0:3], 0 offset:276
	v_cmpx_lt_u32_e32 33, v0
	s_cbranch_execz .LBB106_205
; %bb.204:
	s_clause 0x1
	buffer_load_dword v1, off, s[0:3], 0 offset:264
	buffer_load_dword v2, off, s[0:3], 0 offset:268
	v_mov_b32_e32 v3, 0
	buffer_store_dword v3, off, s[0:3], 0 offset:264
	buffer_store_dword v3, off, s[0:3], 0 offset:268
	s_waitcnt vmcnt(0)
	ds_write_b64 v95, v[1:2]
.LBB106_205:
	s_or_b32 exec_lo, exec_lo, s4
	s_waitcnt lgkmcnt(0)
	s_waitcnt_vscnt null, 0x0
	s_barrier
	buffer_gl0_inv
	s_clause 0x13
	buffer_load_dword v8, off, s[0:3], 0 offset:276
	buffer_load_dword v108, off, s[0:3], 0 offset:284
	;; [unrolled: 1-line block ×20, first 2 shown]
	v_mov_b32_e32 v1, 0
	ds_read_b128 v[2:5], v1 offset:624
	ds_read_b128 v[96:99], v1 offset:640
	;; [unrolled: 1-line block ×4, first 2 shown]
	ds_read_b64 v[6:7], v1 offset:688
	s_mov_b32 s4, exec_lo
	s_waitcnt vmcnt(19) lgkmcnt(4)
	v_mul_f32_e32 v127, v2, v8
	v_mul_f32_e32 v8, v3, v8
	s_waitcnt vmcnt(18)
	v_mul_f32_e32 v128, v4, v108
	v_mul_f32_e32 v108, v5, v108
	s_waitcnt vmcnt(17) lgkmcnt(3)
	v_mul_f32_e32 v129, v96, v109
	s_waitcnt vmcnt(16)
	v_mul_f32_e32 v130, v98, v110
	s_waitcnt vmcnt(15) lgkmcnt(2)
	v_mul_f32_e32 v131, v100, v111
	s_waitcnt vmcnt(14)
	;; [unrolled: 4-line block ×3, first 2 shown]
	v_fma_f32 v2, v2, v116, -v8
	v_fmac_f32_e32 v127, v3, v116
	v_mul_f32_e32 v3, v97, v109
	s_waitcnt vmcnt(9)
	v_fma_f32 v4, v4, v117, -v108
	v_fmac_f32_e32 v128, v5, v117
	v_add_f32_e32 v2, 0, v2
	v_add_f32_e32 v5, 0, v127
	v_mul_f32_e32 v8, v99, v110
	s_waitcnt vmcnt(8)
	v_fma_f32 v3, v96, v118, -v3
	v_fmac_f32_e32 v129, v97, v118
	v_add_f32_e32 v2, v2, v4
	v_add_f32_e32 v4, v5, v128
	;; [unrolled: 6-line block ×5, first 2 shown]
	v_mul_f32_e32 v5, v107, v114
	s_waitcnt vmcnt(4)
	v_fma_f32 v8, v104, v122, -v8
	v_mul_f32_e32 v134, v106, v114
	v_add_f32_e32 v2, v2, v4
	v_fmac_f32_e32 v133, v105, v122
	v_add_f32_e32 v3, v3, v132
	s_waitcnt lgkmcnt(0)
	v_mul_f32_e32 v4, v7, v115
	s_waitcnt vmcnt(3)
	v_fma_f32 v5, v106, v123, -v5
	v_add_f32_e32 v2, v2, v8
	v_mul_f32_e32 v135, v6, v115
	v_fmac_f32_e32 v134, v107, v123
	v_add_f32_e32 v3, v3, v133
	s_waitcnt vmcnt(2)
	v_fma_f32 v4, v6, v124, -v4
	v_add_f32_e32 v2, v2, v5
	v_fmac_f32_e32 v135, v7, v124
	v_add_f32_e32 v3, v3, v134
	v_add_f32_e32 v2, v2, v4
	;; [unrolled: 1-line block ×3, first 2 shown]
	s_waitcnt vmcnt(1)
	v_sub_f32_e32 v2, v125, v2
	s_waitcnt vmcnt(0)
	v_sub_f32_e32 v3, v126, v3
	buffer_store_dword v2, off, s[0:3], 0 offset:264
	buffer_store_dword v3, off, s[0:3], 0 offset:268
	v_cmpx_lt_u32_e32 32, v0
	s_cbranch_execz .LBB106_207
; %bb.206:
	s_clause 0x1
	buffer_load_dword v2, off, s[0:3], 0 offset:256
	buffer_load_dword v3, off, s[0:3], 0 offset:260
	buffer_store_dword v1, off, s[0:3], 0 offset:256
	buffer_store_dword v1, off, s[0:3], 0 offset:260
	s_waitcnt vmcnt(0)
	ds_write_b64 v95, v[2:3]
.LBB106_207:
	s_or_b32 exec_lo, exec_lo, s4
	s_waitcnt lgkmcnt(0)
	s_waitcnt_vscnt null, 0x0
	s_barrier
	buffer_gl0_inv
	s_clause 0x15
	buffer_load_dword v6, off, s[0:3], 0 offset:268
	buffer_load_dword v7, off, s[0:3], 0 offset:276
	buffer_load_dword v8, off, s[0:3], 0 offset:284
	buffer_load_dword v112, off, s[0:3], 0 offset:292
	buffer_load_dword v113, off, s[0:3], 0 offset:300
	buffer_load_dword v114, off, s[0:3], 0 offset:308
	buffer_load_dword v115, off, s[0:3], 0 offset:316
	buffer_load_dword v116, off, s[0:3], 0 offset:324
	buffer_load_dword v117, off, s[0:3], 0 offset:332
	buffer_load_dword v118, off, s[0:3], 0 offset:340
	buffer_load_dword v119, off, s[0:3], 0 offset:264
	buffer_load_dword v120, off, s[0:3], 0 offset:272
	buffer_load_dword v121, off, s[0:3], 0 offset:280
	buffer_load_dword v122, off, s[0:3], 0 offset:288
	buffer_load_dword v123, off, s[0:3], 0 offset:296
	buffer_load_dword v124, off, s[0:3], 0 offset:304
	buffer_load_dword v125, off, s[0:3], 0 offset:312
	buffer_load_dword v126, off, s[0:3], 0 offset:320
	buffer_load_dword v127, off, s[0:3], 0 offset:328
	buffer_load_dword v128, off, s[0:3], 0 offset:336
	buffer_load_dword v129, off, s[0:3], 0 offset:256
	buffer_load_dword v130, off, s[0:3], 0 offset:260
	ds_read2_b64 v[2:5], v1 offset0:77 offset1:78
	ds_read2_b64 v[96:99], v1 offset0:79 offset1:80
	;; [unrolled: 1-line block ×5, first 2 shown]
	s_mov_b32 s4, exec_lo
	s_waitcnt vmcnt(21) lgkmcnt(4)
	v_mul_f32_e32 v1, v2, v6
	v_mul_f32_e32 v6, v3, v6
	s_waitcnt vmcnt(20)
	v_mul_f32_e32 v131, v4, v7
	v_mul_f32_e32 v7, v5, v7
	s_waitcnt vmcnt(19) lgkmcnt(3)
	v_mul_f32_e32 v132, v96, v8
	s_waitcnt vmcnt(18)
	v_mul_f32_e32 v133, v98, v112
	s_waitcnt vmcnt(17) lgkmcnt(2)
	v_mul_f32_e32 v134, v100, v113
	s_waitcnt vmcnt(16)
	;; [unrolled: 4-line block ×3, first 2 shown]
	v_mul_f32_e32 v137, v106, v116
	s_waitcnt vmcnt(11)
	v_fma_f32 v2, v2, v119, -v6
	v_fmac_f32_e32 v1, v3, v119
	v_mul_f32_e32 v3, v97, v8
	s_waitcnt vmcnt(10)
	v_fma_f32 v4, v4, v120, -v7
	v_fmac_f32_e32 v131, v5, v120
	v_add_f32_e32 v2, 0, v2
	v_add_f32_e32 v1, 0, v1
	v_mul_f32_e32 v5, v99, v112
	s_waitcnt vmcnt(9)
	v_fma_f32 v3, v96, v121, -v3
	v_fmac_f32_e32 v132, v97, v121
	v_add_f32_e32 v2, v2, v4
	v_add_f32_e32 v1, v1, v131
	;; [unrolled: 6-line block ×6, first 2 shown]
	s_waitcnt lgkmcnt(0)
	v_mul_f32_e32 v3, v109, v117
	s_waitcnt vmcnt(4)
	v_fma_f32 v4, v106, v126, -v4
	v_mul_f32_e32 v138, v108, v117
	v_add_f32_e32 v2, v2, v5
	v_fmac_f32_e32 v137, v107, v126
	v_add_f32_e32 v1, v1, v136
	v_mul_f32_e32 v5, v111, v118
	s_waitcnt vmcnt(3)
	v_fma_f32 v3, v108, v127, -v3
	v_add_f32_e32 v2, v2, v4
	v_mul_f32_e32 v139, v110, v118
	v_fmac_f32_e32 v138, v109, v127
	v_add_f32_e32 v1, v1, v137
	s_waitcnt vmcnt(2)
	v_fma_f32 v4, v110, v128, -v5
	v_add_f32_e32 v2, v2, v3
	v_fmac_f32_e32 v139, v111, v128
	v_add_f32_e32 v1, v1, v138
	v_add_f32_e32 v2, v2, v4
	;; [unrolled: 1-line block ×3, first 2 shown]
	s_waitcnt vmcnt(1)
	v_sub_f32_e32 v2, v129, v2
	s_waitcnt vmcnt(0)
	v_sub_f32_e32 v1, v130, v1
	buffer_store_dword v2, off, s[0:3], 0 offset:256
	buffer_store_dword v1, off, s[0:3], 0 offset:260
	v_cmpx_lt_u32_e32 31, v0
	s_cbranch_execz .LBB106_209
; %bb.208:
	s_clause 0x1
	buffer_load_dword v1, off, s[0:3], 0 offset:248
	buffer_load_dword v2, off, s[0:3], 0 offset:252
	v_mov_b32_e32 v3, 0
	buffer_store_dword v3, off, s[0:3], 0 offset:248
	buffer_store_dword v3, off, s[0:3], 0 offset:252
	s_waitcnt vmcnt(0)
	ds_write_b64 v95, v[1:2]
.LBB106_209:
	s_or_b32 exec_lo, exec_lo, s4
	s_waitcnt lgkmcnt(0)
	s_waitcnt_vscnt null, 0x0
	s_barrier
	buffer_gl0_inv
	s_clause 0x17
	buffer_load_dword v8, off, s[0:3], 0 offset:260
	buffer_load_dword v112, off, s[0:3], 0 offset:268
	;; [unrolled: 1-line block ×24, first 2 shown]
	v_mov_b32_e32 v1, 0
	ds_read_b128 v[2:5], v1 offset:608
	ds_read_b128 v[96:99], v1 offset:624
	;; [unrolled: 1-line block ×5, first 2 shown]
	ds_read_b64 v[6:7], v1 offset:688
	s_mov_b32 s4, exec_lo
	s_waitcnt vmcnt(23) lgkmcnt(5)
	v_mul_f32_e32 v135, v2, v8
	v_mul_f32_e32 v8, v3, v8
	s_waitcnt vmcnt(22)
	v_mul_f32_e32 v136, v4, v112
	v_mul_f32_e32 v112, v5, v112
	s_waitcnt vmcnt(21) lgkmcnt(4)
	v_mul_f32_e32 v137, v96, v113
	s_waitcnt vmcnt(20)
	v_mul_f32_e32 v138, v98, v114
	s_waitcnt vmcnt(19) lgkmcnt(3)
	v_mul_f32_e32 v139, v100, v115
	s_waitcnt vmcnt(18)
	;; [unrolled: 4-line block ×4, first 2 shown]
	v_fma_f32 v2, v2, v122, -v8
	v_fmac_f32_e32 v135, v3, v122
	v_mul_f32_e32 v3, v97, v113
	s_waitcnt vmcnt(11)
	v_fma_f32 v4, v4, v123, -v112
	v_fmac_f32_e32 v136, v5, v123
	v_add_f32_e32 v2, 0, v2
	v_add_f32_e32 v5, 0, v135
	v_mul_f32_e32 v8, v99, v114
	s_waitcnt vmcnt(10)
	v_fma_f32 v3, v96, v124, -v3
	v_fmac_f32_e32 v137, v97, v124
	v_add_f32_e32 v2, v2, v4
	v_add_f32_e32 v4, v5, v136
	;; [unrolled: 6-line block ×7, first 2 shown]
	v_mul_f32_e32 v8, v111, v120
	s_waitcnt vmcnt(4)
	v_fma_f32 v4, v108, v130, -v4
	v_mul_f32_e32 v144, v110, v120
	v_add_f32_e32 v2, v2, v5
	v_fmac_f32_e32 v143, v109, v130
	v_add_f32_e32 v3, v3, v142
	s_waitcnt lgkmcnt(0)
	v_mul_f32_e32 v5, v7, v121
	s_waitcnt vmcnt(3)
	v_fma_f32 v8, v110, v131, -v8
	v_add_f32_e32 v2, v2, v4
	v_mul_f32_e32 v145, v6, v121
	v_fmac_f32_e32 v144, v111, v131
	v_add_f32_e32 v3, v3, v143
	s_waitcnt vmcnt(2)
	v_fma_f32 v4, v6, v132, -v5
	v_add_f32_e32 v2, v2, v8
	v_fmac_f32_e32 v145, v7, v132
	v_add_f32_e32 v3, v3, v144
	v_add_f32_e32 v2, v2, v4
	;; [unrolled: 1-line block ×3, first 2 shown]
	s_waitcnt vmcnt(1)
	v_sub_f32_e32 v2, v133, v2
	s_waitcnt vmcnt(0)
	v_sub_f32_e32 v3, v134, v3
	buffer_store_dword v2, off, s[0:3], 0 offset:248
	buffer_store_dword v3, off, s[0:3], 0 offset:252
	v_cmpx_lt_u32_e32 30, v0
	s_cbranch_execz .LBB106_211
; %bb.210:
	s_clause 0x1
	buffer_load_dword v2, off, s[0:3], 0 offset:240
	buffer_load_dword v3, off, s[0:3], 0 offset:244
	buffer_store_dword v1, off, s[0:3], 0 offset:240
	buffer_store_dword v1, off, s[0:3], 0 offset:244
	s_waitcnt vmcnt(0)
	ds_write_b64 v95, v[2:3]
.LBB106_211:
	s_or_b32 exec_lo, exec_lo, s4
	s_waitcnt lgkmcnt(0)
	s_waitcnt_vscnt null, 0x0
	s_barrier
	buffer_gl0_inv
	s_clause 0x19
	buffer_load_dword v6, off, s[0:3], 0 offset:252
	buffer_load_dword v7, off, s[0:3], 0 offset:260
	;; [unrolled: 1-line block ×26, first 2 shown]
	ds_read2_b64 v[2:5], v1 offset0:75 offset1:76
	ds_read2_b64 v[96:99], v1 offset0:77 offset1:78
	;; [unrolled: 1-line block ×6, first 2 shown]
	s_mov_b32 s4, exec_lo
	s_waitcnt vmcnt(25) lgkmcnt(5)
	v_mul_f32_e32 v1, v2, v6
	v_mul_f32_e32 v6, v3, v6
	s_waitcnt vmcnt(24)
	v_mul_f32_e32 v139, v4, v7
	v_mul_f32_e32 v7, v5, v7
	s_waitcnt vmcnt(23) lgkmcnt(4)
	v_mul_f32_e32 v140, v96, v8
	s_waitcnt vmcnt(22)
	v_mul_f32_e32 v141, v98, v116
	s_waitcnt vmcnt(21) lgkmcnt(3)
	v_mul_f32_e32 v142, v100, v117
	s_waitcnt vmcnt(20)
	;; [unrolled: 4-line block ×4, first 2 shown]
	v_mul_f32_e32 v147, v110, v122
	s_waitcnt vmcnt(13)
	v_fma_f32 v2, v2, v125, -v6
	v_fmac_f32_e32 v1, v3, v125
	v_mul_f32_e32 v3, v97, v8
	s_waitcnt vmcnt(12)
	v_fma_f32 v4, v4, v126, -v7
	v_fmac_f32_e32 v139, v5, v126
	v_add_f32_e32 v2, 0, v2
	v_add_f32_e32 v1, 0, v1
	v_mul_f32_e32 v5, v99, v116
	s_waitcnt vmcnt(11)
	v_fma_f32 v3, v96, v127, -v3
	v_fmac_f32_e32 v140, v97, v127
	v_add_f32_e32 v2, v2, v4
	v_add_f32_e32 v1, v1, v139
	;; [unrolled: 6-line block ×8, first 2 shown]
	s_waitcnt lgkmcnt(0)
	v_mul_f32_e32 v4, v113, v123
	s_waitcnt vmcnt(4)
	v_fma_f32 v5, v110, v134, -v5
	v_mul_f32_e32 v148, v112, v123
	v_add_f32_e32 v2, v2, v3
	v_fmac_f32_e32 v147, v111, v134
	v_add_f32_e32 v1, v1, v146
	v_mul_f32_e32 v3, v115, v124
	s_waitcnt vmcnt(3)
	v_fma_f32 v4, v112, v135, -v4
	v_add_f32_e32 v2, v2, v5
	v_mul_f32_e32 v149, v114, v124
	v_fmac_f32_e32 v148, v113, v135
	v_add_f32_e32 v1, v1, v147
	s_waitcnt vmcnt(2)
	v_fma_f32 v3, v114, v136, -v3
	v_add_f32_e32 v2, v2, v4
	v_fmac_f32_e32 v149, v115, v136
	v_add_f32_e32 v1, v1, v148
	v_add_f32_e32 v2, v2, v3
	;; [unrolled: 1-line block ×3, first 2 shown]
	s_waitcnt vmcnt(1)
	v_sub_f32_e32 v2, v137, v2
	s_waitcnt vmcnt(0)
	v_sub_f32_e32 v1, v138, v1
	buffer_store_dword v2, off, s[0:3], 0 offset:240
	buffer_store_dword v1, off, s[0:3], 0 offset:244
	v_cmpx_lt_u32_e32 29, v0
	s_cbranch_execz .LBB106_213
; %bb.212:
	s_clause 0x1
	buffer_load_dword v1, off, s[0:3], 0 offset:232
	buffer_load_dword v2, off, s[0:3], 0 offset:236
	v_mov_b32_e32 v3, 0
	buffer_store_dword v3, off, s[0:3], 0 offset:232
	buffer_store_dword v3, off, s[0:3], 0 offset:236
	s_waitcnt vmcnt(0)
	ds_write_b64 v95, v[1:2]
.LBB106_213:
	s_or_b32 exec_lo, exec_lo, s4
	s_waitcnt lgkmcnt(0)
	s_waitcnt_vscnt null, 0x0
	s_barrier
	buffer_gl0_inv
	s_clause 0x1b
	buffer_load_dword v8, off, s[0:3], 0 offset:244
	buffer_load_dword v116, off, s[0:3], 0 offset:252
	;; [unrolled: 1-line block ×28, first 2 shown]
	v_mov_b32_e32 v1, 0
	ds_read_b128 v[2:5], v1 offset:592
	ds_read_b128 v[96:99], v1 offset:608
	;; [unrolled: 1-line block ×6, first 2 shown]
	ds_read_b64 v[6:7], v1 offset:688
	s_mov_b32 s4, exec_lo
	s_waitcnt vmcnt(27) lgkmcnt(6)
	v_mul_f32_e32 v143, v2, v8
	v_mul_f32_e32 v8, v3, v8
	s_waitcnt vmcnt(26)
	v_mul_f32_e32 v144, v4, v116
	v_mul_f32_e32 v116, v5, v116
	s_waitcnt vmcnt(25) lgkmcnt(5)
	v_mul_f32_e32 v145, v96, v117
	s_waitcnt vmcnt(24)
	v_mul_f32_e32 v146, v98, v118
	s_waitcnt vmcnt(23) lgkmcnt(4)
	v_mul_f32_e32 v147, v100, v119
	s_waitcnt vmcnt(22)
	;; [unrolled: 4-line block ×5, first 2 shown]
	v_fma_f32 v2, v2, v128, -v8
	v_fmac_f32_e32 v143, v3, v128
	v_mul_f32_e32 v3, v97, v117
	s_waitcnt vmcnt(13)
	v_fma_f32 v4, v4, v129, -v116
	v_fmac_f32_e32 v144, v5, v129
	v_add_f32_e32 v2, 0, v2
	v_add_f32_e32 v5, 0, v143
	v_mul_f32_e32 v8, v99, v118
	s_waitcnt vmcnt(12)
	v_fma_f32 v3, v96, v130, -v3
	v_fmac_f32_e32 v145, v97, v130
	v_add_f32_e32 v2, v2, v4
	v_add_f32_e32 v4, v5, v144
	;; [unrolled: 6-line block ×9, first 2 shown]
	v_mul_f32_e32 v4, v115, v126
	s_waitcnt vmcnt(4)
	v_fma_f32 v5, v112, v138, -v5
	v_mul_f32_e32 v154, v114, v126
	v_add_f32_e32 v2, v2, v8
	v_fmac_f32_e32 v153, v113, v138
	v_add_f32_e32 v3, v3, v152
	s_waitcnt lgkmcnt(0)
	v_mul_f32_e32 v8, v7, v127
	s_waitcnt vmcnt(3)
	v_fma_f32 v4, v114, v139, -v4
	v_add_f32_e32 v2, v2, v5
	v_mul_f32_e32 v155, v6, v127
	v_fmac_f32_e32 v154, v115, v139
	v_add_f32_e32 v3, v3, v153
	s_waitcnt vmcnt(2)
	v_fma_f32 v5, v6, v140, -v8
	v_add_f32_e32 v2, v2, v4
	v_fmac_f32_e32 v155, v7, v140
	v_add_f32_e32 v3, v3, v154
	v_add_f32_e32 v2, v2, v5
	;; [unrolled: 1-line block ×3, first 2 shown]
	s_waitcnt vmcnt(1)
	v_sub_f32_e32 v2, v141, v2
	s_waitcnt vmcnt(0)
	v_sub_f32_e32 v3, v142, v3
	buffer_store_dword v2, off, s[0:3], 0 offset:232
	buffer_store_dword v3, off, s[0:3], 0 offset:236
	v_cmpx_lt_u32_e32 28, v0
	s_cbranch_execz .LBB106_215
; %bb.214:
	s_clause 0x1
	buffer_load_dword v2, off, s[0:3], 0 offset:224
	buffer_load_dword v3, off, s[0:3], 0 offset:228
	buffer_store_dword v1, off, s[0:3], 0 offset:224
	buffer_store_dword v1, off, s[0:3], 0 offset:228
	s_waitcnt vmcnt(0)
	ds_write_b64 v95, v[2:3]
.LBB106_215:
	s_or_b32 exec_lo, exec_lo, s4
	s_waitcnt lgkmcnt(0)
	s_waitcnt_vscnt null, 0x0
	s_barrier
	buffer_gl0_inv
	s_clause 0x1d
	buffer_load_dword v6, off, s[0:3], 0 offset:236
	buffer_load_dword v7, off, s[0:3], 0 offset:244
	;; [unrolled: 1-line block ×30, first 2 shown]
	ds_read2_b64 v[2:5], v1 offset0:73 offset1:74
	ds_read2_b64 v[96:99], v1 offset0:75 offset1:76
	;; [unrolled: 1-line block ×7, first 2 shown]
	s_mov_b32 s4, exec_lo
	s_waitcnt vmcnt(29) lgkmcnt(6)
	v_mul_f32_e32 v1, v2, v6
	v_mul_f32_e32 v6, v3, v6
	s_waitcnt vmcnt(28)
	v_mul_f32_e32 v147, v4, v7
	v_mul_f32_e32 v7, v5, v7
	s_waitcnt vmcnt(27) lgkmcnt(5)
	v_mul_f32_e32 v148, v96, v8
	s_waitcnt vmcnt(26)
	v_mul_f32_e32 v149, v98, v120
	s_waitcnt vmcnt(25) lgkmcnt(4)
	v_mul_f32_e32 v150, v100, v121
	s_waitcnt vmcnt(24)
	;; [unrolled: 4-line block ×5, first 2 shown]
	v_mul_f32_e32 v157, v114, v128
	s_waitcnt vmcnt(15)
	v_fma_f32 v2, v2, v131, -v6
	v_fmac_f32_e32 v1, v3, v131
	v_mul_f32_e32 v3, v97, v8
	s_waitcnt vmcnt(14)
	v_fma_f32 v4, v4, v132, -v7
	v_fmac_f32_e32 v147, v5, v132
	v_add_f32_e32 v2, 0, v2
	v_add_f32_e32 v1, 0, v1
	v_mul_f32_e32 v5, v99, v120
	s_waitcnt vmcnt(13)
	v_fma_f32 v3, v96, v133, -v3
	v_fmac_f32_e32 v148, v97, v133
	v_add_f32_e32 v2, v2, v4
	v_add_f32_e32 v1, v1, v147
	;; [unrolled: 6-line block ×10, first 2 shown]
	s_waitcnt lgkmcnt(0)
	v_mul_f32_e32 v5, v117, v129
	s_waitcnt vmcnt(4)
	v_fma_f32 v3, v114, v142, -v3
	v_mul_f32_e32 v158, v116, v129
	v_add_f32_e32 v2, v2, v4
	v_fmac_f32_e32 v157, v115, v142
	v_add_f32_e32 v1, v1, v156
	v_mul_f32_e32 v4, v119, v130
	s_waitcnt vmcnt(3)
	v_fma_f32 v5, v116, v143, -v5
	v_add_f32_e32 v2, v2, v3
	v_mul_f32_e32 v159, v118, v130
	v_fmac_f32_e32 v158, v117, v143
	v_add_f32_e32 v1, v1, v157
	s_waitcnt vmcnt(2)
	v_fma_f32 v3, v118, v144, -v4
	v_add_f32_e32 v2, v2, v5
	v_fmac_f32_e32 v159, v119, v144
	v_add_f32_e32 v1, v1, v158
	v_add_f32_e32 v2, v2, v3
	;; [unrolled: 1-line block ×3, first 2 shown]
	s_waitcnt vmcnt(1)
	v_sub_f32_e32 v2, v145, v2
	s_waitcnt vmcnt(0)
	v_sub_f32_e32 v1, v146, v1
	buffer_store_dword v2, off, s[0:3], 0 offset:224
	buffer_store_dword v1, off, s[0:3], 0 offset:228
	v_cmpx_lt_u32_e32 27, v0
	s_cbranch_execz .LBB106_217
; %bb.216:
	s_clause 0x1
	buffer_load_dword v1, off, s[0:3], 0 offset:216
	buffer_load_dword v2, off, s[0:3], 0 offset:220
	v_mov_b32_e32 v3, 0
	buffer_store_dword v3, off, s[0:3], 0 offset:216
	buffer_store_dword v3, off, s[0:3], 0 offset:220
	s_waitcnt vmcnt(0)
	ds_write_b64 v95, v[1:2]
.LBB106_217:
	s_or_b32 exec_lo, exec_lo, s4
	s_waitcnt lgkmcnt(0)
	s_waitcnt_vscnt null, 0x0
	s_barrier
	buffer_gl0_inv
	s_clause 0x1f
	buffer_load_dword v8, off, s[0:3], 0 offset:228
	buffer_load_dword v120, off, s[0:3], 0 offset:236
	;; [unrolled: 1-line block ×32, first 2 shown]
	v_mov_b32_e32 v1, 0
	ds_read_b128 v[2:5], v1 offset:576
	ds_read_b128 v[96:99], v1 offset:592
	;; [unrolled: 1-line block ×7, first 2 shown]
	ds_read_b64 v[6:7], v1 offset:688
	s_mov_b32 s4, exec_lo
	s_waitcnt vmcnt(31) lgkmcnt(7)
	v_mul_f32_e32 v151, v2, v8
	v_mul_f32_e32 v8, v3, v8
	s_waitcnt vmcnt(30)
	v_mul_f32_e32 v152, v4, v120
	v_mul_f32_e32 v120, v5, v120
	s_waitcnt vmcnt(29) lgkmcnt(6)
	v_mul_f32_e32 v153, v96, v121
	s_waitcnt vmcnt(28)
	v_mul_f32_e32 v154, v98, v122
	s_waitcnt vmcnt(27) lgkmcnt(5)
	v_mul_f32_e32 v155, v100, v123
	s_waitcnt vmcnt(26)
	;; [unrolled: 4-line block ×6, first 2 shown]
	v_fma_f32 v2, v2, v134, -v8
	v_fmac_f32_e32 v151, v3, v134
	v_mul_f32_e32 v3, v97, v121
	s_waitcnt vmcnt(15)
	v_fma_f32 v4, v4, v135, -v120
	v_fmac_f32_e32 v152, v5, v135
	v_add_f32_e32 v2, 0, v2
	v_add_f32_e32 v5, 0, v151
	v_mul_f32_e32 v8, v99, v122
	s_waitcnt vmcnt(14)
	v_fma_f32 v3, v96, v136, -v3
	v_fmac_f32_e32 v153, v97, v136
	v_add_f32_e32 v2, v2, v4
	v_add_f32_e32 v4, v5, v152
	;; [unrolled: 6-line block ×11, first 2 shown]
	v_mul_f32_e32 v5, v119, v132
	s_waitcnt vmcnt(4)
	v_fma_f32 v8, v116, v146, -v8
	v_mul_f32_e32 v164, v118, v132
	v_add_f32_e32 v2, v2, v4
	v_fmac_f32_e32 v163, v117, v146
	v_add_f32_e32 v3, v3, v162
	s_waitcnt lgkmcnt(0)
	v_mul_f32_e32 v4, v7, v133
	s_waitcnt vmcnt(3)
	v_fma_f32 v5, v118, v147, -v5
	v_add_f32_e32 v2, v2, v8
	v_mul_f32_e32 v165, v6, v133
	v_fmac_f32_e32 v164, v119, v147
	v_add_f32_e32 v3, v3, v163
	s_waitcnt vmcnt(2)
	v_fma_f32 v4, v6, v148, -v4
	v_add_f32_e32 v2, v2, v5
	v_fmac_f32_e32 v165, v7, v148
	v_add_f32_e32 v3, v3, v164
	v_add_f32_e32 v2, v2, v4
	;; [unrolled: 1-line block ×3, first 2 shown]
	s_waitcnt vmcnt(1)
	v_sub_f32_e32 v2, v149, v2
	s_waitcnt vmcnt(0)
	v_sub_f32_e32 v3, v150, v3
	buffer_store_dword v2, off, s[0:3], 0 offset:216
	buffer_store_dword v3, off, s[0:3], 0 offset:220
	v_cmpx_lt_u32_e32 26, v0
	s_cbranch_execz .LBB106_219
; %bb.218:
	s_clause 0x1
	buffer_load_dword v2, off, s[0:3], 0 offset:208
	buffer_load_dword v3, off, s[0:3], 0 offset:212
	buffer_store_dword v1, off, s[0:3], 0 offset:208
	buffer_store_dword v1, off, s[0:3], 0 offset:212
	s_waitcnt vmcnt(0)
	ds_write_b64 v95, v[2:3]
.LBB106_219:
	s_or_b32 exec_lo, exec_lo, s4
	s_waitcnt lgkmcnt(0)
	s_waitcnt_vscnt null, 0x0
	s_barrier
	buffer_gl0_inv
	s_clause 0x21
	buffer_load_dword v6, off, s[0:3], 0 offset:220
	buffer_load_dword v7, off, s[0:3], 0 offset:228
	buffer_load_dword v8, off, s[0:3], 0 offset:236
	buffer_load_dword v124, off, s[0:3], 0 offset:244
	buffer_load_dword v125, off, s[0:3], 0 offset:252
	buffer_load_dword v126, off, s[0:3], 0 offset:260
	buffer_load_dword v127, off, s[0:3], 0 offset:268
	buffer_load_dword v128, off, s[0:3], 0 offset:276
	buffer_load_dword v129, off, s[0:3], 0 offset:284
	buffer_load_dword v130, off, s[0:3], 0 offset:292
	buffer_load_dword v131, off, s[0:3], 0 offset:300
	buffer_load_dword v132, off, s[0:3], 0 offset:308
	buffer_load_dword v133, off, s[0:3], 0 offset:316
	buffer_load_dword v134, off, s[0:3], 0 offset:324
	buffer_load_dword v135, off, s[0:3], 0 offset:332
	buffer_load_dword v136, off, s[0:3], 0 offset:340
	buffer_load_dword v137, off, s[0:3], 0 offset:216
	buffer_load_dword v138, off, s[0:3], 0 offset:224
	buffer_load_dword v139, off, s[0:3], 0 offset:232
	buffer_load_dword v140, off, s[0:3], 0 offset:240
	buffer_load_dword v141, off, s[0:3], 0 offset:248
	buffer_load_dword v142, off, s[0:3], 0 offset:256
	buffer_load_dword v143, off, s[0:3], 0 offset:264
	buffer_load_dword v144, off, s[0:3], 0 offset:272
	buffer_load_dword v145, off, s[0:3], 0 offset:280
	buffer_load_dword v146, off, s[0:3], 0 offset:288
	buffer_load_dword v147, off, s[0:3], 0 offset:296
	buffer_load_dword v148, off, s[0:3], 0 offset:304
	buffer_load_dword v149, off, s[0:3], 0 offset:312
	buffer_load_dword v150, off, s[0:3], 0 offset:320
	buffer_load_dword v151, off, s[0:3], 0 offset:328
	buffer_load_dword v152, off, s[0:3], 0 offset:336
	buffer_load_dword v153, off, s[0:3], 0 offset:208
	buffer_load_dword v154, off, s[0:3], 0 offset:212
	ds_read2_b64 v[2:5], v1 offset0:71 offset1:72
	ds_read2_b64 v[96:99], v1 offset0:73 offset1:74
	;; [unrolled: 1-line block ×8, first 2 shown]
	s_mov_b32 s4, exec_lo
	s_waitcnt vmcnt(33) lgkmcnt(7)
	v_mul_f32_e32 v1, v2, v6
	v_mul_f32_e32 v6, v3, v6
	s_waitcnt vmcnt(32)
	v_mul_f32_e32 v155, v4, v7
	v_mul_f32_e32 v7, v5, v7
	s_waitcnt vmcnt(31) lgkmcnt(6)
	v_mul_f32_e32 v156, v96, v8
	s_waitcnt vmcnt(30)
	v_mul_f32_e32 v157, v98, v124
	s_waitcnt vmcnt(29) lgkmcnt(5)
	v_mul_f32_e32 v158, v100, v125
	s_waitcnt vmcnt(28)
	v_mul_f32_e32 v159, v102, v126
	s_waitcnt vmcnt(27) lgkmcnt(4)
	v_mul_f32_e32 v160, v104, v127
	s_waitcnt vmcnt(26)
	v_mul_f32_e32 v161, v106, v128
	s_waitcnt vmcnt(25) lgkmcnt(3)
	v_mul_f32_e32 v162, v108, v129
	s_waitcnt vmcnt(24)
	v_mul_f32_e32 v163, v110, v130
	s_waitcnt vmcnt(23) lgkmcnt(2)
	v_mul_f32_e32 v164, v112, v131
	s_waitcnt vmcnt(22)
	v_mul_f32_e32 v165, v114, v132
	s_waitcnt vmcnt(21) lgkmcnt(1)
	v_mul_f32_e32 v166, v116, v133
	s_waitcnt vmcnt(20)
	v_mul_f32_e32 v167, v118, v134
	s_waitcnt vmcnt(17)
	v_fma_f32 v2, v2, v137, -v6
	v_fmac_f32_e32 v1, v3, v137
	v_mul_f32_e32 v3, v97, v8
	s_waitcnt vmcnt(16)
	v_fma_f32 v4, v4, v138, -v7
	v_fmac_f32_e32 v155, v5, v138
	v_add_f32_e32 v2, 0, v2
	v_add_f32_e32 v1, 0, v1
	v_mul_f32_e32 v5, v99, v124
	s_waitcnt vmcnt(15)
	v_fma_f32 v3, v96, v139, -v3
	v_fmac_f32_e32 v156, v97, v139
	v_add_f32_e32 v2, v2, v4
	v_add_f32_e32 v1, v1, v155
	;; [unrolled: 6-line block ×12, first 2 shown]
	s_waitcnt lgkmcnt(0)
	v_mul_f32_e32 v3, v121, v135
	s_waitcnt vmcnt(4)
	v_fma_f32 v4, v118, v150, -v4
	v_mul_f32_e32 v168, v120, v135
	v_add_f32_e32 v2, v2, v5
	v_fmac_f32_e32 v167, v119, v150
	v_add_f32_e32 v1, v1, v166
	v_mul_f32_e32 v5, v123, v136
	s_waitcnt vmcnt(3)
	v_fma_f32 v3, v120, v151, -v3
	v_add_f32_e32 v2, v2, v4
	v_mul_f32_e32 v169, v122, v136
	v_fmac_f32_e32 v168, v121, v151
	v_add_f32_e32 v1, v1, v167
	s_waitcnt vmcnt(2)
	v_fma_f32 v4, v122, v152, -v5
	v_add_f32_e32 v2, v2, v3
	v_fmac_f32_e32 v169, v123, v152
	v_add_f32_e32 v1, v1, v168
	v_add_f32_e32 v2, v2, v4
	;; [unrolled: 1-line block ×3, first 2 shown]
	s_waitcnt vmcnt(1)
	v_sub_f32_e32 v2, v153, v2
	s_waitcnt vmcnt(0)
	v_sub_f32_e32 v1, v154, v1
	buffer_store_dword v2, off, s[0:3], 0 offset:208
	buffer_store_dword v1, off, s[0:3], 0 offset:212
	v_cmpx_lt_u32_e32 25, v0
	s_cbranch_execz .LBB106_221
; %bb.220:
	s_clause 0x1
	buffer_load_dword v1, off, s[0:3], 0 offset:200
	buffer_load_dword v2, off, s[0:3], 0 offset:204
	v_mov_b32_e32 v3, 0
	buffer_store_dword v3, off, s[0:3], 0 offset:200
	buffer_store_dword v3, off, s[0:3], 0 offset:204
	s_waitcnt vmcnt(0)
	ds_write_b64 v95, v[1:2]
.LBB106_221:
	s_or_b32 exec_lo, exec_lo, s4
	s_waitcnt lgkmcnt(0)
	s_waitcnt_vscnt null, 0x0
	s_barrier
	buffer_gl0_inv
	s_clause 0x23
	buffer_load_dword v8, off, s[0:3], 0 offset:212
	buffer_load_dword v124, off, s[0:3], 0 offset:220
	;; [unrolled: 1-line block ×36, first 2 shown]
	v_mov_b32_e32 v1, 0
	ds_read_b128 v[2:5], v1 offset:560
	ds_read_b128 v[96:99], v1 offset:576
	ds_read_b128 v[100:103], v1 offset:592
	ds_read_b128 v[104:107], v1 offset:608
	ds_read_b128 v[108:111], v1 offset:624
	ds_read_b128 v[112:115], v1 offset:640
	ds_read_b128 v[116:119], v1 offset:656
	ds_read_b128 v[120:123], v1 offset:672
	ds_read_b64 v[6:7], v1 offset:688
	s_mov_b32 s4, exec_lo
	s_waitcnt vmcnt(35) lgkmcnt(8)
	v_mul_f32_e32 v159, v2, v8
	v_mul_f32_e32 v8, v3, v8
	s_waitcnt vmcnt(34)
	v_mul_f32_e32 v160, v4, v124
	v_mul_f32_e32 v124, v5, v124
	s_waitcnt vmcnt(33) lgkmcnt(7)
	v_mul_f32_e32 v161, v96, v125
	s_waitcnt vmcnt(32)
	v_mul_f32_e32 v162, v98, v126
	s_waitcnt vmcnt(31) lgkmcnt(6)
	v_mul_f32_e32 v163, v100, v127
	s_waitcnt vmcnt(30)
	;; [unrolled: 4-line block ×7, first 2 shown]
	v_fma_f32 v2, v2, v140, -v8
	v_fmac_f32_e32 v159, v3, v140
	v_mul_f32_e32 v3, v97, v125
	s_waitcnt vmcnt(17)
	v_fma_f32 v4, v4, v141, -v124
	v_fmac_f32_e32 v160, v5, v141
	v_add_f32_e32 v2, 0, v2
	v_add_f32_e32 v5, 0, v159
	v_mul_f32_e32 v8, v99, v126
	s_waitcnt vmcnt(16)
	v_fma_f32 v3, v96, v142, -v3
	v_fmac_f32_e32 v161, v97, v142
	v_add_f32_e32 v2, v2, v4
	v_add_f32_e32 v4, v5, v160
	v_mul_f32_e32 v5, v101, v127
	s_waitcnt vmcnt(15)
	v_fma_f32 v8, v98, v143, -v8
	v_fmac_f32_e32 v162, v99, v143
	v_add_f32_e32 v2, v2, v3
	v_add_f32_e32 v3, v4, v161
	v_mul_f32_e32 v4, v103, v128
	s_waitcnt vmcnt(14)
	v_fma_f32 v5, v100, v144, -v5
	v_fmac_f32_e32 v163, v101, v144
	v_add_f32_e32 v2, v2, v8
	v_add_f32_e32 v3, v3, v162
	v_mul_f32_e32 v8, v105, v129
	s_waitcnt vmcnt(13)
	v_fma_f32 v4, v102, v145, -v4
	v_fmac_f32_e32 v164, v103, v145
	v_add_f32_e32 v2, v2, v5
	v_add_f32_e32 v3, v3, v163
	v_mul_f32_e32 v5, v107, v130
	s_waitcnt vmcnt(12)
	v_fma_f32 v8, v104, v146, -v8
	v_fmac_f32_e32 v165, v105, v146
	v_add_f32_e32 v2, v2, v4
	v_add_f32_e32 v3, v3, v164
	v_mul_f32_e32 v4, v109, v131
	s_waitcnt vmcnt(11)
	v_fma_f32 v5, v106, v147, -v5
	v_fmac_f32_e32 v166, v107, v147
	v_add_f32_e32 v2, v2, v8
	v_add_f32_e32 v3, v3, v165
	v_mul_f32_e32 v8, v111, v132
	s_waitcnt vmcnt(10)
	v_fma_f32 v4, v108, v148, -v4
	v_fmac_f32_e32 v167, v109, v148
	v_add_f32_e32 v2, v2, v5
	v_add_f32_e32 v3, v3, v166
	v_mul_f32_e32 v5, v113, v133
	s_waitcnt vmcnt(9)
	v_fma_f32 v8, v110, v149, -v8
	v_fmac_f32_e32 v168, v111, v149
	v_add_f32_e32 v2, v2, v4
	v_add_f32_e32 v3, v3, v167
	v_mul_f32_e32 v4, v115, v134
	s_waitcnt vmcnt(8)
	v_fma_f32 v5, v112, v150, -v5
	v_fmac_f32_e32 v169, v113, v150
	v_add_f32_e32 v2, v2, v8
	v_add_f32_e32 v3, v3, v168
	v_mul_f32_e32 v8, v117, v135
	s_waitcnt vmcnt(7)
	v_fma_f32 v4, v114, v151, -v4
	v_fmac_f32_e32 v170, v115, v151
	v_add_f32_e32 v2, v2, v5
	v_add_f32_e32 v3, v3, v169
	v_mul_f32_e32 v5, v119, v136
	s_waitcnt vmcnt(6)
	v_fma_f32 v8, v116, v152, -v8
	v_fmac_f32_e32 v171, v117, v152
	v_add_f32_e32 v2, v2, v4
	v_add_f32_e32 v3, v3, v170
	v_mul_f32_e32 v4, v121, v137
	s_waitcnt vmcnt(5)
	v_fma_f32 v5, v118, v153, -v5
	v_fmac_f32_e32 v172, v119, v153
	v_add_f32_e32 v2, v2, v8
	v_add_f32_e32 v3, v3, v171
	v_mul_f32_e32 v8, v123, v138
	s_waitcnt vmcnt(4)
	v_fma_f32 v4, v120, v154, -v4
	v_mul_f32_e32 v174, v122, v138
	v_add_f32_e32 v2, v2, v5
	v_fmac_f32_e32 v173, v121, v154
	v_add_f32_e32 v3, v3, v172
	s_waitcnt lgkmcnt(0)
	v_mul_f32_e32 v5, v7, v139
	s_waitcnt vmcnt(3)
	v_fma_f32 v8, v122, v155, -v8
	v_add_f32_e32 v2, v2, v4
	v_mul_f32_e32 v175, v6, v139
	v_fmac_f32_e32 v174, v123, v155
	v_add_f32_e32 v3, v3, v173
	s_waitcnt vmcnt(2)
	v_fma_f32 v4, v6, v156, -v5
	v_add_f32_e32 v2, v2, v8
	v_fmac_f32_e32 v175, v7, v156
	v_add_f32_e32 v3, v3, v174
	v_add_f32_e32 v2, v2, v4
	;; [unrolled: 1-line block ×3, first 2 shown]
	s_waitcnt vmcnt(1)
	v_sub_f32_e32 v2, v157, v2
	s_waitcnt vmcnt(0)
	v_sub_f32_e32 v3, v158, v3
	buffer_store_dword v2, off, s[0:3], 0 offset:200
	buffer_store_dword v3, off, s[0:3], 0 offset:204
	v_cmpx_lt_u32_e32 24, v0
	s_cbranch_execz .LBB106_223
; %bb.222:
	s_clause 0x1
	buffer_load_dword v2, off, s[0:3], 0 offset:192
	buffer_load_dword v3, off, s[0:3], 0 offset:196
	buffer_store_dword v1, off, s[0:3], 0 offset:192
	buffer_store_dword v1, off, s[0:3], 0 offset:196
	s_waitcnt vmcnt(0)
	ds_write_b64 v95, v[2:3]
.LBB106_223:
	s_or_b32 exec_lo, exec_lo, s4
	s_waitcnt lgkmcnt(0)
	s_waitcnt_vscnt null, 0x0
	s_barrier
	buffer_gl0_inv
	s_clause 0x25
	buffer_load_dword v6, off, s[0:3], 0 offset:204
	buffer_load_dword v7, off, s[0:3], 0 offset:212
	;; [unrolled: 1-line block ×38, first 2 shown]
	ds_read2_b64 v[2:5], v1 offset0:69 offset1:70
	ds_read2_b64 v[96:99], v1 offset0:71 offset1:72
	;; [unrolled: 1-line block ×9, first 2 shown]
	s_mov_b32 s4, exec_lo
	s_waitcnt vmcnt(37) lgkmcnt(8)
	v_mul_f32_e32 v1, v2, v6
	v_mul_f32_e32 v6, v3, v6
	s_waitcnt vmcnt(36)
	v_mul_f32_e32 v163, v4, v7
	v_mul_f32_e32 v7, v5, v7
	s_waitcnt vmcnt(35) lgkmcnt(7)
	v_mul_f32_e32 v164, v96, v8
	s_waitcnt vmcnt(34)
	v_mul_f32_e32 v165, v98, v128
	s_waitcnt vmcnt(33) lgkmcnt(6)
	v_mul_f32_e32 v166, v100, v129
	s_waitcnt vmcnt(32)
	;; [unrolled: 4-line block ×7, first 2 shown]
	v_mul_f32_e32 v177, v122, v140
	s_waitcnt vmcnt(19)
	v_fma_f32 v2, v2, v143, -v6
	v_fmac_f32_e32 v1, v3, v143
	v_mul_f32_e32 v3, v97, v8
	s_waitcnt vmcnt(18)
	v_fma_f32 v4, v4, v144, -v7
	v_fmac_f32_e32 v163, v5, v144
	v_add_f32_e32 v2, 0, v2
	v_add_f32_e32 v1, 0, v1
	v_mul_f32_e32 v5, v99, v128
	s_waitcnt vmcnt(17)
	v_fma_f32 v3, v96, v145, -v3
	v_fmac_f32_e32 v164, v97, v145
	v_add_f32_e32 v2, v2, v4
	v_add_f32_e32 v1, v1, v163
	;; [unrolled: 6-line block ×14, first 2 shown]
	s_waitcnt lgkmcnt(0)
	v_mul_f32_e32 v4, v125, v141
	s_waitcnt vmcnt(4)
	v_fma_f32 v5, v122, v158, -v5
	v_mul_f32_e32 v178, v124, v141
	v_add_f32_e32 v2, v2, v3
	v_fmac_f32_e32 v177, v123, v158
	v_add_f32_e32 v1, v1, v176
	v_mul_f32_e32 v3, v127, v142
	s_waitcnt vmcnt(3)
	v_fma_f32 v4, v124, v159, -v4
	v_add_f32_e32 v2, v2, v5
	v_mul_f32_e32 v179, v126, v142
	v_fmac_f32_e32 v178, v125, v159
	v_add_f32_e32 v1, v1, v177
	s_waitcnt vmcnt(2)
	v_fma_f32 v3, v126, v160, -v3
	v_add_f32_e32 v2, v2, v4
	v_fmac_f32_e32 v179, v127, v160
	v_add_f32_e32 v1, v1, v178
	v_add_f32_e32 v2, v2, v3
	;; [unrolled: 1-line block ×3, first 2 shown]
	s_waitcnt vmcnt(1)
	v_sub_f32_e32 v2, v161, v2
	s_waitcnt vmcnt(0)
	v_sub_f32_e32 v1, v162, v1
	buffer_store_dword v2, off, s[0:3], 0 offset:192
	buffer_store_dword v1, off, s[0:3], 0 offset:196
	v_cmpx_lt_u32_e32 23, v0
	s_cbranch_execz .LBB106_225
; %bb.224:
	s_clause 0x1
	buffer_load_dword v1, off, s[0:3], 0 offset:184
	buffer_load_dword v2, off, s[0:3], 0 offset:188
	v_mov_b32_e32 v3, 0
	buffer_store_dword v3, off, s[0:3], 0 offset:184
	buffer_store_dword v3, off, s[0:3], 0 offset:188
	s_waitcnt vmcnt(0)
	ds_write_b64 v95, v[1:2]
.LBB106_225:
	s_or_b32 exec_lo, exec_lo, s4
	s_waitcnt lgkmcnt(0)
	s_waitcnt_vscnt null, 0x0
	s_barrier
	buffer_gl0_inv
	s_clause 0x27
	buffer_load_dword v8, off, s[0:3], 0 offset:196
	buffer_load_dword v128, off, s[0:3], 0 offset:204
	;; [unrolled: 1-line block ×40, first 2 shown]
	v_mov_b32_e32 v1, 0
	ds_read_b128 v[2:5], v1 offset:544
	ds_read_b128 v[96:99], v1 offset:560
	;; [unrolled: 1-line block ×9, first 2 shown]
	ds_read_b64 v[6:7], v1 offset:688
	s_mov_b32 s4, exec_lo
	s_waitcnt vmcnt(39) lgkmcnt(9)
	v_mul_f32_e32 v167, v2, v8
	v_mul_f32_e32 v8, v3, v8
	s_waitcnt vmcnt(38)
	v_mul_f32_e32 v168, v4, v128
	v_mul_f32_e32 v128, v5, v128
	s_waitcnt vmcnt(37) lgkmcnt(8)
	v_mul_f32_e32 v169, v96, v129
	s_waitcnt vmcnt(36)
	v_mul_f32_e32 v170, v98, v130
	s_waitcnt vmcnt(35) lgkmcnt(7)
	v_mul_f32_e32 v171, v100, v131
	s_waitcnt vmcnt(34)
	;; [unrolled: 4-line block ×8, first 2 shown]
	v_fma_f32 v2, v2, v146, -v8
	v_fmac_f32_e32 v167, v3, v146
	v_mul_f32_e32 v3, v97, v129
	s_waitcnt vmcnt(19)
	v_fma_f32 v4, v4, v147, -v128
	v_fmac_f32_e32 v168, v5, v147
	v_add_f32_e32 v2, 0, v2
	v_add_f32_e32 v5, 0, v167
	v_mul_f32_e32 v8, v99, v130
	s_waitcnt vmcnt(18)
	v_fma_f32 v3, v96, v148, -v3
	v_fmac_f32_e32 v169, v97, v148
	v_add_f32_e32 v2, v2, v4
	v_add_f32_e32 v4, v5, v168
	;; [unrolled: 6-line block ×15, first 2 shown]
	v_mul_f32_e32 v4, v127, v144
	s_waitcnt vmcnt(4)
	v_fma_f32 v5, v124, v162, -v5
	v_mul_f32_e32 v184, v126, v144
	v_add_f32_e32 v2, v2, v8
	v_fmac_f32_e32 v183, v125, v162
	v_add_f32_e32 v3, v3, v182
	s_waitcnt lgkmcnt(0)
	v_mul_f32_e32 v8, v7, v145
	s_waitcnt vmcnt(3)
	v_fma_f32 v4, v126, v163, -v4
	v_add_f32_e32 v2, v2, v5
	v_mul_f32_e32 v185, v6, v145
	v_fmac_f32_e32 v184, v127, v163
	v_add_f32_e32 v3, v3, v183
	s_waitcnt vmcnt(2)
	v_fma_f32 v5, v6, v164, -v8
	v_add_f32_e32 v2, v2, v4
	v_fmac_f32_e32 v185, v7, v164
	v_add_f32_e32 v3, v3, v184
	v_add_f32_e32 v2, v2, v5
	;; [unrolled: 1-line block ×3, first 2 shown]
	s_waitcnt vmcnt(1)
	v_sub_f32_e32 v2, v165, v2
	s_waitcnt vmcnt(0)
	v_sub_f32_e32 v3, v166, v3
	buffer_store_dword v2, off, s[0:3], 0 offset:184
	buffer_store_dword v3, off, s[0:3], 0 offset:188
	v_cmpx_lt_u32_e32 22, v0
	s_cbranch_execz .LBB106_227
; %bb.226:
	s_clause 0x1
	buffer_load_dword v2, off, s[0:3], 0 offset:176
	buffer_load_dword v3, off, s[0:3], 0 offset:180
	buffer_store_dword v1, off, s[0:3], 0 offset:176
	buffer_store_dword v1, off, s[0:3], 0 offset:180
	s_waitcnt vmcnt(0)
	ds_write_b64 v95, v[2:3]
.LBB106_227:
	s_or_b32 exec_lo, exec_lo, s4
	s_waitcnt lgkmcnt(0)
	s_waitcnt_vscnt null, 0x0
	s_barrier
	buffer_gl0_inv
	s_clause 0x29
	buffer_load_dword v6, off, s[0:3], 0 offset:188
	buffer_load_dword v7, off, s[0:3], 0 offset:196
	;; [unrolled: 1-line block ×42, first 2 shown]
	ds_read2_b64 v[2:5], v1 offset0:67 offset1:68
	ds_read2_b64 v[96:99], v1 offset0:69 offset1:70
	;; [unrolled: 1-line block ×10, first 2 shown]
	s_mov_b32 s4, exec_lo
	s_waitcnt vmcnt(41) lgkmcnt(9)
	v_mul_f32_e32 v1, v2, v6
	v_mul_f32_e32 v6, v3, v6
	s_waitcnt vmcnt(40)
	v_mul_f32_e32 v171, v4, v7
	v_mul_f32_e32 v7, v5, v7
	s_waitcnt vmcnt(39) lgkmcnt(8)
	v_mul_f32_e32 v172, v96, v8
	s_waitcnt vmcnt(38)
	v_mul_f32_e32 v173, v98, v132
	s_waitcnt vmcnt(37) lgkmcnt(7)
	v_mul_f32_e32 v174, v100, v133
	s_waitcnt vmcnt(36)
	;; [unrolled: 4-line block ×8, first 2 shown]
	v_mul_f32_e32 v187, v126, v146
	s_waitcnt vmcnt(21)
	v_fma_f32 v2, v2, v149, -v6
	v_fmac_f32_e32 v1, v3, v149
	v_mul_f32_e32 v3, v97, v8
	s_waitcnt vmcnt(20)
	v_fma_f32 v4, v4, v150, -v7
	v_fmac_f32_e32 v171, v5, v150
	v_add_f32_e32 v2, 0, v2
	v_add_f32_e32 v1, 0, v1
	v_mul_f32_e32 v5, v99, v132
	s_waitcnt vmcnt(19)
	v_fma_f32 v3, v96, v151, -v3
	v_fmac_f32_e32 v172, v97, v151
	v_add_f32_e32 v2, v2, v4
	v_add_f32_e32 v1, v1, v171
	;; [unrolled: 6-line block ×16, first 2 shown]
	s_waitcnt lgkmcnt(0)
	v_mul_f32_e32 v5, v129, v147
	s_waitcnt vmcnt(4)
	v_fma_f32 v3, v126, v166, -v3
	v_mul_f32_e32 v188, v128, v147
	v_add_f32_e32 v2, v2, v4
	v_fmac_f32_e32 v187, v127, v166
	v_add_f32_e32 v1, v1, v186
	v_mul_f32_e32 v4, v131, v148
	s_waitcnt vmcnt(3)
	v_fma_f32 v5, v128, v167, -v5
	v_add_f32_e32 v2, v2, v3
	v_mul_f32_e32 v189, v130, v148
	v_fmac_f32_e32 v188, v129, v167
	v_add_f32_e32 v1, v1, v187
	s_waitcnt vmcnt(2)
	v_fma_f32 v3, v130, v168, -v4
	v_add_f32_e32 v2, v2, v5
	v_fmac_f32_e32 v189, v131, v168
	v_add_f32_e32 v1, v1, v188
	v_add_f32_e32 v2, v2, v3
	;; [unrolled: 1-line block ×3, first 2 shown]
	s_waitcnt vmcnt(1)
	v_sub_f32_e32 v2, v169, v2
	s_waitcnt vmcnt(0)
	v_sub_f32_e32 v1, v170, v1
	buffer_store_dword v2, off, s[0:3], 0 offset:176
	buffer_store_dword v1, off, s[0:3], 0 offset:180
	v_cmpx_lt_u32_e32 21, v0
	s_cbranch_execz .LBB106_229
; %bb.228:
	s_clause 0x1
	buffer_load_dword v1, off, s[0:3], 0 offset:168
	buffer_load_dword v2, off, s[0:3], 0 offset:172
	v_mov_b32_e32 v3, 0
	buffer_store_dword v3, off, s[0:3], 0 offset:168
	buffer_store_dword v3, off, s[0:3], 0 offset:172
	s_waitcnt vmcnt(0)
	ds_write_b64 v95, v[1:2]
.LBB106_229:
	s_or_b32 exec_lo, exec_lo, s4
	s_waitcnt lgkmcnt(0)
	s_waitcnt_vscnt null, 0x0
	s_barrier
	buffer_gl0_inv
	s_clause 0x2b
	buffer_load_dword v8, off, s[0:3], 0 offset:180
	buffer_load_dword v132, off, s[0:3], 0 offset:188
	;; [unrolled: 1-line block ×44, first 2 shown]
	v_mov_b32_e32 v1, 0
	ds_read_b128 v[2:5], v1 offset:528
	ds_read_b128 v[96:99], v1 offset:544
	;; [unrolled: 1-line block ×10, first 2 shown]
	ds_read_b64 v[6:7], v1 offset:688
	s_mov_b32 s4, exec_lo
	s_waitcnt vmcnt(43) lgkmcnt(10)
	v_mul_f32_e32 v175, v2, v8
	v_mul_f32_e32 v8, v3, v8
	s_waitcnt vmcnt(42)
	v_mul_f32_e32 v176, v4, v132
	v_mul_f32_e32 v132, v5, v132
	s_waitcnt vmcnt(41) lgkmcnt(9)
	v_mul_f32_e32 v177, v96, v133
	s_waitcnt vmcnt(40)
	v_mul_f32_e32 v178, v98, v134
	s_waitcnt vmcnt(39) lgkmcnt(8)
	v_mul_f32_e32 v179, v100, v135
	s_waitcnt vmcnt(38)
	;; [unrolled: 4-line block ×9, first 2 shown]
	v_fma_f32 v2, v2, v152, -v8
	v_fmac_f32_e32 v175, v3, v152
	v_mul_f32_e32 v3, v97, v133
	s_waitcnt vmcnt(21)
	v_fma_f32 v4, v4, v153, -v132
	v_fmac_f32_e32 v176, v5, v153
	v_add_f32_e32 v2, 0, v2
	v_add_f32_e32 v5, 0, v175
	v_mul_f32_e32 v8, v99, v134
	s_waitcnt vmcnt(20)
	v_fma_f32 v3, v96, v154, -v3
	v_fmac_f32_e32 v177, v97, v154
	v_add_f32_e32 v2, v2, v4
	v_add_f32_e32 v4, v5, v176
	;; [unrolled: 6-line block ×17, first 2 shown]
	v_mul_f32_e32 v5, v131, v150
	s_waitcnt vmcnt(4)
	v_fma_f32 v8, v128, v170, -v8
	v_mul_f32_e32 v194, v130, v150
	v_add_f32_e32 v2, v2, v4
	v_fmac_f32_e32 v193, v129, v170
	v_add_f32_e32 v3, v3, v192
	s_waitcnt lgkmcnt(0)
	v_mul_f32_e32 v4, v7, v151
	s_waitcnt vmcnt(3)
	v_fma_f32 v5, v130, v171, -v5
	v_add_f32_e32 v2, v2, v8
	v_mul_f32_e32 v195, v6, v151
	v_fmac_f32_e32 v194, v131, v171
	v_add_f32_e32 v3, v3, v193
	s_waitcnt vmcnt(2)
	v_fma_f32 v4, v6, v172, -v4
	v_add_f32_e32 v2, v2, v5
	v_fmac_f32_e32 v195, v7, v172
	v_add_f32_e32 v3, v3, v194
	v_add_f32_e32 v2, v2, v4
	;; [unrolled: 1-line block ×3, first 2 shown]
	s_waitcnt vmcnt(1)
	v_sub_f32_e32 v2, v173, v2
	s_waitcnt vmcnt(0)
	v_sub_f32_e32 v3, v174, v3
	buffer_store_dword v2, off, s[0:3], 0 offset:168
	buffer_store_dword v3, off, s[0:3], 0 offset:172
	v_cmpx_lt_u32_e32 20, v0
	s_cbranch_execz .LBB106_231
; %bb.230:
	s_clause 0x1
	buffer_load_dword v2, off, s[0:3], 0 offset:160
	buffer_load_dword v3, off, s[0:3], 0 offset:164
	buffer_store_dword v1, off, s[0:3], 0 offset:160
	buffer_store_dword v1, off, s[0:3], 0 offset:164
	s_waitcnt vmcnt(0)
	ds_write_b64 v95, v[2:3]
.LBB106_231:
	s_or_b32 exec_lo, exec_lo, s4
	s_waitcnt lgkmcnt(0)
	s_waitcnt_vscnt null, 0x0
	s_barrier
	buffer_gl0_inv
	s_clause 0x2d
	buffer_load_dword v6, off, s[0:3], 0 offset:172
	buffer_load_dword v7, off, s[0:3], 0 offset:180
	;; [unrolled: 1-line block ×46, first 2 shown]
	ds_read2_b64 v[2:5], v1 offset0:65 offset1:66
	ds_read2_b64 v[96:99], v1 offset0:67 offset1:68
	;; [unrolled: 1-line block ×11, first 2 shown]
	s_mov_b32 s4, exec_lo
	s_waitcnt vmcnt(45) lgkmcnt(10)
	v_mul_f32_e32 v1, v2, v6
	v_mul_f32_e32 v6, v3, v6
	s_waitcnt vmcnt(44)
	v_mul_f32_e32 v179, v4, v7
	v_mul_f32_e32 v7, v5, v7
	s_waitcnt vmcnt(43) lgkmcnt(9)
	v_mul_f32_e32 v180, v96, v8
	s_waitcnt vmcnt(42)
	v_mul_f32_e32 v181, v98, v136
	s_waitcnt vmcnt(41) lgkmcnt(8)
	v_mul_f32_e32 v182, v100, v137
	s_waitcnt vmcnt(40)
	;; [unrolled: 4-line block ×9, first 2 shown]
	v_mul_f32_e32 v197, v130, v152
	s_waitcnt vmcnt(23)
	v_fma_f32 v2, v2, v155, -v6
	v_fmac_f32_e32 v1, v3, v155
	v_mul_f32_e32 v3, v97, v8
	s_waitcnt vmcnt(22)
	v_fma_f32 v4, v4, v156, -v7
	v_fmac_f32_e32 v179, v5, v156
	v_add_f32_e32 v2, 0, v2
	v_add_f32_e32 v1, 0, v1
	v_mul_f32_e32 v5, v99, v136
	s_waitcnt vmcnt(21)
	v_fma_f32 v3, v96, v157, -v3
	v_fmac_f32_e32 v180, v97, v157
	v_add_f32_e32 v2, v2, v4
	v_add_f32_e32 v1, v1, v179
	;; [unrolled: 6-line block ×18, first 2 shown]
	s_waitcnt lgkmcnt(0)
	v_mul_f32_e32 v3, v133, v153
	s_waitcnt vmcnt(4)
	v_fma_f32 v4, v130, v174, -v4
	v_mul_f32_e32 v198, v132, v153
	v_add_f32_e32 v2, v2, v5
	v_fmac_f32_e32 v197, v131, v174
	v_add_f32_e32 v1, v1, v196
	v_mul_f32_e32 v5, v135, v154
	s_waitcnt vmcnt(3)
	v_fma_f32 v3, v132, v175, -v3
	v_add_f32_e32 v2, v2, v4
	v_mul_f32_e32 v199, v134, v154
	v_fmac_f32_e32 v198, v133, v175
	v_add_f32_e32 v1, v1, v197
	s_waitcnt vmcnt(2)
	v_fma_f32 v4, v134, v176, -v5
	v_add_f32_e32 v2, v2, v3
	v_fmac_f32_e32 v199, v135, v176
	v_add_f32_e32 v1, v1, v198
	v_add_f32_e32 v2, v2, v4
	;; [unrolled: 1-line block ×3, first 2 shown]
	s_waitcnt vmcnt(1)
	v_sub_f32_e32 v2, v177, v2
	s_waitcnt vmcnt(0)
	v_sub_f32_e32 v1, v178, v1
	buffer_store_dword v2, off, s[0:3], 0 offset:160
	buffer_store_dword v1, off, s[0:3], 0 offset:164
	v_cmpx_lt_u32_e32 19, v0
	s_cbranch_execz .LBB106_233
; %bb.232:
	s_clause 0x1
	buffer_load_dword v1, off, s[0:3], 0 offset:152
	buffer_load_dword v2, off, s[0:3], 0 offset:156
	v_mov_b32_e32 v3, 0
	buffer_store_dword v3, off, s[0:3], 0 offset:152
	buffer_store_dword v3, off, s[0:3], 0 offset:156
	s_waitcnt vmcnt(0)
	ds_write_b64 v95, v[1:2]
.LBB106_233:
	s_or_b32 exec_lo, exec_lo, s4
	s_waitcnt lgkmcnt(0)
	s_waitcnt_vscnt null, 0x0
	s_barrier
	buffer_gl0_inv
	s_clause 0x2f
	buffer_load_dword v8, off, s[0:3], 0 offset:164
	buffer_load_dword v136, off, s[0:3], 0 offset:172
	;; [unrolled: 1-line block ×48, first 2 shown]
	v_mov_b32_e32 v1, 0
	ds_read_b128 v[2:5], v1 offset:512
	ds_read_b128 v[96:99], v1 offset:528
	;; [unrolled: 1-line block ×11, first 2 shown]
	ds_read_b64 v[6:7], v1 offset:688
	s_mov_b32 s4, exec_lo
	s_waitcnt vmcnt(47) lgkmcnt(11)
	v_mul_f32_e32 v183, v2, v8
	v_mul_f32_e32 v8, v3, v8
	s_waitcnt vmcnt(46)
	v_mul_f32_e32 v184, v4, v136
	v_mul_f32_e32 v136, v5, v136
	s_waitcnt vmcnt(45) lgkmcnt(10)
	v_mul_f32_e32 v185, v96, v137
	s_waitcnt vmcnt(44)
	v_mul_f32_e32 v186, v98, v138
	s_waitcnt vmcnt(43) lgkmcnt(9)
	v_mul_f32_e32 v187, v100, v139
	s_waitcnt vmcnt(42)
	;; [unrolled: 4-line block ×10, first 2 shown]
	v_fma_f32 v2, v2, v158, -v8
	v_fmac_f32_e32 v183, v3, v158
	v_mul_f32_e32 v3, v97, v137
	s_waitcnt vmcnt(23)
	v_fma_f32 v4, v4, v159, -v136
	v_fmac_f32_e32 v184, v5, v159
	v_add_f32_e32 v2, 0, v2
	v_add_f32_e32 v5, 0, v183
	v_mul_f32_e32 v8, v99, v138
	s_waitcnt vmcnt(22)
	v_fma_f32 v3, v96, v160, -v3
	v_fmac_f32_e32 v185, v97, v160
	v_add_f32_e32 v2, v2, v4
	v_add_f32_e32 v4, v5, v184
	;; [unrolled: 6-line block ×19, first 2 shown]
	v_mul_f32_e32 v8, v135, v156
	s_waitcnt vmcnt(4)
	v_fma_f32 v4, v132, v178, -v4
	v_mul_f32_e32 v204, v134, v156
	v_add_f32_e32 v2, v2, v5
	v_fmac_f32_e32 v203, v133, v178
	v_add_f32_e32 v3, v3, v202
	s_waitcnt lgkmcnt(0)
	v_mul_f32_e32 v5, v7, v157
	s_waitcnt vmcnt(3)
	v_fma_f32 v8, v134, v179, -v8
	v_add_f32_e32 v2, v2, v4
	v_mul_f32_e32 v205, v6, v157
	v_fmac_f32_e32 v204, v135, v179
	v_add_f32_e32 v3, v3, v203
	s_waitcnt vmcnt(2)
	v_fma_f32 v4, v6, v180, -v5
	v_add_f32_e32 v2, v2, v8
	v_fmac_f32_e32 v205, v7, v180
	v_add_f32_e32 v3, v3, v204
	v_add_f32_e32 v2, v2, v4
	;; [unrolled: 1-line block ×3, first 2 shown]
	s_waitcnt vmcnt(1)
	v_sub_f32_e32 v2, v181, v2
	s_waitcnt vmcnt(0)
	v_sub_f32_e32 v3, v182, v3
	buffer_store_dword v2, off, s[0:3], 0 offset:152
	buffer_store_dword v3, off, s[0:3], 0 offset:156
	v_cmpx_lt_u32_e32 18, v0
	s_cbranch_execz .LBB106_235
; %bb.234:
	s_clause 0x1
	buffer_load_dword v2, off, s[0:3], 0 offset:144
	buffer_load_dword v3, off, s[0:3], 0 offset:148
	buffer_store_dword v1, off, s[0:3], 0 offset:144
	buffer_store_dword v1, off, s[0:3], 0 offset:148
	s_waitcnt vmcnt(0)
	ds_write_b64 v95, v[2:3]
.LBB106_235:
	s_or_b32 exec_lo, exec_lo, s4
	s_waitcnt lgkmcnt(0)
	s_waitcnt_vscnt null, 0x0
	s_barrier
	buffer_gl0_inv
	s_clause 0x31
	buffer_load_dword v6, off, s[0:3], 0 offset:156
	buffer_load_dword v7, off, s[0:3], 0 offset:164
	buffer_load_dword v8, off, s[0:3], 0 offset:172
	buffer_load_dword v140, off, s[0:3], 0 offset:180
	buffer_load_dword v141, off, s[0:3], 0 offset:188
	buffer_load_dword v142, off, s[0:3], 0 offset:196
	buffer_load_dword v143, off, s[0:3], 0 offset:204
	buffer_load_dword v144, off, s[0:3], 0 offset:212
	buffer_load_dword v145, off, s[0:3], 0 offset:220
	buffer_load_dword v146, off, s[0:3], 0 offset:228
	buffer_load_dword v147, off, s[0:3], 0 offset:236
	buffer_load_dword v148, off, s[0:3], 0 offset:244
	buffer_load_dword v149, off, s[0:3], 0 offset:252
	buffer_load_dword v150, off, s[0:3], 0 offset:260
	buffer_load_dword v151, off, s[0:3], 0 offset:268
	buffer_load_dword v152, off, s[0:3], 0 offset:276
	buffer_load_dword v153, off, s[0:3], 0 offset:284
	buffer_load_dword v154, off, s[0:3], 0 offset:292
	buffer_load_dword v155, off, s[0:3], 0 offset:300
	buffer_load_dword v156, off, s[0:3], 0 offset:308
	buffer_load_dword v157, off, s[0:3], 0 offset:316
	buffer_load_dword v158, off, s[0:3], 0 offset:324
	buffer_load_dword v159, off, s[0:3], 0 offset:332
	buffer_load_dword v160, off, s[0:3], 0 offset:340
	buffer_load_dword v161, off, s[0:3], 0 offset:152
	buffer_load_dword v162, off, s[0:3], 0 offset:160
	buffer_load_dword v163, off, s[0:3], 0 offset:168
	buffer_load_dword v164, off, s[0:3], 0 offset:176
	buffer_load_dword v165, off, s[0:3], 0 offset:184
	buffer_load_dword v166, off, s[0:3], 0 offset:192
	buffer_load_dword v167, off, s[0:3], 0 offset:200
	buffer_load_dword v168, off, s[0:3], 0 offset:208
	buffer_load_dword v169, off, s[0:3], 0 offset:216
	buffer_load_dword v170, off, s[0:3], 0 offset:224
	buffer_load_dword v171, off, s[0:3], 0 offset:232
	buffer_load_dword v172, off, s[0:3], 0 offset:240
	buffer_load_dword v173, off, s[0:3], 0 offset:248
	buffer_load_dword v174, off, s[0:3], 0 offset:256
	buffer_load_dword v175, off, s[0:3], 0 offset:264
	buffer_load_dword v176, off, s[0:3], 0 offset:272
	buffer_load_dword v177, off, s[0:3], 0 offset:280
	buffer_load_dword v178, off, s[0:3], 0 offset:288
	buffer_load_dword v179, off, s[0:3], 0 offset:296
	buffer_load_dword v180, off, s[0:3], 0 offset:304
	buffer_load_dword v181, off, s[0:3], 0 offset:312
	buffer_load_dword v182, off, s[0:3], 0 offset:320
	buffer_load_dword v183, off, s[0:3], 0 offset:328
	buffer_load_dword v184, off, s[0:3], 0 offset:336
	buffer_load_dword v185, off, s[0:3], 0 offset:144
	buffer_load_dword v186, off, s[0:3], 0 offset:148
	ds_read2_b64 v[2:5], v1 offset0:63 offset1:64
	ds_read2_b64 v[96:99], v1 offset0:65 offset1:66
	;; [unrolled: 1-line block ×12, first 2 shown]
	s_mov_b32 s4, exec_lo
	s_waitcnt vmcnt(49) lgkmcnt(11)
	v_mul_f32_e32 v1, v2, v6
	v_mul_f32_e32 v6, v3, v6
	s_waitcnt vmcnt(48)
	v_mul_f32_e32 v187, v4, v7
	v_mul_f32_e32 v7, v5, v7
	s_waitcnt vmcnt(47) lgkmcnt(10)
	v_mul_f32_e32 v188, v96, v8
	s_waitcnt vmcnt(46)
	v_mul_f32_e32 v189, v98, v140
	s_waitcnt vmcnt(45) lgkmcnt(9)
	v_mul_f32_e32 v190, v100, v141
	s_waitcnt vmcnt(44)
	;; [unrolled: 4-line block ×10, first 2 shown]
	v_mul_f32_e32 v207, v134, v158
	s_waitcnt vmcnt(25)
	v_fma_f32 v2, v2, v161, -v6
	v_fmac_f32_e32 v1, v3, v161
	v_mul_f32_e32 v3, v97, v8
	s_waitcnt vmcnt(24)
	v_fma_f32 v4, v4, v162, -v7
	v_fmac_f32_e32 v187, v5, v162
	v_add_f32_e32 v2, 0, v2
	v_add_f32_e32 v1, 0, v1
	v_mul_f32_e32 v5, v99, v140
	s_waitcnt vmcnt(23)
	v_fma_f32 v3, v96, v163, -v3
	v_fmac_f32_e32 v188, v97, v163
	v_add_f32_e32 v2, v2, v4
	v_add_f32_e32 v1, v1, v187
	;; [unrolled: 6-line block ×20, first 2 shown]
	s_waitcnt lgkmcnt(0)
	v_mul_f32_e32 v4, v137, v159
	s_waitcnt vmcnt(4)
	v_fma_f32 v5, v134, v182, -v5
	v_mul_f32_e32 v208, v136, v159
	v_add_f32_e32 v2, v2, v3
	v_fmac_f32_e32 v207, v135, v182
	v_add_f32_e32 v1, v1, v206
	v_mul_f32_e32 v3, v139, v160
	s_waitcnt vmcnt(3)
	v_fma_f32 v4, v136, v183, -v4
	v_add_f32_e32 v2, v2, v5
	v_mul_f32_e32 v209, v138, v160
	v_fmac_f32_e32 v208, v137, v183
	v_add_f32_e32 v1, v1, v207
	s_waitcnt vmcnt(2)
	v_fma_f32 v3, v138, v184, -v3
	v_add_f32_e32 v2, v2, v4
	v_fmac_f32_e32 v209, v139, v184
	v_add_f32_e32 v1, v1, v208
	v_add_f32_e32 v2, v2, v3
	;; [unrolled: 1-line block ×3, first 2 shown]
	s_waitcnt vmcnt(1)
	v_sub_f32_e32 v2, v185, v2
	s_waitcnt vmcnt(0)
	v_sub_f32_e32 v1, v186, v1
	buffer_store_dword v2, off, s[0:3], 0 offset:144
	buffer_store_dword v1, off, s[0:3], 0 offset:148
	v_cmpx_lt_u32_e32 17, v0
	s_cbranch_execz .LBB106_237
; %bb.236:
	s_clause 0x1
	buffer_load_dword v1, off, s[0:3], 0 offset:136
	buffer_load_dword v2, off, s[0:3], 0 offset:140
	v_mov_b32_e32 v3, 0
	buffer_store_dword v3, off, s[0:3], 0 offset:136
	buffer_store_dword v3, off, s[0:3], 0 offset:140
	s_waitcnt vmcnt(0)
	ds_write_b64 v95, v[1:2]
.LBB106_237:
	s_or_b32 exec_lo, exec_lo, s4
	s_waitcnt lgkmcnt(0)
	s_waitcnt_vscnt null, 0x0
	s_barrier
	buffer_gl0_inv
	s_clause 0x33
	buffer_load_dword v8, off, s[0:3], 0 offset:148
	buffer_load_dword v140, off, s[0:3], 0 offset:156
	;; [unrolled: 1-line block ×52, first 2 shown]
	v_mov_b32_e32 v1, 0
	ds_read_b128 v[2:5], v1 offset:496
	ds_read_b128 v[96:99], v1 offset:512
	;; [unrolled: 1-line block ×12, first 2 shown]
	ds_read_b64 v[6:7], v1 offset:688
	s_mov_b32 s4, exec_lo
	s_waitcnt vmcnt(51) lgkmcnt(12)
	v_mul_f32_e32 v191, v2, v8
	v_mul_f32_e32 v8, v3, v8
	s_waitcnt vmcnt(50)
	v_mul_f32_e32 v192, v4, v140
	v_mul_f32_e32 v140, v5, v140
	s_waitcnt vmcnt(49) lgkmcnt(11)
	v_mul_f32_e32 v193, v96, v141
	s_waitcnt vmcnt(48)
	v_mul_f32_e32 v194, v98, v142
	s_waitcnt vmcnt(47) lgkmcnt(10)
	v_mul_f32_e32 v195, v100, v143
	s_waitcnt vmcnt(46)
	;; [unrolled: 4-line block ×11, first 2 shown]
	v_fma_f32 v2, v2, v164, -v8
	v_fmac_f32_e32 v191, v3, v164
	v_mul_f32_e32 v3, v97, v141
	s_waitcnt vmcnt(25)
	v_fma_f32 v4, v4, v165, -v140
	v_fmac_f32_e32 v192, v5, v165
	v_add_f32_e32 v2, 0, v2
	v_add_f32_e32 v5, 0, v191
	v_mul_f32_e32 v8, v99, v142
	s_waitcnt vmcnt(24)
	v_fma_f32 v3, v96, v166, -v3
	v_fmac_f32_e32 v193, v97, v166
	v_add_f32_e32 v2, v2, v4
	v_add_f32_e32 v4, v5, v192
	;; [unrolled: 6-line block ×21, first 2 shown]
	v_mul_f32_e32 v4, v139, v162
	s_waitcnt vmcnt(4)
	v_fma_f32 v5, v136, v186, -v5
	v_mul_f32_e32 v214, v138, v162
	v_add_f32_e32 v2, v2, v8
	v_fmac_f32_e32 v213, v137, v186
	v_add_f32_e32 v3, v3, v212
	s_waitcnt lgkmcnt(0)
	v_mul_f32_e32 v8, v7, v163
	s_waitcnt vmcnt(3)
	v_fma_f32 v4, v138, v187, -v4
	v_add_f32_e32 v2, v2, v5
	v_mul_f32_e32 v215, v6, v163
	v_fmac_f32_e32 v214, v139, v187
	v_add_f32_e32 v3, v3, v213
	s_waitcnt vmcnt(2)
	v_fma_f32 v5, v6, v188, -v8
	v_add_f32_e32 v2, v2, v4
	v_fmac_f32_e32 v215, v7, v188
	v_add_f32_e32 v3, v3, v214
	v_add_f32_e32 v2, v2, v5
	;; [unrolled: 1-line block ×3, first 2 shown]
	s_waitcnt vmcnt(1)
	v_sub_f32_e32 v2, v189, v2
	s_waitcnt vmcnt(0)
	v_sub_f32_e32 v3, v190, v3
	buffer_store_dword v2, off, s[0:3], 0 offset:136
	buffer_store_dword v3, off, s[0:3], 0 offset:140
	v_cmpx_lt_u32_e32 16, v0
	s_cbranch_execz .LBB106_239
; %bb.238:
	s_clause 0x1
	buffer_load_dword v2, off, s[0:3], 0 offset:128
	buffer_load_dword v3, off, s[0:3], 0 offset:132
	buffer_store_dword v1, off, s[0:3], 0 offset:128
	buffer_store_dword v1, off, s[0:3], 0 offset:132
	s_waitcnt vmcnt(0)
	ds_write_b64 v95, v[2:3]
.LBB106_239:
	s_or_b32 exec_lo, exec_lo, s4
	s_waitcnt lgkmcnt(0)
	s_waitcnt_vscnt null, 0x0
	s_barrier
	buffer_gl0_inv
	s_clause 0x35
	buffer_load_dword v6, off, s[0:3], 0 offset:140
	buffer_load_dword v7, off, s[0:3], 0 offset:148
	buffer_load_dword v8, off, s[0:3], 0 offset:156
	buffer_load_dword v144, off, s[0:3], 0 offset:164
	buffer_load_dword v145, off, s[0:3], 0 offset:172
	buffer_load_dword v146, off, s[0:3], 0 offset:180
	buffer_load_dword v147, off, s[0:3], 0 offset:188
	buffer_load_dword v148, off, s[0:3], 0 offset:196
	buffer_load_dword v149, off, s[0:3], 0 offset:204
	buffer_load_dword v150, off, s[0:3], 0 offset:212
	buffer_load_dword v151, off, s[0:3], 0 offset:220
	buffer_load_dword v152, off, s[0:3], 0 offset:228
	buffer_load_dword v153, off, s[0:3], 0 offset:236
	buffer_load_dword v154, off, s[0:3], 0 offset:244
	buffer_load_dword v155, off, s[0:3], 0 offset:252
	buffer_load_dword v156, off, s[0:3], 0 offset:260
	buffer_load_dword v157, off, s[0:3], 0 offset:268
	buffer_load_dword v158, off, s[0:3], 0 offset:276
	buffer_load_dword v159, off, s[0:3], 0 offset:284
	buffer_load_dword v160, off, s[0:3], 0 offset:292
	buffer_load_dword v161, off, s[0:3], 0 offset:300
	buffer_load_dword v162, off, s[0:3], 0 offset:308
	buffer_load_dword v163, off, s[0:3], 0 offset:316
	buffer_load_dword v164, off, s[0:3], 0 offset:324
	buffer_load_dword v165, off, s[0:3], 0 offset:332
	buffer_load_dword v166, off, s[0:3], 0 offset:340
	buffer_load_dword v167, off, s[0:3], 0 offset:136
	buffer_load_dword v168, off, s[0:3], 0 offset:144
	buffer_load_dword v169, off, s[0:3], 0 offset:152
	buffer_load_dword v170, off, s[0:3], 0 offset:160
	buffer_load_dword v171, off, s[0:3], 0 offset:168
	buffer_load_dword v172, off, s[0:3], 0 offset:176
	buffer_load_dword v173, off, s[0:3], 0 offset:184
	buffer_load_dword v174, off, s[0:3], 0 offset:192
	buffer_load_dword v175, off, s[0:3], 0 offset:200
	buffer_load_dword v176, off, s[0:3], 0 offset:208
	buffer_load_dword v177, off, s[0:3], 0 offset:216
	buffer_load_dword v178, off, s[0:3], 0 offset:224
	buffer_load_dword v179, off, s[0:3], 0 offset:232
	buffer_load_dword v180, off, s[0:3], 0 offset:240
	buffer_load_dword v181, off, s[0:3], 0 offset:248
	buffer_load_dword v182, off, s[0:3], 0 offset:256
	buffer_load_dword v183, off, s[0:3], 0 offset:264
	buffer_load_dword v184, off, s[0:3], 0 offset:272
	buffer_load_dword v185, off, s[0:3], 0 offset:280
	buffer_load_dword v186, off, s[0:3], 0 offset:288
	buffer_load_dword v187, off, s[0:3], 0 offset:296
	buffer_load_dword v188, off, s[0:3], 0 offset:304
	buffer_load_dword v189, off, s[0:3], 0 offset:312
	buffer_load_dword v190, off, s[0:3], 0 offset:320
	buffer_load_dword v191, off, s[0:3], 0 offset:328
	buffer_load_dword v192, off, s[0:3], 0 offset:336
	buffer_load_dword v193, off, s[0:3], 0 offset:128
	buffer_load_dword v194, off, s[0:3], 0 offset:132
	ds_read2_b64 v[2:5], v1 offset0:61 offset1:62
	ds_read2_b64 v[96:99], v1 offset0:63 offset1:64
	;; [unrolled: 1-line block ×13, first 2 shown]
	s_mov_b32 s4, exec_lo
	s_waitcnt vmcnt(53) lgkmcnt(12)
	v_mul_f32_e32 v1, v2, v6
	v_mul_f32_e32 v6, v3, v6
	s_waitcnt vmcnt(52)
	v_mul_f32_e32 v195, v4, v7
	v_mul_f32_e32 v7, v5, v7
	s_waitcnt vmcnt(51) lgkmcnt(11)
	v_mul_f32_e32 v196, v96, v8
	s_waitcnt vmcnt(50)
	v_mul_f32_e32 v197, v98, v144
	s_waitcnt vmcnt(49) lgkmcnt(10)
	v_mul_f32_e32 v198, v100, v145
	s_waitcnt vmcnt(48)
	;; [unrolled: 4-line block ×11, first 2 shown]
	v_mul_f32_e32 v217, v138, v164
	s_waitcnt vmcnt(27)
	v_fma_f32 v2, v2, v167, -v6
	v_fmac_f32_e32 v1, v3, v167
	v_mul_f32_e32 v3, v97, v8
	s_waitcnt vmcnt(26)
	v_fma_f32 v4, v4, v168, -v7
	v_fmac_f32_e32 v195, v5, v168
	v_add_f32_e32 v2, 0, v2
	v_add_f32_e32 v1, 0, v1
	v_mul_f32_e32 v5, v99, v144
	s_waitcnt vmcnt(25)
	v_fma_f32 v3, v96, v169, -v3
	v_fmac_f32_e32 v196, v97, v169
	v_add_f32_e32 v2, v2, v4
	v_add_f32_e32 v1, v1, v195
	;; [unrolled: 6-line block ×22, first 2 shown]
	s_waitcnt lgkmcnt(0)
	v_mul_f32_e32 v5, v141, v165
	s_waitcnt vmcnt(4)
	v_fma_f32 v3, v138, v190, -v3
	v_mul_f32_e32 v218, v140, v165
	v_add_f32_e32 v2, v2, v4
	v_fmac_f32_e32 v217, v139, v190
	v_add_f32_e32 v1, v1, v216
	v_mul_f32_e32 v4, v143, v166
	s_waitcnt vmcnt(3)
	v_fma_f32 v5, v140, v191, -v5
	v_add_f32_e32 v2, v2, v3
	v_mul_f32_e32 v219, v142, v166
	v_fmac_f32_e32 v218, v141, v191
	v_add_f32_e32 v1, v1, v217
	s_waitcnt vmcnt(2)
	v_fma_f32 v3, v142, v192, -v4
	v_add_f32_e32 v2, v2, v5
	v_fmac_f32_e32 v219, v143, v192
	v_add_f32_e32 v1, v1, v218
	v_add_f32_e32 v2, v2, v3
	;; [unrolled: 1-line block ×3, first 2 shown]
	s_waitcnt vmcnt(1)
	v_sub_f32_e32 v2, v193, v2
	s_waitcnt vmcnt(0)
	v_sub_f32_e32 v1, v194, v1
	buffer_store_dword v2, off, s[0:3], 0 offset:128
	buffer_store_dword v1, off, s[0:3], 0 offset:132
	v_cmpx_lt_u32_e32 15, v0
	s_cbranch_execz .LBB106_241
; %bb.240:
	s_clause 0x1
	buffer_load_dword v1, off, s[0:3], 0 offset:120
	buffer_load_dword v2, off, s[0:3], 0 offset:124
	v_mov_b32_e32 v3, 0
	buffer_store_dword v3, off, s[0:3], 0 offset:120
	buffer_store_dword v3, off, s[0:3], 0 offset:124
	s_waitcnt vmcnt(0)
	ds_write_b64 v95, v[1:2]
.LBB106_241:
	s_or_b32 exec_lo, exec_lo, s4
	s_waitcnt lgkmcnt(0)
	s_waitcnt_vscnt null, 0x0
	s_barrier
	buffer_gl0_inv
	s_clause 0x37
	buffer_load_dword v8, off, s[0:3], 0 offset:132
	buffer_load_dword v144, off, s[0:3], 0 offset:140
	;; [unrolled: 1-line block ×56, first 2 shown]
	v_mov_b32_e32 v1, 0
	ds_read_b128 v[2:5], v1 offset:480
	ds_read_b128 v[96:99], v1 offset:496
	;; [unrolled: 1-line block ×13, first 2 shown]
	ds_read_b64 v[6:7], v1 offset:688
	s_mov_b32 s4, exec_lo
	s_waitcnt vmcnt(55) lgkmcnt(13)
	v_mul_f32_e32 v199, v2, v8
	v_mul_f32_e32 v8, v3, v8
	s_waitcnt vmcnt(54)
	v_mul_f32_e32 v200, v4, v144
	v_mul_f32_e32 v144, v5, v144
	s_waitcnt vmcnt(53) lgkmcnt(12)
	v_mul_f32_e32 v201, v96, v145
	s_waitcnt vmcnt(52)
	v_mul_f32_e32 v202, v98, v146
	s_waitcnt vmcnt(51) lgkmcnt(11)
	v_mul_f32_e32 v203, v100, v147
	s_waitcnt vmcnt(50)
	;; [unrolled: 4-line block ×12, first 2 shown]
	v_fma_f32 v2, v2, v170, -v8
	v_fmac_f32_e32 v199, v3, v170
	v_mul_f32_e32 v3, v97, v145
	s_waitcnt vmcnt(27)
	v_fma_f32 v4, v4, v171, -v144
	v_fmac_f32_e32 v200, v5, v171
	v_add_f32_e32 v2, 0, v2
	v_add_f32_e32 v5, 0, v199
	v_mul_f32_e32 v8, v99, v146
	s_waitcnt vmcnt(26)
	v_fma_f32 v3, v96, v172, -v3
	v_fmac_f32_e32 v201, v97, v172
	v_add_f32_e32 v2, v2, v4
	v_add_f32_e32 v4, v5, v200
	;; [unrolled: 6-line block ×23, first 2 shown]
	v_mul_f32_e32 v5, v143, v168
	s_waitcnt vmcnt(4)
	v_fma_f32 v8, v140, v194, -v8
	v_mul_f32_e32 v224, v142, v168
	v_add_f32_e32 v2, v2, v4
	v_fmac_f32_e32 v223, v141, v194
	v_add_f32_e32 v3, v3, v222
	s_waitcnt lgkmcnt(0)
	v_mul_f32_e32 v4, v7, v169
	s_waitcnt vmcnt(3)
	v_fma_f32 v5, v142, v195, -v5
	v_add_f32_e32 v2, v2, v8
	v_mul_f32_e32 v225, v6, v169
	v_fmac_f32_e32 v224, v143, v195
	v_add_f32_e32 v3, v3, v223
	s_waitcnt vmcnt(2)
	v_fma_f32 v4, v6, v196, -v4
	v_add_f32_e32 v2, v2, v5
	v_fmac_f32_e32 v225, v7, v196
	v_add_f32_e32 v3, v3, v224
	v_add_f32_e32 v2, v2, v4
	;; [unrolled: 1-line block ×3, first 2 shown]
	s_waitcnt vmcnt(1)
	v_sub_f32_e32 v2, v197, v2
	s_waitcnt vmcnt(0)
	v_sub_f32_e32 v3, v198, v3
	buffer_store_dword v2, off, s[0:3], 0 offset:120
	buffer_store_dword v3, off, s[0:3], 0 offset:124
	v_cmpx_lt_u32_e32 14, v0
	s_cbranch_execz .LBB106_243
; %bb.242:
	s_clause 0x1
	buffer_load_dword v2, off, s[0:3], 0 offset:112
	buffer_load_dword v3, off, s[0:3], 0 offset:116
	buffer_store_dword v1, off, s[0:3], 0 offset:112
	buffer_store_dword v1, off, s[0:3], 0 offset:116
	s_waitcnt vmcnt(0)
	ds_write_b64 v95, v[2:3]
.LBB106_243:
	s_or_b32 exec_lo, exec_lo, s4
	s_waitcnt lgkmcnt(0)
	s_waitcnt_vscnt null, 0x0
	s_barrier
	buffer_gl0_inv
	s_clause 0x39
	buffer_load_dword v6, off, s[0:3], 0 offset:124
	buffer_load_dword v7, off, s[0:3], 0 offset:132
	;; [unrolled: 1-line block ×58, first 2 shown]
	ds_read2_b64 v[2:5], v1 offset0:59 offset1:60
	ds_read2_b64 v[96:99], v1 offset0:61 offset1:62
	;; [unrolled: 1-line block ×14, first 2 shown]
	s_mov_b32 s4, exec_lo
	s_waitcnt vmcnt(57) lgkmcnt(13)
	v_mul_f32_e32 v1, v2, v6
	v_mul_f32_e32 v6, v3, v6
	s_waitcnt vmcnt(56)
	v_mul_f32_e32 v203, v4, v7
	v_mul_f32_e32 v7, v5, v7
	s_waitcnt vmcnt(55) lgkmcnt(12)
	v_mul_f32_e32 v204, v96, v8
	s_waitcnt vmcnt(54)
	v_mul_f32_e32 v205, v98, v148
	s_waitcnt vmcnt(53) lgkmcnt(11)
	v_mul_f32_e32 v206, v100, v149
	s_waitcnt vmcnt(52)
	;; [unrolled: 4-line block ×12, first 2 shown]
	v_mul_f32_e32 v227, v142, v170
	s_waitcnt vmcnt(29)
	v_fma_f32 v2, v2, v173, -v6
	v_fmac_f32_e32 v1, v3, v173
	v_mul_f32_e32 v3, v97, v8
	s_waitcnt vmcnt(28)
	v_fma_f32 v4, v4, v174, -v7
	v_fmac_f32_e32 v203, v5, v174
	v_add_f32_e32 v2, 0, v2
	v_add_f32_e32 v1, 0, v1
	v_mul_f32_e32 v5, v99, v148
	s_waitcnt vmcnt(27)
	v_fma_f32 v3, v96, v175, -v3
	v_fmac_f32_e32 v204, v97, v175
	v_add_f32_e32 v2, v2, v4
	v_add_f32_e32 v1, v1, v203
	;; [unrolled: 6-line block ×24, first 2 shown]
	s_waitcnt lgkmcnt(0)
	v_mul_f32_e32 v3, v145, v171
	s_waitcnt vmcnt(4)
	v_fma_f32 v4, v142, v198, -v4
	v_mul_f32_e32 v228, v144, v171
	v_add_f32_e32 v2, v2, v5
	v_fmac_f32_e32 v227, v143, v198
	v_add_f32_e32 v1, v1, v226
	v_mul_f32_e32 v5, v147, v172
	s_waitcnt vmcnt(3)
	v_fma_f32 v3, v144, v199, -v3
	v_add_f32_e32 v2, v2, v4
	v_mul_f32_e32 v229, v146, v172
	v_fmac_f32_e32 v228, v145, v199
	v_add_f32_e32 v1, v1, v227
	s_waitcnt vmcnt(2)
	v_fma_f32 v4, v146, v200, -v5
	v_add_f32_e32 v2, v2, v3
	v_fmac_f32_e32 v229, v147, v200
	v_add_f32_e32 v1, v1, v228
	v_add_f32_e32 v2, v2, v4
	v_add_f32_e32 v1, v1, v229
	s_waitcnt vmcnt(1)
	v_sub_f32_e32 v2, v201, v2
	s_waitcnt vmcnt(0)
	v_sub_f32_e32 v1, v202, v1
	buffer_store_dword v2, off, s[0:3], 0 offset:112
	buffer_store_dword v1, off, s[0:3], 0 offset:116
	v_cmpx_lt_u32_e32 13, v0
	s_cbranch_execz .LBB106_245
; %bb.244:
	s_clause 0x1
	buffer_load_dword v1, off, s[0:3], 0 offset:104
	buffer_load_dword v2, off, s[0:3], 0 offset:108
	v_mov_b32_e32 v3, 0
	buffer_store_dword v3, off, s[0:3], 0 offset:104
	buffer_store_dword v3, off, s[0:3], 0 offset:108
	s_waitcnt vmcnt(0)
	ds_write_b64 v95, v[1:2]
.LBB106_245:
	s_or_b32 exec_lo, exec_lo, s4
	s_waitcnt lgkmcnt(0)
	s_waitcnt_vscnt null, 0x0
	s_barrier
	buffer_gl0_inv
	s_clause 0x3b
	buffer_load_dword v8, off, s[0:3], 0 offset:116
	buffer_load_dword v148, off, s[0:3], 0 offset:124
	;; [unrolled: 1-line block ×60, first 2 shown]
	v_mov_b32_e32 v1, 0
	ds_read_b128 v[2:5], v1 offset:464
	ds_read_b128 v[96:99], v1 offset:480
	;; [unrolled: 1-line block ×14, first 2 shown]
	ds_read_b64 v[6:7], v1 offset:688
	s_mov_b32 s4, exec_lo
	s_waitcnt vmcnt(59) lgkmcnt(14)
	v_mul_f32_e32 v207, v2, v8
	v_mul_f32_e32 v8, v3, v8
	s_waitcnt vmcnt(58)
	v_mul_f32_e32 v208, v4, v148
	v_mul_f32_e32 v148, v5, v148
	s_waitcnt vmcnt(57) lgkmcnt(13)
	v_mul_f32_e32 v209, v96, v149
	s_waitcnt vmcnt(56)
	v_mul_f32_e32 v210, v98, v150
	s_waitcnt vmcnt(55) lgkmcnt(12)
	v_mul_f32_e32 v211, v100, v151
	s_waitcnt vmcnt(54)
	;; [unrolled: 4-line block ×13, first 2 shown]
	v_fma_f32 v2, v2, v176, -v8
	v_fmac_f32_e32 v207, v3, v176
	v_mul_f32_e32 v3, v97, v149
	s_waitcnt vmcnt(29)
	v_fma_f32 v4, v4, v177, -v148
	v_fmac_f32_e32 v208, v5, v177
	v_add_f32_e32 v2, 0, v2
	v_add_f32_e32 v5, 0, v207
	v_mul_f32_e32 v8, v99, v150
	s_waitcnt vmcnt(28)
	v_fma_f32 v3, v96, v178, -v3
	v_fmac_f32_e32 v209, v97, v178
	v_add_f32_e32 v2, v2, v4
	v_add_f32_e32 v4, v5, v208
	;; [unrolled: 6-line block ×25, first 2 shown]
	v_mul_f32_e32 v8, v147, v174
	s_waitcnt vmcnt(4)
	v_fma_f32 v4, v144, v202, -v4
	v_mul_f32_e32 v234, v146, v174
	v_add_f32_e32 v2, v2, v5
	v_fmac_f32_e32 v233, v145, v202
	v_add_f32_e32 v3, v3, v232
	s_waitcnt lgkmcnt(0)
	v_mul_f32_e32 v5, v7, v175
	s_waitcnt vmcnt(3)
	v_fma_f32 v8, v146, v203, -v8
	v_add_f32_e32 v2, v2, v4
	v_mul_f32_e32 v235, v6, v175
	v_fmac_f32_e32 v234, v147, v203
	v_add_f32_e32 v3, v3, v233
	s_waitcnt vmcnt(2)
	v_fma_f32 v4, v6, v204, -v5
	v_add_f32_e32 v2, v2, v8
	v_fmac_f32_e32 v235, v7, v204
	v_add_f32_e32 v3, v3, v234
	v_add_f32_e32 v2, v2, v4
	;; [unrolled: 1-line block ×3, first 2 shown]
	s_waitcnt vmcnt(1)
	v_sub_f32_e32 v2, v205, v2
	s_waitcnt vmcnt(0)
	v_sub_f32_e32 v3, v206, v3
	buffer_store_dword v2, off, s[0:3], 0 offset:104
	buffer_store_dword v3, off, s[0:3], 0 offset:108
	v_cmpx_lt_u32_e32 12, v0
	s_cbranch_execz .LBB106_247
; %bb.246:
	s_clause 0x1
	buffer_load_dword v2, off, s[0:3], 0 offset:96
	buffer_load_dword v3, off, s[0:3], 0 offset:100
	buffer_store_dword v1, off, s[0:3], 0 offset:96
	buffer_store_dword v1, off, s[0:3], 0 offset:100
	s_waitcnt vmcnt(0)
	ds_write_b64 v95, v[2:3]
.LBB106_247:
	s_or_b32 exec_lo, exec_lo, s4
	s_waitcnt lgkmcnt(0)
	s_waitcnt_vscnt null, 0x0
	s_barrier
	buffer_gl0_inv
	s_clause 0x3d
	buffer_load_dword v6, off, s[0:3], 0 offset:108
	buffer_load_dword v7, off, s[0:3], 0 offset:116
	;; [unrolled: 1-line block ×62, first 2 shown]
	ds_read2_b64 v[2:5], v1 offset0:57 offset1:58
	ds_read2_b64 v[96:99], v1 offset0:59 offset1:60
	;; [unrolled: 1-line block ×15, first 2 shown]
	s_mov_b32 s4, exec_lo
	s_waitcnt vmcnt(61) lgkmcnt(14)
	v_mul_f32_e32 v1, v2, v6
	v_mul_f32_e32 v6, v3, v6
	s_waitcnt vmcnt(60)
	v_mul_f32_e32 v211, v4, v7
	v_mul_f32_e32 v7, v5, v7
	s_waitcnt vmcnt(59) lgkmcnt(13)
	v_mul_f32_e32 v212, v96, v8
	s_waitcnt vmcnt(58)
	v_mul_f32_e32 v213, v98, v152
	s_waitcnt vmcnt(57) lgkmcnt(12)
	v_mul_f32_e32 v214, v100, v153
	s_waitcnt vmcnt(56)
	;; [unrolled: 4-line block ×13, first 2 shown]
	v_mul_f32_e32 v237, v146, v176
	s_waitcnt vmcnt(31)
	v_fma_f32 v2, v2, v179, -v6
	v_fmac_f32_e32 v1, v3, v179
	v_mul_f32_e32 v3, v97, v8
	s_waitcnt vmcnt(30)
	v_fma_f32 v4, v4, v180, -v7
	v_fmac_f32_e32 v211, v5, v180
	v_add_f32_e32 v2, 0, v2
	v_add_f32_e32 v1, 0, v1
	v_mul_f32_e32 v5, v99, v152
	s_waitcnt vmcnt(29)
	v_fma_f32 v3, v96, v181, -v3
	v_fmac_f32_e32 v212, v97, v181
	v_add_f32_e32 v2, v2, v4
	v_add_f32_e32 v1, v1, v211
	;; [unrolled: 6-line block ×26, first 2 shown]
	s_waitcnt lgkmcnt(0)
	v_mul_f32_e32 v4, v149, v177
	s_waitcnt vmcnt(4)
	v_fma_f32 v5, v146, v206, -v5
	v_mul_f32_e32 v238, v148, v177
	v_add_f32_e32 v2, v2, v3
	v_fmac_f32_e32 v237, v147, v206
	v_add_f32_e32 v1, v1, v236
	v_mul_f32_e32 v3, v151, v178
	s_waitcnt vmcnt(3)
	v_fma_f32 v4, v148, v207, -v4
	v_add_f32_e32 v2, v2, v5
	v_mul_f32_e32 v239, v150, v178
	v_fmac_f32_e32 v238, v149, v207
	v_add_f32_e32 v1, v1, v237
	s_waitcnt vmcnt(2)
	v_fma_f32 v3, v150, v208, -v3
	v_add_f32_e32 v2, v2, v4
	v_fmac_f32_e32 v239, v151, v208
	v_add_f32_e32 v1, v1, v238
	v_add_f32_e32 v2, v2, v3
	;; [unrolled: 1-line block ×3, first 2 shown]
	s_waitcnt vmcnt(1)
	v_sub_f32_e32 v2, v209, v2
	s_waitcnt vmcnt(0)
	v_sub_f32_e32 v1, v210, v1
	buffer_store_dword v2, off, s[0:3], 0 offset:96
	buffer_store_dword v1, off, s[0:3], 0 offset:100
	v_cmpx_lt_u32_e32 11, v0
	s_cbranch_execz .LBB106_249
; %bb.248:
	s_clause 0x1
	buffer_load_dword v1, off, s[0:3], 0 offset:88
	buffer_load_dword v2, off, s[0:3], 0 offset:92
	v_mov_b32_e32 v3, 0
	buffer_store_dword v3, off, s[0:3], 0 offset:88
	buffer_store_dword v3, off, s[0:3], 0 offset:92
	s_waitcnt vmcnt(0)
	ds_write_b64 v95, v[1:2]
.LBB106_249:
	s_or_b32 exec_lo, exec_lo, s4
	s_waitcnt lgkmcnt(0)
	s_waitcnt_vscnt null, 0x0
	s_barrier
	buffer_gl0_inv
	s_clause 0x3e
	buffer_load_dword v8, off, s[0:3], 0 offset:100
	buffer_load_dword v152, off, s[0:3], 0 offset:108
	;; [unrolled: 1-line block ×64, first 2 shown]
	v_mov_b32_e32 v1, 0
	ds_read_b128 v[2:5], v1 offset:448
	ds_read_b128 v[96:99], v1 offset:464
	;; [unrolled: 1-line block ×15, first 2 shown]
	ds_read_b64 v[6:7], v1 offset:688
	s_mov_b32 s4, exec_lo
	s_waitcnt vmcnt(62) lgkmcnt(15)
	v_mul_f32_e32 v215, v2, v8
	v_mul_f32_e32 v8, v3, v8
	;; [unrolled: 1-line block ×4, first 2 shown]
	s_waitcnt vmcnt(61) lgkmcnt(14)
	v_mul_f32_e32 v217, v96, v153
	s_waitcnt vmcnt(60)
	v_mul_f32_e32 v218, v98, v154
	s_waitcnt vmcnt(59) lgkmcnt(13)
	v_mul_f32_e32 v219, v100, v155
	s_waitcnt vmcnt(58)
	v_mul_f32_e32 v220, v102, v156
	;; [unrolled: 4-line block ×13, first 2 shown]
	s_waitcnt vmcnt(35) lgkmcnt(1)
	v_mul_f32_e32 v243, v148, v179
	s_waitcnt vmcnt(32)
	v_fma_f32 v2, v2, v182, -v8
	v_fmac_f32_e32 v215, v3, v182
	v_mul_f32_e32 v3, v97, v153
	s_waitcnt vmcnt(31)
	v_fma_f32 v4, v4, v183, -v152
	v_fmac_f32_e32 v216, v5, v183
	v_add_f32_e32 v2, 0, v2
	v_add_f32_e32 v5, 0, v215
	v_mul_f32_e32 v8, v99, v154
	s_waitcnt vmcnt(30)
	v_fma_f32 v3, v96, v184, -v3
	v_fmac_f32_e32 v217, v97, v184
	v_add_f32_e32 v2, v2, v4
	v_add_f32_e32 v4, v5, v216
	;; [unrolled: 6-line block ×27, first 2 shown]
	v_mul_f32_e32 v4, v151, v180
	s_waitcnt vmcnt(4)
	v_fma_f32 v5, v148, v210, -v5
	v_mul_f32_e32 v244, v150, v180
	v_add_f32_e32 v2, v2, v8
	v_fmac_f32_e32 v243, v149, v210
	v_add_f32_e32 v3, v3, v242
	s_waitcnt lgkmcnt(0)
	v_mul_f32_e32 v8, v7, v181
	s_waitcnt vmcnt(3)
	v_fma_f32 v4, v150, v211, -v4
	v_add_f32_e32 v2, v2, v5
	v_mul_f32_e32 v245, v6, v181
	v_fmac_f32_e32 v244, v151, v211
	v_add_f32_e32 v3, v3, v243
	s_waitcnt vmcnt(2)
	v_fma_f32 v5, v6, v212, -v8
	v_add_f32_e32 v2, v2, v4
	v_fmac_f32_e32 v245, v7, v212
	v_add_f32_e32 v3, v3, v244
	v_add_f32_e32 v2, v2, v5
	;; [unrolled: 1-line block ×3, first 2 shown]
	s_waitcnt vmcnt(1)
	v_sub_f32_e32 v2, v213, v2
	s_waitcnt vmcnt(0)
	v_sub_f32_e32 v3, v214, v3
	buffer_store_dword v2, off, s[0:3], 0 offset:88
	buffer_store_dword v3, off, s[0:3], 0 offset:92
	v_cmpx_lt_u32_e32 10, v0
	s_cbranch_execz .LBB106_251
; %bb.250:
	s_clause 0x1
	buffer_load_dword v2, off, s[0:3], 0 offset:80
	buffer_load_dword v3, off, s[0:3], 0 offset:84
	buffer_store_dword v1, off, s[0:3], 0 offset:80
	buffer_store_dword v1, off, s[0:3], 0 offset:84
	s_waitcnt vmcnt(0)
	ds_write_b64 v95, v[2:3]
.LBB106_251:
	s_or_b32 exec_lo, exec_lo, s4
	s_waitcnt lgkmcnt(0)
	s_waitcnt_vscnt null, 0x0
	s_barrier
	buffer_gl0_inv
	s_clause 0x3e
	buffer_load_dword v6, off, s[0:3], 0 offset:92
	buffer_load_dword v7, off, s[0:3], 0 offset:100
	;; [unrolled: 1-line block ×63, first 2 shown]
	s_clause 0x2
	buffer_load_dword v216, off, s[0:3], 0 offset:336
	buffer_load_dword v217, off, s[0:3], 0 offset:80
	;; [unrolled: 1-line block ×3, first 2 shown]
	ds_read2_b64 v[2:5], v1 offset0:55 offset1:56
	ds_read2_b64 v[96:99], v1 offset0:57 offset1:58
	;; [unrolled: 1-line block ×16, first 2 shown]
	s_mov_b32 s4, exec_lo
	s_waitcnt vmcnt(62) lgkmcnt(15)
	v_mul_f32_e32 v1, v2, v6
	v_mul_f32_e32 v6, v3, v6
	;; [unrolled: 1-line block ×4, first 2 shown]
	s_waitcnt lgkmcnt(14)
	v_mul_f32_e32 v220, v96, v8
	v_mul_f32_e32 v221, v98, v156
	s_waitcnt vmcnt(61) lgkmcnt(13)
	v_mul_f32_e32 v222, v100, v157
	s_waitcnt vmcnt(60)
	v_mul_f32_e32 v223, v102, v158
	s_waitcnt vmcnt(59) lgkmcnt(12)
	v_mul_f32_e32 v224, v104, v159
	s_waitcnt vmcnt(58)
	;; [unrolled: 4-line block ×13, first 2 shown]
	v_mul_f32_e32 v247, v150, v182
	s_waitcnt vmcnt(33)
	v_fma_f32 v2, v2, v185, -v6
	v_fmac_f32_e32 v1, v3, v185
	v_mul_f32_e32 v3, v97, v8
	s_waitcnt vmcnt(32)
	v_fma_f32 v4, v4, v186, -v7
	v_fmac_f32_e32 v219, v5, v186
	v_add_f32_e32 v2, 0, v2
	v_add_f32_e32 v1, 0, v1
	v_mul_f32_e32 v5, v99, v156
	s_waitcnt vmcnt(31)
	v_fma_f32 v3, v96, v187, -v3
	v_fmac_f32_e32 v220, v97, v187
	v_add_f32_e32 v2, v2, v4
	v_add_f32_e32 v1, v1, v219
	v_mul_f32_e32 v4, v101, v157
	s_waitcnt vmcnt(30)
	v_fma_f32 v5, v98, v188, -v5
	v_fmac_f32_e32 v221, v99, v188
	v_add_f32_e32 v2, v2, v3
	v_add_f32_e32 v1, v1, v220
	v_mul_f32_e32 v3, v103, v158
	s_waitcnt vmcnt(29)
	v_fma_f32 v4, v100, v189, -v4
	v_fmac_f32_e32 v222, v101, v189
	v_add_f32_e32 v2, v2, v5
	v_add_f32_e32 v1, v1, v221
	v_mul_f32_e32 v5, v105, v159
	s_waitcnt vmcnt(28)
	v_fma_f32 v3, v102, v190, -v3
	v_fmac_f32_e32 v223, v103, v190
	v_add_f32_e32 v2, v2, v4
	v_add_f32_e32 v1, v1, v222
	v_mul_f32_e32 v4, v107, v160
	s_waitcnt vmcnt(27)
	v_fma_f32 v5, v104, v191, -v5
	v_fmac_f32_e32 v224, v105, v191
	v_add_f32_e32 v2, v2, v3
	v_add_f32_e32 v1, v1, v223
	v_mul_f32_e32 v3, v109, v161
	s_waitcnt vmcnt(26)
	v_fma_f32 v4, v106, v192, -v4
	v_fmac_f32_e32 v225, v107, v192
	v_add_f32_e32 v2, v2, v5
	v_add_f32_e32 v1, v1, v224
	v_mul_f32_e32 v5, v111, v162
	s_waitcnt vmcnt(25)
	v_fma_f32 v3, v108, v193, -v3
	v_fmac_f32_e32 v226, v109, v193
	v_add_f32_e32 v2, v2, v4
	v_add_f32_e32 v1, v1, v225
	v_mul_f32_e32 v4, v113, v163
	s_waitcnt vmcnt(24)
	v_fma_f32 v5, v110, v194, -v5
	v_fmac_f32_e32 v227, v111, v194
	v_add_f32_e32 v2, v2, v3
	v_add_f32_e32 v1, v1, v226
	v_mul_f32_e32 v3, v115, v164
	s_waitcnt vmcnt(23)
	v_fma_f32 v4, v112, v195, -v4
	v_fmac_f32_e32 v228, v113, v195
	v_add_f32_e32 v2, v2, v5
	v_add_f32_e32 v1, v1, v227
	v_mul_f32_e32 v5, v117, v165
	s_waitcnt vmcnt(22)
	v_fma_f32 v3, v114, v196, -v3
	v_fmac_f32_e32 v229, v115, v196
	v_add_f32_e32 v2, v2, v4
	v_add_f32_e32 v1, v1, v228
	v_mul_f32_e32 v4, v119, v166
	s_waitcnt vmcnt(21)
	v_fma_f32 v5, v116, v197, -v5
	v_fmac_f32_e32 v230, v117, v197
	v_add_f32_e32 v2, v2, v3
	v_add_f32_e32 v1, v1, v229
	v_mul_f32_e32 v3, v121, v167
	s_waitcnt vmcnt(20)
	v_fma_f32 v4, v118, v198, -v4
	v_fmac_f32_e32 v231, v119, v198
	v_add_f32_e32 v2, v2, v5
	v_add_f32_e32 v1, v1, v230
	v_mul_f32_e32 v5, v123, v168
	s_waitcnt vmcnt(19)
	v_fma_f32 v3, v120, v199, -v3
	v_fmac_f32_e32 v232, v121, v199
	v_add_f32_e32 v2, v2, v4
	v_add_f32_e32 v1, v1, v231
	v_mul_f32_e32 v4, v125, v169
	s_waitcnt vmcnt(18)
	v_fma_f32 v5, v122, v200, -v5
	v_fmac_f32_e32 v233, v123, v200
	v_add_f32_e32 v2, v2, v3
	v_add_f32_e32 v1, v1, v232
	v_mul_f32_e32 v3, v127, v170
	s_waitcnt vmcnt(17)
	v_fma_f32 v4, v124, v201, -v4
	v_fmac_f32_e32 v234, v125, v201
	v_add_f32_e32 v2, v2, v5
	v_add_f32_e32 v1, v1, v233
	v_mul_f32_e32 v5, v129, v171
	s_waitcnt vmcnt(16)
	v_fma_f32 v3, v126, v202, -v3
	v_fmac_f32_e32 v235, v127, v202
	v_add_f32_e32 v2, v2, v4
	v_add_f32_e32 v1, v1, v234
	v_mul_f32_e32 v4, v131, v172
	s_waitcnt vmcnt(15)
	v_fma_f32 v5, v128, v203, -v5
	v_fmac_f32_e32 v236, v129, v203
	v_add_f32_e32 v2, v2, v3
	v_add_f32_e32 v1, v1, v235
	v_mul_f32_e32 v3, v133, v173
	s_waitcnt vmcnt(14)
	v_fma_f32 v4, v130, v204, -v4
	v_fmac_f32_e32 v237, v131, v204
	v_add_f32_e32 v2, v2, v5
	v_add_f32_e32 v1, v1, v236
	v_mul_f32_e32 v5, v135, v174
	s_waitcnt vmcnt(13)
	v_fma_f32 v3, v132, v205, -v3
	v_fmac_f32_e32 v238, v133, v205
	v_add_f32_e32 v2, v2, v4
	v_add_f32_e32 v1, v1, v237
	v_mul_f32_e32 v4, v137, v175
	s_waitcnt vmcnt(12)
	v_fma_f32 v5, v134, v206, -v5
	v_fmac_f32_e32 v239, v135, v206
	v_add_f32_e32 v2, v2, v3
	v_add_f32_e32 v1, v1, v238
	v_mul_f32_e32 v3, v139, v176
	s_waitcnt vmcnt(11)
	v_fma_f32 v4, v136, v207, -v4
	v_fmac_f32_e32 v240, v137, v207
	v_add_f32_e32 v2, v2, v5
	v_add_f32_e32 v1, v1, v239
	v_mul_f32_e32 v5, v141, v177
	s_waitcnt vmcnt(10)
	v_fma_f32 v3, v138, v208, -v3
	v_fmac_f32_e32 v241, v139, v208
	v_add_f32_e32 v2, v2, v4
	v_add_f32_e32 v1, v1, v240
	v_mul_f32_e32 v4, v143, v178
	s_waitcnt vmcnt(9)
	v_fma_f32 v5, v140, v209, -v5
	v_fmac_f32_e32 v242, v141, v209
	v_add_f32_e32 v2, v2, v3
	v_add_f32_e32 v1, v1, v241
	v_mul_f32_e32 v3, v145, v179
	s_waitcnt vmcnt(8)
	v_fma_f32 v4, v142, v210, -v4
	v_fmac_f32_e32 v243, v143, v210
	v_add_f32_e32 v2, v2, v5
	v_add_f32_e32 v1, v1, v242
	v_mul_f32_e32 v5, v147, v180
	s_waitcnt vmcnt(7)
	v_fma_f32 v3, v144, v211, -v3
	v_fmac_f32_e32 v244, v145, v211
	v_add_f32_e32 v2, v2, v4
	v_add_f32_e32 v1, v1, v243
	v_mul_f32_e32 v4, v149, v181
	s_waitcnt vmcnt(6)
	v_fma_f32 v5, v146, v212, -v5
	v_fmac_f32_e32 v245, v147, v212
	v_add_f32_e32 v2, v2, v3
	v_add_f32_e32 v1, v1, v244
	v_mul_f32_e32 v3, v151, v182
	s_waitcnt vmcnt(5)
	v_fma_f32 v4, v148, v213, -v4
	v_fmac_f32_e32 v246, v149, v213
	v_add_f32_e32 v2, v2, v5
	v_add_f32_e32 v1, v1, v245
	s_waitcnt lgkmcnt(0)
	v_mul_f32_e32 v5, v153, v183
	s_waitcnt vmcnt(4)
	v_fma_f32 v3, v150, v214, -v3
	v_mul_f32_e32 v248, v152, v183
	v_add_f32_e32 v2, v2, v4
	v_fmac_f32_e32 v247, v151, v214
	v_add_f32_e32 v1, v1, v246
	v_mul_f32_e32 v4, v155, v184
	s_waitcnt vmcnt(3)
	v_fma_f32 v5, v152, v215, -v5
	v_add_f32_e32 v2, v2, v3
	v_mul_f32_e32 v249, v154, v184
	v_fmac_f32_e32 v248, v153, v215
	v_add_f32_e32 v1, v1, v247
	s_waitcnt vmcnt(2)
	v_fma_f32 v3, v154, v216, -v4
	v_add_f32_e32 v2, v2, v5
	v_fmac_f32_e32 v249, v155, v216
	v_add_f32_e32 v1, v1, v248
	v_add_f32_e32 v2, v2, v3
	;; [unrolled: 1-line block ×3, first 2 shown]
	s_waitcnt vmcnt(1)
	v_sub_f32_e32 v2, v217, v2
	s_waitcnt vmcnt(0)
	v_sub_f32_e32 v1, v218, v1
	buffer_store_dword v2, off, s[0:3], 0 offset:80
	buffer_store_dword v1, off, s[0:3], 0 offset:84
	v_cmpx_lt_u32_e32 9, v0
	s_cbranch_execz .LBB106_253
; %bb.252:
	s_clause 0x1
	buffer_load_dword v1, off, s[0:3], 0 offset:72
	buffer_load_dword v2, off, s[0:3], 0 offset:76
	v_mov_b32_e32 v3, 0
	buffer_store_dword v3, off, s[0:3], 0 offset:72
	buffer_store_dword v3, off, s[0:3], 0 offset:76
	s_waitcnt vmcnt(0)
	ds_write_b64 v95, v[1:2]
.LBB106_253:
	s_or_b32 exec_lo, exec_lo, s4
	s_waitcnt lgkmcnt(0)
	s_waitcnt_vscnt null, 0x0
	s_barrier
	buffer_gl0_inv
	s_clause 0x23
	buffer_load_dword v97, off, s[0:3], 0 offset:84
	buffer_load_dword v99, off, s[0:3], 0 offset:92
	;; [unrolled: 1-line block ×36, first 2 shown]
	v_mov_b32_e32 v96, 0
	ds_read_b128 v[5:8], v96 offset:432
	ds_read_b128 v[1:4], v96 offset:448
	buffer_load_dword v141, off, s[0:3], 0 offset:76
	ds_read_b128 v[133:136], v96 offset:464
	ds_read_b128 v[137:140], v96 offset:480
	s_mov_b32 s4, exec_lo
	s_waitcnt vmcnt(36) lgkmcnt(3)
	v_mul_f32_e32 v142, v5, v97
	s_waitcnt vmcnt(35)
	v_mul_f32_e32 v143, v7, v99
	v_mul_f32_e32 v97, v6, v97
	;; [unrolled: 1-line block ×3, first 2 shown]
	s_waitcnt vmcnt(34) lgkmcnt(2)
	v_mul_f32_e32 v144, v1, v100
	v_mul_f32_e32 v100, v2, v100
	s_waitcnt vmcnt(30)
	v_mul_f32_e32 v145, v3, v101
	v_mul_f32_e32 v101, v4, v101
	v_fmac_f32_e32 v142, v6, v103
	v_fmac_f32_e32 v143, v8, v102
	v_fma_f32 v103, v5, v103, -v97
	v_fma_f32 v102, v7, v102, -v99
	ds_read_b128 v[5:8], v96 offset:496
	v_fmac_f32_e32 v144, v2, v98
	v_fma_f32 v146, v1, v98, -v100
	ds_read_b128 v[97:100], v96 offset:512
	s_waitcnt vmcnt(26)
	v_fmac_f32_e32 v145, v4, v112
	v_fma_f32 v101, v3, v112, -v101
	s_waitcnt vmcnt(25) lgkmcnt(3)
	v_mul_f32_e32 v112, v133, v110
	s_waitcnt vmcnt(24)
	v_mul_f32_e32 v147, v135, v111
	v_mul_f32_e32 v1, v134, v110
	;; [unrolled: 1-line block ×3, first 2 shown]
	s_clause 0x1
	buffer_load_dword v110, off, s[0:3], 0 offset:220
	buffer_load_dword v111, off, s[0:3], 0 offset:228
	v_fmac_f32_e32 v112, v134, v107
	v_fmac_f32_e32 v147, v136, v105
	v_fma_f32 v107, v133, v107, -v1
	v_fma_f32 v105, v135, v105, -v2
	ds_read_b128 v[1:4], v96 offset:528
	s_waitcnt vmcnt(25) lgkmcnt(3)
	v_mul_f32_e32 v133, v137, v108
	v_mul_f32_e32 v108, v138, v108
	s_waitcnt vmcnt(24)
	v_mul_f32_e32 v134, v139, v106
	v_mul_f32_e32 v106, v140, v106
	s_waitcnt vmcnt(23) lgkmcnt(2)
	v_mul_f32_e32 v135, v5, v109
	v_fmac_f32_e32 v133, v138, v104
	v_fma_f32 v104, v137, v104, -v108
	s_waitcnt vmcnt(22)
	v_mul_f32_e32 v108, v7, v113
	v_mul_f32_e32 v109, v6, v109
	;; [unrolled: 1-line block ×3, first 2 shown]
	s_waitcnt vmcnt(18)
	v_fma_f32 v106, v139, v120, -v106
	v_fmac_f32_e32 v135, v6, v118
	v_fmac_f32_e32 v108, v8, v117
	v_fma_f32 v109, v5, v118, -v109
	v_fma_f32 v113, v7, v117, -v113
	s_clause 0x5
	buffer_load_dword v117, off, s[0:3], 0 offset:236
	buffer_load_dword v118, off, s[0:3], 0 offset:244
	;; [unrolled: 1-line block ×6, first 2 shown]
	v_fmac_f32_e32 v134, v140, v120
	s_waitcnt vmcnt(23) lgkmcnt(1)
	v_mul_f32_e32 v120, v97, v119
	v_mul_f32_e32 v119, v98, v119
	s_waitcnt vmcnt(22)
	v_mul_f32_e32 v140, v99, v115
	v_mul_f32_e32 v115, v100, v115
	ds_read_b128 v[5:8], v96 offset:544
	v_fmac_f32_e32 v120, v98, v114
	v_fma_f32 v97, v97, v114, -v119
	s_waitcnt vmcnt(18)
	v_fmac_f32_e32 v140, v100, v131
	v_fma_f32 v98, v99, v131, -v115
	s_waitcnt vmcnt(17) lgkmcnt(1)
	v_mul_f32_e32 v99, v1, v129
	v_mul_f32_e32 v100, v2, v129
	s_clause 0x1
	buffer_load_dword v119, off, s[0:3], 0 offset:252
	buffer_load_dword v129, off, s[0:3], 0 offset:260
	v_add_f32_e32 v103, 0, v103
	s_waitcnt vmcnt(18)
	v_mul_f32_e32 v114, v3, v130
	v_mul_f32_e32 v115, v4, v130
	v_fma_f32 v100, v1, v126, -v100
	v_add_f32_e32 v1, 0, v142
	v_add_f32_e32 v102, v103, v102
	v_fmac_f32_e32 v99, v2, v126
	v_fmac_f32_e32 v114, v4, v125
	v_fma_f32 v115, v3, v125, -v115
	v_add_f32_e32 v142, v1, v143
	s_clause 0x3
	buffer_load_dword v125, off, s[0:3], 0 offset:268
	buffer_load_dword v126, off, s[0:3], 0 offset:276
	;; [unrolled: 1-line block ×4, first 2 shown]
	ds_read_b128 v[1:4], v96 offset:560
	s_waitcnt vmcnt(21) lgkmcnt(1)
	v_mul_f32_e32 v143, v5, v124
	v_mul_f32_e32 v103, v6, v124
	v_add_f32_e32 v124, v142, v144
	s_waitcnt vmcnt(20)
	v_mul_f32_e32 v142, v7, v123
	v_mul_f32_e32 v123, v8, v123
	v_fmac_f32_e32 v143, v6, v121
	v_fma_f32 v121, v5, v121, -v103
	v_add_f32_e32 v5, v124, v145
	v_add_f32_e32 v102, v102, v146
	s_clause 0x3
	buffer_load_dword v124, off, s[0:3], 0 offset:300
	buffer_load_dword v144, off, s[0:3], 0 offset:308
	;; [unrolled: 1-line block ×4, first 2 shown]
	s_waitcnt vmcnt(20)
	v_fmac_f32_e32 v142, v8, v132
	v_fma_f32 v123, v7, v132, -v123
	v_add_f32_e32 v5, v5, v112
	s_clause 0x5
	buffer_load_dword v132, off, s[0:3], 0 offset:332
	buffer_load_dword v112, off, s[0:3], 0 offset:288
	;; [unrolled: 1-line block ×6, first 2 shown]
	v_add_f32_e32 v6, v102, v101
	v_add_f32_e32 v5, v5, v147
	s_waitcnt vmcnt(25) lgkmcnt(0)
	v_mul_f32_e32 v103, v2, v128
	v_add_f32_e32 v6, v6, v107
	v_add_f32_e32 v102, v5, v133
	v_mul_f32_e32 v133, v1, v128
	v_add_f32_e32 v101, v6, v105
	ds_read_b128 v[5:8], v96 offset:576
	v_add_f32_e32 v102, v102, v134
	v_fmac_f32_e32 v133, v2, v127
	v_fma_f32 v105, v1, v127, -v103
	v_add_f32_e32 v101, v101, v104
	v_add_f32_e32 v2, v102, v135
	s_clause 0x5
	buffer_load_dword v127, off, s[0:3], 0 offset:320
	buffer_load_dword v128, off, s[0:3], 0 offset:312
	;; [unrolled: 1-line block ×6, first 2 shown]
	v_add_f32_e32 v1, v101, v106
	v_add_f32_e32 v2, v2, v108
	;; [unrolled: 1-line block ×5, first 2 shown]
	buffer_load_dword v113, off, s[0:3], 0 offset:72
	v_add_f32_e32 v101, v101, v140
	v_add_f32_e32 v97, v1, v97
	;; [unrolled: 1-line block ×6, first 2 shown]
	ds_read_b128 v[97:100], v96 offset:608
	v_add_f32_e32 v107, v107, v143
	v_add_f32_e32 v106, v103, v115
	;; [unrolled: 1-line block ×4, first 2 shown]
	s_waitcnt vmcnt(30)
	v_mul_f32_e32 v120, v3, v110
	v_mul_f32_e32 v2, v4, v110
	s_waitcnt vmcnt(29) lgkmcnt(1)
	v_mul_f32_e32 v102, v6, v111
	v_fmac_f32_e32 v120, v4, v122
	v_fma_f32 v109, v3, v122, -v2
	ds_read_b128 v[1:4], v96 offset:592
	v_mul_f32_e32 v122, v5, v111
	v_fmac_f32_e32 v122, v6, v116
	v_fma_f32 v116, v5, v116, -v102
	s_waitcnt vmcnt(28)
	v_mul_f32_e32 v111, v7, v117
	v_mul_f32_e32 v104, v8, v117
	s_waitcnt vmcnt(23)
	v_fmac_f32_e32 v111, v8, v139
	v_fma_f32 v115, v7, v139, -v104
	ds_read_b128 v[5:8], v96 offset:624
	ds_read_b128 v[101:104], v96 offset:640
	s_waitcnt lgkmcnt(2)
	v_mul_f32_e32 v108, v2, v118
	v_mul_f32_e32 v114, v1, v118
	v_fma_f32 v118, v1, v138, -v108
	v_add_f32_e32 v1, v107, v142
	s_waitcnt vmcnt(22)
	v_mul_f32_e32 v117, v3, v119
	v_mul_f32_e32 v110, v4, v119
	v_add_f32_e32 v119, v106, v105
	v_fmac_f32_e32 v114, v2, v138
	v_add_f32_e32 v123, v1, v133
	v_fmac_f32_e32 v117, v4, v137
	v_fma_f32 v121, v3, v137, -v110
	v_add_f32_e32 v119, v119, v109
	s_waitcnt vmcnt(21)
	v_mul_f32_e32 v133, v97, v129
	v_add_f32_e32 v120, v123, v120
	s_waitcnt vmcnt(20)
	v_mul_f32_e32 v123, v99, v125
	v_mul_f32_e32 v125, v100, v125
	v_add_f32_e32 v116, v119, v116
	v_mul_f32_e32 v119, v98, v129
	v_add_f32_e32 v120, v120, v122
	v_fmac_f32_e32 v133, v98, v136
	ds_read_b128 v[105:108], v96 offset:656
	ds_read_b128 v[1:4], v96 offset:672
	v_add_f32_e32 v115, v116, v115
	v_add_f32_e32 v111, v120, v111
	v_fma_f32 v97, v97, v136, -v119
	s_waitcnt vmcnt(19) lgkmcnt(3)
	v_mul_f32_e32 v122, v5, v126
	s_waitcnt vmcnt(18)
	v_mul_f32_e32 v116, v7, v130
	v_add_f32_e32 v115, v115, v118
	v_add_f32_e32 v111, v111, v114
	s_waitcnt vmcnt(17) lgkmcnt(2)
	v_mul_f32_e32 v129, v101, v131
	s_waitcnt vmcnt(9)
	v_fmac_f32_e32 v122, v6, v149
	s_waitcnt vmcnt(8)
	v_fma_f32 v99, v99, v150, -v125
	v_add_f32_e32 v115, v115, v121
	v_add_f32_e32 v111, v111, v117
	v_mul_f32_e32 v121, v6, v126
	v_fmac_f32_e32 v123, v100, v150
	v_fmac_f32_e32 v116, v8, v148
	v_add_f32_e32 v97, v115, v97
	v_add_f32_e32 v100, v111, v133
	v_mul_f32_e32 v111, v8, v130
	v_fma_f32 v5, v5, v149, -v121
	v_mul_f32_e32 v8, v104, v124
	v_add_f32_e32 v6, v97, v99
	v_add_f32_e32 v97, v100, v123
	v_mul_f32_e32 v99, v102, v131
	v_fma_f32 v7, v7, v148, -v111
	v_mul_f32_e32 v120, v103, v124
	v_add_f32_e32 v5, v6, v5
	v_add_f32_e32 v6, v97, v122
	v_fma_f32 v97, v101, v112, -v99
	v_fmac_f32_e32 v129, v102, v112
	ds_read_b64 v[109:110], v96 offset:688
	v_add_f32_e32 v5, v5, v7
	v_add_f32_e32 v6, v6, v116
	s_waitcnt lgkmcnt(2)
	v_mul_f32_e32 v7, v106, v144
	s_waitcnt vmcnt(3)
	v_fma_f32 v8, v103, v135, -v8
	v_mul_f32_e32 v118, v105, v144
	v_add_f32_e32 v5, v5, v97
	v_fmac_f32_e32 v120, v104, v135
	v_add_f32_e32 v6, v6, v129
	v_mul_f32_e32 v97, v108, v145
	v_fma_f32 v7, v105, v134, -v7
	v_add_f32_e32 v5, v5, v8
	v_mul_f32_e32 v98, v107, v145
	v_fmac_f32_e32 v118, v106, v134
	v_add_f32_e32 v6, v6, v120
	s_waitcnt lgkmcnt(1)
	v_mul_f32_e32 v114, v1, v146
	v_mul_f32_e32 v8, v2, v146
	v_fma_f32 v97, v107, v128, -v97
	v_add_f32_e32 v5, v5, v7
	v_fmac_f32_e32 v98, v108, v128
	v_add_f32_e32 v6, v6, v118
	v_mul_f32_e32 v7, v4, v132
	v_fmac_f32_e32 v114, v2, v127
	v_fma_f32 v1, v1, v127, -v8
	v_add_f32_e32 v2, v5, v97
	v_mul_f32_e32 v119, v3, v132
	v_add_f32_e32 v5, v6, v98
	s_waitcnt lgkmcnt(0)
	v_mul_f32_e32 v6, v110, v151
	s_waitcnt vmcnt(1)
	v_fma_f32 v3, v3, v152, -v7
	v_add_f32_e32 v1, v2, v1
	v_mul_f32_e32 v117, v109, v151
	v_fmac_f32_e32 v119, v4, v152
	v_add_f32_e32 v2, v5, v114
	v_fma_f32 v4, v109, v147, -v6
	v_add_f32_e32 v1, v1, v3
	v_fmac_f32_e32 v117, v110, v147
	v_add_f32_e32 v2, v2, v119
	v_add_f32_e32 v1, v1, v4
	;; [unrolled: 1-line block ×3, first 2 shown]
	s_waitcnt vmcnt(0)
	v_sub_f32_e32 v1, v113, v1
	v_sub_f32_e32 v2, v141, v2
	buffer_store_dword v1, off, s[0:3], 0 offset:72
	buffer_store_dword v2, off, s[0:3], 0 offset:76
	v_cmpx_lt_u32_e32 8, v0
	s_cbranch_execz .LBB106_255
; %bb.254:
	s_clause 0x1
	buffer_load_dword v1, off, s[0:3], 0 offset:64
	buffer_load_dword v2, off, s[0:3], 0 offset:68
	buffer_store_dword v96, off, s[0:3], 0 offset:64
	buffer_store_dword v96, off, s[0:3], 0 offset:68
	s_waitcnt vmcnt(0)
	ds_write_b64 v95, v[1:2]
.LBB106_255:
	s_or_b32 exec_lo, exec_lo, s4
	s_waitcnt lgkmcnt(0)
	s_waitcnt_vscnt null, 0x0
	s_barrier
	buffer_gl0_inv
	s_clause 0x23
	buffer_load_dword v131, off, s[0:3], 0 offset:76
	buffer_load_dword v132, off, s[0:3], 0 offset:84
	;; [unrolled: 1-line block ×36, first 2 shown]
	ds_read2_b64 v[5:8], v96 offset0:53 offset1:54
	ds_read2_b64 v[1:4], v96 offset0:55 offset1:56
	;; [unrolled: 1-line block ×3, first 2 shown]
	s_clause 0x1
	buffer_load_dword v141, off, s[0:3], 0 offset:212
	buffer_load_dword v142, off, s[0:3], 0 offset:220
	ds_read2_b64 v[137:140], v96 offset0:59 offset1:60
	buffer_load_dword v145, off, s[0:3], 0 offset:68
	s_mov_b32 s4, exec_lo
	s_waitcnt vmcnt(38) lgkmcnt(3)
	v_mul_f32_e32 v143, v5, v131
	s_waitcnt vmcnt(37)
	v_mul_f32_e32 v144, v7, v132
	v_mul_f32_e32 v131, v6, v131
	;; [unrolled: 1-line block ×3, first 2 shown]
	s_waitcnt vmcnt(34)
	v_fmac_f32_e32 v143, v6, v103
	v_fmac_f32_e32 v144, v8, v102
	v_fma_f32 v103, v5, v103, -v131
	v_fma_f32 v102, v7, v102, -v132
	ds_read2_b64 v[5:8], v96 offset0:61 offset1:62
	s_waitcnt vmcnt(33) lgkmcnt(3)
	v_mul_f32_e32 v131, v1, v100
	v_mul_f32_e32 v100, v2, v100
	s_waitcnt vmcnt(32)
	v_mul_f32_e32 v132, v3, v99
	v_mul_f32_e32 v99, v4, v99
	s_waitcnt vmcnt(31) lgkmcnt(2)
	v_mul_f32_e32 v146, v133, v98
	v_fmac_f32_e32 v131, v2, v97
	v_fma_f32 v147, v1, v97, -v100
	s_waitcnt vmcnt(30)
	v_mul_f32_e32 v148, v135, v101
	v_mul_f32_e32 v97, v134, v98
	;; [unrolled: 1-line block ×3, first 2 shown]
	s_waitcnt vmcnt(26)
	v_fmac_f32_e32 v132, v4, v109
	v_fma_f32 v101, v3, v109, -v99
	ds_read2_b64 v[1:4], v96 offset0:63 offset1:64
	v_fmac_f32_e32 v146, v134, v108
	v_fma_f32 v108, v133, v108, -v97
	s_waitcnt vmcnt(25) lgkmcnt(2)
	v_mul_f32_e32 v109, v137, v105
	s_waitcnt vmcnt(24)
	v_mul_f32_e32 v133, v139, v106
	v_mul_f32_e32 v105, v138, v105
	;; [unrolled: 1-line block ×3, first 2 shown]
	v_fmac_f32_e32 v148, v136, v107
	v_fma_f32 v107, v135, v107, -v98
	ds_read2_b64 v[97:100], v96 offset0:65 offset1:66
	v_fmac_f32_e32 v109, v138, v104
	s_waitcnt vmcnt(19)
	v_fmac_f32_e32 v133, v140, v120
	v_fma_f32 v104, v137, v104, -v105
	v_fma_f32 v105, v139, v120, -v106
	s_clause 0x4
	buffer_load_dword v106, off, s[0:3], 0 offset:228
	buffer_load_dword v120, off, s[0:3], 0 offset:248
	;; [unrolled: 1-line block ×5, first 2 shown]
	s_waitcnt lgkmcnt(2)
	v_mul_f32_e32 v134, v5, v110
	v_mul_f32_e32 v110, v6, v110
	s_waitcnt vmcnt(23)
	v_mul_f32_e32 v138, v7, v116
	v_mul_f32_e32 v116, v8, v116
	v_fmac_f32_e32 v134, v6, v115
	v_fma_f32 v5, v5, v115, -v110
	s_waitcnt vmcnt(22) lgkmcnt(1)
	v_mul_f32_e32 v110, v1, v113
	v_fmac_f32_e32 v138, v8, v112
	v_fma_f32 v112, v7, v112, -v116
	s_waitcnt vmcnt(21)
	v_mul_f32_e32 v115, v3, v114
	v_mul_f32_e32 v6, v2, v113
	;; [unrolled: 1-line block ×3, first 2 shown]
	s_clause 0x2
	buffer_load_dword v113, off, s[0:3], 0 offset:236
	buffer_load_dword v114, off, s[0:3], 0 offset:244
	;; [unrolled: 1-line block ×3, first 2 shown]
	v_fmac_f32_e32 v110, v2, v111
	s_waitcnt vmcnt(20)
	v_fmac_f32_e32 v115, v4, v129
	v_fma_f32 v111, v1, v111, -v6
	v_fma_f32 v129, v3, v129, -v7
	ds_read2_b64 v[1:4], v96 offset0:67 offset1:68
	v_add_f32_e32 v6, 0, v143
	v_add_f32_e32 v7, 0, v103
	s_waitcnt vmcnt(19) lgkmcnt(1)
	v_mul_f32_e32 v139, v97, v126
	s_waitcnt vmcnt(18)
	v_mul_f32_e32 v140, v99, v127
	v_mul_f32_e32 v8, v98, v126
	v_add_f32_e32 v6, v6, v144
	v_mul_f32_e32 v103, v100, v127
	v_add_f32_e32 v7, v7, v102
	v_fmac_f32_e32 v139, v98, v124
	v_fmac_f32_e32 v140, v100, v123
	v_add_f32_e32 v6, v6, v131
	v_fma_f32 v97, v97, v124, -v8
	v_fma_f32 v102, v99, v123, -v103
	v_add_f32_e32 v7, v7, v147
	s_clause 0x7
	buffer_load_dword v123, off, s[0:3], 0 offset:260
	buffer_load_dword v124, off, s[0:3], 0 offset:268
	;; [unrolled: 1-line block ×8, first 2 shown]
	v_add_f32_e32 v6, v6, v132
	v_add_f32_e32 v7, v7, v101
	s_waitcnt vmcnt(25) lgkmcnt(0)
	v_mul_f32_e32 v8, v2, v121
	v_mul_f32_e32 v103, v1, v121
	s_clause 0x3
	buffer_load_dword v121, off, s[0:3], 0 offset:292
	buffer_load_dword v132, off, s[0:3], 0 offset:300
	;; [unrolled: 1-line block ×4, first 2 shown]
	v_fma_f32 v101, v1, v118, -v8
	v_add_f32_e32 v1, v6, v146
	v_fmac_f32_e32 v103, v2, v118
	v_add_f32_e32 v6, v7, v108
	s_waitcnt vmcnt(28)
	v_mul_f32_e32 v108, v3, v119
	v_mul_f32_e32 v2, v4, v119
	v_add_f32_e32 v7, v1, v148
	s_clause 0x2
	buffer_load_dword v118, off, s[0:3], 0 offset:324
	buffer_load_dword v146, off, s[0:3], 0 offset:332
	;; [unrolled: 1-line block ×3, first 2 shown]
	s_waitcnt vmcnt(27)
	v_fmac_f32_e32 v108, v4, v130
	v_fma_f32 v130, v3, v130, -v2
	ds_read2_b64 v[1:4], v96 offset0:69 offset1:70
	v_add_f32_e32 v7, v7, v109
	v_add_f32_e32 v6, v6, v107
	;; [unrolled: 1-line block ×3, first 2 shown]
	s_clause 0x3
	buffer_load_dword v133, off, s[0:3], 0 offset:312
	buffer_load_dword v148, off, s[0:3], 0 offset:304
	;; [unrolled: 1-line block ×4, first 2 shown]
	v_add_f32_e32 v6, v6, v104
	v_add_f32_e32 v98, v7, v134
	v_add_f32_e32 v6, v6, v105
	v_add_f32_e32 v98, v98, v138
	v_add_f32_e32 v99, v6, v5
	ds_read2_b64 v[5:8], v96 offset0:71 offset1:72
	s_waitcnt vmcnt(30) lgkmcnt(1)
	v_mul_f32_e32 v105, v1, v128
	v_mul_f32_e32 v100, v2, v128
	s_waitcnt vmcnt(29)
	v_mul_f32_e32 v109, v3, v141
	v_fmac_f32_e32 v105, v2, v125
	v_fma_f32 v107, v1, v125, -v100
	s_clause 0x3
	buffer_load_dword v125, off, s[0:3], 0 offset:336
	buffer_load_dword v128, off, s[0:3], 0 offset:328
	;; [unrolled: 1-line block ×4, first 2 shown]
	v_add_f32_e32 v1, v99, v112
	v_add_f32_e32 v2, v98, v110
	v_mul_f32_e32 v98, v4, v141
	v_fmac_f32_e32 v109, v4, v122
	v_add_f32_e32 v1, v1, v111
	v_add_f32_e32 v2, v2, v115
	v_fma_f32 v110, v3, v122, -v98
	v_add_f32_e32 v99, v1, v129
	v_add_f32_e32 v104, v2, v139
	ds_read2_b64 v[1:4], v96 offset0:73 offset1:74
	s_waitcnt vmcnt(32) lgkmcnt(1)
	v_mul_f32_e32 v112, v5, v142
	v_mul_f32_e32 v115, v6, v142
	v_add_f32_e32 v111, v99, v97
	ds_read2_b64 v[97:100], v96 offset0:75 offset1:76
	v_add_f32_e32 v104, v104, v140
	v_fmac_f32_e32 v112, v6, v117
	v_fma_f32 v115, v5, v117, -v115
	v_add_f32_e32 v102, v111, v102
	v_add_f32_e32 v111, v104, v103
	;; [unrolled: 1-line block ×5, first 2 shown]
	s_waitcnt vmcnt(30)
	v_mul_f32_e32 v122, v7, v106
	v_mul_f32_e32 v106, v8, v106
	s_waitcnt vmcnt(26)
	v_fmac_f32_e32 v122, v8, v137
	v_fma_f32 v117, v7, v137, -v106
	v_add_f32_e32 v106, v102, v101
	ds_read2_b64 v[5:8], v96 offset0:77 offset1:78
	ds_read2_b64 v[101:104], v96 offset0:79 offset1:80
	v_add_f32_e32 v106, v106, v130
	s_waitcnt vmcnt(25) lgkmcnt(3)
	v_mul_f32_e32 v129, v1, v113
	v_mul_f32_e32 v111, v2, v113
	s_waitcnt vmcnt(24)
	v_mul_f32_e32 v130, v3, v114
	v_mul_f32_e32 v113, v4, v114
	s_waitcnt vmcnt(23) lgkmcnt(2)
	v_mul_f32_e32 v114, v97, v116
	v_fmac_f32_e32 v129, v2, v136
	v_fma_f32 v136, v1, v136, -v111
	v_add_f32_e32 v111, v106, v107
	v_fmac_f32_e32 v130, v4, v135
	v_fma_f32 v113, v3, v135, -v113
	v_mul_f32_e32 v116, v98, v116
	ds_read2_b64 v[1:4], v96 offset0:81 offset1:82
	ds_read2_b64 v[105:108], v96 offset0:83 offset1:84
	v_add_f32_e32 v135, v111, v110
	v_fmac_f32_e32 v114, v98, v120
	v_add_f32_e32 v98, v109, v112
	ds_read2_b64 v[109:112], v96 offset0:85 offset1:86
	v_fma_f32 v97, v97, v120, -v116
	v_add_f32_e32 v96, v135, v115
	s_waitcnt vmcnt(22)
	v_mul_f32_e32 v116, v100, v123
	v_add_f32_e32 v98, v98, v122
	v_mul_f32_e32 v115, v99, v123
	s_waitcnt vmcnt(21) lgkmcnt(4)
	v_mul_f32_e32 v120, v5, v124
	v_add_f32_e32 v96, v96, v117
	v_mul_f32_e32 v122, v6, v124
	v_add_f32_e32 v98, v98, v129
	s_waitcnt vmcnt(15)
	v_fma_f32 v99, v99, v147, -v116
	v_fmac_f32_e32 v115, v100, v147
	v_add_f32_e32 v96, v96, v136
	v_fmac_f32_e32 v120, v6, v144
	v_add_f32_e32 v98, v98, v130
	v_fma_f32 v5, v5, v144, -v122
	v_mul_f32_e32 v117, v7, v126
	v_add_f32_e32 v96, v96, v113
	v_mul_f32_e32 v113, v8, v126
	s_waitcnt lgkmcnt(3)
	v_mul_f32_e32 v100, v101, v127
	s_waitcnt vmcnt(14)
	v_mul_f32_e32 v116, v103, v121
	v_fmac_f32_e32 v117, v8, v143
	v_add_f32_e32 v96, v96, v97
	v_add_f32_e32 v97, v98, v114
	v_fma_f32 v7, v7, v143, -v113
	v_mul_f32_e32 v8, v104, v121
	v_fmac_f32_e32 v100, v102, v131
	v_add_f32_e32 v6, v96, v99
	v_add_f32_e32 v96, v97, v115
	v_mul_f32_e32 v97, v102, v127
	s_waitcnt vmcnt(13) lgkmcnt(2)
	v_mul_f32_e32 v123, v1, v132
	s_waitcnt vmcnt(12)
	v_mul_f32_e32 v124, v3, v149
	v_add_f32_e32 v5, v6, v5
	v_add_f32_e32 v6, v96, v120
	v_fma_f32 v96, v101, v131, -v97
	s_waitcnt vmcnt(4)
	v_fma_f32 v8, v103, v152, -v8
	v_fmac_f32_e32 v116, v104, v152
	v_add_f32_e32 v5, v5, v7
	v_add_f32_e32 v6, v6, v117
	v_mul_f32_e32 v7, v2, v132
	v_fmac_f32_e32 v123, v2, v151
	s_waitcnt lgkmcnt(1)
	v_mul_f32_e32 v129, v105, v150
	v_add_f32_e32 v5, v5, v96
	v_add_f32_e32 v6, v6, v100
	v_mul_f32_e32 v96, v4, v149
	v_fma_f32 v1, v1, v151, -v7
	v_fmac_f32_e32 v124, v4, v148
	v_add_f32_e32 v2, v5, v8
	v_add_f32_e32 v5, v6, v116
	v_mul_f32_e32 v6, v106, v150
	v_fma_f32 v3, v3, v148, -v96
	v_mul_f32_e32 v4, v108, v118
	v_add_f32_e32 v1, v2, v1
	v_add_f32_e32 v2, v5, v123
	v_fma_f32 v5, v105, v133, -v6
	v_mul_f32_e32 v126, v107, v118
	v_fmac_f32_e32 v129, v106, v133
	v_add_f32_e32 v1, v1, v3
	v_add_f32_e32 v2, v2, v124
	s_waitcnt lgkmcnt(0)
	v_mul_f32_e32 v3, v110, v146
	s_waitcnt vmcnt(1)
	v_fma_f32 v4, v107, v134, -v4
	v_mul_f32_e32 v130, v109, v146
	v_add_f32_e32 v1, v1, v5
	v_fmac_f32_e32 v126, v108, v134
	v_add_f32_e32 v2, v2, v129
	v_mul_f32_e32 v5, v112, v119
	v_fma_f32 v3, v109, v128, -v3
	v_add_f32_e32 v1, v1, v4
	v_mul_f32_e32 v98, v111, v119
	v_fmac_f32_e32 v130, v110, v128
	v_add_f32_e32 v2, v2, v126
	v_fma_f32 v4, v111, v125, -v5
	v_add_f32_e32 v1, v1, v3
	v_fmac_f32_e32 v98, v112, v125
	v_add_f32_e32 v2, v2, v130
	v_add_f32_e32 v1, v1, v4
	;; [unrolled: 1-line block ×3, first 2 shown]
	s_waitcnt vmcnt(0)
	v_sub_f32_e32 v1, v138, v1
	v_sub_f32_e32 v2, v145, v2
	buffer_store_dword v1, off, s[0:3], 0 offset:64
	buffer_store_dword v2, off, s[0:3], 0 offset:68
	v_cmpx_lt_u32_e32 7, v0
	s_cbranch_execz .LBB106_257
; %bb.256:
	s_clause 0x1
	buffer_load_dword v1, off, s[0:3], 0 offset:56
	buffer_load_dword v2, off, s[0:3], 0 offset:60
	v_mov_b32_e32 v3, 0
	buffer_store_dword v3, off, s[0:3], 0 offset:56
	buffer_store_dword v3, off, s[0:3], 0 offset:60
	s_waitcnt vmcnt(0)
	ds_write_b64 v95, v[1:2]
.LBB106_257:
	s_or_b32 exec_lo, exec_lo, s4
	s_waitcnt lgkmcnt(0)
	s_waitcnt_vscnt null, 0x0
	s_barrier
	buffer_gl0_inv
	s_clause 0x2a
	buffer_load_dword v7, off, s[0:3], 0 offset:68
	buffer_load_dword v8, off, s[0:3], 0 offset:76
	buffer_load_dword v2, off, s[0:3], 0 offset:80
	buffer_load_dword v5, off, s[0:3], 0 offset:72
	buffer_load_dword v6, off, s[0:3], 0 offset:64
	buffer_load_dword v3, off, s[0:3], 0 offset:84
	buffer_load_dword v4, off, s[0:3], 0 offset:92
	buffer_load_dword v96, off, s[0:3], 0 offset:112
	buffer_load_dword v97, off, s[0:3], 0 offset:104
	buffer_load_dword v99, off, s[0:3], 0 offset:96
	buffer_load_dword v104, off, s[0:3], 0 offset:88
	buffer_load_dword v103, off, s[0:3], 0 offset:100
	buffer_load_dword v102, off, s[0:3], 0 offset:108
	buffer_load_dword v100, off, s[0:3], 0 offset:116
	buffer_load_dword v98, off, s[0:3], 0 offset:124
	buffer_load_dword v101, off, s[0:3], 0 offset:132
	buffer_load_dword v105, off, s[0:3], 0 offset:144
	buffer_load_dword v106, off, s[0:3], 0 offset:136
	buffer_load_dword v109, off, s[0:3], 0 offset:128
	buffer_load_dword v111, off, s[0:3], 0 offset:120
	buffer_load_dword v110, off, s[0:3], 0 offset:140
	buffer_load_dword v108, off, s[0:3], 0 offset:148
	buffer_load_dword v107, off, s[0:3], 0 offset:156
	buffer_load_dword v112, off, s[0:3], 0 offset:176
	buffer_load_dword v113, off, s[0:3], 0 offset:168
	buffer_load_dword v114, off, s[0:3], 0 offset:160
	buffer_load_dword v119, off, s[0:3], 0 offset:152
	buffer_load_dword v117, off, s[0:3], 0 offset:164
	buffer_load_dword v118, off, s[0:3], 0 offset:172
	buffer_load_dword v116, off, s[0:3], 0 offset:180
	buffer_load_dword v115, off, s[0:3], 0 offset:188
	buffer_load_dword v120, off, s[0:3], 0 offset:208
	buffer_load_dword v121, off, s[0:3], 0 offset:200
	buffer_load_dword v123, off, s[0:3], 0 offset:192
	buffer_load_dword v127, off, s[0:3], 0 offset:184
	buffer_load_dword v126, off, s[0:3], 0 offset:196
	buffer_load_dword v125, off, s[0:3], 0 offset:204
	buffer_load_dword v124, off, s[0:3], 0 offset:212
	buffer_load_dword v122, off, s[0:3], 0 offset:220
	buffer_load_dword v140, off, s[0:3], 0 offset:240
	buffer_load_dword v141, off, s[0:3], 0 offset:232
	buffer_load_dword v142, off, s[0:3], 0 offset:224
	buffer_load_dword v143, off, s[0:3], 0 offset:216
	v_mov_b32_e32 v1, 0
	ds_read_b128 v[128:131], v1 offset:416
	ds_read_b128 v[132:135], v1 offset:432
	;; [unrolled: 1-line block ×3, first 2 shown]
	buffer_load_dword v146, off, s[0:3], 0 offset:60
	s_mov_b32 s4, exec_lo
	s_waitcnt vmcnt(43) lgkmcnt(2)
	v_mul_f32_e32 v144, v128, v7
	s_waitcnt vmcnt(42)
	v_mul_f32_e32 v145, v130, v8
	v_mul_f32_e32 v7, v129, v7
	;; [unrolled: 1-line block ×3, first 2 shown]
	s_waitcnt vmcnt(39)
	v_fmac_f32_e32 v144, v129, v6
	v_fmac_f32_e32 v145, v131, v5
	v_fma_f32 v147, v128, v6, -v7
	v_fma_f32 v148, v130, v5, -v8
	ds_read_b128 v[5:8], v1 offset:464
	ds_read_b128 v[128:131], v1 offset:480
	s_waitcnt vmcnt(38) lgkmcnt(3)
	v_mul_f32_e32 v149, v132, v3
	v_mul_f32_e32 v3, v133, v3
	s_waitcnt vmcnt(37)
	v_mul_f32_e32 v150, v134, v4
	v_mul_f32_e32 v4, v135, v4
	s_waitcnt vmcnt(32) lgkmcnt(2)
	v_mul_f32_e32 v152, v136, v103
	v_fmac_f32_e32 v149, v133, v2
	v_fma_f32 v151, v132, v2, -v3
	v_mul_f32_e32 v2, v137, v103
	s_waitcnt vmcnt(31)
	v_mul_f32_e32 v153, v138, v102
	v_mul_f32_e32 v3, v139, v102
	v_fmac_f32_e32 v150, v135, v104
	v_fma_f32 v104, v134, v104, -v4
	v_fmac_f32_e32 v152, v137, v99
	v_fma_f32 v136, v136, v99, -v2
	;; [unrolled: 2-line block ×3, first 2 shown]
	ds_read_b128 v[132:135], v1 offset:496
	s_waitcnt vmcnt(30) lgkmcnt(2)
	v_mul_f32_e32 v137, v5, v100
	v_mul_f32_e32 v2, v6, v100
	s_waitcnt vmcnt(29)
	v_mul_f32_e32 v139, v7, v98
	v_mul_f32_e32 v3, v8, v98
	s_waitcnt vmcnt(28) lgkmcnt(1)
	v_mul_f32_e32 v154, v128, v101
	v_fmac_f32_e32 v137, v6, v96
	v_fma_f32 v6, v5, v96, -v2
	s_waitcnt vmcnt(24)
	v_fmac_f32_e32 v139, v8, v111
	v_fma_f32 v7, v7, v111, -v3
	s_waitcnt vmcnt(23)
	v_mul_f32_e32 v8, v130, v110
	v_mul_f32_e32 v96, v129, v101
	;; [unrolled: 1-line block ×3, first 2 shown]
	ds_read_b128 v[2:5], v1 offset:512
	v_fmac_f32_e32 v154, v129, v109
	v_fmac_f32_e32 v8, v131, v106
	v_fma_f32 v109, v128, v109, -v96
	v_fma_f32 v106, v130, v106, -v97
	ds_read_b128 v[96:99], v1 offset:528
	s_waitcnt vmcnt(22) lgkmcnt(2)
	v_mul_f32_e32 v110, v132, v108
	v_mul_f32_e32 v100, v133, v108
	s_waitcnt vmcnt(21)
	v_mul_f32_e32 v108, v134, v107
	v_mul_f32_e32 v101, v135, v107
	buffer_load_dword v107, off, s[0:3], 0 offset:228
	v_fmac_f32_e32 v110, v133, v105
	v_fma_f32 v105, v132, v105, -v100
	s_waitcnt vmcnt(18)
	v_fmac_f32_e32 v108, v135, v119
	v_fma_f32 v111, v134, v119, -v101
	s_waitcnt vmcnt(17) lgkmcnt(1)
	v_mul_f32_e32 v119, v2, v117
	s_waitcnt vmcnt(16)
	v_mul_f32_e32 v128, v4, v118
	v_mul_f32_e32 v100, v3, v117
	;; [unrolled: 1-line block ×3, first 2 shown]
	v_fmac_f32_e32 v119, v3, v114
	v_fmac_f32_e32 v128, v5, v113
	v_fma_f32 v114, v2, v114, -v100
	v_fma_f32 v113, v4, v113, -v101
	ds_read_b128 v[2:5], v1 offset:544
	s_waitcnt vmcnt(15) lgkmcnt(1)
	v_mul_f32_e32 v117, v96, v116
	v_mul_f32_e32 v102, v97, v116
	s_waitcnt vmcnt(14)
	v_mul_f32_e32 v116, v98, v115
	v_mul_f32_e32 v115, v99, v115
	v_fmac_f32_e32 v117, v97, v112
	v_fma_f32 v112, v96, v112, -v102
	ds_read_b128 v[100:103], v1 offset:560
	s_waitcnt vmcnt(10)
	v_fmac_f32_e32 v116, v99, v127
	v_fma_f32 v115, v98, v127, -v115
	s_clause 0x1
	buffer_load_dword v118, off, s[0:3], 0 offset:236
	buffer_load_dword v127, off, s[0:3], 0 offset:244
	s_waitcnt vmcnt(11) lgkmcnt(1)
	v_mul_f32_e32 v129, v2, v126
	v_mul_f32_e32 v96, v3, v126
	s_waitcnt vmcnt(10)
	v_mul_f32_e32 v130, v4, v125
	v_mul_f32_e32 v97, v5, v125
	buffer_load_dword v126, off, s[0:3], 0 offset:252
	v_fmac_f32_e32 v129, v3, v123
	v_fma_f32 v123, v2, v123, -v96
	v_fmac_f32_e32 v130, v5, v121
	s_waitcnt vmcnt(10) lgkmcnt(0)
	v_mul_f32_e32 v125, v100, v124
	v_mul_f32_e32 v2, v101, v124
	s_waitcnt vmcnt(9)
	v_mul_f32_e32 v3, v103, v122
	s_clause 0x3
	buffer_load_dword v124, off, s[0:3], 0 offset:272
	buffer_load_dword v131, off, s[0:3], 0 offset:264
	;; [unrolled: 1-line block ×4, first 2 shown]
	v_mul_f32_e32 v134, v102, v122
	v_fmac_f32_e32 v125, v101, v120
	v_fma_f32 v120, v100, v120, -v2
	v_add_f32_e32 v2, 0, v144
	s_clause 0x1
	buffer_load_dword v122, off, s[0:3], 0 offset:260
	buffer_load_dword v144, off, s[0:3], 0 offset:276
	s_waitcnt vmcnt(11)
	v_fma_f32 v135, v102, v143, -v3
	v_add_f32_e32 v3, 0, v147
	v_add_f32_e32 v2, v2, v145
	v_fmac_f32_e32 v134, v103, v143
	s_clause 0x4
	buffer_load_dword v143, off, s[0:3], 0 offset:268
	buffer_load_dword v145, off, s[0:3], 0 offset:284
	;; [unrolled: 1-line block ×5, first 2 shown]
	v_add_f32_e32 v3, v3, v148
	v_add_f32_e32 v2, v2, v149
	s_clause 0x1
	buffer_load_dword v148, off, s[0:3], 0 offset:316
	buffer_load_dword v149, off, s[0:3], 0 offset:324
	v_fma_f32 v121, v4, v121, -v97
	v_add_f32_e32 v3, v3, v151
	v_add_f32_e32 v2, v2, v150
	s_clause 0x1
	buffer_load_dword v150, off, s[0:3], 0 offset:332
	buffer_load_dword v151, off, s[0:3], 0 offset:340
	v_add_f32_e32 v3, v3, v104
	v_add_f32_e32 v2, v2, v152
	;; [unrolled: 1-line block ×4, first 2 shown]
	s_clause 0x3
	buffer_load_dword v136, off, s[0:3], 0 offset:304
	buffer_load_dword v152, off, s[0:3], 0 offset:296
	;; [unrolled: 1-line block ×4, first 2 shown]
	v_add_f32_e32 v3, v3, v138
	v_add_f32_e32 v2, v2, v137
	;; [unrolled: 1-line block ×4, first 2 shown]
	s_clause 0x4
	buffer_load_dword v137, off, s[0:3], 0 offset:336
	buffer_load_dword v138, off, s[0:3], 0 offset:328
	;; [unrolled: 1-line block ×5, first 2 shown]
	ds_read_b128 v[96:99], v1 offset:592
	v_add_f32_e32 v3, v3, v7
	v_add_f32_e32 v2, v2, v154
	;; [unrolled: 1-line block ×5, first 2 shown]
	ds_read_b128 v[2:5], v1 offset:576
	v_add_f32_e32 v6, v6, v110
	v_add_f32_e32 v7, v7, v105
	;; [unrolled: 1-line block ×14, first 2 shown]
	s_waitcnt vmcnt(27) lgkmcnt(0)
	v_mul_f32_e32 v8, v2, v107
	v_mul_f32_e32 v100, v3, v107
	v_fmac_f32_e32 v8, v3, v142
	v_add_f32_e32 v3, v7, v112
	v_fma_f32 v112, v2, v142, -v100
	v_add_f32_e32 v8, v119, v8
	v_add_f32_e32 v7, v3, v115
	;; [unrolled: 1-line block ×5, first 2 shown]
	s_waitcnt vmcnt(26)
	v_mul_f32_e32 v113, v4, v118
	v_mul_f32_e32 v101, v5, v118
	v_add_f32_e32 v120, v7, v135
	s_waitcnt vmcnt(25)
	v_mul_f32_e32 v108, v97, v127
	v_mul_f32_e32 v115, v96, v127
	v_fmac_f32_e32 v113, v5, v141
	v_fma_f32 v114, v4, v141, -v101
	ds_read_b128 v[2:5], v1 offset:608
	ds_read_b128 v[100:103], v1 offset:624
	v_add_f32_e32 v112, v120, v112
	v_fma_f32 v118, v96, v140, -v108
	v_fmac_f32_e32 v115, v97, v140
	v_add_f32_e32 v8, v8, v113
	ds_read_b128 v[104:107], v1 offset:640
	ds_read_b128 v[108:111], v1 offset:656
	s_waitcnt vmcnt(24)
	v_mul_f32_e32 v117, v99, v126
	v_add_f32_e32 v112, v112, v114
	v_mul_f32_e32 v116, v98, v126
	v_add_f32_e32 v8, v8, v115
	v_add_f32_e32 v112, v112, v118
	s_waitcnt vmcnt(20)
	v_fma_f32 v117, v98, v133, -v117
	v_fmac_f32_e32 v116, v99, v133
	ds_read_b128 v[96:99], v1 offset:672
	ds_read_b64 v[6:7], v1 offset:688
	s_waitcnt vmcnt(19) lgkmcnt(5)
	v_mul_f32_e32 v120, v3, v122
	v_mul_f32_e32 v121, v2, v122
	v_add_f32_e32 v112, v112, v117
	v_add_f32_e32 v8, v8, v116
	s_waitcnt vmcnt(18) lgkmcnt(4)
	v_mul_f32_e32 v119, v100, v144
	v_fma_f32 v2, v2, v132, -v120
	s_waitcnt vmcnt(17)
	v_mul_f32_e32 v122, v5, v143
	v_mul_f32_e32 v123, v4, v143
	v_fmac_f32_e32 v121, v3, v132
	v_mul_f32_e32 v120, v101, v144
	v_add_f32_e32 v2, v112, v2
	v_fma_f32 v4, v4, v131, -v122
	v_fmac_f32_e32 v123, v5, v131
	v_add_f32_e32 v5, v8, v121
	s_waitcnt vmcnt(16)
	v_mul_f32_e32 v8, v103, v145
	v_fma_f32 v100, v100, v124, -v120
	v_add_f32_e32 v2, v2, v4
	v_mul_f32_e32 v114, v102, v145
	v_fmac_f32_e32 v119, v101, v124
	v_add_f32_e32 v4, v5, v123
	s_waitcnt vmcnt(15) lgkmcnt(3)
	v_mul_f32_e32 v5, v105, v147
	v_add_f32_e32 v2, v2, v100
	v_mul_f32_e32 v125, v104, v147
	s_waitcnt vmcnt(14)
	v_mul_f32_e32 v100, v107, v155
	v_add_f32_e32 v4, v4, v119
	s_waitcnt vmcnt(5)
	v_fma_f32 v8, v102, v157, -v8
	v_fmac_f32_e32 v114, v103, v157
	v_fma_f32 v5, v104, v153, -v5
	v_mul_f32_e32 v113, v106, v155
	v_fmac_f32_e32 v125, v105, v153
	v_add_f32_e32 v2, v2, v8
	v_add_f32_e32 v4, v4, v114
	s_waitcnt lgkmcnt(2)
	v_mul_f32_e32 v8, v109, v156
	v_fma_f32 v100, v106, v152, -v100
	v_mul_f32_e32 v118, v108, v156
	v_add_f32_e32 v2, v2, v5
	v_fmac_f32_e32 v113, v107, v152
	v_add_f32_e32 v4, v4, v125
	v_mul_f32_e32 v5, v111, v148
	v_fma_f32 v8, v108, v136, -v8
	v_add_f32_e32 v2, v2, v100
	v_mul_f32_e32 v3, v110, v148
	v_fmac_f32_e32 v118, v109, v136
	v_add_f32_e32 v4, v4, v113
	s_waitcnt lgkmcnt(1)
	v_mul_f32_e32 v100, v97, v149
	s_waitcnt vmcnt(1)
	v_fma_f32 v5, v110, v158, -v5
	v_add_f32_e32 v2, v2, v8
	v_mul_f32_e32 v115, v96, v149
	v_fmac_f32_e32 v3, v111, v158
	v_add_f32_e32 v4, v4, v118
	v_mul_f32_e32 v8, v99, v150
	v_fma_f32 v96, v96, v139, -v100
	v_add_f32_e32 v2, v2, v5
	v_mul_f32_e32 v117, v98, v150
	v_fmac_f32_e32 v115, v97, v139
	v_add_f32_e32 v3, v4, v3
	s_waitcnt lgkmcnt(0)
	v_mul_f32_e32 v4, v7, v151
	v_fma_f32 v5, v98, v138, -v8
	v_add_f32_e32 v2, v2, v96
	v_mul_f32_e32 v116, v6, v151
	v_fmac_f32_e32 v117, v99, v138
	v_add_f32_e32 v3, v3, v115
	v_fma_f32 v4, v6, v137, -v4
	v_add_f32_e32 v2, v2, v5
	v_fmac_f32_e32 v116, v7, v137
	v_add_f32_e32 v3, v3, v117
	v_add_f32_e32 v2, v2, v4
	;; [unrolled: 1-line block ×3, first 2 shown]
	s_waitcnt vmcnt(0)
	v_sub_f32_e32 v2, v159, v2
	v_sub_f32_e32 v3, v146, v3
	buffer_store_dword v2, off, s[0:3], 0 offset:56
	buffer_store_dword v3, off, s[0:3], 0 offset:60
	v_cmpx_lt_u32_e32 6, v0
	s_cbranch_execz .LBB106_259
; %bb.258:
	s_clause 0x1
	buffer_load_dword v2, off, s[0:3], 0 offset:48
	buffer_load_dword v3, off, s[0:3], 0 offset:52
	buffer_store_dword v1, off, s[0:3], 0 offset:48
	buffer_store_dword v1, off, s[0:3], 0 offset:52
	s_waitcnt vmcnt(0)
	ds_write_b64 v95, v[2:3]
.LBB106_259:
	s_or_b32 exec_lo, exec_lo, s4
	s_waitcnt lgkmcnt(0)
	s_waitcnt_vscnt null, 0x0
	s_barrier
	buffer_gl0_inv
	s_clause 0x2a
	buffer_load_dword v7, off, s[0:3], 0 offset:60
	buffer_load_dword v8, off, s[0:3], 0 offset:68
	;; [unrolled: 1-line block ×43, first 2 shown]
	ds_read2_b64 v[128:131], v1 offset0:51 offset1:52
	ds_read2_b64 v[132:135], v1 offset0:53 offset1:54
	;; [unrolled: 1-line block ×3, first 2 shown]
	buffer_load_dword v146, off, s[0:3], 0 offset:52
	s_mov_b32 s4, exec_lo
	s_waitcnt vmcnt(43) lgkmcnt(2)
	v_mul_f32_e32 v144, v128, v7
	s_waitcnt vmcnt(42)
	v_mul_f32_e32 v145, v130, v8
	v_mul_f32_e32 v7, v129, v7
	;; [unrolled: 1-line block ×3, first 2 shown]
	s_waitcnt vmcnt(39)
	v_fmac_f32_e32 v144, v129, v6
	v_fmac_f32_e32 v145, v131, v5
	v_fma_f32 v147, v128, v6, -v7
	v_fma_f32 v148, v130, v5, -v8
	ds_read2_b64 v[5:8], v1 offset0:57 offset1:58
	ds_read2_b64 v[128:131], v1 offset0:59 offset1:60
	s_waitcnt vmcnt(38) lgkmcnt(3)
	v_mul_f32_e32 v149, v132, v3
	s_waitcnt vmcnt(37)
	v_mul_f32_e32 v150, v134, v4
	v_mul_f32_e32 v3, v133, v3
	;; [unrolled: 1-line block ×3, first 2 shown]
	v_fmac_f32_e32 v149, v133, v2
	s_waitcnt vmcnt(33)
	v_fmac_f32_e32 v150, v135, v103
	v_fma_f32 v132, v132, v2, -v3
	v_fma_f32 v133, v134, v103, -v4
	s_waitcnt vmcnt(32) lgkmcnt(2)
	v_mul_f32_e32 v134, v136, v101
	v_mul_f32_e32 v2, v137, v101
	s_waitcnt vmcnt(31)
	v_mul_f32_e32 v3, v139, v102
	v_mul_f32_e32 v135, v138, v102
	v_fmac_f32_e32 v134, v137, v100
	v_fma_f32 v136, v136, v100, -v2
	v_fma_f32 v137, v138, v97, -v3
	ds_read2_b64 v[100:103], v1 offset0:61 offset1:62
	s_waitcnt vmcnt(30) lgkmcnt(2)
	v_mul_f32_e32 v138, v5, v98
	v_mul_f32_e32 v2, v6, v98
	s_waitcnt vmcnt(29)
	v_mul_f32_e32 v3, v8, v99
	v_fmac_f32_e32 v135, v139, v97
	v_mul_f32_e32 v139, v7, v99
	v_fmac_f32_e32 v138, v6, v96
	v_fma_f32 v6, v5, v96, -v2
	s_waitcnt vmcnt(25)
	v_fma_f32 v7, v7, v111, -v3
	ds_read2_b64 v[2:5], v1 offset0:63 offset1:64
	v_fmac_f32_e32 v139, v8, v111
	s_waitcnt vmcnt(24) lgkmcnt(2)
	v_mul_f32_e32 v8, v128, v109
	s_waitcnt vmcnt(23)
	v_mul_f32_e32 v111, v130, v110
	v_mul_f32_e32 v96, v129, v109
	v_mul_f32_e32 v97, v131, v110
	v_fmac_f32_e32 v8, v129, v108
	v_fmac_f32_e32 v111, v131, v105
	v_fma_f32 v108, v128, v108, -v96
	v_fma_f32 v105, v130, v105, -v97
	ds_read2_b64 v[96:99], v1 offset0:65 offset1:66
	s_waitcnt vmcnt(22) lgkmcnt(2)
	v_mul_f32_e32 v109, v100, v106
	s_waitcnt vmcnt(21)
	v_mul_f32_e32 v110, v102, v107
	v_mul_f32_e32 v106, v101, v106
	;; [unrolled: 1-line block ×3, first 2 shown]
	v_fmac_f32_e32 v109, v101, v104
	s_waitcnt vmcnt(17)
	v_fmac_f32_e32 v110, v103, v119
	v_fma_f32 v104, v100, v104, -v106
	v_fma_f32 v106, v102, v119, -v107
	s_waitcnt vmcnt(16) lgkmcnt(1)
	v_mul_f32_e32 v107, v2, v117
	s_waitcnt vmcnt(15)
	v_mul_f32_e32 v119, v4, v118
	v_mul_f32_e32 v117, v3, v117
	;; [unrolled: 1-line block ×3, first 2 shown]
	ds_read2_b64 v[100:103], v1 offset0:67 offset1:68
	v_fmac_f32_e32 v107, v3, v116
	v_fmac_f32_e32 v119, v5, v113
	v_fma_f32 v116, v2, v116, -v117
	v_fma_f32 v113, v4, v113, -v118
	s_clause 0x1
	buffer_load_dword v117, off, s[0:3], 0 offset:220
	buffer_load_dword v118, off, s[0:3], 0 offset:228
	s_waitcnt vmcnt(16) lgkmcnt(1)
	v_mul_f32_e32 v128, v96, v114
	v_mul_f32_e32 v2, v97, v114
	s_waitcnt vmcnt(15)
	v_mul_f32_e32 v3, v99, v115
	v_mul_f32_e32 v129, v98, v115
	buffer_load_dword v115, off, s[0:3], 0 offset:236
	v_fmac_f32_e32 v128, v97, v112
	v_fma_f32 v112, v96, v112, -v2
	s_waitcnt vmcnt(12)
	v_fma_f32 v114, v98, v127, -v3
	ds_read2_b64 v[2:5], v1 offset0:69 offset1:70
	v_fmac_f32_e32 v129, v99, v127
	s_waitcnt vmcnt(11) lgkmcnt(1)
	v_mul_f32_e32 v127, v100, v125
	s_waitcnt vmcnt(10)
	v_mul_f32_e32 v130, v102, v126
	v_mul_f32_e32 v96, v101, v125
	;; [unrolled: 1-line block ×3, first 2 shown]
	s_clause 0x5
	buffer_load_dword v125, off, s[0:3], 0 offset:244
	buffer_load_dword v126, off, s[0:3], 0 offset:264
	;; [unrolled: 1-line block ×6, first 2 shown]
	v_fmac_f32_e32 v127, v101, v124
	v_fma_f32 v124, v100, v124, -v96
	v_fmac_f32_e32 v130, v103, v123
	v_fma_f32 v123, v102, v123, -v97
	s_waitcnt vmcnt(15) lgkmcnt(0)
	v_mul_f32_e32 v153, v2, v122
	v_mul_f32_e32 v96, v3, v122
	s_waitcnt vmcnt(14)
	v_mul_f32_e32 v122, v4, v121
	v_fmac_f32_e32 v153, v3, v120
	v_add_f32_e32 v3, 0, v144
	v_fma_f32 v120, v2, v120, -v96
	v_add_f32_e32 v2, 0, v147
	v_mul_f32_e32 v96, v5, v121
	s_clause 0x1
	buffer_load_dword v121, off, s[0:3], 0 offset:260
	buffer_load_dword v144, off, s[0:3], 0 offset:268
	v_add_f32_e32 v3, v3, v145
	v_add_f32_e32 v2, v2, v148
	buffer_load_dword v145, off, s[0:3], 0 offset:276
	s_waitcnt vmcnt(13)
	v_fmac_f32_e32 v122, v5, v143
	v_fma_f32 v143, v4, v143, -v96
	v_add_f32_e32 v3, v3, v149
	v_add_f32_e32 v2, v2, v132
	s_clause 0x2
	buffer_load_dword v132, off, s[0:3], 0 offset:284
	buffer_load_dword v147, off, s[0:3], 0 offset:292
	;; [unrolled: 1-line block ×3, first 2 shown]
	v_add_f32_e32 v3, v3, v150
	v_add_f32_e32 v2, v2, v133
	s_clause 0x3
	buffer_load_dword v133, off, s[0:3], 0 offset:308
	buffer_load_dword v149, off, s[0:3], 0 offset:316
	;; [unrolled: 1-line block ×4, first 2 shown]
	v_add_f32_e32 v3, v3, v134
	v_add_f32_e32 v2, v2, v136
	buffer_load_dword v134, off, s[0:3], 0 offset:340
	v_add_f32_e32 v3, v3, v135
	v_add_f32_e32 v2, v2, v137
	s_clause 0x3
	buffer_load_dword v135, off, s[0:3], 0 offset:296
	buffer_load_dword v136, off, s[0:3], 0 offset:288
	;; [unrolled: 1-line block ×4, first 2 shown]
	v_add_f32_e32 v3, v3, v138
	v_add_f32_e32 v2, v2, v6
	;; [unrolled: 1-line block ×4, first 2 shown]
	s_clause 0x4
	buffer_load_dword v6, off, s[0:3], 0 offset:328
	buffer_load_dword v7, off, s[0:3], 0 offset:320
	;; [unrolled: 1-line block ×5, first 2 shown]
	v_add_f32_e32 v3, v3, v8
	buffer_load_dword v8, off, s[0:3], 0 offset:336
	v_add_f32_e32 v2, v2, v108
	v_add_f32_e32 v3, v3, v111
	;; [unrolled: 1-line block ×5, first 2 shown]
	ds_read2_b64 v[2:5], v1 offset0:71 offset1:72
	v_add_f32_e32 v96, v96, v110
	v_add_f32_e32 v97, v97, v106
	;; [unrolled: 1-line block ×4, first 2 shown]
	ds_read2_b64 v[96:99], v1 offset0:73 offset1:74
	v_add_f32_e32 v100, v100, v119
	v_add_f32_e32 v101, v101, v113
	;; [unrolled: 1-line block ×10, first 2 shown]
	s_waitcnt vmcnt(29) lgkmcnt(1)
	v_mul_f32_e32 v116, v2, v117
	v_mul_f32_e32 v102, v3, v117
	s_waitcnt vmcnt(28)
	v_mul_f32_e32 v117, v4, v118
	v_mul_f32_e32 v103, v5, v118
	v_fmac_f32_e32 v116, v3, v142
	v_fma_f32 v118, v2, v142, -v102
	v_fmac_f32_e32 v117, v5, v141
	v_fma_f32 v119, v4, v141, -v103
	ds_read2_b64 v[2:5], v1 offset0:75 offset1:76
	ds_read2_b64 v[100:103], v1 offset0:77 offset1:78
	s_waitcnt vmcnt(27) lgkmcnt(2)
	v_mul_f32_e32 v128, v96, v115
	v_mul_f32_e32 v106, v97, v115
	v_fmac_f32_e32 v128, v97, v140
	v_add_f32_e32 v97, v105, v130
	v_fma_f32 v124, v96, v140, -v106
	s_waitcnt vmcnt(26)
	v_mul_f32_e32 v129, v98, v125
	v_mul_f32_e32 v107, v99, v125
	v_add_f32_e32 v109, v97, v153
	s_waitcnt vmcnt(22)
	v_fmac_f32_e32 v129, v99, v152
	v_fma_f32 v123, v98, v152, -v107
	v_add_f32_e32 v114, v109, v122
	v_add_f32_e32 v122, v112, v143
	s_waitcnt vmcnt(21) lgkmcnt(1)
	v_mul_f32_e32 v120, v2, v154
	v_mul_f32_e32 v113, v3, v154
	ds_read2_b64 v[96:99], v1 offset0:79 offset1:80
	ds_read2_b64 v[104:107], v1 offset0:81 offset1:82
	ds_read2_b64 v[108:111], v1 offset0:83 offset1:84
	v_fmac_f32_e32 v120, v3, v151
	v_fma_f32 v2, v2, v151, -v113
	v_add_f32_e32 v3, v114, v116
	ds_read2_b64 v[112:115], v1 offset0:85 offset1:86
	v_add_f32_e32 v1, v122, v118
	s_waitcnt vmcnt(20)
	v_mul_f32_e32 v118, v5, v121
	v_add_f32_e32 v3, v3, v117
	v_mul_f32_e32 v116, v4, v121
	v_add_f32_e32 v1, v1, v119
	s_waitcnt vmcnt(19) lgkmcnt(4)
	v_mul_f32_e32 v121, v101, v144
	v_fma_f32 v4, v4, v131, -v118
	v_add_f32_e32 v3, v3, v128
	v_mul_f32_e32 v117, v100, v144
	v_add_f32_e32 v1, v1, v124
	v_fmac_f32_e32 v116, v5, v131
	v_fma_f32 v100, v100, v126, -v121
	v_add_f32_e32 v3, v3, v129
	s_waitcnt vmcnt(18)
	v_mul_f32_e32 v119, v102, v145
	v_add_f32_e32 v1, v1, v123
	v_mul_f32_e32 v123, v103, v145
	v_fmac_f32_e32 v117, v101, v126
	s_waitcnt vmcnt(17) lgkmcnt(3)
	v_mul_f32_e32 v5, v96, v132
	s_waitcnt vmcnt(16)
	v_mul_f32_e32 v118, v98, v147
	v_add_f32_e32 v1, v1, v2
	v_add_f32_e32 v2, v3, v120
	s_waitcnt vmcnt(15) lgkmcnt(2)
	v_mul_f32_e32 v122, v104, v148
	s_waitcnt vmcnt(14)
	v_mul_f32_e32 v124, v106, v133
	s_waitcnt vmcnt(8)
	v_fmac_f32_e32 v118, v99, v136
	v_add_f32_e32 v1, v1, v4
	v_add_f32_e32 v2, v2, v116
	v_mul_f32_e32 v4, v97, v132
	s_waitcnt vmcnt(6)
	v_fma_f32 v101, v102, v156, -v123
	v_fmac_f32_e32 v119, v103, v156
	v_add_f32_e32 v1, v1, v100
	v_add_f32_e32 v2, v2, v117
	v_mul_f32_e32 v100, v99, v147
	v_fma_f32 v4, v96, v137, -v4
	v_fmac_f32_e32 v5, v97, v137
	v_add_f32_e32 v1, v1, v101
	v_add_f32_e32 v2, v2, v119
	v_mul_f32_e32 v96, v105, v148
	;; [unrolled: 5-line block ×3, first 2 shown]
	v_fma_f32 v5, v104, v135, -v96
	s_waitcnt lgkmcnt(1)
	v_mul_f32_e32 v96, v109, v149
	v_add_f32_e32 v1, v1, v97
	v_add_f32_e32 v2, v2, v118
	s_waitcnt vmcnt(2)
	v_fma_f32 v4, v106, v139, -v4
	v_mul_f32_e32 v125, v108, v149
	v_fmac_f32_e32 v124, v107, v139
	v_add_f32_e32 v1, v1, v5
	v_add_f32_e32 v2, v2, v122
	v_mul_f32_e32 v5, v111, v150
	v_fma_f32 v96, v108, v138, -v96
	v_mul_f32_e32 v127, v110, v150
	v_add_f32_e32 v1, v1, v4
	v_fmac_f32_e32 v125, v109, v138
	v_add_f32_e32 v2, v2, v124
	s_waitcnt lgkmcnt(0)
	v_mul_f32_e32 v4, v113, v155
	v_fma_f32 v5, v110, v7, -v5
	v_add_f32_e32 v1, v1, v96
	v_mul_f32_e32 v128, v112, v155
	v_fmac_f32_e32 v127, v111, v7
	v_add_f32_e32 v2, v2, v125
	v_mul_f32_e32 v7, v115, v134
	v_fma_f32 v4, v112, v6, -v4
	v_add_f32_e32 v1, v1, v5
	v_mul_f32_e32 v3, v114, v134
	v_fmac_f32_e32 v128, v113, v6
	v_add_f32_e32 v2, v2, v127
	s_waitcnt vmcnt(0)
	v_fma_f32 v5, v114, v8, -v7
	v_add_f32_e32 v1, v1, v4
	v_fmac_f32_e32 v3, v115, v8
	v_add_f32_e32 v2, v2, v128
	v_add_f32_e32 v1, v1, v5
	;; [unrolled: 1-line block ×3, first 2 shown]
	v_sub_f32_e32 v1, v157, v1
	v_sub_f32_e32 v2, v146, v2
	buffer_store_dword v1, off, s[0:3], 0 offset:48
	buffer_store_dword v2, off, s[0:3], 0 offset:52
	v_cmpx_lt_u32_e32 5, v0
	s_cbranch_execz .LBB106_261
; %bb.260:
	s_clause 0x1
	buffer_load_dword v1, off, s[0:3], 0 offset:40
	buffer_load_dword v2, off, s[0:3], 0 offset:44
	v_mov_b32_e32 v3, 0
	buffer_store_dword v3, off, s[0:3], 0 offset:40
	buffer_store_dword v3, off, s[0:3], 0 offset:44
	s_waitcnt vmcnt(0)
	ds_write_b64 v95, v[1:2]
.LBB106_261:
	s_or_b32 exec_lo, exec_lo, s4
	s_waitcnt lgkmcnt(0)
	s_waitcnt_vscnt null, 0x0
	s_barrier
	buffer_gl0_inv
	s_clause 0x2b
	buffer_load_dword v127, off, s[0:3], 0 offset:52
	buffer_load_dword v2, off, s[0:3], 0 offset:64
	;; [unrolled: 1-line block ×44, first 2 shown]
	v_mov_b32_e32 v1, 0
	ds_read_b128 v[128:131], v1 offset:400
	ds_read_b128 v[132:135], v1 offset:416
	;; [unrolled: 1-line block ×3, first 2 shown]
	buffer_load_dword v146, off, s[0:3], 0 offset:44
	s_mov_b32 s4, exec_lo
	s_waitcnt vmcnt(44) lgkmcnt(2)
	v_mul_f32_e32 v145, v128, v127
	v_mul_f32_e32 v127, v129, v127
	s_waitcnt vmcnt(40)
	v_mul_f32_e32 v148, v130, v96
	v_mul_f32_e32 v96, v131, v96
	v_fmac_f32_e32 v145, v129, v97
	v_fma_f32 v147, v128, v97, -v127
	s_waitcnt vmcnt(39) lgkmcnt(1)
	v_mul_f32_e32 v150, v132, v7
	v_fmac_f32_e32 v148, v131, v5
	v_fma_f32 v149, v130, v5, -v96
	v_mul_f32_e32 v5, v133, v7
	ds_read_b128 v[127:130], v1 offset:448
	v_fmac_f32_e32 v150, v133, v2
	s_waitcnt vmcnt(38)
	v_mul_f32_e32 v152, v134, v4
	v_fma_f32 v151, v132, v2, -v5
	v_mul_f32_e32 v2, v135, v4
	s_waitcnt vmcnt(34)
	v_fmac_f32_e32 v152, v135, v101
	s_waitcnt vmcnt(33) lgkmcnt(1)
	v_mul_f32_e32 v135, v136, v100
	v_fma_f32 v101, v134, v101, -v2
	v_mul_f32_e32 v2, v137, v100
	ds_read_b128 v[131:134], v1 offset:464
	v_fmac_f32_e32 v135, v137, v98
	v_fma_f32 v100, v136, v98, -v2
	s_waitcnt vmcnt(32)
	v_mul_f32_e32 v136, v138, v99
	v_mul_f32_e32 v2, v139, v99
	ds_read_b128 v[96:99], v1 offset:496
	v_fmac_f32_e32 v136, v139, v6
	v_fma_f32 v137, v138, v6, -v2
	s_waitcnt vmcnt(31) lgkmcnt(2)
	v_mul_f32_e32 v2, v128, v8
	ds_read_b128 v[4:7], v1 offset:480
	v_mul_f32_e32 v138, v127, v8
	v_fma_f32 v8, v127, v3, -v2
	s_waitcnt vmcnt(30)
	v_mul_f32_e32 v2, v130, v102
	v_mul_f32_e32 v127, v129, v102
	v_fmac_f32_e32 v138, v128, v3
	s_waitcnt vmcnt(24) lgkmcnt(2)
	v_mul_f32_e32 v128, v133, v107
	v_fma_f32 v102, v129, v110, -v2
	v_mul_f32_e32 v2, v132, v109
	v_fmac_f32_e32 v127, v130, v110
	v_mul_f32_e32 v110, v131, v109
	v_fmac_f32_e32 v128, v134, v104
	v_fma_f32 v109, v131, v106, -v2
	v_mul_f32_e32 v2, v134, v107
	v_fmac_f32_e32 v110, v132, v106
	s_waitcnt vmcnt(23) lgkmcnt(0)
	v_mul_f32_e32 v130, v4, v105
	s_waitcnt vmcnt(22)
	v_mul_f32_e32 v131, v6, v108
	v_fma_f32 v129, v133, v104, -v2
	v_mul_f32_e32 v2, v5, v105
	ds_read_b128 v[104:107], v1 offset:512
	v_fmac_f32_e32 v130, v5, v103
	s_waitcnt vmcnt(18)
	v_fmac_f32_e32 v131, v7, v119
	v_fma_f32 v103, v4, v103, -v2
	v_mul_f32_e32 v2, v7, v108
	s_waitcnt vmcnt(17)
	v_mul_f32_e32 v7, v96, v118
	s_waitcnt vmcnt(16)
	v_mul_f32_e32 v108, v98, v117
	v_mul_f32_e32 v117, v99, v117
	v_fma_f32 v6, v6, v119, -v2
	v_mul_f32_e32 v2, v97, v118
	v_fmac_f32_e32 v7, v97, v115
	v_fmac_f32_e32 v108, v99, v112
	v_fma_f32 v112, v98, v112, -v117
	v_add_f32_e32 v98, 0, v145
	v_fma_f32 v115, v96, v115, -v2
	ds_read_b128 v[2:5], v1 offset:528
	s_clause 0x2
	buffer_load_dword v117, off, s[0:3], 0 offset:220
	buffer_load_dword v118, off, s[0:3], 0 offset:228
	;; [unrolled: 1-line block ×3, first 2 shown]
	s_waitcnt vmcnt(18) lgkmcnt(1)
	v_mul_f32_e32 v119, v104, v113
	v_mul_f32_e32 v96, v105, v113
	s_waitcnt vmcnt(17)
	v_mul_f32_e32 v113, v106, v116
	v_mul_f32_e32 v97, v107, v116
	v_fmac_f32_e32 v119, v105, v111
	v_fma_f32 v104, v104, v111, -v96
	s_waitcnt vmcnt(13)
	v_fmac_f32_e32 v113, v107, v126
	v_fma_f32 v105, v106, v126, -v97
	v_add_f32_e32 v107, v98, v148
	ds_read_b128 v[96:99], v1 offset:544
	v_add_f32_e32 v106, 0, v147
	v_add_f32_e32 v107, v107, v150
	;; [unrolled: 1-line block ×3, first 2 shown]
	s_waitcnt vmcnt(12) lgkmcnt(1)
	v_mul_f32_e32 v111, v2, v125
	v_mul_f32_e32 v116, v3, v125
	s_clause 0x3
	buffer_load_dword v125, off, s[0:3], 0 offset:256
	buffer_load_dword v126, off, s[0:3], 0 offset:248
	;; [unrolled: 1-line block ×4, first 2 shown]
	v_fmac_f32_e32 v111, v3, v124
	v_fma_f32 v116, v2, v124, -v116
	s_clause 0x1
	buffer_load_dword v124, off, s[0:3], 0 offset:244
	buffer_load_dword v139, off, s[0:3], 0 offset:252
	v_add_f32_e32 v2, v106, v151
	v_add_f32_e32 v3, v107, v152
	s_waitcnt vmcnt(17)
	v_mul_f32_e32 v106, v4, v123
	v_mul_f32_e32 v107, v5, v123
	buffer_load_dword v123, off, s[0:3], 0 offset:260
	v_add_f32_e32 v2, v2, v101
	v_add_f32_e32 v3, v3, v135
	v_fmac_f32_e32 v106, v5, v121
	v_fma_f32 v107, v4, v121, -v107
	s_clause 0x3
	buffer_load_dword v121, off, s[0:3], 0 offset:268
	buffer_load_dword v135, off, s[0:3], 0 offset:276
	;; [unrolled: 1-line block ×4, first 2 shown]
	v_add_f32_e32 v100, v2, v100
	v_add_f32_e32 v101, v3, v136
	ds_read_b128 v[2:5], v1 offset:560
	s_waitcnt vmcnt(21) lgkmcnt(1)
	v_mul_f32_e32 v136, v96, v120
	v_mul_f32_e32 v120, v97, v120
	v_add_f32_e32 v100, v100, v137
	v_add_f32_e32 v101, v101, v138
	s_waitcnt vmcnt(20)
	v_mul_f32_e32 v137, v98, v122
	v_fmac_f32_e32 v136, v97, v114
	v_fma_f32 v114, v96, v114, -v120
	v_add_f32_e32 v8, v100, v8
	v_add_f32_e32 v96, v101, v127
	v_mul_f32_e32 v100, v99, v122
	s_clause 0x4
	buffer_load_dword v120, off, s[0:3], 0 offset:300
	buffer_load_dword v122, off, s[0:3], 0 offset:308
	;; [unrolled: 1-line block ×5, first 2 shown]
	v_add_f32_e32 v8, v8, v102
	s_clause 0x4
	buffer_load_dword v149, off, s[0:3], 0 offset:288
	buffer_load_dword v150, off, s[0:3], 0 offset:280
	;; [unrolled: 1-line block ×5, first 2 shown]
	v_add_f32_e32 v96, v96, v110
	s_waitcnt vmcnt(26)
	v_fmac_f32_e32 v137, v99, v143
	v_fma_f32 v143, v98, v143, -v100
	v_add_f32_e32 v8, v8, v109
	v_add_f32_e32 v96, v96, v128
	s_waitcnt vmcnt(25) lgkmcnt(0)
	v_mul_f32_e32 v101, v3, v144
	v_mul_f32_e32 v128, v2, v144
	v_add_f32_e32 v8, v8, v129
	v_add_f32_e32 v100, v96, v130
	ds_read_b128 v[96:99], v1 offset:576
	v_fma_f32 v109, v2, v142, -v101
	v_add_f32_e32 v8, v8, v103
	v_fmac_f32_e32 v128, v3, v142
	v_add_f32_e32 v100, v100, v131
	v_add_f32_e32 v2, v8, v6
	s_clause 0x3
	buffer_load_dword v8, off, s[0:3], 0 offset:320
	buffer_load_dword v129, off, s[0:3], 0 offset:312
	;; [unrolled: 1-line block ×4, first 2 shown]
	v_add_f32_e32 v3, v100, v7
	v_add_f32_e32 v2, v2, v115
	s_clause 0x1
	buffer_load_dword v115, off, s[0:3], 0 offset:336
	buffer_load_dword v142, off, s[0:3], 0 offset:328
	v_add_f32_e32 v3, v3, v108
	ds_read_b128 v[100:103], v1 offset:608
	v_add_f32_e32 v2, v2, v112
	buffer_load_dword v112, off, s[0:3], 0 offset:40
	v_add_f32_e32 v6, v3, v119
	v_add_f32_e32 v7, v2, v104
	;; [unrolled: 1-line block ×11, first 2 shown]
	s_waitcnt vmcnt(30)
	v_mul_f32_e32 v119, v4, v117
	v_mul_f32_e32 v3, v5, v117
	s_waitcnt vmcnt(29) lgkmcnt(1)
	v_mul_f32_e32 v104, v97, v118
	v_mul_f32_e32 v113, v96, v118
	s_waitcnt vmcnt(28)
	v_mul_f32_e32 v105, v99, v132
	v_fmac_f32_e32 v119, v5, v141
	v_fma_f32 v117, v4, v141, -v3
	ds_read_b128 v[2:5], v1 offset:592
	v_fma_f32 v116, v96, v140, -v104
	v_mul_f32_e32 v118, v98, v132
	v_fmac_f32_e32 v113, v97, v140
	s_waitcnt vmcnt(24)
	v_fma_f32 v132, v98, v134, -v105
	v_fmac_f32_e32 v118, v99, v134
	ds_read_b128 v[96:99], v1 offset:624
	ds_read_b128 v[104:107], v1 offset:640
	s_waitcnt vmcnt(23) lgkmcnt(2)
	v_mul_f32_e32 v114, v2, v124
	v_mul_f32_e32 v108, v3, v124
	s_waitcnt vmcnt(22)
	v_mul_f32_e32 v124, v4, v139
	v_mul_f32_e32 v134, v5, v139
	v_fmac_f32_e32 v114, v3, v133
	v_fma_f32 v133, v2, v133, -v108
	v_add_f32_e32 v2, v6, v137
	v_add_f32_e32 v6, v7, v109
	v_fmac_f32_e32 v124, v5, v126
	v_fma_f32 v126, v4, v126, -v134
	s_waitcnt vmcnt(21)
	v_mul_f32_e32 v134, v100, v123
	v_add_f32_e32 v128, v2, v128
	v_add_f32_e32 v117, v6, v117
	ds_read_b128 v[108:111], v1 offset:656
	ds_read_b128 v[2:5], v1 offset:672
	v_fmac_f32_e32 v134, v101, v125
	v_add_f32_e32 v119, v128, v119
	v_add_f32_e32 v116, v117, v116
	v_mul_f32_e32 v117, v101, v123
	s_waitcnt vmcnt(20)
	v_mul_f32_e32 v128, v102, v121
	v_mul_f32_e32 v121, v103, v121
	v_add_f32_e32 v113, v119, v113
	v_add_f32_e32 v116, v116, v132
	v_fma_f32 v100, v100, v125, -v117
	s_waitcnt vmcnt(19) lgkmcnt(3)
	v_mul_f32_e32 v119, v96, v135
	v_mul_f32_e32 v125, v97, v135
	v_add_f32_e32 v113, v113, v118
	v_add_f32_e32 v116, v116, v133
	s_waitcnt vmcnt(8)
	v_fma_f32 v102, v102, v152, -v121
	v_fmac_f32_e32 v128, v103, v152
	v_fmac_f32_e32 v119, v97, v151
	v_add_f32_e32 v113, v113, v114
	v_add_f32_e32 v116, v116, v126
	v_fma_f32 v96, v96, v151, -v125
	v_mul_f32_e32 v123, v98, v145
	s_waitcnt lgkmcnt(2)
	v_mul_f32_e32 v132, v104, v147
	v_add_f32_e32 v113, v113, v124
	v_add_f32_e32 v100, v116, v100
	v_mul_f32_e32 v118, v106, v120
	v_fmac_f32_e32 v123, v99, v150
	v_fmac_f32_e32 v132, v105, v149
	v_add_f32_e32 v103, v113, v134
	v_mul_f32_e32 v113, v99, v145
	v_add_f32_e32 v97, v100, v102
	v_mul_f32_e32 v102, v105, v147
	v_mul_f32_e32 v99, v107, v120
	v_add_f32_e32 v100, v103, v128
	v_fma_f32 v98, v98, v150, -v113
	v_add_f32_e32 v96, v97, v96
	ds_read_b64 v[6:7], v1 offset:688
	s_waitcnt vmcnt(3)
	v_fma_f32 v99, v106, v131, -v99
	v_add_f32_e32 v97, v100, v119
	v_fma_f32 v100, v104, v149, -v102
	v_add_f32_e32 v96, v96, v98
	s_waitcnt lgkmcnt(2)
	v_mul_f32_e32 v98, v109, v122
	v_mul_f32_e32 v133, v108, v122
	v_add_f32_e32 v97, v97, v123
	v_fmac_f32_e32 v118, v107, v131
	v_add_f32_e32 v96, v96, v100
	v_mul_f32_e32 v100, v111, v127
	v_fma_f32 v98, v108, v130, -v98
	v_add_f32_e32 v97, v97, v132
	v_mul_f32_e32 v101, v110, v127
	v_add_f32_e32 v96, v96, v99
	v_fmac_f32_e32 v133, v109, v130
	s_waitcnt lgkmcnt(1)
	v_mul_f32_e32 v114, v2, v138
	v_add_f32_e32 v97, v97, v118
	v_mul_f32_e32 v99, v3, v138
	v_fma_f32 v100, v110, v129, -v100
	v_add_f32_e32 v96, v96, v98
	v_fmac_f32_e32 v101, v111, v129
	v_add_f32_e32 v97, v97, v133
	v_mul_f32_e32 v98, v5, v148
	v_fmac_f32_e32 v114, v3, v8
	v_fma_f32 v2, v2, v8, -v99
	v_add_f32_e32 v3, v96, v100
	v_mul_f32_e32 v117, v4, v148
	v_add_f32_e32 v8, v97, v101
	s_waitcnt lgkmcnt(0)
	v_mul_f32_e32 v96, v7, v153
	s_waitcnt vmcnt(1)
	v_fma_f32 v4, v4, v142, -v98
	v_add_f32_e32 v2, v3, v2
	v_mul_f32_e32 v124, v6, v153
	v_fmac_f32_e32 v117, v5, v142
	v_add_f32_e32 v3, v8, v114
	v_fma_f32 v5, v6, v115, -v96
	v_add_f32_e32 v2, v2, v4
	v_fmac_f32_e32 v124, v7, v115
	v_add_f32_e32 v3, v3, v117
	v_add_f32_e32 v2, v2, v5
	;; [unrolled: 1-line block ×3, first 2 shown]
	s_waitcnt vmcnt(0)
	v_sub_f32_e32 v2, v112, v2
	v_sub_f32_e32 v3, v146, v3
	buffer_store_dword v2, off, s[0:3], 0 offset:40
	buffer_store_dword v3, off, s[0:3], 0 offset:44
	v_cmpx_lt_u32_e32 4, v0
	s_cbranch_execz .LBB106_263
; %bb.262:
	s_clause 0x1
	buffer_load_dword v2, off, s[0:3], 0 offset:32
	buffer_load_dword v3, off, s[0:3], 0 offset:36
	buffer_store_dword v1, off, s[0:3], 0 offset:32
	buffer_store_dword v1, off, s[0:3], 0 offset:36
	s_waitcnt vmcnt(0)
	ds_write_b64 v95, v[2:3]
.LBB106_263:
	s_or_b32 exec_lo, exec_lo, s4
	s_waitcnt lgkmcnt(0)
	s_waitcnt_vscnt null, 0x0
	s_barrier
	buffer_gl0_inv
	s_clause 0x2b
	buffer_load_dword v127, off, s[0:3], 0 offset:44
	buffer_load_dword v2, off, s[0:3], 0 offset:56
	;; [unrolled: 1-line block ×44, first 2 shown]
	ds_read2_b64 v[128:131], v1 offset0:49 offset1:50
	ds_read2_b64 v[132:135], v1 offset0:51 offset1:52
	;; [unrolled: 1-line block ×3, first 2 shown]
	buffer_load_dword v146, off, s[0:3], 0 offset:36
	s_mov_b32 s4, exec_lo
	s_waitcnt vmcnt(44) lgkmcnt(2)
	v_mul_f32_e32 v145, v128, v127
	v_mul_f32_e32 v127, v129, v127
	s_waitcnt vmcnt(40)
	v_mul_f32_e32 v148, v130, v96
	v_mul_f32_e32 v96, v131, v96
	s_waitcnt vmcnt(39) lgkmcnt(1)
	v_mul_f32_e32 v150, v132, v7
	v_fmac_f32_e32 v145, v129, v97
	v_fma_f32 v147, v128, v97, -v127
	v_fmac_f32_e32 v148, v131, v5
	v_fma_f32 v149, v130, v5, -v96
	v_mul_f32_e32 v5, v133, v7
	ds_read2_b64 v[127:130], v1 offset0:55 offset1:56
	v_fmac_f32_e32 v150, v133, v2
	s_waitcnt vmcnt(38)
	v_mul_f32_e32 v152, v134, v4
	v_fma_f32 v151, v132, v2, -v5
	v_mul_f32_e32 v2, v135, v4
	s_waitcnt vmcnt(34)
	v_fmac_f32_e32 v152, v135, v101
	s_waitcnt vmcnt(33) lgkmcnt(1)
	v_mul_f32_e32 v135, v136, v100
	v_fma_f32 v101, v134, v101, -v2
	v_mul_f32_e32 v2, v137, v100
	ds_read2_b64 v[131:134], v1 offset0:57 offset1:58
	v_fmac_f32_e32 v135, v137, v98
	v_fma_f32 v100, v136, v98, -v2
	s_waitcnt vmcnt(32)
	v_mul_f32_e32 v136, v138, v99
	v_mul_f32_e32 v2, v139, v99
	ds_read2_b64 v[96:99], v1 offset0:61 offset1:62
	v_fmac_f32_e32 v136, v139, v6
	v_fma_f32 v137, v138, v6, -v2
	ds_read2_b64 v[4:7], v1 offset0:59 offset1:60
	s_waitcnt vmcnt(31) lgkmcnt(3)
	v_mul_f32_e32 v2, v128, v8
	v_mul_f32_e32 v138, v127, v8
	s_waitcnt vmcnt(30)
	v_mul_f32_e32 v139, v129, v102
	v_fma_f32 v8, v127, v3, -v2
	v_mul_f32_e32 v2, v130, v102
	s_waitcnt vmcnt(26)
	v_fmac_f32_e32 v139, v130, v110
	v_fmac_f32_e32 v138, v128, v3
	s_waitcnt vmcnt(24) lgkmcnt(2)
	v_mul_f32_e32 v3, v134, v108
	v_fma_f32 v102, v129, v110, -v2
	v_mul_f32_e32 v110, v131, v109
	v_mul_f32_e32 v2, v132, v109
	;; [unrolled: 1-line block ×3, first 2 shown]
	ds_read2_b64 v[127:130], v1 offset0:63 offset1:64
	v_fmac_f32_e32 v110, v132, v106
	v_fma_f32 v106, v131, v106, -v2
	s_waitcnt vmcnt(23) lgkmcnt(1)
	v_mul_f32_e32 v108, v4, v105
	v_mul_f32_e32 v2, v5, v105
	s_waitcnt vmcnt(22)
	v_mul_f32_e32 v105, v6, v107
	v_fmac_f32_e32 v109, v134, v104
	v_fma_f32 v104, v133, v104, -v3
	v_fmac_f32_e32 v108, v5, v103
	v_fma_f32 v103, v4, v103, -v2
	v_mul_f32_e32 v2, v7, v107
	s_waitcnt vmcnt(18)
	v_fmac_f32_e32 v105, v7, v120
	s_clause 0x1
	buffer_load_dword v7, off, s[0:3], 0 offset:212
	buffer_load_dword v107, off, s[0:3], 0 offset:220
	s_waitcnt vmcnt(18)
	v_mul_f32_e32 v3, v99, v117
	v_fma_f32 v6, v6, v120, -v2
	v_mul_f32_e32 v120, v96, v118
	v_mul_f32_e32 v2, v97, v118
	;; [unrolled: 1-line block ×3, first 2 shown]
	s_waitcnt vmcnt(17) lgkmcnt(0)
	v_mul_f32_e32 v117, v127, v116
	v_mul_f32_e32 v116, v128, v116
	v_fmac_f32_e32 v120, v97, v114
	v_fma_f32 v114, v96, v114, -v2
	s_waitcnt vmcnt(16)
	v_mul_f32_e32 v131, v129, v121
	v_mul_f32_e32 v96, v130, v121
	v_fmac_f32_e32 v118, v99, v113
	v_fma_f32 v113, v98, v113, -v3
	ds_read2_b64 v[2:5], v1 offset0:65 offset1:66
	v_fmac_f32_e32 v117, v128, v111
	v_fma_f32 v111, v127, v111, -v116
	s_waitcnt vmcnt(12)
	v_fmac_f32_e32 v131, v130, v126
	v_fma_f32 v116, v129, v126, -v96
	s_clause 0x7
	buffer_load_dword v121, off, s[0:3], 0 offset:228
	buffer_load_dword v126, off, s[0:3], 0 offset:248
	;; [unrolled: 1-line block ×8, first 2 shown]
	v_add_f32_e32 v96, 0, v145
	v_add_f32_e32 v97, 0, v147
	;; [unrolled: 1-line block ×6, first 2 shown]
	s_waitcnt vmcnt(19) lgkmcnt(0)
	v_mul_f32_e32 v145, v2, v125
	v_mul_f32_e32 v125, v3, v125
	v_add_f32_e32 v134, v96, v152
	v_add_f32_e32 v101, v97, v101
	ds_read2_b64 v[96:99], v1 offset0:67 offset1:68
	v_fmac_f32_e32 v145, v3, v123
	v_fma_f32 v123, v2, v123, -v125
	v_add_f32_e32 v134, v134, v135
	v_add_f32_e32 v100, v101, v100
	s_waitcnt vmcnt(18)
	v_mul_f32_e32 v135, v4, v124
	v_mul_f32_e32 v101, v5, v124
	v_add_f32_e32 v3, v134, v136
	v_add_f32_e32 v100, v100, v137
	v_fmac_f32_e32 v135, v5, v122
	v_fma_f32 v122, v4, v122, -v101
	v_add_f32_e32 v2, v3, v138
	v_add_f32_e32 v3, v100, v8
	s_clause 0x7
	buffer_load_dword v8, off, s[0:3], 0 offset:260
	buffer_load_dword v124, off, s[0:3], 0 offset:268
	;; [unrolled: 1-line block ×8, first 2 shown]
	v_add_f32_e32 v2, v2, v139
	v_add_f32_e32 v3, v3, v102
	s_waitcnt vmcnt(25) lgkmcnt(0)
	v_mul_f32_e32 v148, v96, v119
	v_mul_f32_e32 v4, v97, v119
	s_clause 0x3
	buffer_load_dword v119, off, s[0:3], 0 offset:292
	buffer_load_dword v139, off, s[0:3], 0 offset:300
	buffer_load_dword v149, off, s[0:3], 0 offset:308
	buffer_load_dword v150, off, s[0:3], 0 offset:316
	v_add_f32_e32 v2, v2, v110
	s_clause 0x1
	buffer_load_dword v151, off, s[0:3], 0 offset:324
	buffer_load_dword v152, off, s[0:3], 0 offset:332
	v_fmac_f32_e32 v148, v97, v112
	v_fma_f32 v112, v96, v112, -v4
	v_add_f32_e32 v96, v3, v106
	s_waitcnt vmcnt(30)
	v_mul_f32_e32 v3, v99, v115
	v_mul_f32_e32 v110, v98, v115
	v_add_f32_e32 v97, v2, v109
	buffer_load_dword v153, off, s[0:3], 0 offset:340
	v_add_f32_e32 v96, v96, v104
	s_waitcnt vmcnt(27)
	v_fma_f32 v109, v98, v143, -v3
	ds_read2_b64 v[2:5], v1 offset0:69 offset1:70
	v_fmac_f32_e32 v110, v99, v143
	v_add_f32_e32 v97, v97, v108
	s_clause 0x3
	buffer_load_dword v143, off, s[0:3], 0 offset:312
	buffer_load_dword v154, off, s[0:3], 0 offset:304
	;; [unrolled: 1-line block ×4, first 2 shown]
	v_add_f32_e32 v96, v96, v103
	v_add_f32_e32 v97, v97, v105
	;; [unrolled: 1-line block ×4, first 2 shown]
	ds_read2_b64 v[96:99], v1 offset0:71 offset1:72
	v_add_f32_e32 v6, v6, v114
	v_add_f32_e32 v100, v100, v118
	s_waitcnt vmcnt(30) lgkmcnt(1)
	v_mul_f32_e32 v108, v2, v144
	v_mul_f32_e32 v101, v3, v144
	v_fmac_f32_e32 v108, v3, v142
	v_fma_f32 v114, v2, v142, -v101
	v_add_f32_e32 v2, v6, v113
	v_add_f32_e32 v3, v100, v117
	s_clause 0x3
	buffer_load_dword v6, off, s[0:3], 0 offset:336
	buffer_load_dword v117, off, s[0:3], 0 offset:328
	;; [unrolled: 1-line block ×4, first 2 shown]
	v_add_f32_e32 v2, v2, v111
	v_add_f32_e32 v3, v3, v131
	;; [unrolled: 1-line block ×6, first 2 shown]
	ds_read2_b64 v[100:103], v1 offset0:75 offset1:76
	v_add_f32_e32 v105, v105, v122
	v_add_f32_e32 v115, v104, v148
	;; [unrolled: 1-line block ×6, first 2 shown]
	s_waitcnt vmcnt(32)
	v_mul_f32_e32 v111, v4, v7
	v_mul_f32_e32 v7, v5, v7
	s_waitcnt vmcnt(31) lgkmcnt(1)
	v_mul_f32_e32 v113, v96, v107
	v_mul_f32_e32 v106, v97, v107
	v_fmac_f32_e32 v111, v5, v141
	v_fma_f32 v7, v4, v141, -v7
	ds_read2_b64 v[2:5], v1 offset0:73 offset1:74
	v_fmac_f32_e32 v113, v97, v140
	s_waitcnt vmcnt(30)
	v_mul_f32_e32 v116, v98, v121
	v_mul_f32_e32 v107, v99, v121
	v_fma_f32 v121, v96, v140, -v106
	s_waitcnt vmcnt(26)
	v_fmac_f32_e32 v116, v99, v129
	v_fma_f32 v122, v98, v129, -v107
	ds_read2_b64 v[96:99], v1 offset0:77 offset1:78
	ds_read2_b64 v[104:107], v1 offset0:79 offset1:80
	s_waitcnt vmcnt(23) lgkmcnt(3)
	v_mul_f32_e32 v131, v101, v133
	s_waitcnt lgkmcnt(2)
	v_mul_f32_e32 v123, v2, v130
	v_mul_f32_e32 v112, v3, v130
	;; [unrolled: 1-line block ×5, first 2 shown]
	v_fmac_f32_e32 v123, v3, v128
	v_fma_f32 v128, v2, v128, -v112
	v_add_f32_e32 v112, v109, v114
	v_add_f32_e32 v114, v108, v111
	v_fmac_f32_e32 v129, v5, v127
	v_fma_f32 v127, v4, v127, -v115
	ds_read2_b64 v[2:5], v1 offset0:81 offset1:82
	ds_read2_b64 v[108:111], v1 offset0:83 offset1:84
	v_add_f32_e32 v7, v112, v7
	v_fmac_f32_e32 v130, v101, v126
	v_add_f32_e32 v101, v114, v113
	ds_read2_b64 v[112:115], v1 offset0:85 offset1:86
	v_fma_f32 v100, v100, v126, -v131
	v_add_f32_e32 v1, v7, v121
	v_add_f32_e32 v101, v101, v116
	s_waitcnt vmcnt(22)
	v_mul_f32_e32 v7, v102, v8
	v_add_f32_e32 v1, v1, v122
	v_mul_f32_e32 v8, v103, v8
	v_add_f32_e32 v101, v101, v123
	s_waitcnt vmcnt(21) lgkmcnt(4)
	v_mul_f32_e32 v122, v97, v124
	v_mul_f32_e32 v116, v96, v124
	v_add_f32_e32 v1, v1, v128
	s_waitcnt vmcnt(15)
	v_fma_f32 v8, v102, v147, -v8
	v_add_f32_e32 v101, v101, v129
	v_fmac_f32_e32 v7, v103, v147
	v_mul_f32_e32 v121, v98, v125
	v_add_f32_e32 v1, v1, v127
	v_mul_f32_e32 v125, v99, v125
	v_fma_f32 v96, v96, v138, -v122
	v_fmac_f32_e32 v116, v97, v138
	s_waitcnt lgkmcnt(3)
	v_mul_f32_e32 v102, v104, v134
	v_add_f32_e32 v1, v1, v100
	v_add_f32_e32 v100, v101, v130
	v_fma_f32 v97, v98, v137, -v125
	v_fmac_f32_e32 v121, v99, v137
	s_waitcnt vmcnt(14)
	v_mul_f32_e32 v103, v106, v119
	v_add_f32_e32 v1, v1, v8
	v_add_f32_e32 v7, v100, v7
	v_mul_f32_e32 v8, v105, v134
	v_fmac_f32_e32 v102, v105, v136
	s_waitcnt vmcnt(13) lgkmcnt(2)
	v_mul_f32_e32 v123, v2, v139
	v_add_f32_e32 v1, v1, v96
	v_add_f32_e32 v7, v7, v116
	v_mul_f32_e32 v96, v107, v119
	v_fma_f32 v8, v104, v136, -v8
	s_waitcnt vmcnt(4)
	v_fmac_f32_e32 v103, v107, v156
	v_add_f32_e32 v1, v1, v97
	v_add_f32_e32 v7, v7, v121
	v_mul_f32_e32 v97, v3, v139
	v_fma_f32 v96, v106, v156, -v96
	v_mul_f32_e32 v124, v4, v149
	v_add_f32_e32 v1, v1, v8
	v_add_f32_e32 v7, v7, v102
	v_mul_f32_e32 v8, v5, v149
	v_fma_f32 v2, v2, v155, -v97
	v_fmac_f32_e32 v123, v3, v155
	v_add_f32_e32 v1, v1, v96
	v_add_f32_e32 v3, v7, v103
	s_waitcnt lgkmcnt(1)
	v_mul_f32_e32 v7, v109, v150
	v_fma_f32 v4, v4, v154, -v8
	v_mul_f32_e32 v126, v108, v150
	v_add_f32_e32 v1, v1, v2
	v_fmac_f32_e32 v124, v5, v154
	v_add_f32_e32 v2, v3, v123
	v_mul_f32_e32 v3, v111, v151
	v_fma_f32 v5, v108, v143, -v7
	v_add_f32_e32 v1, v1, v4
	v_mul_f32_e32 v127, v110, v151
	v_fmac_f32_e32 v126, v109, v143
	v_add_f32_e32 v2, v2, v124
	s_waitcnt lgkmcnt(0)
	v_mul_f32_e32 v4, v113, v152
	s_waitcnt vmcnt(1)
	v_fma_f32 v3, v110, v118, -v3
	v_add_f32_e32 v1, v1, v5
	v_mul_f32_e32 v128, v112, v152
	v_fmac_f32_e32 v127, v111, v118
	v_add_f32_e32 v2, v2, v126
	v_mul_f32_e32 v5, v115, v153
	v_fma_f32 v4, v112, v117, -v4
	v_add_f32_e32 v1, v1, v3
	v_mul_f32_e32 v101, v114, v153
	v_fmac_f32_e32 v128, v113, v117
	v_add_f32_e32 v2, v2, v127
	v_fma_f32 v3, v114, v6, -v5
	v_add_f32_e32 v1, v1, v4
	v_fmac_f32_e32 v101, v115, v6
	v_add_f32_e32 v2, v2, v128
	v_add_f32_e32 v1, v1, v3
	;; [unrolled: 1-line block ×3, first 2 shown]
	s_waitcnt vmcnt(0)
	v_sub_f32_e32 v1, v120, v1
	v_sub_f32_e32 v2, v146, v2
	buffer_store_dword v1, off, s[0:3], 0 offset:32
	buffer_store_dword v2, off, s[0:3], 0 offset:36
	v_cmpx_lt_u32_e32 3, v0
	s_cbranch_execz .LBB106_265
; %bb.264:
	s_clause 0x1
	buffer_load_dword v1, off, s[0:3], 0 offset:24
	buffer_load_dword v2, off, s[0:3], 0 offset:28
	v_mov_b32_e32 v3, 0
	buffer_store_dword v3, off, s[0:3], 0 offset:24
	buffer_store_dword v3, off, s[0:3], 0 offset:28
	s_waitcnt vmcnt(0)
	ds_write_b64 v95, v[1:2]
.LBB106_265:
	s_or_b32 exec_lo, exec_lo, s4
	s_waitcnt lgkmcnt(0)
	s_waitcnt_vscnt null, 0x0
	s_barrier
	buffer_gl0_inv
	s_clause 0x2c
	buffer_load_dword v126, off, s[0:3], 0 offset:36
	buffer_load_dword v127, off, s[0:3], 0 offset:44
	;; [unrolled: 1-line block ×45, first 2 shown]
	v_mov_b32_e32 v1, 0
	ds_read_b128 v[128:131], v1 offset:384
	ds_read_b128 v[132:135], v1 offset:400
	buffer_load_dword v144, off, s[0:3], 0 offset:28
	s_mov_b32 s4, exec_lo
	s_waitcnt vmcnt(45) lgkmcnt(1)
	v_mul_f32_e32 v142, v128, v126
	v_mul_f32_e32 v126, v129, v126
	s_waitcnt vmcnt(44)
	v_mul_f32_e32 v143, v130, v127
	v_mul_f32_e32 v127, v131, v127
	s_waitcnt vmcnt(41)
	v_fmac_f32_e32 v142, v129, v97
	v_fma_f32 v145, v128, v97, -v126
	s_waitcnt vmcnt(40) lgkmcnt(0)
	v_mul_f32_e32 v147, v132, v4
	v_fma_f32 v146, v130, v7, -v127
	ds_read_b128 v[126:129], v1 offset:416
	s_waitcnt vmcnt(39)
	v_mul_f32_e32 v148, v134, v5
	v_mul_f32_e32 v4, v133, v4
	v_fmac_f32_e32 v143, v131, v7
	v_mul_f32_e32 v5, v135, v5
	v_fmac_f32_e32 v147, v133, v2
	s_waitcnt vmcnt(35)
	v_fmac_f32_e32 v148, v135, v100
	v_fma_f32 v135, v132, v2, -v4
	ds_read_b128 v[130:133], v1 offset:432
	v_fma_f32 v100, v134, v100, -v5
	s_waitcnt vmcnt(34) lgkmcnt(1)
	v_mul_f32_e32 v134, v126, v99
	v_mul_f32_e32 v2, v127, v99
	s_waitcnt vmcnt(33)
	v_mul_f32_e32 v149, v128, v98
	v_mul_f32_e32 v4, v129, v98
	v_fmac_f32_e32 v134, v127, v96
	v_fma_f32 v126, v126, v96, -v2
	v_fmac_f32_e32 v149, v129, v6
	v_fma_f32 v127, v128, v6, -v4
	ds_read_b128 v[4:7], v1 offset:448
	s_waitcnt vmcnt(32) lgkmcnt(1)
	v_mul_f32_e32 v128, v130, v8
	v_mul_f32_e32 v2, v131, v8
	s_waitcnt vmcnt(31)
	v_mul_f32_e32 v8, v132, v101
	v_mul_f32_e32 v96, v133, v101
	v_fmac_f32_e32 v128, v131, v3
	v_fma_f32 v101, v130, v3, -v2
	s_waitcnt vmcnt(27)
	v_fmac_f32_e32 v8, v133, v109
	v_fma_f32 v109, v132, v109, -v96
	ds_read_b128 v[96:99], v1 offset:464
	buffer_load_dword v133, off, s[0:3], 0 offset:220
	s_waitcnt vmcnt(27) lgkmcnt(1)
	v_mul_f32_e32 v129, v4, v107
	v_mul_f32_e32 v2, v5, v107
	s_waitcnt vmcnt(26)
	v_mul_f32_e32 v107, v6, v106
	v_mul_f32_e32 v3, v7, v106
	v_fmac_f32_e32 v129, v5, v105
	v_fma_f32 v105, v4, v105, -v2
	v_fmac_f32_e32 v107, v7, v103
	v_fma_f32 v6, v6, v103, -v3
	ds_read_b128 v[2:5], v1 offset:480
	s_waitcnt vmcnt(25) lgkmcnt(1)
	v_mul_f32_e32 v7, v96, v104
	v_mul_f32_e32 v103, v97, v104
	s_waitcnt vmcnt(24)
	v_mul_f32_e32 v104, v98, v108
	v_mul_f32_e32 v106, v99, v108
	v_fmac_f32_e32 v7, v97, v102
	v_fma_f32 v102, v96, v102, -v103
	s_waitcnt vmcnt(20)
	v_fmac_f32_e32 v104, v99, v117
	v_fma_f32 v103, v98, v117, -v106
	ds_read_b128 v[96:99], v1 offset:496
	s_waitcnt vmcnt(19) lgkmcnt(1)
	v_mul_f32_e32 v106, v2, v115
	v_mul_f32_e32 v108, v3, v115
	s_waitcnt vmcnt(18)
	v_mul_f32_e32 v115, v4, v114
	v_mul_f32_e32 v114, v5, v114
	v_fmac_f32_e32 v106, v3, v113
	v_fma_f32 v108, v2, v113, -v108
	v_fmac_f32_e32 v115, v5, v111
	v_fma_f32 v111, v4, v111, -v114
	ds_read_b128 v[2:5], v1 offset:512
	s_waitcnt vmcnt(17) lgkmcnt(1)
	v_mul_f32_e32 v113, v96, v112
	v_mul_f32_e32 v112, v97, v112
	s_waitcnt vmcnt(16)
	v_mul_f32_e32 v114, v98, v116
	v_mul_f32_e32 v116, v99, v116
	v_fmac_f32_e32 v113, v97, v110
	v_fma_f32 v110, v96, v110, -v112
	s_waitcnt vmcnt(12)
	v_fmac_f32_e32 v114, v99, v124
	v_fma_f32 v112, v98, v124, -v116
	ds_read_b128 v[96:99], v1 offset:528
	s_waitcnt vmcnt(11) lgkmcnt(1)
	v_mul_f32_e32 v116, v2, v123
	v_mul_f32_e32 v117, v3, v123
	s_waitcnt vmcnt(10)
	v_mul_f32_e32 v123, v4, v122
	v_mul_f32_e32 v122, v5, v122
	v_fmac_f32_e32 v116, v3, v121
	v_fma_f32 v117, v2, v121, -v117
	v_fmac_f32_e32 v123, v5, v119
	v_fma_f32 v119, v4, v119, -v122
	ds_read_b128 v[2:5], v1 offset:544
	s_waitcnt vmcnt(8) lgkmcnt(1)
	v_mul_f32_e32 v122, v98, v125
	v_mul_f32_e32 v124, v99, v125
	buffer_load_dword v125, off, s[0:3], 0 offset:212
	v_mul_f32_e32 v121, v96, v120
	v_mul_f32_e32 v120, v97, v120
	s_waitcnt vmcnt(5)
	v_fmac_f32_e32 v122, v99, v139
	v_fmac_f32_e32 v121, v97, v118
	v_fma_f32 v118, v96, v118, -v120
	v_fma_f32 v120, v98, v139, -v124
	ds_read_b128 v[96:99], v1 offset:560
	s_waitcnt vmcnt(4) lgkmcnt(1)
	v_mul_f32_e32 v124, v2, v140
	v_mul_f32_e32 v130, v3, v140
	s_waitcnt vmcnt(3)
	v_mul_f32_e32 v131, v4, v141
	v_mul_f32_e32 v132, v5, v141
	v_fmac_f32_e32 v124, v3, v138
	v_fma_f32 v130, v2, v138, -v130
	v_fmac_f32_e32 v131, v5, v137
	v_fma_f32 v132, v4, v137, -v132
	s_clause 0x4
	buffer_load_dword v137, off, s[0:3], 0 offset:240
	buffer_load_dword v138, off, s[0:3], 0 offset:232
	;; [unrolled: 1-line block ×5, first 2 shown]
	s_waitcnt vmcnt(6) lgkmcnt(0)
	v_mul_f32_e32 v4, v99, v133
	s_waitcnt vmcnt(5)
	v_mul_f32_e32 v140, v96, v125
	v_mul_f32_e32 v3, v97, v125
	;; [unrolled: 1-line block ×3, first 2 shown]
	v_fmac_f32_e32 v140, v97, v136
	v_fma_f32 v133, v96, v136, -v3
	buffer_load_dword v136, off, s[0:3], 0 offset:228
	v_add_f32_e32 v3, 0, v145
	v_add_f32_e32 v3, v3, v146
	;; [unrolled: 1-line block ×4, first 2 shown]
	s_waitcnt vmcnt(2)
	v_fmac_f32_e32 v125, v99, v2
	v_fma_f32 v141, v98, v2, -v4
	v_add_f32_e32 v2, 0, v142
	buffer_load_dword v142, off, s[0:3], 0 offset:244
	v_add_f32_e32 v3, v3, v126
	v_add_f32_e32 v2, v2, v143
	buffer_load_dword v143, off, s[0:3], 0 offset:252
	v_add_f32_e32 v3, v3, v127
	v_add_f32_e32 v2, v2, v147
	s_clause 0x3
	buffer_load_dword v145, off, s[0:3], 0 offset:272
	buffer_load_dword v146, off, s[0:3], 0 offset:264
	;; [unrolled: 1-line block ×4, first 2 shown]
	v_add_f32_e32 v3, v3, v101
	v_add_f32_e32 v2, v2, v148
	s_clause 0x1
	buffer_load_dword v135, off, s[0:3], 0 offset:260
	buffer_load_dword v148, off, s[0:3], 0 offset:268
	v_add_f32_e32 v3, v3, v109
	v_add_f32_e32 v2, v2, v134
	buffer_load_dword v134, off, s[0:3], 0 offset:276
	v_add_f32_e32 v3, v3, v105
	v_add_f32_e32 v2, v2, v149
	s_clause 0x3
	buffer_load_dword v126, off, s[0:3], 0 offset:284
	buffer_load_dword v149, off, s[0:3], 0 offset:292
	;; [unrolled: 1-line block ×4, first 2 shown]
	v_add_f32_e32 v3, v3, v6
	v_add_f32_e32 v2, v2, v128
	s_clause 0x1
	buffer_load_dword v127, off, s[0:3], 0 offset:316
	buffer_load_dword v128, off, s[0:3], 0 offset:324
	v_add_f32_e32 v3, v3, v102
	v_add_f32_e32 v2, v2, v8
	s_clause 0x1
	buffer_load_dword v8, off, s[0:3], 0 offset:332
	buffer_load_dword v154, off, s[0:3], 0 offset:340
	;; [unrolled: 5-line block ×3, first 2 shown]
	buffer_load_dword v156, off, s[0:3], 0 offset:288
	buffer_load_dword v157, off, s[0:3], 0 offset:280
	;; [unrolled: 1-line block ×7, first 2 shown]
	v_add_f32_e32 v3, v3, v108
	v_add_f32_e32 v2, v2, v107
	ds_read_b128 v[96:99], v1 offset:592
	v_add_f32_e32 v2, v2, v7
	v_add_f32_e32 v7, v3, v111
	;; [unrolled: 1-line block ×7, first 2 shown]
	ds_read_b128 v[2:5], v1 offset:576
	v_add_f32_e32 v7, v7, v117
	v_add_f32_e32 v6, v6, v113
	;; [unrolled: 1-line block ×6, first 2 shown]
	s_waitcnt vmcnt(27) lgkmcnt(0)
	v_mul_f32_e32 v113, v4, v150
	v_mul_f32_e32 v101, v5, v150
	v_add_f32_e32 v6, v6, v121
	v_fmac_f32_e32 v113, v5, v138
	v_fma_f32 v115, v4, v138, -v101
	v_add_f32_e32 v6, v6, v122
	v_add_f32_e32 v6, v6, v124
	v_add_f32_e32 v6, v6, v131
	s_waitcnt vmcnt(26)
	v_mul_f32_e32 v112, v2, v136
	v_mul_f32_e32 v100, v3, v136
	v_fmac_f32_e32 v112, v3, v139
	v_add_f32_e32 v3, v7, v118
	v_fma_f32 v114, v2, v139, -v100
	v_add_f32_e32 v7, v3, v120
	ds_read_b128 v[2:5], v1 offset:608
	ds_read_b128 v[100:103], v1 offset:624
	v_add_f32_e32 v120, v6, v140
	ds_read_b128 v[104:107], v1 offset:640
	v_add_f32_e32 v7, v7, v130
	v_add_f32_e32 v120, v120, v125
	;; [unrolled: 1-line block ×3, first 2 shown]
	s_waitcnt vmcnt(25)
	v_mul_f32_e32 v108, v97, v142
	v_mul_f32_e32 v116, v96, v142
	v_add_f32_e32 v112, v120, v112
	v_add_f32_e32 v7, v7, v133
	s_waitcnt vmcnt(24)
	v_mul_f32_e32 v118, v99, v143
	v_fma_f32 v119, v96, v137, -v108
	v_mul_f32_e32 v117, v98, v143
	v_fmac_f32_e32 v116, v97, v137
	v_add_f32_e32 v121, v7, v141
	v_add_f32_e32 v112, v112, v113
	s_waitcnt vmcnt(20)
	v_fma_f32 v118, v98, v151, -v118
	v_fmac_f32_e32 v117, v99, v151
	ds_read_b128 v[108:111], v1 offset:656
	v_add_f32_e32 v114, v121, v114
	s_waitcnt vmcnt(19) lgkmcnt(3)
	v_mul_f32_e32 v121, v3, v135
	v_mul_f32_e32 v122, v2, v135
	v_add_f32_e32 v112, v112, v116
	s_waitcnt vmcnt(18)
	v_mul_f32_e32 v124, v5, v148
	v_add_f32_e32 v114, v114, v115
	v_fma_f32 v2, v2, v147, -v121
	v_mul_f32_e32 v123, v4, v148
	v_fmac_f32_e32 v122, v3, v147
	v_add_f32_e32 v112, v112, v117
	v_add_f32_e32 v114, v114, v119
	s_waitcnt vmcnt(17) lgkmcnt(2)
	v_mul_f32_e32 v121, v101, v134
	v_fma_f32 v4, v4, v146, -v124
	v_mul_f32_e32 v120, v100, v134
	v_fmac_f32_e32 v123, v5, v146
	v_add_f32_e32 v114, v114, v118
	v_add_f32_e32 v5, v112, v122
	s_waitcnt vmcnt(16)
	v_mul_f32_e32 v112, v103, v126
	v_fma_f32 v100, v100, v145, -v121
	v_mul_f32_e32 v115, v102, v126
	v_add_f32_e32 v2, v114, v2
	v_fmac_f32_e32 v120, v101, v145
	ds_read_b128 v[96:99], v1 offset:672
	ds_read_b64 v[6:7], v1 offset:688
	s_waitcnt vmcnt(15) lgkmcnt(3)
	v_mul_f32_e32 v125, v104, v149
	s_waitcnt vmcnt(14)
	v_mul_f32_e32 v113, v106, v152
	v_add_f32_e32 v2, v2, v4
	v_add_f32_e32 v4, v5, v123
	v_mul_f32_e32 v5, v105, v149
	s_waitcnt vmcnt(5)
	v_fma_f32 v101, v102, v157, -v112
	v_fmac_f32_e32 v115, v103, v157
	v_add_f32_e32 v2, v2, v100
	v_add_f32_e32 v4, v4, v120
	v_mul_f32_e32 v100, v107, v152
	v_fma_f32 v5, v104, v156, -v5
	v_fmac_f32_e32 v125, v105, v156
	v_add_f32_e32 v2, v2, v101
	v_add_f32_e32 v4, v4, v115
	s_waitcnt lgkmcnt(2)
	v_mul_f32_e32 v101, v109, v153
	v_fma_f32 v100, v106, v155, -v100
	v_mul_f32_e32 v119, v108, v153
	v_add_f32_e32 v2, v2, v5
	v_fmac_f32_e32 v113, v107, v155
	v_add_f32_e32 v4, v4, v125
	v_mul_f32_e32 v5, v111, v127
	v_fma_f32 v101, v108, v129, -v101
	v_add_f32_e32 v2, v2, v100
	v_mul_f32_e32 v3, v110, v127
	v_fmac_f32_e32 v119, v109, v129
	v_add_f32_e32 v4, v4, v113
	s_waitcnt lgkmcnt(1)
	v_mul_f32_e32 v100, v97, v128
	s_waitcnt vmcnt(1)
	v_fma_f32 v5, v110, v161, -v5
	v_add_f32_e32 v2, v2, v101
	v_mul_f32_e32 v116, v96, v128
	v_fmac_f32_e32 v3, v111, v161
	v_add_f32_e32 v4, v4, v119
	v_mul_f32_e32 v118, v98, v8
	v_mul_f32_e32 v8, v99, v8
	v_fma_f32 v96, v96, v160, -v100
	v_add_f32_e32 v2, v2, v5
	v_fmac_f32_e32 v116, v97, v160
	v_add_f32_e32 v3, v4, v3
	s_waitcnt lgkmcnt(0)
	v_mul_f32_e32 v4, v7, v154
	v_fma_f32 v5, v98, v159, -v8
	v_add_f32_e32 v2, v2, v96
	v_mul_f32_e32 v117, v6, v154
	v_fmac_f32_e32 v118, v99, v159
	v_add_f32_e32 v3, v3, v116
	v_fma_f32 v4, v6, v158, -v4
	v_add_f32_e32 v2, v2, v5
	v_fmac_f32_e32 v117, v7, v158
	v_add_f32_e32 v3, v3, v118
	v_add_f32_e32 v2, v2, v4
	;; [unrolled: 1-line block ×3, first 2 shown]
	s_waitcnt vmcnt(0)
	v_sub_f32_e32 v2, v162, v2
	v_sub_f32_e32 v3, v144, v3
	buffer_store_dword v2, off, s[0:3], 0 offset:24
	buffer_store_dword v3, off, s[0:3], 0 offset:28
	v_cmpx_lt_u32_e32 2, v0
	s_cbranch_execz .LBB106_267
; %bb.266:
	s_clause 0x1
	buffer_load_dword v2, off, s[0:3], 0 offset:16
	buffer_load_dword v3, off, s[0:3], 0 offset:20
	buffer_store_dword v1, off, s[0:3], 0 offset:16
	buffer_store_dword v1, off, s[0:3], 0 offset:20
	s_waitcnt vmcnt(0)
	ds_write_b64 v95, v[2:3]
.LBB106_267:
	s_or_b32 exec_lo, exec_lo, s4
	s_waitcnt lgkmcnt(0)
	s_waitcnt_vscnt null, 0x0
	s_barrier
	buffer_gl0_inv
	s_clause 0x2c
	buffer_load_dword v126, off, s[0:3], 0 offset:28
	buffer_load_dword v127, off, s[0:3], 0 offset:36
	;; [unrolled: 1-line block ×45, first 2 shown]
	ds_read2_b64 v[128:131], v1 offset0:47 offset1:48
	ds_read2_b64 v[132:135], v1 offset0:49 offset1:50
	buffer_load_dword v144, off, s[0:3], 0 offset:20
	s_mov_b32 s4, exec_lo
	s_waitcnt vmcnt(45) lgkmcnt(1)
	v_mul_f32_e32 v142, v128, v126
	v_mul_f32_e32 v126, v129, v126
	s_waitcnt vmcnt(44)
	v_mul_f32_e32 v143, v130, v127
	v_mul_f32_e32 v127, v131, v127
	s_waitcnt vmcnt(41)
	v_fmac_f32_e32 v142, v129, v97
	v_fma_f32 v145, v128, v97, -v126
	s_waitcnt vmcnt(40) lgkmcnt(0)
	v_mul_f32_e32 v147, v132, v4
	v_fma_f32 v146, v130, v7, -v127
	ds_read2_b64 v[126:129], v1 offset0:51 offset1:52
	s_waitcnt vmcnt(39)
	v_mul_f32_e32 v148, v134, v5
	v_mul_f32_e32 v4, v133, v4
	;; [unrolled: 1-line block ×3, first 2 shown]
	v_fmac_f32_e32 v143, v131, v7
	v_fmac_f32_e32 v147, v133, v2
	s_waitcnt vmcnt(35)
	v_fmac_f32_e32 v148, v135, v100
	v_fma_f32 v135, v132, v2, -v4
	v_fma_f32 v100, v134, v100, -v5
	ds_read2_b64 v[130:133], v1 offset0:53 offset1:54
	s_waitcnt vmcnt(34) lgkmcnt(1)
	v_mul_f32_e32 v134, v126, v99
	s_waitcnt vmcnt(33)
	v_mul_f32_e32 v149, v128, v98
	v_mul_f32_e32 v4, v129, v98
	;; [unrolled: 1-line block ×3, first 2 shown]
	v_fmac_f32_e32 v134, v127, v96
	v_fmac_f32_e32 v149, v129, v6
	v_fma_f32 v127, v128, v6, -v4
	ds_read2_b64 v[4:7], v1 offset0:55 offset1:56
	v_fma_f32 v126, v126, v96, -v2
	s_waitcnt vmcnt(32) lgkmcnt(1)
	v_mul_f32_e32 v128, v130, v8
	v_mul_f32_e32 v2, v131, v8
	s_waitcnt vmcnt(31)
	v_mul_f32_e32 v8, v132, v101
	v_mul_f32_e32 v96, v133, v101
	v_fmac_f32_e32 v128, v131, v3
	v_fma_f32 v101, v130, v3, -v2
	s_waitcnt vmcnt(27)
	v_fmac_f32_e32 v8, v133, v109
	v_fma_f32 v109, v132, v109, -v96
	ds_read2_b64 v[96:99], v1 offset0:57 offset1:58
	buffer_load_dword v133, off, s[0:3], 0 offset:212
	s_waitcnt vmcnt(27) lgkmcnt(1)
	v_mul_f32_e32 v129, v4, v107
	v_mul_f32_e32 v2, v5, v107
	s_waitcnt vmcnt(26)
	v_mul_f32_e32 v3, v7, v106
	v_mul_f32_e32 v107, v6, v106
	v_fmac_f32_e32 v129, v5, v105
	v_fma_f32 v105, v4, v105, -v2
	v_fma_f32 v6, v6, v103, -v3
	ds_read2_b64 v[2:5], v1 offset0:59 offset1:60
	v_fmac_f32_e32 v107, v7, v103
	s_waitcnt vmcnt(25) lgkmcnt(1)
	v_mul_f32_e32 v7, v96, v104
	v_mul_f32_e32 v103, v97, v104
	s_waitcnt vmcnt(24)
	v_mul_f32_e32 v104, v98, v108
	v_mul_f32_e32 v106, v99, v108
	v_fmac_f32_e32 v7, v97, v102
	v_fma_f32 v102, v96, v102, -v103
	s_waitcnt vmcnt(20)
	v_fmac_f32_e32 v104, v99, v117
	v_fma_f32 v103, v98, v117, -v106
	ds_read2_b64 v[96:99], v1 offset0:61 offset1:62
	s_waitcnt vmcnt(19) lgkmcnt(1)
	v_mul_f32_e32 v106, v2, v115
	v_mul_f32_e32 v108, v3, v115
	s_waitcnt vmcnt(18)
	v_mul_f32_e32 v115, v4, v114
	v_mul_f32_e32 v114, v5, v114
	v_fmac_f32_e32 v106, v3, v113
	v_fma_f32 v108, v2, v113, -v108
	v_fmac_f32_e32 v115, v5, v111
	v_fma_f32 v111, v4, v111, -v114
	ds_read2_b64 v[2:5], v1 offset0:63 offset1:64
	s_waitcnt vmcnt(17) lgkmcnt(1)
	v_mul_f32_e32 v113, v96, v112
	v_mul_f32_e32 v112, v97, v112
	s_waitcnt vmcnt(16)
	v_mul_f32_e32 v114, v98, v116
	v_mul_f32_e32 v116, v99, v116
	v_fmac_f32_e32 v113, v97, v110
	v_fma_f32 v110, v96, v110, -v112
	s_waitcnt vmcnt(12)
	v_fmac_f32_e32 v114, v99, v125
	v_fma_f32 v112, v98, v125, -v116
	ds_read2_b64 v[96:99], v1 offset0:65 offset1:66
	buffer_load_dword v125, off, s[0:3], 0 offset:204
	s_waitcnt vmcnt(12) lgkmcnt(1)
	v_mul_f32_e32 v116, v2, v123
	v_mul_f32_e32 v117, v3, v123
	s_waitcnt vmcnt(11)
	v_mul_f32_e32 v123, v4, v122
	v_mul_f32_e32 v122, v5, v122
	v_fmac_f32_e32 v116, v3, v121
	v_fma_f32 v117, v2, v121, -v117
	v_fmac_f32_e32 v123, v5, v119
	v_fma_f32 v119, v4, v119, -v122
	ds_read2_b64 v[2:5], v1 offset0:67 offset1:68
	s_waitcnt vmcnt(10) lgkmcnt(1)
	v_mul_f32_e32 v121, v96, v120
	v_mul_f32_e32 v120, v97, v120
	s_waitcnt vmcnt(9)
	v_mul_f32_e32 v122, v98, v124
	v_mul_f32_e32 v124, v99, v124
	v_fmac_f32_e32 v121, v97, v118
	v_fma_f32 v118, v96, v118, -v120
	s_waitcnt vmcnt(5)
	v_fmac_f32_e32 v122, v99, v139
	v_fma_f32 v120, v98, v139, -v124
	ds_read2_b64 v[96:99], v1 offset0:69 offset1:70
	s_waitcnt vmcnt(4) lgkmcnt(1)
	v_mul_f32_e32 v124, v2, v140
	v_mul_f32_e32 v130, v3, v140
	s_waitcnt vmcnt(3)
	v_mul_f32_e32 v131, v4, v141
	v_mul_f32_e32 v132, v5, v141
	v_fmac_f32_e32 v124, v3, v138
	v_fma_f32 v130, v2, v138, -v130
	v_fmac_f32_e32 v131, v5, v137
	v_fma_f32 v132, v4, v137, -v132
	s_clause 0x5
	buffer_load_dword v137, off, s[0:3], 0 offset:232
	buffer_load_dword v138, off, s[0:3], 0 offset:224
	;; [unrolled: 1-line block ×6, first 2 shown]
	v_add_f32_e32 v3, 0, v142
	buffer_load_dword v142, off, s[0:3], 0 offset:236
	v_add_f32_e32 v4, 0, v145
	v_add_f32_e32 v3, v3, v143
	;; [unrolled: 1-line block ×11, first 2 shown]
	s_waitcnt vmcnt(8) lgkmcnt(0)
	v_mul_f32_e32 v126, v98, v133
	s_waitcnt vmcnt(7)
	v_mul_f32_e32 v143, v96, v125
	v_mul_f32_e32 v5, v97, v125
	buffer_load_dword v125, off, s[0:3], 0 offset:244
	v_fmac_f32_e32 v143, v97, v136
	v_fma_f32 v135, v96, v136, -v5
	s_clause 0x6
	buffer_load_dword v136, off, s[0:3], 0 offset:264
	buffer_load_dword v145, off, s[0:3], 0 offset:256
	buffer_load_dword v146, off, s[0:3], 0 offset:248
	buffer_load_dword v147, off, s[0:3], 0 offset:240
	buffer_load_dword v134, off, s[0:3], 0 offset:252
	buffer_load_dword v127, off, s[0:3], 0 offset:268
	buffer_load_dword v149, off, s[0:3], 0 offset:276
	v_mul_f32_e32 v5, v99, v133
	buffer_load_dword v133, off, s[0:3], 0 offset:260
	s_waitcnt vmcnt(12)
	v_fmac_f32_e32 v126, v99, v2
	v_fma_f32 v148, v98, v2, -v5
	v_add_f32_e32 v2, v3, v128
	v_add_f32_e32 v3, v4, v101
	s_clause 0x2
	buffer_load_dword v128, off, s[0:3], 0 offset:284
	buffer_load_dword v150, off, s[0:3], 0 offset:292
	;; [unrolled: 1-line block ×3, first 2 shown]
	v_add_f32_e32 v2, v2, v8
	v_add_f32_e32 v3, v3, v109
	s_clause 0x3
	buffer_load_dword v8, off, s[0:3], 0 offset:308
	buffer_load_dword v152, off, s[0:3], 0 offset:316
	;; [unrolled: 1-line block ×4, first 2 shown]
	v_add_f32_e32 v2, v2, v129
	v_add_f32_e32 v3, v3, v105
	buffer_load_dword v129, off, s[0:3], 0 offset:340
	v_add_f32_e32 v2, v2, v107
	v_add_f32_e32 v3, v3, v6
	s_clause 0x3
	buffer_load_dword v6, off, s[0:3], 0 offset:296
	buffer_load_dword v155, off, s[0:3], 0 offset:288
	;; [unrolled: 1-line block ×4, first 2 shown]
	v_add_f32_e32 v2, v2, v7
	s_clause 0x5
	buffer_load_dword v7, off, s[0:3], 0 offset:328
	buffer_load_dword v158, off, s[0:3], 0 offset:320
	;; [unrolled: 1-line block ×6, first 2 shown]
	v_add_f32_e32 v3, v3, v102
	v_add_f32_e32 v2, v2, v104
	;; [unrolled: 1-line block ×9, first 2 shown]
	ds_read2_b64 v[2:5], v1 offset0:71 offset1:72
	v_add_f32_e32 v96, v96, v114
	v_add_f32_e32 v97, v97, v112
	;; [unrolled: 1-line block ×4, first 2 shown]
	ds_read2_b64 v[96:99], v1 offset0:73 offset1:74
	v_add_f32_e32 v100, v100, v123
	v_add_f32_e32 v101, v101, v119
	;; [unrolled: 1-line block ×4, first 2 shown]
	s_waitcnt vmcnt(29) lgkmcnt(1)
	v_mul_f32_e32 v112, v2, v140
	v_mul_f32_e32 v102, v3, v140
	s_waitcnt vmcnt(28)
	v_mul_f32_e32 v116, v4, v141
	v_mul_f32_e32 v103, v5, v141
	v_add_f32_e32 v105, v100, v122
	v_fmac_f32_e32 v112, v3, v139
	v_fma_f32 v117, v2, v139, -v102
	v_fmac_f32_e32 v116, v5, v138
	v_fma_f32 v119, v4, v138, -v103
	ds_read2_b64 v[2:5], v1 offset0:75 offset1:76
	ds_read2_b64 v[100:103], v1 offset0:77 offset1:78
	v_add_f32_e32 v104, v104, v120
	s_waitcnt vmcnt(27) lgkmcnt(2)
	v_mul_f32_e32 v118, v96, v142
	v_add_f32_e32 v105, v105, v124
	v_mul_f32_e32 v106, v97, v142
	v_add_f32_e32 v104, v104, v130
	v_fmac_f32_e32 v118, v97, v137
	v_add_f32_e32 v97, v105, v131
	v_fma_f32 v121, v96, v137, -v106
	v_add_f32_e32 v108, v104, v132
	v_add_f32_e32 v109, v97, v143
	v_add_f32_e32 v113, v108, v135
	v_add_f32_e32 v115, v109, v126
	v_add_f32_e32 v124, v113, v148
	s_waitcnt vmcnt(26)
	v_mul_f32_e32 v120, v98, v125
	v_mul_f32_e32 v107, v99, v125
	s_waitcnt vmcnt(22)
	v_fmac_f32_e32 v120, v99, v147
	s_waitcnt vmcnt(21) lgkmcnt(1)
	v_mul_f32_e32 v123, v2, v134
	v_mul_f32_e32 v114, v3, v134
	v_fma_f32 v122, v98, v147, -v107
	ds_read2_b64 v[96:99], v1 offset0:79 offset1:80
	ds_read2_b64 v[104:107], v1 offset0:81 offset1:82
	;; [unrolled: 1-line block ×3, first 2 shown]
	v_fmac_f32_e32 v123, v3, v146
	v_fma_f32 v2, v2, v146, -v114
	v_add_f32_e32 v3, v115, v112
	ds_read2_b64 v[112:115], v1 offset0:85 offset1:86
	v_add_f32_e32 v1, v124, v117
	s_waitcnt vmcnt(18)
	v_mul_f32_e32 v124, v5, v133
	v_mul_f32_e32 v117, v4, v133
	v_add_f32_e32 v3, v3, v116
	s_waitcnt lgkmcnt(4)
	v_mul_f32_e32 v125, v101, v127
	v_add_f32_e32 v1, v1, v119
	v_fma_f32 v4, v4, v145, -v124
	v_mul_f32_e32 v116, v100, v127
	v_add_f32_e32 v3, v3, v118
	v_fmac_f32_e32 v117, v5, v145
	v_add_f32_e32 v1, v1, v121
	v_fma_f32 v100, v100, v136, -v125
	v_mul_f32_e32 v119, v102, v149
	v_add_f32_e32 v3, v3, v120
	v_mul_f32_e32 v120, v103, v149
	v_add_f32_e32 v1, v1, v122
	v_fmac_f32_e32 v116, v101, v136
	v_add_f32_e32 v1, v1, v2
	v_add_f32_e32 v2, v3, v123
	;; [unrolled: 1-line block ×4, first 2 shown]
	s_waitcnt vmcnt(17) lgkmcnt(3)
	v_mul_f32_e32 v4, v97, v128
	v_mul_f32_e32 v5, v96, v128
	v_add_f32_e32 v1, v1, v100
	v_add_f32_e32 v2, v2, v116
	s_waitcnt vmcnt(16)
	v_mul_f32_e32 v100, v99, v150
	v_mul_f32_e32 v124, v98, v150
	s_waitcnt vmcnt(15) lgkmcnt(2)
	v_mul_f32_e32 v118, v104, v151
	s_waitcnt vmcnt(14)
	v_mul_f32_e32 v121, v106, v8
	s_waitcnt vmcnt(13) lgkmcnt(1)
	v_mul_f32_e32 v126, v108, v152
	s_waitcnt vmcnt(12)
	;; [unrolled: 4-line block ×3, first 2 shown]
	v_mul_f32_e32 v3, v114, v129
	s_waitcnt vmcnt(9)
	v_fmac_f32_e32 v118, v105, v6
	s_waitcnt vmcnt(8)
	v_fmac_f32_e32 v124, v99, v155
	s_waitcnt vmcnt(7)
	v_fma_f32 v4, v96, v156, -v4
	s_waitcnt vmcnt(6)
	v_fma_f32 v101, v102, v157, -v120
	v_fmac_f32_e32 v119, v103, v157
	v_fmac_f32_e32 v5, v97, v156
	v_mul_f32_e32 v96, v105, v151
	v_fma_f32 v97, v98, v155, -v100
	v_add_f32_e32 v1, v1, v101
	v_add_f32_e32 v2, v2, v119
	s_waitcnt vmcnt(2)
	v_fmac_f32_e32 v121, v107, v160
	v_fmac_f32_e32 v126, v109, v159
	;; [unrolled: 1-line block ×3, first 2 shown]
	v_add_f32_e32 v1, v1, v4
	v_add_f32_e32 v2, v2, v5
	v_mul_f32_e32 v4, v107, v8
	v_fma_f32 v5, v104, v6, -v96
	v_mul_f32_e32 v6, v109, v152
	v_add_f32_e32 v1, v1, v97
	v_add_f32_e32 v2, v2, v124
	v_fma_f32 v4, v106, v160, -v4
	v_fmac_f32_e32 v127, v113, v7
	v_fma_f32 v6, v108, v159, -v6
	v_add_f32_e32 v1, v1, v5
	v_add_f32_e32 v2, v2, v118
	v_mul_f32_e32 v5, v111, v153
	s_waitcnt vmcnt(1)
	v_fmac_f32_e32 v3, v115, v161
	v_add_f32_e32 v1, v1, v4
	v_add_f32_e32 v2, v2, v121
	v_mul_f32_e32 v4, v113, v154
	v_fma_f32 v5, v110, v158, -v5
	v_add_f32_e32 v1, v1, v6
	v_add_f32_e32 v2, v2, v126
	v_mul_f32_e32 v6, v115, v129
	v_fma_f32 v4, v112, v7, -v4
	v_add_f32_e32 v1, v1, v5
	v_add_f32_e32 v2, v2, v122
	v_fma_f32 v5, v114, v161, -v6
	v_add_f32_e32 v1, v1, v4
	v_add_f32_e32 v2, v2, v127
	;; [unrolled: 1-line block ×4, first 2 shown]
	s_waitcnt vmcnt(0)
	v_sub_f32_e32 v1, v162, v1
	v_sub_f32_e32 v2, v144, v2
	buffer_store_dword v1, off, s[0:3], 0 offset:16
	buffer_store_dword v2, off, s[0:3], 0 offset:20
	v_cmpx_lt_u32_e32 1, v0
	s_cbranch_execz .LBB106_269
; %bb.268:
	s_clause 0x1
	buffer_load_dword v1, off, s[0:3], 0 offset:8
	buffer_load_dword v2, off, s[0:3], 0 offset:12
	v_mov_b32_e32 v3, 0
	buffer_store_dword v3, off, s[0:3], 0 offset:8
	buffer_store_dword v3, off, s[0:3], 0 offset:12
	s_waitcnt vmcnt(0)
	ds_write_b64 v95, v[1:2]
.LBB106_269:
	s_or_b32 exec_lo, exec_lo, s4
	s_waitcnt lgkmcnt(0)
	s_waitcnt_vscnt null, 0x0
	s_barrier
	buffer_gl0_inv
	s_clause 0x24
	buffer_load_dword v2, off, s[0:3], 0 offset:20
	buffer_load_dword v3, off, s[0:3], 0 offset:28
	;; [unrolled: 1-line block ×37, first 2 shown]
	v_mov_b32_e32 v1, 0
	ds_read_b128 v[104:107], v1 offset:368
	ds_read_b128 v[108:111], v1 offset:384
	;; [unrolled: 1-line block ×3, first 2 shown]
	s_clause 0x1
	buffer_load_dword v142, off, s[0:3], 0 offset:164
	buffer_load_dword v143, off, s[0:3], 0 offset:12
	ds_read_b128 v[116:119], v1 offset:416
	s_mov_b32 s4, exec_lo
	s_waitcnt vmcnt(38) lgkmcnt(3)
	v_mul_f32_e32 v144, v105, v2
	v_mul_f32_e32 v2, v104, v2
	s_waitcnt vmcnt(37)
	v_mul_f32_e32 v145, v106, v3
	v_mul_f32_e32 v3, v107, v3
	s_waitcnt vmcnt(34)
	v_fma_f32 v144, v104, v122, -v144
	v_fmac_f32_e32 v2, v105, v122
	v_fmac_f32_e32 v145, v107, v121
	v_fma_f32 v3, v106, v121, -v3
	ds_read_b128 v[104:107], v1 offset:432
	s_waitcnt vmcnt(33) lgkmcnt(3)
	v_mul_f32_e32 v121, v108, v123
	v_mul_f32_e32 v122, v109, v123
	s_waitcnt vmcnt(32)
	v_mul_f32_e32 v123, v110, v124
	v_mul_f32_e32 v124, v111, v124
	s_waitcnt vmcnt(31) lgkmcnt(2)
	v_mul_f32_e32 v146, v112, v125
	v_fmac_f32_e32 v121, v109, v120
	v_fma_f32 v120, v108, v120, -v122
	s_waitcnt vmcnt(26)
	v_fmac_f32_e32 v123, v111, v130
	v_fma_f32 v124, v110, v130, -v124
	ds_read_b128 v[108:111], v1 offset:448
	v_mul_f32_e32 v125, v113, v125
	v_mul_f32_e32 v122, v114, v126
	;; [unrolled: 1-line block ×3, first 2 shown]
	v_fmac_f32_e32 v146, v113, v129
	s_waitcnt vmcnt(24) lgkmcnt(2)
	v_mul_f32_e32 v130, v118, v132
	v_fma_f32 v125, v112, v129, -v125
	v_fmac_f32_e32 v122, v115, v128
	v_fma_f32 v126, v114, v128, -v126
	v_mul_f32_e32 v128, v116, v131
	v_mul_f32_e32 v129, v117, v131
	;; [unrolled: 1-line block ×3, first 2 shown]
	ds_read_b128 v[112:115], v1 offset:464
	s_waitcnt vmcnt(19)
	v_fmac_f32_e32 v130, v119, v135
	v_fmac_f32_e32 v128, v117, v127
	v_fma_f32 v116, v116, v127, -v129
	v_fma_f32 v117, v118, v135, -v131
	s_clause 0x4
	buffer_load_dword v118, off, s[0:3], 0 offset:172
	buffer_load_dword v119, off, s[0:3], 0 offset:192
	buffer_load_dword v127, off, s[0:3], 0 offset:184
	buffer_load_dword v129, off, s[0:3], 0 offset:176
	buffer_load_dword v131, off, s[0:3], 0 offset:168
	s_waitcnt lgkmcnt(2)
	v_mul_f32_e32 v132, v104, v133
	v_mul_f32_e32 v133, v105, v133
	s_waitcnt vmcnt(23)
	v_mul_f32_e32 v135, v106, v136
	v_mul_f32_e32 v136, v107, v136
	s_waitcnt vmcnt(21) lgkmcnt(1)
	v_mul_f32_e32 v147, v110, v138
	v_fmac_f32_e32 v132, v105, v134
	v_fma_f32 v133, v104, v134, -v133
	v_mul_f32_e32 v134, v108, v137
	v_mul_f32_e32 v104, v109, v137
	buffer_load_dword v137, off, s[0:3], 0 offset:180
	v_fmac_f32_e32 v135, v107, v101
	v_fma_f32 v136, v106, v101, -v136
	v_mul_f32_e32 v101, v111, v138
	v_fmac_f32_e32 v134, v109, v8
	v_fma_f32 v8, v108, v8, -v104
	ds_read_b128 v[104:107], v1 offset:480
	s_waitcnt vmcnt(18)
	v_fmac_f32_e32 v147, v111, v139
	v_fma_f32 v138, v110, v139, -v101
	ds_read_b128 v[108:111], v1 offset:496
	s_waitcnt vmcnt(17) lgkmcnt(2)
	v_mul_f32_e32 v139, v112, v140
	v_mul_f32_e32 v101, v113, v140
	s_waitcnt vmcnt(16)
	v_mul_f32_e32 v140, v114, v141
	v_mul_f32_e32 v141, v115, v141
	v_add_f32_e32 v2, 0, v2
	v_fmac_f32_e32 v139, v113, v102
	v_fma_f32 v112, v112, v102, -v101
	v_fmac_f32_e32 v140, v115, v96
	v_fma_f32 v113, v114, v96, -v141
	s_clause 0x2
	buffer_load_dword v114, off, s[0:3], 0 offset:188
	buffer_load_dword v115, off, s[0:3], 0 offset:196
	buffer_load_dword v149, off, s[0:3], 0 offset:204
	s_waitcnt vmcnt(18) lgkmcnt(1)
	v_mul_f32_e32 v141, v104, v98
	v_mul_f32_e32 v96, v105, v98
	s_waitcnt vmcnt(17)
	v_mul_f32_e32 v148, v106, v97
	v_mul_f32_e32 v97, v107, v97
	v_fmac_f32_e32 v141, v105, v5
	v_fma_f32 v105, v104, v5, -v96
	s_waitcnt vmcnt(13)
	v_fmac_f32_e32 v148, v107, v103
	s_waitcnt vmcnt(12) lgkmcnt(0)
	v_mul_f32_e32 v107, v108, v100
	v_mul_f32_e32 v5, v109, v100
	s_waitcnt vmcnt(11)
	v_mul_f32_e32 v100, v110, v99
	v_mul_f32_e32 v96, v111, v99
	v_fma_f32 v106, v106, v103, -v97
	ds_read_b128 v[101:104], v1 offset:512
	v_fmac_f32_e32 v107, v109, v7
	v_fma_f32 v7, v108, v7, -v5
	v_fmac_f32_e32 v100, v111, v6
	v_fma_f32 v6, v110, v6, -v96
	s_clause 0x4
	buffer_load_dword v108, off, s[0:3], 0 offset:224
	buffer_load_dword v109, off, s[0:3], 0 offset:216
	;; [unrolled: 1-line block ×5, first 2 shown]
	v_add_f32_e32 v5, 0, v144
	v_add_f32_e32 v3, v5, v3
	;; [unrolled: 1-line block ×3, first 2 shown]
	s_waitcnt vmcnt(15) lgkmcnt(0)
	v_mul_f32_e32 v144, v101, v142
	v_mul_f32_e32 v96, v102, v142
	v_add_f32_e32 v97, v97, v124
	v_fmac_f32_e32 v144, v102, v4
	buffer_load_dword v102, off, s[0:3], 0 offset:220
	v_fma_f32 v101, v101, v4, -v96
	v_add_f32_e32 v96, v2, v145
	ds_read_b128 v[2:5], v1 offset:528
	v_add_f32_e32 v97, v97, v125
	v_add_f32_e32 v96, v96, v121
	buffer_load_dword v121, off, s[0:3], 0 offset:236
	v_add_f32_e32 v96, v96, v123
	v_add_f32_e32 v123, v97, v126
	;; [unrolled: 1-line block ×3, first 2 shown]
	s_waitcnt vmcnt(15)
	v_mul_f32_e32 v120, v103, v118
	v_mul_f32_e32 v98, v104, v118
	buffer_load_dword v118, off, s[0:3], 0 offset:228
	s_waitcnt vmcnt(12)
	v_fmac_f32_e32 v120, v104, v131
	v_add_f32_e32 v104, v96, v146
	v_fma_f32 v103, v103, v131, -v98
	ds_read_b128 v[96:99], v1 offset:544
	v_add_f32_e32 v104, v104, v122
	s_clause 0x3
	buffer_load_dword v122, off, s[0:3], 0 offset:256
	buffer_load_dword v123, off, s[0:3], 0 offset:248
	;; [unrolled: 1-line block ×4, first 2 shown]
	s_waitcnt vmcnt(15) lgkmcnt(1)
	v_mul_f32_e32 v124, v2, v137
	v_mul_f32_e32 v125, v3, v137
	v_fmac_f32_e32 v124, v3, v129
	v_fma_f32 v125, v2, v129, -v125
	v_add_f32_e32 v2, v104, v128
	s_clause 0x1
	buffer_load_dword v128, off, s[0:3], 0 offset:244
	buffer_load_dword v129, off, s[0:3], 0 offset:252
	v_add_f32_e32 v3, v116, v117
	buffer_load_dword v116, off, s[0:3], 0 offset:260
	v_add_f32_e32 v2, v2, v130
	v_add_f32_e32 v3, v3, v133
	;; [unrolled: 1-line block ×3, first 2 shown]
	s_waitcnt vmcnt(17)
	v_mul_f32_e32 v104, v4, v114
	v_add_f32_e32 v136, v3, v136
	v_mul_f32_e32 v114, v5, v114
	v_add_f32_e32 v117, v117, v135
	s_waitcnt vmcnt(16) lgkmcnt(0)
	v_mul_f32_e32 v135, v96, v115
	v_add_f32_e32 v8, v136, v8
	v_mul_f32_e32 v115, v97, v115
	v_fmac_f32_e32 v104, v5, v127
	v_add_f32_e32 v117, v117, v134
	v_fma_f32 v114, v4, v127, -v114
	s_clause 0x3
	buffer_load_dword v127, off, s[0:3], 0 offset:268
	buffer_load_dword v130, off, s[0:3], 0 offset:276
	;; [unrolled: 1-line block ×4, first 2 shown]
	ds_read_b128 v[2:5], v1 offset:560
	v_add_f32_e32 v8, v8, v138
	s_waitcnt vmcnt(19)
	v_mul_f32_e32 v136, v98, v149
	v_mul_f32_e32 v134, v99, v149
	v_fma_f32 v115, v96, v119, -v115
	v_add_f32_e32 v96, v117, v147
	v_add_f32_e32 v8, v8, v112
	v_fmac_f32_e32 v135, v97, v119
	s_clause 0x3
	buffer_load_dword v117, off, s[0:3], 0 offset:300
	buffer_load_dword v119, off, s[0:3], 0 offset:308
	;; [unrolled: 1-line block ×4, first 2 shown]
	v_add_f32_e32 v96, v96, v139
	v_add_f32_e32 v8, v8, v113
	s_waitcnt vmcnt(19)
	v_fmac_f32_e32 v136, v99, v111
	v_fma_f32 v111, v98, v111, -v134
	s_clause 0x5
	buffer_load_dword v134, off, s[0:3], 0 offset:332
	buffer_load_dword v112, off, s[0:3], 0 offset:288
	;; [unrolled: 1-line block ×6, first 2 shown]
	v_add_f32_e32 v113, v96, v140
	v_add_f32_e32 v8, v8, v105
	ds_read_b128 v[96:99], v1 offset:576
	s_waitcnt vmcnt(24) lgkmcnt(1)
	v_mul_f32_e32 v140, v3, v150
	v_add_f32_e32 v105, v113, v141
	v_mul_f32_e32 v113, v2, v150
	v_add_f32_e32 v8, v8, v106
	v_fmac_f32_e32 v113, v3, v110
	v_fma_f32 v110, v2, v110, -v140
	v_add_f32_e32 v3, v8, v7
	s_clause 0x3
	buffer_load_dword v8, off, s[0:3], 0 offset:320
	buffer_load_dword v140, off, s[0:3], 0 offset:312
	;; [unrolled: 1-line block ×4, first 2 shown]
	v_add_f32_e32 v2, v105, v148
	s_clause 0x2
	buffer_load_dword v148, off, s[0:3], 0 offset:336
	buffer_load_dword v149, off, s[0:3], 0 offset:328
	;; [unrolled: 1-line block ×3, first 2 shown]
	v_add_f32_e32 v3, v3, v6
	s_waitcnt vmcnt(30)
	v_mul_f32_e32 v151, v4, v102
	v_add_f32_e32 v2, v2, v107
	v_add_f32_e32 v6, v3, v101
	v_mul_f32_e32 v3, v5, v102
	v_add_f32_e32 v2, v2, v100
	v_fmac_f32_e32 v151, v5, v109
	s_waitcnt vmcnt(29) lgkmcnt(0)
	v_mul_f32_e32 v106, v99, v121
	v_add_f32_e32 v6, v6, v103
	ds_read_b128 v[100:103], v1 offset:608
	v_add_f32_e32 v7, v2, v144
	v_fma_f32 v144, v4, v109, -v3
	ds_read_b128 v[2:5], v1 offset:592
	v_add_f32_e32 v6, v6, v125
	v_add_f32_e32 v7, v7, v120
	;; [unrolled: 1-line block ×9, first 2 shown]
	s_waitcnt vmcnt(28)
	v_mul_f32_e32 v120, v96, v118
	v_mul_f32_e32 v105, v97, v118
	;; [unrolled: 1-line block ×3, first 2 shown]
	v_fmac_f32_e32 v120, v97, v108
	v_fma_f32 v121, v96, v108, -v105
	s_waitcnt vmcnt(24)
	v_fma_f32 v114, v98, v131, -v106
	v_fmac_f32_e32 v118, v99, v131
	ds_read_b128 v[96:99], v1 offset:624
	ds_read_b128 v[104:107], v1 offset:640
	s_waitcnt vmcnt(23) lgkmcnt(2)
	v_mul_f32_e32 v115, v2, v128
	v_mul_f32_e32 v108, v3, v128
	s_waitcnt vmcnt(22)
	v_mul_f32_e32 v124, v4, v129
	v_mul_f32_e32 v125, v5, v129
	s_waitcnt vmcnt(21)
	v_mul_f32_e32 v128, v100, v116
	v_fmac_f32_e32 v115, v3, v126
	v_fma_f32 v126, v2, v126, -v108
	v_add_f32_e32 v2, v7, v136
	v_fmac_f32_e32 v124, v5, v123
	v_fma_f32 v123, v4, v123, -v125
	v_add_f32_e32 v125, v6, v144
	v_mul_f32_e32 v116, v101, v116
	v_add_f32_e32 v113, v2, v113
	v_fmac_f32_e32 v128, v101, v122
	ds_read_b128 v[108:111], v1 offset:656
	ds_read_b128 v[2:5], v1 offset:672
	v_add_f32_e32 v121, v125, v121
	v_add_f32_e32 v113, v113, v151
	v_fma_f32 v100, v100, v122, -v116
	s_waitcnt vmcnt(20)
	v_mul_f32_e32 v125, v103, v127
	v_mul_f32_e32 v129, v102, v127
	v_add_f32_e32 v114, v121, v114
	v_add_f32_e32 v113, v113, v120
	s_waitcnt vmcnt(19) lgkmcnt(3)
	v_mul_f32_e32 v120, v96, v130
	v_mul_f32_e32 v122, v97, v130
	s_waitcnt vmcnt(18)
	v_mul_f32_e32 v121, v98, v132
	v_add_f32_e32 v114, v114, v126
	v_add_f32_e32 v113, v113, v118
	s_waitcnt vmcnt(17) lgkmcnt(2)
	v_mul_f32_e32 v127, v104, v133
	s_waitcnt vmcnt(16)
	v_mul_f32_e32 v118, v106, v117
	ds_read_b64 v[6:7], v1 offset:688
	v_add_f32_e32 v114, v114, v123
	v_add_f32_e32 v113, v113, v115
	s_waitcnt vmcnt(15) lgkmcnt(2)
	v_mul_f32_e32 v126, v108, v119
	s_waitcnt vmcnt(11)
	v_fmac_f32_e32 v127, v105, v112
	v_add_f32_e32 v100, v114, v100
	v_add_f32_e32 v113, v113, v124
	s_waitcnt vmcnt(8)
	v_fma_f32 v102, v102, v145, -v125
	v_fmac_f32_e32 v129, v103, v145
	v_fmac_f32_e32 v120, v97, v142
	v_fma_f32 v96, v96, v142, -v122
	v_add_f32_e32 v103, v113, v128
	v_mul_f32_e32 v113, v99, v132
	v_add_f32_e32 v97, v100, v102
	v_mul_f32_e32 v102, v105, v133
	v_fmac_f32_e32 v121, v99, v139
	v_add_f32_e32 v100, v103, v129
	v_fma_f32 v98, v98, v139, -v113
	v_add_f32_e32 v96, v97, v96
	v_mul_f32_e32 v99, v107, v117
	v_mul_f32_e32 v101, v110, v137
	v_add_f32_e32 v97, v100, v120
	v_fma_f32 v100, v104, v112, -v102
	v_add_f32_e32 v96, v96, v98
	v_mul_f32_e32 v98, v109, v119
	s_waitcnt vmcnt(3)
	v_fma_f32 v99, v106, v147, -v99
	v_add_f32_e32 v97, v97, v121
	v_fmac_f32_e32 v118, v107, v147
	v_add_f32_e32 v96, v96, v100
	v_mul_f32_e32 v100, v111, v137
	v_fma_f32 v98, v108, v141, -v98
	v_add_f32_e32 v97, v97, v127
	v_fmac_f32_e32 v126, v109, v141
	v_add_f32_e32 v96, v96, v99
	s_waitcnt lgkmcnt(1)
	v_mul_f32_e32 v115, v2, v138
	v_mul_f32_e32 v99, v3, v138
	v_add_f32_e32 v97, v97, v118
	v_fma_f32 v100, v110, v140, -v100
	v_add_f32_e32 v96, v96, v98
	v_fmac_f32_e32 v101, v111, v140
	v_mul_f32_e32 v98, v5, v134
	v_add_f32_e32 v97, v97, v126
	v_fmac_f32_e32 v115, v3, v8
	v_fma_f32 v2, v2, v8, -v99
	v_add_f32_e32 v3, v96, v100
	v_mul_f32_e32 v116, v4, v134
	v_add_f32_e32 v8, v97, v101
	s_waitcnt lgkmcnt(0)
	v_mul_f32_e32 v96, v7, v146
	s_waitcnt vmcnt(1)
	v_fma_f32 v4, v4, v149, -v98
	v_add_f32_e32 v2, v3, v2
	v_mul_f32_e32 v123, v6, v146
	v_fmac_f32_e32 v116, v5, v149
	v_add_f32_e32 v3, v8, v115
	v_fma_f32 v5, v6, v148, -v96
	v_add_f32_e32 v2, v2, v4
	v_fmac_f32_e32 v123, v7, v148
	v_add_f32_e32 v3, v3, v116
	v_add_f32_e32 v2, v2, v5
	;; [unrolled: 1-line block ×3, first 2 shown]
	s_waitcnt vmcnt(0)
	v_sub_f32_e32 v2, v150, v2
	v_sub_f32_e32 v3, v143, v3
	buffer_store_dword v2, off, s[0:3], 0 offset:8
	buffer_store_dword v3, off, s[0:3], 0 offset:12
	v_cmpx_ne_u32_e32 0, v0
	s_cbranch_execz .LBB106_271
; %bb.270:
	s_clause 0x1
	buffer_load_dword v2, off, s[0:3], 0
	buffer_load_dword v3, off, s[0:3], 0 offset:4
	buffer_store_dword v1, off, s[0:3], 0
	buffer_store_dword v1, off, s[0:3], 0 offset:4
	s_waitcnt vmcnt(0)
	ds_write_b64 v95, v[2:3]
.LBB106_271:
	s_or_b32 exec_lo, exec_lo, s4
	s_waitcnt lgkmcnt(0)
	s_waitcnt_vscnt null, 0x0
	s_barrier
	buffer_gl0_inv
	s_clause 0x24
	buffer_load_dword v0, off, s[0:3], 0 offset:12
	buffer_load_dword v2, off, s[0:3], 0 offset:20
	;; [unrolled: 1-line block ×37, first 2 shown]
	ds_read2_b64 v[105:108], v1 offset0:45 offset1:46
	ds_read2_b64 v[109:112], v1 offset0:47 offset1:48
	;; [unrolled: 1-line block ×4, first 2 shown]
	s_clause 0x1
	buffer_load_dword v140, off, s[0:3], 0 offset:156
	buffer_load_dword v141, off, s[0:3], 0 offset:4
	s_and_b32 vcc_lo, exec_lo, s16
	s_waitcnt vmcnt(38) lgkmcnt(3)
	v_mul_f32_e32 v142, v106, v0
	v_mul_f32_e32 v0, v105, v0
	s_waitcnt vmcnt(37)
	v_mul_f32_e32 v143, v107, v2
	v_mul_f32_e32 v2, v108, v2
	s_waitcnt vmcnt(36) lgkmcnt(2)
	v_mul_f32_e32 v144, v109, v121
	v_mul_f32_e32 v121, v110, v121
	s_waitcnt vmcnt(35)
	v_mul_f32_e32 v145, v111, v122
	v_mul_f32_e32 v122, v112, v122
	s_waitcnt vmcnt(32)
	v_fma_f32 v142, v105, v125, -v142
	v_fmac_f32_e32 v0, v106, v125
	s_waitcnt vmcnt(31) lgkmcnt(1)
	v_mul_f32_e32 v125, v113, v126
	v_mul_f32_e32 v126, v114, v126
	v_fmac_f32_e32 v143, v108, v124
	v_fma_f32 v2, v107, v124, -v2
	s_waitcnt vmcnt(30)
	v_mul_f32_e32 v124, v115, v127
	v_mul_f32_e32 v127, v116, v127
	v_fmac_f32_e32 v144, v110, v123
	v_fma_f32 v121, v109, v123, -v121
	s_waitcnt vmcnt(26)
	v_fmac_f32_e32 v145, v112, v130
	v_fma_f32 v122, v111, v130, -v122
	ds_read2_b64 v[105:108], v1 offset0:53 offset1:54
	ds_read2_b64 v[109:112], v1 offset0:55 offset1:56
	v_fmac_f32_e32 v125, v114, v129
	v_fma_f32 v123, v113, v129, -v126
	v_fmac_f32_e32 v124, v116, v128
	v_fma_f32 v126, v115, v128, -v127
	s_clause 0x4
	buffer_load_dword v127, off, s[0:3], 0 offset:164
	buffer_load_dword v128, off, s[0:3], 0 offset:184
	;; [unrolled: 1-line block ×5, first 2 shown]
	s_waitcnt vmcnt(30) lgkmcnt(2)
	v_mul_f32_e32 v147, v117, v131
	v_mul_f32_e32 v113, v118, v131
	s_waitcnt vmcnt(29)
	v_mul_f32_e32 v114, v120, v132
	v_mul_f32_e32 v131, v119, v132
	v_add_f32_e32 v0, 0, v0
	v_fmac_f32_e32 v147, v118, v98
	v_fma_f32 v117, v117, v98, -v113
	s_waitcnt vmcnt(25)
	v_fma_f32 v118, v119, v134, -v114
	ds_read2_b64 v[113:116], v1 offset0:57 offset1:58
	v_fmac_f32_e32 v131, v120, v134
	buffer_load_dword v120, off, s[0:3], 0 offset:172
	v_add_f32_e32 v0, v0, v143
	s_waitcnt vmcnt(25) lgkmcnt(2)
	v_mul_f32_e32 v119, v105, v135
	v_mul_f32_e32 v98, v106, v135
	s_waitcnt vmcnt(24)
	v_mul_f32_e32 v132, v107, v136
	v_mul_f32_e32 v134, v108, v136
	s_waitcnt vmcnt(23) lgkmcnt(1)
	v_mul_f32_e32 v135, v109, v137
	v_fmac_f32_e32 v119, v106, v133
	v_fma_f32 v133, v105, v133, -v98
	v_fmac_f32_e32 v132, v108, v97
	v_fma_f32 v134, v107, v97, -v134
	ds_read2_b64 v[105:108], v1 offset0:59 offset1:60
	v_mul_f32_e32 v98, v110, v137
	s_waitcnt vmcnt(22)
	v_mul_f32_e32 v136, v111, v102
	v_mul_f32_e32 v97, v112, v102
	v_fmac_f32_e32 v135, v110, v6
	buffer_load_dword v102, off, s[0:3], 0 offset:180
	v_fma_f32 v6, v109, v6, -v98
	s_waitcnt vmcnt(19)
	v_fmac_f32_e32 v136, v112, v138
	v_fma_f32 v137, v111, v138, -v97
	ds_read2_b64 v[109:112], v1 offset0:61 offset1:62
	s_waitcnt vmcnt(18) lgkmcnt(2)
	v_mul_f32_e32 v138, v113, v139
	v_mul_f32_e32 v97, v114, v139
	v_add_f32_e32 v0, v0, v144
	v_fmac_f32_e32 v138, v114, v100
	v_fma_f32 v100, v113, v100, -v97
	s_waitcnt vmcnt(17)
	v_mul_f32_e32 v113, v115, v103
	v_mul_f32_e32 v97, v116, v103
	buffer_load_dword v103, off, s[0:3], 0 offset:188
	s_waitcnt vmcnt(17) lgkmcnt(1)
	v_mul_f32_e32 v114, v105, v96
	v_mul_f32_e32 v96, v106, v96
	v_fmac_f32_e32 v113, v116, v8
	v_fma_f32 v8, v115, v8, -v97
	s_waitcnt vmcnt(16)
	v_mul_f32_e32 v115, v107, v95
	v_mul_f32_e32 v95, v108, v95
	v_fmac_f32_e32 v114, v106, v4
	v_fma_f32 v105, v105, v4, -v96
	v_add_f32_e32 v0, v0, v145
	s_waitcnt vmcnt(12)
	v_fmac_f32_e32 v115, v108, v104
	v_fma_f32 v104, v107, v104, -v95
	buffer_load_dword v107, off, s[0:3], 0 offset:196
	ds_read2_b64 v[95:98], v1 offset0:63 offset1:64
	s_waitcnt vmcnt(12) lgkmcnt(1)
	v_mul_f32_e32 v106, v109, v101
	v_mul_f32_e32 v4, v110, v101
	s_waitcnt vmcnt(11)
	v_mul_f32_e32 v101, v111, v99
	v_mul_f32_e32 v99, v112, v99
	v_add_f32_e32 v0, v0, v125
	v_fmac_f32_e32 v106, v110, v7
	v_fma_f32 v7, v109, v7, -v4
	v_fmac_f32_e32 v101, v112, v5
	v_fma_f32 v99, v111, v5, -v99
	s_clause 0x6
	buffer_load_dword v108, off, s[0:3], 0 offset:216
	buffer_load_dword v109, off, s[0:3], 0 offset:208
	;; [unrolled: 1-line block ×7, first 2 shown]
	v_add_f32_e32 v4, 0, v142
	buffer_load_dword v142, off, s[0:3], 0 offset:228
	v_add_f32_e32 v0, v0, v124
	v_add_f32_e32 v2, v4, v2
	;; [unrolled: 1-line block ×3, first 2 shown]
	s_waitcnt vmcnt(18) lgkmcnt(0)
	v_mul_f32_e32 v4, v96, v140
	v_mul_f32_e32 v143, v95, v140
	v_add_f32_e32 v2, v2, v121
	v_add_f32_e32 v0, v0, v131
	v_fmac_f32_e32 v143, v96, v3
	v_add_f32_e32 v0, v0, v119
	v_add_f32_e32 v0, v0, v132
	;; [unrolled: 1-line block ×11, first 2 shown]
	s_waitcnt vmcnt(16)
	v_mul_f32_e32 v121, v97, v127
	v_mul_f32_e32 v5, v98, v127
	v_fma_f32 v127, v95, v3, -v4
	v_add_f32_e32 v95, v2, v122
	s_waitcnt vmcnt(12)
	v_fmac_f32_e32 v121, v98, v146
	v_fma_f32 v122, v97, v146, -v5
	ds_read2_b64 v[2:5], v1 offset0:65 offset1:66
	v_add_f32_e32 v95, v95, v123
	s_clause 0x4
	buffer_load_dword v123, off, s[0:3], 0 offset:248
	buffer_load_dword v140, off, s[0:3], 0 offset:240
	;; [unrolled: 1-line block ×5, first 2 shown]
	v_add_f32_e32 v0, v0, v121
	v_add_f32_e32 v95, v95, v126
	s_clause 0x1
	buffer_load_dword v125, off, s[0:3], 0 offset:244
	buffer_load_dword v126, off, s[0:3], 0 offset:252
	v_add_f32_e32 v117, v95, v117
	ds_read2_b64 v[95:98], v1 offset0:67 offset1:68
	v_add_f32_e32 v117, v117, v118
	s_waitcnt vmcnt(18) lgkmcnt(1)
	v_mul_f32_e32 v118, v2, v120
	v_mul_f32_e32 v120, v3, v120
	v_fmac_f32_e32 v118, v3, v130
	v_add_f32_e32 v3, v117, v133
	s_waitcnt vmcnt(17)
	v_mul_f32_e32 v131, v4, v102
	v_mul_f32_e32 v102, v5, v102
	v_fma_f32 v117, v2, v130, -v120
	v_add_f32_e32 v0, v0, v118
	v_add_f32_e32 v2, v3, v134
	v_fmac_f32_e32 v131, v5, v129
	v_fma_f32 v102, v4, v129, -v102
	s_clause 0x7
	buffer_load_dword v119, off, s[0:3], 0 offset:260
	buffer_load_dword v120, off, s[0:3], 0 offset:268
	;; [unrolled: 1-line block ×8, first 2 shown]
	v_add_f32_e32 v2, v2, v6
	buffer_load_dword v6, off, s[0:3], 0 offset:292
	v_add_f32_e32 v0, v0, v131
	s_waitcnt vmcnt(25) lgkmcnt(0)
	v_mul_f32_e32 v3, v96, v103
	v_mul_f32_e32 v132, v95, v103
	v_add_f32_e32 v2, v2, v137
	s_clause 0x2
	buffer_load_dword v135, off, s[0:3], 0 offset:300
	buffer_load_dword v137, off, s[0:3], 0 offset:308
	;; [unrolled: 1-line block ×3, first 2 shown]
	v_fma_f32 v103, v95, v128, -v3
	v_fmac_f32_e32 v132, v96, v128
	v_add_f32_e32 v95, v2, v100
	s_clause 0x2
	buffer_load_dword v128, off, s[0:3], 0 offset:324
	buffer_load_dword v136, off, s[0:3], 0 offset:332
	;; [unrolled: 1-line block ×3, first 2 shown]
	v_add_f32_e32 v0, v0, v132
	s_waitcnt vmcnt(30)
	v_mul_f32_e32 v2, v98, v107
	v_mul_f32_e32 v149, v97, v107
	v_add_f32_e32 v8, v95, v8
	v_add_f32_e32 v8, v8, v105
	s_waitcnt vmcnt(26)
	v_fma_f32 v107, v97, v111, -v2
	ds_read2_b64 v[2:5], v1 offset0:69 offset1:70
	s_clause 0x3
	buffer_load_dword v150, off, s[0:3], 0 offset:312
	buffer_load_dword v151, off, s[0:3], 0 offset:304
	;; [unrolled: 1-line block ×4, first 2 shown]
	v_add_f32_e32 v8, v8, v104
	v_fmac_f32_e32 v149, v98, v111
	ds_read2_b64 v[95:98], v1 offset0:71 offset1:72
	v_add_f32_e32 v7, v8, v7
	v_add_f32_e32 v0, v0, v149
	s_waitcnt vmcnt(29) lgkmcnt(1)
	v_mul_f32_e32 v8, v2, v112
	v_mul_f32_e32 v100, v3, v112
	s_waitcnt vmcnt(28)
	v_mul_f32_e32 v111, v4, v116
	s_waitcnt vmcnt(27) lgkmcnt(0)
	v_mul_f32_e32 v104, v96, v139
	v_fmac_f32_e32 v8, v3, v110
	v_fma_f32 v110, v2, v110, -v100
	v_add_f32_e32 v2, v7, v99
	s_clause 0x2
	buffer_load_dword v7, off, s[0:3], 0 offset:336
	buffer_load_dword v115, off, s[0:3], 0 offset:328
	buffer_load_dword v154, off, s[0:3], 0 offset:320
	v_mul_f32_e32 v3, v5, v116
	v_fmac_f32_e32 v111, v5, v109
	v_mul_f32_e32 v116, v95, v139
	v_add_f32_e32 v2, v2, v127
	buffer_load_dword v127, off, s[0:3], 0
	v_fma_f32 v109, v4, v109, -v3
	v_fma_f32 v118, v95, v108, -v104
	v_fmac_f32_e32 v116, v96, v108
	v_add_f32_e32 v99, v2, v122
	ds_read2_b64 v[2:5], v1 offset0:73 offset1:74
	v_add_f32_e32 v0, v0, v8
	s_waitcnt vmcnt(30)
	v_mul_f32_e32 v106, v98, v142
	v_add_f32_e32 v99, v99, v117
	v_mul_f32_e32 v117, v97, v142
	v_add_f32_e32 v0, v0, v111
	v_add_f32_e32 v105, v99, v102
	ds_read2_b64 v[99:102], v1 offset0:75 offset1:76
	v_add_f32_e32 v0, v0, v116
	v_add_f32_e32 v108, v105, v103
	;; [unrolled: 1-line block ×3, first 2 shown]
	s_waitcnt vmcnt(26)
	v_fmac_f32_e32 v117, v98, v145
	s_waitcnt vmcnt(25) lgkmcnt(1)
	v_mul_f32_e32 v122, v2, v124
	v_mul_f32_e32 v112, v3, v124
	v_fma_f32 v121, v97, v145, -v106
	s_waitcnt vmcnt(24)
	v_mul_f32_e32 v124, v4, v125
	v_mul_f32_e32 v108, v5, v125
	v_fmac_f32_e32 v122, v3, v144
	v_add_f32_e32 v3, v107, v110
	ds_read2_b64 v[95:98], v1 offset0:77 offset1:78
	ds_read2_b64 v[103:106], v1 offset0:79 offset1:80
	v_fma_f32 v125, v2, v144, -v112
	v_fmac_f32_e32 v124, v5, v140
	v_fma_f32 v8, v4, v140, -v108
	v_add_f32_e32 v131, v3, v109
	ds_read2_b64 v[2:5], v1 offset0:81 offset1:82
	ds_read2_b64 v[107:110], v1 offset0:83 offset1:84
	;; [unrolled: 1-line block ×3, first 2 shown]
	v_add_f32_e32 v0, v0, v117
	v_add_f32_e32 v1, v131, v118
	s_waitcnt vmcnt(23) lgkmcnt(5)
	v_mul_f32_e32 v118, v99, v126
	v_mul_f32_e32 v126, v100, v126
	v_add_f32_e32 v0, v0, v122
	v_add_f32_e32 v1, v1, v121
	v_fmac_f32_e32 v118, v100, v123
	v_fma_f32 v99, v99, v123, -v126
	s_waitcnt vmcnt(22)
	v_mul_f32_e32 v116, v101, v119
	v_mul_f32_e32 v119, v102, v119
	v_add_f32_e32 v1, v1, v125
	v_add_f32_e32 v0, v0, v124
	s_waitcnt vmcnt(21) lgkmcnt(4)
	v_mul_f32_e32 v121, v95, v120
	v_mul_f32_e32 v120, v96, v120
	s_waitcnt vmcnt(20)
	v_mul_f32_e32 v125, v98, v129
	v_add_f32_e32 v1, v1, v8
	s_waitcnt vmcnt(15)
	v_fma_f32 v101, v101, v147, -v119
	v_fmac_f32_e32 v116, v102, v147
	v_add_f32_e32 v0, v0, v118
	v_fma_f32 v95, v95, v146, -v120
	v_add_f32_e32 v1, v1, v99
	v_mul_f32_e32 v100, v97, v129
	v_fmac_f32_e32 v121, v96, v146
	v_add_f32_e32 v0, v0, v116
	s_waitcnt lgkmcnt(3)
	v_mul_f32_e32 v96, v104, v130
	v_add_f32_e32 v1, v1, v101
	v_fma_f32 v97, v97, v134, -v125
	v_mul_f32_e32 v117, v103, v130
	v_fmac_f32_e32 v100, v98, v134
	v_add_f32_e32 v0, v0, v121
	v_add_f32_e32 v1, v1, v95
	s_waitcnt vmcnt(14)
	v_mul_f32_e32 v123, v105, v6
	v_mul_f32_e32 v6, v106, v6
	v_fma_f32 v95, v103, v133, -v96
	v_fmac_f32_e32 v117, v104, v133
	v_add_f32_e32 v1, v1, v97
	v_add_f32_e32 v0, v0, v100
	s_waitcnt vmcnt(13) lgkmcnt(2)
	v_mul_f32_e32 v96, v3, v135
	v_mul_f32_e32 v122, v2, v135
	s_waitcnt vmcnt(12)
	v_mul_f32_e32 v102, v4, v137
	v_add_f32_e32 v1, v1, v95
	v_add_f32_e32 v0, v0, v117
	v_mul_f32_e32 v95, v5, v137
	s_waitcnt vmcnt(5)
	v_fma_f32 v2, v2, v152, -v96
	s_waitcnt vmcnt(4)
	v_fma_f32 v6, v105, v153, -v6
	v_fmac_f32_e32 v123, v106, v153
	v_fmac_f32_e32 v122, v3, v152
	s_waitcnt lgkmcnt(1)
	v_mul_f32_e32 v3, v108, v148
	v_fma_f32 v4, v4, v151, -v95
	v_add_f32_e32 v1, v1, v6
	v_add_f32_e32 v0, v0, v123
	v_mul_f32_e32 v119, v107, v148
	v_fmac_f32_e32 v102, v5, v151
	v_fma_f32 v3, v107, v150, -v3
	v_add_f32_e32 v1, v1, v2
	v_add_f32_e32 v0, v0, v122
	v_mul_f32_e32 v2, v110, v128
	v_mul_f32_e32 v8, v109, v128
	v_fmac_f32_e32 v119, v108, v150
	v_add_f32_e32 v1, v1, v4
	v_add_f32_e32 v0, v0, v102
	s_waitcnt lgkmcnt(0)
	v_mul_f32_e32 v4, v112, v136
	v_mul_f32_e32 v124, v111, v136
	;; [unrolled: 1-line block ×3, first 2 shown]
	v_add_f32_e32 v1, v1, v3
	v_add_f32_e32 v0, v0, v119
	v_mul_f32_e32 v3, v114, v138
	s_waitcnt vmcnt(3)
	v_fmac_f32_e32 v99, v114, v7
	s_waitcnt vmcnt(2)
	v_fma_f32 v4, v111, v115, -v4
	s_waitcnt vmcnt(1)
	v_fma_f32 v2, v109, v154, -v2
	v_fmac_f32_e32 v8, v110, v154
	v_fmac_f32_e32 v124, v112, v115
	v_add_f32_e32 v1, v1, v2
	v_add_f32_e32 v0, v0, v8
	v_fma_f32 v2, v113, v7, -v3
	v_add_f32_e32 v1, v1, v4
	v_add_f32_e32 v0, v0, v124
	;; [unrolled: 1-line block ×4, first 2 shown]
	s_waitcnt vmcnt(0)
	v_sub_f32_e32 v1, v127, v1
	v_sub_f32_e32 v0, v141, v0
	buffer_store_dword v1, off, s[0:3], 0
	buffer_store_dword v0, off, s[0:3], 0 offset:4
	s_cbranch_vccz .LBB106_356
; %bb.272:
	v_mov_b32_e32 v0, 0
	global_load_dword v1, v0, s[12:13] offset:164
	s_waitcnt vmcnt(0)
	v_add_nc_u32_e32 v1, -1, v1
	v_cmp_ne_u32_e32 vcc_lo, 41, v1
	s_cbranch_vccz .LBB106_274
; %bb.273:
	v_lshlrev_b32_e32 v1, 3, v1
	s_clause 0x3
	buffer_load_dword v2, v1, s[0:3], 0 offen
	buffer_load_dword v3, v1, s[0:3], 0 offen offset:4
	buffer_load_dword v4, off, s[0:3], 0 offset:328
	buffer_load_dword v5, off, s[0:3], 0 offset:332
	s_waitcnt vmcnt(3)
	buffer_store_dword v2, off, s[0:3], 0 offset:328
	s_waitcnt vmcnt(2)
	buffer_store_dword v3, off, s[0:3], 0 offset:332
	s_waitcnt vmcnt(1)
	buffer_store_dword v4, v1, s[0:3], 0 offen
	s_waitcnt vmcnt(0)
	buffer_store_dword v5, v1, s[0:3], 0 offen offset:4
.LBB106_274:
	global_load_dword v0, v0, s[12:13] offset:160
	s_waitcnt vmcnt(0)
	v_add_nc_u32_e32 v0, -1, v0
	v_cmp_eq_u32_e32 vcc_lo, 40, v0
	s_cbranch_vccnz .LBB106_276
; %bb.275:
	v_lshlrev_b32_e32 v0, 3, v0
	s_clause 0x3
	buffer_load_dword v1, v0, s[0:3], 0 offen
	buffer_load_dword v2, v0, s[0:3], 0 offen offset:4
	buffer_load_dword v3, off, s[0:3], 0 offset:324
	buffer_load_dword v4, off, s[0:3], 0 offset:320
	s_waitcnt vmcnt(3)
	buffer_store_dword v1, off, s[0:3], 0 offset:320
	s_waitcnt vmcnt(2)
	buffer_store_dword v2, off, s[0:3], 0 offset:324
	s_waitcnt vmcnt(1)
	buffer_store_dword v3, v0, s[0:3], 0 offen offset:4
	s_waitcnt vmcnt(0)
	buffer_store_dword v4, v0, s[0:3], 0 offen
.LBB106_276:
	v_mov_b32_e32 v0, 0
	global_load_dword v1, v0, s[12:13] offset:156
	s_waitcnt vmcnt(0)
	v_add_nc_u32_e32 v1, -1, v1
	v_cmp_eq_u32_e32 vcc_lo, 39, v1
	s_cbranch_vccnz .LBB106_278
; %bb.277:
	v_lshlrev_b32_e32 v1, 3, v1
	s_clause 0x3
	buffer_load_dword v2, v1, s[0:3], 0 offen
	buffer_load_dword v3, v1, s[0:3], 0 offen offset:4
	buffer_load_dword v4, off, s[0:3], 0 offset:312
	buffer_load_dword v5, off, s[0:3], 0 offset:316
	s_waitcnt vmcnt(3)
	buffer_store_dword v2, off, s[0:3], 0 offset:312
	s_waitcnt vmcnt(2)
	buffer_store_dword v3, off, s[0:3], 0 offset:316
	s_waitcnt vmcnt(1)
	buffer_store_dword v4, v1, s[0:3], 0 offen
	s_waitcnt vmcnt(0)
	buffer_store_dword v5, v1, s[0:3], 0 offen offset:4
.LBB106_278:
	global_load_dword v0, v0, s[12:13] offset:152
	s_waitcnt vmcnt(0)
	v_add_nc_u32_e32 v0, -1, v0
	v_cmp_eq_u32_e32 vcc_lo, 38, v0
	s_cbranch_vccnz .LBB106_280
; %bb.279:
	v_lshlrev_b32_e32 v0, 3, v0
	s_clause 0x3
	buffer_load_dword v1, v0, s[0:3], 0 offen
	buffer_load_dword v2, v0, s[0:3], 0 offen offset:4
	buffer_load_dword v3, off, s[0:3], 0 offset:308
	buffer_load_dword v4, off, s[0:3], 0 offset:304
	s_waitcnt vmcnt(3)
	buffer_store_dword v1, off, s[0:3], 0 offset:304
	s_waitcnt vmcnt(2)
	buffer_store_dword v2, off, s[0:3], 0 offset:308
	s_waitcnt vmcnt(1)
	buffer_store_dword v3, v0, s[0:3], 0 offen offset:4
	s_waitcnt vmcnt(0)
	buffer_store_dword v4, v0, s[0:3], 0 offen
.LBB106_280:
	v_mov_b32_e32 v0, 0
	global_load_dword v1, v0, s[12:13] offset:148
	s_waitcnt vmcnt(0)
	v_add_nc_u32_e32 v1, -1, v1
	v_cmp_eq_u32_e32 vcc_lo, 37, v1
	s_cbranch_vccnz .LBB106_282
; %bb.281:
	v_lshlrev_b32_e32 v1, 3, v1
	s_clause 0x3
	buffer_load_dword v2, v1, s[0:3], 0 offen
	buffer_load_dword v3, v1, s[0:3], 0 offen offset:4
	buffer_load_dword v4, off, s[0:3], 0 offset:296
	buffer_load_dword v5, off, s[0:3], 0 offset:300
	s_waitcnt vmcnt(3)
	buffer_store_dword v2, off, s[0:3], 0 offset:296
	s_waitcnt vmcnt(2)
	buffer_store_dword v3, off, s[0:3], 0 offset:300
	s_waitcnt vmcnt(1)
	buffer_store_dword v4, v1, s[0:3], 0 offen
	s_waitcnt vmcnt(0)
	buffer_store_dword v5, v1, s[0:3], 0 offen offset:4
.LBB106_282:
	;; [unrolled: 43-line block ×20, first 2 shown]
	global_load_dword v0, v0, s[12:13]
	s_waitcnt vmcnt(0)
	v_add_nc_u32_e32 v0, -1, v0
	v_cmp_eq_u32_e32 vcc_lo, 0, v0
	s_cbranch_vccnz .LBB106_356
; %bb.355:
	v_lshlrev_b32_e32 v0, 3, v0
	s_clause 0x3
	buffer_load_dword v1, v0, s[0:3], 0 offen
	buffer_load_dword v2, v0, s[0:3], 0 offen offset:4
	buffer_load_dword v3, off, s[0:3], 0 offset:4
	buffer_load_dword v4, off, s[0:3], 0
	s_waitcnt vmcnt(3)
	buffer_store_dword v1, off, s[0:3], 0
	s_waitcnt vmcnt(2)
	buffer_store_dword v2, off, s[0:3], 0 offset:4
	s_waitcnt vmcnt(1)
	buffer_store_dword v3, v0, s[0:3], 0 offen offset:4
	s_waitcnt vmcnt(0)
	buffer_store_dword v4, v0, s[0:3], 0 offen
.LBB106_356:
	s_clause 0x1
	buffer_load_dword v0, off, s[0:3], 0
	buffer_load_dword v1, off, s[0:3], 0 offset:4
	s_waitcnt vmcnt(0)
	flat_store_dwordx2 v[9:10], v[0:1]
	s_clause 0x1
	buffer_load_dword v0, off, s[0:3], 0 offset:8
	buffer_load_dword v1, off, s[0:3], 0 offset:12
	s_waitcnt vmcnt(0)
	flat_store_dwordx2 v[11:12], v[0:1]
	s_clause 0x1
	buffer_load_dword v0, off, s[0:3], 0 offset:16
	;; [unrolled: 5-line block ×42, first 2 shown]
	buffer_load_dword v1, off, s[0:3], 0 offset:340
	s_waitcnt vmcnt(0)
	flat_store_dwordx2 v[93:94], v[0:1]
	s_endpgm
	.section	.rodata,"a",@progbits
	.p2align	6, 0x0
	.amdhsa_kernel _ZN9rocsolver6v33100L18getri_kernel_smallILi43E19rocblas_complex_numIfEPKPS3_EEvT1_iilPiilS8_bb
		.amdhsa_group_segment_fixed_size 696
		.amdhsa_private_segment_fixed_size 352
		.amdhsa_kernarg_size 60
		.amdhsa_user_sgpr_count 6
		.amdhsa_user_sgpr_private_segment_buffer 1
		.amdhsa_user_sgpr_dispatch_ptr 0
		.amdhsa_user_sgpr_queue_ptr 0
		.amdhsa_user_sgpr_kernarg_segment_ptr 1
		.amdhsa_user_sgpr_dispatch_id 0
		.amdhsa_user_sgpr_flat_scratch_init 0
		.amdhsa_user_sgpr_private_segment_size 0
		.amdhsa_wavefront_size32 1
		.amdhsa_uses_dynamic_stack 0
		.amdhsa_system_sgpr_private_segment_wavefront_offset 1
		.amdhsa_system_sgpr_workgroup_id_x 1
		.amdhsa_system_sgpr_workgroup_id_y 0
		.amdhsa_system_sgpr_workgroup_id_z 0
		.amdhsa_system_sgpr_workgroup_info 0
		.amdhsa_system_vgpr_workitem_id 0
		.amdhsa_next_free_vgpr 250
		.amdhsa_next_free_sgpr 20
		.amdhsa_reserve_vcc 1
		.amdhsa_reserve_flat_scratch 0
		.amdhsa_float_round_mode_32 0
		.amdhsa_float_round_mode_16_64 0
		.amdhsa_float_denorm_mode_32 3
		.amdhsa_float_denorm_mode_16_64 3
		.amdhsa_dx10_clamp 1
		.amdhsa_ieee_mode 1
		.amdhsa_fp16_overflow 0
		.amdhsa_workgroup_processor_mode 1
		.amdhsa_memory_ordered 1
		.amdhsa_forward_progress 1
		.amdhsa_shared_vgpr_count 0
		.amdhsa_exception_fp_ieee_invalid_op 0
		.amdhsa_exception_fp_denorm_src 0
		.amdhsa_exception_fp_ieee_div_zero 0
		.amdhsa_exception_fp_ieee_overflow 0
		.amdhsa_exception_fp_ieee_underflow 0
		.amdhsa_exception_fp_ieee_inexact 0
		.amdhsa_exception_int_div_zero 0
	.end_amdhsa_kernel
	.section	.text._ZN9rocsolver6v33100L18getri_kernel_smallILi43E19rocblas_complex_numIfEPKPS3_EEvT1_iilPiilS8_bb,"axG",@progbits,_ZN9rocsolver6v33100L18getri_kernel_smallILi43E19rocblas_complex_numIfEPKPS3_EEvT1_iilPiilS8_bb,comdat
.Lfunc_end106:
	.size	_ZN9rocsolver6v33100L18getri_kernel_smallILi43E19rocblas_complex_numIfEPKPS3_EEvT1_iilPiilS8_bb, .Lfunc_end106-_ZN9rocsolver6v33100L18getri_kernel_smallILi43E19rocblas_complex_numIfEPKPS3_EEvT1_iilPiilS8_bb
                                        ; -- End function
	.set _ZN9rocsolver6v33100L18getri_kernel_smallILi43E19rocblas_complex_numIfEPKPS3_EEvT1_iilPiilS8_bb.num_vgpr, 250
	.set _ZN9rocsolver6v33100L18getri_kernel_smallILi43E19rocblas_complex_numIfEPKPS3_EEvT1_iilPiilS8_bb.num_agpr, 0
	.set _ZN9rocsolver6v33100L18getri_kernel_smallILi43E19rocblas_complex_numIfEPKPS3_EEvT1_iilPiilS8_bb.numbered_sgpr, 20
	.set _ZN9rocsolver6v33100L18getri_kernel_smallILi43E19rocblas_complex_numIfEPKPS3_EEvT1_iilPiilS8_bb.num_named_barrier, 0
	.set _ZN9rocsolver6v33100L18getri_kernel_smallILi43E19rocblas_complex_numIfEPKPS3_EEvT1_iilPiilS8_bb.private_seg_size, 352
	.set _ZN9rocsolver6v33100L18getri_kernel_smallILi43E19rocblas_complex_numIfEPKPS3_EEvT1_iilPiilS8_bb.uses_vcc, 1
	.set _ZN9rocsolver6v33100L18getri_kernel_smallILi43E19rocblas_complex_numIfEPKPS3_EEvT1_iilPiilS8_bb.uses_flat_scratch, 0
	.set _ZN9rocsolver6v33100L18getri_kernel_smallILi43E19rocblas_complex_numIfEPKPS3_EEvT1_iilPiilS8_bb.has_dyn_sized_stack, 0
	.set _ZN9rocsolver6v33100L18getri_kernel_smallILi43E19rocblas_complex_numIfEPKPS3_EEvT1_iilPiilS8_bb.has_recursion, 0
	.set _ZN9rocsolver6v33100L18getri_kernel_smallILi43E19rocblas_complex_numIfEPKPS3_EEvT1_iilPiilS8_bb.has_indirect_call, 0
	.section	.AMDGPU.csdata,"",@progbits
; Kernel info:
; codeLenInByte = 75952
; TotalNumSgprs: 22
; NumVgprs: 250
; ScratchSize: 352
; MemoryBound: 0
; FloatMode: 240
; IeeeMode: 1
; LDSByteSize: 696 bytes/workgroup (compile time only)
; SGPRBlocks: 0
; VGPRBlocks: 31
; NumSGPRsForWavesPerEU: 22
; NumVGPRsForWavesPerEU: 250
; Occupancy: 4
; WaveLimiterHint : 1
; COMPUTE_PGM_RSRC2:SCRATCH_EN: 1
; COMPUTE_PGM_RSRC2:USER_SGPR: 6
; COMPUTE_PGM_RSRC2:TRAP_HANDLER: 0
; COMPUTE_PGM_RSRC2:TGID_X_EN: 1
; COMPUTE_PGM_RSRC2:TGID_Y_EN: 0
; COMPUTE_PGM_RSRC2:TGID_Z_EN: 0
; COMPUTE_PGM_RSRC2:TIDIG_COMP_CNT: 0
	.section	.text._ZN9rocsolver6v33100L18getri_kernel_smallILi44E19rocblas_complex_numIfEPKPS3_EEvT1_iilPiilS8_bb,"axG",@progbits,_ZN9rocsolver6v33100L18getri_kernel_smallILi44E19rocblas_complex_numIfEPKPS3_EEvT1_iilPiilS8_bb,comdat
	.globl	_ZN9rocsolver6v33100L18getri_kernel_smallILi44E19rocblas_complex_numIfEPKPS3_EEvT1_iilPiilS8_bb ; -- Begin function _ZN9rocsolver6v33100L18getri_kernel_smallILi44E19rocblas_complex_numIfEPKPS3_EEvT1_iilPiilS8_bb
	.p2align	8
	.type	_ZN9rocsolver6v33100L18getri_kernel_smallILi44E19rocblas_complex_numIfEPKPS3_EEvT1_iilPiilS8_bb,@function
_ZN9rocsolver6v33100L18getri_kernel_smallILi44E19rocblas_complex_numIfEPKPS3_EEvT1_iilPiilS8_bb: ; @_ZN9rocsolver6v33100L18getri_kernel_smallILi44E19rocblas_complex_numIfEPKPS3_EEvT1_iilPiilS8_bb
; %bb.0:
	s_add_u32 s0, s0, s7
	s_addc_u32 s1, s1, 0
	s_mov_b32 s7, exec_lo
	v_cmpx_gt_u32_e32 44, v0
	s_cbranch_execz .LBB107_190
; %bb.1:
	s_clause 0x2
	s_load_dword s17, s[4:5], 0x38
	s_load_dwordx2 s[12:13], s[4:5], 0x0
	s_load_dwordx4 s[8:11], s[4:5], 0x28
	s_waitcnt lgkmcnt(0)
	s_bitcmp1_b32 s17, 8
	s_cselect_b32 s16, -1, 0
	s_ashr_i32 s7, s6, 31
	s_lshl_b64 s[14:15], s[6:7], 3
	s_add_u32 s12, s12, s14
	s_addc_u32 s13, s13, s15
	s_load_dwordx2 s[14:15], s[12:13], 0x0
	s_bfe_u32 s12, s17, 0x10008
	s_cmp_eq_u32 s12, 0
                                        ; implicit-def: $sgpr12_sgpr13
	s_cbranch_scc1 .LBB107_3
; %bb.2:
	s_clause 0x1
	s_load_dword s12, s[4:5], 0x20
	s_load_dwordx2 s[18:19], s[4:5], 0x18
	s_mul_i32 s13, s8, s7
	s_mul_hi_u32 s17, s8, s6
	s_mul_i32 s9, s9, s6
	s_add_i32 s13, s17, s13
	s_mul_i32 s8, s8, s6
	s_add_i32 s9, s13, s9
	s_lshl_b64 s[8:9], s[8:9], 2
	s_waitcnt lgkmcnt(0)
	s_ashr_i32 s13, s12, 31
	s_add_u32 s17, s18, s8
	s_addc_u32 s18, s19, s9
	s_lshl_b64 s[8:9], s[12:13], 2
	s_add_u32 s12, s17, s8
	s_addc_u32 s13, s18, s9
.LBB107_3:
	s_clause 0x1
	s_load_dwordx2 s[8:9], s[4:5], 0x8
	s_load_dword s17, s[4:5], 0x38
	v_lshlrev_b32_e32 v3, 3, v0
	s_waitcnt lgkmcnt(0)
	s_ashr_i32 s5, s8, 31
	s_mov_b32 s4, s8
	v_add3_u32 v4, s9, s9, v0
	s_lshl_b64 s[4:5], s[4:5], 3
	s_add_u32 s4, s14, s4
	s_addc_u32 s5, s15, s5
	v_add_co_u32 v9, s8, s4, v3
	v_add_co_ci_u32_e64 v10, null, s5, 0, s8
	s_mov_b32 s14, s9
	s_ashr_i32 s15, s9, 31
	v_ashrrev_i32_e32 v5, 31, v4
	flat_load_dwordx2 v[1:2], v[9:10]
	s_lshl_b64 s[14:15], s[14:15], 3
	s_bitcmp0_b32 s17, 0
	v_add_co_u32 v11, vcc_lo, v9, s14
	v_add_co_ci_u32_e64 v12, null, s15, v10, vcc_lo
	v_lshlrev_b64 v[5:6], 3, v[4:5]
	v_add_nc_u32_e32 v4, s9, v4
	s_waitcnt vmcnt(0) lgkmcnt(0)
	buffer_store_dword v2, off, s[0:3], 0 offset:4
	buffer_store_dword v1, off, s[0:3], 0
	flat_load_dwordx2 v[1:2], v[11:12]
	v_add_co_u32 v13, vcc_lo, s4, v5
	v_add_co_ci_u32_e64 v14, null, s5, v6, vcc_lo
	v_ashrrev_i32_e32 v5, 31, v4
	s_waitcnt vmcnt(0) lgkmcnt(0)
	buffer_store_dword v2, off, s[0:3], 0 offset:12
	buffer_store_dword v1, off, s[0:3], 0 offset:8
	flat_load_dwordx2 v[1:2], v[13:14]
	v_lshlrev_b64 v[5:6], 3, v[4:5]
	v_add_nc_u32_e32 v4, s9, v4
	s_waitcnt vmcnt(0) lgkmcnt(0)
	buffer_store_dword v2, off, s[0:3], 0 offset:20
	buffer_store_dword v1, off, s[0:3], 0 offset:16
	v_add_co_u32 v15, vcc_lo, s4, v5
	v_add_co_ci_u32_e64 v16, null, s5, v6, vcc_lo
	v_ashrrev_i32_e32 v5, 31, v4
	flat_load_dwordx2 v[1:2], v[15:16]
	s_waitcnt vmcnt(0) lgkmcnt(0)
	buffer_store_dword v2, off, s[0:3], 0 offset:28
	buffer_store_dword v1, off, s[0:3], 0 offset:24
	v_lshlrev_b64 v[5:6], 3, v[4:5]
	v_add_nc_u32_e32 v4, s9, v4
	v_add_co_u32 v17, vcc_lo, s4, v5
	v_add_co_ci_u32_e64 v18, null, s5, v6, vcc_lo
	v_ashrrev_i32_e32 v5, 31, v4
	flat_load_dwordx2 v[1:2], v[17:18]
	s_waitcnt vmcnt(0) lgkmcnt(0)
	buffer_store_dword v2, off, s[0:3], 0 offset:36
	buffer_store_dword v1, off, s[0:3], 0 offset:32
	v_lshlrev_b64 v[5:6], 3, v[4:5]
	v_add_nc_u32_e32 v4, s9, v4
	;; [unrolled: 9-line block ×39, first 2 shown]
	v_add_co_u32 v93, vcc_lo, s4, v5
	v_add_co_ci_u32_e64 v94, null, s5, v6, vcc_lo
	v_ashrrev_i32_e32 v5, 31, v4
	flat_load_dwordx2 v[1:2], v[93:94]
	s_waitcnt vmcnt(0) lgkmcnt(0)
	buffer_store_dword v2, off, s[0:3], 0 offset:340
	buffer_store_dword v1, off, s[0:3], 0 offset:336
	v_lshlrev_b64 v[4:5], 3, v[4:5]
	v_add_co_u32 v95, vcc_lo, s4, v4
	v_add_co_ci_u32_e64 v96, null, s5, v5, vcc_lo
	s_mov_b32 s5, -1
	flat_load_dwordx2 v[1:2], v[95:96]
	s_waitcnt vmcnt(0) lgkmcnt(0)
	buffer_store_dword v2, off, s[0:3], 0 offset:348
	buffer_store_dword v1, off, s[0:3], 0 offset:344
	s_cbranch_scc1 .LBB107_188
; %bb.4:
	v_cmp_eq_u32_e64 s4, 0, v0
	s_and_saveexec_b32 s5, s4
; %bb.5:
	v_mov_b32_e32 v1, 0
	ds_write_b32 v1, v1 offset:704
; %bb.6:
	s_or_b32 exec_lo, exec_lo, s5
	v_lshl_add_u32 v5, v0, 3, 0
	s_waitcnt lgkmcnt(0)
	s_waitcnt_vscnt null, 0x0
	s_barrier
	buffer_gl0_inv
	s_clause 0x1
	buffer_load_dword v1, v5, s[0:3], 0 offen
	buffer_load_dword v2, v5, s[0:3], 0 offen offset:4
	s_waitcnt vmcnt(1)
	v_cmp_eq_f32_e32 vcc_lo, 0, v1
	s_waitcnt vmcnt(0)
	v_cmp_eq_f32_e64 s5, 0, v2
	s_and_b32 s5, vcc_lo, s5
	s_and_saveexec_b32 s8, s5
	s_cbranch_execz .LBB107_10
; %bb.7:
	v_mov_b32_e32 v1, 0
	s_mov_b32 s9, 0
	ds_read_b32 v2, v1 offset:704
	s_waitcnt lgkmcnt(0)
	v_readfirstlane_b32 s5, v2
	v_add_nc_u32_e32 v2, 1, v0
	s_cmp_eq_u32 s5, 0
	v_cmp_gt_i32_e32 vcc_lo, s5, v2
	s_cselect_b32 s14, -1, 0
	s_or_b32 s14, s14, vcc_lo
	s_and_b32 exec_lo, exec_lo, s14
	s_cbranch_execz .LBB107_10
; %bb.8:
	v_mov_b32_e32 v4, s5
.LBB107_9:                              ; =>This Inner Loop Header: Depth=1
	ds_cmpst_rtn_b32 v4, v1, v4, v2 offset:704
	s_waitcnt lgkmcnt(0)
	v_cmp_ne_u32_e32 vcc_lo, 0, v4
	v_cmp_le_i32_e64 s5, v4, v2
	s_and_b32 s5, vcc_lo, s5
	s_and_b32 s5, exec_lo, s5
	s_or_b32 s9, s5, s9
	s_andn2_b32 exec_lo, exec_lo, s9
	s_cbranch_execnz .LBB107_9
.LBB107_10:
	s_or_b32 exec_lo, exec_lo, s8
	v_mov_b32_e32 v1, 0
	s_barrier
	buffer_gl0_inv
	ds_read_b32 v2, v1 offset:704
	s_and_saveexec_b32 s5, s4
	s_cbranch_execz .LBB107_12
; %bb.11:
	s_lshl_b64 s[8:9], s[6:7], 2
	s_add_u32 s8, s10, s8
	s_addc_u32 s9, s11, s9
	s_waitcnt lgkmcnt(0)
	global_store_dword v1, v2, s[8:9]
.LBB107_12:
	s_or_b32 exec_lo, exec_lo, s5
	s_waitcnt lgkmcnt(0)
	v_cmp_ne_u32_e32 vcc_lo, 0, v2
	s_mov_b32 s5, 0
	s_cbranch_vccnz .LBB107_188
; %bb.13:
	s_clause 0x1
	buffer_load_dword v2, v5, s[0:3], 0 offen
	buffer_load_dword v4, v5, s[0:3], 0 offen offset:4
                                        ; implicit-def: $vgpr7
                                        ; implicit-def: $vgpr6
                                        ; implicit-def: $vgpr1
	s_waitcnt vmcnt(0)
	v_cmp_ngt_f32_e64 s5, |v2|, |v4|
	s_and_saveexec_b32 s8, s5
	s_xor_b32 s5, exec_lo, s8
	s_cbranch_execz .LBB107_15
; %bb.14:
	v_div_scale_f32 v1, null, v4, v4, v2
	v_div_scale_f32 v8, vcc_lo, v2, v4, v2
	v_rcp_f32_e32 v6, v1
	v_fma_f32 v7, -v1, v6, 1.0
	v_fmac_f32_e32 v6, v7, v6
	v_mul_f32_e32 v7, v8, v6
	v_fma_f32 v97, -v1, v7, v8
	v_fmac_f32_e32 v7, v97, v6
	v_fma_f32 v1, -v1, v7, v8
	v_div_fmas_f32 v1, v1, v6, v7
	v_div_fixup_f32 v1, v1, v4, v2
	v_fmac_f32_e32 v4, v2, v1
	v_div_scale_f32 v2, null, v4, v4, 1.0
	v_rcp_f32_e32 v6, v2
	v_fma_f32 v7, -v2, v6, 1.0
	v_fmac_f32_e32 v6, v7, v6
	v_div_scale_f32 v7, vcc_lo, 1.0, v4, 1.0
	v_mul_f32_e32 v8, v7, v6
	v_fma_f32 v97, -v2, v8, v7
	v_fmac_f32_e32 v8, v97, v6
	v_fma_f32 v2, -v2, v8, v7
	v_div_fmas_f32 v2, v2, v6, v8
	v_div_fixup_f32 v2, v2, v4, 1.0
                                        ; implicit-def: $vgpr4
	v_mul_f32_e32 v7, v1, v2
	v_xor_b32_e32 v6, 0x80000000, v2
                                        ; implicit-def: $vgpr2
	v_xor_b32_e32 v1, 0x80000000, v7
.LBB107_15:
	s_andn2_saveexec_b32 s5, s5
	s_cbranch_execz .LBB107_17
; %bb.16:
	v_div_scale_f32 v1, null, v2, v2, v4
	v_div_scale_f32 v8, vcc_lo, v4, v2, v4
	v_rcp_f32_e32 v6, v1
	v_fma_f32 v7, -v1, v6, 1.0
	v_fmac_f32_e32 v6, v7, v6
	v_mul_f32_e32 v7, v8, v6
	v_fma_f32 v97, -v1, v7, v8
	v_fmac_f32_e32 v7, v97, v6
	v_fma_f32 v1, -v1, v7, v8
	v_div_fmas_f32 v1, v1, v6, v7
	v_div_fixup_f32 v6, v1, v2, v4
	v_fmac_f32_e32 v2, v4, v6
	v_div_scale_f32 v1, null, v2, v2, 1.0
	v_div_scale_f32 v8, vcc_lo, 1.0, v2, 1.0
	v_rcp_f32_e32 v4, v1
	v_fma_f32 v7, -v1, v4, 1.0
	v_fmac_f32_e32 v4, v7, v4
	v_mul_f32_e32 v7, v8, v4
	v_fma_f32 v97, -v1, v7, v8
	v_fmac_f32_e32 v7, v97, v4
	v_fma_f32 v1, -v1, v7, v8
	v_div_fmas_f32 v1, v1, v4, v7
	v_div_fixup_f32 v7, v1, v2, 1.0
	v_xor_b32_e32 v1, 0x80000000, v7
	v_mul_f32_e64 v6, v6, -v7
.LBB107_17:
	s_or_b32 exec_lo, exec_lo, s5
	buffer_store_dword v7, v5, s[0:3], 0 offen
	buffer_store_dword v6, v5, s[0:3], 0 offen offset:4
	s_clause 0x1
	buffer_load_dword v8, off, s[0:3], 0 offset:12
	buffer_load_dword v7, off, s[0:3], 0 offset:8
	v_xor_b32_e32 v2, 0x80000000, v6
	v_add_nc_u32_e32 v4, 0x160, v3
	s_waitcnt vmcnt(0)
	ds_write2_b64 v3, v[1:2], v[7:8] offset1:44
	s_waitcnt lgkmcnt(0)
	s_waitcnt_vscnt null, 0x0
	s_barrier
	buffer_gl0_inv
	s_and_saveexec_b32 s5, s4
	s_cbranch_execz .LBB107_19
; %bb.18:
	s_clause 0x1
	buffer_load_dword v8, v5, s[0:3], 0 offen offset:4
	buffer_load_dword v97, v5, s[0:3], 0 offen
	ds_read_b64 v[1:2], v4
	v_mov_b32_e32 v6, 0
	ds_read_b64 v[6:7], v6 offset:8
	s_waitcnt vmcnt(1) lgkmcnt(1)
	v_mul_f32_e32 v98, v1, v8
	v_mul_f32_e32 v8, v2, v8
	s_waitcnt vmcnt(0)
	v_fmac_f32_e32 v98, v2, v97
	v_fma_f32 v1, v1, v97, -v8
	v_add_f32_e32 v2, 0, v98
	v_add_f32_e32 v1, 0, v1
	s_waitcnt lgkmcnt(0)
	v_mul_f32_e32 v8, v2, v7
	v_mul_f32_e32 v7, v1, v7
	v_fma_f32 v1, v1, v6, -v8
	v_fmac_f32_e32 v7, v2, v6
	buffer_store_dword v1, off, s[0:3], 0 offset:8
	buffer_store_dword v7, off, s[0:3], 0 offset:12
.LBB107_19:
	s_or_b32 exec_lo, exec_lo, s5
	s_waitcnt_vscnt null, 0x0
	s_barrier
	buffer_gl0_inv
	s_clause 0x1
	buffer_load_dword v1, off, s[0:3], 0 offset:16
	buffer_load_dword v2, off, s[0:3], 0 offset:20
	s_mov_b32 s5, exec_lo
	s_waitcnt vmcnt(0)
	ds_write_b64 v4, v[1:2]
	s_waitcnt lgkmcnt(0)
	s_barrier
	buffer_gl0_inv
	v_cmpx_gt_u32_e32 2, v0
	s_cbranch_execz .LBB107_23
; %bb.20:
	s_clause 0x1
	buffer_load_dword v6, v5, s[0:3], 0 offen offset:4
	buffer_load_dword v5, v5, s[0:3], 0 offen
	ds_read_b64 v[1:2], v4
	s_waitcnt vmcnt(1) lgkmcnt(0)
	v_mul_f32_e32 v7, v2, v6
	v_mul_f32_e32 v6, v1, v6
	s_waitcnt vmcnt(0)
	v_fma_f32 v1, v1, v5, -v7
	v_fmac_f32_e32 v6, v2, v5
	v_add_f32_e32 v2, 0, v1
	v_add_f32_e32 v1, 0, v6
	s_and_saveexec_b32 s8, s4
	s_cbranch_execz .LBB107_22
; %bb.21:
	s_clause 0x1
	buffer_load_dword v7, off, s[0:3], 0 offset:12
	buffer_load_dword v8, off, s[0:3], 0 offset:8
	v_mov_b32_e32 v5, 0
	ds_read_b64 v[5:6], v5 offset:360
	s_waitcnt vmcnt(1) lgkmcnt(0)
	v_mul_f32_e32 v97, v5, v7
	v_mul_f32_e32 v7, v6, v7
	s_waitcnt vmcnt(0)
	v_fmac_f32_e32 v97, v6, v8
	v_fma_f32 v5, v5, v8, -v7
	v_add_f32_e32 v1, v1, v97
	v_add_f32_e32 v2, v2, v5
.LBB107_22:
	s_or_b32 exec_lo, exec_lo, s8
	v_mov_b32_e32 v5, 0
	ds_read_b64 v[5:6], v5 offset:16
	s_waitcnt lgkmcnt(0)
	v_mul_f32_e32 v7, v1, v6
	v_mul_f32_e32 v6, v2, v6
	v_fma_f32 v2, v2, v5, -v7
	v_fmac_f32_e32 v6, v1, v5
	buffer_store_dword v2, off, s[0:3], 0 offset:16
	buffer_store_dword v6, off, s[0:3], 0 offset:20
.LBB107_23:
	s_or_b32 exec_lo, exec_lo, s5
	s_waitcnt_vscnt null, 0x0
	s_barrier
	buffer_gl0_inv
	s_clause 0x1
	buffer_load_dword v5, off, s[0:3], 0 offset:24
	buffer_load_dword v6, off, s[0:3], 0 offset:28
	v_add_nc_u32_e32 v1, -1, v0
	s_mov_b32 s4, exec_lo
	s_waitcnt vmcnt(0)
	ds_write_b64 v4, v[5:6]
	s_waitcnt lgkmcnt(0)
	s_barrier
	buffer_gl0_inv
	v_cmpx_gt_u32_e32 3, v0
	s_cbranch_execz .LBB107_27
; %bb.24:
	v_add_nc_u32_e32 v5, -1, v0
	v_add_nc_u32_e32 v6, 0x160, v3
	v_mov_b32_e32 v7, v3
	v_mov_b32_e32 v2, 0
	v_mov_b32_e32 v8, 0
	s_mov_b32 s5, 0
	.p2align	6
.LBB107_25:                             ; =>This Inner Loop Header: Depth=1
	s_clause 0x1
	buffer_load_dword v99, v7, s[0:3], 0 offen offset:4
	buffer_load_dword v100, v7, s[0:3], 0 offen
	ds_read_b64 v[97:98], v6
	v_add_nc_u32_e32 v5, 1, v5
	v_add_nc_u32_e32 v6, 8, v6
	v_add_nc_u32_e32 v7, 8, v7
	v_cmp_lt_u32_e32 vcc_lo, 1, v5
	s_or_b32 s5, vcc_lo, s5
	s_waitcnt vmcnt(1) lgkmcnt(0)
	v_mul_f32_e32 v101, v98, v99
	v_mul_f32_e32 v99, v97, v99
	s_waitcnt vmcnt(0)
	v_fma_f32 v97, v97, v100, -v101
	v_fmac_f32_e32 v99, v98, v100
	v_add_f32_e32 v8, v8, v97
	v_add_f32_e32 v2, v2, v99
	s_andn2_b32 exec_lo, exec_lo, s5
	s_cbranch_execnz .LBB107_25
; %bb.26:
	s_or_b32 exec_lo, exec_lo, s5
	v_mov_b32_e32 v5, 0
	ds_read_b64 v[5:6], v5 offset:24
	s_waitcnt lgkmcnt(0)
	v_mul_f32_e32 v7, v2, v6
	v_mul_f32_e32 v6, v8, v6
	v_fma_f32 v7, v8, v5, -v7
	v_fmac_f32_e32 v6, v2, v5
	buffer_store_dword v7, off, s[0:3], 0 offset:24
	buffer_store_dword v6, off, s[0:3], 0 offset:28
.LBB107_27:
	s_or_b32 exec_lo, exec_lo, s4
	s_waitcnt_vscnt null, 0x0
	s_barrier
	buffer_gl0_inv
	s_clause 0x1
	buffer_load_dword v5, off, s[0:3], 0 offset:32
	buffer_load_dword v6, off, s[0:3], 0 offset:36
	s_mov_b32 s4, exec_lo
	s_waitcnt vmcnt(0)
	ds_write_b64 v4, v[5:6]
	s_waitcnt lgkmcnt(0)
	s_barrier
	buffer_gl0_inv
	v_cmpx_gt_u32_e32 4, v0
	s_cbranch_execz .LBB107_31
; %bb.28:
	v_add_nc_u32_e32 v5, -1, v0
	v_add_nc_u32_e32 v6, 0x160, v3
	v_mov_b32_e32 v7, v3
	v_mov_b32_e32 v2, 0
	;; [unrolled: 1-line block ×3, first 2 shown]
	s_mov_b32 s5, 0
	.p2align	6
.LBB107_29:                             ; =>This Inner Loop Header: Depth=1
	s_clause 0x1
	buffer_load_dword v99, v7, s[0:3], 0 offen offset:4
	buffer_load_dword v100, v7, s[0:3], 0 offen
	ds_read_b64 v[97:98], v6
	v_add_nc_u32_e32 v5, 1, v5
	v_add_nc_u32_e32 v6, 8, v6
	v_add_nc_u32_e32 v7, 8, v7
	v_cmp_lt_u32_e32 vcc_lo, 2, v5
	s_or_b32 s5, vcc_lo, s5
	s_waitcnt vmcnt(1) lgkmcnt(0)
	v_mul_f32_e32 v101, v98, v99
	v_mul_f32_e32 v99, v97, v99
	s_waitcnt vmcnt(0)
	v_fma_f32 v97, v97, v100, -v101
	v_fmac_f32_e32 v99, v98, v100
	v_add_f32_e32 v8, v8, v97
	v_add_f32_e32 v2, v2, v99
	s_andn2_b32 exec_lo, exec_lo, s5
	s_cbranch_execnz .LBB107_29
; %bb.30:
	s_or_b32 exec_lo, exec_lo, s5
	v_mov_b32_e32 v5, 0
	ds_read_b64 v[5:6], v5 offset:32
	s_waitcnt lgkmcnt(0)
	v_mul_f32_e32 v7, v2, v6
	v_mul_f32_e32 v6, v8, v6
	v_fma_f32 v7, v8, v5, -v7
	v_fmac_f32_e32 v6, v2, v5
	buffer_store_dword v7, off, s[0:3], 0 offset:32
	buffer_store_dword v6, off, s[0:3], 0 offset:36
.LBB107_31:
	s_or_b32 exec_lo, exec_lo, s4
	s_waitcnt_vscnt null, 0x0
	s_barrier
	buffer_gl0_inv
	s_clause 0x1
	buffer_load_dword v5, off, s[0:3], 0 offset:40
	buffer_load_dword v6, off, s[0:3], 0 offset:44
	s_mov_b32 s4, exec_lo
	s_waitcnt vmcnt(0)
	ds_write_b64 v4, v[5:6]
	s_waitcnt lgkmcnt(0)
	s_barrier
	buffer_gl0_inv
	v_cmpx_gt_u32_e32 5, v0
	s_cbranch_execz .LBB107_35
; %bb.32:
	v_add_nc_u32_e32 v5, -1, v0
	v_add_nc_u32_e32 v6, 0x160, v3
	v_mov_b32_e32 v7, v3
	v_mov_b32_e32 v2, 0
	;; [unrolled: 1-line block ×3, first 2 shown]
	s_mov_b32 s5, 0
	.p2align	6
.LBB107_33:                             ; =>This Inner Loop Header: Depth=1
	s_clause 0x1
	buffer_load_dword v99, v7, s[0:3], 0 offen offset:4
	buffer_load_dword v100, v7, s[0:3], 0 offen
	ds_read_b64 v[97:98], v6
	v_add_nc_u32_e32 v5, 1, v5
	v_add_nc_u32_e32 v6, 8, v6
	;; [unrolled: 1-line block ×3, first 2 shown]
	v_cmp_lt_u32_e32 vcc_lo, 3, v5
	s_or_b32 s5, vcc_lo, s5
	s_waitcnt vmcnt(1) lgkmcnt(0)
	v_mul_f32_e32 v101, v98, v99
	v_mul_f32_e32 v99, v97, v99
	s_waitcnt vmcnt(0)
	v_fma_f32 v97, v97, v100, -v101
	v_fmac_f32_e32 v99, v98, v100
	v_add_f32_e32 v8, v8, v97
	v_add_f32_e32 v2, v2, v99
	s_andn2_b32 exec_lo, exec_lo, s5
	s_cbranch_execnz .LBB107_33
; %bb.34:
	s_or_b32 exec_lo, exec_lo, s5
	v_mov_b32_e32 v5, 0
	ds_read_b64 v[5:6], v5 offset:40
	s_waitcnt lgkmcnt(0)
	v_mul_f32_e32 v7, v2, v6
	v_mul_f32_e32 v6, v8, v6
	v_fma_f32 v7, v8, v5, -v7
	v_fmac_f32_e32 v6, v2, v5
	buffer_store_dword v7, off, s[0:3], 0 offset:40
	buffer_store_dword v6, off, s[0:3], 0 offset:44
.LBB107_35:
	s_or_b32 exec_lo, exec_lo, s4
	s_waitcnt_vscnt null, 0x0
	s_barrier
	buffer_gl0_inv
	s_clause 0x1
	buffer_load_dword v5, off, s[0:3], 0 offset:48
	buffer_load_dword v6, off, s[0:3], 0 offset:52
	s_mov_b32 s4, exec_lo
	s_waitcnt vmcnt(0)
	ds_write_b64 v4, v[5:6]
	s_waitcnt lgkmcnt(0)
	s_barrier
	buffer_gl0_inv
	v_cmpx_gt_u32_e32 6, v0
	s_cbranch_execz .LBB107_39
; %bb.36:
	v_add_nc_u32_e32 v5, -1, v0
	v_add_nc_u32_e32 v6, 0x160, v3
	v_mov_b32_e32 v7, v3
	v_mov_b32_e32 v2, 0
	;; [unrolled: 1-line block ×3, first 2 shown]
	s_mov_b32 s5, 0
	.p2align	6
.LBB107_37:                             ; =>This Inner Loop Header: Depth=1
	s_clause 0x1
	buffer_load_dword v99, v7, s[0:3], 0 offen offset:4
	buffer_load_dword v100, v7, s[0:3], 0 offen
	ds_read_b64 v[97:98], v6
	v_add_nc_u32_e32 v5, 1, v5
	v_add_nc_u32_e32 v6, 8, v6
	;; [unrolled: 1-line block ×3, first 2 shown]
	v_cmp_lt_u32_e32 vcc_lo, 4, v5
	s_or_b32 s5, vcc_lo, s5
	s_waitcnt vmcnt(1) lgkmcnt(0)
	v_mul_f32_e32 v101, v98, v99
	v_mul_f32_e32 v99, v97, v99
	s_waitcnt vmcnt(0)
	v_fma_f32 v97, v97, v100, -v101
	v_fmac_f32_e32 v99, v98, v100
	v_add_f32_e32 v8, v8, v97
	v_add_f32_e32 v2, v2, v99
	s_andn2_b32 exec_lo, exec_lo, s5
	s_cbranch_execnz .LBB107_37
; %bb.38:
	s_or_b32 exec_lo, exec_lo, s5
	v_mov_b32_e32 v5, 0
	ds_read_b64 v[5:6], v5 offset:48
	s_waitcnt lgkmcnt(0)
	v_mul_f32_e32 v7, v2, v6
	v_mul_f32_e32 v6, v8, v6
	v_fma_f32 v7, v8, v5, -v7
	v_fmac_f32_e32 v6, v2, v5
	buffer_store_dword v7, off, s[0:3], 0 offset:48
	buffer_store_dword v6, off, s[0:3], 0 offset:52
.LBB107_39:
	s_or_b32 exec_lo, exec_lo, s4
	s_waitcnt_vscnt null, 0x0
	s_barrier
	buffer_gl0_inv
	s_clause 0x1
	buffer_load_dword v5, off, s[0:3], 0 offset:56
	buffer_load_dword v6, off, s[0:3], 0 offset:60
	s_mov_b32 s4, exec_lo
	s_waitcnt vmcnt(0)
	ds_write_b64 v4, v[5:6]
	s_waitcnt lgkmcnt(0)
	s_barrier
	buffer_gl0_inv
	v_cmpx_gt_u32_e32 7, v0
	s_cbranch_execz .LBB107_43
; %bb.40:
	v_add_nc_u32_e32 v5, -1, v0
	v_add_nc_u32_e32 v6, 0x160, v3
	v_mov_b32_e32 v7, v3
	v_mov_b32_e32 v2, 0
	;; [unrolled: 1-line block ×3, first 2 shown]
	s_mov_b32 s5, 0
	.p2align	6
.LBB107_41:                             ; =>This Inner Loop Header: Depth=1
	s_clause 0x1
	buffer_load_dword v99, v7, s[0:3], 0 offen offset:4
	buffer_load_dword v100, v7, s[0:3], 0 offen
	ds_read_b64 v[97:98], v6
	v_add_nc_u32_e32 v5, 1, v5
	v_add_nc_u32_e32 v6, 8, v6
	;; [unrolled: 1-line block ×3, first 2 shown]
	v_cmp_lt_u32_e32 vcc_lo, 5, v5
	s_or_b32 s5, vcc_lo, s5
	s_waitcnt vmcnt(1) lgkmcnt(0)
	v_mul_f32_e32 v101, v98, v99
	v_mul_f32_e32 v99, v97, v99
	s_waitcnt vmcnt(0)
	v_fma_f32 v97, v97, v100, -v101
	v_fmac_f32_e32 v99, v98, v100
	v_add_f32_e32 v8, v8, v97
	v_add_f32_e32 v2, v2, v99
	s_andn2_b32 exec_lo, exec_lo, s5
	s_cbranch_execnz .LBB107_41
; %bb.42:
	s_or_b32 exec_lo, exec_lo, s5
	v_mov_b32_e32 v5, 0
	ds_read_b64 v[5:6], v5 offset:56
	s_waitcnt lgkmcnt(0)
	v_mul_f32_e32 v7, v2, v6
	v_mul_f32_e32 v6, v8, v6
	v_fma_f32 v7, v8, v5, -v7
	v_fmac_f32_e32 v6, v2, v5
	buffer_store_dword v7, off, s[0:3], 0 offset:56
	buffer_store_dword v6, off, s[0:3], 0 offset:60
.LBB107_43:
	s_or_b32 exec_lo, exec_lo, s4
	s_waitcnt_vscnt null, 0x0
	s_barrier
	buffer_gl0_inv
	s_clause 0x1
	buffer_load_dword v5, off, s[0:3], 0 offset:64
	buffer_load_dword v6, off, s[0:3], 0 offset:68
	s_mov_b32 s4, exec_lo
	s_waitcnt vmcnt(0)
	ds_write_b64 v4, v[5:6]
	s_waitcnt lgkmcnt(0)
	s_barrier
	buffer_gl0_inv
	v_cmpx_gt_u32_e32 8, v0
	s_cbranch_execz .LBB107_47
; %bb.44:
	v_add_nc_u32_e32 v5, -1, v0
	v_add_nc_u32_e32 v6, 0x160, v3
	v_mov_b32_e32 v7, v3
	v_mov_b32_e32 v2, 0
	;; [unrolled: 1-line block ×3, first 2 shown]
	s_mov_b32 s5, 0
	.p2align	6
.LBB107_45:                             ; =>This Inner Loop Header: Depth=1
	s_clause 0x1
	buffer_load_dword v99, v7, s[0:3], 0 offen offset:4
	buffer_load_dword v100, v7, s[0:3], 0 offen
	ds_read_b64 v[97:98], v6
	v_add_nc_u32_e32 v5, 1, v5
	v_add_nc_u32_e32 v6, 8, v6
	;; [unrolled: 1-line block ×3, first 2 shown]
	v_cmp_lt_u32_e32 vcc_lo, 6, v5
	s_or_b32 s5, vcc_lo, s5
	s_waitcnt vmcnt(1) lgkmcnt(0)
	v_mul_f32_e32 v101, v98, v99
	v_mul_f32_e32 v99, v97, v99
	s_waitcnt vmcnt(0)
	v_fma_f32 v97, v97, v100, -v101
	v_fmac_f32_e32 v99, v98, v100
	v_add_f32_e32 v8, v8, v97
	v_add_f32_e32 v2, v2, v99
	s_andn2_b32 exec_lo, exec_lo, s5
	s_cbranch_execnz .LBB107_45
; %bb.46:
	s_or_b32 exec_lo, exec_lo, s5
	v_mov_b32_e32 v5, 0
	ds_read_b64 v[5:6], v5 offset:64
	s_waitcnt lgkmcnt(0)
	v_mul_f32_e32 v7, v2, v6
	v_mul_f32_e32 v6, v8, v6
	v_fma_f32 v7, v8, v5, -v7
	v_fmac_f32_e32 v6, v2, v5
	buffer_store_dword v7, off, s[0:3], 0 offset:64
	buffer_store_dword v6, off, s[0:3], 0 offset:68
.LBB107_47:
	s_or_b32 exec_lo, exec_lo, s4
	s_waitcnt_vscnt null, 0x0
	s_barrier
	buffer_gl0_inv
	s_clause 0x1
	buffer_load_dword v5, off, s[0:3], 0 offset:72
	buffer_load_dword v6, off, s[0:3], 0 offset:76
	s_mov_b32 s4, exec_lo
	s_waitcnt vmcnt(0)
	ds_write_b64 v4, v[5:6]
	s_waitcnt lgkmcnt(0)
	s_barrier
	buffer_gl0_inv
	v_cmpx_gt_u32_e32 9, v0
	s_cbranch_execz .LBB107_51
; %bb.48:
	v_add_nc_u32_e32 v5, -1, v0
	v_add_nc_u32_e32 v6, 0x160, v3
	v_mov_b32_e32 v7, v3
	v_mov_b32_e32 v2, 0
	v_mov_b32_e32 v8, 0
	s_mov_b32 s5, 0
	.p2align	6
.LBB107_49:                             ; =>This Inner Loop Header: Depth=1
	s_clause 0x1
	buffer_load_dword v99, v7, s[0:3], 0 offen offset:4
	buffer_load_dword v100, v7, s[0:3], 0 offen
	ds_read_b64 v[97:98], v6
	v_add_nc_u32_e32 v5, 1, v5
	v_add_nc_u32_e32 v6, 8, v6
	;; [unrolled: 1-line block ×3, first 2 shown]
	v_cmp_lt_u32_e32 vcc_lo, 7, v5
	s_or_b32 s5, vcc_lo, s5
	s_waitcnt vmcnt(1) lgkmcnt(0)
	v_mul_f32_e32 v101, v98, v99
	v_mul_f32_e32 v99, v97, v99
	s_waitcnt vmcnt(0)
	v_fma_f32 v97, v97, v100, -v101
	v_fmac_f32_e32 v99, v98, v100
	v_add_f32_e32 v8, v8, v97
	v_add_f32_e32 v2, v2, v99
	s_andn2_b32 exec_lo, exec_lo, s5
	s_cbranch_execnz .LBB107_49
; %bb.50:
	s_or_b32 exec_lo, exec_lo, s5
	v_mov_b32_e32 v5, 0
	ds_read_b64 v[5:6], v5 offset:72
	s_waitcnt lgkmcnt(0)
	v_mul_f32_e32 v7, v2, v6
	v_mul_f32_e32 v6, v8, v6
	v_fma_f32 v7, v8, v5, -v7
	v_fmac_f32_e32 v6, v2, v5
	buffer_store_dword v7, off, s[0:3], 0 offset:72
	buffer_store_dword v6, off, s[0:3], 0 offset:76
.LBB107_51:
	s_or_b32 exec_lo, exec_lo, s4
	s_waitcnt_vscnt null, 0x0
	s_barrier
	buffer_gl0_inv
	s_clause 0x1
	buffer_load_dword v5, off, s[0:3], 0 offset:80
	buffer_load_dword v6, off, s[0:3], 0 offset:84
	s_mov_b32 s4, exec_lo
	s_waitcnt vmcnt(0)
	ds_write_b64 v4, v[5:6]
	s_waitcnt lgkmcnt(0)
	s_barrier
	buffer_gl0_inv
	v_cmpx_gt_u32_e32 10, v0
	s_cbranch_execz .LBB107_55
; %bb.52:
	v_add_nc_u32_e32 v5, -1, v0
	v_add_nc_u32_e32 v6, 0x160, v3
	v_mov_b32_e32 v7, v3
	v_mov_b32_e32 v2, 0
	;; [unrolled: 1-line block ×3, first 2 shown]
	s_mov_b32 s5, 0
	.p2align	6
.LBB107_53:                             ; =>This Inner Loop Header: Depth=1
	s_clause 0x1
	buffer_load_dword v99, v7, s[0:3], 0 offen offset:4
	buffer_load_dword v100, v7, s[0:3], 0 offen
	ds_read_b64 v[97:98], v6
	v_add_nc_u32_e32 v5, 1, v5
	v_add_nc_u32_e32 v6, 8, v6
	;; [unrolled: 1-line block ×3, first 2 shown]
	v_cmp_lt_u32_e32 vcc_lo, 8, v5
	s_or_b32 s5, vcc_lo, s5
	s_waitcnt vmcnt(1) lgkmcnt(0)
	v_mul_f32_e32 v101, v98, v99
	v_mul_f32_e32 v99, v97, v99
	s_waitcnt vmcnt(0)
	v_fma_f32 v97, v97, v100, -v101
	v_fmac_f32_e32 v99, v98, v100
	v_add_f32_e32 v8, v8, v97
	v_add_f32_e32 v2, v2, v99
	s_andn2_b32 exec_lo, exec_lo, s5
	s_cbranch_execnz .LBB107_53
; %bb.54:
	s_or_b32 exec_lo, exec_lo, s5
	v_mov_b32_e32 v5, 0
	ds_read_b64 v[5:6], v5 offset:80
	s_waitcnt lgkmcnt(0)
	v_mul_f32_e32 v7, v2, v6
	v_mul_f32_e32 v6, v8, v6
	v_fma_f32 v7, v8, v5, -v7
	v_fmac_f32_e32 v6, v2, v5
	buffer_store_dword v7, off, s[0:3], 0 offset:80
	buffer_store_dword v6, off, s[0:3], 0 offset:84
.LBB107_55:
	s_or_b32 exec_lo, exec_lo, s4
	s_waitcnt_vscnt null, 0x0
	s_barrier
	buffer_gl0_inv
	s_clause 0x1
	buffer_load_dword v5, off, s[0:3], 0 offset:88
	buffer_load_dword v6, off, s[0:3], 0 offset:92
	s_mov_b32 s4, exec_lo
	s_waitcnt vmcnt(0)
	ds_write_b64 v4, v[5:6]
	s_waitcnt lgkmcnt(0)
	s_barrier
	buffer_gl0_inv
	v_cmpx_gt_u32_e32 11, v0
	s_cbranch_execz .LBB107_59
; %bb.56:
	v_add_nc_u32_e32 v5, -1, v0
	v_add_nc_u32_e32 v6, 0x160, v3
	v_mov_b32_e32 v7, v3
	v_mov_b32_e32 v2, 0
	;; [unrolled: 1-line block ×3, first 2 shown]
	s_mov_b32 s5, 0
	.p2align	6
.LBB107_57:                             ; =>This Inner Loop Header: Depth=1
	s_clause 0x1
	buffer_load_dword v99, v7, s[0:3], 0 offen offset:4
	buffer_load_dword v100, v7, s[0:3], 0 offen
	ds_read_b64 v[97:98], v6
	v_add_nc_u32_e32 v5, 1, v5
	v_add_nc_u32_e32 v6, 8, v6
	;; [unrolled: 1-line block ×3, first 2 shown]
	v_cmp_lt_u32_e32 vcc_lo, 9, v5
	s_or_b32 s5, vcc_lo, s5
	s_waitcnt vmcnt(1) lgkmcnt(0)
	v_mul_f32_e32 v101, v98, v99
	v_mul_f32_e32 v99, v97, v99
	s_waitcnt vmcnt(0)
	v_fma_f32 v97, v97, v100, -v101
	v_fmac_f32_e32 v99, v98, v100
	v_add_f32_e32 v8, v8, v97
	v_add_f32_e32 v2, v2, v99
	s_andn2_b32 exec_lo, exec_lo, s5
	s_cbranch_execnz .LBB107_57
; %bb.58:
	s_or_b32 exec_lo, exec_lo, s5
	v_mov_b32_e32 v5, 0
	ds_read_b64 v[5:6], v5 offset:88
	s_waitcnt lgkmcnt(0)
	v_mul_f32_e32 v7, v2, v6
	v_mul_f32_e32 v6, v8, v6
	v_fma_f32 v7, v8, v5, -v7
	v_fmac_f32_e32 v6, v2, v5
	buffer_store_dword v7, off, s[0:3], 0 offset:88
	buffer_store_dword v6, off, s[0:3], 0 offset:92
.LBB107_59:
	s_or_b32 exec_lo, exec_lo, s4
	s_waitcnt_vscnt null, 0x0
	s_barrier
	buffer_gl0_inv
	s_clause 0x1
	buffer_load_dword v5, off, s[0:3], 0 offset:96
	buffer_load_dword v6, off, s[0:3], 0 offset:100
	s_mov_b32 s4, exec_lo
	s_waitcnt vmcnt(0)
	ds_write_b64 v4, v[5:6]
	s_waitcnt lgkmcnt(0)
	s_barrier
	buffer_gl0_inv
	v_cmpx_gt_u32_e32 12, v0
	s_cbranch_execz .LBB107_63
; %bb.60:
	v_add_nc_u32_e32 v5, -1, v0
	v_add_nc_u32_e32 v6, 0x160, v3
	v_mov_b32_e32 v7, v3
	v_mov_b32_e32 v2, 0
	;; [unrolled: 1-line block ×3, first 2 shown]
	s_mov_b32 s5, 0
	.p2align	6
.LBB107_61:                             ; =>This Inner Loop Header: Depth=1
	s_clause 0x1
	buffer_load_dword v99, v7, s[0:3], 0 offen offset:4
	buffer_load_dword v100, v7, s[0:3], 0 offen
	ds_read_b64 v[97:98], v6
	v_add_nc_u32_e32 v5, 1, v5
	v_add_nc_u32_e32 v6, 8, v6
	;; [unrolled: 1-line block ×3, first 2 shown]
	v_cmp_lt_u32_e32 vcc_lo, 10, v5
	s_or_b32 s5, vcc_lo, s5
	s_waitcnt vmcnt(1) lgkmcnt(0)
	v_mul_f32_e32 v101, v98, v99
	v_mul_f32_e32 v99, v97, v99
	s_waitcnt vmcnt(0)
	v_fma_f32 v97, v97, v100, -v101
	v_fmac_f32_e32 v99, v98, v100
	v_add_f32_e32 v8, v8, v97
	v_add_f32_e32 v2, v2, v99
	s_andn2_b32 exec_lo, exec_lo, s5
	s_cbranch_execnz .LBB107_61
; %bb.62:
	s_or_b32 exec_lo, exec_lo, s5
	v_mov_b32_e32 v5, 0
	ds_read_b64 v[5:6], v5 offset:96
	s_waitcnt lgkmcnt(0)
	v_mul_f32_e32 v7, v2, v6
	v_mul_f32_e32 v6, v8, v6
	v_fma_f32 v7, v8, v5, -v7
	v_fmac_f32_e32 v6, v2, v5
	buffer_store_dword v7, off, s[0:3], 0 offset:96
	buffer_store_dword v6, off, s[0:3], 0 offset:100
.LBB107_63:
	s_or_b32 exec_lo, exec_lo, s4
	s_waitcnt_vscnt null, 0x0
	s_barrier
	buffer_gl0_inv
	s_clause 0x1
	buffer_load_dword v5, off, s[0:3], 0 offset:104
	buffer_load_dword v6, off, s[0:3], 0 offset:108
	s_mov_b32 s4, exec_lo
	s_waitcnt vmcnt(0)
	ds_write_b64 v4, v[5:6]
	s_waitcnt lgkmcnt(0)
	s_barrier
	buffer_gl0_inv
	v_cmpx_gt_u32_e32 13, v0
	s_cbranch_execz .LBB107_67
; %bb.64:
	v_add_nc_u32_e32 v5, -1, v0
	v_add_nc_u32_e32 v6, 0x160, v3
	v_mov_b32_e32 v7, v3
	v_mov_b32_e32 v2, 0
	;; [unrolled: 1-line block ×3, first 2 shown]
	s_mov_b32 s5, 0
	.p2align	6
.LBB107_65:                             ; =>This Inner Loop Header: Depth=1
	s_clause 0x1
	buffer_load_dword v99, v7, s[0:3], 0 offen offset:4
	buffer_load_dword v100, v7, s[0:3], 0 offen
	ds_read_b64 v[97:98], v6
	v_add_nc_u32_e32 v5, 1, v5
	v_add_nc_u32_e32 v6, 8, v6
	;; [unrolled: 1-line block ×3, first 2 shown]
	v_cmp_lt_u32_e32 vcc_lo, 11, v5
	s_or_b32 s5, vcc_lo, s5
	s_waitcnt vmcnt(1) lgkmcnt(0)
	v_mul_f32_e32 v101, v98, v99
	v_mul_f32_e32 v99, v97, v99
	s_waitcnt vmcnt(0)
	v_fma_f32 v97, v97, v100, -v101
	v_fmac_f32_e32 v99, v98, v100
	v_add_f32_e32 v8, v8, v97
	v_add_f32_e32 v2, v2, v99
	s_andn2_b32 exec_lo, exec_lo, s5
	s_cbranch_execnz .LBB107_65
; %bb.66:
	s_or_b32 exec_lo, exec_lo, s5
	v_mov_b32_e32 v5, 0
	ds_read_b64 v[5:6], v5 offset:104
	s_waitcnt lgkmcnt(0)
	v_mul_f32_e32 v7, v2, v6
	v_mul_f32_e32 v6, v8, v6
	v_fma_f32 v7, v8, v5, -v7
	v_fmac_f32_e32 v6, v2, v5
	buffer_store_dword v7, off, s[0:3], 0 offset:104
	buffer_store_dword v6, off, s[0:3], 0 offset:108
.LBB107_67:
	s_or_b32 exec_lo, exec_lo, s4
	s_waitcnt_vscnt null, 0x0
	s_barrier
	buffer_gl0_inv
	s_clause 0x1
	buffer_load_dword v5, off, s[0:3], 0 offset:112
	buffer_load_dword v6, off, s[0:3], 0 offset:116
	s_mov_b32 s4, exec_lo
	s_waitcnt vmcnt(0)
	ds_write_b64 v4, v[5:6]
	s_waitcnt lgkmcnt(0)
	s_barrier
	buffer_gl0_inv
	v_cmpx_gt_u32_e32 14, v0
	s_cbranch_execz .LBB107_71
; %bb.68:
	v_add_nc_u32_e32 v5, -1, v0
	v_add_nc_u32_e32 v6, 0x160, v3
	v_mov_b32_e32 v7, v3
	v_mov_b32_e32 v2, 0
	;; [unrolled: 1-line block ×3, first 2 shown]
	s_mov_b32 s5, 0
	.p2align	6
.LBB107_69:                             ; =>This Inner Loop Header: Depth=1
	s_clause 0x1
	buffer_load_dword v99, v7, s[0:3], 0 offen offset:4
	buffer_load_dword v100, v7, s[0:3], 0 offen
	ds_read_b64 v[97:98], v6
	v_add_nc_u32_e32 v5, 1, v5
	v_add_nc_u32_e32 v6, 8, v6
	;; [unrolled: 1-line block ×3, first 2 shown]
	v_cmp_lt_u32_e32 vcc_lo, 12, v5
	s_or_b32 s5, vcc_lo, s5
	s_waitcnt vmcnt(1) lgkmcnt(0)
	v_mul_f32_e32 v101, v98, v99
	v_mul_f32_e32 v99, v97, v99
	s_waitcnt vmcnt(0)
	v_fma_f32 v97, v97, v100, -v101
	v_fmac_f32_e32 v99, v98, v100
	v_add_f32_e32 v8, v8, v97
	v_add_f32_e32 v2, v2, v99
	s_andn2_b32 exec_lo, exec_lo, s5
	s_cbranch_execnz .LBB107_69
; %bb.70:
	s_or_b32 exec_lo, exec_lo, s5
	v_mov_b32_e32 v5, 0
	ds_read_b64 v[5:6], v5 offset:112
	s_waitcnt lgkmcnt(0)
	v_mul_f32_e32 v7, v2, v6
	v_mul_f32_e32 v6, v8, v6
	v_fma_f32 v7, v8, v5, -v7
	v_fmac_f32_e32 v6, v2, v5
	buffer_store_dword v7, off, s[0:3], 0 offset:112
	buffer_store_dword v6, off, s[0:3], 0 offset:116
.LBB107_71:
	s_or_b32 exec_lo, exec_lo, s4
	s_waitcnt_vscnt null, 0x0
	s_barrier
	buffer_gl0_inv
	s_clause 0x1
	buffer_load_dword v5, off, s[0:3], 0 offset:120
	buffer_load_dword v6, off, s[0:3], 0 offset:124
	s_mov_b32 s4, exec_lo
	s_waitcnt vmcnt(0)
	ds_write_b64 v4, v[5:6]
	s_waitcnt lgkmcnt(0)
	s_barrier
	buffer_gl0_inv
	v_cmpx_gt_u32_e32 15, v0
	s_cbranch_execz .LBB107_75
; %bb.72:
	v_add_nc_u32_e32 v5, -1, v0
	v_add_nc_u32_e32 v6, 0x160, v3
	v_mov_b32_e32 v7, v3
	v_mov_b32_e32 v2, 0
	;; [unrolled: 1-line block ×3, first 2 shown]
	s_mov_b32 s5, 0
	.p2align	6
.LBB107_73:                             ; =>This Inner Loop Header: Depth=1
	s_clause 0x1
	buffer_load_dword v99, v7, s[0:3], 0 offen offset:4
	buffer_load_dword v100, v7, s[0:3], 0 offen
	ds_read_b64 v[97:98], v6
	v_add_nc_u32_e32 v5, 1, v5
	v_add_nc_u32_e32 v6, 8, v6
	;; [unrolled: 1-line block ×3, first 2 shown]
	v_cmp_lt_u32_e32 vcc_lo, 13, v5
	s_or_b32 s5, vcc_lo, s5
	s_waitcnt vmcnt(1) lgkmcnt(0)
	v_mul_f32_e32 v101, v98, v99
	v_mul_f32_e32 v99, v97, v99
	s_waitcnt vmcnt(0)
	v_fma_f32 v97, v97, v100, -v101
	v_fmac_f32_e32 v99, v98, v100
	v_add_f32_e32 v8, v8, v97
	v_add_f32_e32 v2, v2, v99
	s_andn2_b32 exec_lo, exec_lo, s5
	s_cbranch_execnz .LBB107_73
; %bb.74:
	s_or_b32 exec_lo, exec_lo, s5
	v_mov_b32_e32 v5, 0
	ds_read_b64 v[5:6], v5 offset:120
	s_waitcnt lgkmcnt(0)
	v_mul_f32_e32 v7, v2, v6
	v_mul_f32_e32 v6, v8, v6
	v_fma_f32 v7, v8, v5, -v7
	v_fmac_f32_e32 v6, v2, v5
	buffer_store_dword v7, off, s[0:3], 0 offset:120
	buffer_store_dword v6, off, s[0:3], 0 offset:124
.LBB107_75:
	s_or_b32 exec_lo, exec_lo, s4
	s_waitcnt_vscnt null, 0x0
	s_barrier
	buffer_gl0_inv
	s_clause 0x1
	buffer_load_dword v5, off, s[0:3], 0 offset:128
	buffer_load_dword v6, off, s[0:3], 0 offset:132
	s_mov_b32 s4, exec_lo
	s_waitcnt vmcnt(0)
	ds_write_b64 v4, v[5:6]
	s_waitcnt lgkmcnt(0)
	s_barrier
	buffer_gl0_inv
	v_cmpx_gt_u32_e32 16, v0
	s_cbranch_execz .LBB107_79
; %bb.76:
	v_add_nc_u32_e32 v5, -1, v0
	v_add_nc_u32_e32 v6, 0x160, v3
	v_mov_b32_e32 v7, v3
	v_mov_b32_e32 v2, 0
	;; [unrolled: 1-line block ×3, first 2 shown]
	s_mov_b32 s5, 0
	.p2align	6
.LBB107_77:                             ; =>This Inner Loop Header: Depth=1
	s_clause 0x1
	buffer_load_dword v99, v7, s[0:3], 0 offen offset:4
	buffer_load_dword v100, v7, s[0:3], 0 offen
	ds_read_b64 v[97:98], v6
	v_add_nc_u32_e32 v5, 1, v5
	v_add_nc_u32_e32 v6, 8, v6
	;; [unrolled: 1-line block ×3, first 2 shown]
	v_cmp_lt_u32_e32 vcc_lo, 14, v5
	s_or_b32 s5, vcc_lo, s5
	s_waitcnt vmcnt(1) lgkmcnt(0)
	v_mul_f32_e32 v101, v98, v99
	v_mul_f32_e32 v99, v97, v99
	s_waitcnt vmcnt(0)
	v_fma_f32 v97, v97, v100, -v101
	v_fmac_f32_e32 v99, v98, v100
	v_add_f32_e32 v8, v8, v97
	v_add_f32_e32 v2, v2, v99
	s_andn2_b32 exec_lo, exec_lo, s5
	s_cbranch_execnz .LBB107_77
; %bb.78:
	s_or_b32 exec_lo, exec_lo, s5
	v_mov_b32_e32 v5, 0
	ds_read_b64 v[5:6], v5 offset:128
	s_waitcnt lgkmcnt(0)
	v_mul_f32_e32 v7, v2, v6
	v_mul_f32_e32 v6, v8, v6
	v_fma_f32 v7, v8, v5, -v7
	v_fmac_f32_e32 v6, v2, v5
	buffer_store_dword v7, off, s[0:3], 0 offset:128
	buffer_store_dword v6, off, s[0:3], 0 offset:132
.LBB107_79:
	s_or_b32 exec_lo, exec_lo, s4
	s_waitcnt_vscnt null, 0x0
	s_barrier
	buffer_gl0_inv
	s_clause 0x1
	buffer_load_dword v5, off, s[0:3], 0 offset:136
	buffer_load_dword v6, off, s[0:3], 0 offset:140
	s_mov_b32 s4, exec_lo
	s_waitcnt vmcnt(0)
	ds_write_b64 v4, v[5:6]
	s_waitcnt lgkmcnt(0)
	s_barrier
	buffer_gl0_inv
	v_cmpx_gt_u32_e32 17, v0
	s_cbranch_execz .LBB107_83
; %bb.80:
	v_add_nc_u32_e32 v5, -1, v0
	v_add_nc_u32_e32 v6, 0x160, v3
	v_mov_b32_e32 v7, v3
	v_mov_b32_e32 v2, 0
	;; [unrolled: 1-line block ×3, first 2 shown]
	s_mov_b32 s5, 0
	.p2align	6
.LBB107_81:                             ; =>This Inner Loop Header: Depth=1
	s_clause 0x1
	buffer_load_dword v99, v7, s[0:3], 0 offen offset:4
	buffer_load_dword v100, v7, s[0:3], 0 offen
	ds_read_b64 v[97:98], v6
	v_add_nc_u32_e32 v5, 1, v5
	v_add_nc_u32_e32 v6, 8, v6
	;; [unrolled: 1-line block ×3, first 2 shown]
	v_cmp_lt_u32_e32 vcc_lo, 15, v5
	s_or_b32 s5, vcc_lo, s5
	s_waitcnt vmcnt(1) lgkmcnt(0)
	v_mul_f32_e32 v101, v98, v99
	v_mul_f32_e32 v99, v97, v99
	s_waitcnt vmcnt(0)
	v_fma_f32 v97, v97, v100, -v101
	v_fmac_f32_e32 v99, v98, v100
	v_add_f32_e32 v8, v8, v97
	v_add_f32_e32 v2, v2, v99
	s_andn2_b32 exec_lo, exec_lo, s5
	s_cbranch_execnz .LBB107_81
; %bb.82:
	s_or_b32 exec_lo, exec_lo, s5
	v_mov_b32_e32 v5, 0
	ds_read_b64 v[5:6], v5 offset:136
	s_waitcnt lgkmcnt(0)
	v_mul_f32_e32 v7, v2, v6
	v_mul_f32_e32 v6, v8, v6
	v_fma_f32 v7, v8, v5, -v7
	v_fmac_f32_e32 v6, v2, v5
	buffer_store_dword v7, off, s[0:3], 0 offset:136
	buffer_store_dword v6, off, s[0:3], 0 offset:140
.LBB107_83:
	s_or_b32 exec_lo, exec_lo, s4
	s_waitcnt_vscnt null, 0x0
	s_barrier
	buffer_gl0_inv
	s_clause 0x1
	buffer_load_dword v5, off, s[0:3], 0 offset:144
	buffer_load_dword v6, off, s[0:3], 0 offset:148
	s_mov_b32 s4, exec_lo
	s_waitcnt vmcnt(0)
	ds_write_b64 v4, v[5:6]
	s_waitcnt lgkmcnt(0)
	s_barrier
	buffer_gl0_inv
	v_cmpx_gt_u32_e32 18, v0
	s_cbranch_execz .LBB107_87
; %bb.84:
	v_add_nc_u32_e32 v5, -1, v0
	v_add_nc_u32_e32 v6, 0x160, v3
	v_mov_b32_e32 v7, v3
	v_mov_b32_e32 v2, 0
	;; [unrolled: 1-line block ×3, first 2 shown]
	s_mov_b32 s5, 0
	.p2align	6
.LBB107_85:                             ; =>This Inner Loop Header: Depth=1
	s_clause 0x1
	buffer_load_dword v99, v7, s[0:3], 0 offen offset:4
	buffer_load_dword v100, v7, s[0:3], 0 offen
	ds_read_b64 v[97:98], v6
	v_add_nc_u32_e32 v5, 1, v5
	v_add_nc_u32_e32 v6, 8, v6
	;; [unrolled: 1-line block ×3, first 2 shown]
	v_cmp_lt_u32_e32 vcc_lo, 16, v5
	s_or_b32 s5, vcc_lo, s5
	s_waitcnt vmcnt(1) lgkmcnt(0)
	v_mul_f32_e32 v101, v98, v99
	v_mul_f32_e32 v99, v97, v99
	s_waitcnt vmcnt(0)
	v_fma_f32 v97, v97, v100, -v101
	v_fmac_f32_e32 v99, v98, v100
	v_add_f32_e32 v8, v8, v97
	v_add_f32_e32 v2, v2, v99
	s_andn2_b32 exec_lo, exec_lo, s5
	s_cbranch_execnz .LBB107_85
; %bb.86:
	s_or_b32 exec_lo, exec_lo, s5
	v_mov_b32_e32 v5, 0
	ds_read_b64 v[5:6], v5 offset:144
	s_waitcnt lgkmcnt(0)
	v_mul_f32_e32 v7, v2, v6
	v_mul_f32_e32 v6, v8, v6
	v_fma_f32 v7, v8, v5, -v7
	v_fmac_f32_e32 v6, v2, v5
	buffer_store_dword v7, off, s[0:3], 0 offset:144
	buffer_store_dword v6, off, s[0:3], 0 offset:148
.LBB107_87:
	s_or_b32 exec_lo, exec_lo, s4
	s_waitcnt_vscnt null, 0x0
	s_barrier
	buffer_gl0_inv
	s_clause 0x1
	buffer_load_dword v5, off, s[0:3], 0 offset:152
	buffer_load_dword v6, off, s[0:3], 0 offset:156
	s_mov_b32 s4, exec_lo
	s_waitcnt vmcnt(0)
	ds_write_b64 v4, v[5:6]
	s_waitcnt lgkmcnt(0)
	s_barrier
	buffer_gl0_inv
	v_cmpx_gt_u32_e32 19, v0
	s_cbranch_execz .LBB107_91
; %bb.88:
	v_add_nc_u32_e32 v5, -1, v0
	v_add_nc_u32_e32 v6, 0x160, v3
	v_mov_b32_e32 v7, v3
	v_mov_b32_e32 v2, 0
	;; [unrolled: 1-line block ×3, first 2 shown]
	s_mov_b32 s5, 0
	.p2align	6
.LBB107_89:                             ; =>This Inner Loop Header: Depth=1
	s_clause 0x1
	buffer_load_dword v99, v7, s[0:3], 0 offen offset:4
	buffer_load_dword v100, v7, s[0:3], 0 offen
	ds_read_b64 v[97:98], v6
	v_add_nc_u32_e32 v5, 1, v5
	v_add_nc_u32_e32 v6, 8, v6
	;; [unrolled: 1-line block ×3, first 2 shown]
	v_cmp_lt_u32_e32 vcc_lo, 17, v5
	s_or_b32 s5, vcc_lo, s5
	s_waitcnt vmcnt(1) lgkmcnt(0)
	v_mul_f32_e32 v101, v98, v99
	v_mul_f32_e32 v99, v97, v99
	s_waitcnt vmcnt(0)
	v_fma_f32 v97, v97, v100, -v101
	v_fmac_f32_e32 v99, v98, v100
	v_add_f32_e32 v8, v8, v97
	v_add_f32_e32 v2, v2, v99
	s_andn2_b32 exec_lo, exec_lo, s5
	s_cbranch_execnz .LBB107_89
; %bb.90:
	s_or_b32 exec_lo, exec_lo, s5
	v_mov_b32_e32 v5, 0
	ds_read_b64 v[5:6], v5 offset:152
	s_waitcnt lgkmcnt(0)
	v_mul_f32_e32 v7, v2, v6
	v_mul_f32_e32 v6, v8, v6
	v_fma_f32 v7, v8, v5, -v7
	v_fmac_f32_e32 v6, v2, v5
	buffer_store_dword v7, off, s[0:3], 0 offset:152
	buffer_store_dword v6, off, s[0:3], 0 offset:156
.LBB107_91:
	s_or_b32 exec_lo, exec_lo, s4
	s_waitcnt_vscnt null, 0x0
	s_barrier
	buffer_gl0_inv
	s_clause 0x1
	buffer_load_dword v5, off, s[0:3], 0 offset:160
	buffer_load_dword v6, off, s[0:3], 0 offset:164
	s_mov_b32 s4, exec_lo
	s_waitcnt vmcnt(0)
	ds_write_b64 v4, v[5:6]
	s_waitcnt lgkmcnt(0)
	s_barrier
	buffer_gl0_inv
	v_cmpx_gt_u32_e32 20, v0
	s_cbranch_execz .LBB107_95
; %bb.92:
	v_add_nc_u32_e32 v5, -1, v0
	v_add_nc_u32_e32 v6, 0x160, v3
	v_mov_b32_e32 v7, v3
	v_mov_b32_e32 v2, 0
	v_mov_b32_e32 v8, 0
	s_mov_b32 s5, 0
	.p2align	6
.LBB107_93:                             ; =>This Inner Loop Header: Depth=1
	s_clause 0x1
	buffer_load_dword v99, v7, s[0:3], 0 offen offset:4
	buffer_load_dword v100, v7, s[0:3], 0 offen
	ds_read_b64 v[97:98], v6
	v_add_nc_u32_e32 v5, 1, v5
	v_add_nc_u32_e32 v6, 8, v6
	;; [unrolled: 1-line block ×3, first 2 shown]
	v_cmp_lt_u32_e32 vcc_lo, 18, v5
	s_or_b32 s5, vcc_lo, s5
	s_waitcnt vmcnt(1) lgkmcnt(0)
	v_mul_f32_e32 v101, v98, v99
	v_mul_f32_e32 v99, v97, v99
	s_waitcnt vmcnt(0)
	v_fma_f32 v97, v97, v100, -v101
	v_fmac_f32_e32 v99, v98, v100
	v_add_f32_e32 v8, v8, v97
	v_add_f32_e32 v2, v2, v99
	s_andn2_b32 exec_lo, exec_lo, s5
	s_cbranch_execnz .LBB107_93
; %bb.94:
	s_or_b32 exec_lo, exec_lo, s5
	v_mov_b32_e32 v5, 0
	ds_read_b64 v[5:6], v5 offset:160
	s_waitcnt lgkmcnt(0)
	v_mul_f32_e32 v7, v2, v6
	v_mul_f32_e32 v6, v8, v6
	v_fma_f32 v7, v8, v5, -v7
	v_fmac_f32_e32 v6, v2, v5
	buffer_store_dword v7, off, s[0:3], 0 offset:160
	buffer_store_dword v6, off, s[0:3], 0 offset:164
.LBB107_95:
	s_or_b32 exec_lo, exec_lo, s4
	s_waitcnt_vscnt null, 0x0
	s_barrier
	buffer_gl0_inv
	s_clause 0x1
	buffer_load_dword v5, off, s[0:3], 0 offset:168
	buffer_load_dword v6, off, s[0:3], 0 offset:172
	s_mov_b32 s4, exec_lo
	s_waitcnt vmcnt(0)
	ds_write_b64 v4, v[5:6]
	s_waitcnt lgkmcnt(0)
	s_barrier
	buffer_gl0_inv
	v_cmpx_gt_u32_e32 21, v0
	s_cbranch_execz .LBB107_99
; %bb.96:
	v_add_nc_u32_e32 v5, -1, v0
	v_add_nc_u32_e32 v6, 0x160, v3
	v_mov_b32_e32 v7, v3
	v_mov_b32_e32 v2, 0
	;; [unrolled: 1-line block ×3, first 2 shown]
	s_mov_b32 s5, 0
	.p2align	6
.LBB107_97:                             ; =>This Inner Loop Header: Depth=1
	s_clause 0x1
	buffer_load_dword v99, v7, s[0:3], 0 offen offset:4
	buffer_load_dword v100, v7, s[0:3], 0 offen
	ds_read_b64 v[97:98], v6
	v_add_nc_u32_e32 v5, 1, v5
	v_add_nc_u32_e32 v6, 8, v6
	;; [unrolled: 1-line block ×3, first 2 shown]
	v_cmp_lt_u32_e32 vcc_lo, 19, v5
	s_or_b32 s5, vcc_lo, s5
	s_waitcnt vmcnt(1) lgkmcnt(0)
	v_mul_f32_e32 v101, v98, v99
	v_mul_f32_e32 v99, v97, v99
	s_waitcnt vmcnt(0)
	v_fma_f32 v97, v97, v100, -v101
	v_fmac_f32_e32 v99, v98, v100
	v_add_f32_e32 v8, v8, v97
	v_add_f32_e32 v2, v2, v99
	s_andn2_b32 exec_lo, exec_lo, s5
	s_cbranch_execnz .LBB107_97
; %bb.98:
	s_or_b32 exec_lo, exec_lo, s5
	v_mov_b32_e32 v5, 0
	ds_read_b64 v[5:6], v5 offset:168
	s_waitcnt lgkmcnt(0)
	v_mul_f32_e32 v7, v2, v6
	v_mul_f32_e32 v6, v8, v6
	v_fma_f32 v7, v8, v5, -v7
	v_fmac_f32_e32 v6, v2, v5
	buffer_store_dword v7, off, s[0:3], 0 offset:168
	buffer_store_dword v6, off, s[0:3], 0 offset:172
.LBB107_99:
	s_or_b32 exec_lo, exec_lo, s4
	s_waitcnt_vscnt null, 0x0
	s_barrier
	buffer_gl0_inv
	s_clause 0x1
	buffer_load_dword v5, off, s[0:3], 0 offset:176
	buffer_load_dword v6, off, s[0:3], 0 offset:180
	s_mov_b32 s4, exec_lo
	s_waitcnt vmcnt(0)
	ds_write_b64 v4, v[5:6]
	s_waitcnt lgkmcnt(0)
	s_barrier
	buffer_gl0_inv
	v_cmpx_gt_u32_e32 22, v0
	s_cbranch_execz .LBB107_103
; %bb.100:
	v_add_nc_u32_e32 v5, -1, v0
	v_add_nc_u32_e32 v6, 0x160, v3
	v_mov_b32_e32 v7, v3
	v_mov_b32_e32 v2, 0
	v_mov_b32_e32 v8, 0
	s_mov_b32 s5, 0
	.p2align	6
.LBB107_101:                            ; =>This Inner Loop Header: Depth=1
	s_clause 0x1
	buffer_load_dword v99, v7, s[0:3], 0 offen offset:4
	buffer_load_dword v100, v7, s[0:3], 0 offen
	ds_read_b64 v[97:98], v6
	v_add_nc_u32_e32 v5, 1, v5
	v_add_nc_u32_e32 v6, 8, v6
	;; [unrolled: 1-line block ×3, first 2 shown]
	v_cmp_lt_u32_e32 vcc_lo, 20, v5
	s_or_b32 s5, vcc_lo, s5
	s_waitcnt vmcnt(1) lgkmcnt(0)
	v_mul_f32_e32 v101, v98, v99
	v_mul_f32_e32 v99, v97, v99
	s_waitcnt vmcnt(0)
	v_fma_f32 v97, v97, v100, -v101
	v_fmac_f32_e32 v99, v98, v100
	v_add_f32_e32 v8, v8, v97
	v_add_f32_e32 v2, v2, v99
	s_andn2_b32 exec_lo, exec_lo, s5
	s_cbranch_execnz .LBB107_101
; %bb.102:
	s_or_b32 exec_lo, exec_lo, s5
	v_mov_b32_e32 v5, 0
	ds_read_b64 v[5:6], v5 offset:176
	s_waitcnt lgkmcnt(0)
	v_mul_f32_e32 v7, v2, v6
	v_mul_f32_e32 v6, v8, v6
	v_fma_f32 v7, v8, v5, -v7
	v_fmac_f32_e32 v6, v2, v5
	buffer_store_dword v7, off, s[0:3], 0 offset:176
	buffer_store_dword v6, off, s[0:3], 0 offset:180
.LBB107_103:
	s_or_b32 exec_lo, exec_lo, s4
	s_waitcnt_vscnt null, 0x0
	s_barrier
	buffer_gl0_inv
	s_clause 0x1
	buffer_load_dword v5, off, s[0:3], 0 offset:184
	buffer_load_dword v6, off, s[0:3], 0 offset:188
	s_mov_b32 s4, exec_lo
	s_waitcnt vmcnt(0)
	ds_write_b64 v4, v[5:6]
	s_waitcnt lgkmcnt(0)
	s_barrier
	buffer_gl0_inv
	v_cmpx_gt_u32_e32 23, v0
	s_cbranch_execz .LBB107_107
; %bb.104:
	v_add_nc_u32_e32 v5, -1, v0
	v_add_nc_u32_e32 v6, 0x160, v3
	v_mov_b32_e32 v7, v3
	v_mov_b32_e32 v2, 0
	;; [unrolled: 1-line block ×3, first 2 shown]
	s_mov_b32 s5, 0
	.p2align	6
.LBB107_105:                            ; =>This Inner Loop Header: Depth=1
	s_clause 0x1
	buffer_load_dword v99, v7, s[0:3], 0 offen offset:4
	buffer_load_dword v100, v7, s[0:3], 0 offen
	ds_read_b64 v[97:98], v6
	v_add_nc_u32_e32 v5, 1, v5
	v_add_nc_u32_e32 v6, 8, v6
	;; [unrolled: 1-line block ×3, first 2 shown]
	v_cmp_lt_u32_e32 vcc_lo, 21, v5
	s_or_b32 s5, vcc_lo, s5
	s_waitcnt vmcnt(1) lgkmcnt(0)
	v_mul_f32_e32 v101, v98, v99
	v_mul_f32_e32 v99, v97, v99
	s_waitcnt vmcnt(0)
	v_fma_f32 v97, v97, v100, -v101
	v_fmac_f32_e32 v99, v98, v100
	v_add_f32_e32 v8, v8, v97
	v_add_f32_e32 v2, v2, v99
	s_andn2_b32 exec_lo, exec_lo, s5
	s_cbranch_execnz .LBB107_105
; %bb.106:
	s_or_b32 exec_lo, exec_lo, s5
	v_mov_b32_e32 v5, 0
	ds_read_b64 v[5:6], v5 offset:184
	s_waitcnt lgkmcnt(0)
	v_mul_f32_e32 v7, v2, v6
	v_mul_f32_e32 v6, v8, v6
	v_fma_f32 v7, v8, v5, -v7
	v_fmac_f32_e32 v6, v2, v5
	buffer_store_dword v7, off, s[0:3], 0 offset:184
	buffer_store_dword v6, off, s[0:3], 0 offset:188
.LBB107_107:
	s_or_b32 exec_lo, exec_lo, s4
	s_waitcnt_vscnt null, 0x0
	s_barrier
	buffer_gl0_inv
	s_clause 0x1
	buffer_load_dword v5, off, s[0:3], 0 offset:192
	buffer_load_dword v6, off, s[0:3], 0 offset:196
	s_mov_b32 s4, exec_lo
	s_waitcnt vmcnt(0)
	ds_write_b64 v4, v[5:6]
	s_waitcnt lgkmcnt(0)
	s_barrier
	buffer_gl0_inv
	v_cmpx_gt_u32_e32 24, v0
	s_cbranch_execz .LBB107_111
; %bb.108:
	v_add_nc_u32_e32 v5, -1, v0
	v_add_nc_u32_e32 v6, 0x160, v3
	v_mov_b32_e32 v7, v3
	v_mov_b32_e32 v2, 0
	;; [unrolled: 1-line block ×3, first 2 shown]
	s_mov_b32 s5, 0
	.p2align	6
.LBB107_109:                            ; =>This Inner Loop Header: Depth=1
	s_clause 0x1
	buffer_load_dword v99, v7, s[0:3], 0 offen offset:4
	buffer_load_dword v100, v7, s[0:3], 0 offen
	ds_read_b64 v[97:98], v6
	v_add_nc_u32_e32 v5, 1, v5
	v_add_nc_u32_e32 v6, 8, v6
	;; [unrolled: 1-line block ×3, first 2 shown]
	v_cmp_lt_u32_e32 vcc_lo, 22, v5
	s_or_b32 s5, vcc_lo, s5
	s_waitcnt vmcnt(1) lgkmcnt(0)
	v_mul_f32_e32 v101, v98, v99
	v_mul_f32_e32 v99, v97, v99
	s_waitcnt vmcnt(0)
	v_fma_f32 v97, v97, v100, -v101
	v_fmac_f32_e32 v99, v98, v100
	v_add_f32_e32 v8, v8, v97
	v_add_f32_e32 v2, v2, v99
	s_andn2_b32 exec_lo, exec_lo, s5
	s_cbranch_execnz .LBB107_109
; %bb.110:
	s_or_b32 exec_lo, exec_lo, s5
	v_mov_b32_e32 v5, 0
	ds_read_b64 v[5:6], v5 offset:192
	s_waitcnt lgkmcnt(0)
	v_mul_f32_e32 v7, v2, v6
	v_mul_f32_e32 v6, v8, v6
	v_fma_f32 v7, v8, v5, -v7
	v_fmac_f32_e32 v6, v2, v5
	buffer_store_dword v7, off, s[0:3], 0 offset:192
	buffer_store_dword v6, off, s[0:3], 0 offset:196
.LBB107_111:
	s_or_b32 exec_lo, exec_lo, s4
	s_waitcnt_vscnt null, 0x0
	s_barrier
	buffer_gl0_inv
	s_clause 0x1
	buffer_load_dword v5, off, s[0:3], 0 offset:200
	buffer_load_dword v6, off, s[0:3], 0 offset:204
	s_mov_b32 s4, exec_lo
	s_waitcnt vmcnt(0)
	ds_write_b64 v4, v[5:6]
	s_waitcnt lgkmcnt(0)
	s_barrier
	buffer_gl0_inv
	v_cmpx_gt_u32_e32 25, v0
	s_cbranch_execz .LBB107_115
; %bb.112:
	v_add_nc_u32_e32 v5, -1, v0
	v_add_nc_u32_e32 v6, 0x160, v3
	v_mov_b32_e32 v7, v3
	v_mov_b32_e32 v2, 0
	;; [unrolled: 1-line block ×3, first 2 shown]
	s_mov_b32 s5, 0
	.p2align	6
.LBB107_113:                            ; =>This Inner Loop Header: Depth=1
	s_clause 0x1
	buffer_load_dword v99, v7, s[0:3], 0 offen offset:4
	buffer_load_dword v100, v7, s[0:3], 0 offen
	ds_read_b64 v[97:98], v6
	v_add_nc_u32_e32 v5, 1, v5
	v_add_nc_u32_e32 v6, 8, v6
	;; [unrolled: 1-line block ×3, first 2 shown]
	v_cmp_lt_u32_e32 vcc_lo, 23, v5
	s_or_b32 s5, vcc_lo, s5
	s_waitcnt vmcnt(1) lgkmcnt(0)
	v_mul_f32_e32 v101, v98, v99
	v_mul_f32_e32 v99, v97, v99
	s_waitcnt vmcnt(0)
	v_fma_f32 v97, v97, v100, -v101
	v_fmac_f32_e32 v99, v98, v100
	v_add_f32_e32 v8, v8, v97
	v_add_f32_e32 v2, v2, v99
	s_andn2_b32 exec_lo, exec_lo, s5
	s_cbranch_execnz .LBB107_113
; %bb.114:
	s_or_b32 exec_lo, exec_lo, s5
	v_mov_b32_e32 v5, 0
	ds_read_b64 v[5:6], v5 offset:200
	s_waitcnt lgkmcnt(0)
	v_mul_f32_e32 v7, v2, v6
	v_mul_f32_e32 v6, v8, v6
	v_fma_f32 v7, v8, v5, -v7
	v_fmac_f32_e32 v6, v2, v5
	buffer_store_dword v7, off, s[0:3], 0 offset:200
	buffer_store_dword v6, off, s[0:3], 0 offset:204
.LBB107_115:
	s_or_b32 exec_lo, exec_lo, s4
	s_waitcnt_vscnt null, 0x0
	s_barrier
	buffer_gl0_inv
	s_clause 0x1
	buffer_load_dword v5, off, s[0:3], 0 offset:208
	buffer_load_dword v6, off, s[0:3], 0 offset:212
	s_mov_b32 s4, exec_lo
	s_waitcnt vmcnt(0)
	ds_write_b64 v4, v[5:6]
	s_waitcnt lgkmcnt(0)
	s_barrier
	buffer_gl0_inv
	v_cmpx_gt_u32_e32 26, v0
	s_cbranch_execz .LBB107_119
; %bb.116:
	v_add_nc_u32_e32 v5, -1, v0
	v_add_nc_u32_e32 v6, 0x160, v3
	v_mov_b32_e32 v7, v3
	v_mov_b32_e32 v2, 0
	;; [unrolled: 1-line block ×3, first 2 shown]
	s_mov_b32 s5, 0
	.p2align	6
.LBB107_117:                            ; =>This Inner Loop Header: Depth=1
	s_clause 0x1
	buffer_load_dword v99, v7, s[0:3], 0 offen offset:4
	buffer_load_dword v100, v7, s[0:3], 0 offen
	ds_read_b64 v[97:98], v6
	v_add_nc_u32_e32 v5, 1, v5
	v_add_nc_u32_e32 v6, 8, v6
	v_add_nc_u32_e32 v7, 8, v7
	v_cmp_lt_u32_e32 vcc_lo, 24, v5
	s_or_b32 s5, vcc_lo, s5
	s_waitcnt vmcnt(1) lgkmcnt(0)
	v_mul_f32_e32 v101, v98, v99
	v_mul_f32_e32 v99, v97, v99
	s_waitcnt vmcnt(0)
	v_fma_f32 v97, v97, v100, -v101
	v_fmac_f32_e32 v99, v98, v100
	v_add_f32_e32 v8, v8, v97
	v_add_f32_e32 v2, v2, v99
	s_andn2_b32 exec_lo, exec_lo, s5
	s_cbranch_execnz .LBB107_117
; %bb.118:
	s_or_b32 exec_lo, exec_lo, s5
	v_mov_b32_e32 v5, 0
	ds_read_b64 v[5:6], v5 offset:208
	s_waitcnt lgkmcnt(0)
	v_mul_f32_e32 v7, v2, v6
	v_mul_f32_e32 v6, v8, v6
	v_fma_f32 v7, v8, v5, -v7
	v_fmac_f32_e32 v6, v2, v5
	buffer_store_dword v7, off, s[0:3], 0 offset:208
	buffer_store_dword v6, off, s[0:3], 0 offset:212
.LBB107_119:
	s_or_b32 exec_lo, exec_lo, s4
	s_waitcnt_vscnt null, 0x0
	s_barrier
	buffer_gl0_inv
	s_clause 0x1
	buffer_load_dword v5, off, s[0:3], 0 offset:216
	buffer_load_dword v6, off, s[0:3], 0 offset:220
	s_mov_b32 s4, exec_lo
	s_waitcnt vmcnt(0)
	ds_write_b64 v4, v[5:6]
	s_waitcnt lgkmcnt(0)
	s_barrier
	buffer_gl0_inv
	v_cmpx_gt_u32_e32 27, v0
	s_cbranch_execz .LBB107_123
; %bb.120:
	v_add_nc_u32_e32 v5, -1, v0
	v_add_nc_u32_e32 v6, 0x160, v3
	v_mov_b32_e32 v7, v3
	v_mov_b32_e32 v2, 0
	;; [unrolled: 1-line block ×3, first 2 shown]
	s_mov_b32 s5, 0
	.p2align	6
.LBB107_121:                            ; =>This Inner Loop Header: Depth=1
	s_clause 0x1
	buffer_load_dword v99, v7, s[0:3], 0 offen offset:4
	buffer_load_dword v100, v7, s[0:3], 0 offen
	ds_read_b64 v[97:98], v6
	v_add_nc_u32_e32 v5, 1, v5
	v_add_nc_u32_e32 v6, 8, v6
	;; [unrolled: 1-line block ×3, first 2 shown]
	v_cmp_lt_u32_e32 vcc_lo, 25, v5
	s_or_b32 s5, vcc_lo, s5
	s_waitcnt vmcnt(1) lgkmcnt(0)
	v_mul_f32_e32 v101, v98, v99
	v_mul_f32_e32 v99, v97, v99
	s_waitcnt vmcnt(0)
	v_fma_f32 v97, v97, v100, -v101
	v_fmac_f32_e32 v99, v98, v100
	v_add_f32_e32 v8, v8, v97
	v_add_f32_e32 v2, v2, v99
	s_andn2_b32 exec_lo, exec_lo, s5
	s_cbranch_execnz .LBB107_121
; %bb.122:
	s_or_b32 exec_lo, exec_lo, s5
	v_mov_b32_e32 v5, 0
	ds_read_b64 v[5:6], v5 offset:216
	s_waitcnt lgkmcnt(0)
	v_mul_f32_e32 v7, v2, v6
	v_mul_f32_e32 v6, v8, v6
	v_fma_f32 v7, v8, v5, -v7
	v_fmac_f32_e32 v6, v2, v5
	buffer_store_dword v7, off, s[0:3], 0 offset:216
	buffer_store_dword v6, off, s[0:3], 0 offset:220
.LBB107_123:
	s_or_b32 exec_lo, exec_lo, s4
	s_waitcnt_vscnt null, 0x0
	s_barrier
	buffer_gl0_inv
	s_clause 0x1
	buffer_load_dword v5, off, s[0:3], 0 offset:224
	buffer_load_dword v6, off, s[0:3], 0 offset:228
	s_mov_b32 s4, exec_lo
	s_waitcnt vmcnt(0)
	ds_write_b64 v4, v[5:6]
	s_waitcnt lgkmcnt(0)
	s_barrier
	buffer_gl0_inv
	v_cmpx_gt_u32_e32 28, v0
	s_cbranch_execz .LBB107_127
; %bb.124:
	v_add_nc_u32_e32 v5, -1, v0
	v_add_nc_u32_e32 v6, 0x160, v3
	v_mov_b32_e32 v7, v3
	v_mov_b32_e32 v2, 0
	;; [unrolled: 1-line block ×3, first 2 shown]
	s_mov_b32 s5, 0
	.p2align	6
.LBB107_125:                            ; =>This Inner Loop Header: Depth=1
	s_clause 0x1
	buffer_load_dword v99, v7, s[0:3], 0 offen offset:4
	buffer_load_dword v100, v7, s[0:3], 0 offen
	ds_read_b64 v[97:98], v6
	v_add_nc_u32_e32 v5, 1, v5
	v_add_nc_u32_e32 v6, 8, v6
	;; [unrolled: 1-line block ×3, first 2 shown]
	v_cmp_lt_u32_e32 vcc_lo, 26, v5
	s_or_b32 s5, vcc_lo, s5
	s_waitcnt vmcnt(1) lgkmcnt(0)
	v_mul_f32_e32 v101, v98, v99
	v_mul_f32_e32 v99, v97, v99
	s_waitcnt vmcnt(0)
	v_fma_f32 v97, v97, v100, -v101
	v_fmac_f32_e32 v99, v98, v100
	v_add_f32_e32 v8, v8, v97
	v_add_f32_e32 v2, v2, v99
	s_andn2_b32 exec_lo, exec_lo, s5
	s_cbranch_execnz .LBB107_125
; %bb.126:
	s_or_b32 exec_lo, exec_lo, s5
	v_mov_b32_e32 v5, 0
	ds_read_b64 v[5:6], v5 offset:224
	s_waitcnt lgkmcnt(0)
	v_mul_f32_e32 v7, v2, v6
	v_mul_f32_e32 v6, v8, v6
	v_fma_f32 v7, v8, v5, -v7
	v_fmac_f32_e32 v6, v2, v5
	buffer_store_dword v7, off, s[0:3], 0 offset:224
	buffer_store_dword v6, off, s[0:3], 0 offset:228
.LBB107_127:
	s_or_b32 exec_lo, exec_lo, s4
	s_waitcnt_vscnt null, 0x0
	s_barrier
	buffer_gl0_inv
	s_clause 0x1
	buffer_load_dword v5, off, s[0:3], 0 offset:232
	buffer_load_dword v6, off, s[0:3], 0 offset:236
	s_mov_b32 s4, exec_lo
	s_waitcnt vmcnt(0)
	ds_write_b64 v4, v[5:6]
	s_waitcnt lgkmcnt(0)
	s_barrier
	buffer_gl0_inv
	v_cmpx_gt_u32_e32 29, v0
	s_cbranch_execz .LBB107_131
; %bb.128:
	v_add_nc_u32_e32 v5, -1, v0
	v_add_nc_u32_e32 v6, 0x160, v3
	v_mov_b32_e32 v7, v3
	v_mov_b32_e32 v2, 0
	v_mov_b32_e32 v8, 0
	s_mov_b32 s5, 0
	.p2align	6
.LBB107_129:                            ; =>This Inner Loop Header: Depth=1
	s_clause 0x1
	buffer_load_dword v99, v7, s[0:3], 0 offen offset:4
	buffer_load_dword v100, v7, s[0:3], 0 offen
	ds_read_b64 v[97:98], v6
	v_add_nc_u32_e32 v5, 1, v5
	v_add_nc_u32_e32 v6, 8, v6
	;; [unrolled: 1-line block ×3, first 2 shown]
	v_cmp_lt_u32_e32 vcc_lo, 27, v5
	s_or_b32 s5, vcc_lo, s5
	s_waitcnt vmcnt(1) lgkmcnt(0)
	v_mul_f32_e32 v101, v98, v99
	v_mul_f32_e32 v99, v97, v99
	s_waitcnt vmcnt(0)
	v_fma_f32 v97, v97, v100, -v101
	v_fmac_f32_e32 v99, v98, v100
	v_add_f32_e32 v8, v8, v97
	v_add_f32_e32 v2, v2, v99
	s_andn2_b32 exec_lo, exec_lo, s5
	s_cbranch_execnz .LBB107_129
; %bb.130:
	s_or_b32 exec_lo, exec_lo, s5
	v_mov_b32_e32 v5, 0
	ds_read_b64 v[5:6], v5 offset:232
	s_waitcnt lgkmcnt(0)
	v_mul_f32_e32 v7, v2, v6
	v_mul_f32_e32 v6, v8, v6
	v_fma_f32 v7, v8, v5, -v7
	v_fmac_f32_e32 v6, v2, v5
	buffer_store_dword v7, off, s[0:3], 0 offset:232
	buffer_store_dword v6, off, s[0:3], 0 offset:236
.LBB107_131:
	s_or_b32 exec_lo, exec_lo, s4
	s_waitcnt_vscnt null, 0x0
	s_barrier
	buffer_gl0_inv
	s_clause 0x1
	buffer_load_dword v5, off, s[0:3], 0 offset:240
	buffer_load_dword v6, off, s[0:3], 0 offset:244
	s_mov_b32 s4, exec_lo
	s_waitcnt vmcnt(0)
	ds_write_b64 v4, v[5:6]
	s_waitcnt lgkmcnt(0)
	s_barrier
	buffer_gl0_inv
	v_cmpx_gt_u32_e32 30, v0
	s_cbranch_execz .LBB107_135
; %bb.132:
	v_add_nc_u32_e32 v5, -1, v0
	v_add_nc_u32_e32 v6, 0x160, v3
	v_mov_b32_e32 v7, v3
	v_mov_b32_e32 v2, 0
	;; [unrolled: 1-line block ×3, first 2 shown]
	s_mov_b32 s5, 0
	.p2align	6
.LBB107_133:                            ; =>This Inner Loop Header: Depth=1
	s_clause 0x1
	buffer_load_dword v99, v7, s[0:3], 0 offen offset:4
	buffer_load_dword v100, v7, s[0:3], 0 offen
	ds_read_b64 v[97:98], v6
	v_add_nc_u32_e32 v5, 1, v5
	v_add_nc_u32_e32 v6, 8, v6
	;; [unrolled: 1-line block ×3, first 2 shown]
	v_cmp_lt_u32_e32 vcc_lo, 28, v5
	s_or_b32 s5, vcc_lo, s5
	s_waitcnt vmcnt(1) lgkmcnt(0)
	v_mul_f32_e32 v101, v98, v99
	v_mul_f32_e32 v99, v97, v99
	s_waitcnt vmcnt(0)
	v_fma_f32 v97, v97, v100, -v101
	v_fmac_f32_e32 v99, v98, v100
	v_add_f32_e32 v8, v8, v97
	v_add_f32_e32 v2, v2, v99
	s_andn2_b32 exec_lo, exec_lo, s5
	s_cbranch_execnz .LBB107_133
; %bb.134:
	s_or_b32 exec_lo, exec_lo, s5
	v_mov_b32_e32 v5, 0
	ds_read_b64 v[5:6], v5 offset:240
	s_waitcnt lgkmcnt(0)
	v_mul_f32_e32 v7, v2, v6
	v_mul_f32_e32 v6, v8, v6
	v_fma_f32 v7, v8, v5, -v7
	v_fmac_f32_e32 v6, v2, v5
	buffer_store_dword v7, off, s[0:3], 0 offset:240
	buffer_store_dword v6, off, s[0:3], 0 offset:244
.LBB107_135:
	s_or_b32 exec_lo, exec_lo, s4
	s_waitcnt_vscnt null, 0x0
	s_barrier
	buffer_gl0_inv
	s_clause 0x1
	buffer_load_dword v5, off, s[0:3], 0 offset:248
	buffer_load_dword v6, off, s[0:3], 0 offset:252
	s_mov_b32 s4, exec_lo
	s_waitcnt vmcnt(0)
	ds_write_b64 v4, v[5:6]
	s_waitcnt lgkmcnt(0)
	s_barrier
	buffer_gl0_inv
	v_cmpx_gt_u32_e32 31, v0
	s_cbranch_execz .LBB107_139
; %bb.136:
	v_add_nc_u32_e32 v5, -1, v0
	v_add_nc_u32_e32 v6, 0x160, v3
	v_mov_b32_e32 v7, v3
	v_mov_b32_e32 v2, 0
	;; [unrolled: 1-line block ×3, first 2 shown]
	s_mov_b32 s5, 0
	.p2align	6
.LBB107_137:                            ; =>This Inner Loop Header: Depth=1
	s_clause 0x1
	buffer_load_dword v99, v7, s[0:3], 0 offen offset:4
	buffer_load_dword v100, v7, s[0:3], 0 offen
	ds_read_b64 v[97:98], v6
	v_add_nc_u32_e32 v5, 1, v5
	v_add_nc_u32_e32 v6, 8, v6
	;; [unrolled: 1-line block ×3, first 2 shown]
	v_cmp_lt_u32_e32 vcc_lo, 29, v5
	s_or_b32 s5, vcc_lo, s5
	s_waitcnt vmcnt(1) lgkmcnt(0)
	v_mul_f32_e32 v101, v98, v99
	v_mul_f32_e32 v99, v97, v99
	s_waitcnt vmcnt(0)
	v_fma_f32 v97, v97, v100, -v101
	v_fmac_f32_e32 v99, v98, v100
	v_add_f32_e32 v8, v8, v97
	v_add_f32_e32 v2, v2, v99
	s_andn2_b32 exec_lo, exec_lo, s5
	s_cbranch_execnz .LBB107_137
; %bb.138:
	s_or_b32 exec_lo, exec_lo, s5
	v_mov_b32_e32 v5, 0
	ds_read_b64 v[5:6], v5 offset:248
	s_waitcnt lgkmcnt(0)
	v_mul_f32_e32 v7, v2, v6
	v_mul_f32_e32 v6, v8, v6
	v_fma_f32 v7, v8, v5, -v7
	v_fmac_f32_e32 v6, v2, v5
	buffer_store_dword v7, off, s[0:3], 0 offset:248
	buffer_store_dword v6, off, s[0:3], 0 offset:252
.LBB107_139:
	s_or_b32 exec_lo, exec_lo, s4
	s_waitcnt_vscnt null, 0x0
	s_barrier
	buffer_gl0_inv
	s_clause 0x1
	buffer_load_dword v5, off, s[0:3], 0 offset:256
	buffer_load_dword v6, off, s[0:3], 0 offset:260
	s_mov_b32 s4, exec_lo
	s_waitcnt vmcnt(0)
	ds_write_b64 v4, v[5:6]
	s_waitcnt lgkmcnt(0)
	s_barrier
	buffer_gl0_inv
	v_cmpx_gt_u32_e32 32, v0
	s_cbranch_execz .LBB107_143
; %bb.140:
	v_add_nc_u32_e32 v5, -1, v0
	v_add_nc_u32_e32 v6, 0x160, v3
	v_mov_b32_e32 v7, v3
	v_mov_b32_e32 v2, 0
	;; [unrolled: 1-line block ×3, first 2 shown]
	s_mov_b32 s5, 0
	.p2align	6
.LBB107_141:                            ; =>This Inner Loop Header: Depth=1
	s_clause 0x1
	buffer_load_dword v99, v7, s[0:3], 0 offen offset:4
	buffer_load_dword v100, v7, s[0:3], 0 offen
	ds_read_b64 v[97:98], v6
	v_add_nc_u32_e32 v5, 1, v5
	v_add_nc_u32_e32 v6, 8, v6
	;; [unrolled: 1-line block ×3, first 2 shown]
	v_cmp_lt_u32_e32 vcc_lo, 30, v5
	s_or_b32 s5, vcc_lo, s5
	s_waitcnt vmcnt(1) lgkmcnt(0)
	v_mul_f32_e32 v101, v98, v99
	v_mul_f32_e32 v99, v97, v99
	s_waitcnt vmcnt(0)
	v_fma_f32 v97, v97, v100, -v101
	v_fmac_f32_e32 v99, v98, v100
	v_add_f32_e32 v8, v8, v97
	v_add_f32_e32 v2, v2, v99
	s_andn2_b32 exec_lo, exec_lo, s5
	s_cbranch_execnz .LBB107_141
; %bb.142:
	s_or_b32 exec_lo, exec_lo, s5
	v_mov_b32_e32 v5, 0
	ds_read_b64 v[5:6], v5 offset:256
	s_waitcnt lgkmcnt(0)
	v_mul_f32_e32 v7, v2, v6
	v_mul_f32_e32 v6, v8, v6
	v_fma_f32 v7, v8, v5, -v7
	v_fmac_f32_e32 v6, v2, v5
	buffer_store_dword v7, off, s[0:3], 0 offset:256
	buffer_store_dword v6, off, s[0:3], 0 offset:260
.LBB107_143:
	s_or_b32 exec_lo, exec_lo, s4
	s_waitcnt_vscnt null, 0x0
	s_barrier
	buffer_gl0_inv
	s_clause 0x1
	buffer_load_dword v5, off, s[0:3], 0 offset:264
	buffer_load_dword v6, off, s[0:3], 0 offset:268
	s_mov_b32 s4, exec_lo
	s_waitcnt vmcnt(0)
	ds_write_b64 v4, v[5:6]
	s_waitcnt lgkmcnt(0)
	s_barrier
	buffer_gl0_inv
	v_cmpx_gt_u32_e32 33, v0
	s_cbranch_execz .LBB107_147
; %bb.144:
	v_add_nc_u32_e32 v5, -1, v0
	v_add_nc_u32_e32 v6, 0x160, v3
	v_mov_b32_e32 v7, v3
	v_mov_b32_e32 v2, 0
	;; [unrolled: 1-line block ×3, first 2 shown]
	s_mov_b32 s5, 0
	.p2align	6
.LBB107_145:                            ; =>This Inner Loop Header: Depth=1
	s_clause 0x1
	buffer_load_dword v99, v7, s[0:3], 0 offen offset:4
	buffer_load_dword v100, v7, s[0:3], 0 offen
	ds_read_b64 v[97:98], v6
	v_add_nc_u32_e32 v5, 1, v5
	v_add_nc_u32_e32 v6, 8, v6
	;; [unrolled: 1-line block ×3, first 2 shown]
	v_cmp_lt_u32_e32 vcc_lo, 31, v5
	s_or_b32 s5, vcc_lo, s5
	s_waitcnt vmcnt(1) lgkmcnt(0)
	v_mul_f32_e32 v101, v98, v99
	v_mul_f32_e32 v99, v97, v99
	s_waitcnt vmcnt(0)
	v_fma_f32 v97, v97, v100, -v101
	v_fmac_f32_e32 v99, v98, v100
	v_add_f32_e32 v8, v8, v97
	v_add_f32_e32 v2, v2, v99
	s_andn2_b32 exec_lo, exec_lo, s5
	s_cbranch_execnz .LBB107_145
; %bb.146:
	s_or_b32 exec_lo, exec_lo, s5
	v_mov_b32_e32 v5, 0
	ds_read_b64 v[5:6], v5 offset:264
	s_waitcnt lgkmcnt(0)
	v_mul_f32_e32 v7, v2, v6
	v_mul_f32_e32 v6, v8, v6
	v_fma_f32 v7, v8, v5, -v7
	v_fmac_f32_e32 v6, v2, v5
	buffer_store_dword v7, off, s[0:3], 0 offset:264
	buffer_store_dword v6, off, s[0:3], 0 offset:268
.LBB107_147:
	s_or_b32 exec_lo, exec_lo, s4
	s_waitcnt_vscnt null, 0x0
	s_barrier
	buffer_gl0_inv
	s_clause 0x1
	buffer_load_dword v5, off, s[0:3], 0 offset:272
	buffer_load_dword v6, off, s[0:3], 0 offset:276
	s_mov_b32 s4, exec_lo
	s_waitcnt vmcnt(0)
	ds_write_b64 v4, v[5:6]
	s_waitcnt lgkmcnt(0)
	s_barrier
	buffer_gl0_inv
	v_cmpx_gt_u32_e32 34, v0
	s_cbranch_execz .LBB107_151
; %bb.148:
	v_add_nc_u32_e32 v5, -1, v0
	v_add_nc_u32_e32 v6, 0x160, v3
	v_mov_b32_e32 v7, v3
	v_mov_b32_e32 v2, 0
	;; [unrolled: 1-line block ×3, first 2 shown]
	s_mov_b32 s5, 0
	.p2align	6
.LBB107_149:                            ; =>This Inner Loop Header: Depth=1
	s_clause 0x1
	buffer_load_dword v99, v7, s[0:3], 0 offen offset:4
	buffer_load_dword v100, v7, s[0:3], 0 offen
	ds_read_b64 v[97:98], v6
	v_add_nc_u32_e32 v5, 1, v5
	v_add_nc_u32_e32 v6, 8, v6
	;; [unrolled: 1-line block ×3, first 2 shown]
	v_cmp_lt_u32_e32 vcc_lo, 32, v5
	s_or_b32 s5, vcc_lo, s5
	s_waitcnt vmcnt(1) lgkmcnt(0)
	v_mul_f32_e32 v101, v98, v99
	v_mul_f32_e32 v99, v97, v99
	s_waitcnt vmcnt(0)
	v_fma_f32 v97, v97, v100, -v101
	v_fmac_f32_e32 v99, v98, v100
	v_add_f32_e32 v8, v8, v97
	v_add_f32_e32 v2, v2, v99
	s_andn2_b32 exec_lo, exec_lo, s5
	s_cbranch_execnz .LBB107_149
; %bb.150:
	s_or_b32 exec_lo, exec_lo, s5
	v_mov_b32_e32 v5, 0
	ds_read_b64 v[5:6], v5 offset:272
	s_waitcnt lgkmcnt(0)
	v_mul_f32_e32 v7, v2, v6
	v_mul_f32_e32 v6, v8, v6
	v_fma_f32 v7, v8, v5, -v7
	v_fmac_f32_e32 v6, v2, v5
	buffer_store_dword v7, off, s[0:3], 0 offset:272
	buffer_store_dword v6, off, s[0:3], 0 offset:276
.LBB107_151:
	s_or_b32 exec_lo, exec_lo, s4
	s_waitcnt_vscnt null, 0x0
	s_barrier
	buffer_gl0_inv
	s_clause 0x1
	buffer_load_dword v5, off, s[0:3], 0 offset:280
	buffer_load_dword v6, off, s[0:3], 0 offset:284
	s_mov_b32 s4, exec_lo
	s_waitcnt vmcnt(0)
	ds_write_b64 v4, v[5:6]
	s_waitcnt lgkmcnt(0)
	s_barrier
	buffer_gl0_inv
	v_cmpx_gt_u32_e32 35, v0
	s_cbranch_execz .LBB107_155
; %bb.152:
	v_add_nc_u32_e32 v5, -1, v0
	v_add_nc_u32_e32 v6, 0x160, v3
	v_mov_b32_e32 v7, v3
	v_mov_b32_e32 v2, 0
	;; [unrolled: 1-line block ×3, first 2 shown]
	s_mov_b32 s5, 0
	.p2align	6
.LBB107_153:                            ; =>This Inner Loop Header: Depth=1
	s_clause 0x1
	buffer_load_dword v99, v7, s[0:3], 0 offen offset:4
	buffer_load_dword v100, v7, s[0:3], 0 offen
	ds_read_b64 v[97:98], v6
	v_add_nc_u32_e32 v5, 1, v5
	v_add_nc_u32_e32 v6, 8, v6
	;; [unrolled: 1-line block ×3, first 2 shown]
	v_cmp_lt_u32_e32 vcc_lo, 33, v5
	s_or_b32 s5, vcc_lo, s5
	s_waitcnt vmcnt(1) lgkmcnt(0)
	v_mul_f32_e32 v101, v98, v99
	v_mul_f32_e32 v99, v97, v99
	s_waitcnt vmcnt(0)
	v_fma_f32 v97, v97, v100, -v101
	v_fmac_f32_e32 v99, v98, v100
	v_add_f32_e32 v8, v8, v97
	v_add_f32_e32 v2, v2, v99
	s_andn2_b32 exec_lo, exec_lo, s5
	s_cbranch_execnz .LBB107_153
; %bb.154:
	s_or_b32 exec_lo, exec_lo, s5
	v_mov_b32_e32 v5, 0
	ds_read_b64 v[5:6], v5 offset:280
	s_waitcnt lgkmcnt(0)
	v_mul_f32_e32 v7, v2, v6
	v_mul_f32_e32 v6, v8, v6
	v_fma_f32 v7, v8, v5, -v7
	v_fmac_f32_e32 v6, v2, v5
	buffer_store_dword v7, off, s[0:3], 0 offset:280
	buffer_store_dword v6, off, s[0:3], 0 offset:284
.LBB107_155:
	s_or_b32 exec_lo, exec_lo, s4
	s_waitcnt_vscnt null, 0x0
	s_barrier
	buffer_gl0_inv
	s_clause 0x1
	buffer_load_dword v5, off, s[0:3], 0 offset:288
	buffer_load_dword v6, off, s[0:3], 0 offset:292
	s_mov_b32 s4, exec_lo
	s_waitcnt vmcnt(0)
	ds_write_b64 v4, v[5:6]
	s_waitcnt lgkmcnt(0)
	s_barrier
	buffer_gl0_inv
	v_cmpx_gt_u32_e32 36, v0
	s_cbranch_execz .LBB107_159
; %bb.156:
	v_add_nc_u32_e32 v5, -1, v0
	v_add_nc_u32_e32 v6, 0x160, v3
	v_mov_b32_e32 v7, v3
	v_mov_b32_e32 v2, 0
	;; [unrolled: 1-line block ×3, first 2 shown]
	s_mov_b32 s5, 0
	.p2align	6
.LBB107_157:                            ; =>This Inner Loop Header: Depth=1
	s_clause 0x1
	buffer_load_dword v99, v7, s[0:3], 0 offen offset:4
	buffer_load_dword v100, v7, s[0:3], 0 offen
	ds_read_b64 v[97:98], v6
	v_add_nc_u32_e32 v5, 1, v5
	v_add_nc_u32_e32 v6, 8, v6
	;; [unrolled: 1-line block ×3, first 2 shown]
	v_cmp_lt_u32_e32 vcc_lo, 34, v5
	s_or_b32 s5, vcc_lo, s5
	s_waitcnt vmcnt(1) lgkmcnt(0)
	v_mul_f32_e32 v101, v98, v99
	v_mul_f32_e32 v99, v97, v99
	s_waitcnt vmcnt(0)
	v_fma_f32 v97, v97, v100, -v101
	v_fmac_f32_e32 v99, v98, v100
	v_add_f32_e32 v8, v8, v97
	v_add_f32_e32 v2, v2, v99
	s_andn2_b32 exec_lo, exec_lo, s5
	s_cbranch_execnz .LBB107_157
; %bb.158:
	s_or_b32 exec_lo, exec_lo, s5
	v_mov_b32_e32 v5, 0
	ds_read_b64 v[5:6], v5 offset:288
	s_waitcnt lgkmcnt(0)
	v_mul_f32_e32 v7, v2, v6
	v_mul_f32_e32 v6, v8, v6
	v_fma_f32 v7, v8, v5, -v7
	v_fmac_f32_e32 v6, v2, v5
	buffer_store_dword v7, off, s[0:3], 0 offset:288
	buffer_store_dword v6, off, s[0:3], 0 offset:292
.LBB107_159:
	s_or_b32 exec_lo, exec_lo, s4
	s_waitcnt_vscnt null, 0x0
	s_barrier
	buffer_gl0_inv
	s_clause 0x1
	buffer_load_dword v5, off, s[0:3], 0 offset:296
	buffer_load_dword v6, off, s[0:3], 0 offset:300
	s_mov_b32 s4, exec_lo
	s_waitcnt vmcnt(0)
	ds_write_b64 v4, v[5:6]
	s_waitcnt lgkmcnt(0)
	s_barrier
	buffer_gl0_inv
	v_cmpx_gt_u32_e32 37, v0
	s_cbranch_execz .LBB107_163
; %bb.160:
	v_add_nc_u32_e32 v5, -1, v0
	v_add_nc_u32_e32 v6, 0x160, v3
	v_mov_b32_e32 v7, v3
	v_mov_b32_e32 v2, 0
	;; [unrolled: 1-line block ×3, first 2 shown]
	s_mov_b32 s5, 0
	.p2align	6
.LBB107_161:                            ; =>This Inner Loop Header: Depth=1
	s_clause 0x1
	buffer_load_dword v99, v7, s[0:3], 0 offen offset:4
	buffer_load_dword v100, v7, s[0:3], 0 offen
	ds_read_b64 v[97:98], v6
	v_add_nc_u32_e32 v5, 1, v5
	v_add_nc_u32_e32 v6, 8, v6
	;; [unrolled: 1-line block ×3, first 2 shown]
	v_cmp_lt_u32_e32 vcc_lo, 35, v5
	s_or_b32 s5, vcc_lo, s5
	s_waitcnt vmcnt(1) lgkmcnt(0)
	v_mul_f32_e32 v101, v98, v99
	v_mul_f32_e32 v99, v97, v99
	s_waitcnt vmcnt(0)
	v_fma_f32 v97, v97, v100, -v101
	v_fmac_f32_e32 v99, v98, v100
	v_add_f32_e32 v8, v8, v97
	v_add_f32_e32 v2, v2, v99
	s_andn2_b32 exec_lo, exec_lo, s5
	s_cbranch_execnz .LBB107_161
; %bb.162:
	s_or_b32 exec_lo, exec_lo, s5
	v_mov_b32_e32 v5, 0
	ds_read_b64 v[5:6], v5 offset:296
	s_waitcnt lgkmcnt(0)
	v_mul_f32_e32 v7, v2, v6
	v_mul_f32_e32 v6, v8, v6
	v_fma_f32 v7, v8, v5, -v7
	v_fmac_f32_e32 v6, v2, v5
	buffer_store_dword v7, off, s[0:3], 0 offset:296
	buffer_store_dword v6, off, s[0:3], 0 offset:300
.LBB107_163:
	s_or_b32 exec_lo, exec_lo, s4
	s_waitcnt_vscnt null, 0x0
	s_barrier
	buffer_gl0_inv
	s_clause 0x1
	buffer_load_dword v5, off, s[0:3], 0 offset:304
	buffer_load_dword v6, off, s[0:3], 0 offset:308
	s_mov_b32 s4, exec_lo
	s_waitcnt vmcnt(0)
	ds_write_b64 v4, v[5:6]
	s_waitcnt lgkmcnt(0)
	s_barrier
	buffer_gl0_inv
	v_cmpx_gt_u32_e32 38, v0
	s_cbranch_execz .LBB107_167
; %bb.164:
	v_add_nc_u32_e32 v5, -1, v0
	v_add_nc_u32_e32 v6, 0x160, v3
	v_mov_b32_e32 v7, v3
	v_mov_b32_e32 v2, 0
	;; [unrolled: 1-line block ×3, first 2 shown]
	s_mov_b32 s5, 0
	.p2align	6
.LBB107_165:                            ; =>This Inner Loop Header: Depth=1
	s_clause 0x1
	buffer_load_dword v99, v7, s[0:3], 0 offen offset:4
	buffer_load_dword v100, v7, s[0:3], 0 offen
	ds_read_b64 v[97:98], v6
	v_add_nc_u32_e32 v5, 1, v5
	v_add_nc_u32_e32 v6, 8, v6
	;; [unrolled: 1-line block ×3, first 2 shown]
	v_cmp_lt_u32_e32 vcc_lo, 36, v5
	s_or_b32 s5, vcc_lo, s5
	s_waitcnt vmcnt(1) lgkmcnt(0)
	v_mul_f32_e32 v101, v98, v99
	v_mul_f32_e32 v99, v97, v99
	s_waitcnt vmcnt(0)
	v_fma_f32 v97, v97, v100, -v101
	v_fmac_f32_e32 v99, v98, v100
	v_add_f32_e32 v8, v8, v97
	v_add_f32_e32 v2, v2, v99
	s_andn2_b32 exec_lo, exec_lo, s5
	s_cbranch_execnz .LBB107_165
; %bb.166:
	s_or_b32 exec_lo, exec_lo, s5
	v_mov_b32_e32 v5, 0
	ds_read_b64 v[5:6], v5 offset:304
	s_waitcnt lgkmcnt(0)
	v_mul_f32_e32 v7, v2, v6
	v_mul_f32_e32 v6, v8, v6
	v_fma_f32 v7, v8, v5, -v7
	v_fmac_f32_e32 v6, v2, v5
	buffer_store_dword v7, off, s[0:3], 0 offset:304
	buffer_store_dword v6, off, s[0:3], 0 offset:308
.LBB107_167:
	s_or_b32 exec_lo, exec_lo, s4
	s_waitcnt_vscnt null, 0x0
	s_barrier
	buffer_gl0_inv
	s_clause 0x1
	buffer_load_dword v5, off, s[0:3], 0 offset:312
	buffer_load_dword v6, off, s[0:3], 0 offset:316
	s_mov_b32 s4, exec_lo
	s_waitcnt vmcnt(0)
	ds_write_b64 v4, v[5:6]
	s_waitcnt lgkmcnt(0)
	s_barrier
	buffer_gl0_inv
	v_cmpx_gt_u32_e32 39, v0
	s_cbranch_execz .LBB107_171
; %bb.168:
	v_add_nc_u32_e32 v5, -1, v0
	v_add_nc_u32_e32 v6, 0x160, v3
	v_mov_b32_e32 v7, v3
	v_mov_b32_e32 v2, 0
	;; [unrolled: 1-line block ×3, first 2 shown]
	s_mov_b32 s5, 0
	.p2align	6
.LBB107_169:                            ; =>This Inner Loop Header: Depth=1
	s_clause 0x1
	buffer_load_dword v99, v7, s[0:3], 0 offen offset:4
	buffer_load_dword v100, v7, s[0:3], 0 offen
	ds_read_b64 v[97:98], v6
	v_add_nc_u32_e32 v5, 1, v5
	v_add_nc_u32_e32 v6, 8, v6
	;; [unrolled: 1-line block ×3, first 2 shown]
	v_cmp_lt_u32_e32 vcc_lo, 37, v5
	s_or_b32 s5, vcc_lo, s5
	s_waitcnt vmcnt(1) lgkmcnt(0)
	v_mul_f32_e32 v101, v98, v99
	v_mul_f32_e32 v99, v97, v99
	s_waitcnt vmcnt(0)
	v_fma_f32 v97, v97, v100, -v101
	v_fmac_f32_e32 v99, v98, v100
	v_add_f32_e32 v8, v8, v97
	v_add_f32_e32 v2, v2, v99
	s_andn2_b32 exec_lo, exec_lo, s5
	s_cbranch_execnz .LBB107_169
; %bb.170:
	s_or_b32 exec_lo, exec_lo, s5
	v_mov_b32_e32 v5, 0
	ds_read_b64 v[5:6], v5 offset:312
	s_waitcnt lgkmcnt(0)
	v_mul_f32_e32 v7, v2, v6
	v_mul_f32_e32 v6, v8, v6
	v_fma_f32 v7, v8, v5, -v7
	v_fmac_f32_e32 v6, v2, v5
	buffer_store_dword v7, off, s[0:3], 0 offset:312
	buffer_store_dword v6, off, s[0:3], 0 offset:316
.LBB107_171:
	s_or_b32 exec_lo, exec_lo, s4
	s_waitcnt_vscnt null, 0x0
	s_barrier
	buffer_gl0_inv
	s_clause 0x1
	buffer_load_dword v5, off, s[0:3], 0 offset:320
	buffer_load_dword v6, off, s[0:3], 0 offset:324
	s_mov_b32 s4, exec_lo
	s_waitcnt vmcnt(0)
	ds_write_b64 v4, v[5:6]
	s_waitcnt lgkmcnt(0)
	s_barrier
	buffer_gl0_inv
	v_cmpx_gt_u32_e32 40, v0
	s_cbranch_execz .LBB107_175
; %bb.172:
	v_add_nc_u32_e32 v5, -1, v0
	v_add_nc_u32_e32 v6, 0x160, v3
	v_mov_b32_e32 v7, v3
	v_mov_b32_e32 v2, 0
	v_mov_b32_e32 v8, 0
	s_mov_b32 s5, 0
	.p2align	6
.LBB107_173:                            ; =>This Inner Loop Header: Depth=1
	s_clause 0x1
	buffer_load_dword v99, v7, s[0:3], 0 offen offset:4
	buffer_load_dword v100, v7, s[0:3], 0 offen
	ds_read_b64 v[97:98], v6
	v_add_nc_u32_e32 v5, 1, v5
	v_add_nc_u32_e32 v6, 8, v6
	;; [unrolled: 1-line block ×3, first 2 shown]
	v_cmp_lt_u32_e32 vcc_lo, 38, v5
	s_or_b32 s5, vcc_lo, s5
	s_waitcnt vmcnt(1) lgkmcnt(0)
	v_mul_f32_e32 v101, v98, v99
	v_mul_f32_e32 v99, v97, v99
	s_waitcnt vmcnt(0)
	v_fma_f32 v97, v97, v100, -v101
	v_fmac_f32_e32 v99, v98, v100
	v_add_f32_e32 v8, v8, v97
	v_add_f32_e32 v2, v2, v99
	s_andn2_b32 exec_lo, exec_lo, s5
	s_cbranch_execnz .LBB107_173
; %bb.174:
	s_or_b32 exec_lo, exec_lo, s5
	v_mov_b32_e32 v5, 0
	ds_read_b64 v[5:6], v5 offset:320
	s_waitcnt lgkmcnt(0)
	v_mul_f32_e32 v7, v2, v6
	v_mul_f32_e32 v6, v8, v6
	v_fma_f32 v7, v8, v5, -v7
	v_fmac_f32_e32 v6, v2, v5
	buffer_store_dword v7, off, s[0:3], 0 offset:320
	buffer_store_dword v6, off, s[0:3], 0 offset:324
.LBB107_175:
	s_or_b32 exec_lo, exec_lo, s4
	s_waitcnt_vscnt null, 0x0
	s_barrier
	buffer_gl0_inv
	s_clause 0x1
	buffer_load_dword v5, off, s[0:3], 0 offset:328
	buffer_load_dword v6, off, s[0:3], 0 offset:332
	s_mov_b32 s4, exec_lo
	s_waitcnt vmcnt(0)
	ds_write_b64 v4, v[5:6]
	s_waitcnt lgkmcnt(0)
	s_barrier
	buffer_gl0_inv
	v_cmpx_gt_u32_e32 41, v0
	s_cbranch_execz .LBB107_179
; %bb.176:
	v_add_nc_u32_e32 v5, -1, v0
	v_add_nc_u32_e32 v6, 0x160, v3
	v_mov_b32_e32 v7, v3
	v_mov_b32_e32 v2, 0
	;; [unrolled: 1-line block ×3, first 2 shown]
	s_mov_b32 s5, 0
	.p2align	6
.LBB107_177:                            ; =>This Inner Loop Header: Depth=1
	s_clause 0x1
	buffer_load_dword v99, v7, s[0:3], 0 offen offset:4
	buffer_load_dword v100, v7, s[0:3], 0 offen
	ds_read_b64 v[97:98], v6
	v_add_nc_u32_e32 v5, 1, v5
	v_add_nc_u32_e32 v6, 8, v6
	;; [unrolled: 1-line block ×3, first 2 shown]
	v_cmp_lt_u32_e32 vcc_lo, 39, v5
	s_or_b32 s5, vcc_lo, s5
	s_waitcnt vmcnt(1) lgkmcnt(0)
	v_mul_f32_e32 v101, v98, v99
	v_mul_f32_e32 v99, v97, v99
	s_waitcnt vmcnt(0)
	v_fma_f32 v97, v97, v100, -v101
	v_fmac_f32_e32 v99, v98, v100
	v_add_f32_e32 v8, v8, v97
	v_add_f32_e32 v2, v2, v99
	s_andn2_b32 exec_lo, exec_lo, s5
	s_cbranch_execnz .LBB107_177
; %bb.178:
	s_or_b32 exec_lo, exec_lo, s5
	v_mov_b32_e32 v5, 0
	ds_read_b64 v[5:6], v5 offset:328
	s_waitcnt lgkmcnt(0)
	v_mul_f32_e32 v7, v2, v6
	v_mul_f32_e32 v6, v8, v6
	v_fma_f32 v7, v8, v5, -v7
	v_fmac_f32_e32 v6, v2, v5
	buffer_store_dword v7, off, s[0:3], 0 offset:328
	buffer_store_dword v6, off, s[0:3], 0 offset:332
.LBB107_179:
	s_or_b32 exec_lo, exec_lo, s4
	s_waitcnt_vscnt null, 0x0
	s_barrier
	buffer_gl0_inv
	s_clause 0x1
	buffer_load_dword v5, off, s[0:3], 0 offset:336
	buffer_load_dword v6, off, s[0:3], 0 offset:340
	s_mov_b32 s4, exec_lo
	s_waitcnt vmcnt(0)
	ds_write_b64 v4, v[5:6]
	s_waitcnt lgkmcnt(0)
	s_barrier
	buffer_gl0_inv
	v_cmpx_gt_u32_e32 42, v0
	s_cbranch_execz .LBB107_183
; %bb.180:
	v_add_nc_u32_e32 v5, -1, v0
	v_add_nc_u32_e32 v6, 0x160, v3
	v_mov_b32_e32 v7, v3
	v_mov_b32_e32 v2, 0
	;; [unrolled: 1-line block ×3, first 2 shown]
	s_mov_b32 s5, 0
	.p2align	6
.LBB107_181:                            ; =>This Inner Loop Header: Depth=1
	s_clause 0x1
	buffer_load_dword v99, v7, s[0:3], 0 offen offset:4
	buffer_load_dword v100, v7, s[0:3], 0 offen
	ds_read_b64 v[97:98], v6
	v_add_nc_u32_e32 v5, 1, v5
	v_add_nc_u32_e32 v6, 8, v6
	;; [unrolled: 1-line block ×3, first 2 shown]
	v_cmp_lt_u32_e32 vcc_lo, 40, v5
	s_or_b32 s5, vcc_lo, s5
	s_waitcnt vmcnt(1) lgkmcnt(0)
	v_mul_f32_e32 v101, v98, v99
	v_mul_f32_e32 v99, v97, v99
	s_waitcnt vmcnt(0)
	v_fma_f32 v97, v97, v100, -v101
	v_fmac_f32_e32 v99, v98, v100
	v_add_f32_e32 v8, v8, v97
	v_add_f32_e32 v2, v2, v99
	s_andn2_b32 exec_lo, exec_lo, s5
	s_cbranch_execnz .LBB107_181
; %bb.182:
	s_or_b32 exec_lo, exec_lo, s5
	v_mov_b32_e32 v5, 0
	ds_read_b64 v[5:6], v5 offset:336
	s_waitcnt lgkmcnt(0)
	v_mul_f32_e32 v7, v2, v6
	v_mul_f32_e32 v6, v8, v6
	v_fma_f32 v7, v8, v5, -v7
	v_fmac_f32_e32 v6, v2, v5
	buffer_store_dword v7, off, s[0:3], 0 offset:336
	buffer_store_dword v6, off, s[0:3], 0 offset:340
.LBB107_183:
	s_or_b32 exec_lo, exec_lo, s4
	s_waitcnt_vscnt null, 0x0
	s_barrier
	buffer_gl0_inv
	s_clause 0x1
	buffer_load_dword v5, off, s[0:3], 0 offset:344
	buffer_load_dword v6, off, s[0:3], 0 offset:348
	s_mov_b32 s4, exec_lo
	s_waitcnt vmcnt(0)
	ds_write_b64 v4, v[5:6]
	s_waitcnt lgkmcnt(0)
	s_barrier
	buffer_gl0_inv
	v_cmpx_ne_u32_e32 43, v0
	s_cbranch_execz .LBB107_187
; %bb.184:
	v_mov_b32_e32 v2, 0
	v_mov_b32_e32 v5, 0
	s_mov_b32 s5, 0
	.p2align	6
.LBB107_185:                            ; =>This Inner Loop Header: Depth=1
	s_clause 0x1
	buffer_load_dword v8, v3, s[0:3], 0 offen offset:4
	buffer_load_dword v97, v3, s[0:3], 0 offen
	ds_read_b64 v[6:7], v4
	v_add_nc_u32_e32 v1, 1, v1
	v_add_nc_u32_e32 v4, 8, v4
	;; [unrolled: 1-line block ×3, first 2 shown]
	v_cmp_lt_u32_e32 vcc_lo, 41, v1
	s_or_b32 s5, vcc_lo, s5
	s_waitcnt vmcnt(1) lgkmcnt(0)
	v_mul_f32_e32 v98, v7, v8
	v_mul_f32_e32 v8, v6, v8
	s_waitcnt vmcnt(0)
	v_fma_f32 v6, v6, v97, -v98
	v_fmac_f32_e32 v8, v7, v97
	v_add_f32_e32 v5, v5, v6
	v_add_f32_e32 v2, v2, v8
	s_andn2_b32 exec_lo, exec_lo, s5
	s_cbranch_execnz .LBB107_185
; %bb.186:
	s_or_b32 exec_lo, exec_lo, s5
	v_mov_b32_e32 v1, 0
	ds_read_b64 v[3:4], v1 offset:344
	s_waitcnt lgkmcnt(0)
	v_mul_f32_e32 v1, v2, v4
	v_mul_f32_e32 v4, v5, v4
	v_fma_f32 v1, v5, v3, -v1
	v_fmac_f32_e32 v4, v2, v3
	buffer_store_dword v1, off, s[0:3], 0 offset:344
	buffer_store_dword v4, off, s[0:3], 0 offset:348
.LBB107_187:
	s_or_b32 exec_lo, exec_lo, s4
	s_mov_b32 s5, -1
	s_waitcnt_vscnt null, 0x0
	s_barrier
	buffer_gl0_inv
.LBB107_188:
	s_and_b32 vcc_lo, exec_lo, s5
	s_cbranch_vccz .LBB107_190
; %bb.189:
	s_lshl_b64 s[4:5], s[6:7], 2
	v_mov_b32_e32 v1, 0
	s_add_u32 s4, s10, s4
	s_addc_u32 s5, s11, s5
	global_load_dword v1, v1, s[4:5]
	s_waitcnt vmcnt(0)
	v_cmp_ne_u32_e32 vcc_lo, 0, v1
	s_cbranch_vccz .LBB107_191
.LBB107_190:
	s_endpgm
.LBB107_191:
	v_lshl_add_u32 v97, v0, 3, 0x160
	s_mov_b32 s4, exec_lo
	v_cmpx_eq_u32_e32 43, v0
	s_cbranch_execz .LBB107_193
; %bb.192:
	s_clause 0x1
	buffer_load_dword v1, off, s[0:3], 0 offset:336
	buffer_load_dword v2, off, s[0:3], 0 offset:340
	v_mov_b32_e32 v3, 0
	buffer_store_dword v3, off, s[0:3], 0 offset:336
	buffer_store_dword v3, off, s[0:3], 0 offset:340
	s_waitcnt vmcnt(0)
	ds_write_b64 v97, v[1:2]
.LBB107_193:
	s_or_b32 exec_lo, exec_lo, s4
	s_waitcnt lgkmcnt(0)
	s_waitcnt_vscnt null, 0x0
	s_barrier
	buffer_gl0_inv
	s_clause 0x3
	buffer_load_dword v4, off, s[0:3], 0 offset:348
	buffer_load_dword v5, off, s[0:3], 0 offset:344
	;; [unrolled: 1-line block ×4, first 2 shown]
	v_mov_b32_e32 v1, 0
	s_mov_b32 s4, exec_lo
	ds_read_b64 v[2:3], v1 offset:696
	s_waitcnt vmcnt(3) lgkmcnt(0)
	v_mul_f32_e32 v8, v3, v4
	v_mul_f32_e32 v4, v2, v4
	s_waitcnt vmcnt(2)
	v_fma_f32 v2, v2, v5, -v8
	v_fmac_f32_e32 v4, v3, v5
	v_add_f32_e32 v2, 0, v2
	v_add_f32_e32 v3, 0, v4
	s_waitcnt vmcnt(1)
	v_sub_f32_e32 v2, v6, v2
	s_waitcnt vmcnt(0)
	v_sub_f32_e32 v3, v7, v3
	buffer_store_dword v2, off, s[0:3], 0 offset:336
	buffer_store_dword v3, off, s[0:3], 0 offset:340
	v_cmpx_lt_u32_e32 41, v0
	s_cbranch_execz .LBB107_195
; %bb.194:
	s_clause 0x1
	buffer_load_dword v2, off, s[0:3], 0 offset:328
	buffer_load_dword v3, off, s[0:3], 0 offset:332
	buffer_store_dword v1, off, s[0:3], 0 offset:328
	buffer_store_dword v1, off, s[0:3], 0 offset:332
	s_waitcnt vmcnt(0)
	ds_write_b64 v97, v[2:3]
.LBB107_195:
	s_or_b32 exec_lo, exec_lo, s4
	s_waitcnt lgkmcnt(0)
	s_waitcnt_vscnt null, 0x0
	s_barrier
	buffer_gl0_inv
	s_clause 0x5
	buffer_load_dword v5, off, s[0:3], 0 offset:340
	buffer_load_dword v6, off, s[0:3], 0 offset:348
	;; [unrolled: 1-line block ×6, first 2 shown]
	ds_read_b128 v[1:4], v1 offset:688
	s_mov_b32 s4, exec_lo
	s_waitcnt vmcnt(5) lgkmcnt(0)
	v_mul_f32_e32 v100, v2, v5
	v_mul_f32_e32 v5, v1, v5
	s_waitcnt vmcnt(4)
	v_mul_f32_e32 v101, v3, v6
	v_mul_f32_e32 v6, v4, v6
	s_waitcnt vmcnt(3)
	v_fma_f32 v1, v1, v7, -v100
	v_fmac_f32_e32 v5, v2, v7
	s_waitcnt vmcnt(2)
	v_fmac_f32_e32 v101, v4, v8
	v_fma_f32 v2, v3, v8, -v6
	v_add_f32_e32 v1, 0, v1
	v_add_f32_e32 v3, 0, v5
	;; [unrolled: 1-line block ×4, first 2 shown]
	s_waitcnt vmcnt(1)
	v_sub_f32_e32 v1, v98, v1
	s_waitcnt vmcnt(0)
	v_sub_f32_e32 v2, v99, v2
	buffer_store_dword v1, off, s[0:3], 0 offset:328
	buffer_store_dword v2, off, s[0:3], 0 offset:332
	v_cmpx_lt_u32_e32 40, v0
	s_cbranch_execz .LBB107_197
; %bb.196:
	s_clause 0x1
	buffer_load_dword v1, off, s[0:3], 0 offset:320
	buffer_load_dword v2, off, s[0:3], 0 offset:324
	v_mov_b32_e32 v3, 0
	buffer_store_dword v3, off, s[0:3], 0 offset:320
	buffer_store_dword v3, off, s[0:3], 0 offset:324
	s_waitcnt vmcnt(0)
	ds_write_b64 v97, v[1:2]
.LBB107_197:
	s_or_b32 exec_lo, exec_lo, s4
	s_waitcnt lgkmcnt(0)
	s_waitcnt_vscnt null, 0x0
	s_barrier
	buffer_gl0_inv
	s_clause 0x7
	buffer_load_dword v8, off, s[0:3], 0 offset:332
	buffer_load_dword v98, off, s[0:3], 0 offset:340
	;; [unrolled: 1-line block ×8, first 2 shown]
	v_mov_b32_e32 v1, 0
	ds_read2_b64 v[2:5], v1 offset0:85 offset1:86
	ds_read_b64 v[6:7], v1 offset:696
	s_mov_b32 s4, exec_lo
	s_waitcnt vmcnt(7) lgkmcnt(1)
	v_mul_f32_e32 v105, v3, v8
	v_mul_f32_e32 v8, v2, v8
	s_waitcnt vmcnt(6)
	v_mul_f32_e32 v106, v4, v98
	v_mul_f32_e32 v98, v5, v98
	s_waitcnt vmcnt(5) lgkmcnt(0)
	v_mul_f32_e32 v107, v6, v99
	s_waitcnt vmcnt(4)
	v_fma_f32 v2, v2, v100, -v105
	v_fmac_f32_e32 v8, v3, v100
	v_mul_f32_e32 v3, v7, v99
	s_waitcnt vmcnt(3)
	v_fma_f32 v4, v4, v101, -v98
	v_fmac_f32_e32 v106, v5, v101
	v_add_f32_e32 v2, 0, v2
	v_add_f32_e32 v5, 0, v8
	s_waitcnt vmcnt(2)
	v_fma_f32 v3, v6, v102, -v3
	v_fmac_f32_e32 v107, v7, v102
	v_add_f32_e32 v2, v2, v4
	v_add_f32_e32 v4, v5, v106
	;; [unrolled: 1-line block ×4, first 2 shown]
	s_waitcnt vmcnt(1)
	v_sub_f32_e32 v2, v103, v2
	s_waitcnt vmcnt(0)
	v_sub_f32_e32 v3, v104, v3
	buffer_store_dword v2, off, s[0:3], 0 offset:320
	buffer_store_dword v3, off, s[0:3], 0 offset:324
	v_cmpx_lt_u32_e32 39, v0
	s_cbranch_execz .LBB107_199
; %bb.198:
	s_clause 0x1
	buffer_load_dword v2, off, s[0:3], 0 offset:312
	buffer_load_dword v3, off, s[0:3], 0 offset:316
	buffer_store_dword v1, off, s[0:3], 0 offset:312
	buffer_store_dword v1, off, s[0:3], 0 offset:316
	s_waitcnt vmcnt(0)
	ds_write_b64 v97, v[2:3]
.LBB107_199:
	s_or_b32 exec_lo, exec_lo, s4
	s_waitcnt lgkmcnt(0)
	s_waitcnt_vscnt null, 0x0
	s_barrier
	buffer_gl0_inv
	s_clause 0x9
	buffer_load_dword v6, off, s[0:3], 0 offset:324
	buffer_load_dword v7, off, s[0:3], 0 offset:332
	;; [unrolled: 1-line block ×10, first 2 shown]
	ds_read_b128 v[2:5], v1 offset:672
	ds_read_b128 v[98:101], v1 offset:688
	s_mov_b32 s4, exec_lo
	s_waitcnt vmcnt(9) lgkmcnt(1)
	v_mul_f32_e32 v1, v2, v6
	v_mul_f32_e32 v6, v3, v6
	s_waitcnt vmcnt(8)
	v_mul_f32_e32 v109, v4, v7
	v_mul_f32_e32 v7, v5, v7
	s_waitcnt vmcnt(7) lgkmcnt(0)
	v_mul_f32_e32 v110, v98, v8
	s_waitcnt vmcnt(5)
	v_fmac_f32_e32 v1, v3, v103
	v_fma_f32 v2, v2, v103, -v6
	v_mul_f32_e32 v3, v99, v8
	s_waitcnt vmcnt(4)
	v_fma_f32 v4, v4, v104, -v7
	v_fmac_f32_e32 v109, v5, v104
	v_add_f32_e32 v1, 0, v1
	v_add_f32_e32 v2, 0, v2
	v_mul_f32_e32 v5, v101, v102
	s_waitcnt vmcnt(3)
	v_fma_f32 v3, v98, v105, -v3
	v_mul_f32_e32 v111, v100, v102
	v_fmac_f32_e32 v110, v99, v105
	v_add_f32_e32 v2, v2, v4
	v_add_f32_e32 v1, v1, v109
	s_waitcnt vmcnt(2)
	v_fma_f32 v4, v100, v106, -v5
	v_fmac_f32_e32 v111, v101, v106
	v_add_f32_e32 v2, v2, v3
	v_add_f32_e32 v1, v1, v110
	;; [unrolled: 1-line block ×4, first 2 shown]
	s_waitcnt vmcnt(1)
	v_sub_f32_e32 v2, v107, v2
	s_waitcnt vmcnt(0)
	v_sub_f32_e32 v1, v108, v1
	buffer_store_dword v2, off, s[0:3], 0 offset:312
	buffer_store_dword v1, off, s[0:3], 0 offset:316
	v_cmpx_lt_u32_e32 38, v0
	s_cbranch_execz .LBB107_201
; %bb.200:
	s_clause 0x1
	buffer_load_dword v1, off, s[0:3], 0 offset:304
	buffer_load_dword v2, off, s[0:3], 0 offset:308
	v_mov_b32_e32 v3, 0
	buffer_store_dword v3, off, s[0:3], 0 offset:304
	buffer_store_dword v3, off, s[0:3], 0 offset:308
	s_waitcnt vmcnt(0)
	ds_write_b64 v97, v[1:2]
.LBB107_201:
	s_or_b32 exec_lo, exec_lo, s4
	s_waitcnt lgkmcnt(0)
	s_waitcnt_vscnt null, 0x0
	s_barrier
	buffer_gl0_inv
	s_clause 0xb
	buffer_load_dword v8, off, s[0:3], 0 offset:316
	buffer_load_dword v102, off, s[0:3], 0 offset:324
	;; [unrolled: 1-line block ×12, first 2 shown]
	v_mov_b32_e32 v1, 0
	ds_read2_b64 v[2:5], v1 offset0:83 offset1:84
	ds_read2_b64 v[98:101], v1 offset0:85 offset1:86
	ds_read_b64 v[6:7], v1 offset:696
	s_mov_b32 s4, exec_lo
	s_waitcnt vmcnt(11) lgkmcnt(2)
	v_mul_f32_e32 v113, v2, v8
	v_mul_f32_e32 v8, v3, v8
	s_waitcnt vmcnt(10)
	v_mul_f32_e32 v114, v4, v102
	v_mul_f32_e32 v102, v5, v102
	s_waitcnt vmcnt(9) lgkmcnt(1)
	v_mul_f32_e32 v115, v98, v103
	s_waitcnt vmcnt(6)
	v_fmac_f32_e32 v113, v3, v106
	v_fma_f32 v2, v2, v106, -v8
	v_mul_f32_e32 v3, v99, v103
	s_waitcnt vmcnt(5)
	v_fma_f32 v4, v4, v107, -v102
	v_fmac_f32_e32 v114, v5, v107
	v_add_f32_e32 v5, 0, v113
	v_add_f32_e32 v2, 0, v2
	v_mul_f32_e32 v8, v101, v104
	s_waitcnt vmcnt(4)
	v_fma_f32 v3, v98, v108, -v3
	v_mul_f32_e32 v116, v100, v104
	v_fmac_f32_e32 v115, v99, v108
	v_add_f32_e32 v2, v2, v4
	v_add_f32_e32 v4, v5, v114
	s_waitcnt lgkmcnt(0)
	v_mul_f32_e32 v5, v7, v105
	s_waitcnt vmcnt(3)
	v_fma_f32 v8, v100, v109, -v8
	v_mul_f32_e32 v117, v6, v105
	v_add_f32_e32 v2, v2, v3
	v_fmac_f32_e32 v116, v101, v109
	v_add_f32_e32 v3, v4, v115
	s_waitcnt vmcnt(2)
	v_fma_f32 v4, v6, v110, -v5
	v_fmac_f32_e32 v117, v7, v110
	v_add_f32_e32 v2, v2, v8
	v_add_f32_e32 v3, v3, v116
	;; [unrolled: 1-line block ×4, first 2 shown]
	s_waitcnt vmcnt(1)
	v_sub_f32_e32 v2, v111, v2
	s_waitcnt vmcnt(0)
	v_sub_f32_e32 v3, v112, v3
	buffer_store_dword v2, off, s[0:3], 0 offset:304
	buffer_store_dword v3, off, s[0:3], 0 offset:308
	v_cmpx_lt_u32_e32 37, v0
	s_cbranch_execz .LBB107_203
; %bb.202:
	s_clause 0x1
	buffer_load_dword v2, off, s[0:3], 0 offset:296
	buffer_load_dword v3, off, s[0:3], 0 offset:300
	buffer_store_dword v1, off, s[0:3], 0 offset:296
	buffer_store_dword v1, off, s[0:3], 0 offset:300
	s_waitcnt vmcnt(0)
	ds_write_b64 v97, v[2:3]
.LBB107_203:
	s_or_b32 exec_lo, exec_lo, s4
	s_waitcnt lgkmcnt(0)
	s_waitcnt_vscnt null, 0x0
	s_barrier
	buffer_gl0_inv
	s_clause 0xd
	buffer_load_dword v6, off, s[0:3], 0 offset:308
	buffer_load_dword v7, off, s[0:3], 0 offset:316
	;; [unrolled: 1-line block ×14, first 2 shown]
	ds_read_b128 v[2:5], v1 offset:656
	ds_read_b128 v[98:101], v1 offset:672
	;; [unrolled: 1-line block ×3, first 2 shown]
	s_mov_b32 s4, exec_lo
	s_waitcnt vmcnt(13) lgkmcnt(2)
	v_mul_f32_e32 v1, v2, v6
	v_mul_f32_e32 v6, v3, v6
	s_waitcnt vmcnt(12)
	v_mul_f32_e32 v117, v4, v7
	v_mul_f32_e32 v7, v5, v7
	s_waitcnt vmcnt(11) lgkmcnt(1)
	v_mul_f32_e32 v118, v98, v8
	s_waitcnt vmcnt(10)
	v_mul_f32_e32 v119, v100, v106
	s_waitcnt vmcnt(7)
	v_fma_f32 v2, v2, v109, -v6
	v_fmac_f32_e32 v1, v3, v109
	v_mul_f32_e32 v3, v99, v8
	s_waitcnt vmcnt(6)
	v_fma_f32 v4, v4, v110, -v7
	v_fmac_f32_e32 v117, v5, v110
	v_add_f32_e32 v2, 0, v2
	v_add_f32_e32 v1, 0, v1
	v_mul_f32_e32 v5, v101, v106
	s_waitcnt vmcnt(5)
	v_fma_f32 v3, v98, v111, -v3
	v_fmac_f32_e32 v118, v99, v111
	v_add_f32_e32 v2, v2, v4
	v_add_f32_e32 v1, v1, v117
	s_waitcnt lgkmcnt(0)
	v_mul_f32_e32 v4, v103, v107
	s_waitcnt vmcnt(4)
	v_fma_f32 v5, v100, v112, -v5
	v_mul_f32_e32 v120, v102, v107
	v_add_f32_e32 v2, v2, v3
	v_fmac_f32_e32 v119, v101, v112
	v_add_f32_e32 v1, v1, v118
	v_mul_f32_e32 v3, v105, v108
	s_waitcnt vmcnt(3)
	v_fma_f32 v4, v102, v113, -v4
	v_add_f32_e32 v2, v2, v5
	v_mul_f32_e32 v121, v104, v108
	v_fmac_f32_e32 v120, v103, v113
	v_add_f32_e32 v1, v1, v119
	s_waitcnt vmcnt(2)
	v_fma_f32 v3, v104, v114, -v3
	v_add_f32_e32 v2, v2, v4
	v_fmac_f32_e32 v121, v105, v114
	v_add_f32_e32 v1, v1, v120
	v_add_f32_e32 v2, v2, v3
	;; [unrolled: 1-line block ×3, first 2 shown]
	s_waitcnt vmcnt(1)
	v_sub_f32_e32 v2, v115, v2
	s_waitcnt vmcnt(0)
	v_sub_f32_e32 v1, v116, v1
	buffer_store_dword v2, off, s[0:3], 0 offset:296
	buffer_store_dword v1, off, s[0:3], 0 offset:300
	v_cmpx_lt_u32_e32 36, v0
	s_cbranch_execz .LBB107_205
; %bb.204:
	s_clause 0x1
	buffer_load_dword v1, off, s[0:3], 0 offset:288
	buffer_load_dword v2, off, s[0:3], 0 offset:292
	v_mov_b32_e32 v3, 0
	buffer_store_dword v3, off, s[0:3], 0 offset:288
	buffer_store_dword v3, off, s[0:3], 0 offset:292
	s_waitcnt vmcnt(0)
	ds_write_b64 v97, v[1:2]
.LBB107_205:
	s_or_b32 exec_lo, exec_lo, s4
	s_waitcnt lgkmcnt(0)
	s_waitcnt_vscnt null, 0x0
	s_barrier
	buffer_gl0_inv
	s_clause 0xf
	buffer_load_dword v8, off, s[0:3], 0 offset:300
	buffer_load_dword v106, off, s[0:3], 0 offset:308
	;; [unrolled: 1-line block ×16, first 2 shown]
	v_mov_b32_e32 v1, 0
	ds_read2_b64 v[2:5], v1 offset0:81 offset1:82
	ds_read2_b64 v[98:101], v1 offset0:83 offset1:84
	;; [unrolled: 1-line block ×3, first 2 shown]
	ds_read_b64 v[6:7], v1 offset:696
	s_mov_b32 s4, exec_lo
	s_waitcnt vmcnt(15) lgkmcnt(3)
	v_mul_f32_e32 v121, v2, v8
	v_mul_f32_e32 v8, v3, v8
	s_waitcnt vmcnt(14)
	v_mul_f32_e32 v122, v4, v106
	v_mul_f32_e32 v106, v5, v106
	s_waitcnt vmcnt(13) lgkmcnt(2)
	v_mul_f32_e32 v123, v98, v107
	s_waitcnt vmcnt(12)
	v_mul_f32_e32 v124, v100, v108
	s_waitcnt vmcnt(11) lgkmcnt(1)
	v_mul_f32_e32 v125, v102, v109
	s_waitcnt vmcnt(8)
	v_fma_f32 v2, v2, v112, -v8
	v_fmac_f32_e32 v121, v3, v112
	v_mul_f32_e32 v3, v99, v107
	s_waitcnt vmcnt(7)
	v_fma_f32 v4, v4, v113, -v106
	v_fmac_f32_e32 v122, v5, v113
	v_add_f32_e32 v2, 0, v2
	v_add_f32_e32 v5, 0, v121
	v_mul_f32_e32 v8, v101, v108
	s_waitcnt vmcnt(6)
	v_fma_f32 v3, v98, v114, -v3
	v_fmac_f32_e32 v123, v99, v114
	v_add_f32_e32 v2, v2, v4
	v_add_f32_e32 v4, v5, v122
	;; [unrolled: 6-line block ×3, first 2 shown]
	v_mul_f32_e32 v4, v105, v110
	s_waitcnt vmcnt(4)
	v_fma_f32 v5, v102, v116, -v5
	v_mul_f32_e32 v126, v104, v110
	v_add_f32_e32 v2, v2, v8
	v_fmac_f32_e32 v125, v103, v116
	v_add_f32_e32 v3, v3, v124
	s_waitcnt lgkmcnt(0)
	v_mul_f32_e32 v8, v7, v111
	s_waitcnt vmcnt(3)
	v_fma_f32 v4, v104, v117, -v4
	v_add_f32_e32 v2, v2, v5
	v_mul_f32_e32 v127, v6, v111
	v_fmac_f32_e32 v126, v105, v117
	v_add_f32_e32 v3, v3, v125
	s_waitcnt vmcnt(2)
	v_fma_f32 v5, v6, v118, -v8
	v_add_f32_e32 v2, v2, v4
	v_fmac_f32_e32 v127, v7, v118
	v_add_f32_e32 v3, v3, v126
	v_add_f32_e32 v2, v2, v5
	;; [unrolled: 1-line block ×3, first 2 shown]
	s_waitcnt vmcnt(1)
	v_sub_f32_e32 v2, v119, v2
	s_waitcnt vmcnt(0)
	v_sub_f32_e32 v3, v120, v3
	buffer_store_dword v2, off, s[0:3], 0 offset:288
	buffer_store_dword v3, off, s[0:3], 0 offset:292
	v_cmpx_lt_u32_e32 35, v0
	s_cbranch_execz .LBB107_207
; %bb.206:
	s_clause 0x1
	buffer_load_dword v2, off, s[0:3], 0 offset:280
	buffer_load_dword v3, off, s[0:3], 0 offset:284
	buffer_store_dword v1, off, s[0:3], 0 offset:280
	buffer_store_dword v1, off, s[0:3], 0 offset:284
	s_waitcnt vmcnt(0)
	ds_write_b64 v97, v[2:3]
.LBB107_207:
	s_or_b32 exec_lo, exec_lo, s4
	s_waitcnt lgkmcnt(0)
	s_waitcnt_vscnt null, 0x0
	s_barrier
	buffer_gl0_inv
	s_clause 0x11
	buffer_load_dword v6, off, s[0:3], 0 offset:292
	buffer_load_dword v7, off, s[0:3], 0 offset:300
	;; [unrolled: 1-line block ×18, first 2 shown]
	ds_read_b128 v[2:5], v1 offset:640
	ds_read_b128 v[98:101], v1 offset:656
	;; [unrolled: 1-line block ×4, first 2 shown]
	s_mov_b32 s4, exec_lo
	s_waitcnt vmcnt(17) lgkmcnt(3)
	v_mul_f32_e32 v1, v2, v6
	v_mul_f32_e32 v6, v3, v6
	s_waitcnt vmcnt(16)
	v_mul_f32_e32 v125, v4, v7
	v_mul_f32_e32 v7, v5, v7
	s_waitcnt vmcnt(15) lgkmcnt(2)
	v_mul_f32_e32 v126, v98, v8
	s_waitcnt vmcnt(14)
	v_mul_f32_e32 v127, v100, v110
	s_waitcnt vmcnt(13) lgkmcnt(1)
	v_mul_f32_e32 v128, v102, v111
	s_waitcnt vmcnt(12)
	v_mul_f32_e32 v129, v104, v112
	s_waitcnt vmcnt(9)
	v_fma_f32 v2, v2, v115, -v6
	v_fmac_f32_e32 v1, v3, v115
	v_mul_f32_e32 v3, v99, v8
	s_waitcnt vmcnt(8)
	v_fma_f32 v4, v4, v116, -v7
	v_fmac_f32_e32 v125, v5, v116
	v_add_f32_e32 v2, 0, v2
	v_add_f32_e32 v1, 0, v1
	v_mul_f32_e32 v5, v101, v110
	s_waitcnt vmcnt(7)
	v_fma_f32 v3, v98, v117, -v3
	v_fmac_f32_e32 v126, v99, v117
	v_add_f32_e32 v2, v2, v4
	v_add_f32_e32 v1, v1, v125
	;; [unrolled: 6-line block ×4, first 2 shown]
	s_waitcnt lgkmcnt(0)
	v_mul_f32_e32 v5, v107, v113
	s_waitcnt vmcnt(4)
	v_fma_f32 v3, v104, v120, -v3
	v_mul_f32_e32 v130, v106, v113
	v_add_f32_e32 v2, v2, v4
	v_fmac_f32_e32 v129, v105, v120
	v_add_f32_e32 v1, v1, v128
	v_mul_f32_e32 v4, v109, v114
	s_waitcnt vmcnt(3)
	v_fma_f32 v5, v106, v121, -v5
	v_add_f32_e32 v2, v2, v3
	v_mul_f32_e32 v131, v108, v114
	v_fmac_f32_e32 v130, v107, v121
	v_add_f32_e32 v1, v1, v129
	s_waitcnt vmcnt(2)
	v_fma_f32 v3, v108, v122, -v4
	v_add_f32_e32 v2, v2, v5
	v_fmac_f32_e32 v131, v109, v122
	v_add_f32_e32 v1, v1, v130
	v_add_f32_e32 v2, v2, v3
	;; [unrolled: 1-line block ×3, first 2 shown]
	s_waitcnt vmcnt(1)
	v_sub_f32_e32 v2, v123, v2
	s_waitcnt vmcnt(0)
	v_sub_f32_e32 v1, v124, v1
	buffer_store_dword v2, off, s[0:3], 0 offset:280
	buffer_store_dword v1, off, s[0:3], 0 offset:284
	v_cmpx_lt_u32_e32 34, v0
	s_cbranch_execz .LBB107_209
; %bb.208:
	s_clause 0x1
	buffer_load_dword v1, off, s[0:3], 0 offset:272
	buffer_load_dword v2, off, s[0:3], 0 offset:276
	v_mov_b32_e32 v3, 0
	buffer_store_dword v3, off, s[0:3], 0 offset:272
	buffer_store_dword v3, off, s[0:3], 0 offset:276
	s_waitcnt vmcnt(0)
	ds_write_b64 v97, v[1:2]
.LBB107_209:
	s_or_b32 exec_lo, exec_lo, s4
	s_waitcnt lgkmcnt(0)
	s_waitcnt_vscnt null, 0x0
	s_barrier
	buffer_gl0_inv
	s_clause 0x13
	buffer_load_dword v8, off, s[0:3], 0 offset:284
	buffer_load_dword v110, off, s[0:3], 0 offset:292
	;; [unrolled: 1-line block ×20, first 2 shown]
	v_mov_b32_e32 v1, 0
	ds_read2_b64 v[2:5], v1 offset0:79 offset1:80
	ds_read2_b64 v[98:101], v1 offset0:81 offset1:82
	;; [unrolled: 1-line block ×4, first 2 shown]
	ds_read_b64 v[6:7], v1 offset:696
	s_mov_b32 s4, exec_lo
	s_waitcnt vmcnt(19) lgkmcnt(4)
	v_mul_f32_e32 v129, v2, v8
	v_mul_f32_e32 v8, v3, v8
	s_waitcnt vmcnt(18)
	v_mul_f32_e32 v130, v4, v110
	v_mul_f32_e32 v110, v5, v110
	s_waitcnt vmcnt(17) lgkmcnt(3)
	v_mul_f32_e32 v131, v98, v111
	s_waitcnt vmcnt(16)
	v_mul_f32_e32 v132, v100, v112
	s_waitcnt vmcnt(15) lgkmcnt(2)
	v_mul_f32_e32 v133, v102, v113
	s_waitcnt vmcnt(14)
	;; [unrolled: 4-line block ×3, first 2 shown]
	v_fma_f32 v2, v2, v118, -v8
	v_fmac_f32_e32 v129, v3, v118
	v_mul_f32_e32 v3, v99, v111
	s_waitcnt vmcnt(9)
	v_fma_f32 v4, v4, v119, -v110
	v_fmac_f32_e32 v130, v5, v119
	v_add_f32_e32 v2, 0, v2
	v_add_f32_e32 v5, 0, v129
	v_mul_f32_e32 v8, v101, v112
	s_waitcnt vmcnt(8)
	v_fma_f32 v3, v98, v120, -v3
	v_fmac_f32_e32 v131, v99, v120
	v_add_f32_e32 v2, v2, v4
	v_add_f32_e32 v4, v5, v130
	;; [unrolled: 6-line block ×5, first 2 shown]
	v_mul_f32_e32 v5, v109, v116
	s_waitcnt vmcnt(4)
	v_fma_f32 v8, v106, v124, -v8
	v_mul_f32_e32 v136, v108, v116
	v_add_f32_e32 v2, v2, v4
	v_fmac_f32_e32 v135, v107, v124
	v_add_f32_e32 v3, v3, v134
	s_waitcnt lgkmcnt(0)
	v_mul_f32_e32 v4, v7, v117
	s_waitcnt vmcnt(3)
	v_fma_f32 v5, v108, v125, -v5
	v_add_f32_e32 v2, v2, v8
	v_mul_f32_e32 v137, v6, v117
	v_fmac_f32_e32 v136, v109, v125
	v_add_f32_e32 v3, v3, v135
	s_waitcnt vmcnt(2)
	v_fma_f32 v4, v6, v126, -v4
	v_add_f32_e32 v2, v2, v5
	v_fmac_f32_e32 v137, v7, v126
	v_add_f32_e32 v3, v3, v136
	v_add_f32_e32 v2, v2, v4
	;; [unrolled: 1-line block ×3, first 2 shown]
	s_waitcnt vmcnt(1)
	v_sub_f32_e32 v2, v127, v2
	s_waitcnt vmcnt(0)
	v_sub_f32_e32 v3, v128, v3
	buffer_store_dword v2, off, s[0:3], 0 offset:272
	buffer_store_dword v3, off, s[0:3], 0 offset:276
	v_cmpx_lt_u32_e32 33, v0
	s_cbranch_execz .LBB107_211
; %bb.210:
	s_clause 0x1
	buffer_load_dword v2, off, s[0:3], 0 offset:264
	buffer_load_dword v3, off, s[0:3], 0 offset:268
	buffer_store_dword v1, off, s[0:3], 0 offset:264
	buffer_store_dword v1, off, s[0:3], 0 offset:268
	s_waitcnt vmcnt(0)
	ds_write_b64 v97, v[2:3]
.LBB107_211:
	s_or_b32 exec_lo, exec_lo, s4
	s_waitcnt lgkmcnt(0)
	s_waitcnt_vscnt null, 0x0
	s_barrier
	buffer_gl0_inv
	s_clause 0x15
	buffer_load_dword v6, off, s[0:3], 0 offset:276
	buffer_load_dword v7, off, s[0:3], 0 offset:284
	buffer_load_dword v8, off, s[0:3], 0 offset:292
	buffer_load_dword v114, off, s[0:3], 0 offset:300
	buffer_load_dword v115, off, s[0:3], 0 offset:308
	buffer_load_dword v116, off, s[0:3], 0 offset:316
	buffer_load_dword v117, off, s[0:3], 0 offset:324
	buffer_load_dword v118, off, s[0:3], 0 offset:332
	buffer_load_dword v119, off, s[0:3], 0 offset:340
	buffer_load_dword v120, off, s[0:3], 0 offset:348
	buffer_load_dword v121, off, s[0:3], 0 offset:272
	buffer_load_dword v122, off, s[0:3], 0 offset:280
	buffer_load_dword v123, off, s[0:3], 0 offset:288
	buffer_load_dword v124, off, s[0:3], 0 offset:296
	buffer_load_dword v125, off, s[0:3], 0 offset:304
	buffer_load_dword v126, off, s[0:3], 0 offset:312
	buffer_load_dword v127, off, s[0:3], 0 offset:320
	buffer_load_dword v128, off, s[0:3], 0 offset:328
	buffer_load_dword v129, off, s[0:3], 0 offset:336
	buffer_load_dword v130, off, s[0:3], 0 offset:344
	buffer_load_dword v131, off, s[0:3], 0 offset:264
	buffer_load_dword v132, off, s[0:3], 0 offset:268
	ds_read_b128 v[2:5], v1 offset:624
	ds_read_b128 v[98:101], v1 offset:640
	;; [unrolled: 1-line block ×5, first 2 shown]
	s_mov_b32 s4, exec_lo
	s_waitcnt vmcnt(21) lgkmcnt(4)
	v_mul_f32_e32 v1, v2, v6
	v_mul_f32_e32 v6, v3, v6
	s_waitcnt vmcnt(20)
	v_mul_f32_e32 v133, v4, v7
	v_mul_f32_e32 v7, v5, v7
	s_waitcnt vmcnt(19) lgkmcnt(3)
	v_mul_f32_e32 v134, v98, v8
	s_waitcnt vmcnt(18)
	v_mul_f32_e32 v135, v100, v114
	s_waitcnt vmcnt(17) lgkmcnt(2)
	v_mul_f32_e32 v136, v102, v115
	s_waitcnt vmcnt(16)
	;; [unrolled: 4-line block ×3, first 2 shown]
	v_mul_f32_e32 v139, v108, v118
	s_waitcnt vmcnt(11)
	v_fma_f32 v2, v2, v121, -v6
	v_fmac_f32_e32 v1, v3, v121
	v_mul_f32_e32 v3, v99, v8
	s_waitcnt vmcnt(10)
	v_fma_f32 v4, v4, v122, -v7
	v_fmac_f32_e32 v133, v5, v122
	v_add_f32_e32 v2, 0, v2
	v_add_f32_e32 v1, 0, v1
	v_mul_f32_e32 v5, v101, v114
	s_waitcnt vmcnt(9)
	v_fma_f32 v3, v98, v123, -v3
	v_fmac_f32_e32 v134, v99, v123
	v_add_f32_e32 v2, v2, v4
	v_add_f32_e32 v1, v1, v133
	;; [unrolled: 6-line block ×6, first 2 shown]
	s_waitcnt lgkmcnt(0)
	v_mul_f32_e32 v3, v111, v119
	s_waitcnt vmcnt(4)
	v_fma_f32 v4, v108, v128, -v4
	v_mul_f32_e32 v140, v110, v119
	v_add_f32_e32 v2, v2, v5
	v_fmac_f32_e32 v139, v109, v128
	v_add_f32_e32 v1, v1, v138
	v_mul_f32_e32 v5, v113, v120
	s_waitcnt vmcnt(3)
	v_fma_f32 v3, v110, v129, -v3
	v_add_f32_e32 v2, v2, v4
	v_mul_f32_e32 v141, v112, v120
	v_fmac_f32_e32 v140, v111, v129
	v_add_f32_e32 v1, v1, v139
	s_waitcnt vmcnt(2)
	v_fma_f32 v4, v112, v130, -v5
	v_add_f32_e32 v2, v2, v3
	v_fmac_f32_e32 v141, v113, v130
	v_add_f32_e32 v1, v1, v140
	v_add_f32_e32 v2, v2, v4
	;; [unrolled: 1-line block ×3, first 2 shown]
	s_waitcnt vmcnt(1)
	v_sub_f32_e32 v2, v131, v2
	s_waitcnt vmcnt(0)
	v_sub_f32_e32 v1, v132, v1
	buffer_store_dword v2, off, s[0:3], 0 offset:264
	buffer_store_dword v1, off, s[0:3], 0 offset:268
	v_cmpx_lt_u32_e32 32, v0
	s_cbranch_execz .LBB107_213
; %bb.212:
	s_clause 0x1
	buffer_load_dword v1, off, s[0:3], 0 offset:256
	buffer_load_dword v2, off, s[0:3], 0 offset:260
	v_mov_b32_e32 v3, 0
	buffer_store_dword v3, off, s[0:3], 0 offset:256
	buffer_store_dword v3, off, s[0:3], 0 offset:260
	s_waitcnt vmcnt(0)
	ds_write_b64 v97, v[1:2]
.LBB107_213:
	s_or_b32 exec_lo, exec_lo, s4
	s_waitcnt lgkmcnt(0)
	s_waitcnt_vscnt null, 0x0
	s_barrier
	buffer_gl0_inv
	s_clause 0x17
	buffer_load_dword v8, off, s[0:3], 0 offset:268
	buffer_load_dword v114, off, s[0:3], 0 offset:276
	;; [unrolled: 1-line block ×24, first 2 shown]
	v_mov_b32_e32 v1, 0
	ds_read2_b64 v[2:5], v1 offset0:77 offset1:78
	ds_read2_b64 v[98:101], v1 offset0:79 offset1:80
	;; [unrolled: 1-line block ×5, first 2 shown]
	ds_read_b64 v[6:7], v1 offset:696
	s_mov_b32 s4, exec_lo
	s_waitcnt vmcnt(23) lgkmcnt(5)
	v_mul_f32_e32 v137, v2, v8
	v_mul_f32_e32 v8, v3, v8
	s_waitcnt vmcnt(22)
	v_mul_f32_e32 v138, v4, v114
	v_mul_f32_e32 v114, v5, v114
	s_waitcnt vmcnt(21) lgkmcnt(4)
	v_mul_f32_e32 v139, v98, v115
	s_waitcnt vmcnt(20)
	v_mul_f32_e32 v140, v100, v116
	s_waitcnt vmcnt(19) lgkmcnt(3)
	v_mul_f32_e32 v141, v102, v117
	s_waitcnt vmcnt(18)
	;; [unrolled: 4-line block ×4, first 2 shown]
	v_fma_f32 v2, v2, v124, -v8
	v_fmac_f32_e32 v137, v3, v124
	v_mul_f32_e32 v3, v99, v115
	s_waitcnt vmcnt(11)
	v_fma_f32 v4, v4, v125, -v114
	v_fmac_f32_e32 v138, v5, v125
	v_add_f32_e32 v2, 0, v2
	v_add_f32_e32 v5, 0, v137
	v_mul_f32_e32 v8, v101, v116
	s_waitcnt vmcnt(10)
	v_fma_f32 v3, v98, v126, -v3
	v_fmac_f32_e32 v139, v99, v126
	v_add_f32_e32 v2, v2, v4
	v_add_f32_e32 v4, v5, v138
	;; [unrolled: 6-line block ×7, first 2 shown]
	v_mul_f32_e32 v8, v113, v122
	s_waitcnt vmcnt(4)
	v_fma_f32 v4, v110, v132, -v4
	v_mul_f32_e32 v146, v112, v122
	v_add_f32_e32 v2, v2, v5
	v_fmac_f32_e32 v145, v111, v132
	v_add_f32_e32 v3, v3, v144
	s_waitcnt lgkmcnt(0)
	v_mul_f32_e32 v5, v7, v123
	s_waitcnt vmcnt(3)
	v_fma_f32 v8, v112, v133, -v8
	v_add_f32_e32 v2, v2, v4
	v_mul_f32_e32 v147, v6, v123
	v_fmac_f32_e32 v146, v113, v133
	v_add_f32_e32 v3, v3, v145
	s_waitcnt vmcnt(2)
	v_fma_f32 v4, v6, v134, -v5
	v_add_f32_e32 v2, v2, v8
	v_fmac_f32_e32 v147, v7, v134
	v_add_f32_e32 v3, v3, v146
	v_add_f32_e32 v2, v2, v4
	;; [unrolled: 1-line block ×3, first 2 shown]
	s_waitcnt vmcnt(1)
	v_sub_f32_e32 v2, v135, v2
	s_waitcnt vmcnt(0)
	v_sub_f32_e32 v3, v136, v3
	buffer_store_dword v2, off, s[0:3], 0 offset:256
	buffer_store_dword v3, off, s[0:3], 0 offset:260
	v_cmpx_lt_u32_e32 31, v0
	s_cbranch_execz .LBB107_215
; %bb.214:
	s_clause 0x1
	buffer_load_dword v2, off, s[0:3], 0 offset:248
	buffer_load_dword v3, off, s[0:3], 0 offset:252
	buffer_store_dword v1, off, s[0:3], 0 offset:248
	buffer_store_dword v1, off, s[0:3], 0 offset:252
	s_waitcnt vmcnt(0)
	ds_write_b64 v97, v[2:3]
.LBB107_215:
	s_or_b32 exec_lo, exec_lo, s4
	s_waitcnt lgkmcnt(0)
	s_waitcnt_vscnt null, 0x0
	s_barrier
	buffer_gl0_inv
	s_clause 0x19
	buffer_load_dword v6, off, s[0:3], 0 offset:260
	buffer_load_dword v7, off, s[0:3], 0 offset:268
	;; [unrolled: 1-line block ×26, first 2 shown]
	ds_read_b128 v[2:5], v1 offset:608
	ds_read_b128 v[98:101], v1 offset:624
	;; [unrolled: 1-line block ×6, first 2 shown]
	s_mov_b32 s4, exec_lo
	s_waitcnt vmcnt(25) lgkmcnt(5)
	v_mul_f32_e32 v1, v2, v6
	v_mul_f32_e32 v6, v3, v6
	s_waitcnt vmcnt(24)
	v_mul_f32_e32 v141, v4, v7
	v_mul_f32_e32 v7, v5, v7
	s_waitcnt vmcnt(23) lgkmcnt(4)
	v_mul_f32_e32 v142, v98, v8
	s_waitcnt vmcnt(22)
	v_mul_f32_e32 v143, v100, v118
	s_waitcnt vmcnt(21) lgkmcnt(3)
	v_mul_f32_e32 v144, v102, v119
	s_waitcnt vmcnt(20)
	;; [unrolled: 4-line block ×4, first 2 shown]
	v_mul_f32_e32 v149, v112, v124
	s_waitcnt vmcnt(13)
	v_fma_f32 v2, v2, v127, -v6
	v_fmac_f32_e32 v1, v3, v127
	v_mul_f32_e32 v3, v99, v8
	s_waitcnt vmcnt(12)
	v_fma_f32 v4, v4, v128, -v7
	v_fmac_f32_e32 v141, v5, v128
	v_add_f32_e32 v2, 0, v2
	v_add_f32_e32 v1, 0, v1
	v_mul_f32_e32 v5, v101, v118
	s_waitcnt vmcnt(11)
	v_fma_f32 v3, v98, v129, -v3
	v_fmac_f32_e32 v142, v99, v129
	v_add_f32_e32 v2, v2, v4
	v_add_f32_e32 v1, v1, v141
	;; [unrolled: 6-line block ×8, first 2 shown]
	s_waitcnt lgkmcnt(0)
	v_mul_f32_e32 v4, v115, v125
	s_waitcnt vmcnt(4)
	v_fma_f32 v5, v112, v136, -v5
	v_mul_f32_e32 v150, v114, v125
	v_add_f32_e32 v2, v2, v3
	v_fmac_f32_e32 v149, v113, v136
	v_add_f32_e32 v1, v1, v148
	v_mul_f32_e32 v3, v117, v126
	s_waitcnt vmcnt(3)
	v_fma_f32 v4, v114, v137, -v4
	v_add_f32_e32 v2, v2, v5
	v_mul_f32_e32 v151, v116, v126
	v_fmac_f32_e32 v150, v115, v137
	v_add_f32_e32 v1, v1, v149
	s_waitcnt vmcnt(2)
	v_fma_f32 v3, v116, v138, -v3
	v_add_f32_e32 v2, v2, v4
	v_fmac_f32_e32 v151, v117, v138
	v_add_f32_e32 v1, v1, v150
	v_add_f32_e32 v2, v2, v3
	;; [unrolled: 1-line block ×3, first 2 shown]
	s_waitcnt vmcnt(1)
	v_sub_f32_e32 v2, v139, v2
	s_waitcnt vmcnt(0)
	v_sub_f32_e32 v1, v140, v1
	buffer_store_dword v2, off, s[0:3], 0 offset:248
	buffer_store_dword v1, off, s[0:3], 0 offset:252
	v_cmpx_lt_u32_e32 30, v0
	s_cbranch_execz .LBB107_217
; %bb.216:
	s_clause 0x1
	buffer_load_dword v1, off, s[0:3], 0 offset:240
	buffer_load_dword v2, off, s[0:3], 0 offset:244
	v_mov_b32_e32 v3, 0
	buffer_store_dword v3, off, s[0:3], 0 offset:240
	buffer_store_dword v3, off, s[0:3], 0 offset:244
	s_waitcnt vmcnt(0)
	ds_write_b64 v97, v[1:2]
.LBB107_217:
	s_or_b32 exec_lo, exec_lo, s4
	s_waitcnt lgkmcnt(0)
	s_waitcnt_vscnt null, 0x0
	s_barrier
	buffer_gl0_inv
	s_clause 0x1b
	buffer_load_dword v8, off, s[0:3], 0 offset:252
	buffer_load_dword v118, off, s[0:3], 0 offset:260
	;; [unrolled: 1-line block ×28, first 2 shown]
	v_mov_b32_e32 v1, 0
	ds_read2_b64 v[2:5], v1 offset0:75 offset1:76
	ds_read2_b64 v[98:101], v1 offset0:77 offset1:78
	;; [unrolled: 1-line block ×6, first 2 shown]
	ds_read_b64 v[6:7], v1 offset:696
	s_mov_b32 s4, exec_lo
	s_waitcnt vmcnt(27) lgkmcnt(6)
	v_mul_f32_e32 v145, v2, v8
	v_mul_f32_e32 v8, v3, v8
	s_waitcnt vmcnt(26)
	v_mul_f32_e32 v146, v4, v118
	v_mul_f32_e32 v118, v5, v118
	s_waitcnt vmcnt(25) lgkmcnt(5)
	v_mul_f32_e32 v147, v98, v119
	s_waitcnt vmcnt(24)
	v_mul_f32_e32 v148, v100, v120
	s_waitcnt vmcnt(23) lgkmcnt(4)
	v_mul_f32_e32 v149, v102, v121
	s_waitcnt vmcnt(22)
	;; [unrolled: 4-line block ×5, first 2 shown]
	v_fma_f32 v2, v2, v130, -v8
	v_fmac_f32_e32 v145, v3, v130
	v_mul_f32_e32 v3, v99, v119
	s_waitcnt vmcnt(13)
	v_fma_f32 v4, v4, v131, -v118
	v_fmac_f32_e32 v146, v5, v131
	v_add_f32_e32 v2, 0, v2
	v_add_f32_e32 v5, 0, v145
	v_mul_f32_e32 v8, v101, v120
	s_waitcnt vmcnt(12)
	v_fma_f32 v3, v98, v132, -v3
	v_fmac_f32_e32 v147, v99, v132
	v_add_f32_e32 v2, v2, v4
	v_add_f32_e32 v4, v5, v146
	v_mul_f32_e32 v5, v103, v121
	s_waitcnt vmcnt(11)
	v_fma_f32 v8, v100, v133, -v8
	v_fmac_f32_e32 v148, v101, v133
	v_add_f32_e32 v2, v2, v3
	v_add_f32_e32 v3, v4, v147
	v_mul_f32_e32 v4, v105, v122
	s_waitcnt vmcnt(10)
	v_fma_f32 v5, v102, v134, -v5
	v_fmac_f32_e32 v149, v103, v134
	v_add_f32_e32 v2, v2, v8
	v_add_f32_e32 v3, v3, v148
	v_mul_f32_e32 v8, v107, v123
	s_waitcnt vmcnt(9)
	v_fma_f32 v4, v104, v135, -v4
	v_fmac_f32_e32 v150, v105, v135
	v_add_f32_e32 v2, v2, v5
	v_add_f32_e32 v3, v3, v149
	v_mul_f32_e32 v5, v109, v124
	s_waitcnt vmcnt(8)
	v_fma_f32 v8, v106, v136, -v8
	v_fmac_f32_e32 v151, v107, v136
	v_add_f32_e32 v2, v2, v4
	v_add_f32_e32 v3, v3, v150
	v_mul_f32_e32 v4, v111, v125
	s_waitcnt vmcnt(7)
	v_fma_f32 v5, v108, v137, -v5
	v_fmac_f32_e32 v152, v109, v137
	v_add_f32_e32 v2, v2, v8
	v_add_f32_e32 v3, v3, v151
	v_mul_f32_e32 v8, v113, v126
	s_waitcnt vmcnt(6)
	v_fma_f32 v4, v110, v138, -v4
	v_fmac_f32_e32 v153, v111, v138
	v_add_f32_e32 v2, v2, v5
	v_add_f32_e32 v3, v3, v152
	v_mul_f32_e32 v5, v115, v127
	s_waitcnt vmcnt(5)
	v_fma_f32 v8, v112, v139, -v8
	v_fmac_f32_e32 v154, v113, v139
	v_add_f32_e32 v2, v2, v4
	v_add_f32_e32 v3, v3, v153
	v_mul_f32_e32 v4, v117, v128
	s_waitcnt vmcnt(4)
	v_fma_f32 v5, v114, v140, -v5
	v_mul_f32_e32 v156, v116, v128
	v_add_f32_e32 v2, v2, v8
	v_fmac_f32_e32 v155, v115, v140
	v_add_f32_e32 v3, v3, v154
	s_waitcnt lgkmcnt(0)
	v_mul_f32_e32 v8, v7, v129
	s_waitcnt vmcnt(3)
	v_fma_f32 v4, v116, v141, -v4
	v_add_f32_e32 v2, v2, v5
	v_mul_f32_e32 v157, v6, v129
	v_fmac_f32_e32 v156, v117, v141
	v_add_f32_e32 v3, v3, v155
	s_waitcnt vmcnt(2)
	v_fma_f32 v5, v6, v142, -v8
	v_add_f32_e32 v2, v2, v4
	v_fmac_f32_e32 v157, v7, v142
	v_add_f32_e32 v3, v3, v156
	v_add_f32_e32 v2, v2, v5
	;; [unrolled: 1-line block ×3, first 2 shown]
	s_waitcnt vmcnt(1)
	v_sub_f32_e32 v2, v143, v2
	s_waitcnt vmcnt(0)
	v_sub_f32_e32 v3, v144, v3
	buffer_store_dword v2, off, s[0:3], 0 offset:240
	buffer_store_dword v3, off, s[0:3], 0 offset:244
	v_cmpx_lt_u32_e32 29, v0
	s_cbranch_execz .LBB107_219
; %bb.218:
	s_clause 0x1
	buffer_load_dword v2, off, s[0:3], 0 offset:232
	buffer_load_dword v3, off, s[0:3], 0 offset:236
	buffer_store_dword v1, off, s[0:3], 0 offset:232
	buffer_store_dword v1, off, s[0:3], 0 offset:236
	s_waitcnt vmcnt(0)
	ds_write_b64 v97, v[2:3]
.LBB107_219:
	s_or_b32 exec_lo, exec_lo, s4
	s_waitcnt lgkmcnt(0)
	s_waitcnt_vscnt null, 0x0
	s_barrier
	buffer_gl0_inv
	s_clause 0x1d
	buffer_load_dword v6, off, s[0:3], 0 offset:244
	buffer_load_dword v7, off, s[0:3], 0 offset:252
	;; [unrolled: 1-line block ×30, first 2 shown]
	ds_read_b128 v[2:5], v1 offset:592
	ds_read_b128 v[98:101], v1 offset:608
	;; [unrolled: 1-line block ×7, first 2 shown]
	s_mov_b32 s4, exec_lo
	s_waitcnt vmcnt(29) lgkmcnt(6)
	v_mul_f32_e32 v1, v2, v6
	v_mul_f32_e32 v6, v3, v6
	s_waitcnt vmcnt(28)
	v_mul_f32_e32 v149, v4, v7
	v_mul_f32_e32 v7, v5, v7
	s_waitcnt vmcnt(27) lgkmcnt(5)
	v_mul_f32_e32 v150, v98, v8
	s_waitcnt vmcnt(26)
	v_mul_f32_e32 v151, v100, v122
	s_waitcnt vmcnt(25) lgkmcnt(4)
	v_mul_f32_e32 v152, v102, v123
	s_waitcnt vmcnt(24)
	;; [unrolled: 4-line block ×5, first 2 shown]
	v_mul_f32_e32 v159, v116, v130
	s_waitcnt vmcnt(15)
	v_fma_f32 v2, v2, v133, -v6
	v_fmac_f32_e32 v1, v3, v133
	v_mul_f32_e32 v3, v99, v8
	s_waitcnt vmcnt(14)
	v_fma_f32 v4, v4, v134, -v7
	v_fmac_f32_e32 v149, v5, v134
	v_add_f32_e32 v2, 0, v2
	v_add_f32_e32 v1, 0, v1
	v_mul_f32_e32 v5, v101, v122
	s_waitcnt vmcnt(13)
	v_fma_f32 v3, v98, v135, -v3
	v_fmac_f32_e32 v150, v99, v135
	v_add_f32_e32 v2, v2, v4
	v_add_f32_e32 v1, v1, v149
	;; [unrolled: 6-line block ×10, first 2 shown]
	s_waitcnt lgkmcnt(0)
	v_mul_f32_e32 v5, v119, v131
	s_waitcnt vmcnt(4)
	v_fma_f32 v3, v116, v144, -v3
	v_mul_f32_e32 v160, v118, v131
	v_add_f32_e32 v2, v2, v4
	v_fmac_f32_e32 v159, v117, v144
	v_add_f32_e32 v1, v1, v158
	v_mul_f32_e32 v4, v121, v132
	s_waitcnt vmcnt(3)
	v_fma_f32 v5, v118, v145, -v5
	v_add_f32_e32 v2, v2, v3
	v_mul_f32_e32 v161, v120, v132
	v_fmac_f32_e32 v160, v119, v145
	v_add_f32_e32 v1, v1, v159
	s_waitcnt vmcnt(2)
	v_fma_f32 v3, v120, v146, -v4
	v_add_f32_e32 v2, v2, v5
	v_fmac_f32_e32 v161, v121, v146
	v_add_f32_e32 v1, v1, v160
	v_add_f32_e32 v2, v2, v3
	v_add_f32_e32 v1, v1, v161
	s_waitcnt vmcnt(1)
	v_sub_f32_e32 v2, v147, v2
	s_waitcnt vmcnt(0)
	v_sub_f32_e32 v1, v148, v1
	buffer_store_dword v2, off, s[0:3], 0 offset:232
	buffer_store_dword v1, off, s[0:3], 0 offset:236
	v_cmpx_lt_u32_e32 28, v0
	s_cbranch_execz .LBB107_221
; %bb.220:
	s_clause 0x1
	buffer_load_dword v1, off, s[0:3], 0 offset:224
	buffer_load_dword v2, off, s[0:3], 0 offset:228
	v_mov_b32_e32 v3, 0
	buffer_store_dword v3, off, s[0:3], 0 offset:224
	buffer_store_dword v3, off, s[0:3], 0 offset:228
	s_waitcnt vmcnt(0)
	ds_write_b64 v97, v[1:2]
.LBB107_221:
	s_or_b32 exec_lo, exec_lo, s4
	s_waitcnt lgkmcnt(0)
	s_waitcnt_vscnt null, 0x0
	s_barrier
	buffer_gl0_inv
	s_clause 0x1f
	buffer_load_dword v8, off, s[0:3], 0 offset:236
	buffer_load_dword v122, off, s[0:3], 0 offset:244
	;; [unrolled: 1-line block ×32, first 2 shown]
	v_mov_b32_e32 v1, 0
	ds_read2_b64 v[2:5], v1 offset0:73 offset1:74
	ds_read2_b64 v[98:101], v1 offset0:75 offset1:76
	;; [unrolled: 1-line block ×7, first 2 shown]
	ds_read_b64 v[6:7], v1 offset:696
	s_mov_b32 s4, exec_lo
	s_waitcnt vmcnt(31) lgkmcnt(7)
	v_mul_f32_e32 v153, v2, v8
	v_mul_f32_e32 v8, v3, v8
	s_waitcnt vmcnt(30)
	v_mul_f32_e32 v154, v4, v122
	v_mul_f32_e32 v122, v5, v122
	s_waitcnt vmcnt(29) lgkmcnt(6)
	v_mul_f32_e32 v155, v98, v123
	s_waitcnt vmcnt(28)
	v_mul_f32_e32 v156, v100, v124
	s_waitcnt vmcnt(27) lgkmcnt(5)
	v_mul_f32_e32 v157, v102, v125
	s_waitcnt vmcnt(26)
	;; [unrolled: 4-line block ×6, first 2 shown]
	v_fma_f32 v2, v2, v136, -v8
	v_fmac_f32_e32 v153, v3, v136
	v_mul_f32_e32 v3, v99, v123
	s_waitcnt vmcnt(15)
	v_fma_f32 v4, v4, v137, -v122
	v_fmac_f32_e32 v154, v5, v137
	v_add_f32_e32 v2, 0, v2
	v_add_f32_e32 v5, 0, v153
	v_mul_f32_e32 v8, v101, v124
	s_waitcnt vmcnt(14)
	v_fma_f32 v3, v98, v138, -v3
	v_fmac_f32_e32 v155, v99, v138
	v_add_f32_e32 v2, v2, v4
	v_add_f32_e32 v4, v5, v154
	;; [unrolled: 6-line block ×11, first 2 shown]
	v_mul_f32_e32 v5, v121, v134
	s_waitcnt vmcnt(4)
	v_fma_f32 v8, v118, v148, -v8
	v_mul_f32_e32 v166, v120, v134
	v_add_f32_e32 v2, v2, v4
	v_fmac_f32_e32 v165, v119, v148
	v_add_f32_e32 v3, v3, v164
	s_waitcnt lgkmcnt(0)
	v_mul_f32_e32 v4, v7, v135
	s_waitcnt vmcnt(3)
	v_fma_f32 v5, v120, v149, -v5
	v_add_f32_e32 v2, v2, v8
	v_mul_f32_e32 v167, v6, v135
	v_fmac_f32_e32 v166, v121, v149
	v_add_f32_e32 v3, v3, v165
	s_waitcnt vmcnt(2)
	v_fma_f32 v4, v6, v150, -v4
	v_add_f32_e32 v2, v2, v5
	v_fmac_f32_e32 v167, v7, v150
	v_add_f32_e32 v3, v3, v166
	v_add_f32_e32 v2, v2, v4
	;; [unrolled: 1-line block ×3, first 2 shown]
	s_waitcnt vmcnt(1)
	v_sub_f32_e32 v2, v151, v2
	s_waitcnt vmcnt(0)
	v_sub_f32_e32 v3, v152, v3
	buffer_store_dword v2, off, s[0:3], 0 offset:224
	buffer_store_dword v3, off, s[0:3], 0 offset:228
	v_cmpx_lt_u32_e32 27, v0
	s_cbranch_execz .LBB107_223
; %bb.222:
	s_clause 0x1
	buffer_load_dword v2, off, s[0:3], 0 offset:216
	buffer_load_dword v3, off, s[0:3], 0 offset:220
	buffer_store_dword v1, off, s[0:3], 0 offset:216
	buffer_store_dword v1, off, s[0:3], 0 offset:220
	s_waitcnt vmcnt(0)
	ds_write_b64 v97, v[2:3]
.LBB107_223:
	s_or_b32 exec_lo, exec_lo, s4
	s_waitcnt lgkmcnt(0)
	s_waitcnt_vscnt null, 0x0
	s_barrier
	buffer_gl0_inv
	s_clause 0x21
	buffer_load_dword v6, off, s[0:3], 0 offset:228
	buffer_load_dword v7, off, s[0:3], 0 offset:236
	;; [unrolled: 1-line block ×34, first 2 shown]
	ds_read_b128 v[2:5], v1 offset:576
	ds_read_b128 v[98:101], v1 offset:592
	;; [unrolled: 1-line block ×8, first 2 shown]
	s_mov_b32 s4, exec_lo
	s_waitcnt vmcnt(33) lgkmcnt(7)
	v_mul_f32_e32 v1, v2, v6
	v_mul_f32_e32 v6, v3, v6
	s_waitcnt vmcnt(32)
	v_mul_f32_e32 v157, v4, v7
	v_mul_f32_e32 v7, v5, v7
	s_waitcnt vmcnt(31) lgkmcnt(6)
	v_mul_f32_e32 v158, v98, v8
	s_waitcnt vmcnt(30)
	v_mul_f32_e32 v159, v100, v126
	s_waitcnt vmcnt(29) lgkmcnt(5)
	v_mul_f32_e32 v160, v102, v127
	s_waitcnt vmcnt(28)
	;; [unrolled: 4-line block ×6, first 2 shown]
	v_mul_f32_e32 v169, v120, v136
	s_waitcnt vmcnt(17)
	v_fma_f32 v2, v2, v139, -v6
	v_fmac_f32_e32 v1, v3, v139
	v_mul_f32_e32 v3, v99, v8
	s_waitcnt vmcnt(16)
	v_fma_f32 v4, v4, v140, -v7
	v_fmac_f32_e32 v157, v5, v140
	v_add_f32_e32 v2, 0, v2
	v_add_f32_e32 v1, 0, v1
	v_mul_f32_e32 v5, v101, v126
	s_waitcnt vmcnt(15)
	v_fma_f32 v3, v98, v141, -v3
	v_fmac_f32_e32 v158, v99, v141
	v_add_f32_e32 v2, v2, v4
	v_add_f32_e32 v1, v1, v157
	;; [unrolled: 6-line block ×12, first 2 shown]
	s_waitcnt lgkmcnt(0)
	v_mul_f32_e32 v3, v123, v137
	s_waitcnt vmcnt(4)
	v_fma_f32 v4, v120, v152, -v4
	v_mul_f32_e32 v170, v122, v137
	v_add_f32_e32 v2, v2, v5
	v_fmac_f32_e32 v169, v121, v152
	v_add_f32_e32 v1, v1, v168
	v_mul_f32_e32 v5, v125, v138
	s_waitcnt vmcnt(3)
	v_fma_f32 v3, v122, v153, -v3
	v_add_f32_e32 v2, v2, v4
	v_mul_f32_e32 v171, v124, v138
	v_fmac_f32_e32 v170, v123, v153
	v_add_f32_e32 v1, v1, v169
	s_waitcnt vmcnt(2)
	v_fma_f32 v4, v124, v154, -v5
	v_add_f32_e32 v2, v2, v3
	v_fmac_f32_e32 v171, v125, v154
	v_add_f32_e32 v1, v1, v170
	v_add_f32_e32 v2, v2, v4
	;; [unrolled: 1-line block ×3, first 2 shown]
	s_waitcnt vmcnt(1)
	v_sub_f32_e32 v2, v155, v2
	s_waitcnt vmcnt(0)
	v_sub_f32_e32 v1, v156, v1
	buffer_store_dword v2, off, s[0:3], 0 offset:216
	buffer_store_dword v1, off, s[0:3], 0 offset:220
	v_cmpx_lt_u32_e32 26, v0
	s_cbranch_execz .LBB107_225
; %bb.224:
	s_clause 0x1
	buffer_load_dword v1, off, s[0:3], 0 offset:208
	buffer_load_dword v2, off, s[0:3], 0 offset:212
	v_mov_b32_e32 v3, 0
	buffer_store_dword v3, off, s[0:3], 0 offset:208
	buffer_store_dword v3, off, s[0:3], 0 offset:212
	s_waitcnt vmcnt(0)
	ds_write_b64 v97, v[1:2]
.LBB107_225:
	s_or_b32 exec_lo, exec_lo, s4
	s_waitcnt lgkmcnt(0)
	s_waitcnt_vscnt null, 0x0
	s_barrier
	buffer_gl0_inv
	s_clause 0x23
	buffer_load_dword v8, off, s[0:3], 0 offset:220
	buffer_load_dword v126, off, s[0:3], 0 offset:228
	;; [unrolled: 1-line block ×36, first 2 shown]
	v_mov_b32_e32 v1, 0
	ds_read2_b64 v[2:5], v1 offset0:71 offset1:72
	ds_read2_b64 v[98:101], v1 offset0:73 offset1:74
	;; [unrolled: 1-line block ×8, first 2 shown]
	ds_read_b64 v[6:7], v1 offset:696
	s_mov_b32 s4, exec_lo
	s_waitcnt vmcnt(35) lgkmcnt(8)
	v_mul_f32_e32 v161, v2, v8
	v_mul_f32_e32 v8, v3, v8
	s_waitcnt vmcnt(34)
	v_mul_f32_e32 v162, v4, v126
	v_mul_f32_e32 v126, v5, v126
	s_waitcnt vmcnt(33) lgkmcnt(7)
	v_mul_f32_e32 v163, v98, v127
	s_waitcnt vmcnt(32)
	v_mul_f32_e32 v164, v100, v128
	s_waitcnt vmcnt(31) lgkmcnt(6)
	v_mul_f32_e32 v165, v102, v129
	s_waitcnt vmcnt(30)
	;; [unrolled: 4-line block ×7, first 2 shown]
	v_fma_f32 v2, v2, v142, -v8
	v_fmac_f32_e32 v161, v3, v142
	v_mul_f32_e32 v3, v99, v127
	s_waitcnt vmcnt(17)
	v_fma_f32 v4, v4, v143, -v126
	v_fmac_f32_e32 v162, v5, v143
	v_add_f32_e32 v2, 0, v2
	v_add_f32_e32 v5, 0, v161
	v_mul_f32_e32 v8, v101, v128
	s_waitcnt vmcnt(16)
	v_fma_f32 v3, v98, v144, -v3
	v_fmac_f32_e32 v163, v99, v144
	v_add_f32_e32 v2, v2, v4
	v_add_f32_e32 v4, v5, v162
	v_mul_f32_e32 v5, v103, v129
	s_waitcnt vmcnt(15)
	v_fma_f32 v8, v100, v145, -v8
	v_fmac_f32_e32 v164, v101, v145
	v_add_f32_e32 v2, v2, v3
	v_add_f32_e32 v3, v4, v163
	v_mul_f32_e32 v4, v105, v130
	s_waitcnt vmcnt(14)
	v_fma_f32 v5, v102, v146, -v5
	v_fmac_f32_e32 v165, v103, v146
	v_add_f32_e32 v2, v2, v8
	v_add_f32_e32 v3, v3, v164
	v_mul_f32_e32 v8, v107, v131
	s_waitcnt vmcnt(13)
	v_fma_f32 v4, v104, v147, -v4
	v_fmac_f32_e32 v166, v105, v147
	v_add_f32_e32 v2, v2, v5
	v_add_f32_e32 v3, v3, v165
	v_mul_f32_e32 v5, v109, v132
	s_waitcnt vmcnt(12)
	v_fma_f32 v8, v106, v148, -v8
	v_fmac_f32_e32 v167, v107, v148
	v_add_f32_e32 v2, v2, v4
	v_add_f32_e32 v3, v3, v166
	v_mul_f32_e32 v4, v111, v133
	s_waitcnt vmcnt(11)
	v_fma_f32 v5, v108, v149, -v5
	v_fmac_f32_e32 v168, v109, v149
	v_add_f32_e32 v2, v2, v8
	v_add_f32_e32 v3, v3, v167
	v_mul_f32_e32 v8, v113, v134
	s_waitcnt vmcnt(10)
	v_fma_f32 v4, v110, v150, -v4
	v_fmac_f32_e32 v169, v111, v150
	v_add_f32_e32 v2, v2, v5
	v_add_f32_e32 v3, v3, v168
	v_mul_f32_e32 v5, v115, v135
	s_waitcnt vmcnt(9)
	v_fma_f32 v8, v112, v151, -v8
	v_fmac_f32_e32 v170, v113, v151
	v_add_f32_e32 v2, v2, v4
	v_add_f32_e32 v3, v3, v169
	v_mul_f32_e32 v4, v117, v136
	s_waitcnt vmcnt(8)
	v_fma_f32 v5, v114, v152, -v5
	v_fmac_f32_e32 v171, v115, v152
	v_add_f32_e32 v2, v2, v8
	v_add_f32_e32 v3, v3, v170
	v_mul_f32_e32 v8, v119, v137
	s_waitcnt vmcnt(7)
	v_fma_f32 v4, v116, v153, -v4
	v_fmac_f32_e32 v172, v117, v153
	v_add_f32_e32 v2, v2, v5
	v_add_f32_e32 v3, v3, v171
	v_mul_f32_e32 v5, v121, v138
	s_waitcnt vmcnt(6)
	v_fma_f32 v8, v118, v154, -v8
	v_fmac_f32_e32 v173, v119, v154
	v_add_f32_e32 v2, v2, v4
	v_add_f32_e32 v3, v3, v172
	v_mul_f32_e32 v4, v123, v139
	s_waitcnt vmcnt(5)
	v_fma_f32 v5, v120, v155, -v5
	v_fmac_f32_e32 v174, v121, v155
	v_add_f32_e32 v2, v2, v8
	v_add_f32_e32 v3, v3, v173
	v_mul_f32_e32 v8, v125, v140
	s_waitcnt vmcnt(4)
	v_fma_f32 v4, v122, v156, -v4
	v_mul_f32_e32 v176, v124, v140
	v_add_f32_e32 v2, v2, v5
	v_fmac_f32_e32 v175, v123, v156
	v_add_f32_e32 v3, v3, v174
	s_waitcnt lgkmcnt(0)
	v_mul_f32_e32 v5, v7, v141
	s_waitcnt vmcnt(3)
	v_fma_f32 v8, v124, v157, -v8
	v_add_f32_e32 v2, v2, v4
	v_mul_f32_e32 v177, v6, v141
	v_fmac_f32_e32 v176, v125, v157
	v_add_f32_e32 v3, v3, v175
	s_waitcnt vmcnt(2)
	v_fma_f32 v4, v6, v158, -v5
	v_add_f32_e32 v2, v2, v8
	v_fmac_f32_e32 v177, v7, v158
	v_add_f32_e32 v3, v3, v176
	v_add_f32_e32 v2, v2, v4
	;; [unrolled: 1-line block ×3, first 2 shown]
	s_waitcnt vmcnt(1)
	v_sub_f32_e32 v2, v159, v2
	s_waitcnt vmcnt(0)
	v_sub_f32_e32 v3, v160, v3
	buffer_store_dword v2, off, s[0:3], 0 offset:208
	buffer_store_dword v3, off, s[0:3], 0 offset:212
	v_cmpx_lt_u32_e32 25, v0
	s_cbranch_execz .LBB107_227
; %bb.226:
	s_clause 0x1
	buffer_load_dword v2, off, s[0:3], 0 offset:200
	buffer_load_dword v3, off, s[0:3], 0 offset:204
	buffer_store_dword v1, off, s[0:3], 0 offset:200
	buffer_store_dword v1, off, s[0:3], 0 offset:204
	s_waitcnt vmcnt(0)
	ds_write_b64 v97, v[2:3]
.LBB107_227:
	s_or_b32 exec_lo, exec_lo, s4
	s_waitcnt lgkmcnt(0)
	s_waitcnt_vscnt null, 0x0
	s_barrier
	buffer_gl0_inv
	s_clause 0x25
	buffer_load_dword v6, off, s[0:3], 0 offset:212
	buffer_load_dword v7, off, s[0:3], 0 offset:220
	;; [unrolled: 1-line block ×38, first 2 shown]
	ds_read_b128 v[2:5], v1 offset:560
	ds_read_b128 v[98:101], v1 offset:576
	;; [unrolled: 1-line block ×9, first 2 shown]
	s_mov_b32 s4, exec_lo
	s_waitcnt vmcnt(37) lgkmcnt(8)
	v_mul_f32_e32 v1, v2, v6
	v_mul_f32_e32 v6, v3, v6
	s_waitcnt vmcnt(36)
	v_mul_f32_e32 v165, v4, v7
	v_mul_f32_e32 v7, v5, v7
	s_waitcnt vmcnt(35) lgkmcnt(7)
	v_mul_f32_e32 v166, v98, v8
	s_waitcnt vmcnt(34)
	v_mul_f32_e32 v167, v100, v130
	s_waitcnt vmcnt(33) lgkmcnt(6)
	v_mul_f32_e32 v168, v102, v131
	s_waitcnt vmcnt(32)
	;; [unrolled: 4-line block ×7, first 2 shown]
	v_mul_f32_e32 v179, v124, v142
	s_waitcnt vmcnt(19)
	v_fma_f32 v2, v2, v145, -v6
	v_fmac_f32_e32 v1, v3, v145
	v_mul_f32_e32 v3, v99, v8
	s_waitcnt vmcnt(18)
	v_fma_f32 v4, v4, v146, -v7
	v_fmac_f32_e32 v165, v5, v146
	v_add_f32_e32 v2, 0, v2
	v_add_f32_e32 v1, 0, v1
	v_mul_f32_e32 v5, v101, v130
	s_waitcnt vmcnt(17)
	v_fma_f32 v3, v98, v147, -v3
	v_fmac_f32_e32 v166, v99, v147
	v_add_f32_e32 v2, v2, v4
	v_add_f32_e32 v1, v1, v165
	;; [unrolled: 6-line block ×14, first 2 shown]
	s_waitcnt lgkmcnt(0)
	v_mul_f32_e32 v4, v127, v143
	s_waitcnt vmcnt(4)
	v_fma_f32 v5, v124, v160, -v5
	v_mul_f32_e32 v180, v126, v143
	v_add_f32_e32 v2, v2, v3
	v_fmac_f32_e32 v179, v125, v160
	v_add_f32_e32 v1, v1, v178
	v_mul_f32_e32 v3, v129, v144
	s_waitcnt vmcnt(3)
	v_fma_f32 v4, v126, v161, -v4
	v_add_f32_e32 v2, v2, v5
	v_mul_f32_e32 v181, v128, v144
	v_fmac_f32_e32 v180, v127, v161
	v_add_f32_e32 v1, v1, v179
	s_waitcnt vmcnt(2)
	v_fma_f32 v3, v128, v162, -v3
	v_add_f32_e32 v2, v2, v4
	v_fmac_f32_e32 v181, v129, v162
	v_add_f32_e32 v1, v1, v180
	v_add_f32_e32 v2, v2, v3
	;; [unrolled: 1-line block ×3, first 2 shown]
	s_waitcnt vmcnt(1)
	v_sub_f32_e32 v2, v163, v2
	s_waitcnt vmcnt(0)
	v_sub_f32_e32 v1, v164, v1
	buffer_store_dword v2, off, s[0:3], 0 offset:200
	buffer_store_dword v1, off, s[0:3], 0 offset:204
	v_cmpx_lt_u32_e32 24, v0
	s_cbranch_execz .LBB107_229
; %bb.228:
	s_clause 0x1
	buffer_load_dword v1, off, s[0:3], 0 offset:192
	buffer_load_dword v2, off, s[0:3], 0 offset:196
	v_mov_b32_e32 v3, 0
	buffer_store_dword v3, off, s[0:3], 0 offset:192
	buffer_store_dword v3, off, s[0:3], 0 offset:196
	s_waitcnt vmcnt(0)
	ds_write_b64 v97, v[1:2]
.LBB107_229:
	s_or_b32 exec_lo, exec_lo, s4
	s_waitcnt lgkmcnt(0)
	s_waitcnt_vscnt null, 0x0
	s_barrier
	buffer_gl0_inv
	s_clause 0x27
	buffer_load_dword v8, off, s[0:3], 0 offset:204
	buffer_load_dword v130, off, s[0:3], 0 offset:212
	;; [unrolled: 1-line block ×40, first 2 shown]
	v_mov_b32_e32 v1, 0
	ds_read2_b64 v[2:5], v1 offset0:69 offset1:70
	ds_read2_b64 v[98:101], v1 offset0:71 offset1:72
	ds_read2_b64 v[102:105], v1 offset0:73 offset1:74
	ds_read2_b64 v[106:109], v1 offset0:75 offset1:76
	ds_read2_b64 v[110:113], v1 offset0:77 offset1:78
	ds_read2_b64 v[114:117], v1 offset0:79 offset1:80
	ds_read2_b64 v[118:121], v1 offset0:81 offset1:82
	ds_read2_b64 v[122:125], v1 offset0:83 offset1:84
	ds_read2_b64 v[126:129], v1 offset0:85 offset1:86
	ds_read_b64 v[6:7], v1 offset:696
	s_mov_b32 s4, exec_lo
	s_waitcnt vmcnt(39) lgkmcnt(9)
	v_mul_f32_e32 v169, v2, v8
	v_mul_f32_e32 v8, v3, v8
	s_waitcnt vmcnt(38)
	v_mul_f32_e32 v170, v4, v130
	v_mul_f32_e32 v130, v5, v130
	s_waitcnt vmcnt(37) lgkmcnt(8)
	v_mul_f32_e32 v171, v98, v131
	s_waitcnt vmcnt(36)
	v_mul_f32_e32 v172, v100, v132
	s_waitcnt vmcnt(35) lgkmcnt(7)
	v_mul_f32_e32 v173, v102, v133
	s_waitcnt vmcnt(34)
	;; [unrolled: 4-line block ×8, first 2 shown]
	v_fma_f32 v2, v2, v148, -v8
	v_fmac_f32_e32 v169, v3, v148
	v_mul_f32_e32 v3, v99, v131
	s_waitcnt vmcnt(19)
	v_fma_f32 v4, v4, v149, -v130
	v_fmac_f32_e32 v170, v5, v149
	v_add_f32_e32 v2, 0, v2
	v_add_f32_e32 v5, 0, v169
	v_mul_f32_e32 v8, v101, v132
	s_waitcnt vmcnt(18)
	v_fma_f32 v3, v98, v150, -v3
	v_fmac_f32_e32 v171, v99, v150
	v_add_f32_e32 v2, v2, v4
	v_add_f32_e32 v4, v5, v170
	;; [unrolled: 6-line block ×15, first 2 shown]
	v_mul_f32_e32 v4, v129, v146
	s_waitcnt vmcnt(4)
	v_fma_f32 v5, v126, v164, -v5
	v_mul_f32_e32 v186, v128, v146
	v_add_f32_e32 v2, v2, v8
	v_fmac_f32_e32 v185, v127, v164
	v_add_f32_e32 v3, v3, v184
	s_waitcnt lgkmcnt(0)
	v_mul_f32_e32 v8, v7, v147
	s_waitcnt vmcnt(3)
	v_fma_f32 v4, v128, v165, -v4
	v_add_f32_e32 v2, v2, v5
	v_mul_f32_e32 v187, v6, v147
	v_fmac_f32_e32 v186, v129, v165
	v_add_f32_e32 v3, v3, v185
	s_waitcnt vmcnt(2)
	v_fma_f32 v5, v6, v166, -v8
	v_add_f32_e32 v2, v2, v4
	v_fmac_f32_e32 v187, v7, v166
	v_add_f32_e32 v3, v3, v186
	v_add_f32_e32 v2, v2, v5
	;; [unrolled: 1-line block ×3, first 2 shown]
	s_waitcnt vmcnt(1)
	v_sub_f32_e32 v2, v167, v2
	s_waitcnt vmcnt(0)
	v_sub_f32_e32 v3, v168, v3
	buffer_store_dword v2, off, s[0:3], 0 offset:192
	buffer_store_dword v3, off, s[0:3], 0 offset:196
	v_cmpx_lt_u32_e32 23, v0
	s_cbranch_execz .LBB107_231
; %bb.230:
	s_clause 0x1
	buffer_load_dword v2, off, s[0:3], 0 offset:184
	buffer_load_dword v3, off, s[0:3], 0 offset:188
	buffer_store_dword v1, off, s[0:3], 0 offset:184
	buffer_store_dword v1, off, s[0:3], 0 offset:188
	s_waitcnt vmcnt(0)
	ds_write_b64 v97, v[2:3]
.LBB107_231:
	s_or_b32 exec_lo, exec_lo, s4
	s_waitcnt lgkmcnt(0)
	s_waitcnt_vscnt null, 0x0
	s_barrier
	buffer_gl0_inv
	s_clause 0x29
	buffer_load_dword v6, off, s[0:3], 0 offset:196
	buffer_load_dword v7, off, s[0:3], 0 offset:204
	;; [unrolled: 1-line block ×42, first 2 shown]
	ds_read_b128 v[2:5], v1 offset:544
	ds_read_b128 v[98:101], v1 offset:560
	;; [unrolled: 1-line block ×10, first 2 shown]
	s_mov_b32 s4, exec_lo
	s_waitcnt vmcnt(41) lgkmcnt(9)
	v_mul_f32_e32 v1, v2, v6
	v_mul_f32_e32 v6, v3, v6
	s_waitcnt vmcnt(40)
	v_mul_f32_e32 v173, v4, v7
	v_mul_f32_e32 v7, v5, v7
	s_waitcnt vmcnt(39) lgkmcnt(8)
	v_mul_f32_e32 v174, v98, v8
	s_waitcnt vmcnt(38)
	v_mul_f32_e32 v175, v100, v134
	s_waitcnt vmcnt(37) lgkmcnt(7)
	v_mul_f32_e32 v176, v102, v135
	s_waitcnt vmcnt(36)
	;; [unrolled: 4-line block ×8, first 2 shown]
	v_mul_f32_e32 v189, v128, v148
	s_waitcnt vmcnt(21)
	v_fma_f32 v2, v2, v151, -v6
	v_fmac_f32_e32 v1, v3, v151
	v_mul_f32_e32 v3, v99, v8
	s_waitcnt vmcnt(20)
	v_fma_f32 v4, v4, v152, -v7
	v_fmac_f32_e32 v173, v5, v152
	v_add_f32_e32 v2, 0, v2
	v_add_f32_e32 v1, 0, v1
	v_mul_f32_e32 v5, v101, v134
	s_waitcnt vmcnt(19)
	v_fma_f32 v3, v98, v153, -v3
	v_fmac_f32_e32 v174, v99, v153
	v_add_f32_e32 v2, v2, v4
	v_add_f32_e32 v1, v1, v173
	;; [unrolled: 6-line block ×16, first 2 shown]
	s_waitcnt lgkmcnt(0)
	v_mul_f32_e32 v5, v131, v149
	s_waitcnt vmcnt(4)
	v_fma_f32 v3, v128, v168, -v3
	v_mul_f32_e32 v190, v130, v149
	v_add_f32_e32 v2, v2, v4
	v_fmac_f32_e32 v189, v129, v168
	v_add_f32_e32 v1, v1, v188
	v_mul_f32_e32 v4, v133, v150
	s_waitcnt vmcnt(3)
	v_fma_f32 v5, v130, v169, -v5
	v_add_f32_e32 v2, v2, v3
	v_mul_f32_e32 v191, v132, v150
	v_fmac_f32_e32 v190, v131, v169
	v_add_f32_e32 v1, v1, v189
	s_waitcnt vmcnt(2)
	v_fma_f32 v3, v132, v170, -v4
	v_add_f32_e32 v2, v2, v5
	v_fmac_f32_e32 v191, v133, v170
	v_add_f32_e32 v1, v1, v190
	v_add_f32_e32 v2, v2, v3
	;; [unrolled: 1-line block ×3, first 2 shown]
	s_waitcnt vmcnt(1)
	v_sub_f32_e32 v2, v171, v2
	s_waitcnt vmcnt(0)
	v_sub_f32_e32 v1, v172, v1
	buffer_store_dword v2, off, s[0:3], 0 offset:184
	buffer_store_dword v1, off, s[0:3], 0 offset:188
	v_cmpx_lt_u32_e32 22, v0
	s_cbranch_execz .LBB107_233
; %bb.232:
	s_clause 0x1
	buffer_load_dword v1, off, s[0:3], 0 offset:176
	buffer_load_dword v2, off, s[0:3], 0 offset:180
	v_mov_b32_e32 v3, 0
	buffer_store_dword v3, off, s[0:3], 0 offset:176
	buffer_store_dword v3, off, s[0:3], 0 offset:180
	s_waitcnt vmcnt(0)
	ds_write_b64 v97, v[1:2]
.LBB107_233:
	s_or_b32 exec_lo, exec_lo, s4
	s_waitcnt lgkmcnt(0)
	s_waitcnt_vscnt null, 0x0
	s_barrier
	buffer_gl0_inv
	s_clause 0x2b
	buffer_load_dword v8, off, s[0:3], 0 offset:188
	buffer_load_dword v134, off, s[0:3], 0 offset:196
	;; [unrolled: 1-line block ×44, first 2 shown]
	v_mov_b32_e32 v1, 0
	ds_read2_b64 v[2:5], v1 offset0:67 offset1:68
	ds_read2_b64 v[98:101], v1 offset0:69 offset1:70
	;; [unrolled: 1-line block ×10, first 2 shown]
	ds_read_b64 v[6:7], v1 offset:696
	s_mov_b32 s4, exec_lo
	s_waitcnt vmcnt(43) lgkmcnt(10)
	v_mul_f32_e32 v177, v2, v8
	v_mul_f32_e32 v8, v3, v8
	s_waitcnt vmcnt(42)
	v_mul_f32_e32 v178, v4, v134
	v_mul_f32_e32 v134, v5, v134
	s_waitcnt vmcnt(41) lgkmcnt(9)
	v_mul_f32_e32 v179, v98, v135
	s_waitcnt vmcnt(40)
	v_mul_f32_e32 v180, v100, v136
	s_waitcnt vmcnt(39) lgkmcnt(8)
	v_mul_f32_e32 v181, v102, v137
	s_waitcnt vmcnt(38)
	;; [unrolled: 4-line block ×9, first 2 shown]
	v_fma_f32 v2, v2, v154, -v8
	v_fmac_f32_e32 v177, v3, v154
	v_mul_f32_e32 v3, v99, v135
	s_waitcnt vmcnt(21)
	v_fma_f32 v4, v4, v155, -v134
	v_fmac_f32_e32 v178, v5, v155
	v_add_f32_e32 v2, 0, v2
	v_add_f32_e32 v5, 0, v177
	v_mul_f32_e32 v8, v101, v136
	s_waitcnt vmcnt(20)
	v_fma_f32 v3, v98, v156, -v3
	v_fmac_f32_e32 v179, v99, v156
	v_add_f32_e32 v2, v2, v4
	v_add_f32_e32 v4, v5, v178
	;; [unrolled: 6-line block ×17, first 2 shown]
	v_mul_f32_e32 v5, v133, v152
	s_waitcnt vmcnt(4)
	v_fma_f32 v8, v130, v172, -v8
	v_mul_f32_e32 v196, v132, v152
	v_add_f32_e32 v2, v2, v4
	v_fmac_f32_e32 v195, v131, v172
	v_add_f32_e32 v3, v3, v194
	s_waitcnt lgkmcnt(0)
	v_mul_f32_e32 v4, v7, v153
	s_waitcnt vmcnt(3)
	v_fma_f32 v5, v132, v173, -v5
	v_add_f32_e32 v2, v2, v8
	v_mul_f32_e32 v197, v6, v153
	v_fmac_f32_e32 v196, v133, v173
	v_add_f32_e32 v3, v3, v195
	s_waitcnt vmcnt(2)
	v_fma_f32 v4, v6, v174, -v4
	v_add_f32_e32 v2, v2, v5
	v_fmac_f32_e32 v197, v7, v174
	v_add_f32_e32 v3, v3, v196
	v_add_f32_e32 v2, v2, v4
	;; [unrolled: 1-line block ×3, first 2 shown]
	s_waitcnt vmcnt(1)
	v_sub_f32_e32 v2, v175, v2
	s_waitcnt vmcnt(0)
	v_sub_f32_e32 v3, v176, v3
	buffer_store_dword v2, off, s[0:3], 0 offset:176
	buffer_store_dword v3, off, s[0:3], 0 offset:180
	v_cmpx_lt_u32_e32 21, v0
	s_cbranch_execz .LBB107_235
; %bb.234:
	s_clause 0x1
	buffer_load_dword v2, off, s[0:3], 0 offset:168
	buffer_load_dword v3, off, s[0:3], 0 offset:172
	buffer_store_dword v1, off, s[0:3], 0 offset:168
	buffer_store_dword v1, off, s[0:3], 0 offset:172
	s_waitcnt vmcnt(0)
	ds_write_b64 v97, v[2:3]
.LBB107_235:
	s_or_b32 exec_lo, exec_lo, s4
	s_waitcnt lgkmcnt(0)
	s_waitcnt_vscnt null, 0x0
	s_barrier
	buffer_gl0_inv
	s_clause 0x2d
	buffer_load_dword v6, off, s[0:3], 0 offset:180
	buffer_load_dword v7, off, s[0:3], 0 offset:188
	;; [unrolled: 1-line block ×46, first 2 shown]
	ds_read_b128 v[2:5], v1 offset:528
	ds_read_b128 v[98:101], v1 offset:544
	;; [unrolled: 1-line block ×11, first 2 shown]
	s_mov_b32 s4, exec_lo
	s_waitcnt vmcnt(45) lgkmcnt(10)
	v_mul_f32_e32 v1, v2, v6
	v_mul_f32_e32 v6, v3, v6
	s_waitcnt vmcnt(44)
	v_mul_f32_e32 v181, v4, v7
	v_mul_f32_e32 v7, v5, v7
	s_waitcnt vmcnt(43) lgkmcnt(9)
	v_mul_f32_e32 v182, v98, v8
	s_waitcnt vmcnt(42)
	v_mul_f32_e32 v183, v100, v138
	s_waitcnt vmcnt(41) lgkmcnt(8)
	v_mul_f32_e32 v184, v102, v139
	s_waitcnt vmcnt(40)
	;; [unrolled: 4-line block ×9, first 2 shown]
	v_mul_f32_e32 v199, v132, v154
	s_waitcnt vmcnt(23)
	v_fma_f32 v2, v2, v157, -v6
	v_fmac_f32_e32 v1, v3, v157
	v_mul_f32_e32 v3, v99, v8
	s_waitcnt vmcnt(22)
	v_fma_f32 v4, v4, v158, -v7
	v_fmac_f32_e32 v181, v5, v158
	v_add_f32_e32 v2, 0, v2
	v_add_f32_e32 v1, 0, v1
	v_mul_f32_e32 v5, v101, v138
	s_waitcnt vmcnt(21)
	v_fma_f32 v3, v98, v159, -v3
	v_fmac_f32_e32 v182, v99, v159
	v_add_f32_e32 v2, v2, v4
	v_add_f32_e32 v1, v1, v181
	;; [unrolled: 6-line block ×18, first 2 shown]
	s_waitcnt lgkmcnt(0)
	v_mul_f32_e32 v3, v135, v155
	s_waitcnt vmcnt(4)
	v_fma_f32 v4, v132, v176, -v4
	v_mul_f32_e32 v200, v134, v155
	v_add_f32_e32 v2, v2, v5
	v_fmac_f32_e32 v199, v133, v176
	v_add_f32_e32 v1, v1, v198
	v_mul_f32_e32 v5, v137, v156
	s_waitcnt vmcnt(3)
	v_fma_f32 v3, v134, v177, -v3
	v_add_f32_e32 v2, v2, v4
	v_mul_f32_e32 v201, v136, v156
	v_fmac_f32_e32 v200, v135, v177
	v_add_f32_e32 v1, v1, v199
	s_waitcnt vmcnt(2)
	v_fma_f32 v4, v136, v178, -v5
	v_add_f32_e32 v2, v2, v3
	v_fmac_f32_e32 v201, v137, v178
	v_add_f32_e32 v1, v1, v200
	v_add_f32_e32 v2, v2, v4
	;; [unrolled: 1-line block ×3, first 2 shown]
	s_waitcnt vmcnt(1)
	v_sub_f32_e32 v2, v179, v2
	s_waitcnt vmcnt(0)
	v_sub_f32_e32 v1, v180, v1
	buffer_store_dword v2, off, s[0:3], 0 offset:168
	buffer_store_dword v1, off, s[0:3], 0 offset:172
	v_cmpx_lt_u32_e32 20, v0
	s_cbranch_execz .LBB107_237
; %bb.236:
	s_clause 0x1
	buffer_load_dword v1, off, s[0:3], 0 offset:160
	buffer_load_dword v2, off, s[0:3], 0 offset:164
	v_mov_b32_e32 v3, 0
	buffer_store_dword v3, off, s[0:3], 0 offset:160
	buffer_store_dword v3, off, s[0:3], 0 offset:164
	s_waitcnt vmcnt(0)
	ds_write_b64 v97, v[1:2]
.LBB107_237:
	s_or_b32 exec_lo, exec_lo, s4
	s_waitcnt lgkmcnt(0)
	s_waitcnt_vscnt null, 0x0
	s_barrier
	buffer_gl0_inv
	s_clause 0x2f
	buffer_load_dword v8, off, s[0:3], 0 offset:172
	buffer_load_dword v138, off, s[0:3], 0 offset:180
	;; [unrolled: 1-line block ×48, first 2 shown]
	v_mov_b32_e32 v1, 0
	ds_read2_b64 v[2:5], v1 offset0:65 offset1:66
	ds_read2_b64 v[98:101], v1 offset0:67 offset1:68
	;; [unrolled: 1-line block ×11, first 2 shown]
	ds_read_b64 v[6:7], v1 offset:696
	s_mov_b32 s4, exec_lo
	s_waitcnt vmcnt(47) lgkmcnt(11)
	v_mul_f32_e32 v185, v2, v8
	v_mul_f32_e32 v8, v3, v8
	s_waitcnt vmcnt(46)
	v_mul_f32_e32 v186, v4, v138
	v_mul_f32_e32 v138, v5, v138
	s_waitcnt vmcnt(45) lgkmcnt(10)
	v_mul_f32_e32 v187, v98, v139
	s_waitcnt vmcnt(44)
	v_mul_f32_e32 v188, v100, v140
	s_waitcnt vmcnt(43) lgkmcnt(9)
	v_mul_f32_e32 v189, v102, v141
	s_waitcnt vmcnt(42)
	;; [unrolled: 4-line block ×10, first 2 shown]
	v_fma_f32 v2, v2, v160, -v8
	v_fmac_f32_e32 v185, v3, v160
	v_mul_f32_e32 v3, v99, v139
	s_waitcnt vmcnt(23)
	v_fma_f32 v4, v4, v161, -v138
	v_fmac_f32_e32 v186, v5, v161
	v_add_f32_e32 v2, 0, v2
	v_add_f32_e32 v5, 0, v185
	v_mul_f32_e32 v8, v101, v140
	s_waitcnt vmcnt(22)
	v_fma_f32 v3, v98, v162, -v3
	v_fmac_f32_e32 v187, v99, v162
	v_add_f32_e32 v2, v2, v4
	v_add_f32_e32 v4, v5, v186
	;; [unrolled: 6-line block ×19, first 2 shown]
	v_mul_f32_e32 v8, v137, v158
	s_waitcnt vmcnt(4)
	v_fma_f32 v4, v134, v180, -v4
	v_mul_f32_e32 v206, v136, v158
	v_add_f32_e32 v2, v2, v5
	v_fmac_f32_e32 v205, v135, v180
	v_add_f32_e32 v3, v3, v204
	s_waitcnt lgkmcnt(0)
	v_mul_f32_e32 v5, v7, v159
	s_waitcnt vmcnt(3)
	v_fma_f32 v8, v136, v181, -v8
	v_add_f32_e32 v2, v2, v4
	v_mul_f32_e32 v207, v6, v159
	v_fmac_f32_e32 v206, v137, v181
	v_add_f32_e32 v3, v3, v205
	s_waitcnt vmcnt(2)
	v_fma_f32 v4, v6, v182, -v5
	v_add_f32_e32 v2, v2, v8
	v_fmac_f32_e32 v207, v7, v182
	v_add_f32_e32 v3, v3, v206
	v_add_f32_e32 v2, v2, v4
	;; [unrolled: 1-line block ×3, first 2 shown]
	s_waitcnt vmcnt(1)
	v_sub_f32_e32 v2, v183, v2
	s_waitcnt vmcnt(0)
	v_sub_f32_e32 v3, v184, v3
	buffer_store_dword v2, off, s[0:3], 0 offset:160
	buffer_store_dword v3, off, s[0:3], 0 offset:164
	v_cmpx_lt_u32_e32 19, v0
	s_cbranch_execz .LBB107_239
; %bb.238:
	s_clause 0x1
	buffer_load_dword v2, off, s[0:3], 0 offset:152
	buffer_load_dword v3, off, s[0:3], 0 offset:156
	buffer_store_dword v1, off, s[0:3], 0 offset:152
	buffer_store_dword v1, off, s[0:3], 0 offset:156
	s_waitcnt vmcnt(0)
	ds_write_b64 v97, v[2:3]
.LBB107_239:
	s_or_b32 exec_lo, exec_lo, s4
	s_waitcnt lgkmcnt(0)
	s_waitcnt_vscnt null, 0x0
	s_barrier
	buffer_gl0_inv
	s_clause 0x31
	buffer_load_dword v6, off, s[0:3], 0 offset:164
	buffer_load_dword v7, off, s[0:3], 0 offset:172
	;; [unrolled: 1-line block ×50, first 2 shown]
	ds_read_b128 v[2:5], v1 offset:512
	ds_read_b128 v[98:101], v1 offset:528
	;; [unrolled: 1-line block ×12, first 2 shown]
	s_mov_b32 s4, exec_lo
	s_waitcnt vmcnt(49) lgkmcnt(11)
	v_mul_f32_e32 v1, v2, v6
	v_mul_f32_e32 v6, v3, v6
	s_waitcnt vmcnt(48)
	v_mul_f32_e32 v189, v4, v7
	v_mul_f32_e32 v7, v5, v7
	s_waitcnt vmcnt(47) lgkmcnt(10)
	v_mul_f32_e32 v190, v98, v8
	s_waitcnt vmcnt(46)
	v_mul_f32_e32 v191, v100, v142
	s_waitcnt vmcnt(45) lgkmcnt(9)
	v_mul_f32_e32 v192, v102, v143
	s_waitcnt vmcnt(44)
	;; [unrolled: 4-line block ×10, first 2 shown]
	v_mul_f32_e32 v209, v136, v160
	s_waitcnt vmcnt(25)
	v_fma_f32 v2, v2, v163, -v6
	v_fmac_f32_e32 v1, v3, v163
	v_mul_f32_e32 v3, v99, v8
	s_waitcnt vmcnt(24)
	v_fma_f32 v4, v4, v164, -v7
	v_fmac_f32_e32 v189, v5, v164
	v_add_f32_e32 v2, 0, v2
	v_add_f32_e32 v1, 0, v1
	v_mul_f32_e32 v5, v101, v142
	s_waitcnt vmcnt(23)
	v_fma_f32 v3, v98, v165, -v3
	v_fmac_f32_e32 v190, v99, v165
	v_add_f32_e32 v2, v2, v4
	v_add_f32_e32 v1, v1, v189
	;; [unrolled: 6-line block ×20, first 2 shown]
	s_waitcnt lgkmcnt(0)
	v_mul_f32_e32 v4, v139, v161
	s_waitcnt vmcnt(4)
	v_fma_f32 v5, v136, v184, -v5
	v_mul_f32_e32 v210, v138, v161
	v_add_f32_e32 v2, v2, v3
	v_fmac_f32_e32 v209, v137, v184
	v_add_f32_e32 v1, v1, v208
	v_mul_f32_e32 v3, v141, v162
	s_waitcnt vmcnt(3)
	v_fma_f32 v4, v138, v185, -v4
	v_add_f32_e32 v2, v2, v5
	v_mul_f32_e32 v211, v140, v162
	v_fmac_f32_e32 v210, v139, v185
	v_add_f32_e32 v1, v1, v209
	s_waitcnt vmcnt(2)
	v_fma_f32 v3, v140, v186, -v3
	v_add_f32_e32 v2, v2, v4
	v_fmac_f32_e32 v211, v141, v186
	v_add_f32_e32 v1, v1, v210
	v_add_f32_e32 v2, v2, v3
	;; [unrolled: 1-line block ×3, first 2 shown]
	s_waitcnt vmcnt(1)
	v_sub_f32_e32 v2, v187, v2
	s_waitcnt vmcnt(0)
	v_sub_f32_e32 v1, v188, v1
	buffer_store_dword v2, off, s[0:3], 0 offset:152
	buffer_store_dword v1, off, s[0:3], 0 offset:156
	v_cmpx_lt_u32_e32 18, v0
	s_cbranch_execz .LBB107_241
; %bb.240:
	s_clause 0x1
	buffer_load_dword v1, off, s[0:3], 0 offset:144
	buffer_load_dword v2, off, s[0:3], 0 offset:148
	v_mov_b32_e32 v3, 0
	buffer_store_dword v3, off, s[0:3], 0 offset:144
	buffer_store_dword v3, off, s[0:3], 0 offset:148
	s_waitcnt vmcnt(0)
	ds_write_b64 v97, v[1:2]
.LBB107_241:
	s_or_b32 exec_lo, exec_lo, s4
	s_waitcnt lgkmcnt(0)
	s_waitcnt_vscnt null, 0x0
	s_barrier
	buffer_gl0_inv
	s_clause 0x33
	buffer_load_dword v8, off, s[0:3], 0 offset:156
	buffer_load_dword v142, off, s[0:3], 0 offset:164
	;; [unrolled: 1-line block ×52, first 2 shown]
	v_mov_b32_e32 v1, 0
	ds_read2_b64 v[2:5], v1 offset0:63 offset1:64
	ds_read2_b64 v[98:101], v1 offset0:65 offset1:66
	;; [unrolled: 1-line block ×12, first 2 shown]
	ds_read_b64 v[6:7], v1 offset:696
	s_mov_b32 s4, exec_lo
	s_waitcnt vmcnt(51) lgkmcnt(12)
	v_mul_f32_e32 v193, v2, v8
	v_mul_f32_e32 v8, v3, v8
	s_waitcnt vmcnt(50)
	v_mul_f32_e32 v194, v4, v142
	v_mul_f32_e32 v142, v5, v142
	s_waitcnt vmcnt(49) lgkmcnt(11)
	v_mul_f32_e32 v195, v98, v143
	s_waitcnt vmcnt(48)
	v_mul_f32_e32 v196, v100, v144
	s_waitcnt vmcnt(47) lgkmcnt(10)
	v_mul_f32_e32 v197, v102, v145
	s_waitcnt vmcnt(46)
	v_mul_f32_e32 v198, v104, v146
	s_waitcnt vmcnt(45) lgkmcnt(9)
	v_mul_f32_e32 v199, v106, v147
	s_waitcnt vmcnt(44)
	v_mul_f32_e32 v200, v108, v148
	s_waitcnt vmcnt(43) lgkmcnt(8)
	v_mul_f32_e32 v201, v110, v149
	s_waitcnt vmcnt(42)
	v_mul_f32_e32 v202, v112, v150
	s_waitcnt vmcnt(41) lgkmcnt(7)
	v_mul_f32_e32 v203, v114, v151
	s_waitcnt vmcnt(40)
	v_mul_f32_e32 v204, v116, v152
	s_waitcnt vmcnt(39) lgkmcnt(6)
	v_mul_f32_e32 v205, v118, v153
	s_waitcnt vmcnt(38)
	v_mul_f32_e32 v206, v120, v154
	s_waitcnt vmcnt(37) lgkmcnt(5)
	v_mul_f32_e32 v207, v122, v155
	s_waitcnt vmcnt(36)
	v_mul_f32_e32 v208, v124, v156
	s_waitcnt vmcnt(35) lgkmcnt(4)
	v_mul_f32_e32 v209, v126, v157
	s_waitcnt vmcnt(34)
	v_mul_f32_e32 v210, v128, v158
	s_waitcnt vmcnt(33) lgkmcnt(3)
	v_mul_f32_e32 v211, v130, v159
	s_waitcnt vmcnt(32)
	v_mul_f32_e32 v212, v132, v160
	s_waitcnt vmcnt(31) lgkmcnt(2)
	v_mul_f32_e32 v213, v134, v161
	s_waitcnt vmcnt(30)
	v_mul_f32_e32 v214, v136, v162
	s_waitcnt vmcnt(29) lgkmcnt(1)
	v_mul_f32_e32 v215, v138, v163
	s_waitcnt vmcnt(26)
	v_fma_f32 v2, v2, v166, -v8
	v_fmac_f32_e32 v193, v3, v166
	v_mul_f32_e32 v3, v99, v143
	s_waitcnt vmcnt(25)
	v_fma_f32 v4, v4, v167, -v142
	v_fmac_f32_e32 v194, v5, v167
	v_add_f32_e32 v2, 0, v2
	v_add_f32_e32 v5, 0, v193
	v_mul_f32_e32 v8, v101, v144
	s_waitcnt vmcnt(24)
	v_fma_f32 v3, v98, v168, -v3
	v_fmac_f32_e32 v195, v99, v168
	v_add_f32_e32 v2, v2, v4
	v_add_f32_e32 v4, v5, v194
	;; [unrolled: 6-line block ×21, first 2 shown]
	v_mul_f32_e32 v4, v141, v164
	s_waitcnt vmcnt(4)
	v_fma_f32 v5, v138, v188, -v5
	v_mul_f32_e32 v216, v140, v164
	v_add_f32_e32 v2, v2, v8
	v_fmac_f32_e32 v215, v139, v188
	v_add_f32_e32 v3, v3, v214
	s_waitcnt lgkmcnt(0)
	v_mul_f32_e32 v8, v7, v165
	s_waitcnt vmcnt(3)
	v_fma_f32 v4, v140, v189, -v4
	v_add_f32_e32 v2, v2, v5
	v_mul_f32_e32 v217, v6, v165
	v_fmac_f32_e32 v216, v141, v189
	v_add_f32_e32 v3, v3, v215
	s_waitcnt vmcnt(2)
	v_fma_f32 v5, v6, v190, -v8
	v_add_f32_e32 v2, v2, v4
	v_fmac_f32_e32 v217, v7, v190
	v_add_f32_e32 v3, v3, v216
	v_add_f32_e32 v2, v2, v5
	;; [unrolled: 1-line block ×3, first 2 shown]
	s_waitcnt vmcnt(1)
	v_sub_f32_e32 v2, v191, v2
	s_waitcnt vmcnt(0)
	v_sub_f32_e32 v3, v192, v3
	buffer_store_dword v2, off, s[0:3], 0 offset:144
	buffer_store_dword v3, off, s[0:3], 0 offset:148
	v_cmpx_lt_u32_e32 17, v0
	s_cbranch_execz .LBB107_243
; %bb.242:
	s_clause 0x1
	buffer_load_dword v2, off, s[0:3], 0 offset:136
	buffer_load_dword v3, off, s[0:3], 0 offset:140
	buffer_store_dword v1, off, s[0:3], 0 offset:136
	buffer_store_dword v1, off, s[0:3], 0 offset:140
	s_waitcnt vmcnt(0)
	ds_write_b64 v97, v[2:3]
.LBB107_243:
	s_or_b32 exec_lo, exec_lo, s4
	s_waitcnt lgkmcnt(0)
	s_waitcnt_vscnt null, 0x0
	s_barrier
	buffer_gl0_inv
	s_clause 0x35
	buffer_load_dword v6, off, s[0:3], 0 offset:148
	buffer_load_dword v7, off, s[0:3], 0 offset:156
	;; [unrolled: 1-line block ×54, first 2 shown]
	ds_read_b128 v[2:5], v1 offset:496
	ds_read_b128 v[98:101], v1 offset:512
	;; [unrolled: 1-line block ×13, first 2 shown]
	s_mov_b32 s4, exec_lo
	s_waitcnt vmcnt(53) lgkmcnt(12)
	v_mul_f32_e32 v1, v2, v6
	v_mul_f32_e32 v6, v3, v6
	s_waitcnt vmcnt(52)
	v_mul_f32_e32 v197, v4, v7
	v_mul_f32_e32 v7, v5, v7
	s_waitcnt vmcnt(51) lgkmcnt(11)
	v_mul_f32_e32 v198, v98, v8
	s_waitcnt vmcnt(50)
	v_mul_f32_e32 v199, v100, v146
	s_waitcnt vmcnt(49) lgkmcnt(10)
	v_mul_f32_e32 v200, v102, v147
	s_waitcnt vmcnt(48)
	;; [unrolled: 4-line block ×11, first 2 shown]
	v_mul_f32_e32 v219, v140, v166
	s_waitcnt vmcnt(27)
	v_fma_f32 v2, v2, v169, -v6
	v_fmac_f32_e32 v1, v3, v169
	v_mul_f32_e32 v3, v99, v8
	s_waitcnt vmcnt(26)
	v_fma_f32 v4, v4, v170, -v7
	v_fmac_f32_e32 v197, v5, v170
	v_add_f32_e32 v2, 0, v2
	v_add_f32_e32 v1, 0, v1
	v_mul_f32_e32 v5, v101, v146
	s_waitcnt vmcnt(25)
	v_fma_f32 v3, v98, v171, -v3
	v_fmac_f32_e32 v198, v99, v171
	v_add_f32_e32 v2, v2, v4
	v_add_f32_e32 v1, v1, v197
	;; [unrolled: 6-line block ×22, first 2 shown]
	s_waitcnt lgkmcnt(0)
	v_mul_f32_e32 v5, v143, v167
	s_waitcnt vmcnt(4)
	v_fma_f32 v3, v140, v192, -v3
	v_mul_f32_e32 v220, v142, v167
	v_add_f32_e32 v2, v2, v4
	v_fmac_f32_e32 v219, v141, v192
	v_add_f32_e32 v1, v1, v218
	v_mul_f32_e32 v4, v145, v168
	s_waitcnt vmcnt(3)
	v_fma_f32 v5, v142, v193, -v5
	v_add_f32_e32 v2, v2, v3
	v_mul_f32_e32 v221, v144, v168
	v_fmac_f32_e32 v220, v143, v193
	v_add_f32_e32 v1, v1, v219
	s_waitcnt vmcnt(2)
	v_fma_f32 v3, v144, v194, -v4
	v_add_f32_e32 v2, v2, v5
	v_fmac_f32_e32 v221, v145, v194
	v_add_f32_e32 v1, v1, v220
	v_add_f32_e32 v2, v2, v3
	;; [unrolled: 1-line block ×3, first 2 shown]
	s_waitcnt vmcnt(1)
	v_sub_f32_e32 v2, v195, v2
	s_waitcnt vmcnt(0)
	v_sub_f32_e32 v1, v196, v1
	buffer_store_dword v2, off, s[0:3], 0 offset:136
	buffer_store_dword v1, off, s[0:3], 0 offset:140
	v_cmpx_lt_u32_e32 16, v0
	s_cbranch_execz .LBB107_245
; %bb.244:
	s_clause 0x1
	buffer_load_dword v1, off, s[0:3], 0 offset:128
	buffer_load_dword v2, off, s[0:3], 0 offset:132
	v_mov_b32_e32 v3, 0
	buffer_store_dword v3, off, s[0:3], 0 offset:128
	buffer_store_dword v3, off, s[0:3], 0 offset:132
	s_waitcnt vmcnt(0)
	ds_write_b64 v97, v[1:2]
.LBB107_245:
	s_or_b32 exec_lo, exec_lo, s4
	s_waitcnt lgkmcnt(0)
	s_waitcnt_vscnt null, 0x0
	s_barrier
	buffer_gl0_inv
	s_clause 0x37
	buffer_load_dword v8, off, s[0:3], 0 offset:140
	buffer_load_dword v146, off, s[0:3], 0 offset:148
	;; [unrolled: 1-line block ×56, first 2 shown]
	v_mov_b32_e32 v1, 0
	ds_read2_b64 v[2:5], v1 offset0:61 offset1:62
	ds_read2_b64 v[98:101], v1 offset0:63 offset1:64
	;; [unrolled: 1-line block ×13, first 2 shown]
	ds_read_b64 v[6:7], v1 offset:696
	s_mov_b32 s4, exec_lo
	s_waitcnt vmcnt(55) lgkmcnt(13)
	v_mul_f32_e32 v201, v2, v8
	v_mul_f32_e32 v8, v3, v8
	s_waitcnt vmcnt(54)
	v_mul_f32_e32 v202, v4, v146
	v_mul_f32_e32 v146, v5, v146
	s_waitcnt vmcnt(53) lgkmcnt(12)
	v_mul_f32_e32 v203, v98, v147
	s_waitcnt vmcnt(52)
	v_mul_f32_e32 v204, v100, v148
	s_waitcnt vmcnt(51) lgkmcnt(11)
	v_mul_f32_e32 v205, v102, v149
	s_waitcnt vmcnt(50)
	;; [unrolled: 4-line block ×12, first 2 shown]
	v_fma_f32 v2, v2, v172, -v8
	v_fmac_f32_e32 v201, v3, v172
	v_mul_f32_e32 v3, v99, v147
	s_waitcnt vmcnt(27)
	v_fma_f32 v4, v4, v173, -v146
	v_fmac_f32_e32 v202, v5, v173
	v_add_f32_e32 v2, 0, v2
	v_add_f32_e32 v5, 0, v201
	v_mul_f32_e32 v8, v101, v148
	s_waitcnt vmcnt(26)
	v_fma_f32 v3, v98, v174, -v3
	v_fmac_f32_e32 v203, v99, v174
	v_add_f32_e32 v2, v2, v4
	v_add_f32_e32 v4, v5, v202
	;; [unrolled: 6-line block ×23, first 2 shown]
	v_mul_f32_e32 v5, v145, v170
	s_waitcnt vmcnt(4)
	v_fma_f32 v8, v142, v196, -v8
	v_mul_f32_e32 v226, v144, v170
	v_add_f32_e32 v2, v2, v4
	v_fmac_f32_e32 v225, v143, v196
	v_add_f32_e32 v3, v3, v224
	s_waitcnt lgkmcnt(0)
	v_mul_f32_e32 v4, v7, v171
	s_waitcnt vmcnt(3)
	v_fma_f32 v5, v144, v197, -v5
	v_add_f32_e32 v2, v2, v8
	v_mul_f32_e32 v227, v6, v171
	v_fmac_f32_e32 v226, v145, v197
	v_add_f32_e32 v3, v3, v225
	s_waitcnt vmcnt(2)
	v_fma_f32 v4, v6, v198, -v4
	v_add_f32_e32 v2, v2, v5
	v_fmac_f32_e32 v227, v7, v198
	v_add_f32_e32 v3, v3, v226
	v_add_f32_e32 v2, v2, v4
	;; [unrolled: 1-line block ×3, first 2 shown]
	s_waitcnt vmcnt(1)
	v_sub_f32_e32 v2, v199, v2
	s_waitcnt vmcnt(0)
	v_sub_f32_e32 v3, v200, v3
	buffer_store_dword v2, off, s[0:3], 0 offset:128
	buffer_store_dword v3, off, s[0:3], 0 offset:132
	v_cmpx_lt_u32_e32 15, v0
	s_cbranch_execz .LBB107_247
; %bb.246:
	s_clause 0x1
	buffer_load_dword v2, off, s[0:3], 0 offset:120
	buffer_load_dword v3, off, s[0:3], 0 offset:124
	buffer_store_dword v1, off, s[0:3], 0 offset:120
	buffer_store_dword v1, off, s[0:3], 0 offset:124
	s_waitcnt vmcnt(0)
	ds_write_b64 v97, v[2:3]
.LBB107_247:
	s_or_b32 exec_lo, exec_lo, s4
	s_waitcnt lgkmcnt(0)
	s_waitcnt_vscnt null, 0x0
	s_barrier
	buffer_gl0_inv
	s_clause 0x39
	buffer_load_dword v6, off, s[0:3], 0 offset:132
	buffer_load_dword v7, off, s[0:3], 0 offset:140
	buffer_load_dword v8, off, s[0:3], 0 offset:148
	buffer_load_dword v150, off, s[0:3], 0 offset:156
	buffer_load_dword v151, off, s[0:3], 0 offset:164
	buffer_load_dword v152, off, s[0:3], 0 offset:172
	buffer_load_dword v153, off, s[0:3], 0 offset:180
	buffer_load_dword v154, off, s[0:3], 0 offset:188
	buffer_load_dword v155, off, s[0:3], 0 offset:196
	buffer_load_dword v156, off, s[0:3], 0 offset:204
	buffer_load_dword v157, off, s[0:3], 0 offset:212
	buffer_load_dword v158, off, s[0:3], 0 offset:220
	buffer_load_dword v159, off, s[0:3], 0 offset:228
	buffer_load_dword v160, off, s[0:3], 0 offset:236
	buffer_load_dword v161, off, s[0:3], 0 offset:244
	buffer_load_dword v162, off, s[0:3], 0 offset:252
	buffer_load_dword v163, off, s[0:3], 0 offset:260
	buffer_load_dword v164, off, s[0:3], 0 offset:268
	buffer_load_dword v165, off, s[0:3], 0 offset:276
	buffer_load_dword v166, off, s[0:3], 0 offset:284
	buffer_load_dword v167, off, s[0:3], 0 offset:292
	buffer_load_dword v168, off, s[0:3], 0 offset:300
	buffer_load_dword v169, off, s[0:3], 0 offset:308
	buffer_load_dword v170, off, s[0:3], 0 offset:316
	buffer_load_dword v171, off, s[0:3], 0 offset:324
	buffer_load_dword v172, off, s[0:3], 0 offset:332
	buffer_load_dword v173, off, s[0:3], 0 offset:340
	buffer_load_dword v174, off, s[0:3], 0 offset:348
	buffer_load_dword v175, off, s[0:3], 0 offset:128
	buffer_load_dword v176, off, s[0:3], 0 offset:136
	buffer_load_dword v177, off, s[0:3], 0 offset:144
	buffer_load_dword v178, off, s[0:3], 0 offset:152
	buffer_load_dword v179, off, s[0:3], 0 offset:160
	buffer_load_dword v180, off, s[0:3], 0 offset:168
	buffer_load_dword v181, off, s[0:3], 0 offset:176
	buffer_load_dword v182, off, s[0:3], 0 offset:184
	buffer_load_dword v183, off, s[0:3], 0 offset:192
	buffer_load_dword v184, off, s[0:3], 0 offset:200
	buffer_load_dword v185, off, s[0:3], 0 offset:208
	buffer_load_dword v186, off, s[0:3], 0 offset:216
	buffer_load_dword v187, off, s[0:3], 0 offset:224
	buffer_load_dword v188, off, s[0:3], 0 offset:232
	buffer_load_dword v189, off, s[0:3], 0 offset:240
	buffer_load_dword v190, off, s[0:3], 0 offset:248
	buffer_load_dword v191, off, s[0:3], 0 offset:256
	buffer_load_dword v192, off, s[0:3], 0 offset:264
	buffer_load_dword v193, off, s[0:3], 0 offset:272
	buffer_load_dword v194, off, s[0:3], 0 offset:280
	buffer_load_dword v195, off, s[0:3], 0 offset:288
	buffer_load_dword v196, off, s[0:3], 0 offset:296
	buffer_load_dword v197, off, s[0:3], 0 offset:304
	buffer_load_dword v198, off, s[0:3], 0 offset:312
	buffer_load_dword v199, off, s[0:3], 0 offset:320
	buffer_load_dword v200, off, s[0:3], 0 offset:328
	buffer_load_dword v201, off, s[0:3], 0 offset:336
	buffer_load_dword v202, off, s[0:3], 0 offset:344
	buffer_load_dword v203, off, s[0:3], 0 offset:120
	buffer_load_dword v204, off, s[0:3], 0 offset:124
	ds_read_b128 v[2:5], v1 offset:480
	ds_read_b128 v[98:101], v1 offset:496
	;; [unrolled: 1-line block ×14, first 2 shown]
	s_mov_b32 s4, exec_lo
	s_waitcnt vmcnt(57) lgkmcnt(13)
	v_mul_f32_e32 v1, v2, v6
	v_mul_f32_e32 v6, v3, v6
	s_waitcnt vmcnt(56)
	v_mul_f32_e32 v205, v4, v7
	v_mul_f32_e32 v7, v5, v7
	s_waitcnt vmcnt(55) lgkmcnt(12)
	v_mul_f32_e32 v206, v98, v8
	s_waitcnt vmcnt(54)
	v_mul_f32_e32 v207, v100, v150
	s_waitcnt vmcnt(53) lgkmcnt(11)
	v_mul_f32_e32 v208, v102, v151
	s_waitcnt vmcnt(52)
	;; [unrolled: 4-line block ×12, first 2 shown]
	v_mul_f32_e32 v229, v144, v172
	s_waitcnt vmcnt(29)
	v_fma_f32 v2, v2, v175, -v6
	v_fmac_f32_e32 v1, v3, v175
	v_mul_f32_e32 v3, v99, v8
	s_waitcnt vmcnt(28)
	v_fma_f32 v4, v4, v176, -v7
	v_fmac_f32_e32 v205, v5, v176
	v_add_f32_e32 v2, 0, v2
	v_add_f32_e32 v1, 0, v1
	v_mul_f32_e32 v5, v101, v150
	s_waitcnt vmcnt(27)
	v_fma_f32 v3, v98, v177, -v3
	v_fmac_f32_e32 v206, v99, v177
	v_add_f32_e32 v2, v2, v4
	v_add_f32_e32 v1, v1, v205
	;; [unrolled: 6-line block ×24, first 2 shown]
	s_waitcnt lgkmcnt(0)
	v_mul_f32_e32 v3, v147, v173
	s_waitcnt vmcnt(4)
	v_fma_f32 v4, v144, v200, -v4
	v_mul_f32_e32 v230, v146, v173
	v_add_f32_e32 v2, v2, v5
	v_fmac_f32_e32 v229, v145, v200
	v_add_f32_e32 v1, v1, v228
	v_mul_f32_e32 v5, v149, v174
	s_waitcnt vmcnt(3)
	v_fma_f32 v3, v146, v201, -v3
	v_add_f32_e32 v2, v2, v4
	v_mul_f32_e32 v231, v148, v174
	v_fmac_f32_e32 v230, v147, v201
	v_add_f32_e32 v1, v1, v229
	s_waitcnt vmcnt(2)
	v_fma_f32 v4, v148, v202, -v5
	v_add_f32_e32 v2, v2, v3
	v_fmac_f32_e32 v231, v149, v202
	v_add_f32_e32 v1, v1, v230
	v_add_f32_e32 v2, v2, v4
	;; [unrolled: 1-line block ×3, first 2 shown]
	s_waitcnt vmcnt(1)
	v_sub_f32_e32 v2, v203, v2
	s_waitcnt vmcnt(0)
	v_sub_f32_e32 v1, v204, v1
	buffer_store_dword v2, off, s[0:3], 0 offset:120
	buffer_store_dword v1, off, s[0:3], 0 offset:124
	v_cmpx_lt_u32_e32 14, v0
	s_cbranch_execz .LBB107_249
; %bb.248:
	s_clause 0x1
	buffer_load_dword v1, off, s[0:3], 0 offset:112
	buffer_load_dword v2, off, s[0:3], 0 offset:116
	v_mov_b32_e32 v3, 0
	buffer_store_dword v3, off, s[0:3], 0 offset:112
	buffer_store_dword v3, off, s[0:3], 0 offset:116
	s_waitcnt vmcnt(0)
	ds_write_b64 v97, v[1:2]
.LBB107_249:
	s_or_b32 exec_lo, exec_lo, s4
	s_waitcnt lgkmcnt(0)
	s_waitcnt_vscnt null, 0x0
	s_barrier
	buffer_gl0_inv
	s_clause 0x3b
	buffer_load_dword v8, off, s[0:3], 0 offset:124
	buffer_load_dword v150, off, s[0:3], 0 offset:132
	;; [unrolled: 1-line block ×60, first 2 shown]
	v_mov_b32_e32 v1, 0
	ds_read2_b64 v[2:5], v1 offset0:59 offset1:60
	ds_read2_b64 v[98:101], v1 offset0:61 offset1:62
	ds_read2_b64 v[102:105], v1 offset0:63 offset1:64
	ds_read2_b64 v[106:109], v1 offset0:65 offset1:66
	ds_read2_b64 v[110:113], v1 offset0:67 offset1:68
	ds_read2_b64 v[114:117], v1 offset0:69 offset1:70
	ds_read2_b64 v[118:121], v1 offset0:71 offset1:72
	ds_read2_b64 v[122:125], v1 offset0:73 offset1:74
	ds_read2_b64 v[126:129], v1 offset0:75 offset1:76
	ds_read2_b64 v[130:133], v1 offset0:77 offset1:78
	ds_read2_b64 v[134:137], v1 offset0:79 offset1:80
	ds_read2_b64 v[138:141], v1 offset0:81 offset1:82
	ds_read2_b64 v[142:145], v1 offset0:83 offset1:84
	ds_read2_b64 v[146:149], v1 offset0:85 offset1:86
	ds_read_b64 v[6:7], v1 offset:696
	s_mov_b32 s4, exec_lo
	s_waitcnt vmcnt(59) lgkmcnt(14)
	v_mul_f32_e32 v209, v2, v8
	v_mul_f32_e32 v8, v3, v8
	s_waitcnt vmcnt(58)
	v_mul_f32_e32 v210, v4, v150
	v_mul_f32_e32 v150, v5, v150
	s_waitcnt vmcnt(57) lgkmcnt(13)
	v_mul_f32_e32 v211, v98, v151
	s_waitcnt vmcnt(56)
	v_mul_f32_e32 v212, v100, v152
	s_waitcnt vmcnt(55) lgkmcnt(12)
	v_mul_f32_e32 v213, v102, v153
	s_waitcnt vmcnt(54)
	;; [unrolled: 4-line block ×13, first 2 shown]
	v_fma_f32 v2, v2, v178, -v8
	v_fmac_f32_e32 v209, v3, v178
	v_mul_f32_e32 v3, v99, v151
	s_waitcnt vmcnt(29)
	v_fma_f32 v4, v4, v179, -v150
	v_fmac_f32_e32 v210, v5, v179
	v_add_f32_e32 v2, 0, v2
	v_add_f32_e32 v5, 0, v209
	v_mul_f32_e32 v8, v101, v152
	s_waitcnt vmcnt(28)
	v_fma_f32 v3, v98, v180, -v3
	v_fmac_f32_e32 v211, v99, v180
	v_add_f32_e32 v2, v2, v4
	v_add_f32_e32 v4, v5, v210
	;; [unrolled: 6-line block ×25, first 2 shown]
	v_mul_f32_e32 v8, v149, v176
	s_waitcnt vmcnt(4)
	v_fma_f32 v4, v146, v204, -v4
	v_mul_f32_e32 v236, v148, v176
	v_add_f32_e32 v2, v2, v5
	v_fmac_f32_e32 v235, v147, v204
	v_add_f32_e32 v3, v3, v234
	s_waitcnt lgkmcnt(0)
	v_mul_f32_e32 v5, v7, v177
	s_waitcnt vmcnt(3)
	v_fma_f32 v8, v148, v205, -v8
	v_add_f32_e32 v2, v2, v4
	v_mul_f32_e32 v237, v6, v177
	v_fmac_f32_e32 v236, v149, v205
	v_add_f32_e32 v3, v3, v235
	s_waitcnt vmcnt(2)
	v_fma_f32 v4, v6, v206, -v5
	v_add_f32_e32 v2, v2, v8
	v_fmac_f32_e32 v237, v7, v206
	v_add_f32_e32 v3, v3, v236
	v_add_f32_e32 v2, v2, v4
	;; [unrolled: 1-line block ×3, first 2 shown]
	s_waitcnt vmcnt(1)
	v_sub_f32_e32 v2, v207, v2
	s_waitcnt vmcnt(0)
	v_sub_f32_e32 v3, v208, v3
	buffer_store_dword v2, off, s[0:3], 0 offset:112
	buffer_store_dword v3, off, s[0:3], 0 offset:116
	v_cmpx_lt_u32_e32 13, v0
	s_cbranch_execz .LBB107_251
; %bb.250:
	s_clause 0x1
	buffer_load_dword v2, off, s[0:3], 0 offset:104
	buffer_load_dword v3, off, s[0:3], 0 offset:108
	buffer_store_dword v1, off, s[0:3], 0 offset:104
	buffer_store_dword v1, off, s[0:3], 0 offset:108
	s_waitcnt vmcnt(0)
	ds_write_b64 v97, v[2:3]
.LBB107_251:
	s_or_b32 exec_lo, exec_lo, s4
	s_waitcnt lgkmcnt(0)
	s_waitcnt_vscnt null, 0x0
	s_barrier
	buffer_gl0_inv
	s_clause 0x3d
	buffer_load_dword v6, off, s[0:3], 0 offset:116
	buffer_load_dword v7, off, s[0:3], 0 offset:124
	;; [unrolled: 1-line block ×62, first 2 shown]
	ds_read_b128 v[2:5], v1 offset:464
	ds_read_b128 v[98:101], v1 offset:480
	;; [unrolled: 1-line block ×15, first 2 shown]
	s_mov_b32 s4, exec_lo
	s_waitcnt vmcnt(61) lgkmcnt(14)
	v_mul_f32_e32 v1, v2, v6
	v_mul_f32_e32 v6, v3, v6
	s_waitcnt vmcnt(60)
	v_mul_f32_e32 v213, v4, v7
	v_mul_f32_e32 v7, v5, v7
	s_waitcnt vmcnt(59) lgkmcnt(13)
	v_mul_f32_e32 v214, v98, v8
	s_waitcnt vmcnt(58)
	v_mul_f32_e32 v215, v100, v154
	s_waitcnt vmcnt(57) lgkmcnt(12)
	v_mul_f32_e32 v216, v102, v155
	s_waitcnt vmcnt(56)
	;; [unrolled: 4-line block ×13, first 2 shown]
	v_mul_f32_e32 v239, v148, v178
	s_waitcnt vmcnt(31)
	v_fma_f32 v2, v2, v181, -v6
	v_fmac_f32_e32 v1, v3, v181
	v_mul_f32_e32 v3, v99, v8
	s_waitcnt vmcnt(30)
	v_fma_f32 v4, v4, v182, -v7
	v_fmac_f32_e32 v213, v5, v182
	v_add_f32_e32 v2, 0, v2
	v_add_f32_e32 v1, 0, v1
	v_mul_f32_e32 v5, v101, v154
	s_waitcnt vmcnt(29)
	v_fma_f32 v3, v98, v183, -v3
	v_fmac_f32_e32 v214, v99, v183
	v_add_f32_e32 v2, v2, v4
	v_add_f32_e32 v1, v1, v213
	;; [unrolled: 6-line block ×26, first 2 shown]
	s_waitcnt lgkmcnt(0)
	v_mul_f32_e32 v4, v151, v179
	s_waitcnt vmcnt(4)
	v_fma_f32 v5, v148, v208, -v5
	v_mul_f32_e32 v240, v150, v179
	v_add_f32_e32 v2, v2, v3
	v_fmac_f32_e32 v239, v149, v208
	v_add_f32_e32 v1, v1, v238
	v_mul_f32_e32 v3, v153, v180
	s_waitcnt vmcnt(3)
	v_fma_f32 v4, v150, v209, -v4
	v_add_f32_e32 v2, v2, v5
	v_mul_f32_e32 v241, v152, v180
	v_fmac_f32_e32 v240, v151, v209
	v_add_f32_e32 v1, v1, v239
	s_waitcnt vmcnt(2)
	v_fma_f32 v3, v152, v210, -v3
	v_add_f32_e32 v2, v2, v4
	v_fmac_f32_e32 v241, v153, v210
	v_add_f32_e32 v1, v1, v240
	v_add_f32_e32 v2, v2, v3
	;; [unrolled: 1-line block ×3, first 2 shown]
	s_waitcnt vmcnt(1)
	v_sub_f32_e32 v2, v211, v2
	s_waitcnt vmcnt(0)
	v_sub_f32_e32 v1, v212, v1
	buffer_store_dword v2, off, s[0:3], 0 offset:104
	buffer_store_dword v1, off, s[0:3], 0 offset:108
	v_cmpx_lt_u32_e32 12, v0
	s_cbranch_execz .LBB107_253
; %bb.252:
	s_clause 0x1
	buffer_load_dword v1, off, s[0:3], 0 offset:96
	buffer_load_dword v2, off, s[0:3], 0 offset:100
	v_mov_b32_e32 v3, 0
	buffer_store_dword v3, off, s[0:3], 0 offset:96
	buffer_store_dword v3, off, s[0:3], 0 offset:100
	s_waitcnt vmcnt(0)
	ds_write_b64 v97, v[1:2]
.LBB107_253:
	s_or_b32 exec_lo, exec_lo, s4
	s_waitcnt lgkmcnt(0)
	s_waitcnt_vscnt null, 0x0
	s_barrier
	buffer_gl0_inv
	s_clause 0x3e
	buffer_load_dword v8, off, s[0:3], 0 offset:108
	buffer_load_dword v154, off, s[0:3], 0 offset:116
	;; [unrolled: 1-line block ×64, first 2 shown]
	v_mov_b32_e32 v1, 0
	ds_read2_b64 v[2:5], v1 offset0:57 offset1:58
	ds_read2_b64 v[98:101], v1 offset0:59 offset1:60
	;; [unrolled: 1-line block ×15, first 2 shown]
	ds_read_b64 v[6:7], v1 offset:696
	s_mov_b32 s4, exec_lo
	s_waitcnt vmcnt(62) lgkmcnt(15)
	v_mul_f32_e32 v217, v2, v8
	v_mul_f32_e32 v8, v3, v8
	;; [unrolled: 1-line block ×4, first 2 shown]
	s_waitcnt vmcnt(61) lgkmcnt(14)
	v_mul_f32_e32 v219, v98, v155
	s_waitcnt vmcnt(60)
	v_mul_f32_e32 v220, v100, v156
	s_waitcnt vmcnt(59) lgkmcnt(13)
	v_mul_f32_e32 v221, v102, v157
	s_waitcnt vmcnt(58)
	v_mul_f32_e32 v222, v104, v158
	;; [unrolled: 4-line block ×13, first 2 shown]
	s_waitcnt vmcnt(35) lgkmcnt(1)
	v_mul_f32_e32 v245, v150, v181
	s_waitcnt vmcnt(32)
	v_fma_f32 v2, v2, v184, -v8
	v_fmac_f32_e32 v217, v3, v184
	v_mul_f32_e32 v3, v99, v155
	s_waitcnt vmcnt(31)
	v_fma_f32 v4, v4, v185, -v154
	v_fmac_f32_e32 v218, v5, v185
	v_add_f32_e32 v2, 0, v2
	v_add_f32_e32 v5, 0, v217
	v_mul_f32_e32 v8, v101, v156
	s_waitcnt vmcnt(30)
	v_fma_f32 v3, v98, v186, -v3
	v_fmac_f32_e32 v219, v99, v186
	v_add_f32_e32 v2, v2, v4
	v_add_f32_e32 v4, v5, v218
	;; [unrolled: 6-line block ×27, first 2 shown]
	v_mul_f32_e32 v4, v153, v182
	s_waitcnt vmcnt(4)
	v_fma_f32 v5, v150, v212, -v5
	v_mul_f32_e32 v246, v152, v182
	v_add_f32_e32 v2, v2, v8
	v_fmac_f32_e32 v245, v151, v212
	v_add_f32_e32 v3, v3, v244
	s_waitcnt lgkmcnt(0)
	v_mul_f32_e32 v8, v7, v183
	s_waitcnt vmcnt(3)
	v_fma_f32 v4, v152, v213, -v4
	v_add_f32_e32 v2, v2, v5
	v_mul_f32_e32 v247, v6, v183
	v_fmac_f32_e32 v246, v153, v213
	v_add_f32_e32 v3, v3, v245
	s_waitcnt vmcnt(2)
	v_fma_f32 v5, v6, v214, -v8
	v_add_f32_e32 v2, v2, v4
	v_fmac_f32_e32 v247, v7, v214
	v_add_f32_e32 v3, v3, v246
	v_add_f32_e32 v2, v2, v5
	v_add_f32_e32 v3, v3, v247
	s_waitcnt vmcnt(1)
	v_sub_f32_e32 v2, v215, v2
	s_waitcnt vmcnt(0)
	v_sub_f32_e32 v3, v216, v3
	buffer_store_dword v2, off, s[0:3], 0 offset:96
	buffer_store_dword v3, off, s[0:3], 0 offset:100
	v_cmpx_lt_u32_e32 11, v0
	s_cbranch_execz .LBB107_255
; %bb.254:
	s_clause 0x1
	buffer_load_dword v2, off, s[0:3], 0 offset:88
	buffer_load_dword v3, off, s[0:3], 0 offset:92
	buffer_store_dword v1, off, s[0:3], 0 offset:88
	buffer_store_dword v1, off, s[0:3], 0 offset:92
	s_waitcnt vmcnt(0)
	ds_write_b64 v97, v[2:3]
.LBB107_255:
	s_or_b32 exec_lo, exec_lo, s4
	s_waitcnt lgkmcnt(0)
	s_waitcnt_vscnt null, 0x0
	s_barrier
	buffer_gl0_inv
	s_clause 0x3e
	buffer_load_dword v6, off, s[0:3], 0 offset:100
	buffer_load_dword v7, off, s[0:3], 0 offset:108
	;; [unrolled: 1-line block ×63, first 2 shown]
	s_clause 0x2
	buffer_load_dword v218, off, s[0:3], 0 offset:344
	buffer_load_dword v219, off, s[0:3], 0 offset:88
	;; [unrolled: 1-line block ×3, first 2 shown]
	ds_read_b128 v[2:5], v1 offset:448
	ds_read_b128 v[98:101], v1 offset:464
	;; [unrolled: 1-line block ×16, first 2 shown]
	s_mov_b32 s4, exec_lo
	s_waitcnt vmcnt(62) lgkmcnt(15)
	v_mul_f32_e32 v1, v2, v6
	v_mul_f32_e32 v6, v3, v6
	;; [unrolled: 1-line block ×4, first 2 shown]
	s_waitcnt lgkmcnt(14)
	v_mul_f32_e32 v222, v98, v8
	v_mul_f32_e32 v223, v100, v158
	s_waitcnt vmcnt(61) lgkmcnt(13)
	v_mul_f32_e32 v224, v102, v159
	s_waitcnt vmcnt(60)
	v_mul_f32_e32 v225, v104, v160
	s_waitcnt vmcnt(59) lgkmcnt(12)
	v_mul_f32_e32 v226, v106, v161
	s_waitcnt vmcnt(58)
	;; [unrolled: 4-line block ×13, first 2 shown]
	v_mul_f32_e32 v249, v152, v184
	s_waitcnt vmcnt(33)
	v_fma_f32 v2, v2, v187, -v6
	v_fmac_f32_e32 v1, v3, v187
	v_mul_f32_e32 v3, v99, v8
	s_waitcnt vmcnt(32)
	v_fma_f32 v4, v4, v188, -v7
	v_fmac_f32_e32 v221, v5, v188
	v_add_f32_e32 v2, 0, v2
	v_add_f32_e32 v1, 0, v1
	v_mul_f32_e32 v5, v101, v158
	s_waitcnt vmcnt(31)
	v_fma_f32 v3, v98, v189, -v3
	v_fmac_f32_e32 v222, v99, v189
	v_add_f32_e32 v2, v2, v4
	v_add_f32_e32 v1, v1, v221
	;; [unrolled: 6-line block ×28, first 2 shown]
	s_waitcnt lgkmcnt(0)
	v_mul_f32_e32 v5, v155, v185
	s_waitcnt vmcnt(4)
	v_fma_f32 v3, v152, v216, -v3
	v_mul_f32_e32 v250, v154, v185
	v_add_f32_e32 v2, v2, v4
	v_fmac_f32_e32 v249, v153, v216
	v_add_f32_e32 v1, v1, v248
	v_mul_f32_e32 v4, v157, v186
	s_waitcnt vmcnt(3)
	v_fma_f32 v5, v154, v217, -v5
	v_add_f32_e32 v2, v2, v3
	v_mul_f32_e32 v251, v156, v186
	v_fmac_f32_e32 v250, v155, v217
	v_add_f32_e32 v1, v1, v249
	s_waitcnt vmcnt(2)
	v_fma_f32 v3, v156, v218, -v4
	v_add_f32_e32 v2, v2, v5
	v_fmac_f32_e32 v251, v157, v218
	v_add_f32_e32 v1, v1, v250
	v_add_f32_e32 v2, v2, v3
	;; [unrolled: 1-line block ×3, first 2 shown]
	s_waitcnt vmcnt(1)
	v_sub_f32_e32 v2, v219, v2
	s_waitcnt vmcnt(0)
	v_sub_f32_e32 v1, v220, v1
	buffer_store_dword v2, off, s[0:3], 0 offset:88
	buffer_store_dword v1, off, s[0:3], 0 offset:92
	v_cmpx_lt_u32_e32 10, v0
	s_cbranch_execz .LBB107_257
; %bb.256:
	s_clause 0x1
	buffer_load_dword v1, off, s[0:3], 0 offset:80
	buffer_load_dword v2, off, s[0:3], 0 offset:84
	v_mov_b32_e32 v3, 0
	buffer_store_dword v3, off, s[0:3], 0 offset:80
	buffer_store_dword v3, off, s[0:3], 0 offset:84
	s_waitcnt vmcnt(0)
	ds_write_b64 v97, v[1:2]
.LBB107_257:
	s_or_b32 exec_lo, exec_lo, s4
	s_waitcnt lgkmcnt(0)
	s_waitcnt_vscnt null, 0x0
	s_barrier
	buffer_gl0_inv
	s_clause 0x23
	buffer_load_dword v99, off, s[0:3], 0 offset:92
	buffer_load_dword v101, off, s[0:3], 0 offset:100
	;; [unrolled: 1-line block ×36, first 2 shown]
	v_mov_b32_e32 v98, 0
	ds_read2_b64 v[5:8], v98 offset0:55 offset1:56
	ds_read2_b64 v[1:4], v98 offset0:57 offset1:58
	buffer_load_dword v143, off, s[0:3], 0 offset:84
	ds_read2_b64 v[135:138], v98 offset0:59 offset1:60
	ds_read2_b64 v[139:142], v98 offset0:61 offset1:62
	s_mov_b32 s4, exec_lo
	s_waitcnt vmcnt(36) lgkmcnt(3)
	v_mul_f32_e32 v144, v5, v99
	s_waitcnt vmcnt(35)
	v_mul_f32_e32 v145, v7, v101
	v_mul_f32_e32 v99, v6, v99
	;; [unrolled: 1-line block ×3, first 2 shown]
	s_waitcnt vmcnt(34) lgkmcnt(2)
	v_mul_f32_e32 v146, v1, v102
	v_mul_f32_e32 v102, v2, v102
	s_waitcnt vmcnt(30)
	v_mul_f32_e32 v147, v3, v103
	v_mul_f32_e32 v103, v4, v103
	v_fmac_f32_e32 v144, v6, v105
	v_fmac_f32_e32 v145, v8, v104
	v_fma_f32 v105, v5, v105, -v99
	v_fma_f32 v104, v7, v104, -v101
	ds_read2_b64 v[5:8], v98 offset0:63 offset1:64
	v_fmac_f32_e32 v146, v2, v100
	v_fma_f32 v148, v1, v100, -v102
	ds_read2_b64 v[99:102], v98 offset0:65 offset1:66
	s_waitcnt vmcnt(26)
	v_fmac_f32_e32 v147, v4, v114
	v_fma_f32 v103, v3, v114, -v103
	s_waitcnt vmcnt(25) lgkmcnt(3)
	v_mul_f32_e32 v114, v135, v112
	s_waitcnt vmcnt(24)
	v_mul_f32_e32 v149, v137, v113
	v_mul_f32_e32 v1, v136, v112
	;; [unrolled: 1-line block ×3, first 2 shown]
	s_clause 0x1
	buffer_load_dword v112, off, s[0:3], 0 offset:228
	buffer_load_dword v113, off, s[0:3], 0 offset:236
	v_fmac_f32_e32 v114, v136, v109
	v_fmac_f32_e32 v149, v138, v107
	v_fma_f32 v109, v135, v109, -v1
	v_fma_f32 v107, v137, v107, -v2
	ds_read2_b64 v[1:4], v98 offset0:67 offset1:68
	s_waitcnt vmcnt(25) lgkmcnt(3)
	v_mul_f32_e32 v135, v139, v110
	v_mul_f32_e32 v110, v140, v110
	s_waitcnt vmcnt(24)
	v_mul_f32_e32 v136, v141, v108
	v_mul_f32_e32 v108, v142, v108
	s_waitcnt vmcnt(23) lgkmcnt(2)
	v_mul_f32_e32 v137, v5, v111
	v_fmac_f32_e32 v135, v140, v106
	v_fma_f32 v106, v139, v106, -v110
	s_waitcnt vmcnt(22)
	v_mul_f32_e32 v110, v7, v115
	v_mul_f32_e32 v111, v6, v111
	;; [unrolled: 1-line block ×3, first 2 shown]
	s_waitcnt vmcnt(18)
	v_fma_f32 v108, v141, v122, -v108
	v_fmac_f32_e32 v137, v6, v120
	v_fmac_f32_e32 v110, v8, v119
	v_fma_f32 v111, v5, v120, -v111
	v_fma_f32 v115, v7, v119, -v115
	s_clause 0x5
	buffer_load_dword v119, off, s[0:3], 0 offset:244
	buffer_load_dword v120, off, s[0:3], 0 offset:252
	;; [unrolled: 1-line block ×6, first 2 shown]
	v_fmac_f32_e32 v136, v142, v122
	s_waitcnt vmcnt(23) lgkmcnt(1)
	v_mul_f32_e32 v122, v99, v121
	v_mul_f32_e32 v121, v100, v121
	s_waitcnt vmcnt(22)
	v_mul_f32_e32 v142, v101, v117
	v_mul_f32_e32 v117, v102, v117
	ds_read2_b64 v[5:8], v98 offset0:69 offset1:70
	v_fmac_f32_e32 v122, v100, v116
	v_fma_f32 v99, v99, v116, -v121
	s_waitcnt vmcnt(18)
	v_fmac_f32_e32 v142, v102, v133
	v_fma_f32 v100, v101, v133, -v117
	s_waitcnt vmcnt(17) lgkmcnt(1)
	v_mul_f32_e32 v101, v1, v131
	v_mul_f32_e32 v102, v2, v131
	s_clause 0x1
	buffer_load_dword v121, off, s[0:3], 0 offset:260
	buffer_load_dword v131, off, s[0:3], 0 offset:268
	v_add_f32_e32 v105, 0, v105
	s_waitcnt vmcnt(18)
	v_mul_f32_e32 v116, v3, v132
	v_mul_f32_e32 v117, v4, v132
	v_fma_f32 v102, v1, v128, -v102
	v_add_f32_e32 v1, 0, v144
	v_add_f32_e32 v104, v105, v104
	v_fmac_f32_e32 v101, v2, v128
	v_fmac_f32_e32 v116, v4, v127
	v_fma_f32 v117, v3, v127, -v117
	v_add_f32_e32 v144, v1, v145
	s_clause 0x3
	buffer_load_dword v127, off, s[0:3], 0 offset:276
	buffer_load_dword v128, off, s[0:3], 0 offset:284
	;; [unrolled: 1-line block ×4, first 2 shown]
	ds_read2_b64 v[1:4], v98 offset0:71 offset1:72
	s_waitcnt vmcnt(21) lgkmcnt(1)
	v_mul_f32_e32 v145, v5, v126
	v_mul_f32_e32 v105, v6, v126
	v_add_f32_e32 v126, v144, v146
	s_waitcnt vmcnt(20)
	v_mul_f32_e32 v144, v7, v125
	v_mul_f32_e32 v125, v8, v125
	v_fmac_f32_e32 v145, v6, v123
	v_fma_f32 v123, v5, v123, -v105
	v_add_f32_e32 v5, v126, v147
	v_add_f32_e32 v104, v104, v148
	s_clause 0x3
	buffer_load_dword v126, off, s[0:3], 0 offset:308
	buffer_load_dword v146, off, s[0:3], 0 offset:316
	;; [unrolled: 1-line block ×4, first 2 shown]
	s_waitcnt vmcnt(20)
	v_fmac_f32_e32 v144, v8, v134
	v_fma_f32 v125, v7, v134, -v125
	v_add_f32_e32 v5, v5, v114
	s_clause 0x5
	buffer_load_dword v134, off, s[0:3], 0 offset:340
	buffer_load_dword v114, off, s[0:3], 0 offset:296
	;; [unrolled: 1-line block ×6, first 2 shown]
	v_add_f32_e32 v6, v104, v103
	v_add_f32_e32 v5, v5, v149
	s_waitcnt vmcnt(25) lgkmcnt(0)
	v_mul_f32_e32 v105, v2, v130
	v_add_f32_e32 v6, v6, v109
	v_add_f32_e32 v104, v5, v135
	v_mul_f32_e32 v135, v1, v130
	v_add_f32_e32 v103, v6, v107
	ds_read2_b64 v[5:8], v98 offset0:73 offset1:74
	v_add_f32_e32 v104, v104, v136
	v_fmac_f32_e32 v135, v2, v129
	v_fma_f32 v107, v1, v129, -v105
	v_add_f32_e32 v103, v103, v106
	v_add_f32_e32 v2, v104, v137
	s_clause 0x5
	buffer_load_dword v129, off, s[0:3], 0 offset:328
	buffer_load_dword v130, off, s[0:3], 0 offset:320
	;; [unrolled: 1-line block ×6, first 2 shown]
	v_add_f32_e32 v1, v103, v108
	v_add_f32_e32 v2, v2, v110
	;; [unrolled: 1-line block ×5, first 2 shown]
	buffer_load_dword v115, off, s[0:3], 0 offset:80
	v_add_f32_e32 v103, v103, v142
	v_add_f32_e32 v99, v1, v99
	v_add_f32_e32 v103, v103, v101
	v_add_f32_e32 v99, v99, v100
	v_add_f32_e32 v109, v103, v116
	v_add_f32_e32 v105, v99, v102
	ds_read2_b64 v[99:102], v98 offset0:77 offset1:78
	v_add_f32_e32 v109, v109, v145
	v_add_f32_e32 v108, v105, v117
	;; [unrolled: 1-line block ×4, first 2 shown]
	s_waitcnt vmcnt(30)
	v_mul_f32_e32 v122, v3, v112
	v_mul_f32_e32 v2, v4, v112
	s_waitcnt vmcnt(29) lgkmcnt(1)
	v_mul_f32_e32 v104, v6, v113
	v_fmac_f32_e32 v122, v4, v124
	v_fma_f32 v111, v3, v124, -v2
	ds_read2_b64 v[1:4], v98 offset0:75 offset1:76
	v_mul_f32_e32 v124, v5, v113
	v_fmac_f32_e32 v124, v6, v118
	v_fma_f32 v118, v5, v118, -v104
	s_waitcnt vmcnt(28)
	v_mul_f32_e32 v113, v7, v119
	v_mul_f32_e32 v106, v8, v119
	s_waitcnt vmcnt(23)
	v_fmac_f32_e32 v113, v8, v141
	v_fma_f32 v117, v7, v141, -v106
	ds_read2_b64 v[5:8], v98 offset0:79 offset1:80
	ds_read2_b64 v[103:106], v98 offset0:81 offset1:82
	s_waitcnt lgkmcnt(2)
	v_mul_f32_e32 v110, v2, v120
	v_mul_f32_e32 v116, v1, v120
	v_fma_f32 v120, v1, v140, -v110
	v_add_f32_e32 v1, v109, v144
	s_waitcnt vmcnt(22)
	v_mul_f32_e32 v119, v3, v121
	v_mul_f32_e32 v112, v4, v121
	v_add_f32_e32 v121, v108, v107
	v_fmac_f32_e32 v116, v2, v140
	v_add_f32_e32 v125, v1, v135
	v_fmac_f32_e32 v119, v4, v139
	v_fma_f32 v123, v3, v139, -v112
	v_add_f32_e32 v121, v121, v111
	s_waitcnt vmcnt(21)
	v_mul_f32_e32 v135, v99, v131
	v_add_f32_e32 v122, v125, v122
	s_waitcnt vmcnt(20)
	v_mul_f32_e32 v125, v101, v127
	v_mul_f32_e32 v127, v102, v127
	v_add_f32_e32 v118, v121, v118
	v_mul_f32_e32 v121, v100, v131
	v_add_f32_e32 v122, v122, v124
	v_fmac_f32_e32 v135, v100, v138
	ds_read2_b64 v[107:110], v98 offset0:83 offset1:84
	ds_read2_b64 v[1:4], v98 offset0:85 offset1:86
	v_add_f32_e32 v117, v118, v117
	v_add_f32_e32 v113, v122, v113
	v_fma_f32 v99, v99, v138, -v121
	s_waitcnt vmcnt(19) lgkmcnt(3)
	v_mul_f32_e32 v124, v5, v128
	s_waitcnt vmcnt(18)
	v_mul_f32_e32 v118, v7, v132
	v_add_f32_e32 v117, v117, v120
	v_add_f32_e32 v113, v113, v116
	s_waitcnt vmcnt(17) lgkmcnt(2)
	v_mul_f32_e32 v131, v103, v133
	s_waitcnt vmcnt(9)
	v_fmac_f32_e32 v124, v6, v151
	s_waitcnt vmcnt(8)
	v_fma_f32 v101, v101, v152, -v127
	v_add_f32_e32 v117, v117, v123
	v_add_f32_e32 v113, v113, v119
	v_mul_f32_e32 v123, v6, v128
	v_fmac_f32_e32 v125, v102, v152
	v_fmac_f32_e32 v118, v8, v150
	v_add_f32_e32 v99, v117, v99
	v_add_f32_e32 v102, v113, v135
	v_mul_f32_e32 v113, v8, v132
	v_fma_f32 v5, v5, v151, -v123
	v_mul_f32_e32 v8, v106, v126
	v_add_f32_e32 v6, v99, v101
	v_add_f32_e32 v99, v102, v125
	v_mul_f32_e32 v101, v104, v133
	v_fma_f32 v7, v7, v150, -v113
	v_mul_f32_e32 v122, v105, v126
	v_add_f32_e32 v5, v6, v5
	v_add_f32_e32 v6, v99, v124
	v_fma_f32 v99, v103, v114, -v101
	v_fmac_f32_e32 v131, v104, v114
	ds_read_b64 v[111:112], v98 offset:696
	v_add_f32_e32 v5, v5, v7
	v_add_f32_e32 v6, v6, v118
	s_waitcnt lgkmcnt(2)
	v_mul_f32_e32 v7, v108, v146
	s_waitcnt vmcnt(3)
	v_fma_f32 v8, v105, v137, -v8
	v_mul_f32_e32 v120, v107, v146
	v_add_f32_e32 v5, v5, v99
	v_fmac_f32_e32 v122, v106, v137
	v_add_f32_e32 v6, v6, v131
	v_mul_f32_e32 v99, v110, v147
	v_fma_f32 v7, v107, v136, -v7
	v_add_f32_e32 v5, v5, v8
	v_mul_f32_e32 v100, v109, v147
	v_fmac_f32_e32 v120, v108, v136
	v_add_f32_e32 v6, v6, v122
	s_waitcnt lgkmcnt(1)
	v_mul_f32_e32 v116, v1, v148
	v_mul_f32_e32 v8, v2, v148
	v_fma_f32 v99, v109, v130, -v99
	v_add_f32_e32 v5, v5, v7
	v_fmac_f32_e32 v100, v110, v130
	v_add_f32_e32 v6, v6, v120
	v_mul_f32_e32 v7, v4, v134
	v_fmac_f32_e32 v116, v2, v129
	v_fma_f32 v1, v1, v129, -v8
	v_add_f32_e32 v2, v5, v99
	v_mul_f32_e32 v121, v3, v134
	v_add_f32_e32 v5, v6, v100
	s_waitcnt lgkmcnt(0)
	v_mul_f32_e32 v6, v112, v153
	s_waitcnt vmcnt(1)
	v_fma_f32 v3, v3, v154, -v7
	v_add_f32_e32 v1, v2, v1
	v_mul_f32_e32 v119, v111, v153
	v_fmac_f32_e32 v121, v4, v154
	v_add_f32_e32 v2, v5, v116
	v_fma_f32 v4, v111, v149, -v6
	v_add_f32_e32 v1, v1, v3
	v_fmac_f32_e32 v119, v112, v149
	v_add_f32_e32 v2, v2, v121
	v_add_f32_e32 v1, v1, v4
	;; [unrolled: 1-line block ×3, first 2 shown]
	s_waitcnt vmcnt(0)
	v_sub_f32_e32 v1, v115, v1
	v_sub_f32_e32 v2, v143, v2
	buffer_store_dword v1, off, s[0:3], 0 offset:80
	buffer_store_dword v2, off, s[0:3], 0 offset:84
	v_cmpx_lt_u32_e32 9, v0
	s_cbranch_execz .LBB107_259
; %bb.258:
	s_clause 0x1
	buffer_load_dword v1, off, s[0:3], 0 offset:72
	buffer_load_dword v2, off, s[0:3], 0 offset:76
	buffer_store_dword v98, off, s[0:3], 0 offset:72
	buffer_store_dword v98, off, s[0:3], 0 offset:76
	s_waitcnt vmcnt(0)
	ds_write_b64 v97, v[1:2]
.LBB107_259:
	s_or_b32 exec_lo, exec_lo, s4
	s_waitcnt lgkmcnt(0)
	s_waitcnt_vscnt null, 0x0
	s_barrier
	buffer_gl0_inv
	s_clause 0x23
	buffer_load_dword v133, off, s[0:3], 0 offset:84
	buffer_load_dword v134, off, s[0:3], 0 offset:92
	;; [unrolled: 1-line block ×36, first 2 shown]
	ds_read_b128 v[5:8], v98 offset:432
	ds_read_b128 v[1:4], v98 offset:448
	ds_read_b128 v[135:138], v98 offset:464
	s_clause 0x1
	buffer_load_dword v143, off, s[0:3], 0 offset:220
	buffer_load_dword v144, off, s[0:3], 0 offset:228
	ds_read_b128 v[139:142], v98 offset:480
	buffer_load_dword v147, off, s[0:3], 0 offset:76
	s_mov_b32 s4, exec_lo
	s_waitcnt vmcnt(38) lgkmcnt(3)
	v_mul_f32_e32 v145, v5, v133
	s_waitcnt vmcnt(37)
	v_mul_f32_e32 v146, v7, v134
	v_mul_f32_e32 v133, v6, v133
	v_mul_f32_e32 v134, v8, v134
	s_waitcnt vmcnt(34)
	v_fmac_f32_e32 v145, v6, v105
	v_fmac_f32_e32 v146, v8, v104
	v_fma_f32 v105, v5, v105, -v133
	v_fma_f32 v104, v7, v104, -v134
	ds_read_b128 v[5:8], v98 offset:496
	s_waitcnt vmcnt(33) lgkmcnt(3)
	v_mul_f32_e32 v133, v1, v102
	v_mul_f32_e32 v102, v2, v102
	s_waitcnt vmcnt(32)
	v_mul_f32_e32 v134, v3, v101
	v_mul_f32_e32 v101, v4, v101
	s_waitcnt vmcnt(31) lgkmcnt(2)
	v_mul_f32_e32 v148, v135, v100
	v_fmac_f32_e32 v133, v2, v99
	v_fma_f32 v149, v1, v99, -v102
	s_waitcnt vmcnt(30)
	v_mul_f32_e32 v150, v137, v103
	v_mul_f32_e32 v99, v136, v100
	;; [unrolled: 1-line block ×3, first 2 shown]
	s_waitcnt vmcnt(26)
	v_fmac_f32_e32 v134, v4, v111
	v_fma_f32 v103, v3, v111, -v101
	ds_read_b128 v[1:4], v98 offset:512
	v_fmac_f32_e32 v148, v136, v110
	v_fma_f32 v110, v135, v110, -v99
	s_waitcnt vmcnt(25) lgkmcnt(2)
	v_mul_f32_e32 v111, v139, v107
	s_waitcnt vmcnt(24)
	v_mul_f32_e32 v135, v141, v108
	v_mul_f32_e32 v107, v140, v107
	;; [unrolled: 1-line block ×3, first 2 shown]
	v_fmac_f32_e32 v150, v138, v109
	v_fma_f32 v109, v137, v109, -v100
	ds_read_b128 v[99:102], v98 offset:528
	v_fmac_f32_e32 v111, v140, v106
	s_waitcnt vmcnt(19)
	v_fmac_f32_e32 v135, v142, v122
	v_fma_f32 v106, v139, v106, -v107
	v_fma_f32 v107, v141, v122, -v108
	s_clause 0x4
	buffer_load_dword v108, off, s[0:3], 0 offset:236
	buffer_load_dword v122, off, s[0:3], 0 offset:256
	;; [unrolled: 1-line block ×5, first 2 shown]
	s_waitcnt lgkmcnt(2)
	v_mul_f32_e32 v136, v5, v112
	v_mul_f32_e32 v112, v6, v112
	s_waitcnt vmcnt(23)
	v_mul_f32_e32 v140, v7, v118
	v_mul_f32_e32 v118, v8, v118
	v_fmac_f32_e32 v136, v6, v117
	v_fma_f32 v5, v5, v117, -v112
	s_waitcnt vmcnt(22) lgkmcnt(1)
	v_mul_f32_e32 v112, v1, v115
	v_fmac_f32_e32 v140, v8, v114
	v_fma_f32 v114, v7, v114, -v118
	s_waitcnt vmcnt(21)
	v_mul_f32_e32 v117, v3, v116
	v_mul_f32_e32 v6, v2, v115
	v_mul_f32_e32 v7, v4, v116
	s_clause 0x2
	buffer_load_dword v115, off, s[0:3], 0 offset:244
	buffer_load_dword v116, off, s[0:3], 0 offset:252
	;; [unrolled: 1-line block ×3, first 2 shown]
	v_fmac_f32_e32 v112, v2, v113
	s_waitcnt vmcnt(20)
	v_fmac_f32_e32 v117, v4, v131
	v_fma_f32 v113, v1, v113, -v6
	v_fma_f32 v131, v3, v131, -v7
	ds_read_b128 v[1:4], v98 offset:544
	v_add_f32_e32 v6, 0, v145
	v_add_f32_e32 v7, 0, v105
	s_waitcnt vmcnt(19) lgkmcnt(1)
	v_mul_f32_e32 v141, v99, v128
	s_waitcnt vmcnt(18)
	v_mul_f32_e32 v142, v101, v129
	v_mul_f32_e32 v8, v100, v128
	v_add_f32_e32 v6, v6, v146
	v_mul_f32_e32 v105, v102, v129
	v_add_f32_e32 v7, v7, v104
	v_fmac_f32_e32 v141, v100, v126
	v_fmac_f32_e32 v142, v102, v125
	v_add_f32_e32 v6, v6, v133
	v_fma_f32 v99, v99, v126, -v8
	v_fma_f32 v104, v101, v125, -v105
	v_add_f32_e32 v7, v7, v149
	s_clause 0x7
	buffer_load_dword v125, off, s[0:3], 0 offset:268
	buffer_load_dword v126, off, s[0:3], 0 offset:276
	;; [unrolled: 1-line block ×8, first 2 shown]
	v_add_f32_e32 v6, v6, v134
	v_add_f32_e32 v7, v7, v103
	s_waitcnt vmcnt(25) lgkmcnt(0)
	v_mul_f32_e32 v8, v2, v123
	v_mul_f32_e32 v105, v1, v123
	s_clause 0x3
	buffer_load_dword v123, off, s[0:3], 0 offset:300
	buffer_load_dword v134, off, s[0:3], 0 offset:308
	;; [unrolled: 1-line block ×4, first 2 shown]
	v_fma_f32 v103, v1, v120, -v8
	v_add_f32_e32 v1, v6, v148
	v_fmac_f32_e32 v105, v2, v120
	v_add_f32_e32 v6, v7, v110
	s_waitcnt vmcnt(28)
	v_mul_f32_e32 v110, v3, v121
	v_mul_f32_e32 v2, v4, v121
	v_add_f32_e32 v7, v1, v150
	s_clause 0x2
	buffer_load_dword v120, off, s[0:3], 0 offset:332
	buffer_load_dword v148, off, s[0:3], 0 offset:340
	;; [unrolled: 1-line block ×3, first 2 shown]
	s_waitcnt vmcnt(27)
	v_fmac_f32_e32 v110, v4, v132
	v_fma_f32 v132, v3, v132, -v2
	ds_read_b128 v[1:4], v98 offset:560
	v_add_f32_e32 v7, v7, v111
	v_add_f32_e32 v6, v6, v109
	;; [unrolled: 1-line block ×3, first 2 shown]
	s_clause 0x3
	buffer_load_dword v135, off, s[0:3], 0 offset:320
	buffer_load_dword v150, off, s[0:3], 0 offset:312
	;; [unrolled: 1-line block ×4, first 2 shown]
	v_add_f32_e32 v6, v6, v106
	v_add_f32_e32 v100, v7, v136
	;; [unrolled: 1-line block ×5, first 2 shown]
	ds_read_b128 v[5:8], v98 offset:576
	s_waitcnt vmcnt(30) lgkmcnt(1)
	v_mul_f32_e32 v107, v1, v130
	v_mul_f32_e32 v102, v2, v130
	s_waitcnt vmcnt(29)
	v_mul_f32_e32 v111, v3, v143
	v_fmac_f32_e32 v107, v2, v127
	v_fma_f32 v109, v1, v127, -v102
	s_clause 0x3
	buffer_load_dword v127, off, s[0:3], 0 offset:344
	buffer_load_dword v130, off, s[0:3], 0 offset:336
	;; [unrolled: 1-line block ×4, first 2 shown]
	v_add_f32_e32 v1, v101, v114
	v_add_f32_e32 v2, v100, v112
	v_mul_f32_e32 v100, v4, v143
	v_fmac_f32_e32 v111, v4, v124
	v_add_f32_e32 v1, v1, v113
	v_add_f32_e32 v2, v2, v117
	v_fma_f32 v112, v3, v124, -v100
	v_add_f32_e32 v101, v1, v131
	v_add_f32_e32 v106, v2, v141
	ds_read_b128 v[1:4], v98 offset:592
	s_waitcnt vmcnt(32) lgkmcnt(1)
	v_mul_f32_e32 v114, v5, v144
	v_mul_f32_e32 v117, v6, v144
	v_add_f32_e32 v113, v101, v99
	ds_read_b128 v[99:102], v98 offset:608
	v_add_f32_e32 v106, v106, v142
	v_fmac_f32_e32 v114, v6, v119
	v_fma_f32 v117, v5, v119, -v117
	v_add_f32_e32 v104, v113, v104
	v_add_f32_e32 v113, v106, v105
	;; [unrolled: 1-line block ×5, first 2 shown]
	s_waitcnt vmcnt(30)
	v_mul_f32_e32 v124, v7, v108
	v_mul_f32_e32 v108, v8, v108
	s_waitcnt vmcnt(26)
	v_fmac_f32_e32 v124, v8, v139
	v_fma_f32 v119, v7, v139, -v108
	v_add_f32_e32 v108, v104, v103
	ds_read_b128 v[5:8], v98 offset:624
	ds_read_b128 v[103:106], v98 offset:640
	v_add_f32_e32 v108, v108, v132
	s_waitcnt vmcnt(25) lgkmcnt(3)
	v_mul_f32_e32 v131, v1, v115
	v_mul_f32_e32 v113, v2, v115
	s_waitcnt vmcnt(24)
	v_mul_f32_e32 v132, v3, v116
	v_mul_f32_e32 v115, v4, v116
	s_waitcnt vmcnt(23) lgkmcnt(2)
	v_mul_f32_e32 v116, v99, v118
	v_fmac_f32_e32 v131, v2, v138
	v_fma_f32 v138, v1, v138, -v113
	v_add_f32_e32 v113, v108, v109
	v_fmac_f32_e32 v132, v4, v137
	v_fma_f32 v115, v3, v137, -v115
	v_mul_f32_e32 v118, v100, v118
	ds_read_b128 v[1:4], v98 offset:656
	ds_read_b128 v[107:110], v98 offset:672
	v_add_f32_e32 v137, v113, v112
	v_fmac_f32_e32 v116, v100, v122
	v_add_f32_e32 v100, v111, v114
	ds_read_b128 v[111:114], v98 offset:688
	v_fma_f32 v99, v99, v122, -v118
	v_add_f32_e32 v98, v137, v117
	s_waitcnt vmcnt(22)
	v_mul_f32_e32 v118, v102, v125
	v_add_f32_e32 v100, v100, v124
	v_mul_f32_e32 v117, v101, v125
	s_waitcnt vmcnt(21) lgkmcnt(4)
	v_mul_f32_e32 v122, v5, v126
	v_add_f32_e32 v98, v98, v119
	v_mul_f32_e32 v124, v6, v126
	v_add_f32_e32 v100, v100, v131
	s_waitcnt vmcnt(15)
	v_fma_f32 v101, v101, v149, -v118
	v_fmac_f32_e32 v117, v102, v149
	v_add_f32_e32 v98, v98, v138
	v_fmac_f32_e32 v122, v6, v146
	v_add_f32_e32 v100, v100, v132
	v_fma_f32 v5, v5, v146, -v124
	v_mul_f32_e32 v119, v7, v128
	v_add_f32_e32 v98, v98, v115
	v_mul_f32_e32 v115, v8, v128
	s_waitcnt lgkmcnt(3)
	v_mul_f32_e32 v102, v103, v129
	s_waitcnt vmcnt(14)
	v_mul_f32_e32 v118, v105, v123
	v_fmac_f32_e32 v119, v8, v145
	v_add_f32_e32 v98, v98, v99
	v_add_f32_e32 v99, v100, v116
	v_fma_f32 v7, v7, v145, -v115
	v_mul_f32_e32 v8, v106, v123
	v_fmac_f32_e32 v102, v104, v133
	v_add_f32_e32 v6, v98, v101
	v_add_f32_e32 v98, v99, v117
	v_mul_f32_e32 v99, v104, v129
	s_waitcnt vmcnt(13) lgkmcnt(2)
	v_mul_f32_e32 v125, v1, v134
	s_waitcnt vmcnt(12)
	v_mul_f32_e32 v126, v3, v151
	v_add_f32_e32 v5, v6, v5
	v_add_f32_e32 v6, v98, v122
	v_fma_f32 v98, v103, v133, -v99
	s_waitcnt vmcnt(4)
	v_fma_f32 v8, v105, v154, -v8
	v_fmac_f32_e32 v118, v106, v154
	v_add_f32_e32 v5, v5, v7
	v_add_f32_e32 v6, v6, v119
	v_mul_f32_e32 v7, v2, v134
	v_fmac_f32_e32 v125, v2, v153
	s_waitcnt lgkmcnt(1)
	v_mul_f32_e32 v131, v107, v152
	v_add_f32_e32 v5, v5, v98
	v_add_f32_e32 v6, v6, v102
	v_mul_f32_e32 v98, v4, v151
	v_fma_f32 v1, v1, v153, -v7
	v_fmac_f32_e32 v126, v4, v150
	v_add_f32_e32 v2, v5, v8
	v_add_f32_e32 v5, v6, v118
	v_mul_f32_e32 v6, v108, v152
	v_fma_f32 v3, v3, v150, -v98
	v_mul_f32_e32 v4, v110, v120
	v_add_f32_e32 v1, v2, v1
	v_add_f32_e32 v2, v5, v125
	v_fma_f32 v5, v107, v135, -v6
	v_mul_f32_e32 v128, v109, v120
	v_fmac_f32_e32 v131, v108, v135
	v_add_f32_e32 v1, v1, v3
	v_add_f32_e32 v2, v2, v126
	s_waitcnt lgkmcnt(0)
	v_mul_f32_e32 v3, v112, v148
	s_waitcnt vmcnt(1)
	v_fma_f32 v4, v109, v136, -v4
	v_mul_f32_e32 v132, v111, v148
	v_add_f32_e32 v1, v1, v5
	v_fmac_f32_e32 v128, v110, v136
	v_add_f32_e32 v2, v2, v131
	v_mul_f32_e32 v5, v114, v121
	v_fma_f32 v3, v111, v130, -v3
	v_add_f32_e32 v1, v1, v4
	v_mul_f32_e32 v100, v113, v121
	v_fmac_f32_e32 v132, v112, v130
	v_add_f32_e32 v2, v2, v128
	v_fma_f32 v4, v113, v127, -v5
	v_add_f32_e32 v1, v1, v3
	v_fmac_f32_e32 v100, v114, v127
	v_add_f32_e32 v2, v2, v132
	v_add_f32_e32 v1, v1, v4
	;; [unrolled: 1-line block ×3, first 2 shown]
	s_waitcnt vmcnt(0)
	v_sub_f32_e32 v1, v140, v1
	v_sub_f32_e32 v2, v147, v2
	buffer_store_dword v1, off, s[0:3], 0 offset:72
	buffer_store_dword v2, off, s[0:3], 0 offset:76
	v_cmpx_lt_u32_e32 8, v0
	s_cbranch_execz .LBB107_261
; %bb.260:
	s_clause 0x1
	buffer_load_dword v1, off, s[0:3], 0 offset:64
	buffer_load_dword v2, off, s[0:3], 0 offset:68
	v_mov_b32_e32 v3, 0
	buffer_store_dword v3, off, s[0:3], 0 offset:64
	buffer_store_dword v3, off, s[0:3], 0 offset:68
	s_waitcnt vmcnt(0)
	ds_write_b64 v97, v[1:2]
.LBB107_261:
	s_or_b32 exec_lo, exec_lo, s4
	s_waitcnt lgkmcnt(0)
	s_waitcnt_vscnt null, 0x0
	s_barrier
	buffer_gl0_inv
	s_clause 0x2a
	buffer_load_dword v7, off, s[0:3], 0 offset:76
	buffer_load_dword v8, off, s[0:3], 0 offset:84
	;; [unrolled: 1-line block ×43, first 2 shown]
	v_mov_b32_e32 v1, 0
	ds_read2_b64 v[130:133], v1 offset0:53 offset1:54
	ds_read2_b64 v[134:137], v1 offset0:55 offset1:56
	;; [unrolled: 1-line block ×3, first 2 shown]
	buffer_load_dword v148, off, s[0:3], 0 offset:68
	s_mov_b32 s4, exec_lo
	s_waitcnt vmcnt(43) lgkmcnt(2)
	v_mul_f32_e32 v146, v130, v7
	s_waitcnt vmcnt(42)
	v_mul_f32_e32 v147, v132, v8
	v_mul_f32_e32 v7, v131, v7
	;; [unrolled: 1-line block ×3, first 2 shown]
	s_waitcnt vmcnt(39)
	v_fmac_f32_e32 v146, v131, v6
	v_fmac_f32_e32 v147, v133, v5
	v_fma_f32 v149, v130, v6, -v7
	v_fma_f32 v150, v132, v5, -v8
	ds_read2_b64 v[5:8], v1 offset0:59 offset1:60
	ds_read2_b64 v[130:133], v1 offset0:61 offset1:62
	s_waitcnt vmcnt(38) lgkmcnt(3)
	v_mul_f32_e32 v151, v134, v3
	v_mul_f32_e32 v3, v135, v3
	s_waitcnt vmcnt(37)
	v_mul_f32_e32 v152, v136, v4
	v_mul_f32_e32 v4, v137, v4
	s_waitcnt vmcnt(32) lgkmcnt(2)
	v_mul_f32_e32 v154, v138, v105
	v_fmac_f32_e32 v151, v135, v2
	v_fma_f32 v153, v134, v2, -v3
	v_mul_f32_e32 v2, v139, v105
	s_waitcnt vmcnt(31)
	v_mul_f32_e32 v155, v140, v104
	v_mul_f32_e32 v3, v141, v104
	v_fmac_f32_e32 v152, v137, v106
	v_fma_f32 v106, v136, v106, -v4
	v_fmac_f32_e32 v154, v139, v101
	v_fma_f32 v138, v138, v101, -v2
	;; [unrolled: 2-line block ×3, first 2 shown]
	ds_read2_b64 v[134:137], v1 offset0:63 offset1:64
	s_waitcnt vmcnt(30) lgkmcnt(2)
	v_mul_f32_e32 v139, v5, v102
	v_mul_f32_e32 v2, v6, v102
	s_waitcnt vmcnt(29)
	v_mul_f32_e32 v141, v7, v100
	v_mul_f32_e32 v3, v8, v100
	s_waitcnt vmcnt(28) lgkmcnt(1)
	v_mul_f32_e32 v156, v130, v103
	v_fmac_f32_e32 v139, v6, v98
	v_fma_f32 v6, v5, v98, -v2
	s_waitcnt vmcnt(24)
	v_fmac_f32_e32 v141, v8, v113
	v_fma_f32 v7, v7, v113, -v3
	s_waitcnt vmcnt(23)
	v_mul_f32_e32 v8, v132, v112
	v_mul_f32_e32 v98, v131, v103
	;; [unrolled: 1-line block ×3, first 2 shown]
	ds_read2_b64 v[2:5], v1 offset0:65 offset1:66
	v_fmac_f32_e32 v156, v131, v111
	v_fmac_f32_e32 v8, v133, v108
	v_fma_f32 v111, v130, v111, -v98
	v_fma_f32 v108, v132, v108, -v99
	ds_read2_b64 v[98:101], v1 offset0:67 offset1:68
	s_waitcnt vmcnt(22) lgkmcnt(2)
	v_mul_f32_e32 v112, v134, v110
	v_mul_f32_e32 v102, v135, v110
	s_waitcnt vmcnt(21)
	v_mul_f32_e32 v110, v136, v109
	v_mul_f32_e32 v103, v137, v109
	buffer_load_dword v109, off, s[0:3], 0 offset:236
	v_fmac_f32_e32 v112, v135, v107
	v_fma_f32 v107, v134, v107, -v102
	s_waitcnt vmcnt(18)
	v_fmac_f32_e32 v110, v137, v121
	v_fma_f32 v113, v136, v121, -v103
	s_waitcnt vmcnt(17) lgkmcnt(1)
	v_mul_f32_e32 v121, v2, v119
	s_waitcnt vmcnt(16)
	v_mul_f32_e32 v130, v4, v120
	v_mul_f32_e32 v102, v3, v119
	;; [unrolled: 1-line block ×3, first 2 shown]
	v_fmac_f32_e32 v121, v3, v116
	v_fmac_f32_e32 v130, v5, v115
	v_fma_f32 v116, v2, v116, -v102
	v_fma_f32 v115, v4, v115, -v103
	ds_read2_b64 v[2:5], v1 offset0:69 offset1:70
	s_waitcnt vmcnt(15) lgkmcnt(1)
	v_mul_f32_e32 v119, v98, v118
	v_mul_f32_e32 v104, v99, v118
	s_waitcnt vmcnt(14)
	v_mul_f32_e32 v118, v100, v117
	v_mul_f32_e32 v117, v101, v117
	v_fmac_f32_e32 v119, v99, v114
	v_fma_f32 v114, v98, v114, -v104
	ds_read2_b64 v[102:105], v1 offset0:71 offset1:72
	s_waitcnt vmcnt(10)
	v_fmac_f32_e32 v118, v101, v129
	v_fma_f32 v117, v100, v129, -v117
	s_clause 0x1
	buffer_load_dword v120, off, s[0:3], 0 offset:244
	buffer_load_dword v129, off, s[0:3], 0 offset:252
	s_waitcnt vmcnt(11) lgkmcnt(1)
	v_mul_f32_e32 v131, v2, v128
	v_mul_f32_e32 v98, v3, v128
	s_waitcnt vmcnt(10)
	v_mul_f32_e32 v132, v4, v127
	v_mul_f32_e32 v99, v5, v127
	buffer_load_dword v128, off, s[0:3], 0 offset:260
	v_fmac_f32_e32 v131, v3, v125
	v_fma_f32 v125, v2, v125, -v98
	v_fmac_f32_e32 v132, v5, v123
	s_waitcnt vmcnt(10) lgkmcnt(0)
	v_mul_f32_e32 v127, v102, v126
	v_mul_f32_e32 v2, v103, v126
	s_waitcnt vmcnt(9)
	v_mul_f32_e32 v3, v105, v124
	s_clause 0x3
	buffer_load_dword v126, off, s[0:3], 0 offset:280
	buffer_load_dword v133, off, s[0:3], 0 offset:272
	;; [unrolled: 1-line block ×4, first 2 shown]
	v_mul_f32_e32 v136, v104, v124
	v_fmac_f32_e32 v127, v103, v122
	v_fma_f32 v122, v102, v122, -v2
	v_add_f32_e32 v2, 0, v146
	s_clause 0x1
	buffer_load_dword v124, off, s[0:3], 0 offset:268
	buffer_load_dword v146, off, s[0:3], 0 offset:284
	s_waitcnt vmcnt(11)
	v_fma_f32 v137, v104, v145, -v3
	v_add_f32_e32 v3, 0, v149
	v_add_f32_e32 v2, v2, v147
	v_fmac_f32_e32 v136, v105, v145
	s_clause 0x4
	buffer_load_dword v145, off, s[0:3], 0 offset:276
	buffer_load_dword v147, off, s[0:3], 0 offset:292
	;; [unrolled: 1-line block ×5, first 2 shown]
	v_add_f32_e32 v3, v3, v150
	v_add_f32_e32 v2, v2, v151
	s_clause 0x1
	buffer_load_dword v150, off, s[0:3], 0 offset:324
	buffer_load_dword v151, off, s[0:3], 0 offset:332
	v_fma_f32 v123, v4, v123, -v99
	v_add_f32_e32 v3, v3, v153
	v_add_f32_e32 v2, v2, v152
	s_clause 0x1
	buffer_load_dword v152, off, s[0:3], 0 offset:340
	buffer_load_dword v153, off, s[0:3], 0 offset:348
	v_add_f32_e32 v3, v3, v106
	v_add_f32_e32 v2, v2, v154
	;; [unrolled: 1-line block ×4, first 2 shown]
	s_clause 0x3
	buffer_load_dword v138, off, s[0:3], 0 offset:312
	buffer_load_dword v154, off, s[0:3], 0 offset:304
	;; [unrolled: 1-line block ×4, first 2 shown]
	v_add_f32_e32 v3, v3, v140
	v_add_f32_e32 v2, v2, v139
	;; [unrolled: 1-line block ×4, first 2 shown]
	s_clause 0x4
	buffer_load_dword v139, off, s[0:3], 0 offset:344
	buffer_load_dword v140, off, s[0:3], 0 offset:336
	;; [unrolled: 1-line block ×5, first 2 shown]
	ds_read2_b64 v[98:101], v1 offset0:75 offset1:76
	v_add_f32_e32 v3, v3, v7
	v_add_f32_e32 v2, v2, v156
	;; [unrolled: 1-line block ×5, first 2 shown]
	ds_read2_b64 v[2:5], v1 offset0:73 offset1:74
	v_add_f32_e32 v6, v6, v112
	v_add_f32_e32 v7, v7, v107
	;; [unrolled: 1-line block ×14, first 2 shown]
	s_waitcnt vmcnt(27) lgkmcnt(0)
	v_mul_f32_e32 v8, v2, v109
	v_mul_f32_e32 v102, v3, v109
	v_fmac_f32_e32 v8, v3, v144
	v_add_f32_e32 v3, v7, v114
	v_fma_f32 v114, v2, v144, -v102
	v_add_f32_e32 v8, v121, v8
	v_add_f32_e32 v7, v3, v117
	;; [unrolled: 1-line block ×5, first 2 shown]
	s_waitcnt vmcnt(26)
	v_mul_f32_e32 v115, v4, v120
	v_mul_f32_e32 v103, v5, v120
	v_add_f32_e32 v122, v7, v137
	s_waitcnt vmcnt(25)
	v_mul_f32_e32 v110, v99, v129
	v_mul_f32_e32 v117, v98, v129
	v_fmac_f32_e32 v115, v5, v143
	v_fma_f32 v116, v4, v143, -v103
	ds_read2_b64 v[2:5], v1 offset0:77 offset1:78
	ds_read2_b64 v[102:105], v1 offset0:79 offset1:80
	v_add_f32_e32 v114, v122, v114
	v_fma_f32 v120, v98, v142, -v110
	v_fmac_f32_e32 v117, v99, v142
	v_add_f32_e32 v8, v8, v115
	ds_read2_b64 v[106:109], v1 offset0:81 offset1:82
	ds_read2_b64 v[110:113], v1 offset0:83 offset1:84
	s_waitcnt vmcnt(24)
	v_mul_f32_e32 v119, v101, v128
	v_add_f32_e32 v114, v114, v116
	v_mul_f32_e32 v118, v100, v128
	v_add_f32_e32 v8, v8, v117
	v_add_f32_e32 v114, v114, v120
	s_waitcnt vmcnt(20)
	v_fma_f32 v119, v100, v135, -v119
	v_fmac_f32_e32 v118, v101, v135
	ds_read2_b64 v[98:101], v1 offset0:85 offset1:86
	ds_read_b64 v[6:7], v1 offset:696
	s_waitcnt vmcnt(19) lgkmcnt(5)
	v_mul_f32_e32 v122, v3, v124
	v_mul_f32_e32 v123, v2, v124
	v_add_f32_e32 v114, v114, v119
	v_add_f32_e32 v8, v8, v118
	s_waitcnt vmcnt(18) lgkmcnt(4)
	v_mul_f32_e32 v121, v102, v146
	v_fma_f32 v2, v2, v134, -v122
	s_waitcnt vmcnt(17)
	v_mul_f32_e32 v124, v5, v145
	v_mul_f32_e32 v125, v4, v145
	v_fmac_f32_e32 v123, v3, v134
	v_mul_f32_e32 v122, v103, v146
	v_add_f32_e32 v2, v114, v2
	v_fma_f32 v4, v4, v133, -v124
	v_fmac_f32_e32 v125, v5, v133
	v_add_f32_e32 v5, v8, v123
	s_waitcnt vmcnt(16)
	v_mul_f32_e32 v8, v105, v147
	v_fma_f32 v102, v102, v126, -v122
	v_add_f32_e32 v2, v2, v4
	v_mul_f32_e32 v116, v104, v147
	v_fmac_f32_e32 v121, v103, v126
	v_add_f32_e32 v4, v5, v125
	s_waitcnt vmcnt(15) lgkmcnt(3)
	v_mul_f32_e32 v5, v107, v149
	v_add_f32_e32 v2, v2, v102
	v_mul_f32_e32 v127, v106, v149
	s_waitcnt vmcnt(14)
	v_mul_f32_e32 v102, v109, v157
	v_add_f32_e32 v4, v4, v121
	s_waitcnt vmcnt(5)
	v_fma_f32 v8, v104, v159, -v8
	v_fmac_f32_e32 v116, v105, v159
	v_fma_f32 v5, v106, v155, -v5
	v_mul_f32_e32 v115, v108, v157
	v_fmac_f32_e32 v127, v107, v155
	v_add_f32_e32 v2, v2, v8
	v_add_f32_e32 v4, v4, v116
	s_waitcnt lgkmcnt(2)
	v_mul_f32_e32 v8, v111, v158
	v_fma_f32 v102, v108, v154, -v102
	v_mul_f32_e32 v120, v110, v158
	v_add_f32_e32 v2, v2, v5
	v_fmac_f32_e32 v115, v109, v154
	v_add_f32_e32 v4, v4, v127
	v_mul_f32_e32 v5, v113, v150
	v_fma_f32 v8, v110, v138, -v8
	v_add_f32_e32 v2, v2, v102
	v_mul_f32_e32 v3, v112, v150
	v_fmac_f32_e32 v120, v111, v138
	v_add_f32_e32 v4, v4, v115
	s_waitcnt lgkmcnt(1)
	v_mul_f32_e32 v102, v99, v151
	s_waitcnt vmcnt(1)
	v_fma_f32 v5, v112, v160, -v5
	v_add_f32_e32 v2, v2, v8
	v_mul_f32_e32 v117, v98, v151
	v_fmac_f32_e32 v3, v113, v160
	v_add_f32_e32 v4, v4, v120
	v_mul_f32_e32 v8, v101, v152
	v_fma_f32 v98, v98, v141, -v102
	v_add_f32_e32 v2, v2, v5
	v_mul_f32_e32 v119, v100, v152
	v_fmac_f32_e32 v117, v99, v141
	v_add_f32_e32 v3, v4, v3
	s_waitcnt lgkmcnt(0)
	v_mul_f32_e32 v4, v7, v153
	v_fma_f32 v5, v100, v140, -v8
	v_add_f32_e32 v2, v2, v98
	v_mul_f32_e32 v118, v6, v153
	v_fmac_f32_e32 v119, v101, v140
	v_add_f32_e32 v3, v3, v117
	v_fma_f32 v4, v6, v139, -v4
	v_add_f32_e32 v2, v2, v5
	v_fmac_f32_e32 v118, v7, v139
	v_add_f32_e32 v3, v3, v119
	v_add_f32_e32 v2, v2, v4
	;; [unrolled: 1-line block ×3, first 2 shown]
	s_waitcnt vmcnt(0)
	v_sub_f32_e32 v2, v161, v2
	v_sub_f32_e32 v3, v148, v3
	buffer_store_dword v2, off, s[0:3], 0 offset:64
	buffer_store_dword v3, off, s[0:3], 0 offset:68
	v_cmpx_lt_u32_e32 7, v0
	s_cbranch_execz .LBB107_263
; %bb.262:
	s_clause 0x1
	buffer_load_dword v2, off, s[0:3], 0 offset:56
	buffer_load_dword v3, off, s[0:3], 0 offset:60
	buffer_store_dword v1, off, s[0:3], 0 offset:56
	buffer_store_dword v1, off, s[0:3], 0 offset:60
	s_waitcnt vmcnt(0)
	ds_write_b64 v97, v[2:3]
.LBB107_263:
	s_or_b32 exec_lo, exec_lo, s4
	s_waitcnt lgkmcnt(0)
	s_waitcnt_vscnt null, 0x0
	s_barrier
	buffer_gl0_inv
	s_clause 0x2a
	buffer_load_dword v8, off, s[0:3], 0 offset:68
	buffer_load_dword v98, off, s[0:3], 0 offset:76
	;; [unrolled: 1-line block ×43, first 2 shown]
	ds_read_b128 v[130:133], v1 offset:416
	ds_read_b128 v[134:137], v1 offset:432
	ds_read_b128 v[138:141], v1 offset:448
	buffer_load_dword v148, off, s[0:3], 0 offset:60
	s_mov_b32 s4, exec_lo
	s_waitcnt vmcnt(43) lgkmcnt(2)
	v_mul_f32_e32 v146, v130, v8
	s_waitcnt vmcnt(42)
	v_mul_f32_e32 v147, v132, v98
	v_mul_f32_e32 v8, v131, v8
	;; [unrolled: 1-line block ×3, first 2 shown]
	s_waitcnt vmcnt(39)
	v_fmac_f32_e32 v146, v131, v6
	v_fmac_f32_e32 v147, v133, v5
	v_fma_f32 v6, v130, v6, -v8
	v_fma_f32 v8, v132, v5, -v98
	ds_read_b128 v[130:133], v1 offset:464
	s_waitcnt vmcnt(38) lgkmcnt(2)
	v_mul_f32_e32 v149, v134, v3
	s_waitcnt vmcnt(37)
	v_mul_f32_e32 v150, v136, v4
	v_mul_f32_e32 v3, v135, v3
	v_mul_f32_e32 v4, v137, v4
	s_waitcnt vmcnt(32) lgkmcnt(1)
	v_mul_f32_e32 v98, v139, v103
	v_fmac_f32_e32 v149, v135, v2
	v_fmac_f32_e32 v150, v137, v105
	v_fma_f32 v134, v134, v2, -v3
	v_fma_f32 v135, v136, v105, -v4
	ds_read_b128 v[2:5], v1 offset:480
	v_mul_f32_e32 v136, v138, v103
	s_waitcnt vmcnt(31)
	v_mul_f32_e32 v137, v140, v104
	v_mul_f32_e32 v103, v141, v104
	v_fma_f32 v138, v138, v102, -v98
	v_fmac_f32_e32 v136, v139, v102
	v_fmac_f32_e32 v137, v141, v99
	v_fma_f32 v139, v140, v99, -v103
	ds_read_b128 v[102:105], v1 offset:496
	s_waitcnt vmcnt(30) lgkmcnt(2)
	v_mul_f32_e32 v140, v130, v100
	s_waitcnt vmcnt(29)
	v_mul_f32_e32 v141, v132, v101
	v_mul_f32_e32 v98, v131, v100
	;; [unrolled: 1-line block ×3, first 2 shown]
	v_fmac_f32_e32 v140, v131, v7
	s_waitcnt vmcnt(25)
	v_fmac_f32_e32 v141, v133, v113
	v_fma_f32 v7, v130, v7, -v98
	v_fma_f32 v113, v132, v113, -v99
	ds_read_b128 v[98:101], v1 offset:512
	s_waitcnt vmcnt(24) lgkmcnt(2)
	v_mul_f32_e32 v130, v2, v111
	s_waitcnt vmcnt(23)
	v_mul_f32_e32 v131, v4, v112
	v_mul_f32_e32 v111, v3, v111
	;; [unrolled: 1-line block ×3, first 2 shown]
	v_fmac_f32_e32 v130, v3, v110
	v_fmac_f32_e32 v131, v5, v107
	v_fma_f32 v110, v2, v110, -v111
	v_fma_f32 v107, v4, v107, -v112
	ds_read_b128 v[2:5], v1 offset:528
	s_waitcnt vmcnt(22) lgkmcnt(2)
	v_mul_f32_e32 v111, v102, v108
	s_waitcnt vmcnt(21)
	v_mul_f32_e32 v112, v104, v109
	v_mul_f32_e32 v108, v103, v108
	;; [unrolled: 1-line block ×3, first 2 shown]
	v_fmac_f32_e32 v111, v103, v106
	s_waitcnt vmcnt(17)
	v_fmac_f32_e32 v112, v105, v121
	v_fma_f32 v106, v102, v106, -v108
	v_fma_f32 v108, v104, v121, -v109
	s_waitcnt vmcnt(16) lgkmcnt(1)
	v_mul_f32_e32 v109, v98, v119
	v_mul_f32_e32 v119, v99, v119
	ds_read_b128 v[102:105], v1 offset:544
	s_waitcnt vmcnt(15)
	v_mul_f32_e32 v121, v100, v120
	v_mul_f32_e32 v120, v101, v120
	v_fmac_f32_e32 v109, v99, v118
	v_fma_f32 v98, v98, v118, -v119
	s_clause 0x1
	buffer_load_dword v118, off, s[0:3], 0 offset:228
	buffer_load_dword v119, off, s[0:3], 0 offset:236
	v_fmac_f32_e32 v121, v101, v115
	v_fma_f32 v115, v100, v115, -v120
	s_waitcnt vmcnt(16) lgkmcnt(1)
	v_mul_f32_e32 v120, v2, v116
	s_waitcnt vmcnt(15)
	v_mul_f32_e32 v132, v4, v117
	v_mul_f32_e32 v99, v3, v116
	;; [unrolled: 1-line block ×3, first 2 shown]
	buffer_load_dword v117, off, s[0:3], 0 offset:244
	v_fmac_f32_e32 v120, v3, v114
	s_waitcnt vmcnt(12)
	v_fmac_f32_e32 v132, v5, v129
	v_fma_f32 v114, v2, v114, -v99
	v_fma_f32 v116, v4, v129, -v100
	ds_read_b128 v[2:5], v1 offset:560
	s_waitcnt vmcnt(11) lgkmcnt(1)
	v_mul_f32_e32 v129, v102, v127
	s_waitcnt vmcnt(10)
	v_mul_f32_e32 v133, v104, v128
	v_mul_f32_e32 v99, v103, v127
	;; [unrolled: 1-line block ×3, first 2 shown]
	s_clause 0x5
	buffer_load_dword v127, off, s[0:3], 0 offset:252
	buffer_load_dword v128, off, s[0:3], 0 offset:272
	;; [unrolled: 1-line block ×6, first 2 shown]
	v_fmac_f32_e32 v129, v103, v126
	v_fma_f32 v126, v102, v126, -v99
	v_fmac_f32_e32 v133, v105, v125
	v_fma_f32 v125, v104, v125, -v100
	s_waitcnt vmcnt(15) lgkmcnt(0)
	v_mul_f32_e32 v154, v2, v124
	v_mul_f32_e32 v99, v3, v124
	v_fmac_f32_e32 v154, v3, v122
	v_add_f32_e32 v3, 0, v146
	v_fma_f32 v122, v2, v122, -v99
	v_add_f32_e32 v2, 0, v6
	s_waitcnt vmcnt(14)
	v_mul_f32_e32 v6, v4, v123
	v_mul_f32_e32 v99, v5, v123
	v_add_f32_e32 v3, v3, v147
	buffer_load_dword v123, off, s[0:3], 0 offset:268
	v_add_f32_e32 v2, v2, v8
	buffer_load_dword v8, off, s[0:3], 0 offset:276
	s_waitcnt vmcnt(12)
	v_fmac_f32_e32 v6, v5, v145
	v_add_f32_e32 v3, v3, v149
	v_fma_f32 v124, v4, v145, -v99
	v_add_f32_e32 v2, v2, v134
	s_clause 0x3
	buffer_load_dword v145, off, s[0:3], 0 offset:284
	buffer_load_dword v134, off, s[0:3], 0 offset:292
	;; [unrolled: 1-line block ×4, first 2 shown]
	v_add_f32_e32 v3, v3, v150
	v_add_f32_e32 v2, v2, v135
	s_clause 0x3
	buffer_load_dword v135, off, s[0:3], 0 offset:316
	buffer_load_dword v149, off, s[0:3], 0 offset:324
	;; [unrolled: 1-line block ×4, first 2 shown]
	v_add_f32_e32 v3, v3, v136
	buffer_load_dword v136, off, s[0:3], 0 offset:348
	v_add_f32_e32 v2, v2, v138
	v_add_f32_e32 v3, v3, v137
	;; [unrolled: 1-line block ×3, first 2 shown]
	s_clause 0x3
	buffer_load_dword v137, off, s[0:3], 0 offset:304
	buffer_load_dword v138, off, s[0:3], 0 offset:296
	;; [unrolled: 1-line block ×4, first 2 shown]
	v_add_f32_e32 v3, v3, v140
	v_add_f32_e32 v2, v2, v7
	;; [unrolled: 1-line block ×3, first 2 shown]
	s_clause 0x4
	buffer_load_dword v7, off, s[0:3], 0 offset:336
	buffer_load_dword v140, off, s[0:3], 0 offset:328
	;; [unrolled: 1-line block ×5, first 2 shown]
	v_add_f32_e32 v2, v2, v113
	v_add_f32_e32 v3, v3, v130
	buffer_load_dword v130, off, s[0:3], 0 offset:344
	v_add_f32_e32 v2, v2, v110
	v_add_f32_e32 v3, v3, v131
	;; [unrolled: 1-line block ×5, first 2 shown]
	ds_read_b128 v[2:5], v1 offset:576
	v_add_f32_e32 v99, v99, v112
	v_add_f32_e32 v100, v100, v108
	;; [unrolled: 1-line block ×4, first 2 shown]
	ds_read_b128 v[98:101], v1 offset:592
	v_add_f32_e32 v102, v102, v121
	v_add_f32_e32 v103, v103, v115
	;; [unrolled: 1-line block ×11, first 2 shown]
	s_waitcnt vmcnt(29) lgkmcnt(1)
	v_mul_f32_e32 v121, v2, v118
	v_mul_f32_e32 v104, v3, v118
	s_waitcnt vmcnt(28)
	v_mul_f32_e32 v118, v4, v119
	v_mul_f32_e32 v105, v5, v119
	v_fmac_f32_e32 v121, v3, v144
	v_fma_f32 v119, v2, v144, -v104
	v_fmac_f32_e32 v118, v5, v143
	v_fma_f32 v120, v4, v143, -v105
	ds_read_b128 v[2:5], v1 offset:608
	ds_read_b128 v[102:105], v1 offset:624
	s_waitcnt vmcnt(27) lgkmcnt(2)
	v_mul_f32_e32 v131, v98, v117
	v_mul_f32_e32 v108, v99, v117
	v_fmac_f32_e32 v131, v99, v142
	v_add_f32_e32 v99, v107, v133
	v_fma_f32 v126, v98, v142, -v108
	s_waitcnt vmcnt(26)
	v_mul_f32_e32 v132, v100, v127
	v_mul_f32_e32 v109, v101, v127
	v_add_f32_e32 v111, v99, v154
	s_waitcnt vmcnt(22)
	v_fmac_f32_e32 v132, v101, v153
	v_fma_f32 v125, v100, v153, -v109
	v_add_f32_e32 v6, v111, v6
	ds_read_b128 v[98:101], v1 offset:640
	ds_read_b128 v[106:109], v1 offset:656
	s_waitcnt vmcnt(21) lgkmcnt(3)
	v_mul_f32_e32 v115, v3, v155
	v_mul_f32_e32 v122, v2, v155
	ds_read_b128 v[110:113], v1 offset:672
	v_fma_f32 v2, v2, v152, -v115
	ds_read_b128 v[114:117], v1 offset:688
	v_add_f32_e32 v1, v124, v119
	v_fmac_f32_e32 v122, v3, v152
	v_add_f32_e32 v3, v6, v121
	v_add_f32_e32 v1, v1, v120
	;; [unrolled: 1-line block ×3, first 2 shown]
	s_waitcnt vmcnt(20)
	v_mul_f32_e32 v119, v5, v123
	v_add_f32_e32 v1, v1, v126
	v_mul_f32_e32 v6, v4, v123
	v_add_f32_e32 v3, v3, v131
	s_waitcnt vmcnt(19) lgkmcnt(4)
	v_mul_f32_e32 v118, v102, v8
	v_mul_f32_e32 v8, v103, v8
	v_add_f32_e32 v1, v1, v125
	v_fma_f32 v4, v4, v151, -v119
	v_add_f32_e32 v3, v3, v132
	v_fmac_f32_e32 v6, v5, v151
	s_waitcnt vmcnt(18)
	v_mul_f32_e32 v125, v105, v145
	v_add_f32_e32 v1, v1, v2
	v_fma_f32 v8, v102, v128, -v8
	v_add_f32_e32 v2, v3, v122
	v_mul_f32_e32 v120, v104, v145
	v_fmac_f32_e32 v118, v103, v128
	v_add_f32_e32 v1, v1, v4
	s_waitcnt vmcnt(17) lgkmcnt(3)
	v_mul_f32_e32 v4, v99, v134
	v_add_f32_e32 v2, v2, v6
	v_mul_f32_e32 v5, v98, v134
	s_waitcnt vmcnt(16)
	v_mul_f32_e32 v119, v100, v146
	v_add_f32_e32 v1, v1, v8
	s_waitcnt vmcnt(6)
	v_fma_f32 v6, v104, v157, -v125
	v_fmac_f32_e32 v120, v105, v157
	v_add_f32_e32 v2, v2, v118
	v_mul_f32_e32 v8, v101, v146
	v_fma_f32 v4, v98, v139, -v4
	v_add_f32_e32 v1, v1, v6
	v_fmac_f32_e32 v5, v99, v139
	v_add_f32_e32 v2, v2, v120
	s_waitcnt lgkmcnt(2)
	v_mul_f32_e32 v6, v107, v147
	v_fma_f32 v8, v100, v138, -v8
	v_add_f32_e32 v1, v1, v4
	v_mul_f32_e32 v121, v106, v147
	v_fmac_f32_e32 v119, v101, v138
	v_add_f32_e32 v2, v2, v5
	v_mul_f32_e32 v4, v109, v135
	v_fma_f32 v5, v106, v137, -v6
	v_add_f32_e32 v1, v1, v8
	v_mul_f32_e32 v123, v108, v135
	v_fmac_f32_e32 v121, v107, v137
	v_add_f32_e32 v2, v2, v119
	s_waitcnt lgkmcnt(1)
	v_mul_f32_e32 v6, v111, v149
	s_waitcnt vmcnt(2)
	v_fma_f32 v4, v108, v158, -v4
	v_add_f32_e32 v1, v1, v5
	v_mul_f32_e32 v124, v110, v149
	v_fmac_f32_e32 v123, v109, v158
	v_add_f32_e32 v2, v2, v121
	v_mul_f32_e32 v5, v113, v150
	v_fma_f32 v6, v110, v141, -v6
	v_add_f32_e32 v1, v1, v4
	v_mul_f32_e32 v126, v112, v150
	v_fmac_f32_e32 v124, v111, v141
	v_add_f32_e32 v2, v2, v123
	s_waitcnt lgkmcnt(0)
	v_mul_f32_e32 v4, v115, v156
	v_fma_f32 v5, v112, v140, -v5
	v_add_f32_e32 v1, v1, v6
	v_mul_f32_e32 v127, v114, v156
	v_fmac_f32_e32 v126, v113, v140
	v_add_f32_e32 v2, v2, v124
	v_mul_f32_e32 v6, v117, v136
	v_fma_f32 v4, v114, v7, -v4
	v_add_f32_e32 v1, v1, v5
	v_mul_f32_e32 v3, v116, v136
	v_fmac_f32_e32 v127, v115, v7
	v_add_f32_e32 v2, v2, v126
	s_waitcnt vmcnt(0)
	v_fma_f32 v5, v116, v130, -v6
	v_add_f32_e32 v1, v1, v4
	v_fmac_f32_e32 v3, v117, v130
	v_add_f32_e32 v2, v2, v127
	v_add_f32_e32 v1, v1, v5
	;; [unrolled: 1-line block ×3, first 2 shown]
	v_sub_f32_e32 v1, v159, v1
	v_sub_f32_e32 v2, v148, v2
	buffer_store_dword v1, off, s[0:3], 0 offset:56
	buffer_store_dword v2, off, s[0:3], 0 offset:60
	v_cmpx_lt_u32_e32 6, v0
	s_cbranch_execz .LBB107_265
; %bb.264:
	s_clause 0x1
	buffer_load_dword v1, off, s[0:3], 0 offset:48
	buffer_load_dword v2, off, s[0:3], 0 offset:52
	v_mov_b32_e32 v3, 0
	buffer_store_dword v3, off, s[0:3], 0 offset:48
	buffer_store_dword v3, off, s[0:3], 0 offset:52
	s_waitcnt vmcnt(0)
	ds_write_b64 v97, v[1:2]
.LBB107_265:
	s_or_b32 exec_lo, exec_lo, s4
	s_waitcnt lgkmcnt(0)
	s_waitcnt_vscnt null, 0x0
	s_barrier
	buffer_gl0_inv
	s_clause 0x2b
	buffer_load_dword v129, off, s[0:3], 0 offset:60
	buffer_load_dword v2, off, s[0:3], 0 offset:72
	;; [unrolled: 1-line block ×44, first 2 shown]
	v_mov_b32_e32 v1, 0
	ds_read2_b64 v[130:133], v1 offset0:51 offset1:52
	ds_read2_b64 v[134:137], v1 offset0:53 offset1:54
	;; [unrolled: 1-line block ×3, first 2 shown]
	buffer_load_dword v148, off, s[0:3], 0 offset:52
	s_mov_b32 s4, exec_lo
	s_waitcnt vmcnt(44) lgkmcnt(2)
	v_mul_f32_e32 v147, v130, v129
	v_mul_f32_e32 v129, v131, v129
	s_waitcnt vmcnt(40)
	v_mul_f32_e32 v150, v132, v98
	v_mul_f32_e32 v98, v133, v98
	v_fmac_f32_e32 v147, v131, v99
	v_fma_f32 v149, v130, v99, -v129
	s_waitcnt vmcnt(39) lgkmcnt(1)
	v_mul_f32_e32 v152, v134, v7
	v_fmac_f32_e32 v150, v133, v5
	v_fma_f32 v151, v132, v5, -v98
	v_mul_f32_e32 v5, v135, v7
	ds_read2_b64 v[129:132], v1 offset0:57 offset1:58
	v_fmac_f32_e32 v152, v135, v2
	s_waitcnt vmcnt(38)
	v_mul_f32_e32 v154, v136, v4
	v_fma_f32 v153, v134, v2, -v5
	v_mul_f32_e32 v2, v137, v4
	s_waitcnt vmcnt(34)
	v_fmac_f32_e32 v154, v137, v103
	s_waitcnt vmcnt(33) lgkmcnt(1)
	v_mul_f32_e32 v137, v138, v102
	v_fma_f32 v103, v136, v103, -v2
	v_mul_f32_e32 v2, v139, v102
	ds_read2_b64 v[133:136], v1 offset0:59 offset1:60
	v_fmac_f32_e32 v137, v139, v100
	v_fma_f32 v102, v138, v100, -v2
	s_waitcnt vmcnt(32)
	v_mul_f32_e32 v138, v140, v101
	v_mul_f32_e32 v2, v141, v101
	ds_read2_b64 v[98:101], v1 offset0:63 offset1:64
	v_fmac_f32_e32 v138, v141, v6
	v_fma_f32 v139, v140, v6, -v2
	s_waitcnt vmcnt(31) lgkmcnt(2)
	v_mul_f32_e32 v2, v130, v8
	ds_read2_b64 v[4:7], v1 offset0:61 offset1:62
	v_mul_f32_e32 v140, v129, v8
	v_fma_f32 v8, v129, v3, -v2
	s_waitcnt vmcnt(30)
	v_mul_f32_e32 v2, v132, v104
	v_mul_f32_e32 v129, v131, v104
	v_fmac_f32_e32 v140, v130, v3
	s_waitcnt vmcnt(24) lgkmcnt(2)
	v_mul_f32_e32 v130, v135, v109
	v_fma_f32 v104, v131, v112, -v2
	v_mul_f32_e32 v2, v134, v111
	v_fmac_f32_e32 v129, v132, v112
	v_mul_f32_e32 v112, v133, v111
	v_fmac_f32_e32 v130, v136, v106
	v_fma_f32 v111, v133, v108, -v2
	v_mul_f32_e32 v2, v136, v109
	v_fmac_f32_e32 v112, v134, v108
	s_waitcnt vmcnt(23) lgkmcnt(0)
	v_mul_f32_e32 v132, v4, v107
	s_waitcnt vmcnt(22)
	v_mul_f32_e32 v133, v6, v110
	v_fma_f32 v131, v135, v106, -v2
	v_mul_f32_e32 v2, v5, v107
	ds_read2_b64 v[106:109], v1 offset0:65 offset1:66
	v_fmac_f32_e32 v132, v5, v105
	s_waitcnt vmcnt(18)
	v_fmac_f32_e32 v133, v7, v121
	v_fma_f32 v105, v4, v105, -v2
	v_mul_f32_e32 v2, v7, v110
	s_waitcnt vmcnt(17)
	v_mul_f32_e32 v7, v98, v120
	s_waitcnt vmcnt(16)
	v_mul_f32_e32 v110, v100, v119
	v_mul_f32_e32 v119, v101, v119
	v_fma_f32 v6, v6, v121, -v2
	v_mul_f32_e32 v2, v99, v120
	v_fmac_f32_e32 v7, v99, v117
	v_fmac_f32_e32 v110, v101, v114
	v_fma_f32 v114, v100, v114, -v119
	v_add_f32_e32 v100, 0, v147
	v_fma_f32 v117, v98, v117, -v2
	ds_read2_b64 v[2:5], v1 offset0:67 offset1:68
	s_clause 0x2
	buffer_load_dword v119, off, s[0:3], 0 offset:228
	buffer_load_dword v120, off, s[0:3], 0 offset:236
	;; [unrolled: 1-line block ×3, first 2 shown]
	s_waitcnt vmcnt(18) lgkmcnt(1)
	v_mul_f32_e32 v121, v106, v115
	v_mul_f32_e32 v98, v107, v115
	s_waitcnt vmcnt(17)
	v_mul_f32_e32 v115, v108, v118
	v_mul_f32_e32 v99, v109, v118
	v_fmac_f32_e32 v121, v107, v113
	v_fma_f32 v106, v106, v113, -v98
	s_waitcnt vmcnt(13)
	v_fmac_f32_e32 v115, v109, v128
	v_fma_f32 v107, v108, v128, -v99
	v_add_f32_e32 v109, v100, v150
	ds_read2_b64 v[98:101], v1 offset0:69 offset1:70
	v_add_f32_e32 v108, 0, v149
	v_add_f32_e32 v109, v109, v152
	;; [unrolled: 1-line block ×3, first 2 shown]
	s_waitcnt vmcnt(12) lgkmcnt(1)
	v_mul_f32_e32 v113, v2, v127
	v_mul_f32_e32 v118, v3, v127
	s_clause 0x3
	buffer_load_dword v127, off, s[0:3], 0 offset:264
	buffer_load_dword v128, off, s[0:3], 0 offset:256
	;; [unrolled: 1-line block ×4, first 2 shown]
	v_fmac_f32_e32 v113, v3, v126
	v_fma_f32 v118, v2, v126, -v118
	s_clause 0x1
	buffer_load_dword v126, off, s[0:3], 0 offset:252
	buffer_load_dword v141, off, s[0:3], 0 offset:260
	v_add_f32_e32 v2, v108, v153
	v_add_f32_e32 v3, v109, v154
	s_waitcnt vmcnt(17)
	v_mul_f32_e32 v108, v4, v125
	v_mul_f32_e32 v109, v5, v125
	buffer_load_dword v125, off, s[0:3], 0 offset:268
	v_add_f32_e32 v2, v2, v103
	v_add_f32_e32 v3, v3, v137
	v_fmac_f32_e32 v108, v5, v123
	v_fma_f32 v109, v4, v123, -v109
	s_clause 0x3
	buffer_load_dword v123, off, s[0:3], 0 offset:276
	buffer_load_dword v137, off, s[0:3], 0 offset:284
	;; [unrolled: 1-line block ×4, first 2 shown]
	v_add_f32_e32 v102, v2, v102
	v_add_f32_e32 v103, v3, v138
	ds_read2_b64 v[2:5], v1 offset0:71 offset1:72
	s_waitcnt vmcnt(21) lgkmcnt(1)
	v_mul_f32_e32 v138, v98, v122
	v_mul_f32_e32 v122, v99, v122
	v_add_f32_e32 v102, v102, v139
	v_add_f32_e32 v103, v103, v140
	s_waitcnt vmcnt(20)
	v_mul_f32_e32 v139, v100, v124
	v_fmac_f32_e32 v138, v99, v116
	v_fma_f32 v116, v98, v116, -v122
	v_add_f32_e32 v8, v102, v8
	v_add_f32_e32 v98, v103, v129
	v_mul_f32_e32 v102, v101, v124
	s_clause 0x4
	buffer_load_dword v122, off, s[0:3], 0 offset:308
	buffer_load_dword v124, off, s[0:3], 0 offset:316
	;; [unrolled: 1-line block ×5, first 2 shown]
	v_add_f32_e32 v8, v8, v104
	s_clause 0x4
	buffer_load_dword v151, off, s[0:3], 0 offset:296
	buffer_load_dword v152, off, s[0:3], 0 offset:288
	;; [unrolled: 1-line block ×5, first 2 shown]
	v_add_f32_e32 v98, v98, v112
	s_waitcnt vmcnt(26)
	v_fmac_f32_e32 v139, v101, v145
	v_fma_f32 v145, v100, v145, -v102
	v_add_f32_e32 v8, v8, v111
	v_add_f32_e32 v98, v98, v130
	s_waitcnt vmcnt(25) lgkmcnt(0)
	v_mul_f32_e32 v103, v3, v146
	v_mul_f32_e32 v130, v2, v146
	v_add_f32_e32 v8, v8, v131
	v_add_f32_e32 v102, v98, v132
	ds_read2_b64 v[98:101], v1 offset0:73 offset1:74
	v_fma_f32 v111, v2, v144, -v103
	v_add_f32_e32 v8, v8, v105
	v_fmac_f32_e32 v130, v3, v144
	v_add_f32_e32 v102, v102, v133
	v_add_f32_e32 v2, v8, v6
	s_clause 0x3
	buffer_load_dword v8, off, s[0:3], 0 offset:328
	buffer_load_dword v131, off, s[0:3], 0 offset:320
	;; [unrolled: 1-line block ×4, first 2 shown]
	v_add_f32_e32 v3, v102, v7
	v_add_f32_e32 v2, v2, v117
	s_clause 0x1
	buffer_load_dword v117, off, s[0:3], 0 offset:344
	buffer_load_dword v144, off, s[0:3], 0 offset:336
	v_add_f32_e32 v3, v3, v110
	ds_read2_b64 v[102:105], v1 offset0:77 offset1:78
	v_add_f32_e32 v2, v2, v114
	buffer_load_dword v114, off, s[0:3], 0 offset:48
	v_add_f32_e32 v6, v3, v121
	v_add_f32_e32 v7, v2, v106
	;; [unrolled: 1-line block ×11, first 2 shown]
	s_waitcnt vmcnt(30)
	v_mul_f32_e32 v121, v4, v119
	v_mul_f32_e32 v3, v5, v119
	s_waitcnt vmcnt(29) lgkmcnt(1)
	v_mul_f32_e32 v106, v99, v120
	v_mul_f32_e32 v115, v98, v120
	s_waitcnt vmcnt(28)
	v_mul_f32_e32 v107, v101, v134
	v_fmac_f32_e32 v121, v5, v143
	v_fma_f32 v119, v4, v143, -v3
	ds_read2_b64 v[2:5], v1 offset0:75 offset1:76
	v_fma_f32 v118, v98, v142, -v106
	v_mul_f32_e32 v120, v100, v134
	v_fmac_f32_e32 v115, v99, v142
	s_waitcnt vmcnt(24)
	v_fma_f32 v134, v100, v136, -v107
	v_fmac_f32_e32 v120, v101, v136
	ds_read2_b64 v[98:101], v1 offset0:79 offset1:80
	ds_read2_b64 v[106:109], v1 offset0:81 offset1:82
	s_waitcnt vmcnt(23) lgkmcnt(2)
	v_mul_f32_e32 v116, v2, v126
	v_mul_f32_e32 v110, v3, v126
	s_waitcnt vmcnt(22)
	v_mul_f32_e32 v126, v4, v141
	v_mul_f32_e32 v136, v5, v141
	v_fmac_f32_e32 v116, v3, v135
	v_fma_f32 v135, v2, v135, -v110
	v_add_f32_e32 v2, v6, v139
	v_add_f32_e32 v6, v7, v111
	v_fmac_f32_e32 v126, v5, v128
	v_fma_f32 v128, v4, v128, -v136
	s_waitcnt vmcnt(21)
	v_mul_f32_e32 v136, v102, v125
	v_add_f32_e32 v130, v2, v130
	v_add_f32_e32 v119, v6, v119
	ds_read2_b64 v[110:113], v1 offset0:83 offset1:84
	ds_read2_b64 v[2:5], v1 offset0:85 offset1:86
	v_fmac_f32_e32 v136, v103, v127
	v_add_f32_e32 v121, v130, v121
	v_add_f32_e32 v118, v119, v118
	v_mul_f32_e32 v119, v103, v125
	s_waitcnt vmcnt(20)
	v_mul_f32_e32 v130, v104, v123
	v_mul_f32_e32 v123, v105, v123
	v_add_f32_e32 v115, v121, v115
	v_add_f32_e32 v118, v118, v134
	v_fma_f32 v102, v102, v127, -v119
	s_waitcnt vmcnt(19) lgkmcnt(3)
	v_mul_f32_e32 v121, v98, v137
	v_mul_f32_e32 v127, v99, v137
	v_add_f32_e32 v115, v115, v120
	v_add_f32_e32 v118, v118, v135
	s_waitcnt vmcnt(8)
	v_fma_f32 v104, v104, v154, -v123
	v_fmac_f32_e32 v130, v105, v154
	v_fmac_f32_e32 v121, v99, v153
	v_add_f32_e32 v115, v115, v116
	v_add_f32_e32 v118, v118, v128
	v_fma_f32 v98, v98, v153, -v127
	v_mul_f32_e32 v125, v100, v147
	s_waitcnt lgkmcnt(2)
	v_mul_f32_e32 v134, v106, v149
	v_add_f32_e32 v115, v115, v126
	v_add_f32_e32 v102, v118, v102
	v_mul_f32_e32 v120, v108, v122
	v_fmac_f32_e32 v125, v101, v152
	v_fmac_f32_e32 v134, v107, v151
	v_add_f32_e32 v105, v115, v136
	v_mul_f32_e32 v115, v101, v147
	v_add_f32_e32 v99, v102, v104
	v_mul_f32_e32 v104, v107, v149
	v_mul_f32_e32 v101, v109, v122
	v_add_f32_e32 v102, v105, v130
	v_fma_f32 v100, v100, v152, -v115
	v_add_f32_e32 v98, v99, v98
	ds_read_b64 v[6:7], v1 offset:696
	s_waitcnt vmcnt(3)
	v_fma_f32 v101, v108, v133, -v101
	v_add_f32_e32 v99, v102, v121
	v_fma_f32 v102, v106, v151, -v104
	v_add_f32_e32 v98, v98, v100
	s_waitcnt lgkmcnt(2)
	v_mul_f32_e32 v100, v111, v124
	v_mul_f32_e32 v135, v110, v124
	v_add_f32_e32 v99, v99, v125
	v_fmac_f32_e32 v120, v109, v133
	v_add_f32_e32 v98, v98, v102
	v_mul_f32_e32 v102, v113, v129
	v_fma_f32 v100, v110, v132, -v100
	v_add_f32_e32 v99, v99, v134
	v_mul_f32_e32 v103, v112, v129
	v_add_f32_e32 v98, v98, v101
	v_fmac_f32_e32 v135, v111, v132
	s_waitcnt lgkmcnt(1)
	v_mul_f32_e32 v116, v2, v140
	v_add_f32_e32 v99, v99, v120
	v_mul_f32_e32 v101, v3, v140
	v_fma_f32 v102, v112, v131, -v102
	v_add_f32_e32 v98, v98, v100
	v_fmac_f32_e32 v103, v113, v131
	v_add_f32_e32 v99, v99, v135
	v_mul_f32_e32 v100, v5, v150
	v_fmac_f32_e32 v116, v3, v8
	v_fma_f32 v2, v2, v8, -v101
	v_add_f32_e32 v3, v98, v102
	v_mul_f32_e32 v119, v4, v150
	v_add_f32_e32 v8, v99, v103
	s_waitcnt lgkmcnt(0)
	v_mul_f32_e32 v98, v7, v155
	s_waitcnt vmcnt(1)
	v_fma_f32 v4, v4, v144, -v100
	v_add_f32_e32 v2, v3, v2
	v_mul_f32_e32 v126, v6, v155
	v_fmac_f32_e32 v119, v5, v144
	v_add_f32_e32 v3, v8, v116
	v_fma_f32 v5, v6, v117, -v98
	v_add_f32_e32 v2, v2, v4
	v_fmac_f32_e32 v126, v7, v117
	v_add_f32_e32 v3, v3, v119
	v_add_f32_e32 v2, v2, v5
	;; [unrolled: 1-line block ×3, first 2 shown]
	s_waitcnt vmcnt(0)
	v_sub_f32_e32 v2, v114, v2
	v_sub_f32_e32 v3, v148, v3
	buffer_store_dword v2, off, s[0:3], 0 offset:48
	buffer_store_dword v3, off, s[0:3], 0 offset:52
	v_cmpx_lt_u32_e32 5, v0
	s_cbranch_execz .LBB107_267
; %bb.266:
	s_clause 0x1
	buffer_load_dword v2, off, s[0:3], 0 offset:40
	buffer_load_dword v3, off, s[0:3], 0 offset:44
	buffer_store_dword v1, off, s[0:3], 0 offset:40
	buffer_store_dword v1, off, s[0:3], 0 offset:44
	s_waitcnt vmcnt(0)
	ds_write_b64 v97, v[2:3]
.LBB107_267:
	s_or_b32 exec_lo, exec_lo, s4
	s_waitcnt lgkmcnt(0)
	s_waitcnt_vscnt null, 0x0
	s_barrier
	buffer_gl0_inv
	s_clause 0x2b
	buffer_load_dword v129, off, s[0:3], 0 offset:52
	buffer_load_dword v2, off, s[0:3], 0 offset:64
	;; [unrolled: 1-line block ×44, first 2 shown]
	ds_read_b128 v[130:133], v1 offset:400
	ds_read_b128 v[134:137], v1 offset:416
	ds_read_b128 v[138:141], v1 offset:432
	buffer_load_dword v148, off, s[0:3], 0 offset:44
	s_mov_b32 s4, exec_lo
	s_waitcnt vmcnt(44) lgkmcnt(2)
	v_mul_f32_e32 v147, v130, v129
	v_mul_f32_e32 v129, v131, v129
	s_waitcnt vmcnt(40)
	v_mul_f32_e32 v150, v132, v98
	v_mul_f32_e32 v98, v133, v98
	s_waitcnt vmcnt(39) lgkmcnt(1)
	v_mul_f32_e32 v152, v134, v7
	v_fmac_f32_e32 v147, v131, v99
	v_fma_f32 v149, v130, v99, -v129
	v_fmac_f32_e32 v150, v133, v5
	v_fma_f32 v151, v132, v5, -v98
	v_mul_f32_e32 v5, v135, v7
	ds_read_b128 v[129:132], v1 offset:448
	v_fmac_f32_e32 v152, v135, v2
	s_waitcnt vmcnt(38)
	v_mul_f32_e32 v154, v136, v4
	v_fma_f32 v153, v134, v2, -v5
	v_mul_f32_e32 v2, v137, v4
	s_waitcnt vmcnt(34)
	v_fmac_f32_e32 v154, v137, v103
	s_waitcnt vmcnt(33) lgkmcnt(1)
	v_mul_f32_e32 v137, v138, v102
	v_fma_f32 v103, v136, v103, -v2
	v_mul_f32_e32 v2, v139, v102
	ds_read_b128 v[133:136], v1 offset:464
	v_fmac_f32_e32 v137, v139, v100
	v_fma_f32 v102, v138, v100, -v2
	s_waitcnt vmcnt(32)
	v_mul_f32_e32 v138, v140, v101
	v_mul_f32_e32 v2, v141, v101
	ds_read_b128 v[98:101], v1 offset:496
	v_fmac_f32_e32 v138, v141, v6
	v_fma_f32 v139, v140, v6, -v2
	ds_read_b128 v[4:7], v1 offset:480
	s_waitcnt vmcnt(31) lgkmcnt(3)
	v_mul_f32_e32 v2, v130, v8
	v_mul_f32_e32 v140, v129, v8
	s_waitcnt vmcnt(30)
	v_mul_f32_e32 v141, v131, v104
	v_fma_f32 v8, v129, v3, -v2
	v_mul_f32_e32 v2, v132, v104
	s_waitcnt vmcnt(26)
	v_fmac_f32_e32 v141, v132, v112
	v_fmac_f32_e32 v140, v130, v3
	s_waitcnt vmcnt(24) lgkmcnt(2)
	v_mul_f32_e32 v3, v136, v110
	v_fma_f32 v104, v131, v112, -v2
	v_mul_f32_e32 v112, v133, v111
	v_mul_f32_e32 v2, v134, v111
	;; [unrolled: 1-line block ×3, first 2 shown]
	ds_read_b128 v[129:132], v1 offset:512
	v_fmac_f32_e32 v112, v134, v108
	v_fma_f32 v108, v133, v108, -v2
	s_waitcnt vmcnt(23) lgkmcnt(1)
	v_mul_f32_e32 v110, v4, v107
	v_mul_f32_e32 v2, v5, v107
	s_waitcnt vmcnt(22)
	v_mul_f32_e32 v107, v6, v109
	v_fmac_f32_e32 v111, v136, v106
	v_fma_f32 v106, v135, v106, -v3
	v_fmac_f32_e32 v110, v5, v105
	v_fma_f32 v105, v4, v105, -v2
	v_mul_f32_e32 v2, v7, v109
	s_waitcnt vmcnt(18)
	v_fmac_f32_e32 v107, v7, v122
	s_clause 0x1
	buffer_load_dword v7, off, s[0:3], 0 offset:220
	buffer_load_dword v109, off, s[0:3], 0 offset:228
	s_waitcnt vmcnt(18)
	v_mul_f32_e32 v3, v101, v119
	v_fma_f32 v6, v6, v122, -v2
	v_mul_f32_e32 v122, v98, v120
	v_mul_f32_e32 v2, v99, v120
	;; [unrolled: 1-line block ×3, first 2 shown]
	s_waitcnt vmcnt(17) lgkmcnt(0)
	v_mul_f32_e32 v119, v129, v118
	v_mul_f32_e32 v118, v130, v118
	v_fmac_f32_e32 v122, v99, v116
	v_fma_f32 v116, v98, v116, -v2
	s_waitcnt vmcnt(16)
	v_mul_f32_e32 v133, v131, v123
	v_mul_f32_e32 v98, v132, v123
	v_fmac_f32_e32 v120, v101, v115
	v_fma_f32 v115, v100, v115, -v3
	ds_read_b128 v[2:5], v1 offset:528
	v_fmac_f32_e32 v119, v130, v113
	v_fma_f32 v113, v129, v113, -v118
	s_waitcnt vmcnt(12)
	v_fmac_f32_e32 v133, v132, v128
	v_fma_f32 v118, v131, v128, -v98
	s_clause 0x7
	buffer_load_dword v123, off, s[0:3], 0 offset:236
	buffer_load_dword v128, off, s[0:3], 0 offset:256
	;; [unrolled: 1-line block ×8, first 2 shown]
	v_add_f32_e32 v98, 0, v147
	v_add_f32_e32 v99, 0, v149
	v_add_f32_e32 v98, v98, v150
	v_add_f32_e32 v99, v99, v151
	v_add_f32_e32 v98, v98, v152
	v_add_f32_e32 v99, v99, v153
	s_waitcnt vmcnt(19) lgkmcnt(0)
	v_mul_f32_e32 v147, v2, v127
	v_mul_f32_e32 v127, v3, v127
	v_add_f32_e32 v136, v98, v154
	v_add_f32_e32 v103, v99, v103
	ds_read_b128 v[98:101], v1 offset:544
	v_fmac_f32_e32 v147, v3, v125
	v_fma_f32 v125, v2, v125, -v127
	v_add_f32_e32 v136, v136, v137
	v_add_f32_e32 v102, v103, v102
	s_waitcnt vmcnt(18)
	v_mul_f32_e32 v137, v4, v126
	v_mul_f32_e32 v103, v5, v126
	v_add_f32_e32 v3, v136, v138
	v_add_f32_e32 v102, v102, v139
	v_fmac_f32_e32 v137, v5, v124
	v_fma_f32 v124, v4, v124, -v103
	v_add_f32_e32 v2, v3, v140
	v_add_f32_e32 v3, v102, v8
	s_clause 0x7
	buffer_load_dword v8, off, s[0:3], 0 offset:268
	buffer_load_dword v126, off, s[0:3], 0 offset:276
	;; [unrolled: 1-line block ×8, first 2 shown]
	v_add_f32_e32 v2, v2, v141
	v_add_f32_e32 v3, v3, v104
	s_waitcnt vmcnt(25) lgkmcnt(0)
	v_mul_f32_e32 v150, v98, v121
	v_mul_f32_e32 v4, v99, v121
	s_clause 0x3
	buffer_load_dword v121, off, s[0:3], 0 offset:300
	buffer_load_dword v141, off, s[0:3], 0 offset:308
	buffer_load_dword v151, off, s[0:3], 0 offset:316
	buffer_load_dword v152, off, s[0:3], 0 offset:324
	v_add_f32_e32 v2, v2, v112
	s_clause 0x1
	buffer_load_dword v153, off, s[0:3], 0 offset:332
	buffer_load_dword v154, off, s[0:3], 0 offset:340
	v_fmac_f32_e32 v150, v99, v114
	v_fma_f32 v114, v98, v114, -v4
	v_add_f32_e32 v98, v3, v108
	s_waitcnt vmcnt(30)
	v_mul_f32_e32 v3, v101, v117
	v_mul_f32_e32 v112, v100, v117
	v_add_f32_e32 v99, v2, v111
	buffer_load_dword v155, off, s[0:3], 0 offset:348
	v_add_f32_e32 v98, v98, v106
	s_waitcnt vmcnt(27)
	v_fma_f32 v111, v100, v145, -v3
	ds_read_b128 v[2:5], v1 offset:560
	v_fmac_f32_e32 v112, v101, v145
	v_add_f32_e32 v99, v99, v110
	s_clause 0x3
	buffer_load_dword v145, off, s[0:3], 0 offset:320
	buffer_load_dword v156, off, s[0:3], 0 offset:312
	;; [unrolled: 1-line block ×4, first 2 shown]
	v_add_f32_e32 v98, v98, v105
	v_add_f32_e32 v99, v99, v107
	;; [unrolled: 1-line block ×4, first 2 shown]
	ds_read_b128 v[98:101], v1 offset:576
	v_add_f32_e32 v6, v6, v116
	v_add_f32_e32 v102, v102, v120
	s_waitcnt vmcnt(30) lgkmcnt(1)
	v_mul_f32_e32 v110, v2, v146
	v_mul_f32_e32 v103, v3, v146
	v_fmac_f32_e32 v110, v3, v144
	v_fma_f32 v116, v2, v144, -v103
	v_add_f32_e32 v2, v6, v115
	v_add_f32_e32 v3, v102, v119
	s_clause 0x3
	buffer_load_dword v6, off, s[0:3], 0 offset:344
	buffer_load_dword v119, off, s[0:3], 0 offset:336
	;; [unrolled: 1-line block ×4, first 2 shown]
	v_add_f32_e32 v2, v2, v113
	v_add_f32_e32 v3, v3, v133
	;; [unrolled: 1-line block ×6, first 2 shown]
	ds_read_b128 v[102:105], v1 offset:608
	v_add_f32_e32 v107, v107, v124
	v_add_f32_e32 v117, v106, v150
	;; [unrolled: 1-line block ×6, first 2 shown]
	s_waitcnt vmcnt(32)
	v_mul_f32_e32 v113, v4, v7
	v_mul_f32_e32 v7, v5, v7
	s_waitcnt vmcnt(31) lgkmcnt(1)
	v_mul_f32_e32 v115, v98, v109
	v_mul_f32_e32 v108, v99, v109
	v_fmac_f32_e32 v113, v5, v143
	v_fma_f32 v7, v4, v143, -v7
	ds_read_b128 v[2:5], v1 offset:592
	v_fmac_f32_e32 v115, v99, v142
	s_waitcnt vmcnt(30)
	v_mul_f32_e32 v118, v100, v123
	v_mul_f32_e32 v109, v101, v123
	v_fma_f32 v123, v98, v142, -v108
	s_waitcnt vmcnt(26)
	v_fmac_f32_e32 v118, v101, v131
	v_fma_f32 v124, v100, v131, -v109
	ds_read_b128 v[98:101], v1 offset:624
	ds_read_b128 v[106:109], v1 offset:640
	s_waitcnt vmcnt(23) lgkmcnt(3)
	v_mul_f32_e32 v133, v103, v135
	s_waitcnt lgkmcnt(2)
	v_mul_f32_e32 v125, v2, v132
	v_mul_f32_e32 v114, v3, v132
	;; [unrolled: 1-line block ×5, first 2 shown]
	v_fmac_f32_e32 v125, v3, v130
	v_fma_f32 v130, v2, v130, -v114
	v_add_f32_e32 v114, v111, v116
	v_add_f32_e32 v116, v110, v113
	v_fmac_f32_e32 v131, v5, v129
	v_fma_f32 v129, v4, v129, -v117
	ds_read_b128 v[2:5], v1 offset:656
	ds_read_b128 v[110:113], v1 offset:672
	v_add_f32_e32 v7, v114, v7
	v_fmac_f32_e32 v132, v103, v128
	v_add_f32_e32 v103, v116, v115
	ds_read_b128 v[114:117], v1 offset:688
	v_fma_f32 v102, v102, v128, -v133
	v_add_f32_e32 v1, v7, v123
	v_add_f32_e32 v103, v103, v118
	s_waitcnt vmcnt(22)
	v_mul_f32_e32 v7, v104, v8
	v_add_f32_e32 v1, v1, v124
	v_mul_f32_e32 v8, v105, v8
	v_add_f32_e32 v103, v103, v125
	s_waitcnt vmcnt(21) lgkmcnt(4)
	v_mul_f32_e32 v124, v99, v126
	v_mul_f32_e32 v118, v98, v126
	v_add_f32_e32 v1, v1, v130
	s_waitcnt vmcnt(15)
	v_fma_f32 v8, v104, v149, -v8
	v_add_f32_e32 v103, v103, v131
	v_fmac_f32_e32 v7, v105, v149
	v_mul_f32_e32 v123, v100, v127
	v_add_f32_e32 v1, v1, v129
	v_mul_f32_e32 v127, v101, v127
	v_fma_f32 v98, v98, v140, -v124
	v_fmac_f32_e32 v118, v99, v140
	s_waitcnt lgkmcnt(3)
	v_mul_f32_e32 v104, v106, v136
	v_add_f32_e32 v1, v1, v102
	v_add_f32_e32 v102, v103, v132
	v_fma_f32 v99, v100, v139, -v127
	v_fmac_f32_e32 v123, v101, v139
	s_waitcnt vmcnt(14)
	v_mul_f32_e32 v105, v108, v121
	v_add_f32_e32 v1, v1, v8
	v_add_f32_e32 v7, v102, v7
	v_mul_f32_e32 v8, v107, v136
	v_fmac_f32_e32 v104, v107, v138
	s_waitcnt vmcnt(13) lgkmcnt(2)
	v_mul_f32_e32 v125, v2, v141
	v_add_f32_e32 v1, v1, v98
	v_add_f32_e32 v7, v7, v118
	v_mul_f32_e32 v98, v109, v121
	v_fma_f32 v8, v106, v138, -v8
	s_waitcnt vmcnt(4)
	v_fmac_f32_e32 v105, v109, v158
	v_add_f32_e32 v1, v1, v99
	v_add_f32_e32 v7, v7, v123
	v_mul_f32_e32 v99, v3, v141
	v_fma_f32 v98, v108, v158, -v98
	v_mul_f32_e32 v126, v4, v151
	v_add_f32_e32 v1, v1, v8
	v_add_f32_e32 v7, v7, v104
	v_mul_f32_e32 v8, v5, v151
	v_fma_f32 v2, v2, v157, -v99
	v_fmac_f32_e32 v125, v3, v157
	v_add_f32_e32 v1, v1, v98
	v_add_f32_e32 v3, v7, v105
	s_waitcnt lgkmcnt(1)
	v_mul_f32_e32 v7, v111, v152
	v_fma_f32 v4, v4, v156, -v8
	v_mul_f32_e32 v128, v110, v152
	v_add_f32_e32 v1, v1, v2
	v_fmac_f32_e32 v126, v5, v156
	v_add_f32_e32 v2, v3, v125
	v_mul_f32_e32 v3, v113, v153
	v_fma_f32 v5, v110, v145, -v7
	v_add_f32_e32 v1, v1, v4
	v_mul_f32_e32 v129, v112, v153
	v_fmac_f32_e32 v128, v111, v145
	v_add_f32_e32 v2, v2, v126
	s_waitcnt lgkmcnt(0)
	v_mul_f32_e32 v4, v115, v154
	s_waitcnt vmcnt(1)
	v_fma_f32 v3, v112, v120, -v3
	v_add_f32_e32 v1, v1, v5
	v_mul_f32_e32 v130, v114, v154
	v_fmac_f32_e32 v129, v113, v120
	v_add_f32_e32 v2, v2, v128
	v_mul_f32_e32 v5, v117, v155
	v_fma_f32 v4, v114, v119, -v4
	v_add_f32_e32 v1, v1, v3
	v_mul_f32_e32 v103, v116, v155
	v_fmac_f32_e32 v130, v115, v119
	v_add_f32_e32 v2, v2, v129
	v_fma_f32 v3, v116, v6, -v5
	v_add_f32_e32 v1, v1, v4
	v_fmac_f32_e32 v103, v117, v6
	v_add_f32_e32 v2, v2, v130
	v_add_f32_e32 v1, v1, v3
	;; [unrolled: 1-line block ×3, first 2 shown]
	s_waitcnt vmcnt(0)
	v_sub_f32_e32 v1, v122, v1
	v_sub_f32_e32 v2, v148, v2
	buffer_store_dword v1, off, s[0:3], 0 offset:40
	buffer_store_dword v2, off, s[0:3], 0 offset:44
	v_cmpx_lt_u32_e32 4, v0
	s_cbranch_execz .LBB107_269
; %bb.268:
	s_clause 0x1
	buffer_load_dword v1, off, s[0:3], 0 offset:32
	buffer_load_dword v2, off, s[0:3], 0 offset:36
	v_mov_b32_e32 v3, 0
	buffer_store_dword v3, off, s[0:3], 0 offset:32
	buffer_store_dword v3, off, s[0:3], 0 offset:36
	s_waitcnt vmcnt(0)
	ds_write_b64 v97, v[1:2]
.LBB107_269:
	s_or_b32 exec_lo, exec_lo, s4
	s_waitcnt lgkmcnt(0)
	s_waitcnt_vscnt null, 0x0
	s_barrier
	buffer_gl0_inv
	s_clause 0x2c
	buffer_load_dword v128, off, s[0:3], 0 offset:44
	buffer_load_dword v129, off, s[0:3], 0 offset:52
	;; [unrolled: 1-line block ×45, first 2 shown]
	v_mov_b32_e32 v1, 0
	ds_read2_b64 v[130:133], v1 offset0:49 offset1:50
	ds_read2_b64 v[134:137], v1 offset0:51 offset1:52
	buffer_load_dword v146, off, s[0:3], 0 offset:36
	s_mov_b32 s4, exec_lo
	s_waitcnt vmcnt(45) lgkmcnt(1)
	v_mul_f32_e32 v144, v130, v128
	v_mul_f32_e32 v128, v131, v128
	s_waitcnt vmcnt(44)
	v_mul_f32_e32 v145, v132, v129
	v_mul_f32_e32 v129, v133, v129
	s_waitcnt vmcnt(41)
	v_fmac_f32_e32 v144, v131, v99
	v_fma_f32 v147, v130, v99, -v128
	s_waitcnt vmcnt(40) lgkmcnt(0)
	v_mul_f32_e32 v149, v134, v4
	v_fma_f32 v148, v132, v7, -v129
	ds_read2_b64 v[128:131], v1 offset0:53 offset1:54
	s_waitcnt vmcnt(39)
	v_mul_f32_e32 v150, v136, v5
	v_mul_f32_e32 v4, v135, v4
	v_fmac_f32_e32 v145, v133, v7
	v_mul_f32_e32 v5, v137, v5
	v_fmac_f32_e32 v149, v135, v2
	s_waitcnt vmcnt(35)
	v_fmac_f32_e32 v150, v137, v102
	v_fma_f32 v137, v134, v2, -v4
	ds_read2_b64 v[132:135], v1 offset0:55 offset1:56
	v_fma_f32 v102, v136, v102, -v5
	s_waitcnt vmcnt(34) lgkmcnt(1)
	v_mul_f32_e32 v136, v128, v101
	v_mul_f32_e32 v2, v129, v101
	s_waitcnt vmcnt(33)
	v_mul_f32_e32 v151, v130, v100
	v_mul_f32_e32 v4, v131, v100
	v_fmac_f32_e32 v136, v129, v98
	v_fma_f32 v128, v128, v98, -v2
	v_fmac_f32_e32 v151, v131, v6
	v_fma_f32 v129, v130, v6, -v4
	ds_read2_b64 v[4:7], v1 offset0:57 offset1:58
	s_waitcnt vmcnt(32) lgkmcnt(1)
	v_mul_f32_e32 v130, v132, v8
	v_mul_f32_e32 v2, v133, v8
	s_waitcnt vmcnt(31)
	v_mul_f32_e32 v8, v134, v103
	v_mul_f32_e32 v98, v135, v103
	v_fmac_f32_e32 v130, v133, v3
	v_fma_f32 v103, v132, v3, -v2
	s_waitcnt vmcnt(27)
	v_fmac_f32_e32 v8, v135, v111
	v_fma_f32 v111, v134, v111, -v98
	ds_read2_b64 v[98:101], v1 offset0:59 offset1:60
	buffer_load_dword v135, off, s[0:3], 0 offset:228
	s_waitcnt vmcnt(27) lgkmcnt(1)
	v_mul_f32_e32 v131, v4, v109
	v_mul_f32_e32 v2, v5, v109
	s_waitcnt vmcnt(26)
	v_mul_f32_e32 v109, v6, v108
	v_mul_f32_e32 v3, v7, v108
	v_fmac_f32_e32 v131, v5, v107
	v_fma_f32 v107, v4, v107, -v2
	v_fmac_f32_e32 v109, v7, v105
	v_fma_f32 v6, v6, v105, -v3
	ds_read2_b64 v[2:5], v1 offset0:61 offset1:62
	s_waitcnt vmcnt(25) lgkmcnt(1)
	v_mul_f32_e32 v7, v98, v106
	v_mul_f32_e32 v105, v99, v106
	s_waitcnt vmcnt(24)
	v_mul_f32_e32 v106, v100, v110
	v_mul_f32_e32 v108, v101, v110
	v_fmac_f32_e32 v7, v99, v104
	v_fma_f32 v104, v98, v104, -v105
	s_waitcnt vmcnt(20)
	v_fmac_f32_e32 v106, v101, v119
	v_fma_f32 v105, v100, v119, -v108
	ds_read2_b64 v[98:101], v1 offset0:63 offset1:64
	s_waitcnt vmcnt(19) lgkmcnt(1)
	v_mul_f32_e32 v108, v2, v117
	v_mul_f32_e32 v110, v3, v117
	s_waitcnt vmcnt(18)
	v_mul_f32_e32 v117, v4, v116
	v_mul_f32_e32 v116, v5, v116
	v_fmac_f32_e32 v108, v3, v115
	v_fma_f32 v110, v2, v115, -v110
	v_fmac_f32_e32 v117, v5, v113
	v_fma_f32 v113, v4, v113, -v116
	ds_read2_b64 v[2:5], v1 offset0:65 offset1:66
	s_waitcnt vmcnt(17) lgkmcnt(1)
	v_mul_f32_e32 v115, v98, v114
	v_mul_f32_e32 v114, v99, v114
	s_waitcnt vmcnt(16)
	v_mul_f32_e32 v116, v100, v118
	v_mul_f32_e32 v118, v101, v118
	v_fmac_f32_e32 v115, v99, v112
	v_fma_f32 v112, v98, v112, -v114
	s_waitcnt vmcnt(12)
	v_fmac_f32_e32 v116, v101, v126
	v_fma_f32 v114, v100, v126, -v118
	ds_read2_b64 v[98:101], v1 offset0:67 offset1:68
	s_waitcnt vmcnt(11) lgkmcnt(1)
	v_mul_f32_e32 v118, v2, v125
	v_mul_f32_e32 v119, v3, v125
	s_waitcnt vmcnt(10)
	v_mul_f32_e32 v125, v4, v124
	v_mul_f32_e32 v124, v5, v124
	v_fmac_f32_e32 v118, v3, v123
	v_fma_f32 v119, v2, v123, -v119
	v_fmac_f32_e32 v125, v5, v121
	v_fma_f32 v121, v4, v121, -v124
	ds_read2_b64 v[2:5], v1 offset0:69 offset1:70
	s_waitcnt vmcnt(8) lgkmcnt(1)
	v_mul_f32_e32 v124, v100, v127
	v_mul_f32_e32 v126, v101, v127
	buffer_load_dword v127, off, s[0:3], 0 offset:220
	v_mul_f32_e32 v123, v98, v122
	v_mul_f32_e32 v122, v99, v122
	s_waitcnt vmcnt(5)
	v_fmac_f32_e32 v124, v101, v141
	v_fmac_f32_e32 v123, v99, v120
	v_fma_f32 v120, v98, v120, -v122
	v_fma_f32 v122, v100, v141, -v126
	ds_read2_b64 v[98:101], v1 offset0:71 offset1:72
	s_waitcnt vmcnt(4) lgkmcnt(1)
	v_mul_f32_e32 v126, v2, v142
	v_mul_f32_e32 v132, v3, v142
	s_waitcnt vmcnt(3)
	v_mul_f32_e32 v133, v4, v143
	v_mul_f32_e32 v134, v5, v143
	v_fmac_f32_e32 v126, v3, v140
	v_fma_f32 v132, v2, v140, -v132
	v_fmac_f32_e32 v133, v5, v139
	v_fma_f32 v134, v4, v139, -v134
	s_clause 0x4
	buffer_load_dword v139, off, s[0:3], 0 offset:248
	buffer_load_dword v140, off, s[0:3], 0 offset:240
	;; [unrolled: 1-line block ×5, first 2 shown]
	s_waitcnt vmcnt(6) lgkmcnt(0)
	v_mul_f32_e32 v4, v101, v135
	s_waitcnt vmcnt(5)
	v_mul_f32_e32 v142, v98, v127
	v_mul_f32_e32 v3, v99, v127
	;; [unrolled: 1-line block ×3, first 2 shown]
	v_fmac_f32_e32 v142, v99, v138
	v_fma_f32 v135, v98, v138, -v3
	buffer_load_dword v138, off, s[0:3], 0 offset:236
	v_add_f32_e32 v3, 0, v147
	v_add_f32_e32 v3, v3, v148
	;; [unrolled: 1-line block ×4, first 2 shown]
	s_waitcnt vmcnt(2)
	v_fmac_f32_e32 v127, v101, v2
	v_fma_f32 v143, v100, v2, -v4
	v_add_f32_e32 v2, 0, v144
	buffer_load_dword v144, off, s[0:3], 0 offset:252
	v_add_f32_e32 v3, v3, v128
	v_add_f32_e32 v2, v2, v145
	buffer_load_dword v145, off, s[0:3], 0 offset:260
	v_add_f32_e32 v3, v3, v129
	v_add_f32_e32 v2, v2, v149
	s_clause 0x3
	buffer_load_dword v147, off, s[0:3], 0 offset:280
	buffer_load_dword v148, off, s[0:3], 0 offset:272
	;; [unrolled: 1-line block ×4, first 2 shown]
	v_add_f32_e32 v3, v3, v103
	v_add_f32_e32 v2, v2, v150
	s_clause 0x1
	buffer_load_dword v137, off, s[0:3], 0 offset:268
	buffer_load_dword v150, off, s[0:3], 0 offset:276
	v_add_f32_e32 v3, v3, v111
	v_add_f32_e32 v2, v2, v136
	buffer_load_dword v136, off, s[0:3], 0 offset:284
	v_add_f32_e32 v3, v3, v107
	v_add_f32_e32 v2, v2, v151
	s_clause 0x3
	buffer_load_dword v128, off, s[0:3], 0 offset:292
	buffer_load_dword v151, off, s[0:3], 0 offset:300
	;; [unrolled: 1-line block ×4, first 2 shown]
	v_add_f32_e32 v3, v3, v6
	v_add_f32_e32 v2, v2, v130
	s_clause 0x1
	buffer_load_dword v129, off, s[0:3], 0 offset:324
	buffer_load_dword v130, off, s[0:3], 0 offset:332
	v_add_f32_e32 v3, v3, v104
	v_add_f32_e32 v2, v2, v8
	s_clause 0x1
	buffer_load_dword v8, off, s[0:3], 0 offset:340
	buffer_load_dword v156, off, s[0:3], 0 offset:348
	;; [unrolled: 5-line block ×3, first 2 shown]
	buffer_load_dword v158, off, s[0:3], 0 offset:296
	buffer_load_dword v159, off, s[0:3], 0 offset:288
	;; [unrolled: 1-line block ×7, first 2 shown]
	v_add_f32_e32 v3, v3, v110
	v_add_f32_e32 v2, v2, v109
	ds_read2_b64 v[98:101], v1 offset0:75 offset1:76
	v_add_f32_e32 v2, v2, v7
	v_add_f32_e32 v7, v3, v113
	;; [unrolled: 1-line block ×7, first 2 shown]
	ds_read2_b64 v[2:5], v1 offset0:73 offset1:74
	v_add_f32_e32 v7, v7, v119
	v_add_f32_e32 v6, v6, v115
	;; [unrolled: 1-line block ×6, first 2 shown]
	s_waitcnt vmcnt(27) lgkmcnt(0)
	v_mul_f32_e32 v115, v4, v152
	v_mul_f32_e32 v103, v5, v152
	v_add_f32_e32 v6, v6, v123
	v_fmac_f32_e32 v115, v5, v140
	v_fma_f32 v117, v4, v140, -v103
	v_add_f32_e32 v6, v6, v124
	v_add_f32_e32 v6, v6, v126
	;; [unrolled: 1-line block ×3, first 2 shown]
	s_waitcnt vmcnt(26)
	v_mul_f32_e32 v114, v2, v138
	v_mul_f32_e32 v102, v3, v138
	v_fmac_f32_e32 v114, v3, v141
	v_add_f32_e32 v3, v7, v120
	v_fma_f32 v116, v2, v141, -v102
	v_add_f32_e32 v7, v3, v122
	ds_read2_b64 v[2:5], v1 offset0:77 offset1:78
	ds_read2_b64 v[102:105], v1 offset0:79 offset1:80
	v_add_f32_e32 v122, v6, v142
	ds_read2_b64 v[106:109], v1 offset0:81 offset1:82
	v_add_f32_e32 v7, v7, v132
	v_add_f32_e32 v122, v122, v127
	;; [unrolled: 1-line block ×3, first 2 shown]
	s_waitcnt vmcnt(25)
	v_mul_f32_e32 v110, v99, v144
	v_mul_f32_e32 v118, v98, v144
	v_add_f32_e32 v114, v122, v114
	v_add_f32_e32 v7, v7, v135
	s_waitcnt vmcnt(24)
	v_mul_f32_e32 v120, v101, v145
	v_fma_f32 v121, v98, v139, -v110
	v_mul_f32_e32 v119, v100, v145
	v_fmac_f32_e32 v118, v99, v139
	v_add_f32_e32 v123, v7, v143
	v_add_f32_e32 v114, v114, v115
	s_waitcnt vmcnt(20)
	v_fma_f32 v120, v100, v153, -v120
	v_fmac_f32_e32 v119, v101, v153
	ds_read2_b64 v[110:113], v1 offset0:83 offset1:84
	v_add_f32_e32 v116, v123, v116
	s_waitcnt vmcnt(19) lgkmcnt(3)
	v_mul_f32_e32 v123, v3, v137
	v_mul_f32_e32 v124, v2, v137
	v_add_f32_e32 v114, v114, v118
	s_waitcnt vmcnt(18)
	v_mul_f32_e32 v126, v5, v150
	v_add_f32_e32 v116, v116, v117
	v_fma_f32 v2, v2, v149, -v123
	v_mul_f32_e32 v125, v4, v150
	v_fmac_f32_e32 v124, v3, v149
	v_add_f32_e32 v114, v114, v119
	v_add_f32_e32 v116, v116, v121
	s_waitcnt vmcnt(17) lgkmcnt(2)
	v_mul_f32_e32 v123, v103, v136
	v_fma_f32 v4, v4, v148, -v126
	v_mul_f32_e32 v122, v102, v136
	v_fmac_f32_e32 v125, v5, v148
	v_add_f32_e32 v116, v116, v120
	v_add_f32_e32 v5, v114, v124
	s_waitcnt vmcnt(16)
	v_mul_f32_e32 v114, v105, v128
	v_fma_f32 v102, v102, v147, -v123
	v_mul_f32_e32 v117, v104, v128
	v_add_f32_e32 v2, v116, v2
	v_fmac_f32_e32 v122, v103, v147
	ds_read2_b64 v[98:101], v1 offset0:85 offset1:86
	ds_read_b64 v[6:7], v1 offset:696
	s_waitcnt vmcnt(15) lgkmcnt(3)
	v_mul_f32_e32 v127, v106, v151
	s_waitcnt vmcnt(14)
	v_mul_f32_e32 v115, v108, v154
	v_add_f32_e32 v2, v2, v4
	v_add_f32_e32 v4, v5, v125
	v_mul_f32_e32 v5, v107, v151
	s_waitcnt vmcnt(5)
	v_fma_f32 v103, v104, v159, -v114
	v_fmac_f32_e32 v117, v105, v159
	v_add_f32_e32 v2, v2, v102
	v_add_f32_e32 v4, v4, v122
	v_mul_f32_e32 v102, v109, v154
	v_fma_f32 v5, v106, v158, -v5
	v_fmac_f32_e32 v127, v107, v158
	v_add_f32_e32 v2, v2, v103
	v_add_f32_e32 v4, v4, v117
	s_waitcnt lgkmcnt(2)
	v_mul_f32_e32 v103, v111, v155
	v_fma_f32 v102, v108, v157, -v102
	v_mul_f32_e32 v121, v110, v155
	v_add_f32_e32 v2, v2, v5
	v_fmac_f32_e32 v115, v109, v157
	v_add_f32_e32 v4, v4, v127
	v_mul_f32_e32 v5, v113, v129
	v_fma_f32 v103, v110, v131, -v103
	v_add_f32_e32 v2, v2, v102
	v_mul_f32_e32 v3, v112, v129
	v_fmac_f32_e32 v121, v111, v131
	v_add_f32_e32 v4, v4, v115
	s_waitcnt lgkmcnt(1)
	v_mul_f32_e32 v102, v99, v130
	s_waitcnt vmcnt(1)
	v_fma_f32 v5, v112, v163, -v5
	v_add_f32_e32 v2, v2, v103
	v_mul_f32_e32 v118, v98, v130
	v_fmac_f32_e32 v3, v113, v163
	v_add_f32_e32 v4, v4, v121
	v_mul_f32_e32 v120, v100, v8
	v_mul_f32_e32 v8, v101, v8
	v_fma_f32 v98, v98, v162, -v102
	v_add_f32_e32 v2, v2, v5
	v_fmac_f32_e32 v118, v99, v162
	v_add_f32_e32 v3, v4, v3
	s_waitcnt lgkmcnt(0)
	v_mul_f32_e32 v4, v7, v156
	v_fma_f32 v5, v100, v161, -v8
	v_add_f32_e32 v2, v2, v98
	v_mul_f32_e32 v119, v6, v156
	v_fmac_f32_e32 v120, v101, v161
	v_add_f32_e32 v3, v3, v118
	v_fma_f32 v4, v6, v160, -v4
	v_add_f32_e32 v2, v2, v5
	v_fmac_f32_e32 v119, v7, v160
	v_add_f32_e32 v3, v3, v120
	v_add_f32_e32 v2, v2, v4
	v_add_f32_e32 v3, v3, v119
	s_waitcnt vmcnt(0)
	v_sub_f32_e32 v2, v164, v2
	v_sub_f32_e32 v3, v146, v3
	buffer_store_dword v2, off, s[0:3], 0 offset:32
	buffer_store_dword v3, off, s[0:3], 0 offset:36
	v_cmpx_lt_u32_e32 3, v0
	s_cbranch_execz .LBB107_271
; %bb.270:
	s_clause 0x1
	buffer_load_dword v2, off, s[0:3], 0 offset:24
	buffer_load_dword v3, off, s[0:3], 0 offset:28
	buffer_store_dword v1, off, s[0:3], 0 offset:24
	buffer_store_dword v1, off, s[0:3], 0 offset:28
	s_waitcnt vmcnt(0)
	ds_write_b64 v97, v[2:3]
.LBB107_271:
	s_or_b32 exec_lo, exec_lo, s4
	s_waitcnt lgkmcnt(0)
	s_waitcnt_vscnt null, 0x0
	s_barrier
	buffer_gl0_inv
	s_clause 0x2c
	buffer_load_dword v128, off, s[0:3], 0 offset:36
	buffer_load_dword v129, off, s[0:3], 0 offset:44
	;; [unrolled: 1-line block ×45, first 2 shown]
	ds_read_b128 v[130:133], v1 offset:384
	ds_read_b128 v[134:137], v1 offset:400
	buffer_load_dword v146, off, s[0:3], 0 offset:28
	s_mov_b32 s4, exec_lo
	s_waitcnt vmcnt(45) lgkmcnt(1)
	v_mul_f32_e32 v144, v130, v128
	v_mul_f32_e32 v128, v131, v128
	s_waitcnt vmcnt(44)
	v_mul_f32_e32 v145, v132, v129
	v_mul_f32_e32 v129, v133, v129
	s_waitcnt vmcnt(41)
	v_fmac_f32_e32 v144, v131, v99
	v_fma_f32 v147, v130, v99, -v128
	s_waitcnt vmcnt(40) lgkmcnt(0)
	v_mul_f32_e32 v149, v134, v4
	v_fma_f32 v148, v132, v7, -v129
	ds_read_b128 v[128:131], v1 offset:416
	s_waitcnt vmcnt(39)
	v_mul_f32_e32 v150, v136, v5
	v_mul_f32_e32 v4, v135, v4
	;; [unrolled: 1-line block ×3, first 2 shown]
	v_fmac_f32_e32 v145, v133, v7
	v_fmac_f32_e32 v149, v135, v2
	s_waitcnt vmcnt(35)
	v_fmac_f32_e32 v150, v137, v102
	v_fma_f32 v137, v134, v2, -v4
	v_fma_f32 v102, v136, v102, -v5
	ds_read_b128 v[132:135], v1 offset:432
	s_waitcnt vmcnt(34) lgkmcnt(1)
	v_mul_f32_e32 v136, v128, v101
	s_waitcnt vmcnt(33)
	v_mul_f32_e32 v151, v130, v100
	v_mul_f32_e32 v4, v131, v100
	;; [unrolled: 1-line block ×3, first 2 shown]
	v_fmac_f32_e32 v136, v129, v98
	v_fmac_f32_e32 v151, v131, v6
	v_fma_f32 v129, v130, v6, -v4
	ds_read_b128 v[4:7], v1 offset:448
	v_fma_f32 v128, v128, v98, -v2
	s_waitcnt vmcnt(32) lgkmcnt(1)
	v_mul_f32_e32 v130, v132, v8
	v_mul_f32_e32 v2, v133, v8
	s_waitcnt vmcnt(31)
	v_mul_f32_e32 v8, v134, v103
	v_mul_f32_e32 v98, v135, v103
	v_fmac_f32_e32 v130, v133, v3
	v_fma_f32 v103, v132, v3, -v2
	s_waitcnt vmcnt(27)
	v_fmac_f32_e32 v8, v135, v111
	v_fma_f32 v111, v134, v111, -v98
	ds_read_b128 v[98:101], v1 offset:464
	buffer_load_dword v135, off, s[0:3], 0 offset:220
	s_waitcnt vmcnt(27) lgkmcnt(1)
	v_mul_f32_e32 v131, v4, v109
	v_mul_f32_e32 v2, v5, v109
	s_waitcnt vmcnt(26)
	v_mul_f32_e32 v3, v7, v108
	v_mul_f32_e32 v109, v6, v108
	v_fmac_f32_e32 v131, v5, v107
	v_fma_f32 v107, v4, v107, -v2
	v_fma_f32 v6, v6, v105, -v3
	ds_read_b128 v[2:5], v1 offset:480
	v_fmac_f32_e32 v109, v7, v105
	s_waitcnt vmcnt(25) lgkmcnt(1)
	v_mul_f32_e32 v7, v98, v106
	v_mul_f32_e32 v105, v99, v106
	s_waitcnt vmcnt(24)
	v_mul_f32_e32 v106, v100, v110
	v_mul_f32_e32 v108, v101, v110
	v_fmac_f32_e32 v7, v99, v104
	v_fma_f32 v104, v98, v104, -v105
	s_waitcnt vmcnt(20)
	v_fmac_f32_e32 v106, v101, v119
	v_fma_f32 v105, v100, v119, -v108
	ds_read_b128 v[98:101], v1 offset:496
	s_waitcnt vmcnt(19) lgkmcnt(1)
	v_mul_f32_e32 v108, v2, v117
	v_mul_f32_e32 v110, v3, v117
	s_waitcnt vmcnt(18)
	v_mul_f32_e32 v117, v4, v116
	v_mul_f32_e32 v116, v5, v116
	v_fmac_f32_e32 v108, v3, v115
	v_fma_f32 v110, v2, v115, -v110
	v_fmac_f32_e32 v117, v5, v113
	v_fma_f32 v113, v4, v113, -v116
	ds_read_b128 v[2:5], v1 offset:512
	s_waitcnt vmcnt(17) lgkmcnt(1)
	v_mul_f32_e32 v115, v98, v114
	v_mul_f32_e32 v114, v99, v114
	s_waitcnt vmcnt(16)
	v_mul_f32_e32 v116, v100, v118
	v_mul_f32_e32 v118, v101, v118
	v_fmac_f32_e32 v115, v99, v112
	v_fma_f32 v112, v98, v112, -v114
	s_waitcnt vmcnt(12)
	v_fmac_f32_e32 v116, v101, v127
	v_fma_f32 v114, v100, v127, -v118
	ds_read_b128 v[98:101], v1 offset:528
	buffer_load_dword v127, off, s[0:3], 0 offset:212
	s_waitcnt vmcnt(12) lgkmcnt(1)
	v_mul_f32_e32 v118, v2, v125
	v_mul_f32_e32 v119, v3, v125
	s_waitcnt vmcnt(11)
	v_mul_f32_e32 v125, v4, v124
	v_mul_f32_e32 v124, v5, v124
	v_fmac_f32_e32 v118, v3, v123
	v_fma_f32 v119, v2, v123, -v119
	v_fmac_f32_e32 v125, v5, v121
	v_fma_f32 v121, v4, v121, -v124
	ds_read_b128 v[2:5], v1 offset:544
	s_waitcnt vmcnt(10) lgkmcnt(1)
	v_mul_f32_e32 v123, v98, v122
	v_mul_f32_e32 v122, v99, v122
	s_waitcnt vmcnt(9)
	v_mul_f32_e32 v124, v100, v126
	v_mul_f32_e32 v126, v101, v126
	v_fmac_f32_e32 v123, v99, v120
	v_fma_f32 v120, v98, v120, -v122
	s_waitcnt vmcnt(5)
	v_fmac_f32_e32 v124, v101, v141
	v_fma_f32 v122, v100, v141, -v126
	ds_read_b128 v[98:101], v1 offset:560
	s_waitcnt vmcnt(4) lgkmcnt(1)
	v_mul_f32_e32 v126, v2, v142
	v_mul_f32_e32 v132, v3, v142
	s_waitcnt vmcnt(3)
	v_mul_f32_e32 v133, v4, v143
	v_mul_f32_e32 v134, v5, v143
	v_fmac_f32_e32 v126, v3, v140
	v_fma_f32 v132, v2, v140, -v132
	v_fmac_f32_e32 v133, v5, v139
	v_fma_f32 v134, v4, v139, -v134
	s_clause 0x5
	buffer_load_dword v139, off, s[0:3], 0 offset:240
	buffer_load_dword v140, off, s[0:3], 0 offset:232
	;; [unrolled: 1-line block ×6, first 2 shown]
	v_add_f32_e32 v3, 0, v144
	buffer_load_dword v144, off, s[0:3], 0 offset:244
	v_add_f32_e32 v4, 0, v147
	v_add_f32_e32 v3, v3, v145
	;; [unrolled: 1-line block ×11, first 2 shown]
	s_waitcnt vmcnt(8) lgkmcnt(0)
	v_mul_f32_e32 v128, v100, v135
	s_waitcnt vmcnt(7)
	v_mul_f32_e32 v145, v98, v127
	v_mul_f32_e32 v5, v99, v127
	buffer_load_dword v127, off, s[0:3], 0 offset:252
	v_fmac_f32_e32 v145, v99, v138
	v_fma_f32 v137, v98, v138, -v5
	s_clause 0x6
	buffer_load_dword v138, off, s[0:3], 0 offset:272
	buffer_load_dword v147, off, s[0:3], 0 offset:264
	;; [unrolled: 1-line block ×7, first 2 shown]
	v_mul_f32_e32 v5, v101, v135
	buffer_load_dword v135, off, s[0:3], 0 offset:268
	s_waitcnt vmcnt(12)
	v_fmac_f32_e32 v128, v101, v2
	v_fma_f32 v150, v100, v2, -v5
	v_add_f32_e32 v2, v3, v130
	v_add_f32_e32 v3, v4, v103
	s_clause 0x2
	buffer_load_dword v130, off, s[0:3], 0 offset:292
	buffer_load_dword v152, off, s[0:3], 0 offset:300
	;; [unrolled: 1-line block ×3, first 2 shown]
	v_add_f32_e32 v2, v2, v8
	v_add_f32_e32 v3, v3, v111
	s_clause 0x3
	buffer_load_dword v8, off, s[0:3], 0 offset:316
	buffer_load_dword v154, off, s[0:3], 0 offset:324
	;; [unrolled: 1-line block ×4, first 2 shown]
	v_add_f32_e32 v2, v2, v131
	v_add_f32_e32 v3, v3, v107
	buffer_load_dword v131, off, s[0:3], 0 offset:348
	v_add_f32_e32 v2, v2, v109
	v_add_f32_e32 v3, v3, v6
	s_clause 0x3
	buffer_load_dword v6, off, s[0:3], 0 offset:304
	buffer_load_dword v157, off, s[0:3], 0 offset:296
	;; [unrolled: 1-line block ×4, first 2 shown]
	v_add_f32_e32 v2, v2, v7
	s_clause 0x5
	buffer_load_dword v7, off, s[0:3], 0 offset:336
	buffer_load_dword v160, off, s[0:3], 0 offset:328
	;; [unrolled: 1-line block ×6, first 2 shown]
	v_add_f32_e32 v3, v3, v104
	v_add_f32_e32 v2, v2, v106
	;; [unrolled: 1-line block ×9, first 2 shown]
	ds_read_b128 v[2:5], v1 offset:576
	v_add_f32_e32 v98, v98, v116
	v_add_f32_e32 v99, v99, v114
	;; [unrolled: 1-line block ×4, first 2 shown]
	ds_read_b128 v[98:101], v1 offset:592
	v_add_f32_e32 v102, v102, v125
	v_add_f32_e32 v103, v103, v121
	;; [unrolled: 1-line block ×4, first 2 shown]
	s_waitcnt vmcnt(29) lgkmcnt(1)
	v_mul_f32_e32 v114, v2, v142
	v_mul_f32_e32 v104, v3, v142
	s_waitcnt vmcnt(28)
	v_mul_f32_e32 v118, v4, v143
	v_mul_f32_e32 v105, v5, v143
	v_add_f32_e32 v107, v102, v124
	v_fmac_f32_e32 v114, v3, v141
	v_fma_f32 v119, v2, v141, -v104
	v_fmac_f32_e32 v118, v5, v140
	v_fma_f32 v121, v4, v140, -v105
	ds_read_b128 v[2:5], v1 offset:608
	ds_read_b128 v[102:105], v1 offset:624
	v_add_f32_e32 v106, v106, v122
	s_waitcnt vmcnt(27) lgkmcnt(2)
	v_mul_f32_e32 v120, v98, v144
	v_add_f32_e32 v107, v107, v126
	v_mul_f32_e32 v108, v99, v144
	v_add_f32_e32 v106, v106, v132
	v_fmac_f32_e32 v120, v99, v139
	v_add_f32_e32 v99, v107, v133
	v_fma_f32 v123, v98, v139, -v108
	v_add_f32_e32 v110, v106, v134
	v_add_f32_e32 v111, v99, v145
	v_add_f32_e32 v115, v110, v137
	v_add_f32_e32 v117, v111, v128
	v_add_f32_e32 v126, v115, v150
	s_waitcnt vmcnt(26)
	v_mul_f32_e32 v122, v100, v127
	v_mul_f32_e32 v109, v101, v127
	s_waitcnt vmcnt(22)
	v_fmac_f32_e32 v122, v101, v149
	s_waitcnt vmcnt(21) lgkmcnt(1)
	v_mul_f32_e32 v125, v2, v136
	v_mul_f32_e32 v116, v3, v136
	v_fma_f32 v124, v100, v149, -v109
	ds_read_b128 v[98:101], v1 offset:640
	ds_read_b128 v[106:109], v1 offset:656
	ds_read_b128 v[110:113], v1 offset:672
	v_fmac_f32_e32 v125, v3, v148
	v_fma_f32 v2, v2, v148, -v116
	v_add_f32_e32 v3, v117, v114
	ds_read_b128 v[114:117], v1 offset:688
	v_add_f32_e32 v1, v126, v119
	s_waitcnt vmcnt(18)
	v_mul_f32_e32 v126, v5, v135
	v_mul_f32_e32 v119, v4, v135
	v_add_f32_e32 v3, v3, v118
	s_waitcnt lgkmcnt(4)
	v_mul_f32_e32 v127, v103, v129
	v_add_f32_e32 v1, v1, v121
	v_fma_f32 v4, v4, v147, -v126
	v_mul_f32_e32 v118, v102, v129
	v_add_f32_e32 v3, v3, v120
	v_fmac_f32_e32 v119, v5, v147
	v_add_f32_e32 v1, v1, v123
	v_fma_f32 v102, v102, v138, -v127
	v_mul_f32_e32 v121, v104, v151
	v_add_f32_e32 v3, v3, v122
	v_mul_f32_e32 v122, v105, v151
	v_add_f32_e32 v1, v1, v124
	v_fmac_f32_e32 v118, v103, v138
	v_add_f32_e32 v1, v1, v2
	v_add_f32_e32 v2, v3, v125
	;; [unrolled: 1-line block ×4, first 2 shown]
	s_waitcnt vmcnt(17) lgkmcnt(3)
	v_mul_f32_e32 v4, v99, v130
	v_mul_f32_e32 v5, v98, v130
	v_add_f32_e32 v1, v1, v102
	v_add_f32_e32 v2, v2, v118
	s_waitcnt vmcnt(16)
	v_mul_f32_e32 v102, v101, v152
	v_mul_f32_e32 v126, v100, v152
	s_waitcnt vmcnt(15) lgkmcnt(2)
	v_mul_f32_e32 v120, v106, v153
	s_waitcnt vmcnt(14)
	v_mul_f32_e32 v123, v108, v8
	s_waitcnt vmcnt(13) lgkmcnt(1)
	v_mul_f32_e32 v128, v110, v154
	s_waitcnt vmcnt(12)
	;; [unrolled: 4-line block ×3, first 2 shown]
	v_mul_f32_e32 v3, v116, v131
	s_waitcnt vmcnt(9)
	v_fmac_f32_e32 v120, v107, v6
	s_waitcnt vmcnt(8)
	v_fmac_f32_e32 v126, v101, v157
	s_waitcnt vmcnt(7)
	v_fma_f32 v4, v98, v158, -v4
	s_waitcnt vmcnt(6)
	v_fma_f32 v103, v104, v159, -v122
	v_fmac_f32_e32 v121, v105, v159
	v_fmac_f32_e32 v5, v99, v158
	v_mul_f32_e32 v98, v107, v153
	v_fma_f32 v99, v100, v157, -v102
	v_add_f32_e32 v1, v1, v103
	v_add_f32_e32 v2, v2, v121
	s_waitcnt vmcnt(2)
	v_fmac_f32_e32 v123, v109, v162
	v_fmac_f32_e32 v128, v111, v161
	;; [unrolled: 1-line block ×3, first 2 shown]
	v_add_f32_e32 v1, v1, v4
	v_add_f32_e32 v2, v2, v5
	v_mul_f32_e32 v4, v109, v8
	v_fma_f32 v5, v106, v6, -v98
	v_mul_f32_e32 v6, v111, v154
	v_add_f32_e32 v1, v1, v99
	v_add_f32_e32 v2, v2, v126
	v_fma_f32 v4, v108, v162, -v4
	v_fmac_f32_e32 v129, v115, v7
	v_fma_f32 v6, v110, v161, -v6
	v_add_f32_e32 v1, v1, v5
	v_add_f32_e32 v2, v2, v120
	v_mul_f32_e32 v5, v113, v155
	s_waitcnt vmcnt(1)
	v_fmac_f32_e32 v3, v117, v163
	v_add_f32_e32 v1, v1, v4
	v_add_f32_e32 v2, v2, v123
	v_mul_f32_e32 v4, v115, v156
	v_fma_f32 v5, v112, v160, -v5
	v_add_f32_e32 v1, v1, v6
	v_add_f32_e32 v2, v2, v128
	v_mul_f32_e32 v6, v117, v131
	v_fma_f32 v4, v114, v7, -v4
	v_add_f32_e32 v1, v1, v5
	v_add_f32_e32 v2, v2, v124
	v_fma_f32 v5, v116, v163, -v6
	v_add_f32_e32 v1, v1, v4
	v_add_f32_e32 v2, v2, v129
	;; [unrolled: 1-line block ×4, first 2 shown]
	s_waitcnt vmcnt(0)
	v_sub_f32_e32 v1, v164, v1
	v_sub_f32_e32 v2, v146, v2
	buffer_store_dword v1, off, s[0:3], 0 offset:24
	buffer_store_dword v2, off, s[0:3], 0 offset:28
	v_cmpx_lt_u32_e32 2, v0
	s_cbranch_execz .LBB107_273
; %bb.272:
	s_clause 0x1
	buffer_load_dword v1, off, s[0:3], 0 offset:16
	buffer_load_dword v2, off, s[0:3], 0 offset:20
	v_mov_b32_e32 v3, 0
	buffer_store_dword v3, off, s[0:3], 0 offset:16
	buffer_store_dword v3, off, s[0:3], 0 offset:20
	s_waitcnt vmcnt(0)
	ds_write_b64 v97, v[1:2]
.LBB107_273:
	s_or_b32 exec_lo, exec_lo, s4
	s_waitcnt lgkmcnt(0)
	s_waitcnt_vscnt null, 0x0
	s_barrier
	buffer_gl0_inv
	s_clause 0x24
	buffer_load_dword v2, off, s[0:3], 0 offset:28
	buffer_load_dword v3, off, s[0:3], 0 offset:36
	;; [unrolled: 1-line block ×37, first 2 shown]
	v_mov_b32_e32 v1, 0
	ds_read2_b64 v[106:109], v1 offset0:47 offset1:48
	ds_read2_b64 v[110:113], v1 offset0:49 offset1:50
	;; [unrolled: 1-line block ×3, first 2 shown]
	s_clause 0x1
	buffer_load_dword v144, off, s[0:3], 0 offset:172
	buffer_load_dword v145, off, s[0:3], 0 offset:20
	ds_read2_b64 v[118:121], v1 offset0:53 offset1:54
	s_mov_b32 s4, exec_lo
	s_waitcnt vmcnt(38) lgkmcnt(3)
	v_mul_f32_e32 v146, v107, v2
	v_mul_f32_e32 v2, v106, v2
	s_waitcnt vmcnt(37)
	v_mul_f32_e32 v147, v108, v3
	v_mul_f32_e32 v3, v109, v3
	s_waitcnt vmcnt(34)
	v_fma_f32 v146, v106, v124, -v146
	v_fmac_f32_e32 v2, v107, v124
	v_fmac_f32_e32 v147, v109, v123
	v_fma_f32 v3, v108, v123, -v3
	ds_read2_b64 v[106:109], v1 offset0:55 offset1:56
	s_waitcnt vmcnt(33) lgkmcnt(3)
	v_mul_f32_e32 v123, v110, v125
	v_mul_f32_e32 v124, v111, v125
	s_waitcnt vmcnt(32)
	v_mul_f32_e32 v125, v112, v126
	v_mul_f32_e32 v126, v113, v126
	s_waitcnt vmcnt(31) lgkmcnt(2)
	v_mul_f32_e32 v148, v114, v127
	v_fmac_f32_e32 v123, v111, v122
	v_fma_f32 v122, v110, v122, -v124
	s_waitcnt vmcnt(26)
	v_fmac_f32_e32 v125, v113, v132
	v_fma_f32 v126, v112, v132, -v126
	ds_read2_b64 v[110:113], v1 offset0:57 offset1:58
	v_mul_f32_e32 v127, v115, v127
	v_mul_f32_e32 v124, v116, v128
	;; [unrolled: 1-line block ×3, first 2 shown]
	v_fmac_f32_e32 v148, v115, v131
	s_waitcnt vmcnt(24) lgkmcnt(2)
	v_mul_f32_e32 v132, v120, v134
	v_fma_f32 v127, v114, v131, -v127
	v_fmac_f32_e32 v124, v117, v130
	v_fma_f32 v128, v116, v130, -v128
	v_mul_f32_e32 v130, v118, v133
	v_mul_f32_e32 v131, v119, v133
	v_mul_f32_e32 v133, v121, v134
	ds_read2_b64 v[114:117], v1 offset0:59 offset1:60
	s_waitcnt vmcnt(19)
	v_fmac_f32_e32 v132, v121, v137
	v_fmac_f32_e32 v130, v119, v129
	v_fma_f32 v118, v118, v129, -v131
	v_fma_f32 v119, v120, v137, -v133
	s_clause 0x4
	buffer_load_dword v120, off, s[0:3], 0 offset:180
	buffer_load_dword v121, off, s[0:3], 0 offset:200
	buffer_load_dword v129, off, s[0:3], 0 offset:192
	buffer_load_dword v131, off, s[0:3], 0 offset:184
	buffer_load_dword v133, off, s[0:3], 0 offset:176
	s_waitcnt lgkmcnt(2)
	v_mul_f32_e32 v134, v106, v135
	v_mul_f32_e32 v135, v107, v135
	s_waitcnt vmcnt(23)
	v_mul_f32_e32 v137, v108, v138
	v_mul_f32_e32 v138, v109, v138
	s_waitcnt vmcnt(21) lgkmcnt(1)
	v_mul_f32_e32 v149, v112, v140
	v_fmac_f32_e32 v134, v107, v136
	v_fma_f32 v135, v106, v136, -v135
	v_mul_f32_e32 v136, v110, v139
	v_mul_f32_e32 v106, v111, v139
	buffer_load_dword v139, off, s[0:3], 0 offset:188
	v_fmac_f32_e32 v137, v109, v103
	v_fma_f32 v138, v108, v103, -v138
	v_mul_f32_e32 v103, v113, v140
	v_fmac_f32_e32 v136, v111, v8
	v_fma_f32 v8, v110, v8, -v106
	ds_read2_b64 v[106:109], v1 offset0:61 offset1:62
	s_waitcnt vmcnt(18)
	v_fmac_f32_e32 v149, v113, v141
	v_fma_f32 v140, v112, v141, -v103
	ds_read2_b64 v[110:113], v1 offset0:63 offset1:64
	s_waitcnt vmcnt(17) lgkmcnt(2)
	v_mul_f32_e32 v141, v114, v142
	v_mul_f32_e32 v103, v115, v142
	s_waitcnt vmcnt(16)
	v_mul_f32_e32 v142, v116, v143
	v_mul_f32_e32 v143, v117, v143
	v_add_f32_e32 v2, 0, v2
	v_fmac_f32_e32 v141, v115, v104
	v_fma_f32 v114, v114, v104, -v103
	v_fmac_f32_e32 v142, v117, v98
	v_fma_f32 v115, v116, v98, -v143
	s_clause 0x2
	buffer_load_dword v116, off, s[0:3], 0 offset:196
	buffer_load_dword v117, off, s[0:3], 0 offset:204
	;; [unrolled: 1-line block ×3, first 2 shown]
	s_waitcnt vmcnt(18) lgkmcnt(1)
	v_mul_f32_e32 v143, v106, v100
	v_mul_f32_e32 v98, v107, v100
	s_waitcnt vmcnt(17)
	v_mul_f32_e32 v150, v108, v99
	v_mul_f32_e32 v99, v109, v99
	v_fmac_f32_e32 v143, v107, v5
	v_fma_f32 v107, v106, v5, -v98
	s_waitcnt vmcnt(13)
	v_fmac_f32_e32 v150, v109, v105
	s_waitcnt vmcnt(12) lgkmcnt(0)
	v_mul_f32_e32 v109, v110, v102
	v_mul_f32_e32 v5, v111, v102
	s_waitcnt vmcnt(11)
	v_mul_f32_e32 v102, v112, v101
	v_mul_f32_e32 v98, v113, v101
	v_fma_f32 v108, v108, v105, -v99
	ds_read2_b64 v[103:106], v1 offset0:65 offset1:66
	v_fmac_f32_e32 v109, v111, v7
	v_fma_f32 v7, v110, v7, -v5
	v_fmac_f32_e32 v102, v113, v6
	v_fma_f32 v6, v112, v6, -v98
	s_clause 0x4
	buffer_load_dword v110, off, s[0:3], 0 offset:232
	buffer_load_dword v111, off, s[0:3], 0 offset:224
	;; [unrolled: 1-line block ×5, first 2 shown]
	v_add_f32_e32 v5, 0, v146
	v_add_f32_e32 v3, v5, v3
	;; [unrolled: 1-line block ×3, first 2 shown]
	s_waitcnt vmcnt(15) lgkmcnt(0)
	v_mul_f32_e32 v146, v103, v144
	v_mul_f32_e32 v98, v104, v144
	v_add_f32_e32 v99, v99, v126
	v_fmac_f32_e32 v146, v104, v4
	buffer_load_dword v104, off, s[0:3], 0 offset:228
	v_fma_f32 v103, v103, v4, -v98
	v_add_f32_e32 v98, v2, v147
	ds_read2_b64 v[2:5], v1 offset0:67 offset1:68
	v_add_f32_e32 v99, v99, v127
	v_add_f32_e32 v98, v98, v123
	buffer_load_dword v123, off, s[0:3], 0 offset:244
	v_add_f32_e32 v98, v98, v125
	v_add_f32_e32 v125, v99, v128
	;; [unrolled: 1-line block ×3, first 2 shown]
	s_waitcnt vmcnt(15)
	v_mul_f32_e32 v122, v105, v120
	v_mul_f32_e32 v100, v106, v120
	buffer_load_dword v120, off, s[0:3], 0 offset:236
	s_waitcnt vmcnt(12)
	v_fmac_f32_e32 v122, v106, v133
	v_add_f32_e32 v106, v98, v148
	v_fma_f32 v105, v105, v133, -v100
	ds_read2_b64 v[98:101], v1 offset0:69 offset1:70
	v_add_f32_e32 v106, v106, v124
	s_clause 0x3
	buffer_load_dword v124, off, s[0:3], 0 offset:264
	buffer_load_dword v125, off, s[0:3], 0 offset:256
	buffer_load_dword v128, off, s[0:3], 0 offset:248
	buffer_load_dword v133, off, s[0:3], 0 offset:240
	s_waitcnt vmcnt(15) lgkmcnt(1)
	v_mul_f32_e32 v126, v2, v139
	v_mul_f32_e32 v127, v3, v139
	v_fmac_f32_e32 v126, v3, v131
	v_fma_f32 v127, v2, v131, -v127
	v_add_f32_e32 v2, v106, v130
	s_clause 0x1
	buffer_load_dword v130, off, s[0:3], 0 offset:252
	buffer_load_dword v131, off, s[0:3], 0 offset:260
	v_add_f32_e32 v3, v118, v119
	buffer_load_dword v118, off, s[0:3], 0 offset:268
	v_add_f32_e32 v2, v2, v132
	v_add_f32_e32 v3, v3, v135
	;; [unrolled: 1-line block ×3, first 2 shown]
	s_waitcnt vmcnt(17)
	v_mul_f32_e32 v106, v4, v116
	v_add_f32_e32 v138, v3, v138
	v_mul_f32_e32 v116, v5, v116
	v_add_f32_e32 v119, v119, v137
	s_waitcnt vmcnt(16) lgkmcnt(0)
	v_mul_f32_e32 v137, v98, v117
	v_add_f32_e32 v8, v138, v8
	v_mul_f32_e32 v117, v99, v117
	v_fmac_f32_e32 v106, v5, v129
	v_add_f32_e32 v119, v119, v136
	v_fma_f32 v116, v4, v129, -v116
	s_clause 0x3
	buffer_load_dword v129, off, s[0:3], 0 offset:276
	buffer_load_dword v132, off, s[0:3], 0 offset:284
	;; [unrolled: 1-line block ×4, first 2 shown]
	ds_read2_b64 v[2:5], v1 offset0:71 offset1:72
	v_add_f32_e32 v8, v8, v140
	s_waitcnt vmcnt(19)
	v_mul_f32_e32 v138, v100, v151
	v_mul_f32_e32 v136, v101, v151
	v_fma_f32 v117, v98, v121, -v117
	v_add_f32_e32 v98, v119, v149
	v_add_f32_e32 v8, v8, v114
	v_fmac_f32_e32 v137, v99, v121
	s_clause 0x3
	buffer_load_dword v119, off, s[0:3], 0 offset:308
	buffer_load_dword v121, off, s[0:3], 0 offset:316
	;; [unrolled: 1-line block ×4, first 2 shown]
	v_add_f32_e32 v98, v98, v141
	v_add_f32_e32 v8, v8, v115
	s_waitcnt vmcnt(19)
	v_fmac_f32_e32 v138, v101, v113
	v_fma_f32 v113, v100, v113, -v136
	s_clause 0x5
	buffer_load_dword v136, off, s[0:3], 0 offset:340
	buffer_load_dword v114, off, s[0:3], 0 offset:296
	;; [unrolled: 1-line block ×6, first 2 shown]
	v_add_f32_e32 v115, v98, v142
	v_add_f32_e32 v8, v8, v107
	ds_read2_b64 v[98:101], v1 offset0:73 offset1:74
	s_waitcnt vmcnt(24) lgkmcnt(1)
	v_mul_f32_e32 v142, v3, v152
	v_add_f32_e32 v107, v115, v143
	v_mul_f32_e32 v115, v2, v152
	v_add_f32_e32 v8, v8, v108
	v_fmac_f32_e32 v115, v3, v112
	v_fma_f32 v112, v2, v112, -v142
	v_add_f32_e32 v3, v8, v7
	s_clause 0x3
	buffer_load_dword v8, off, s[0:3], 0 offset:328
	buffer_load_dword v142, off, s[0:3], 0 offset:320
	;; [unrolled: 1-line block ×4, first 2 shown]
	v_add_f32_e32 v2, v107, v150
	s_clause 0x2
	buffer_load_dword v150, off, s[0:3], 0 offset:344
	buffer_load_dword v151, off, s[0:3], 0 offset:336
	;; [unrolled: 1-line block ×3, first 2 shown]
	v_add_f32_e32 v3, v3, v6
	s_waitcnt vmcnt(30)
	v_mul_f32_e32 v153, v4, v104
	v_add_f32_e32 v2, v2, v109
	v_add_f32_e32 v6, v3, v103
	v_mul_f32_e32 v3, v5, v104
	v_add_f32_e32 v2, v2, v102
	v_fmac_f32_e32 v153, v5, v111
	s_waitcnt vmcnt(29) lgkmcnt(0)
	v_mul_f32_e32 v108, v101, v123
	v_add_f32_e32 v6, v6, v105
	ds_read2_b64 v[102:105], v1 offset0:77 offset1:78
	v_add_f32_e32 v7, v2, v146
	v_fma_f32 v146, v4, v111, -v3
	ds_read2_b64 v[2:5], v1 offset0:75 offset1:76
	v_add_f32_e32 v6, v6, v127
	v_add_f32_e32 v7, v7, v122
	;; [unrolled: 1-line block ×9, first 2 shown]
	s_waitcnt vmcnt(28)
	v_mul_f32_e32 v122, v98, v120
	v_mul_f32_e32 v107, v99, v120
	;; [unrolled: 1-line block ×3, first 2 shown]
	v_fmac_f32_e32 v122, v99, v110
	v_fma_f32 v123, v98, v110, -v107
	s_waitcnt vmcnt(24)
	v_fma_f32 v116, v100, v133, -v108
	v_fmac_f32_e32 v120, v101, v133
	ds_read2_b64 v[98:101], v1 offset0:79 offset1:80
	ds_read2_b64 v[106:109], v1 offset0:81 offset1:82
	s_waitcnt vmcnt(23) lgkmcnt(2)
	v_mul_f32_e32 v117, v2, v130
	v_mul_f32_e32 v110, v3, v130
	s_waitcnt vmcnt(22)
	v_mul_f32_e32 v126, v4, v131
	v_mul_f32_e32 v127, v5, v131
	s_waitcnt vmcnt(21)
	v_mul_f32_e32 v130, v102, v118
	v_fmac_f32_e32 v117, v3, v128
	v_fma_f32 v128, v2, v128, -v110
	v_add_f32_e32 v2, v7, v138
	v_fmac_f32_e32 v126, v5, v125
	v_fma_f32 v125, v4, v125, -v127
	v_add_f32_e32 v127, v6, v146
	v_mul_f32_e32 v118, v103, v118
	v_add_f32_e32 v115, v2, v115
	v_fmac_f32_e32 v130, v103, v124
	ds_read2_b64 v[110:113], v1 offset0:83 offset1:84
	ds_read2_b64 v[2:5], v1 offset0:85 offset1:86
	v_add_f32_e32 v123, v127, v123
	v_add_f32_e32 v115, v115, v153
	v_fma_f32 v102, v102, v124, -v118
	s_waitcnt vmcnt(20)
	v_mul_f32_e32 v127, v105, v129
	v_mul_f32_e32 v131, v104, v129
	v_add_f32_e32 v116, v123, v116
	v_add_f32_e32 v115, v115, v122
	s_waitcnt vmcnt(19) lgkmcnt(3)
	v_mul_f32_e32 v122, v98, v132
	v_mul_f32_e32 v124, v99, v132
	s_waitcnt vmcnt(18)
	v_mul_f32_e32 v123, v100, v134
	v_add_f32_e32 v116, v116, v128
	v_add_f32_e32 v115, v115, v120
	s_waitcnt vmcnt(17) lgkmcnt(2)
	v_mul_f32_e32 v129, v106, v135
	s_waitcnt vmcnt(16)
	v_mul_f32_e32 v120, v108, v119
	ds_read_b64 v[6:7], v1 offset:696
	v_add_f32_e32 v116, v116, v125
	v_add_f32_e32 v115, v115, v117
	s_waitcnt vmcnt(15) lgkmcnt(2)
	v_mul_f32_e32 v128, v110, v121
	s_waitcnt vmcnt(11)
	v_fmac_f32_e32 v129, v107, v114
	v_add_f32_e32 v102, v116, v102
	v_add_f32_e32 v115, v115, v126
	s_waitcnt vmcnt(8)
	v_fma_f32 v104, v104, v147, -v127
	v_fmac_f32_e32 v131, v105, v147
	v_fmac_f32_e32 v122, v99, v144
	v_fma_f32 v98, v98, v144, -v124
	v_add_f32_e32 v105, v115, v130
	v_mul_f32_e32 v115, v101, v134
	v_add_f32_e32 v99, v102, v104
	v_mul_f32_e32 v104, v107, v135
	v_fmac_f32_e32 v123, v101, v141
	v_add_f32_e32 v102, v105, v131
	v_fma_f32 v100, v100, v141, -v115
	v_add_f32_e32 v98, v99, v98
	v_mul_f32_e32 v101, v109, v119
	v_mul_f32_e32 v103, v112, v139
	v_add_f32_e32 v99, v102, v122
	v_fma_f32 v102, v106, v114, -v104
	v_add_f32_e32 v98, v98, v100
	v_mul_f32_e32 v100, v111, v121
	s_waitcnt vmcnt(3)
	v_fma_f32 v101, v108, v149, -v101
	v_add_f32_e32 v99, v99, v123
	v_fmac_f32_e32 v120, v109, v149
	v_add_f32_e32 v98, v98, v102
	v_mul_f32_e32 v102, v113, v139
	v_fma_f32 v100, v110, v143, -v100
	v_add_f32_e32 v99, v99, v129
	v_fmac_f32_e32 v128, v111, v143
	v_add_f32_e32 v98, v98, v101
	s_waitcnt lgkmcnt(1)
	v_mul_f32_e32 v117, v2, v140
	v_mul_f32_e32 v101, v3, v140
	v_add_f32_e32 v99, v99, v120
	v_fma_f32 v102, v112, v142, -v102
	v_add_f32_e32 v98, v98, v100
	v_fmac_f32_e32 v103, v113, v142
	v_mul_f32_e32 v100, v5, v136
	v_add_f32_e32 v99, v99, v128
	v_fmac_f32_e32 v117, v3, v8
	v_fma_f32 v2, v2, v8, -v101
	v_add_f32_e32 v3, v98, v102
	v_mul_f32_e32 v118, v4, v136
	v_add_f32_e32 v8, v99, v103
	s_waitcnt lgkmcnt(0)
	v_mul_f32_e32 v98, v7, v148
	s_waitcnt vmcnt(1)
	v_fma_f32 v4, v4, v151, -v100
	v_add_f32_e32 v2, v3, v2
	v_mul_f32_e32 v125, v6, v148
	v_fmac_f32_e32 v118, v5, v151
	v_add_f32_e32 v3, v8, v117
	v_fma_f32 v5, v6, v150, -v98
	v_add_f32_e32 v2, v2, v4
	v_fmac_f32_e32 v125, v7, v150
	v_add_f32_e32 v3, v3, v118
	v_add_f32_e32 v2, v2, v5
	v_add_f32_e32 v3, v3, v125
	s_waitcnt vmcnt(0)
	v_sub_f32_e32 v2, v152, v2
	v_sub_f32_e32 v3, v145, v3
	buffer_store_dword v2, off, s[0:3], 0 offset:16
	buffer_store_dword v3, off, s[0:3], 0 offset:20
	v_cmpx_lt_u32_e32 1, v0
	s_cbranch_execz .LBB107_275
; %bb.274:
	s_clause 0x1
	buffer_load_dword v2, off, s[0:3], 0 offset:8
	buffer_load_dword v3, off, s[0:3], 0 offset:12
	buffer_store_dword v1, off, s[0:3], 0 offset:8
	buffer_store_dword v1, off, s[0:3], 0 offset:12
	s_waitcnt vmcnt(0)
	ds_write_b64 v97, v[2:3]
.LBB107_275:
	s_or_b32 exec_lo, exec_lo, s4
	s_waitcnt lgkmcnt(0)
	s_waitcnt_vscnt null, 0x0
	s_barrier
	buffer_gl0_inv
	s_clause 0x24
	buffer_load_dword v126, off, s[0:3], 0 offset:20
	buffer_load_dword v2, off, s[0:3], 0 offset:28
	;; [unrolled: 1-line block ×37, first 2 shown]
	ds_read_b128 v[110:113], v1 offset:368
	ds_read_b128 v[114:117], v1 offset:384
	;; [unrolled: 1-line block ×3, first 2 shown]
	s_clause 0x1
	buffer_load_dword v144, off, s[0:3], 0 offset:164
	buffer_load_dword v145, off, s[0:3], 0 offset:172
	ds_read_b128 v[122:125], v1 offset:416
	buffer_load_dword v147, off, s[0:3], 0 offset:12
	s_mov_b32 s4, exec_lo
	s_waitcnt vmcnt(39) lgkmcnt(3)
	v_mul_f32_e32 v146, v111, v126
	v_mul_f32_e32 v126, v110, v126
	s_waitcnt vmcnt(38)
	v_mul_f32_e32 v148, v112, v2
	v_mul_f32_e32 v2, v113, v2
	s_waitcnt vmcnt(35)
	v_fma_f32 v146, v110, v129, -v146
	v_fmac_f32_e32 v126, v111, v129
	v_fmac_f32_e32 v148, v113, v128
	v_fma_f32 v2, v112, v128, -v2
	s_waitcnt vmcnt(33) lgkmcnt(2)
	v_mul_f32_e32 v128, v116, v131
	v_mul_f32_e32 v111, v117, v131
	;; [unrolled: 1-line block ×4, first 2 shown]
	s_waitcnt vmcnt(32) lgkmcnt(1)
	v_mul_f32_e32 v130, v118, v132
	v_mul_f32_e32 v131, v119, v132
	s_waitcnt vmcnt(28)
	v_fmac_f32_e32 v128, v117, v135
	v_fma_f32 v132, v116, v135, -v111
	s_waitcnt vmcnt(27)
	v_mul_f32_e32 v135, v120, v136
	v_mul_f32_e32 v136, v121, v136
	v_fmac_f32_e32 v129, v115, v127
	v_fma_f32 v127, v114, v127, -v110
	ds_read_b128 v[110:113], v1 offset:432
	ds_read_b128 v[114:117], v1 offset:448
	v_fmac_f32_e32 v130, v119, v134
	v_fma_f32 v131, v118, v134, -v131
	s_waitcnt vmcnt(26) lgkmcnt(2)
	v_mul_f32_e32 v134, v122, v137
	v_mul_f32_e32 v118, v123, v137
	v_fmac_f32_e32 v135, v121, v133
	v_fma_f32 v133, v120, v133, -v136
	s_waitcnt vmcnt(25)
	v_mul_f32_e32 v136, v124, v138
	v_mul_f32_e32 v119, v125, v138
	s_clause 0x3
	buffer_load_dword v137, off, s[0:3], 0 offset:192
	buffer_load_dword v138, off, s[0:3], 0 offset:184
	;; [unrolled: 1-line block ×4, first 2 shown]
	v_fmac_f32_e32 v134, v123, v100
	v_fma_f32 v122, v122, v100, -v118
	s_waitcnt vmcnt(25)
	v_fmac_f32_e32 v136, v125, v139
	v_fma_f32 v123, v124, v139, -v119
	ds_read_b128 v[118:121], v1 offset:464
	s_clause 0x1
	buffer_load_dword v151, off, s[0:3], 0 offset:180
	buffer_load_dword v152, off, s[0:3], 0 offset:188
	s_waitcnt vmcnt(26) lgkmcnt(2)
	v_mul_f32_e32 v124, v110, v140
	v_mul_f32_e32 v100, v111, v140
	s_waitcnt vmcnt(25)
	v_mul_f32_e32 v125, v112, v141
	v_mul_f32_e32 v139, v113, v141
	s_waitcnt vmcnt(24) lgkmcnt(1)
	v_mul_f32_e32 v141, v114, v142
	v_fmac_f32_e32 v124, v111, v107
	v_fma_f32 v140, v110, v107, -v100
	v_fmac_f32_e32 v125, v113, v101
	v_fma_f32 v139, v112, v101, -v139
	ds_read_b128 v[110:113], v1 offset:480
	v_mul_f32_e32 v100, v115, v142
	s_waitcnt vmcnt(23)
	v_mul_f32_e32 v101, v117, v106
	v_mul_f32_e32 v142, v116, v106
	v_fmac_f32_e32 v141, v115, v6
	v_fma_f32 v6, v114, v6, -v100
	s_waitcnt vmcnt(19)
	v_fma_f32 v114, v116, v143, -v101
	s_waitcnt vmcnt(18) lgkmcnt(1)
	v_mul_f32_e32 v115, v118, v109
	v_mul_f32_e32 v100, v119, v109
	s_waitcnt vmcnt(17)
	v_mul_f32_e32 v116, v120, v108
	v_mul_f32_e32 v101, v121, v108
	ds_read_b128 v[106:109], v1 offset:496
	v_fmac_f32_e32 v142, v117, v143
	v_fmac_f32_e32 v115, v119, v102
	buffer_load_dword v117, off, s[0:3], 0 offset:196
	v_fma_f32 v102, v118, v102, -v100
	v_fmac_f32_e32 v116, v121, v8
	v_fma_f32 v8, v120, v8, -v101
	s_waitcnt vmcnt(16) lgkmcnt(1)
	v_mul_f32_e32 v119, v112, v98
	v_mul_f32_e32 v98, v113, v98
	;; [unrolled: 1-line block ×4, first 2 shown]
	s_waitcnt vmcnt(12)
	v_fmac_f32_e32 v119, v113, v105
	v_fma_f32 v105, v112, v105, -v98
	buffer_load_dword v112, off, s[0:3], 0 offset:204
	v_fmac_f32_e32 v118, v111, v4
	v_fma_f32 v110, v110, v4, -v99
	ds_read_b128 v[98:101], v1 offset:512
	s_waitcnt vmcnt(12) lgkmcnt(1)
	v_mul_f32_e32 v111, v106, v104
	v_mul_f32_e32 v4, v107, v104
	s_waitcnt vmcnt(11)
	v_mul_f32_e32 v104, v108, v103
	v_mul_f32_e32 v103, v109, v103
	v_fmac_f32_e32 v111, v107, v7
	v_fma_f32 v7, v106, v7, -v4
	v_fmac_f32_e32 v104, v109, v5
	v_fma_f32 v103, v108, v5, -v103
	s_clause 0x4
	buffer_load_dword v106, off, s[0:3], 0 offset:224
	buffer_load_dword v107, off, s[0:3], 0 offset:216
	;; [unrolled: 1-line block ×5, first 2 shown]
	v_add_f32_e32 v4, 0, v146
	v_add_f32_e32 v5, 0, v126
	s_clause 0x1
	buffer_load_dword v120, off, s[0:3], 0 offset:220
	buffer_load_dword v121, off, s[0:3], 0 offset:228
	v_add_f32_e32 v2, v4, v2
	v_add_f32_e32 v4, v5, v148
	s_waitcnt vmcnt(17) lgkmcnt(0)
	v_mul_f32_e32 v126, v98, v144
	v_mul_f32_e32 v5, v99, v144
	v_add_f32_e32 v2, v2, v127
	v_add_f32_e32 v4, v4, v129
	s_waitcnt vmcnt(16)
	v_mul_f32_e32 v129, v101, v145
	v_fmac_f32_e32 v126, v99, v3
	v_fma_f32 v143, v98, v3, -v5
	v_add_f32_e32 v98, v2, v132
	v_add_f32_e32 v99, v4, v128
	ds_read_b128 v[2:5], v1 offset:528
	v_mul_f32_e32 v127, v100, v145
	v_add_f32_e32 v98, v98, v131
	v_add_f32_e32 v99, v99, v130
	;; [unrolled: 1-line block ×10, first 2 shown]
	s_waitcnt vmcnt(11)
	v_fma_f32 v128, v100, v150, -v129
	s_clause 0x7
	buffer_load_dword v129, off, s[0:3], 0 offset:236
	buffer_load_dword v130, off, s[0:3], 0 offset:256
	;; [unrolled: 1-line block ×8, first 2 shown]
	v_fmac_f32_e32 v127, v101, v150
	ds_read_b128 v[98:101], v1 offset:544
	s_waitcnt vmcnt(18) lgkmcnt(1)
	v_mul_f32_e32 v136, v2, v151
	v_mul_f32_e32 v145, v3, v151
	s_waitcnt vmcnt(17)
	v_mul_f32_e32 v135, v4, v152
	v_mul_f32_e32 v140, v5, v152
	v_fmac_f32_e32 v136, v3, v149
	v_add_f32_e32 v3, v123, v139
	v_add_f32_e32 v123, v124, v125
	v_fma_f32 v124, v2, v149, -v145
	v_fmac_f32_e32 v135, v5, v138
	v_fma_f32 v125, v4, v138, -v140
	v_add_f32_e32 v2, v3, v6
	v_add_f32_e32 v3, v123, v141
	s_clause 0x7
	buffer_load_dword v6, off, s[0:3], 0 offset:268
	buffer_load_dword v123, off, s[0:3], 0 offset:276
	;; [unrolled: 1-line block ×8, first 2 shown]
	v_add_f32_e32 v2, v2, v114
	v_add_f32_e32 v3, v3, v142
	s_clause 0x3
	buffer_load_dword v142, off, s[0:3], 0 offset:300
	buffer_load_dword v149, off, s[0:3], 0 offset:308
	;; [unrolled: 1-line block ×4, first 2 shown]
	v_add_f32_e32 v2, v2, v102
	v_add_f32_e32 v8, v2, v8
	s_waitcnt vmcnt(28) lgkmcnt(0)
	v_mul_f32_e32 v4, v99, v117
	v_mul_f32_e32 v148, v98, v117
	v_add_f32_e32 v8, v8, v110
	v_fma_f32 v114, v98, v137, -v4
	v_add_f32_e32 v98, v3, v115
	v_fmac_f32_e32 v148, v99, v137
	s_clause 0x2
	buffer_load_dword v137, off, s[0:3], 0 offset:332
	buffer_load_dword v152, off, s[0:3], 0 offset:340
	;; [unrolled: 1-line block ×3, first 2 shown]
	v_add_f32_e32 v8, v8, v105
	v_add_f32_e32 v98, v98, v116
	s_waitcnt vmcnt(30)
	v_mul_f32_e32 v3, v101, v112
	v_mul_f32_e32 v115, v100, v112
	v_add_f32_e32 v7, v8, v7
	v_add_f32_e32 v98, v98, v118
	v_add_f32_e32 v7, v7, v103
	v_add_f32_e32 v98, v98, v119
	s_waitcnt vmcnt(26)
	v_fma_f32 v112, v100, v109, -v3
	ds_read_b128 v[2:5], v1 offset:560
	s_clause 0x3
	buffer_load_dword v118, off, s[0:3], 0 offset:320
	buffer_load_dword v154, off, s[0:3], 0 offset:312
	;; [unrolled: 1-line block ×4, first 2 shown]
	v_add_f32_e32 v8, v98, v111
	v_fmac_f32_e32 v115, v101, v109
	ds_read_b128 v[98:101], v1 offset:576
	s_waitcnt vmcnt(29) lgkmcnt(1)
	v_mul_f32_e32 v110, v2, v113
	v_mul_f32_e32 v102, v3, v113
	s_waitcnt vmcnt(28)
	v_mul_f32_e32 v116, v4, v120
	s_waitcnt vmcnt(27) lgkmcnt(0)
	v_mul_f32_e32 v109, v99, v121
	v_fmac_f32_e32 v110, v3, v108
	v_fma_f32 v111, v2, v108, -v102
	v_add_f32_e32 v2, v8, v104
	v_add_f32_e32 v3, v7, v143
	s_clause 0x2
	buffer_load_dword v7, off, s[0:3], 0 offset:344
	buffer_load_dword v8, off, s[0:3], 0 offset:336
	;; [unrolled: 1-line block ×3, first 2 shown]
	v_mul_f32_e32 v102, v5, v120
	v_fmac_f32_e32 v116, v5, v107
	v_add_f32_e32 v2, v2, v126
	buffer_load_dword v126, off, s[0:3], 0 offset:8
	v_add_f32_e32 v3, v3, v128
	v_fma_f32 v113, v4, v107, -v102
	v_mul_f32_e32 v120, v98, v121
	v_add_f32_e32 v103, v2, v127
	v_add_f32_e32 v107, v3, v124
	ds_read_b128 v[2:5], v1 offset:592
	v_fma_f32 v124, v98, v106, -v109
	v_add_f32_e32 v108, v103, v136
	ds_read_b128 v[102:105], v1 offset:608
	v_add_f32_e32 v107, v107, v125
	v_fmac_f32_e32 v120, v99, v106
	v_add_f32_e32 v108, v108, v135
	v_add_f32_e32 v114, v107, v114
	;; [unrolled: 1-line block ×4, first 2 shown]
	s_waitcnt vmcnt(30)
	v_mul_f32_e32 v117, v101, v129
	v_mul_f32_e32 v121, v100, v129
	s_waitcnt vmcnt(25) lgkmcnt(1)
	v_mul_f32_e32 v127, v2, v122
	v_mul_f32_e32 v114, v3, v122
	v_fma_f32 v125, v100, v144, -v117
	v_add_f32_e32 v117, v108, v148
	s_waitcnt vmcnt(23) lgkmcnt(0)
	v_mul_f32_e32 v128, v102, v134
	v_fmac_f32_e32 v127, v3, v132
	v_fma_f32 v132, v2, v132, -v114
	v_mul_f32_e32 v122, v4, v133
	v_add_f32_e32 v115, v117, v115
	v_mul_f32_e32 v117, v5, v133
	v_mul_f32_e32 v129, v103, v134
	v_fmac_f32_e32 v128, v103, v130
	v_fmac_f32_e32 v121, v101, v144
	v_add_f32_e32 v114, v115, v110
	v_add_f32_e32 v115, v111, v113
	ds_read_b128 v[98:101], v1 offset:624
	ds_read_b128 v[106:109], v1 offset:640
	v_fmac_f32_e32 v122, v5, v131
	v_fma_f32 v131, v4, v131, -v117
	v_add_f32_e32 v133, v114, v116
	v_add_f32_e32 v103, v115, v124
	ds_read_b128 v[2:5], v1 offset:656
	ds_read_b128 v[110:113], v1 offset:672
	;; [unrolled: 1-line block ×3, first 2 shown]
	v_fma_f32 v102, v102, v130, -v129
	v_add_f32_e32 v1, v133, v120
	v_add_f32_e32 v103, v103, v125
	s_waitcnt vmcnt(22)
	v_mul_f32_e32 v120, v104, v6
	v_mul_f32_e32 v6, v105, v6
	v_add_f32_e32 v1, v1, v121
	v_add_f32_e32 v103, v103, v132
	s_waitcnt vmcnt(15)
	v_fmac_f32_e32 v120, v105, v146
	v_fma_f32 v6, v104, v146, -v6
	v_add_f32_e32 v1, v1, v127
	v_add_f32_e32 v103, v103, v131
	s_waitcnt lgkmcnt(4)
	v_mul_f32_e32 v124, v98, v123
	v_mul_f32_e32 v123, v99, v123
	;; [unrolled: 1-line block ×3, first 2 shown]
	v_add_f32_e32 v1, v1, v122
	v_add_f32_e32 v102, v103, v102
	v_mul_f32_e32 v122, v101, v138
	v_fma_f32 v98, v98, v145, -v123
	v_fmac_f32_e32 v124, v99, v145
	v_add_f32_e32 v1, v1, v128
	v_add_f32_e32 v6, v102, v6
	s_waitcnt lgkmcnt(3)
	v_mul_f32_e32 v99, v107, v139
	v_fma_f32 v100, v100, v141, -v122
	v_mul_f32_e32 v104, v106, v139
	v_add_f32_e32 v1, v1, v120
	v_add_f32_e32 v6, v6, v98
	v_fmac_f32_e32 v121, v101, v141
	s_waitcnt vmcnt(14)
	v_mul_f32_e32 v98, v109, v142
	v_fma_f32 v99, v106, v140, -v99
	v_add_f32_e32 v1, v1, v124
	v_add_f32_e32 v6, v6, v100
	v_mul_f32_e32 v105, v108, v142
	v_fmac_f32_e32 v104, v107, v140
	s_waitcnt vmcnt(13) lgkmcnt(2)
	v_mul_f32_e32 v125, v2, v149
	v_add_f32_e32 v1, v1, v121
	v_mul_f32_e32 v100, v3, v149
	v_add_f32_e32 v6, v6, v99
	s_waitcnt vmcnt(4)
	v_fma_f32 v98, v108, v156, -v98
	v_fmac_f32_e32 v105, v109, v156
	v_add_f32_e32 v1, v1, v104
	v_mul_f32_e32 v99, v5, v150
	v_fmac_f32_e32 v125, v3, v155
	v_fma_f32 v2, v2, v155, -v100
	v_add_f32_e32 v3, v6, v98
	v_mul_f32_e32 v127, v4, v150
	v_add_f32_e32 v1, v1, v105
	s_waitcnt lgkmcnt(1)
	v_mul_f32_e32 v6, v111, v151
	v_fma_f32 v4, v4, v154, -v99
	v_add_f32_e32 v2, v3, v2
	v_mul_f32_e32 v129, v110, v151
	v_fmac_f32_e32 v127, v5, v154
	v_add_f32_e32 v1, v1, v125
	v_mul_f32_e32 v3, v113, v137
	v_fma_f32 v5, v110, v118, -v6
	v_add_f32_e32 v2, v2, v4
	v_mul_f32_e32 v130, v112, v137
	v_fmac_f32_e32 v129, v111, v118
	v_add_f32_e32 v1, v1, v127
	s_waitcnt lgkmcnt(0)
	v_mul_f32_e32 v4, v115, v152
	v_add_f32_e32 v2, v2, v5
	v_mul_f32_e32 v131, v114, v152
	v_mul_f32_e32 v5, v117, v153
	v_add_f32_e32 v1, v1, v129
	v_mul_f32_e32 v103, v116, v153
	s_waitcnt vmcnt(2)
	v_fma_f32 v4, v114, v8, -v4
	s_waitcnt vmcnt(1)
	v_fma_f32 v3, v112, v119, -v3
	v_fmac_f32_e32 v130, v113, v119
	v_fmac_f32_e32 v131, v115, v8
	;; [unrolled: 1-line block ×3, first 2 shown]
	v_add_f32_e32 v2, v2, v3
	v_add_f32_e32 v1, v1, v130
	v_fma_f32 v3, v116, v7, -v5
	v_add_f32_e32 v2, v2, v4
	v_add_f32_e32 v1, v1, v131
	;; [unrolled: 1-line block ×4, first 2 shown]
	s_waitcnt vmcnt(0)
	v_sub_f32_e32 v2, v126, v2
	v_sub_f32_e32 v1, v147, v1
	buffer_store_dword v2, off, s[0:3], 0 offset:8
	buffer_store_dword v1, off, s[0:3], 0 offset:12
	v_cmpx_ne_u32_e32 0, v0
	s_cbranch_execz .LBB107_277
; %bb.276:
	s_clause 0x1
	buffer_load_dword v0, off, s[0:3], 0
	buffer_load_dword v1, off, s[0:3], 0 offset:4
	v_mov_b32_e32 v2, 0
	buffer_store_dword v2, off, s[0:3], 0
	buffer_store_dword v2, off, s[0:3], 0 offset:4
	s_waitcnt vmcnt(0)
	ds_write_b64 v97, v[0:1]
.LBB107_277:
	s_or_b32 exec_lo, exec_lo, s4
	s_waitcnt lgkmcnt(0)
	s_waitcnt_vscnt null, 0x0
	s_barrier
	buffer_gl0_inv
	s_clause 0x2c
	buffer_load_dword v135, off, s[0:3], 0 offset:12
	buffer_load_dword v109, off, s[0:3], 0 offset:24
	;; [unrolled: 1-line block ×45, first 2 shown]
	v_mov_b32_e32 v0, 0
	ds_read2_b64 v[127:130], v0 offset0:45 offset1:46
	ds_read2_b64 v[131:134], v0 offset0:47 offset1:48
	buffer_load_dword v147, off, s[0:3], 0 offset:4
	s_and_b32 vcc_lo, exec_lo, s16
	s_waitcnt vmcnt(45) lgkmcnt(1)
	v_mul_f32_e32 v145, v128, v135
	v_mul_f32_e32 v146, v127, v135
	ds_read2_b64 v[135:138], v0 offset0:49 offset1:50
	s_waitcnt vmcnt(41)
	v_mul_f32_e32 v148, v129, v123
	v_mul_f32_e32 v123, v130, v123
	v_fma_f32 v145, v127, v125, -v145
	v_fmac_f32_e32 v146, v128, v125
	s_waitcnt vmcnt(40) lgkmcnt(1)
	v_mul_f32_e32 v150, v131, v121
	v_fmac_f32_e32 v148, v130, v118
	v_fma_f32 v149, v129, v118, -v123
	v_mul_f32_e32 v118, v132, v121
	ds_read2_b64 v[127:130], v0 offset0:51 offset1:52
	v_fmac_f32_e32 v150, v132, v109
	s_waitcnt vmcnt(39)
	v_mul_f32_e32 v151, v133, v114
	v_fma_f32 v121, v131, v109, -v118
	v_mul_f32_e32 v109, v134, v114
	s_waitcnt vmcnt(35)
	v_fmac_f32_e32 v151, v134, v126
	v_fma_f32 v152, v133, v126, -v109
	s_waitcnt vmcnt(34) lgkmcnt(1)
	v_mul_f32_e32 v153, v135, v124
	v_mul_f32_e32 v109, v136, v124
	ds_read2_b64 v[123:126], v0 offset0:53 offset1:54
	ds_read2_b64 v[131:134], v0 offset0:55 offset1:56
	v_fmac_f32_e32 v153, v136, v117
	v_fma_f32 v135, v135, v117, -v109
	s_waitcnt vmcnt(33)
	v_mul_f32_e32 v136, v137, v119
	v_mul_f32_e32 v109, v138, v119
	v_fmac_f32_e32 v136, v138, v110
	v_fma_f32 v137, v137, v110, -v109
	s_waitcnt vmcnt(32) lgkmcnt(2)
	v_mul_f32_e32 v138, v127, v115
	v_mul_f32_e32 v109, v128, v115
	v_fmac_f32_e32 v138, v128, v98
	v_fma_f32 v98, v127, v98, -v109
	s_waitcnt vmcnt(31)
	v_mul_f32_e32 v127, v129, v106
	v_mul_f32_e32 v106, v130, v106
	s_waitcnt vmcnt(26) lgkmcnt(1)
	v_mul_f32_e32 v128, v123, v120
	v_fmac_f32_e32 v127, v130, v122
	v_fma_f32 v122, v129, v122, -v106
	v_mul_f32_e32 v106, v124, v120
	ds_read2_b64 v[117:120], v0 offset0:57 offset1:58
	v_fmac_f32_e32 v128, v124, v111
	s_waitcnt vmcnt(25)
	v_mul_f32_e32 v124, v125, v112
	s_waitcnt vmcnt(23) lgkmcnt(1)
	v_mul_f32_e32 v130, v133, v100
	v_fma_f32 v123, v123, v111, -v106
	v_mul_f32_e32 v106, v126, v112
	ds_read2_b64 v[109:112], v0 offset0:59 offset1:60
	v_fmac_f32_e32 v124, v126, v102
	v_mul_f32_e32 v126, v131, v107
	s_waitcnt vmcnt(19)
	v_fmac_f32_e32 v130, v134, v116
	v_fma_f32 v125, v125, v102, -v106
	v_mul_f32_e32 v102, v132, v107
	v_fmac_f32_e32 v126, v132, v4
	v_fma_f32 v129, v131, v4, -v102
	v_mul_f32_e32 v4, v134, v100
	s_waitcnt vmcnt(18) lgkmcnt(1)
	v_mul_f32_e32 v132, v117, v113
	v_fma_f32 v131, v133, v116, -v4
	v_mul_f32_e32 v4, v118, v113
	ds_read2_b64 v[113:116], v0 offset0:61 offset1:62
	v_fmac_f32_e32 v132, v118, v103
	s_waitcnt vmcnt(17)
	v_mul_f32_e32 v118, v119, v104
	v_fma_f32 v117, v117, v103, -v4
	v_mul_f32_e32 v4, v120, v104
	v_fmac_f32_e32 v118, v120, v8
	s_waitcnt vmcnt(16) lgkmcnt(1)
	v_mul_f32_e32 v120, v109, v101
	v_fma_f32 v119, v119, v8, -v4
	v_mul_f32_e32 v4, v110, v101
	ds_read2_b64 v[100:103], v0 offset0:63 offset1:64
	v_fmac_f32_e32 v120, v110, v2
	s_waitcnt vmcnt(15)
	v_mul_f32_e32 v110, v111, v6
	buffer_load_dword v8, off, s[0:3], 0 offset:196
	v_fma_f32 v109, v109, v2, -v4
	v_mul_f32_e32 v2, v112, v6
	s_waitcnt vmcnt(12)
	v_fmac_f32_e32 v110, v112, v108
	s_waitcnt vmcnt(10) lgkmcnt(1)
	v_mul_f32_e32 v112, v115, v99
	v_fma_f32 v108, v111, v108, -v2
	v_mul_f32_e32 v111, v113, v105
	v_mul_f32_e32 v2, v114, v105
	ds_read2_b64 v[104:107], v0 offset0:65 offset1:66
	v_fmac_f32_e32 v112, v116, v3
	v_fmac_f32_e32 v111, v114, v97
	v_fma_f32 v97, v113, v97, -v2
	v_mul_f32_e32 v2, v116, v99
	s_waitcnt vmcnt(9) lgkmcnt(1)
	v_mul_f32_e32 v113, v100, v7
	s_waitcnt vmcnt(8)
	v_mul_f32_e32 v114, v102, v5
	v_fma_f32 v99, v115, v3, -v2
	v_mul_f32_e32 v2, v101, v7
	v_mul_f32_e32 v3, v103, v5
	buffer_load_dword v5, off, s[0:3], 0 offset:188
	v_fmac_f32_e32 v113, v101, v1
	s_waitcnt vmcnt(5)
	v_fmac_f32_e32 v114, v103, v142
	v_fma_f32 v100, v100, v1, -v2
	v_fma_f32 v101, v102, v142, -v3
	ds_read2_b64 v[1:4], v0 offset0:67 offset1:68
	s_waitcnt vmcnt(4) lgkmcnt(1)
	v_mul_f32_e32 v102, v104, v143
	v_mul_f32_e32 v6, v105, v143
	s_waitcnt vmcnt(3)
	v_mul_f32_e32 v103, v106, v144
	v_mul_f32_e32 v7, v107, v144
	v_fmac_f32_e32 v102, v105, v141
	v_fma_f32 v104, v104, v141, -v6
	v_fmac_f32_e32 v103, v107, v140
	v_fma_f32 v105, v106, v140, -v7
	s_clause 0x4
	buffer_load_dword v106, off, s[0:3], 0 offset:216
	buffer_load_dword v107, off, s[0:3], 0 offset:208
	;; [unrolled: 1-line block ×5, first 2 shown]
	s_waitcnt vmcnt(6) lgkmcnt(0)
	v_mul_f32_e32 v134, v3, v8
	v_mul_f32_e32 v7, v4, v8
	s_waitcnt vmcnt(5)
	v_mul_f32_e32 v133, v1, v5
	v_mul_f32_e32 v5, v2, v5
	v_fmac_f32_e32 v133, v2, v139
	v_fma_f32 v139, v1, v139, -v5
	s_waitcnt vmcnt(1)
	v_fmac_f32_e32 v134, v4, v6
	v_fma_f32 v140, v3, v6, -v7
	ds_read2_b64 v[1:4], v0 offset0:69 offset1:70
	ds_read2_b64 v[5:8], v0 offset0:71 offset1:72
	s_waitcnt vmcnt(0) lgkmcnt(1)
	v_mul_f32_e32 v141, v1, v116
	v_mul_f32_e32 v116, v2, v116
	v_fmac_f32_e32 v141, v2, v115
	v_fma_f32 v115, v1, v115, -v116
	buffer_load_dword v1, off, s[0:3], 0 offset:212
	s_waitcnt vmcnt(0)
	v_mul_f32_e32 v116, v3, v1
	v_mul_f32_e32 v1, v4, v1
	v_fmac_f32_e32 v116, v4, v107
	v_fma_f32 v107, v3, v107, -v1
	buffer_load_dword v1, off, s[0:3], 0 offset:220
	s_waitcnt vmcnt(0) lgkmcnt(0)
	v_mul_f32_e32 v142, v5, v1
	v_mul_f32_e32 v1, v6, v1
	v_fmac_f32_e32 v142, v6, v106
	v_fma_f32 v143, v5, v106, -v1
	s_clause 0x4
	buffer_load_dword v1, off, s[0:3], 0 offset:228
	buffer_load_dword v106, off, s[0:3], 0 offset:248
	buffer_load_dword v144, off, s[0:3], 0 offset:240
	buffer_load_dword v154, off, s[0:3], 0 offset:232
	buffer_load_dword v2, off, s[0:3], 0 offset:224
	s_waitcnt vmcnt(4)
	v_mul_f32_e32 v155, v7, v1
	v_mul_f32_e32 v1, v8, v1
	s_waitcnt vmcnt(0)
	v_fmac_f32_e32 v155, v8, v2
	v_fma_f32 v156, v7, v2, -v1
	v_add_f32_e32 v1, 0, v145
	buffer_load_dword v145, off, s[0:3], 0 offset:236
	v_add_f32_e32 v2, 0, v146
	buffer_load_dword v146, off, s[0:3], 0 offset:252
	v_add_f32_e32 v1, v1, v149
	v_add_f32_e32 v2, v2, v148
	;; [unrolled: 1-line block ×3, first 2 shown]
	buffer_load_dword v121, off, s[0:3], 0 offset:244
	v_add_f32_e32 v2, v2, v150
	v_add_f32_e32 v1, v1, v152
	;; [unrolled: 1-line block ×4, first 2 shown]
	buffer_load_dword v135, off, s[0:3], 0 offset:260
	v_add_f32_e32 v2, v2, v153
	v_add_f32_e32 v1, v1, v137
	s_clause 0x3
	buffer_load_dword v137, off, s[0:3], 0 offset:280
	buffer_load_dword v148, off, s[0:3], 0 offset:272
	;; [unrolled: 1-line block ×4, first 2 shown]
	v_add_f32_e32 v2, v2, v136
	buffer_load_dword v136, off, s[0:3], 0 offset:268
	v_add_f32_e32 v1, v1, v98
	v_add_f32_e32 v2, v2, v138
	buffer_load_dword v138, off, s[0:3], 0 offset:276
	v_add_f32_e32 v1, v1, v122
	v_add_f32_e32 v2, v2, v127
	s_clause 0x1
	buffer_load_dword v122, off, s[0:3], 0 offset:284
	buffer_load_dword v127, off, s[0:3], 0 offset:292
	v_add_f32_e32 v1, v1, v123
	buffer_load_dword v123, off, s[0:3], 0 offset:300
	v_add_f32_e32 v2, v2, v128
	s_clause 0x1
	buffer_load_dword v128, off, s[0:3], 0 offset:308
	buffer_load_dword v151, off, s[0:3], 0 offset:316
	v_add_f32_e32 v1, v1, v125
	buffer_load_dword v125, off, s[0:3], 0 offset:324
	v_add_f32_e32 v2, v2, v124
	;; [unrolled: 2-line block ×5, first 2 shown]
	v_add_f32_e32 v2, v2, v130
	v_add_f32_e32 v1, v1, v117
	;; [unrolled: 1-line block ×3, first 2 shown]
	s_clause 0x3
	buffer_load_dword v117, off, s[0:3], 0 offset:312
	buffer_load_dword v130, off, s[0:3], 0 offset:304
	;; [unrolled: 1-line block ×4, first 2 shown]
	v_add_f32_e32 v1, v1, v119
	v_add_f32_e32 v2, v2, v118
	v_add_f32_e32 v1, v1, v109
	v_add_f32_e32 v2, v2, v120
	s_clause 0x4
	buffer_load_dword v118, off, s[0:3], 0 offset:344
	buffer_load_dword v119, off, s[0:3], 0 offset:336
	;; [unrolled: 1-line block ×4, first 2 shown]
	buffer_load_dword v153, off, s[0:3], 0
	v_add_f32_e32 v1, v1, v108
	v_add_f32_e32 v2, v2, v110
	;; [unrolled: 1-line block ×5, first 2 shown]
	ds_read2_b64 v[1:4], v0 offset0:73 offset1:74
	v_add_f32_e32 v5, v5, v112
	v_add_f32_e32 v6, v6, v100
	;; [unrolled: 1-line block ×5, first 2 shown]
	ds_read2_b64 v[5:8], v0 offset0:75 offset1:76
	v_add_f32_e32 v97, v97, v104
	v_add_f32_e32 v98, v98, v102
	;; [unrolled: 1-line block ×6, first 2 shown]
	s_waitcnt vmcnt(27) lgkmcnt(1)
	v_mul_f32_e32 v111, v1, v145
	v_mul_f32_e32 v99, v2, v145
	s_waitcnt vmcnt(26) lgkmcnt(0)
	v_mul_f32_e32 v109, v6, v146
	v_fmac_f32_e32 v111, v2, v154
	v_add_f32_e32 v2, v98, v103
	v_fma_f32 v113, v1, v154, -v99
	s_waitcnt vmcnt(25)
	v_mul_f32_e32 v112, v3, v121
	v_add_f32_e32 v105, v2, v133
	v_mul_f32_e32 v100, v4, v121
	v_mul_f32_e32 v121, v5, v146
	v_fma_f32 v133, v5, v106, -v109
	v_fmac_f32_e32 v112, v4, v144
	v_add_f32_e32 v105, v105, v134
	v_fma_f32 v114, v3, v144, -v100
	v_fmac_f32_e32 v121, v6, v106
	v_add_f32_e32 v6, v108, v107
	ds_read2_b64 v[1:4], v0 offset0:77 offset1:78
	ds_read2_b64 v[97:100], v0 offset0:79 offset1:80
	v_add_f32_e32 v105, v105, v141
	s_waitcnt vmcnt(24)
	v_mul_f32_e32 v115, v7, v135
	v_mul_f32_e32 v110, v8, v135
	ds_read2_b64 v[101:104], v0 offset0:81 offset1:82
	v_add_f32_e32 v5, v105, v116
	v_add_f32_e32 v116, v6, v143
	s_waitcnt vmcnt(20)
	v_fma_f32 v134, v7, v150, -v110
	v_fmac_f32_e32 v115, v8, v150
	ds_read2_b64 v[105:108], v0 offset0:83 offset1:84
	v_add_f32_e32 v135, v5, v142
	v_add_f32_e32 v116, v116, v156
	ds_read2_b64 v[5:8], v0 offset0:85 offset1:86
	ds_read_b64 v[109:110], v0 offset:696
	v_add_f32_e32 v135, v135, v155
	v_add_f32_e32 v113, v116, v113
	s_waitcnt vmcnt(19) lgkmcnt(5)
	v_mul_f32_e32 v139, v1, v136
	v_mul_f32_e32 v136, v2, v136
	v_add_f32_e32 v111, v135, v111
	v_add_f32_e32 v113, v113, v114
	s_waitcnt vmcnt(18)
	v_mul_f32_e32 v116, v4, v138
	v_mul_f32_e32 v140, v3, v138
	v_fma_f32 v1, v1, v149, -v136
	v_add_f32_e32 v111, v111, v112
	v_add_f32_e32 v113, v113, v133
	v_fmac_f32_e32 v139, v2, v149
	s_waitcnt vmcnt(17) lgkmcnt(4)
	v_mul_f32_e32 v135, v97, v122
	v_mul_f32_e32 v122, v98, v122
	v_add_f32_e32 v111, v111, v121
	v_add_f32_e32 v113, v113, v134
	v_fma_f32 v3, v3, v148, -v116
	v_fmac_f32_e32 v140, v4, v148
	v_fma_f32 v97, v97, v137, -v122
	v_add_f32_e32 v111, v111, v115
	v_add_f32_e32 v1, v113, v1
	s_waitcnt vmcnt(16)
	v_mul_f32_e32 v138, v99, v127
	v_fmac_f32_e32 v135, v98, v137
	s_waitcnt vmcnt(15) lgkmcnt(3)
	v_mul_f32_e32 v114, v101, v123
	v_add_f32_e32 v4, v111, v139
	v_mul_f32_e32 v111, v100, v127
	v_add_f32_e32 v1, v1, v3
	s_waitcnt vmcnt(5)
	v_fmac_f32_e32 v138, v100, v132
	v_mul_f32_e32 v112, v103, v128
	v_add_f32_e32 v3, v4, v140
	v_mul_f32_e32 v4, v102, v123
	v_fma_f32 v98, v99, v132, -v111
	v_add_f32_e32 v1, v1, v97
	v_mul_f32_e32 v97, v104, v128
	v_add_f32_e32 v3, v3, v135
	v_fma_f32 v4, v101, v131, -v4
	v_fmac_f32_e32 v114, v102, v131
	v_add_f32_e32 v1, v1, v98
	s_waitcnt lgkmcnt(2)
	v_mul_f32_e32 v98, v106, v151
	v_add_f32_e32 v3, v3, v138
	v_fma_f32 v97, v103, v130, -v97
	v_mul_f32_e32 v141, v105, v151
	v_add_f32_e32 v1, v1, v4
	v_fmac_f32_e32 v112, v104, v130
	v_add_f32_e32 v3, v3, v114
	v_mul_f32_e32 v4, v108, v125
	v_fma_f32 v98, v105, v117, -v98
	v_add_f32_e32 v1, v1, v97
	v_mul_f32_e32 v133, v107, v125
	v_fmac_f32_e32 v141, v106, v117
	v_add_f32_e32 v3, v3, v112
	s_waitcnt lgkmcnt(1)
	v_mul_f32_e32 v97, v6, v124
	s_waitcnt vmcnt(1)
	v_fma_f32 v4, v107, v152, -v4
	v_add_f32_e32 v1, v1, v98
	v_mul_f32_e32 v121, v5, v124
	v_fmac_f32_e32 v133, v108, v152
	v_add_f32_e32 v3, v3, v141
	v_mul_f32_e32 v98, v8, v129
	v_fma_f32 v5, v5, v120, -v97
	v_add_f32_e32 v1, v1, v4
	v_mul_f32_e32 v2, v7, v129
	v_fmac_f32_e32 v121, v6, v120
	v_add_f32_e32 v3, v3, v133
	s_waitcnt lgkmcnt(0)
	v_mul_f32_e32 v4, v110, v126
	v_fma_f32 v6, v7, v119, -v98
	v_add_f32_e32 v1, v1, v5
	v_mul_f32_e32 v115, v109, v126
	v_fmac_f32_e32 v2, v8, v119
	v_add_f32_e32 v3, v3, v121
	v_fma_f32 v4, v109, v118, -v4
	v_add_f32_e32 v1, v1, v6
	v_fmac_f32_e32 v115, v110, v118
	v_add_f32_e32 v2, v3, v2
	v_add_f32_e32 v1, v1, v4
	;; [unrolled: 1-line block ×3, first 2 shown]
	s_waitcnt vmcnt(0)
	v_sub_f32_e32 v1, v153, v1
	v_sub_f32_e32 v2, v147, v2
	buffer_store_dword v1, off, s[0:3], 0
	buffer_store_dword v2, off, s[0:3], 0 offset:4
	s_cbranch_vccz .LBB107_364
; %bb.278:
	global_load_dword v0, v0, s[12:13] offset:168
	s_waitcnt vmcnt(0)
	v_add_nc_u32_e32 v0, -1, v0
	v_cmp_ne_u32_e32 vcc_lo, 42, v0
	s_cbranch_vccz .LBB107_280
; %bb.279:
	v_lshlrev_b32_e32 v0, 3, v0
	s_clause 0x3
	buffer_load_dword v1, v0, s[0:3], 0 offen
	buffer_load_dword v2, v0, s[0:3], 0 offen offset:4
	buffer_load_dword v3, off, s[0:3], 0 offset:340
	buffer_load_dword v4, off, s[0:3], 0 offset:336
	s_waitcnt vmcnt(3)
	buffer_store_dword v1, off, s[0:3], 0 offset:336
	s_waitcnt vmcnt(2)
	buffer_store_dword v2, off, s[0:3], 0 offset:340
	s_waitcnt vmcnt(1)
	buffer_store_dword v3, v0, s[0:3], 0 offen offset:4
	s_waitcnt vmcnt(0)
	buffer_store_dword v4, v0, s[0:3], 0 offen
.LBB107_280:
	v_mov_b32_e32 v0, 0
	global_load_dword v1, v0, s[12:13] offset:164
	s_waitcnt vmcnt(0)
	v_add_nc_u32_e32 v1, -1, v1
	v_cmp_eq_u32_e32 vcc_lo, 41, v1
	s_cbranch_vccnz .LBB107_282
; %bb.281:
	v_lshlrev_b32_e32 v1, 3, v1
	s_clause 0x3
	buffer_load_dword v2, v1, s[0:3], 0 offen
	buffer_load_dword v3, v1, s[0:3], 0 offen offset:4
	buffer_load_dword v4, off, s[0:3], 0 offset:328
	buffer_load_dword v5, off, s[0:3], 0 offset:332
	s_waitcnt vmcnt(3)
	buffer_store_dword v2, off, s[0:3], 0 offset:328
	s_waitcnt vmcnt(2)
	buffer_store_dword v3, off, s[0:3], 0 offset:332
	s_waitcnt vmcnt(1)
	buffer_store_dword v4, v1, s[0:3], 0 offen
	s_waitcnt vmcnt(0)
	buffer_store_dword v5, v1, s[0:3], 0 offen offset:4
.LBB107_282:
	global_load_dword v0, v0, s[12:13] offset:160
	s_waitcnt vmcnt(0)
	v_add_nc_u32_e32 v0, -1, v0
	v_cmp_eq_u32_e32 vcc_lo, 40, v0
	s_cbranch_vccnz .LBB107_284
; %bb.283:
	v_lshlrev_b32_e32 v0, 3, v0
	s_clause 0x3
	buffer_load_dword v1, v0, s[0:3], 0 offen
	buffer_load_dword v2, v0, s[0:3], 0 offen offset:4
	buffer_load_dword v3, off, s[0:3], 0 offset:324
	buffer_load_dword v4, off, s[0:3], 0 offset:320
	s_waitcnt vmcnt(3)
	buffer_store_dword v1, off, s[0:3], 0 offset:320
	s_waitcnt vmcnt(2)
	buffer_store_dword v2, off, s[0:3], 0 offset:324
	s_waitcnt vmcnt(1)
	buffer_store_dword v3, v0, s[0:3], 0 offen offset:4
	s_waitcnt vmcnt(0)
	buffer_store_dword v4, v0, s[0:3], 0 offen
.LBB107_284:
	v_mov_b32_e32 v0, 0
	global_load_dword v1, v0, s[12:13] offset:156
	s_waitcnt vmcnt(0)
	v_add_nc_u32_e32 v1, -1, v1
	v_cmp_eq_u32_e32 vcc_lo, 39, v1
	s_cbranch_vccnz .LBB107_286
; %bb.285:
	v_lshlrev_b32_e32 v1, 3, v1
	s_clause 0x3
	buffer_load_dword v2, v1, s[0:3], 0 offen
	buffer_load_dword v3, v1, s[0:3], 0 offen offset:4
	buffer_load_dword v4, off, s[0:3], 0 offset:312
	buffer_load_dword v5, off, s[0:3], 0 offset:316
	s_waitcnt vmcnt(3)
	buffer_store_dword v2, off, s[0:3], 0 offset:312
	s_waitcnt vmcnt(2)
	buffer_store_dword v3, off, s[0:3], 0 offset:316
	s_waitcnt vmcnt(1)
	buffer_store_dword v4, v1, s[0:3], 0 offen
	s_waitcnt vmcnt(0)
	buffer_store_dword v5, v1, s[0:3], 0 offen offset:4
.LBB107_286:
	global_load_dword v0, v0, s[12:13] offset:152
	s_waitcnt vmcnt(0)
	v_add_nc_u32_e32 v0, -1, v0
	v_cmp_eq_u32_e32 vcc_lo, 38, v0
	s_cbranch_vccnz .LBB107_288
; %bb.287:
	v_lshlrev_b32_e32 v0, 3, v0
	s_clause 0x3
	buffer_load_dword v1, v0, s[0:3], 0 offen
	buffer_load_dword v2, v0, s[0:3], 0 offen offset:4
	buffer_load_dword v3, off, s[0:3], 0 offset:308
	buffer_load_dword v4, off, s[0:3], 0 offset:304
	s_waitcnt vmcnt(3)
	buffer_store_dword v1, off, s[0:3], 0 offset:304
	s_waitcnt vmcnt(2)
	buffer_store_dword v2, off, s[0:3], 0 offset:308
	s_waitcnt vmcnt(1)
	buffer_store_dword v3, v0, s[0:3], 0 offen offset:4
	s_waitcnt vmcnt(0)
	buffer_store_dword v4, v0, s[0:3], 0 offen
.LBB107_288:
	v_mov_b32_e32 v0, 0
	global_load_dword v1, v0, s[12:13] offset:148
	s_waitcnt vmcnt(0)
	v_add_nc_u32_e32 v1, -1, v1
	v_cmp_eq_u32_e32 vcc_lo, 37, v1
	s_cbranch_vccnz .LBB107_290
; %bb.289:
	v_lshlrev_b32_e32 v1, 3, v1
	s_clause 0x3
	buffer_load_dword v2, v1, s[0:3], 0 offen
	buffer_load_dword v3, v1, s[0:3], 0 offen offset:4
	buffer_load_dword v4, off, s[0:3], 0 offset:296
	buffer_load_dword v5, off, s[0:3], 0 offset:300
	s_waitcnt vmcnt(3)
	buffer_store_dword v2, off, s[0:3], 0 offset:296
	s_waitcnt vmcnt(2)
	buffer_store_dword v3, off, s[0:3], 0 offset:300
	s_waitcnt vmcnt(1)
	buffer_store_dword v4, v1, s[0:3], 0 offen
	s_waitcnt vmcnt(0)
	buffer_store_dword v5, v1, s[0:3], 0 offen offset:4
.LBB107_290:
	global_load_dword v0, v0, s[12:13] offset:144
	s_waitcnt vmcnt(0)
	v_add_nc_u32_e32 v0, -1, v0
	v_cmp_eq_u32_e32 vcc_lo, 36, v0
	s_cbranch_vccnz .LBB107_292
; %bb.291:
	v_lshlrev_b32_e32 v0, 3, v0
	s_clause 0x3
	buffer_load_dword v1, v0, s[0:3], 0 offen
	buffer_load_dword v2, v0, s[0:3], 0 offen offset:4
	buffer_load_dword v3, off, s[0:3], 0 offset:292
	buffer_load_dword v4, off, s[0:3], 0 offset:288
	s_waitcnt vmcnt(3)
	buffer_store_dword v1, off, s[0:3], 0 offset:288
	s_waitcnt vmcnt(2)
	buffer_store_dword v2, off, s[0:3], 0 offset:292
	s_waitcnt vmcnt(1)
	buffer_store_dword v3, v0, s[0:3], 0 offen offset:4
	s_waitcnt vmcnt(0)
	buffer_store_dword v4, v0, s[0:3], 0 offen
.LBB107_292:
	v_mov_b32_e32 v0, 0
	global_load_dword v1, v0, s[12:13] offset:140
	s_waitcnt vmcnt(0)
	v_add_nc_u32_e32 v1, -1, v1
	v_cmp_eq_u32_e32 vcc_lo, 35, v1
	s_cbranch_vccnz .LBB107_294
; %bb.293:
	v_lshlrev_b32_e32 v1, 3, v1
	s_clause 0x3
	buffer_load_dword v2, v1, s[0:3], 0 offen
	buffer_load_dword v3, v1, s[0:3], 0 offen offset:4
	buffer_load_dword v4, off, s[0:3], 0 offset:280
	buffer_load_dword v5, off, s[0:3], 0 offset:284
	s_waitcnt vmcnt(3)
	buffer_store_dword v2, off, s[0:3], 0 offset:280
	s_waitcnt vmcnt(2)
	buffer_store_dword v3, off, s[0:3], 0 offset:284
	s_waitcnt vmcnt(1)
	buffer_store_dword v4, v1, s[0:3], 0 offen
	s_waitcnt vmcnt(0)
	buffer_store_dword v5, v1, s[0:3], 0 offen offset:4
.LBB107_294:
	global_load_dword v0, v0, s[12:13] offset:136
	s_waitcnt vmcnt(0)
	v_add_nc_u32_e32 v0, -1, v0
	v_cmp_eq_u32_e32 vcc_lo, 34, v0
	s_cbranch_vccnz .LBB107_296
; %bb.295:
	v_lshlrev_b32_e32 v0, 3, v0
	s_clause 0x3
	buffer_load_dword v1, v0, s[0:3], 0 offen
	buffer_load_dword v2, v0, s[0:3], 0 offen offset:4
	buffer_load_dword v3, off, s[0:3], 0 offset:276
	buffer_load_dword v4, off, s[0:3], 0 offset:272
	s_waitcnt vmcnt(3)
	buffer_store_dword v1, off, s[0:3], 0 offset:272
	s_waitcnt vmcnt(2)
	buffer_store_dword v2, off, s[0:3], 0 offset:276
	s_waitcnt vmcnt(1)
	buffer_store_dword v3, v0, s[0:3], 0 offen offset:4
	s_waitcnt vmcnt(0)
	buffer_store_dword v4, v0, s[0:3], 0 offen
.LBB107_296:
	v_mov_b32_e32 v0, 0
	global_load_dword v1, v0, s[12:13] offset:132
	s_waitcnt vmcnt(0)
	v_add_nc_u32_e32 v1, -1, v1
	v_cmp_eq_u32_e32 vcc_lo, 33, v1
	s_cbranch_vccnz .LBB107_298
; %bb.297:
	v_lshlrev_b32_e32 v1, 3, v1
	s_clause 0x3
	buffer_load_dword v2, v1, s[0:3], 0 offen
	buffer_load_dword v3, v1, s[0:3], 0 offen offset:4
	buffer_load_dword v4, off, s[0:3], 0 offset:264
	buffer_load_dword v5, off, s[0:3], 0 offset:268
	s_waitcnt vmcnt(3)
	buffer_store_dword v2, off, s[0:3], 0 offset:264
	s_waitcnt vmcnt(2)
	buffer_store_dword v3, off, s[0:3], 0 offset:268
	s_waitcnt vmcnt(1)
	buffer_store_dword v4, v1, s[0:3], 0 offen
	s_waitcnt vmcnt(0)
	buffer_store_dword v5, v1, s[0:3], 0 offen offset:4
.LBB107_298:
	global_load_dword v0, v0, s[12:13] offset:128
	s_waitcnt vmcnt(0)
	v_add_nc_u32_e32 v0, -1, v0
	v_cmp_eq_u32_e32 vcc_lo, 32, v0
	s_cbranch_vccnz .LBB107_300
; %bb.299:
	v_lshlrev_b32_e32 v0, 3, v0
	s_clause 0x3
	buffer_load_dword v1, v0, s[0:3], 0 offen
	buffer_load_dword v2, v0, s[0:3], 0 offen offset:4
	buffer_load_dword v3, off, s[0:3], 0 offset:260
	buffer_load_dword v4, off, s[0:3], 0 offset:256
	s_waitcnt vmcnt(3)
	buffer_store_dword v1, off, s[0:3], 0 offset:256
	s_waitcnt vmcnt(2)
	buffer_store_dword v2, off, s[0:3], 0 offset:260
	s_waitcnt vmcnt(1)
	buffer_store_dword v3, v0, s[0:3], 0 offen offset:4
	s_waitcnt vmcnt(0)
	buffer_store_dword v4, v0, s[0:3], 0 offen
.LBB107_300:
	v_mov_b32_e32 v0, 0
	global_load_dword v1, v0, s[12:13] offset:124
	s_waitcnt vmcnt(0)
	v_add_nc_u32_e32 v1, -1, v1
	v_cmp_eq_u32_e32 vcc_lo, 31, v1
	s_cbranch_vccnz .LBB107_302
; %bb.301:
	v_lshlrev_b32_e32 v1, 3, v1
	s_clause 0x3
	buffer_load_dword v2, v1, s[0:3], 0 offen
	buffer_load_dword v3, v1, s[0:3], 0 offen offset:4
	buffer_load_dword v4, off, s[0:3], 0 offset:248
	buffer_load_dword v5, off, s[0:3], 0 offset:252
	s_waitcnt vmcnt(3)
	buffer_store_dword v2, off, s[0:3], 0 offset:248
	s_waitcnt vmcnt(2)
	buffer_store_dword v3, off, s[0:3], 0 offset:252
	s_waitcnt vmcnt(1)
	buffer_store_dword v4, v1, s[0:3], 0 offen
	s_waitcnt vmcnt(0)
	buffer_store_dword v5, v1, s[0:3], 0 offen offset:4
.LBB107_302:
	global_load_dword v0, v0, s[12:13] offset:120
	s_waitcnt vmcnt(0)
	v_add_nc_u32_e32 v0, -1, v0
	v_cmp_eq_u32_e32 vcc_lo, 30, v0
	s_cbranch_vccnz .LBB107_304
; %bb.303:
	v_lshlrev_b32_e32 v0, 3, v0
	s_clause 0x3
	buffer_load_dword v1, v0, s[0:3], 0 offen
	buffer_load_dword v2, v0, s[0:3], 0 offen offset:4
	buffer_load_dword v3, off, s[0:3], 0 offset:244
	buffer_load_dword v4, off, s[0:3], 0 offset:240
	s_waitcnt vmcnt(3)
	buffer_store_dword v1, off, s[0:3], 0 offset:240
	s_waitcnt vmcnt(2)
	buffer_store_dword v2, off, s[0:3], 0 offset:244
	s_waitcnt vmcnt(1)
	buffer_store_dword v3, v0, s[0:3], 0 offen offset:4
	s_waitcnt vmcnt(0)
	buffer_store_dword v4, v0, s[0:3], 0 offen
.LBB107_304:
	v_mov_b32_e32 v0, 0
	global_load_dword v1, v0, s[12:13] offset:116
	s_waitcnt vmcnt(0)
	v_add_nc_u32_e32 v1, -1, v1
	v_cmp_eq_u32_e32 vcc_lo, 29, v1
	s_cbranch_vccnz .LBB107_306
; %bb.305:
	v_lshlrev_b32_e32 v1, 3, v1
	s_clause 0x3
	buffer_load_dword v2, v1, s[0:3], 0 offen
	buffer_load_dword v3, v1, s[0:3], 0 offen offset:4
	buffer_load_dword v4, off, s[0:3], 0 offset:232
	buffer_load_dword v5, off, s[0:3], 0 offset:236
	s_waitcnt vmcnt(3)
	buffer_store_dword v2, off, s[0:3], 0 offset:232
	s_waitcnt vmcnt(2)
	buffer_store_dword v3, off, s[0:3], 0 offset:236
	s_waitcnt vmcnt(1)
	buffer_store_dword v4, v1, s[0:3], 0 offen
	s_waitcnt vmcnt(0)
	buffer_store_dword v5, v1, s[0:3], 0 offen offset:4
.LBB107_306:
	global_load_dword v0, v0, s[12:13] offset:112
	s_waitcnt vmcnt(0)
	v_add_nc_u32_e32 v0, -1, v0
	v_cmp_eq_u32_e32 vcc_lo, 28, v0
	s_cbranch_vccnz .LBB107_308
; %bb.307:
	v_lshlrev_b32_e32 v0, 3, v0
	s_clause 0x3
	buffer_load_dword v1, v0, s[0:3], 0 offen
	buffer_load_dword v2, v0, s[0:3], 0 offen offset:4
	buffer_load_dword v3, off, s[0:3], 0 offset:228
	buffer_load_dword v4, off, s[0:3], 0 offset:224
	s_waitcnt vmcnt(3)
	buffer_store_dword v1, off, s[0:3], 0 offset:224
	s_waitcnt vmcnt(2)
	buffer_store_dword v2, off, s[0:3], 0 offset:228
	s_waitcnt vmcnt(1)
	buffer_store_dword v3, v0, s[0:3], 0 offen offset:4
	s_waitcnt vmcnt(0)
	buffer_store_dword v4, v0, s[0:3], 0 offen
.LBB107_308:
	v_mov_b32_e32 v0, 0
	global_load_dword v1, v0, s[12:13] offset:108
	s_waitcnt vmcnt(0)
	v_add_nc_u32_e32 v1, -1, v1
	v_cmp_eq_u32_e32 vcc_lo, 27, v1
	s_cbranch_vccnz .LBB107_310
; %bb.309:
	v_lshlrev_b32_e32 v1, 3, v1
	s_clause 0x3
	buffer_load_dword v2, v1, s[0:3], 0 offen
	buffer_load_dword v3, v1, s[0:3], 0 offen offset:4
	buffer_load_dword v4, off, s[0:3], 0 offset:216
	buffer_load_dword v5, off, s[0:3], 0 offset:220
	s_waitcnt vmcnt(3)
	buffer_store_dword v2, off, s[0:3], 0 offset:216
	s_waitcnt vmcnt(2)
	buffer_store_dword v3, off, s[0:3], 0 offset:220
	s_waitcnt vmcnt(1)
	buffer_store_dword v4, v1, s[0:3], 0 offen
	s_waitcnt vmcnt(0)
	buffer_store_dword v5, v1, s[0:3], 0 offen offset:4
.LBB107_310:
	global_load_dword v0, v0, s[12:13] offset:104
	s_waitcnt vmcnt(0)
	v_add_nc_u32_e32 v0, -1, v0
	v_cmp_eq_u32_e32 vcc_lo, 26, v0
	s_cbranch_vccnz .LBB107_312
; %bb.311:
	v_lshlrev_b32_e32 v0, 3, v0
	s_clause 0x3
	buffer_load_dword v1, v0, s[0:3], 0 offen
	buffer_load_dword v2, v0, s[0:3], 0 offen offset:4
	buffer_load_dword v3, off, s[0:3], 0 offset:212
	buffer_load_dword v4, off, s[0:3], 0 offset:208
	s_waitcnt vmcnt(3)
	buffer_store_dword v1, off, s[0:3], 0 offset:208
	s_waitcnt vmcnt(2)
	buffer_store_dword v2, off, s[0:3], 0 offset:212
	s_waitcnt vmcnt(1)
	buffer_store_dword v3, v0, s[0:3], 0 offen offset:4
	s_waitcnt vmcnt(0)
	buffer_store_dword v4, v0, s[0:3], 0 offen
.LBB107_312:
	v_mov_b32_e32 v0, 0
	global_load_dword v1, v0, s[12:13] offset:100
	s_waitcnt vmcnt(0)
	v_add_nc_u32_e32 v1, -1, v1
	v_cmp_eq_u32_e32 vcc_lo, 25, v1
	s_cbranch_vccnz .LBB107_314
; %bb.313:
	v_lshlrev_b32_e32 v1, 3, v1
	s_clause 0x3
	buffer_load_dword v2, v1, s[0:3], 0 offen
	buffer_load_dword v3, v1, s[0:3], 0 offen offset:4
	buffer_load_dword v4, off, s[0:3], 0 offset:200
	buffer_load_dword v5, off, s[0:3], 0 offset:204
	s_waitcnt vmcnt(3)
	buffer_store_dword v2, off, s[0:3], 0 offset:200
	s_waitcnt vmcnt(2)
	buffer_store_dword v3, off, s[0:3], 0 offset:204
	s_waitcnt vmcnt(1)
	buffer_store_dword v4, v1, s[0:3], 0 offen
	s_waitcnt vmcnt(0)
	buffer_store_dword v5, v1, s[0:3], 0 offen offset:4
.LBB107_314:
	global_load_dword v0, v0, s[12:13] offset:96
	s_waitcnt vmcnt(0)
	v_add_nc_u32_e32 v0, -1, v0
	v_cmp_eq_u32_e32 vcc_lo, 24, v0
	s_cbranch_vccnz .LBB107_316
; %bb.315:
	v_lshlrev_b32_e32 v0, 3, v0
	s_clause 0x3
	buffer_load_dword v1, v0, s[0:3], 0 offen
	buffer_load_dword v2, v0, s[0:3], 0 offen offset:4
	buffer_load_dword v3, off, s[0:3], 0 offset:196
	buffer_load_dword v4, off, s[0:3], 0 offset:192
	s_waitcnt vmcnt(3)
	buffer_store_dword v1, off, s[0:3], 0 offset:192
	s_waitcnt vmcnt(2)
	buffer_store_dword v2, off, s[0:3], 0 offset:196
	s_waitcnt vmcnt(1)
	buffer_store_dword v3, v0, s[0:3], 0 offen offset:4
	s_waitcnt vmcnt(0)
	buffer_store_dword v4, v0, s[0:3], 0 offen
.LBB107_316:
	v_mov_b32_e32 v0, 0
	global_load_dword v1, v0, s[12:13] offset:92
	s_waitcnt vmcnt(0)
	v_add_nc_u32_e32 v1, -1, v1
	v_cmp_eq_u32_e32 vcc_lo, 23, v1
	s_cbranch_vccnz .LBB107_318
; %bb.317:
	v_lshlrev_b32_e32 v1, 3, v1
	s_clause 0x3
	buffer_load_dword v2, v1, s[0:3], 0 offen
	buffer_load_dword v3, v1, s[0:3], 0 offen offset:4
	buffer_load_dword v4, off, s[0:3], 0 offset:184
	buffer_load_dword v5, off, s[0:3], 0 offset:188
	s_waitcnt vmcnt(3)
	buffer_store_dword v2, off, s[0:3], 0 offset:184
	s_waitcnt vmcnt(2)
	buffer_store_dword v3, off, s[0:3], 0 offset:188
	s_waitcnt vmcnt(1)
	buffer_store_dword v4, v1, s[0:3], 0 offen
	s_waitcnt vmcnt(0)
	buffer_store_dword v5, v1, s[0:3], 0 offen offset:4
.LBB107_318:
	global_load_dword v0, v0, s[12:13] offset:88
	s_waitcnt vmcnt(0)
	v_add_nc_u32_e32 v0, -1, v0
	v_cmp_eq_u32_e32 vcc_lo, 22, v0
	s_cbranch_vccnz .LBB107_320
; %bb.319:
	v_lshlrev_b32_e32 v0, 3, v0
	s_clause 0x3
	buffer_load_dword v1, v0, s[0:3], 0 offen
	buffer_load_dword v2, v0, s[0:3], 0 offen offset:4
	buffer_load_dword v3, off, s[0:3], 0 offset:180
	buffer_load_dword v4, off, s[0:3], 0 offset:176
	s_waitcnt vmcnt(3)
	buffer_store_dword v1, off, s[0:3], 0 offset:176
	s_waitcnt vmcnt(2)
	buffer_store_dword v2, off, s[0:3], 0 offset:180
	s_waitcnt vmcnt(1)
	buffer_store_dword v3, v0, s[0:3], 0 offen offset:4
	s_waitcnt vmcnt(0)
	buffer_store_dword v4, v0, s[0:3], 0 offen
.LBB107_320:
	v_mov_b32_e32 v0, 0
	global_load_dword v1, v0, s[12:13] offset:84
	s_waitcnt vmcnt(0)
	v_add_nc_u32_e32 v1, -1, v1
	v_cmp_eq_u32_e32 vcc_lo, 21, v1
	s_cbranch_vccnz .LBB107_322
; %bb.321:
	v_lshlrev_b32_e32 v1, 3, v1
	s_clause 0x3
	buffer_load_dword v2, v1, s[0:3], 0 offen
	buffer_load_dword v3, v1, s[0:3], 0 offen offset:4
	buffer_load_dword v4, off, s[0:3], 0 offset:168
	buffer_load_dword v5, off, s[0:3], 0 offset:172
	s_waitcnt vmcnt(3)
	buffer_store_dword v2, off, s[0:3], 0 offset:168
	s_waitcnt vmcnt(2)
	buffer_store_dword v3, off, s[0:3], 0 offset:172
	s_waitcnt vmcnt(1)
	buffer_store_dword v4, v1, s[0:3], 0 offen
	s_waitcnt vmcnt(0)
	buffer_store_dword v5, v1, s[0:3], 0 offen offset:4
.LBB107_322:
	global_load_dword v0, v0, s[12:13] offset:80
	s_waitcnt vmcnt(0)
	v_add_nc_u32_e32 v0, -1, v0
	v_cmp_eq_u32_e32 vcc_lo, 20, v0
	s_cbranch_vccnz .LBB107_324
; %bb.323:
	v_lshlrev_b32_e32 v0, 3, v0
	s_clause 0x3
	buffer_load_dword v1, v0, s[0:3], 0 offen
	buffer_load_dword v2, v0, s[0:3], 0 offen offset:4
	buffer_load_dword v3, off, s[0:3], 0 offset:164
	buffer_load_dword v4, off, s[0:3], 0 offset:160
	s_waitcnt vmcnt(3)
	buffer_store_dword v1, off, s[0:3], 0 offset:160
	s_waitcnt vmcnt(2)
	buffer_store_dword v2, off, s[0:3], 0 offset:164
	s_waitcnt vmcnt(1)
	buffer_store_dword v3, v0, s[0:3], 0 offen offset:4
	s_waitcnt vmcnt(0)
	buffer_store_dword v4, v0, s[0:3], 0 offen
.LBB107_324:
	v_mov_b32_e32 v0, 0
	global_load_dword v1, v0, s[12:13] offset:76
	s_waitcnt vmcnt(0)
	v_add_nc_u32_e32 v1, -1, v1
	v_cmp_eq_u32_e32 vcc_lo, 19, v1
	s_cbranch_vccnz .LBB107_326
; %bb.325:
	v_lshlrev_b32_e32 v1, 3, v1
	s_clause 0x3
	buffer_load_dword v2, v1, s[0:3], 0 offen
	buffer_load_dword v3, v1, s[0:3], 0 offen offset:4
	buffer_load_dword v4, off, s[0:3], 0 offset:152
	buffer_load_dword v5, off, s[0:3], 0 offset:156
	s_waitcnt vmcnt(3)
	buffer_store_dword v2, off, s[0:3], 0 offset:152
	s_waitcnt vmcnt(2)
	buffer_store_dword v3, off, s[0:3], 0 offset:156
	s_waitcnt vmcnt(1)
	buffer_store_dword v4, v1, s[0:3], 0 offen
	s_waitcnt vmcnt(0)
	buffer_store_dword v5, v1, s[0:3], 0 offen offset:4
.LBB107_326:
	global_load_dword v0, v0, s[12:13] offset:72
	s_waitcnt vmcnt(0)
	v_add_nc_u32_e32 v0, -1, v0
	v_cmp_eq_u32_e32 vcc_lo, 18, v0
	s_cbranch_vccnz .LBB107_328
; %bb.327:
	v_lshlrev_b32_e32 v0, 3, v0
	s_clause 0x3
	buffer_load_dword v1, v0, s[0:3], 0 offen
	buffer_load_dword v2, v0, s[0:3], 0 offen offset:4
	buffer_load_dword v3, off, s[0:3], 0 offset:148
	buffer_load_dword v4, off, s[0:3], 0 offset:144
	s_waitcnt vmcnt(3)
	buffer_store_dword v1, off, s[0:3], 0 offset:144
	s_waitcnt vmcnt(2)
	buffer_store_dword v2, off, s[0:3], 0 offset:148
	s_waitcnt vmcnt(1)
	buffer_store_dword v3, v0, s[0:3], 0 offen offset:4
	s_waitcnt vmcnt(0)
	buffer_store_dword v4, v0, s[0:3], 0 offen
.LBB107_328:
	v_mov_b32_e32 v0, 0
	global_load_dword v1, v0, s[12:13] offset:68
	s_waitcnt vmcnt(0)
	v_add_nc_u32_e32 v1, -1, v1
	v_cmp_eq_u32_e32 vcc_lo, 17, v1
	s_cbranch_vccnz .LBB107_330
; %bb.329:
	v_lshlrev_b32_e32 v1, 3, v1
	s_clause 0x3
	buffer_load_dword v2, v1, s[0:3], 0 offen
	buffer_load_dword v3, v1, s[0:3], 0 offen offset:4
	buffer_load_dword v4, off, s[0:3], 0 offset:136
	buffer_load_dword v5, off, s[0:3], 0 offset:140
	s_waitcnt vmcnt(3)
	buffer_store_dword v2, off, s[0:3], 0 offset:136
	s_waitcnt vmcnt(2)
	buffer_store_dword v3, off, s[0:3], 0 offset:140
	s_waitcnt vmcnt(1)
	buffer_store_dword v4, v1, s[0:3], 0 offen
	s_waitcnt vmcnt(0)
	buffer_store_dword v5, v1, s[0:3], 0 offen offset:4
.LBB107_330:
	global_load_dword v0, v0, s[12:13] offset:64
	s_waitcnt vmcnt(0)
	v_add_nc_u32_e32 v0, -1, v0
	v_cmp_eq_u32_e32 vcc_lo, 16, v0
	s_cbranch_vccnz .LBB107_332
; %bb.331:
	v_lshlrev_b32_e32 v0, 3, v0
	s_clause 0x3
	buffer_load_dword v1, v0, s[0:3], 0 offen
	buffer_load_dword v2, v0, s[0:3], 0 offen offset:4
	buffer_load_dword v3, off, s[0:3], 0 offset:132
	buffer_load_dword v4, off, s[0:3], 0 offset:128
	s_waitcnt vmcnt(3)
	buffer_store_dword v1, off, s[0:3], 0 offset:128
	s_waitcnt vmcnt(2)
	buffer_store_dword v2, off, s[0:3], 0 offset:132
	s_waitcnt vmcnt(1)
	buffer_store_dword v3, v0, s[0:3], 0 offen offset:4
	s_waitcnt vmcnt(0)
	buffer_store_dword v4, v0, s[0:3], 0 offen
.LBB107_332:
	v_mov_b32_e32 v0, 0
	global_load_dword v1, v0, s[12:13] offset:60
	s_waitcnt vmcnt(0)
	v_add_nc_u32_e32 v1, -1, v1
	v_cmp_eq_u32_e32 vcc_lo, 15, v1
	s_cbranch_vccnz .LBB107_334
; %bb.333:
	v_lshlrev_b32_e32 v1, 3, v1
	s_clause 0x3
	buffer_load_dword v2, v1, s[0:3], 0 offen
	buffer_load_dword v3, v1, s[0:3], 0 offen offset:4
	buffer_load_dword v4, off, s[0:3], 0 offset:120
	buffer_load_dword v5, off, s[0:3], 0 offset:124
	s_waitcnt vmcnt(3)
	buffer_store_dword v2, off, s[0:3], 0 offset:120
	s_waitcnt vmcnt(2)
	buffer_store_dword v3, off, s[0:3], 0 offset:124
	s_waitcnt vmcnt(1)
	buffer_store_dword v4, v1, s[0:3], 0 offen
	s_waitcnt vmcnt(0)
	buffer_store_dword v5, v1, s[0:3], 0 offen offset:4
.LBB107_334:
	global_load_dword v0, v0, s[12:13] offset:56
	s_waitcnt vmcnt(0)
	v_add_nc_u32_e32 v0, -1, v0
	v_cmp_eq_u32_e32 vcc_lo, 14, v0
	s_cbranch_vccnz .LBB107_336
; %bb.335:
	v_lshlrev_b32_e32 v0, 3, v0
	s_clause 0x3
	buffer_load_dword v1, v0, s[0:3], 0 offen
	buffer_load_dword v2, v0, s[0:3], 0 offen offset:4
	buffer_load_dword v3, off, s[0:3], 0 offset:116
	buffer_load_dword v4, off, s[0:3], 0 offset:112
	s_waitcnt vmcnt(3)
	buffer_store_dword v1, off, s[0:3], 0 offset:112
	s_waitcnt vmcnt(2)
	buffer_store_dword v2, off, s[0:3], 0 offset:116
	s_waitcnt vmcnt(1)
	buffer_store_dword v3, v0, s[0:3], 0 offen offset:4
	s_waitcnt vmcnt(0)
	buffer_store_dword v4, v0, s[0:3], 0 offen
.LBB107_336:
	v_mov_b32_e32 v0, 0
	global_load_dword v1, v0, s[12:13] offset:52
	s_waitcnt vmcnt(0)
	v_add_nc_u32_e32 v1, -1, v1
	v_cmp_eq_u32_e32 vcc_lo, 13, v1
	s_cbranch_vccnz .LBB107_338
; %bb.337:
	v_lshlrev_b32_e32 v1, 3, v1
	s_clause 0x3
	buffer_load_dword v2, v1, s[0:3], 0 offen
	buffer_load_dword v3, v1, s[0:3], 0 offen offset:4
	buffer_load_dword v4, off, s[0:3], 0 offset:104
	buffer_load_dword v5, off, s[0:3], 0 offset:108
	s_waitcnt vmcnt(3)
	buffer_store_dword v2, off, s[0:3], 0 offset:104
	s_waitcnt vmcnt(2)
	buffer_store_dword v3, off, s[0:3], 0 offset:108
	s_waitcnt vmcnt(1)
	buffer_store_dword v4, v1, s[0:3], 0 offen
	s_waitcnt vmcnt(0)
	buffer_store_dword v5, v1, s[0:3], 0 offen offset:4
.LBB107_338:
	global_load_dword v0, v0, s[12:13] offset:48
	s_waitcnt vmcnt(0)
	v_add_nc_u32_e32 v0, -1, v0
	v_cmp_eq_u32_e32 vcc_lo, 12, v0
	s_cbranch_vccnz .LBB107_340
; %bb.339:
	v_lshlrev_b32_e32 v0, 3, v0
	s_clause 0x3
	buffer_load_dword v1, v0, s[0:3], 0 offen
	buffer_load_dword v2, v0, s[0:3], 0 offen offset:4
	buffer_load_dword v3, off, s[0:3], 0 offset:100
	buffer_load_dword v4, off, s[0:3], 0 offset:96
	s_waitcnt vmcnt(3)
	buffer_store_dword v1, off, s[0:3], 0 offset:96
	s_waitcnt vmcnt(2)
	buffer_store_dword v2, off, s[0:3], 0 offset:100
	s_waitcnt vmcnt(1)
	buffer_store_dword v3, v0, s[0:3], 0 offen offset:4
	s_waitcnt vmcnt(0)
	buffer_store_dword v4, v0, s[0:3], 0 offen
.LBB107_340:
	v_mov_b32_e32 v0, 0
	global_load_dword v1, v0, s[12:13] offset:44
	s_waitcnt vmcnt(0)
	v_add_nc_u32_e32 v1, -1, v1
	v_cmp_eq_u32_e32 vcc_lo, 11, v1
	s_cbranch_vccnz .LBB107_342
; %bb.341:
	v_lshlrev_b32_e32 v1, 3, v1
	s_clause 0x3
	buffer_load_dword v2, v1, s[0:3], 0 offen
	buffer_load_dword v3, v1, s[0:3], 0 offen offset:4
	buffer_load_dword v4, off, s[0:3], 0 offset:88
	buffer_load_dword v5, off, s[0:3], 0 offset:92
	s_waitcnt vmcnt(3)
	buffer_store_dword v2, off, s[0:3], 0 offset:88
	s_waitcnt vmcnt(2)
	buffer_store_dword v3, off, s[0:3], 0 offset:92
	s_waitcnt vmcnt(1)
	buffer_store_dword v4, v1, s[0:3], 0 offen
	s_waitcnt vmcnt(0)
	buffer_store_dword v5, v1, s[0:3], 0 offen offset:4
.LBB107_342:
	global_load_dword v0, v0, s[12:13] offset:40
	s_waitcnt vmcnt(0)
	v_add_nc_u32_e32 v0, -1, v0
	v_cmp_eq_u32_e32 vcc_lo, 10, v0
	s_cbranch_vccnz .LBB107_344
; %bb.343:
	v_lshlrev_b32_e32 v0, 3, v0
	s_clause 0x3
	buffer_load_dword v1, v0, s[0:3], 0 offen
	buffer_load_dword v2, v0, s[0:3], 0 offen offset:4
	buffer_load_dword v3, off, s[0:3], 0 offset:84
	buffer_load_dword v4, off, s[0:3], 0 offset:80
	s_waitcnt vmcnt(3)
	buffer_store_dword v1, off, s[0:3], 0 offset:80
	s_waitcnt vmcnt(2)
	buffer_store_dword v2, off, s[0:3], 0 offset:84
	s_waitcnt vmcnt(1)
	buffer_store_dword v3, v0, s[0:3], 0 offen offset:4
	s_waitcnt vmcnt(0)
	buffer_store_dword v4, v0, s[0:3], 0 offen
.LBB107_344:
	v_mov_b32_e32 v0, 0
	global_load_dword v1, v0, s[12:13] offset:36
	s_waitcnt vmcnt(0)
	v_add_nc_u32_e32 v1, -1, v1
	v_cmp_eq_u32_e32 vcc_lo, 9, v1
	s_cbranch_vccnz .LBB107_346
; %bb.345:
	v_lshlrev_b32_e32 v1, 3, v1
	s_clause 0x3
	buffer_load_dword v2, v1, s[0:3], 0 offen
	buffer_load_dword v3, v1, s[0:3], 0 offen offset:4
	buffer_load_dword v4, off, s[0:3], 0 offset:72
	buffer_load_dword v5, off, s[0:3], 0 offset:76
	s_waitcnt vmcnt(3)
	buffer_store_dword v2, off, s[0:3], 0 offset:72
	s_waitcnt vmcnt(2)
	buffer_store_dword v3, off, s[0:3], 0 offset:76
	s_waitcnt vmcnt(1)
	buffer_store_dword v4, v1, s[0:3], 0 offen
	s_waitcnt vmcnt(0)
	buffer_store_dword v5, v1, s[0:3], 0 offen offset:4
.LBB107_346:
	global_load_dword v0, v0, s[12:13] offset:32
	s_waitcnt vmcnt(0)
	v_add_nc_u32_e32 v0, -1, v0
	v_cmp_eq_u32_e32 vcc_lo, 8, v0
	s_cbranch_vccnz .LBB107_348
; %bb.347:
	v_lshlrev_b32_e32 v0, 3, v0
	s_clause 0x3
	buffer_load_dword v1, v0, s[0:3], 0 offen
	buffer_load_dword v2, v0, s[0:3], 0 offen offset:4
	buffer_load_dword v3, off, s[0:3], 0 offset:68
	buffer_load_dword v4, off, s[0:3], 0 offset:64
	s_waitcnt vmcnt(3)
	buffer_store_dword v1, off, s[0:3], 0 offset:64
	s_waitcnt vmcnt(2)
	buffer_store_dword v2, off, s[0:3], 0 offset:68
	s_waitcnt vmcnt(1)
	buffer_store_dword v3, v0, s[0:3], 0 offen offset:4
	s_waitcnt vmcnt(0)
	buffer_store_dword v4, v0, s[0:3], 0 offen
.LBB107_348:
	v_mov_b32_e32 v0, 0
	global_load_dword v1, v0, s[12:13] offset:28
	s_waitcnt vmcnt(0)
	v_add_nc_u32_e32 v1, -1, v1
	v_cmp_eq_u32_e32 vcc_lo, 7, v1
	s_cbranch_vccnz .LBB107_350
; %bb.349:
	v_lshlrev_b32_e32 v1, 3, v1
	s_clause 0x3
	buffer_load_dword v2, v1, s[0:3], 0 offen
	buffer_load_dword v3, v1, s[0:3], 0 offen offset:4
	buffer_load_dword v4, off, s[0:3], 0 offset:56
	buffer_load_dword v5, off, s[0:3], 0 offset:60
	s_waitcnt vmcnt(3)
	buffer_store_dword v2, off, s[0:3], 0 offset:56
	s_waitcnt vmcnt(2)
	buffer_store_dword v3, off, s[0:3], 0 offset:60
	s_waitcnt vmcnt(1)
	buffer_store_dword v4, v1, s[0:3], 0 offen
	s_waitcnt vmcnt(0)
	buffer_store_dword v5, v1, s[0:3], 0 offen offset:4
.LBB107_350:
	global_load_dword v0, v0, s[12:13] offset:24
	s_waitcnt vmcnt(0)
	v_add_nc_u32_e32 v0, -1, v0
	v_cmp_eq_u32_e32 vcc_lo, 6, v0
	s_cbranch_vccnz .LBB107_352
; %bb.351:
	v_lshlrev_b32_e32 v0, 3, v0
	s_clause 0x3
	buffer_load_dword v1, v0, s[0:3], 0 offen
	buffer_load_dword v2, v0, s[0:3], 0 offen offset:4
	buffer_load_dword v3, off, s[0:3], 0 offset:52
	buffer_load_dword v4, off, s[0:3], 0 offset:48
	s_waitcnt vmcnt(3)
	buffer_store_dword v1, off, s[0:3], 0 offset:48
	s_waitcnt vmcnt(2)
	buffer_store_dword v2, off, s[0:3], 0 offset:52
	s_waitcnt vmcnt(1)
	buffer_store_dword v3, v0, s[0:3], 0 offen offset:4
	s_waitcnt vmcnt(0)
	buffer_store_dword v4, v0, s[0:3], 0 offen
.LBB107_352:
	v_mov_b32_e32 v0, 0
	global_load_dword v1, v0, s[12:13] offset:20
	s_waitcnt vmcnt(0)
	v_add_nc_u32_e32 v1, -1, v1
	v_cmp_eq_u32_e32 vcc_lo, 5, v1
	s_cbranch_vccnz .LBB107_354
; %bb.353:
	v_lshlrev_b32_e32 v1, 3, v1
	s_clause 0x3
	buffer_load_dword v2, v1, s[0:3], 0 offen
	buffer_load_dword v3, v1, s[0:3], 0 offen offset:4
	buffer_load_dword v4, off, s[0:3], 0 offset:40
	buffer_load_dword v5, off, s[0:3], 0 offset:44
	s_waitcnt vmcnt(3)
	buffer_store_dword v2, off, s[0:3], 0 offset:40
	s_waitcnt vmcnt(2)
	buffer_store_dword v3, off, s[0:3], 0 offset:44
	s_waitcnt vmcnt(1)
	buffer_store_dword v4, v1, s[0:3], 0 offen
	s_waitcnt vmcnt(0)
	buffer_store_dword v5, v1, s[0:3], 0 offen offset:4
.LBB107_354:
	global_load_dword v0, v0, s[12:13] offset:16
	s_waitcnt vmcnt(0)
	v_add_nc_u32_e32 v0, -1, v0
	v_cmp_eq_u32_e32 vcc_lo, 4, v0
	s_cbranch_vccnz .LBB107_356
; %bb.355:
	v_lshlrev_b32_e32 v0, 3, v0
	s_clause 0x3
	buffer_load_dword v1, v0, s[0:3], 0 offen
	buffer_load_dword v2, v0, s[0:3], 0 offen offset:4
	buffer_load_dword v3, off, s[0:3], 0 offset:36
	buffer_load_dword v4, off, s[0:3], 0 offset:32
	s_waitcnt vmcnt(3)
	buffer_store_dword v1, off, s[0:3], 0 offset:32
	s_waitcnt vmcnt(2)
	buffer_store_dword v2, off, s[0:3], 0 offset:36
	s_waitcnt vmcnt(1)
	buffer_store_dword v3, v0, s[0:3], 0 offen offset:4
	s_waitcnt vmcnt(0)
	buffer_store_dword v4, v0, s[0:3], 0 offen
.LBB107_356:
	v_mov_b32_e32 v0, 0
	global_load_dword v1, v0, s[12:13] offset:12
	s_waitcnt vmcnt(0)
	v_add_nc_u32_e32 v1, -1, v1
	v_cmp_eq_u32_e32 vcc_lo, 3, v1
	s_cbranch_vccnz .LBB107_358
; %bb.357:
	v_lshlrev_b32_e32 v1, 3, v1
	s_clause 0x3
	buffer_load_dword v2, v1, s[0:3], 0 offen
	buffer_load_dword v3, v1, s[0:3], 0 offen offset:4
	buffer_load_dword v4, off, s[0:3], 0 offset:24
	buffer_load_dword v5, off, s[0:3], 0 offset:28
	s_waitcnt vmcnt(3)
	buffer_store_dword v2, off, s[0:3], 0 offset:24
	s_waitcnt vmcnt(2)
	buffer_store_dword v3, off, s[0:3], 0 offset:28
	s_waitcnt vmcnt(1)
	buffer_store_dword v4, v1, s[0:3], 0 offen
	s_waitcnt vmcnt(0)
	buffer_store_dword v5, v1, s[0:3], 0 offen offset:4
.LBB107_358:
	global_load_dword v0, v0, s[12:13] offset:8
	s_waitcnt vmcnt(0)
	v_add_nc_u32_e32 v0, -1, v0
	v_cmp_eq_u32_e32 vcc_lo, 2, v0
	s_cbranch_vccnz .LBB107_360
; %bb.359:
	v_lshlrev_b32_e32 v0, 3, v0
	s_clause 0x3
	buffer_load_dword v1, v0, s[0:3], 0 offen
	buffer_load_dword v2, v0, s[0:3], 0 offen offset:4
	buffer_load_dword v3, off, s[0:3], 0 offset:20
	buffer_load_dword v4, off, s[0:3], 0 offset:16
	s_waitcnt vmcnt(3)
	buffer_store_dword v1, off, s[0:3], 0 offset:16
	s_waitcnt vmcnt(2)
	buffer_store_dword v2, off, s[0:3], 0 offset:20
	s_waitcnt vmcnt(1)
	buffer_store_dword v3, v0, s[0:3], 0 offen offset:4
	s_waitcnt vmcnt(0)
	buffer_store_dword v4, v0, s[0:3], 0 offen
.LBB107_360:
	v_mov_b32_e32 v0, 0
	global_load_dword v1, v0, s[12:13] offset:4
	s_waitcnt vmcnt(0)
	v_add_nc_u32_e32 v1, -1, v1
	v_cmp_eq_u32_e32 vcc_lo, 1, v1
	s_cbranch_vccnz .LBB107_362
; %bb.361:
	v_lshlrev_b32_e32 v1, 3, v1
	s_clause 0x3
	buffer_load_dword v2, v1, s[0:3], 0 offen
	buffer_load_dword v3, v1, s[0:3], 0 offen offset:4
	buffer_load_dword v4, off, s[0:3], 0 offset:8
	buffer_load_dword v5, off, s[0:3], 0 offset:12
	s_waitcnt vmcnt(3)
	buffer_store_dword v2, off, s[0:3], 0 offset:8
	s_waitcnt vmcnt(2)
	buffer_store_dword v3, off, s[0:3], 0 offset:12
	s_waitcnt vmcnt(1)
	buffer_store_dword v4, v1, s[0:3], 0 offen
	s_waitcnt vmcnt(0)
	buffer_store_dword v5, v1, s[0:3], 0 offen offset:4
.LBB107_362:
	global_load_dword v0, v0, s[12:13]
	s_waitcnt vmcnt(0)
	v_add_nc_u32_e32 v0, -1, v0
	v_cmp_eq_u32_e32 vcc_lo, 0, v0
	s_cbranch_vccnz .LBB107_364
; %bb.363:
	v_lshlrev_b32_e32 v0, 3, v0
	s_clause 0x3
	buffer_load_dword v1, v0, s[0:3], 0 offen
	buffer_load_dword v2, v0, s[0:3], 0 offen offset:4
	buffer_load_dword v3, off, s[0:3], 0 offset:4
	buffer_load_dword v4, off, s[0:3], 0
	s_waitcnt vmcnt(3)
	buffer_store_dword v1, off, s[0:3], 0
	s_waitcnt vmcnt(2)
	buffer_store_dword v2, off, s[0:3], 0 offset:4
	s_waitcnt vmcnt(1)
	buffer_store_dword v3, v0, s[0:3], 0 offen offset:4
	s_waitcnt vmcnt(0)
	buffer_store_dword v4, v0, s[0:3], 0 offen
.LBB107_364:
	s_clause 0x1
	buffer_load_dword v0, off, s[0:3], 0
	buffer_load_dword v1, off, s[0:3], 0 offset:4
	s_waitcnt vmcnt(0)
	flat_store_dwordx2 v[9:10], v[0:1]
	s_clause 0x1
	buffer_load_dword v0, off, s[0:3], 0 offset:8
	buffer_load_dword v1, off, s[0:3], 0 offset:12
	s_waitcnt vmcnt(0)
	flat_store_dwordx2 v[11:12], v[0:1]
	s_clause 0x1
	buffer_load_dword v0, off, s[0:3], 0 offset:16
	;; [unrolled: 5-line block ×43, first 2 shown]
	buffer_load_dword v1, off, s[0:3], 0 offset:348
	s_waitcnt vmcnt(0)
	flat_store_dwordx2 v[95:96], v[0:1]
	s_endpgm
	.section	.rodata,"a",@progbits
	.p2align	6, 0x0
	.amdhsa_kernel _ZN9rocsolver6v33100L18getri_kernel_smallILi44E19rocblas_complex_numIfEPKPS3_EEvT1_iilPiilS8_bb
		.amdhsa_group_segment_fixed_size 708
		.amdhsa_private_segment_fixed_size 368
		.amdhsa_kernarg_size 60
		.amdhsa_user_sgpr_count 6
		.amdhsa_user_sgpr_private_segment_buffer 1
		.amdhsa_user_sgpr_dispatch_ptr 0
		.amdhsa_user_sgpr_queue_ptr 0
		.amdhsa_user_sgpr_kernarg_segment_ptr 1
		.amdhsa_user_sgpr_dispatch_id 0
		.amdhsa_user_sgpr_flat_scratch_init 0
		.amdhsa_user_sgpr_private_segment_size 0
		.amdhsa_wavefront_size32 1
		.amdhsa_uses_dynamic_stack 0
		.amdhsa_system_sgpr_private_segment_wavefront_offset 1
		.amdhsa_system_sgpr_workgroup_id_x 1
		.amdhsa_system_sgpr_workgroup_id_y 0
		.amdhsa_system_sgpr_workgroup_id_z 0
		.amdhsa_system_sgpr_workgroup_info 0
		.amdhsa_system_vgpr_workitem_id 0
		.amdhsa_next_free_vgpr 252
		.amdhsa_next_free_sgpr 20
		.amdhsa_reserve_vcc 1
		.amdhsa_reserve_flat_scratch 0
		.amdhsa_float_round_mode_32 0
		.amdhsa_float_round_mode_16_64 0
		.amdhsa_float_denorm_mode_32 3
		.amdhsa_float_denorm_mode_16_64 3
		.amdhsa_dx10_clamp 1
		.amdhsa_ieee_mode 1
		.amdhsa_fp16_overflow 0
		.amdhsa_workgroup_processor_mode 1
		.amdhsa_memory_ordered 1
		.amdhsa_forward_progress 1
		.amdhsa_shared_vgpr_count 0
		.amdhsa_exception_fp_ieee_invalid_op 0
		.amdhsa_exception_fp_denorm_src 0
		.amdhsa_exception_fp_ieee_div_zero 0
		.amdhsa_exception_fp_ieee_overflow 0
		.amdhsa_exception_fp_ieee_underflow 0
		.amdhsa_exception_fp_ieee_inexact 0
		.amdhsa_exception_int_div_zero 0
	.end_amdhsa_kernel
	.section	.text._ZN9rocsolver6v33100L18getri_kernel_smallILi44E19rocblas_complex_numIfEPKPS3_EEvT1_iilPiilS8_bb,"axG",@progbits,_ZN9rocsolver6v33100L18getri_kernel_smallILi44E19rocblas_complex_numIfEPKPS3_EEvT1_iilPiilS8_bb,comdat
.Lfunc_end107:
	.size	_ZN9rocsolver6v33100L18getri_kernel_smallILi44E19rocblas_complex_numIfEPKPS3_EEvT1_iilPiilS8_bb, .Lfunc_end107-_ZN9rocsolver6v33100L18getri_kernel_smallILi44E19rocblas_complex_numIfEPKPS3_EEvT1_iilPiilS8_bb
                                        ; -- End function
	.set _ZN9rocsolver6v33100L18getri_kernel_smallILi44E19rocblas_complex_numIfEPKPS3_EEvT1_iilPiilS8_bb.num_vgpr, 252
	.set _ZN9rocsolver6v33100L18getri_kernel_smallILi44E19rocblas_complex_numIfEPKPS3_EEvT1_iilPiilS8_bb.num_agpr, 0
	.set _ZN9rocsolver6v33100L18getri_kernel_smallILi44E19rocblas_complex_numIfEPKPS3_EEvT1_iilPiilS8_bb.numbered_sgpr, 20
	.set _ZN9rocsolver6v33100L18getri_kernel_smallILi44E19rocblas_complex_numIfEPKPS3_EEvT1_iilPiilS8_bb.num_named_barrier, 0
	.set _ZN9rocsolver6v33100L18getri_kernel_smallILi44E19rocblas_complex_numIfEPKPS3_EEvT1_iilPiilS8_bb.private_seg_size, 368
	.set _ZN9rocsolver6v33100L18getri_kernel_smallILi44E19rocblas_complex_numIfEPKPS3_EEvT1_iilPiilS8_bb.uses_vcc, 1
	.set _ZN9rocsolver6v33100L18getri_kernel_smallILi44E19rocblas_complex_numIfEPKPS3_EEvT1_iilPiilS8_bb.uses_flat_scratch, 0
	.set _ZN9rocsolver6v33100L18getri_kernel_smallILi44E19rocblas_complex_numIfEPKPS3_EEvT1_iilPiilS8_bb.has_dyn_sized_stack, 0
	.set _ZN9rocsolver6v33100L18getri_kernel_smallILi44E19rocblas_complex_numIfEPKPS3_EEvT1_iilPiilS8_bb.has_recursion, 0
	.set _ZN9rocsolver6v33100L18getri_kernel_smallILi44E19rocblas_complex_numIfEPKPS3_EEvT1_iilPiilS8_bb.has_indirect_call, 0
	.section	.AMDGPU.csdata,"",@progbits
; Kernel info:
; codeLenInByte = 78796
; TotalNumSgprs: 22
; NumVgprs: 252
; ScratchSize: 368
; MemoryBound: 0
; FloatMode: 240
; IeeeMode: 1
; LDSByteSize: 708 bytes/workgroup (compile time only)
; SGPRBlocks: 0
; VGPRBlocks: 31
; NumSGPRsForWavesPerEU: 22
; NumVGPRsForWavesPerEU: 252
; Occupancy: 4
; WaveLimiterHint : 1
; COMPUTE_PGM_RSRC2:SCRATCH_EN: 1
; COMPUTE_PGM_RSRC2:USER_SGPR: 6
; COMPUTE_PGM_RSRC2:TRAP_HANDLER: 0
; COMPUTE_PGM_RSRC2:TGID_X_EN: 1
; COMPUTE_PGM_RSRC2:TGID_Y_EN: 0
; COMPUTE_PGM_RSRC2:TGID_Z_EN: 0
; COMPUTE_PGM_RSRC2:TIDIG_COMP_CNT: 0
	.section	.text._ZN9rocsolver6v33100L18getri_kernel_smallILi45E19rocblas_complex_numIfEPKPS3_EEvT1_iilPiilS8_bb,"axG",@progbits,_ZN9rocsolver6v33100L18getri_kernel_smallILi45E19rocblas_complex_numIfEPKPS3_EEvT1_iilPiilS8_bb,comdat
	.globl	_ZN9rocsolver6v33100L18getri_kernel_smallILi45E19rocblas_complex_numIfEPKPS3_EEvT1_iilPiilS8_bb ; -- Begin function _ZN9rocsolver6v33100L18getri_kernel_smallILi45E19rocblas_complex_numIfEPKPS3_EEvT1_iilPiilS8_bb
	.p2align	8
	.type	_ZN9rocsolver6v33100L18getri_kernel_smallILi45E19rocblas_complex_numIfEPKPS3_EEvT1_iilPiilS8_bb,@function
_ZN9rocsolver6v33100L18getri_kernel_smallILi45E19rocblas_complex_numIfEPKPS3_EEvT1_iilPiilS8_bb: ; @_ZN9rocsolver6v33100L18getri_kernel_smallILi45E19rocblas_complex_numIfEPKPS3_EEvT1_iilPiilS8_bb
; %bb.0:
	s_add_u32 s0, s0, s7
	s_addc_u32 s1, s1, 0
	s_mov_b32 s7, exec_lo
	v_cmpx_gt_u32_e32 45, v0
	s_cbranch_execz .LBB108_194
; %bb.1:
	s_clause 0x2
	s_load_dword s17, s[4:5], 0x38
	s_load_dwordx2 s[12:13], s[4:5], 0x0
	s_load_dwordx4 s[8:11], s[4:5], 0x28
	s_waitcnt lgkmcnt(0)
	s_bitcmp1_b32 s17, 8
	s_cselect_b32 s16, -1, 0
	s_ashr_i32 s7, s6, 31
	s_lshl_b64 s[14:15], s[6:7], 3
	s_add_u32 s12, s12, s14
	s_addc_u32 s13, s13, s15
	s_load_dwordx2 s[14:15], s[12:13], 0x0
	s_bfe_u32 s12, s17, 0x10008
	s_cmp_eq_u32 s12, 0
                                        ; implicit-def: $sgpr12_sgpr13
	s_cbranch_scc1 .LBB108_3
; %bb.2:
	s_clause 0x1
	s_load_dword s12, s[4:5], 0x20
	s_load_dwordx2 s[18:19], s[4:5], 0x18
	s_mul_i32 s13, s8, s7
	s_mul_hi_u32 s17, s8, s6
	s_mul_i32 s9, s9, s6
	s_add_i32 s13, s17, s13
	s_mul_i32 s8, s8, s6
	s_add_i32 s9, s13, s9
	s_lshl_b64 s[8:9], s[8:9], 2
	s_waitcnt lgkmcnt(0)
	s_ashr_i32 s13, s12, 31
	s_add_u32 s17, s18, s8
	s_addc_u32 s18, s19, s9
	s_lshl_b64 s[8:9], s[12:13], 2
	s_add_u32 s12, s17, s8
	s_addc_u32 s13, s18, s9
.LBB108_3:
	s_clause 0x1
	s_load_dwordx2 s[8:9], s[4:5], 0x8
	s_load_dword s17, s[4:5], 0x38
	v_lshlrev_b32_e32 v3, 3, v0
	s_waitcnt lgkmcnt(0)
	s_ashr_i32 s5, s8, 31
	s_mov_b32 s4, s8
	v_add3_u32 v4, s9, s9, v0
	s_lshl_b64 s[4:5], s[4:5], 3
	s_add_u32 s4, s14, s4
	s_addc_u32 s5, s15, s5
	v_add_co_u32 v9, s8, s4, v3
	v_add_co_ci_u32_e64 v10, null, s5, 0, s8
	s_mov_b32 s14, s9
	s_ashr_i32 s15, s9, 31
	v_ashrrev_i32_e32 v5, 31, v4
	flat_load_dwordx2 v[1:2], v[9:10]
	s_lshl_b64 s[14:15], s[14:15], 3
	s_bitcmp0_b32 s17, 0
	v_add_co_u32 v11, vcc_lo, v9, s14
	v_add_co_ci_u32_e64 v12, null, s15, v10, vcc_lo
	v_lshlrev_b64 v[5:6], 3, v[4:5]
	v_add_nc_u32_e32 v4, s9, v4
	s_waitcnt vmcnt(0) lgkmcnt(0)
	buffer_store_dword v2, off, s[0:3], 0 offset:4
	buffer_store_dword v1, off, s[0:3], 0
	flat_load_dwordx2 v[1:2], v[11:12]
	v_add_co_u32 v13, vcc_lo, s4, v5
	v_add_co_ci_u32_e64 v14, null, s5, v6, vcc_lo
	v_ashrrev_i32_e32 v5, 31, v4
	s_waitcnt vmcnt(0) lgkmcnt(0)
	buffer_store_dword v2, off, s[0:3], 0 offset:12
	buffer_store_dword v1, off, s[0:3], 0 offset:8
	flat_load_dwordx2 v[1:2], v[13:14]
	v_lshlrev_b64 v[5:6], 3, v[4:5]
	v_add_nc_u32_e32 v4, s9, v4
	s_waitcnt vmcnt(0) lgkmcnt(0)
	buffer_store_dword v2, off, s[0:3], 0 offset:20
	buffer_store_dword v1, off, s[0:3], 0 offset:16
	v_add_co_u32 v15, vcc_lo, s4, v5
	v_add_co_ci_u32_e64 v16, null, s5, v6, vcc_lo
	v_ashrrev_i32_e32 v5, 31, v4
	flat_load_dwordx2 v[1:2], v[15:16]
	s_waitcnt vmcnt(0) lgkmcnt(0)
	buffer_store_dword v2, off, s[0:3], 0 offset:28
	buffer_store_dword v1, off, s[0:3], 0 offset:24
	v_lshlrev_b64 v[5:6], 3, v[4:5]
	v_add_nc_u32_e32 v4, s9, v4
	v_add_co_u32 v17, vcc_lo, s4, v5
	v_add_co_ci_u32_e64 v18, null, s5, v6, vcc_lo
	v_ashrrev_i32_e32 v5, 31, v4
	flat_load_dwordx2 v[1:2], v[17:18]
	s_waitcnt vmcnt(0) lgkmcnt(0)
	buffer_store_dword v2, off, s[0:3], 0 offset:36
	buffer_store_dword v1, off, s[0:3], 0 offset:32
	v_lshlrev_b64 v[5:6], 3, v[4:5]
	v_add_nc_u32_e32 v4, s9, v4
	;; [unrolled: 9-line block ×40, first 2 shown]
	v_add_co_u32 v95, vcc_lo, s4, v5
	v_add_co_ci_u32_e64 v96, null, s5, v6, vcc_lo
	v_ashrrev_i32_e32 v5, 31, v4
	flat_load_dwordx2 v[1:2], v[95:96]
	s_waitcnt vmcnt(0) lgkmcnt(0)
	buffer_store_dword v2, off, s[0:3], 0 offset:348
	buffer_store_dword v1, off, s[0:3], 0 offset:344
	v_lshlrev_b64 v[4:5], 3, v[4:5]
	v_add_co_u32 v97, vcc_lo, s4, v4
	v_add_co_ci_u32_e64 v98, null, s5, v5, vcc_lo
	s_mov_b32 s5, -1
	flat_load_dwordx2 v[1:2], v[97:98]
	s_waitcnt vmcnt(0) lgkmcnt(0)
	buffer_store_dword v2, off, s[0:3], 0 offset:356
	buffer_store_dword v1, off, s[0:3], 0 offset:352
	s_cbranch_scc1 .LBB108_192
; %bb.4:
	v_cmp_eq_u32_e64 s4, 0, v0
	s_and_saveexec_b32 s5, s4
; %bb.5:
	v_mov_b32_e32 v1, 0
	ds_write_b32 v1, v1 offset:360
; %bb.6:
	s_or_b32 exec_lo, exec_lo, s5
	v_lshl_add_u32 v5, v0, 3, 0
	s_waitcnt lgkmcnt(0)
	s_waitcnt_vscnt null, 0x0
	s_barrier
	buffer_gl0_inv
	s_clause 0x1
	buffer_load_dword v1, v5, s[0:3], 0 offen
	buffer_load_dword v2, v5, s[0:3], 0 offen offset:4
	s_waitcnt vmcnt(1)
	v_cmp_eq_f32_e32 vcc_lo, 0, v1
	s_waitcnt vmcnt(0)
	v_cmp_eq_f32_e64 s5, 0, v2
	s_and_b32 s5, vcc_lo, s5
	s_and_saveexec_b32 s8, s5
	s_cbranch_execz .LBB108_10
; %bb.7:
	v_mov_b32_e32 v1, 0
	s_mov_b32 s9, 0
	ds_read_b32 v2, v1 offset:360
	s_waitcnt lgkmcnt(0)
	v_readfirstlane_b32 s5, v2
	v_add_nc_u32_e32 v2, 1, v0
	s_cmp_eq_u32 s5, 0
	v_cmp_gt_i32_e32 vcc_lo, s5, v2
	s_cselect_b32 s14, -1, 0
	s_or_b32 s14, s14, vcc_lo
	s_and_b32 exec_lo, exec_lo, s14
	s_cbranch_execz .LBB108_10
; %bb.8:
	v_mov_b32_e32 v4, s5
.LBB108_9:                              ; =>This Inner Loop Header: Depth=1
	ds_cmpst_rtn_b32 v4, v1, v4, v2 offset:360
	s_waitcnt lgkmcnt(0)
	v_cmp_ne_u32_e32 vcc_lo, 0, v4
	v_cmp_le_i32_e64 s5, v4, v2
	s_and_b32 s5, vcc_lo, s5
	s_and_b32 s5, exec_lo, s5
	s_or_b32 s9, s5, s9
	s_andn2_b32 exec_lo, exec_lo, s9
	s_cbranch_execnz .LBB108_9
.LBB108_10:
	s_or_b32 exec_lo, exec_lo, s8
	v_mov_b32_e32 v1, 0
	s_barrier
	buffer_gl0_inv
	ds_read_b32 v2, v1 offset:360
	s_and_saveexec_b32 s5, s4
	s_cbranch_execz .LBB108_12
; %bb.11:
	s_lshl_b64 s[8:9], s[6:7], 2
	s_add_u32 s8, s10, s8
	s_addc_u32 s9, s11, s9
	s_waitcnt lgkmcnt(0)
	global_store_dword v1, v2, s[8:9]
.LBB108_12:
	s_or_b32 exec_lo, exec_lo, s5
	s_waitcnt lgkmcnt(0)
	v_cmp_ne_u32_e32 vcc_lo, 0, v2
	s_mov_b32 s5, 0
	s_cbranch_vccnz .LBB108_192
; %bb.13:
	s_clause 0x1
	buffer_load_dword v2, v5, s[0:3], 0 offen
	buffer_load_dword v4, v5, s[0:3], 0 offen offset:4
                                        ; implicit-def: $vgpr7
                                        ; implicit-def: $vgpr6
                                        ; implicit-def: $vgpr1
	s_waitcnt vmcnt(0)
	v_cmp_ngt_f32_e64 s5, |v2|, |v4|
	s_and_saveexec_b32 s8, s5
	s_xor_b32 s5, exec_lo, s8
	s_cbranch_execz .LBB108_15
; %bb.14:
	v_div_scale_f32 v1, null, v4, v4, v2
	v_div_scale_f32 v8, vcc_lo, v2, v4, v2
	v_rcp_f32_e32 v6, v1
	v_fma_f32 v7, -v1, v6, 1.0
	v_fmac_f32_e32 v6, v7, v6
	v_mul_f32_e32 v7, v8, v6
	v_fma_f32 v99, -v1, v7, v8
	v_fmac_f32_e32 v7, v99, v6
	v_fma_f32 v1, -v1, v7, v8
	v_div_fmas_f32 v1, v1, v6, v7
	v_div_fixup_f32 v1, v1, v4, v2
	v_fmac_f32_e32 v4, v2, v1
	v_div_scale_f32 v2, null, v4, v4, 1.0
	v_rcp_f32_e32 v6, v2
	v_fma_f32 v7, -v2, v6, 1.0
	v_fmac_f32_e32 v6, v7, v6
	v_div_scale_f32 v7, vcc_lo, 1.0, v4, 1.0
	v_mul_f32_e32 v8, v7, v6
	v_fma_f32 v99, -v2, v8, v7
	v_fmac_f32_e32 v8, v99, v6
	v_fma_f32 v2, -v2, v8, v7
	v_div_fmas_f32 v2, v2, v6, v8
	v_div_fixup_f32 v2, v2, v4, 1.0
                                        ; implicit-def: $vgpr4
	v_mul_f32_e32 v7, v1, v2
	v_xor_b32_e32 v6, 0x80000000, v2
                                        ; implicit-def: $vgpr2
	v_xor_b32_e32 v1, 0x80000000, v7
.LBB108_15:
	s_andn2_saveexec_b32 s5, s5
	s_cbranch_execz .LBB108_17
; %bb.16:
	v_div_scale_f32 v1, null, v2, v2, v4
	v_div_scale_f32 v8, vcc_lo, v4, v2, v4
	v_rcp_f32_e32 v6, v1
	v_fma_f32 v7, -v1, v6, 1.0
	v_fmac_f32_e32 v6, v7, v6
	v_mul_f32_e32 v7, v8, v6
	v_fma_f32 v99, -v1, v7, v8
	v_fmac_f32_e32 v7, v99, v6
	v_fma_f32 v1, -v1, v7, v8
	v_div_fmas_f32 v1, v1, v6, v7
	v_div_fixup_f32 v6, v1, v2, v4
	v_fmac_f32_e32 v2, v4, v6
	v_div_scale_f32 v1, null, v2, v2, 1.0
	v_div_scale_f32 v8, vcc_lo, 1.0, v2, 1.0
	v_rcp_f32_e32 v4, v1
	v_fma_f32 v7, -v1, v4, 1.0
	v_fmac_f32_e32 v4, v7, v4
	v_mul_f32_e32 v7, v8, v4
	v_fma_f32 v99, -v1, v7, v8
	v_fmac_f32_e32 v7, v99, v4
	v_fma_f32 v1, -v1, v7, v8
	v_div_fmas_f32 v1, v1, v4, v7
	v_div_fixup_f32 v7, v1, v2, 1.0
	v_xor_b32_e32 v1, 0x80000000, v7
	v_mul_f32_e64 v6, v6, -v7
.LBB108_17:
	s_or_b32 exec_lo, exec_lo, s5
	buffer_store_dword v7, v5, s[0:3], 0 offen
	buffer_store_dword v6, v5, s[0:3], 0 offen offset:4
	s_clause 0x1
	buffer_load_dword v8, off, s[0:3], 0 offset:12
	buffer_load_dword v7, off, s[0:3], 0 offset:8
	v_xor_b32_e32 v2, 0x80000000, v6
	v_add_nc_u32_e32 v4, 0x170, v3
	s_waitcnt vmcnt(0)
	ds_write2_b64 v3, v[1:2], v[7:8] offset1:46
	s_waitcnt lgkmcnt(0)
	s_waitcnt_vscnt null, 0x0
	s_barrier
	buffer_gl0_inv
	s_and_saveexec_b32 s5, s4
	s_cbranch_execz .LBB108_19
; %bb.18:
	s_clause 0x1
	buffer_load_dword v8, v5, s[0:3], 0 offen offset:4
	buffer_load_dword v99, v5, s[0:3], 0 offen
	ds_read_b64 v[1:2], v4
	v_mov_b32_e32 v6, 0
	ds_read_b64 v[6:7], v6 offset:8
	s_waitcnt vmcnt(1) lgkmcnt(1)
	v_mul_f32_e32 v100, v1, v8
	v_mul_f32_e32 v8, v2, v8
	s_waitcnt vmcnt(0)
	v_fmac_f32_e32 v100, v2, v99
	v_fma_f32 v1, v1, v99, -v8
	v_add_f32_e32 v2, 0, v100
	v_add_f32_e32 v1, 0, v1
	s_waitcnt lgkmcnt(0)
	v_mul_f32_e32 v8, v2, v7
	v_mul_f32_e32 v7, v1, v7
	v_fma_f32 v1, v1, v6, -v8
	v_fmac_f32_e32 v7, v2, v6
	buffer_store_dword v1, off, s[0:3], 0 offset:8
	buffer_store_dword v7, off, s[0:3], 0 offset:12
.LBB108_19:
	s_or_b32 exec_lo, exec_lo, s5
	s_waitcnt_vscnt null, 0x0
	s_barrier
	buffer_gl0_inv
	s_clause 0x1
	buffer_load_dword v1, off, s[0:3], 0 offset:16
	buffer_load_dword v2, off, s[0:3], 0 offset:20
	s_mov_b32 s5, exec_lo
	s_waitcnt vmcnt(0)
	ds_write_b64 v4, v[1:2]
	s_waitcnt lgkmcnt(0)
	s_barrier
	buffer_gl0_inv
	v_cmpx_gt_u32_e32 2, v0
	s_cbranch_execz .LBB108_23
; %bb.20:
	s_clause 0x1
	buffer_load_dword v6, v5, s[0:3], 0 offen offset:4
	buffer_load_dword v5, v5, s[0:3], 0 offen
	ds_read_b64 v[1:2], v4
	s_waitcnt vmcnt(1) lgkmcnt(0)
	v_mul_f32_e32 v7, v2, v6
	v_mul_f32_e32 v6, v1, v6
	s_waitcnt vmcnt(0)
	v_fma_f32 v1, v1, v5, -v7
	v_fmac_f32_e32 v6, v2, v5
	v_add_f32_e32 v2, 0, v1
	v_add_f32_e32 v1, 0, v6
	s_and_saveexec_b32 s8, s4
	s_cbranch_execz .LBB108_22
; %bb.21:
	s_clause 0x1
	buffer_load_dword v7, off, s[0:3], 0 offset:12
	buffer_load_dword v8, off, s[0:3], 0 offset:8
	v_mov_b32_e32 v5, 0
	ds_read_b64 v[5:6], v5 offset:376
	s_waitcnt vmcnt(1) lgkmcnt(0)
	v_mul_f32_e32 v99, v5, v7
	v_mul_f32_e32 v7, v6, v7
	s_waitcnt vmcnt(0)
	v_fmac_f32_e32 v99, v6, v8
	v_fma_f32 v5, v5, v8, -v7
	v_add_f32_e32 v1, v1, v99
	v_add_f32_e32 v2, v2, v5
.LBB108_22:
	s_or_b32 exec_lo, exec_lo, s8
	v_mov_b32_e32 v5, 0
	ds_read_b64 v[5:6], v5 offset:16
	s_waitcnt lgkmcnt(0)
	v_mul_f32_e32 v7, v1, v6
	v_mul_f32_e32 v6, v2, v6
	v_fma_f32 v2, v2, v5, -v7
	v_fmac_f32_e32 v6, v1, v5
	buffer_store_dword v2, off, s[0:3], 0 offset:16
	buffer_store_dword v6, off, s[0:3], 0 offset:20
.LBB108_23:
	s_or_b32 exec_lo, exec_lo, s5
	s_waitcnt_vscnt null, 0x0
	s_barrier
	buffer_gl0_inv
	s_clause 0x1
	buffer_load_dword v5, off, s[0:3], 0 offset:24
	buffer_load_dword v6, off, s[0:3], 0 offset:28
	v_add_nc_u32_e32 v1, -1, v0
	s_mov_b32 s4, exec_lo
	s_waitcnt vmcnt(0)
	ds_write_b64 v4, v[5:6]
	s_waitcnt lgkmcnt(0)
	s_barrier
	buffer_gl0_inv
	v_cmpx_gt_u32_e32 3, v0
	s_cbranch_execz .LBB108_27
; %bb.24:
	v_add_nc_u32_e32 v5, -1, v0
	v_add_nc_u32_e32 v6, 0x170, v3
	v_mov_b32_e32 v7, v3
	v_mov_b32_e32 v2, 0
	;; [unrolled: 1-line block ×3, first 2 shown]
	s_mov_b32 s5, 0
	.p2align	6
.LBB108_25:                             ; =>This Inner Loop Header: Depth=1
	s_clause 0x1
	buffer_load_dword v101, v7, s[0:3], 0 offen offset:4
	buffer_load_dword v102, v7, s[0:3], 0 offen
	ds_read_b64 v[99:100], v6
	v_add_nc_u32_e32 v5, 1, v5
	v_add_nc_u32_e32 v6, 8, v6
	v_add_nc_u32_e32 v7, 8, v7
	v_cmp_lt_u32_e32 vcc_lo, 1, v5
	s_or_b32 s5, vcc_lo, s5
	s_waitcnt vmcnt(1) lgkmcnt(0)
	v_mul_f32_e32 v103, v100, v101
	v_mul_f32_e32 v101, v99, v101
	s_waitcnt vmcnt(0)
	v_fma_f32 v99, v99, v102, -v103
	v_fmac_f32_e32 v101, v100, v102
	v_add_f32_e32 v8, v8, v99
	v_add_f32_e32 v2, v2, v101
	s_andn2_b32 exec_lo, exec_lo, s5
	s_cbranch_execnz .LBB108_25
; %bb.26:
	s_or_b32 exec_lo, exec_lo, s5
	v_mov_b32_e32 v5, 0
	ds_read_b64 v[5:6], v5 offset:24
	s_waitcnt lgkmcnt(0)
	v_mul_f32_e32 v7, v2, v6
	v_mul_f32_e32 v6, v8, v6
	v_fma_f32 v7, v8, v5, -v7
	v_fmac_f32_e32 v6, v2, v5
	buffer_store_dword v7, off, s[0:3], 0 offset:24
	buffer_store_dword v6, off, s[0:3], 0 offset:28
.LBB108_27:
	s_or_b32 exec_lo, exec_lo, s4
	s_waitcnt_vscnt null, 0x0
	s_barrier
	buffer_gl0_inv
	s_clause 0x1
	buffer_load_dword v5, off, s[0:3], 0 offset:32
	buffer_load_dword v6, off, s[0:3], 0 offset:36
	s_mov_b32 s4, exec_lo
	s_waitcnt vmcnt(0)
	ds_write_b64 v4, v[5:6]
	s_waitcnt lgkmcnt(0)
	s_barrier
	buffer_gl0_inv
	v_cmpx_gt_u32_e32 4, v0
	s_cbranch_execz .LBB108_31
; %bb.28:
	v_add_nc_u32_e32 v5, -1, v0
	v_add_nc_u32_e32 v6, 0x170, v3
	v_mov_b32_e32 v7, v3
	v_mov_b32_e32 v2, 0
	v_mov_b32_e32 v8, 0
	s_mov_b32 s5, 0
	.p2align	6
.LBB108_29:                             ; =>This Inner Loop Header: Depth=1
	s_clause 0x1
	buffer_load_dword v101, v7, s[0:3], 0 offen offset:4
	buffer_load_dword v102, v7, s[0:3], 0 offen
	ds_read_b64 v[99:100], v6
	v_add_nc_u32_e32 v5, 1, v5
	v_add_nc_u32_e32 v6, 8, v6
	v_add_nc_u32_e32 v7, 8, v7
	v_cmp_lt_u32_e32 vcc_lo, 2, v5
	s_or_b32 s5, vcc_lo, s5
	s_waitcnt vmcnt(1) lgkmcnt(0)
	v_mul_f32_e32 v103, v100, v101
	v_mul_f32_e32 v101, v99, v101
	s_waitcnt vmcnt(0)
	v_fma_f32 v99, v99, v102, -v103
	v_fmac_f32_e32 v101, v100, v102
	v_add_f32_e32 v8, v8, v99
	v_add_f32_e32 v2, v2, v101
	s_andn2_b32 exec_lo, exec_lo, s5
	s_cbranch_execnz .LBB108_29
; %bb.30:
	s_or_b32 exec_lo, exec_lo, s5
	v_mov_b32_e32 v5, 0
	ds_read_b64 v[5:6], v5 offset:32
	s_waitcnt lgkmcnt(0)
	v_mul_f32_e32 v7, v2, v6
	v_mul_f32_e32 v6, v8, v6
	v_fma_f32 v7, v8, v5, -v7
	v_fmac_f32_e32 v6, v2, v5
	buffer_store_dword v7, off, s[0:3], 0 offset:32
	buffer_store_dword v6, off, s[0:3], 0 offset:36
.LBB108_31:
	s_or_b32 exec_lo, exec_lo, s4
	s_waitcnt_vscnt null, 0x0
	s_barrier
	buffer_gl0_inv
	s_clause 0x1
	buffer_load_dword v5, off, s[0:3], 0 offset:40
	buffer_load_dword v6, off, s[0:3], 0 offset:44
	s_mov_b32 s4, exec_lo
	s_waitcnt vmcnt(0)
	ds_write_b64 v4, v[5:6]
	s_waitcnt lgkmcnt(0)
	s_barrier
	buffer_gl0_inv
	v_cmpx_gt_u32_e32 5, v0
	s_cbranch_execz .LBB108_35
; %bb.32:
	v_add_nc_u32_e32 v5, -1, v0
	v_add_nc_u32_e32 v6, 0x170, v3
	v_mov_b32_e32 v7, v3
	v_mov_b32_e32 v2, 0
	;; [unrolled: 1-line block ×3, first 2 shown]
	s_mov_b32 s5, 0
	.p2align	6
.LBB108_33:                             ; =>This Inner Loop Header: Depth=1
	s_clause 0x1
	buffer_load_dword v101, v7, s[0:3], 0 offen offset:4
	buffer_load_dword v102, v7, s[0:3], 0 offen
	ds_read_b64 v[99:100], v6
	v_add_nc_u32_e32 v5, 1, v5
	v_add_nc_u32_e32 v6, 8, v6
	;; [unrolled: 1-line block ×3, first 2 shown]
	v_cmp_lt_u32_e32 vcc_lo, 3, v5
	s_or_b32 s5, vcc_lo, s5
	s_waitcnt vmcnt(1) lgkmcnt(0)
	v_mul_f32_e32 v103, v100, v101
	v_mul_f32_e32 v101, v99, v101
	s_waitcnt vmcnt(0)
	v_fma_f32 v99, v99, v102, -v103
	v_fmac_f32_e32 v101, v100, v102
	v_add_f32_e32 v8, v8, v99
	v_add_f32_e32 v2, v2, v101
	s_andn2_b32 exec_lo, exec_lo, s5
	s_cbranch_execnz .LBB108_33
; %bb.34:
	s_or_b32 exec_lo, exec_lo, s5
	v_mov_b32_e32 v5, 0
	ds_read_b64 v[5:6], v5 offset:40
	s_waitcnt lgkmcnt(0)
	v_mul_f32_e32 v7, v2, v6
	v_mul_f32_e32 v6, v8, v6
	v_fma_f32 v7, v8, v5, -v7
	v_fmac_f32_e32 v6, v2, v5
	buffer_store_dword v7, off, s[0:3], 0 offset:40
	buffer_store_dword v6, off, s[0:3], 0 offset:44
.LBB108_35:
	s_or_b32 exec_lo, exec_lo, s4
	s_waitcnt_vscnt null, 0x0
	s_barrier
	buffer_gl0_inv
	s_clause 0x1
	buffer_load_dword v5, off, s[0:3], 0 offset:48
	buffer_load_dword v6, off, s[0:3], 0 offset:52
	s_mov_b32 s4, exec_lo
	s_waitcnt vmcnt(0)
	ds_write_b64 v4, v[5:6]
	s_waitcnt lgkmcnt(0)
	s_barrier
	buffer_gl0_inv
	v_cmpx_gt_u32_e32 6, v0
	s_cbranch_execz .LBB108_39
; %bb.36:
	v_add_nc_u32_e32 v5, -1, v0
	v_add_nc_u32_e32 v6, 0x170, v3
	v_mov_b32_e32 v7, v3
	v_mov_b32_e32 v2, 0
	;; [unrolled: 1-line block ×3, first 2 shown]
	s_mov_b32 s5, 0
	.p2align	6
.LBB108_37:                             ; =>This Inner Loop Header: Depth=1
	s_clause 0x1
	buffer_load_dword v101, v7, s[0:3], 0 offen offset:4
	buffer_load_dword v102, v7, s[0:3], 0 offen
	ds_read_b64 v[99:100], v6
	v_add_nc_u32_e32 v5, 1, v5
	v_add_nc_u32_e32 v6, 8, v6
	v_add_nc_u32_e32 v7, 8, v7
	v_cmp_lt_u32_e32 vcc_lo, 4, v5
	s_or_b32 s5, vcc_lo, s5
	s_waitcnt vmcnt(1) lgkmcnt(0)
	v_mul_f32_e32 v103, v100, v101
	v_mul_f32_e32 v101, v99, v101
	s_waitcnt vmcnt(0)
	v_fma_f32 v99, v99, v102, -v103
	v_fmac_f32_e32 v101, v100, v102
	v_add_f32_e32 v8, v8, v99
	v_add_f32_e32 v2, v2, v101
	s_andn2_b32 exec_lo, exec_lo, s5
	s_cbranch_execnz .LBB108_37
; %bb.38:
	s_or_b32 exec_lo, exec_lo, s5
	v_mov_b32_e32 v5, 0
	ds_read_b64 v[5:6], v5 offset:48
	s_waitcnt lgkmcnt(0)
	v_mul_f32_e32 v7, v2, v6
	v_mul_f32_e32 v6, v8, v6
	v_fma_f32 v7, v8, v5, -v7
	v_fmac_f32_e32 v6, v2, v5
	buffer_store_dword v7, off, s[0:3], 0 offset:48
	buffer_store_dword v6, off, s[0:3], 0 offset:52
.LBB108_39:
	s_or_b32 exec_lo, exec_lo, s4
	s_waitcnt_vscnt null, 0x0
	s_barrier
	buffer_gl0_inv
	s_clause 0x1
	buffer_load_dword v5, off, s[0:3], 0 offset:56
	buffer_load_dword v6, off, s[0:3], 0 offset:60
	s_mov_b32 s4, exec_lo
	s_waitcnt vmcnt(0)
	ds_write_b64 v4, v[5:6]
	s_waitcnt lgkmcnt(0)
	s_barrier
	buffer_gl0_inv
	v_cmpx_gt_u32_e32 7, v0
	s_cbranch_execz .LBB108_43
; %bb.40:
	v_add_nc_u32_e32 v5, -1, v0
	v_add_nc_u32_e32 v6, 0x170, v3
	v_mov_b32_e32 v7, v3
	v_mov_b32_e32 v2, 0
	;; [unrolled: 1-line block ×3, first 2 shown]
	s_mov_b32 s5, 0
	.p2align	6
.LBB108_41:                             ; =>This Inner Loop Header: Depth=1
	s_clause 0x1
	buffer_load_dword v101, v7, s[0:3], 0 offen offset:4
	buffer_load_dword v102, v7, s[0:3], 0 offen
	ds_read_b64 v[99:100], v6
	v_add_nc_u32_e32 v5, 1, v5
	v_add_nc_u32_e32 v6, 8, v6
	;; [unrolled: 1-line block ×3, first 2 shown]
	v_cmp_lt_u32_e32 vcc_lo, 5, v5
	s_or_b32 s5, vcc_lo, s5
	s_waitcnt vmcnt(1) lgkmcnt(0)
	v_mul_f32_e32 v103, v100, v101
	v_mul_f32_e32 v101, v99, v101
	s_waitcnt vmcnt(0)
	v_fma_f32 v99, v99, v102, -v103
	v_fmac_f32_e32 v101, v100, v102
	v_add_f32_e32 v8, v8, v99
	v_add_f32_e32 v2, v2, v101
	s_andn2_b32 exec_lo, exec_lo, s5
	s_cbranch_execnz .LBB108_41
; %bb.42:
	s_or_b32 exec_lo, exec_lo, s5
	v_mov_b32_e32 v5, 0
	ds_read_b64 v[5:6], v5 offset:56
	s_waitcnt lgkmcnt(0)
	v_mul_f32_e32 v7, v2, v6
	v_mul_f32_e32 v6, v8, v6
	v_fma_f32 v7, v8, v5, -v7
	v_fmac_f32_e32 v6, v2, v5
	buffer_store_dword v7, off, s[0:3], 0 offset:56
	buffer_store_dword v6, off, s[0:3], 0 offset:60
.LBB108_43:
	s_or_b32 exec_lo, exec_lo, s4
	s_waitcnt_vscnt null, 0x0
	s_barrier
	buffer_gl0_inv
	s_clause 0x1
	buffer_load_dword v5, off, s[0:3], 0 offset:64
	buffer_load_dword v6, off, s[0:3], 0 offset:68
	s_mov_b32 s4, exec_lo
	s_waitcnt vmcnt(0)
	ds_write_b64 v4, v[5:6]
	s_waitcnt lgkmcnt(0)
	s_barrier
	buffer_gl0_inv
	v_cmpx_gt_u32_e32 8, v0
	s_cbranch_execz .LBB108_47
; %bb.44:
	v_add_nc_u32_e32 v5, -1, v0
	v_add_nc_u32_e32 v6, 0x170, v3
	v_mov_b32_e32 v7, v3
	v_mov_b32_e32 v2, 0
	v_mov_b32_e32 v8, 0
	s_mov_b32 s5, 0
	.p2align	6
.LBB108_45:                             ; =>This Inner Loop Header: Depth=1
	s_clause 0x1
	buffer_load_dword v101, v7, s[0:3], 0 offen offset:4
	buffer_load_dword v102, v7, s[0:3], 0 offen
	ds_read_b64 v[99:100], v6
	v_add_nc_u32_e32 v5, 1, v5
	v_add_nc_u32_e32 v6, 8, v6
	;; [unrolled: 1-line block ×3, first 2 shown]
	v_cmp_lt_u32_e32 vcc_lo, 6, v5
	s_or_b32 s5, vcc_lo, s5
	s_waitcnt vmcnt(1) lgkmcnt(0)
	v_mul_f32_e32 v103, v100, v101
	v_mul_f32_e32 v101, v99, v101
	s_waitcnt vmcnt(0)
	v_fma_f32 v99, v99, v102, -v103
	v_fmac_f32_e32 v101, v100, v102
	v_add_f32_e32 v8, v8, v99
	v_add_f32_e32 v2, v2, v101
	s_andn2_b32 exec_lo, exec_lo, s5
	s_cbranch_execnz .LBB108_45
; %bb.46:
	s_or_b32 exec_lo, exec_lo, s5
	v_mov_b32_e32 v5, 0
	ds_read_b64 v[5:6], v5 offset:64
	s_waitcnt lgkmcnt(0)
	v_mul_f32_e32 v7, v2, v6
	v_mul_f32_e32 v6, v8, v6
	v_fma_f32 v7, v8, v5, -v7
	v_fmac_f32_e32 v6, v2, v5
	buffer_store_dword v7, off, s[0:3], 0 offset:64
	buffer_store_dword v6, off, s[0:3], 0 offset:68
.LBB108_47:
	s_or_b32 exec_lo, exec_lo, s4
	s_waitcnt_vscnt null, 0x0
	s_barrier
	buffer_gl0_inv
	s_clause 0x1
	buffer_load_dword v5, off, s[0:3], 0 offset:72
	buffer_load_dword v6, off, s[0:3], 0 offset:76
	s_mov_b32 s4, exec_lo
	s_waitcnt vmcnt(0)
	ds_write_b64 v4, v[5:6]
	s_waitcnt lgkmcnt(0)
	s_barrier
	buffer_gl0_inv
	v_cmpx_gt_u32_e32 9, v0
	s_cbranch_execz .LBB108_51
; %bb.48:
	v_add_nc_u32_e32 v5, -1, v0
	v_add_nc_u32_e32 v6, 0x170, v3
	v_mov_b32_e32 v7, v3
	v_mov_b32_e32 v2, 0
	;; [unrolled: 1-line block ×3, first 2 shown]
	s_mov_b32 s5, 0
	.p2align	6
.LBB108_49:                             ; =>This Inner Loop Header: Depth=1
	s_clause 0x1
	buffer_load_dword v101, v7, s[0:3], 0 offen offset:4
	buffer_load_dword v102, v7, s[0:3], 0 offen
	ds_read_b64 v[99:100], v6
	v_add_nc_u32_e32 v5, 1, v5
	v_add_nc_u32_e32 v6, 8, v6
	;; [unrolled: 1-line block ×3, first 2 shown]
	v_cmp_lt_u32_e32 vcc_lo, 7, v5
	s_or_b32 s5, vcc_lo, s5
	s_waitcnt vmcnt(1) lgkmcnt(0)
	v_mul_f32_e32 v103, v100, v101
	v_mul_f32_e32 v101, v99, v101
	s_waitcnt vmcnt(0)
	v_fma_f32 v99, v99, v102, -v103
	v_fmac_f32_e32 v101, v100, v102
	v_add_f32_e32 v8, v8, v99
	v_add_f32_e32 v2, v2, v101
	s_andn2_b32 exec_lo, exec_lo, s5
	s_cbranch_execnz .LBB108_49
; %bb.50:
	s_or_b32 exec_lo, exec_lo, s5
	v_mov_b32_e32 v5, 0
	ds_read_b64 v[5:6], v5 offset:72
	s_waitcnt lgkmcnt(0)
	v_mul_f32_e32 v7, v2, v6
	v_mul_f32_e32 v6, v8, v6
	v_fma_f32 v7, v8, v5, -v7
	v_fmac_f32_e32 v6, v2, v5
	buffer_store_dword v7, off, s[0:3], 0 offset:72
	buffer_store_dword v6, off, s[0:3], 0 offset:76
.LBB108_51:
	s_or_b32 exec_lo, exec_lo, s4
	s_waitcnt_vscnt null, 0x0
	s_barrier
	buffer_gl0_inv
	s_clause 0x1
	buffer_load_dword v5, off, s[0:3], 0 offset:80
	buffer_load_dword v6, off, s[0:3], 0 offset:84
	s_mov_b32 s4, exec_lo
	s_waitcnt vmcnt(0)
	ds_write_b64 v4, v[5:6]
	s_waitcnt lgkmcnt(0)
	s_barrier
	buffer_gl0_inv
	v_cmpx_gt_u32_e32 10, v0
	s_cbranch_execz .LBB108_55
; %bb.52:
	v_add_nc_u32_e32 v5, -1, v0
	v_add_nc_u32_e32 v6, 0x170, v3
	v_mov_b32_e32 v7, v3
	v_mov_b32_e32 v2, 0
	;; [unrolled: 1-line block ×3, first 2 shown]
	s_mov_b32 s5, 0
	.p2align	6
.LBB108_53:                             ; =>This Inner Loop Header: Depth=1
	s_clause 0x1
	buffer_load_dword v101, v7, s[0:3], 0 offen offset:4
	buffer_load_dword v102, v7, s[0:3], 0 offen
	ds_read_b64 v[99:100], v6
	v_add_nc_u32_e32 v5, 1, v5
	v_add_nc_u32_e32 v6, 8, v6
	;; [unrolled: 1-line block ×3, first 2 shown]
	v_cmp_lt_u32_e32 vcc_lo, 8, v5
	s_or_b32 s5, vcc_lo, s5
	s_waitcnt vmcnt(1) lgkmcnt(0)
	v_mul_f32_e32 v103, v100, v101
	v_mul_f32_e32 v101, v99, v101
	s_waitcnt vmcnt(0)
	v_fma_f32 v99, v99, v102, -v103
	v_fmac_f32_e32 v101, v100, v102
	v_add_f32_e32 v8, v8, v99
	v_add_f32_e32 v2, v2, v101
	s_andn2_b32 exec_lo, exec_lo, s5
	s_cbranch_execnz .LBB108_53
; %bb.54:
	s_or_b32 exec_lo, exec_lo, s5
	v_mov_b32_e32 v5, 0
	ds_read_b64 v[5:6], v5 offset:80
	s_waitcnt lgkmcnt(0)
	v_mul_f32_e32 v7, v2, v6
	v_mul_f32_e32 v6, v8, v6
	v_fma_f32 v7, v8, v5, -v7
	v_fmac_f32_e32 v6, v2, v5
	buffer_store_dword v7, off, s[0:3], 0 offset:80
	buffer_store_dword v6, off, s[0:3], 0 offset:84
.LBB108_55:
	s_or_b32 exec_lo, exec_lo, s4
	s_waitcnt_vscnt null, 0x0
	s_barrier
	buffer_gl0_inv
	s_clause 0x1
	buffer_load_dword v5, off, s[0:3], 0 offset:88
	buffer_load_dword v6, off, s[0:3], 0 offset:92
	s_mov_b32 s4, exec_lo
	s_waitcnt vmcnt(0)
	ds_write_b64 v4, v[5:6]
	s_waitcnt lgkmcnt(0)
	s_barrier
	buffer_gl0_inv
	v_cmpx_gt_u32_e32 11, v0
	s_cbranch_execz .LBB108_59
; %bb.56:
	v_add_nc_u32_e32 v5, -1, v0
	v_add_nc_u32_e32 v6, 0x170, v3
	v_mov_b32_e32 v7, v3
	v_mov_b32_e32 v2, 0
	;; [unrolled: 1-line block ×3, first 2 shown]
	s_mov_b32 s5, 0
	.p2align	6
.LBB108_57:                             ; =>This Inner Loop Header: Depth=1
	s_clause 0x1
	buffer_load_dword v101, v7, s[0:3], 0 offen offset:4
	buffer_load_dword v102, v7, s[0:3], 0 offen
	ds_read_b64 v[99:100], v6
	v_add_nc_u32_e32 v5, 1, v5
	v_add_nc_u32_e32 v6, 8, v6
	;; [unrolled: 1-line block ×3, first 2 shown]
	v_cmp_lt_u32_e32 vcc_lo, 9, v5
	s_or_b32 s5, vcc_lo, s5
	s_waitcnt vmcnt(1) lgkmcnt(0)
	v_mul_f32_e32 v103, v100, v101
	v_mul_f32_e32 v101, v99, v101
	s_waitcnt vmcnt(0)
	v_fma_f32 v99, v99, v102, -v103
	v_fmac_f32_e32 v101, v100, v102
	v_add_f32_e32 v8, v8, v99
	v_add_f32_e32 v2, v2, v101
	s_andn2_b32 exec_lo, exec_lo, s5
	s_cbranch_execnz .LBB108_57
; %bb.58:
	s_or_b32 exec_lo, exec_lo, s5
	v_mov_b32_e32 v5, 0
	ds_read_b64 v[5:6], v5 offset:88
	s_waitcnt lgkmcnt(0)
	v_mul_f32_e32 v7, v2, v6
	v_mul_f32_e32 v6, v8, v6
	v_fma_f32 v7, v8, v5, -v7
	v_fmac_f32_e32 v6, v2, v5
	buffer_store_dword v7, off, s[0:3], 0 offset:88
	buffer_store_dword v6, off, s[0:3], 0 offset:92
.LBB108_59:
	s_or_b32 exec_lo, exec_lo, s4
	s_waitcnt_vscnt null, 0x0
	s_barrier
	buffer_gl0_inv
	s_clause 0x1
	buffer_load_dword v5, off, s[0:3], 0 offset:96
	buffer_load_dword v6, off, s[0:3], 0 offset:100
	s_mov_b32 s4, exec_lo
	s_waitcnt vmcnt(0)
	ds_write_b64 v4, v[5:6]
	s_waitcnt lgkmcnt(0)
	s_barrier
	buffer_gl0_inv
	v_cmpx_gt_u32_e32 12, v0
	s_cbranch_execz .LBB108_63
; %bb.60:
	v_add_nc_u32_e32 v5, -1, v0
	v_add_nc_u32_e32 v6, 0x170, v3
	v_mov_b32_e32 v7, v3
	v_mov_b32_e32 v2, 0
	;; [unrolled: 1-line block ×3, first 2 shown]
	s_mov_b32 s5, 0
	.p2align	6
.LBB108_61:                             ; =>This Inner Loop Header: Depth=1
	s_clause 0x1
	buffer_load_dword v101, v7, s[0:3], 0 offen offset:4
	buffer_load_dword v102, v7, s[0:3], 0 offen
	ds_read_b64 v[99:100], v6
	v_add_nc_u32_e32 v5, 1, v5
	v_add_nc_u32_e32 v6, 8, v6
	;; [unrolled: 1-line block ×3, first 2 shown]
	v_cmp_lt_u32_e32 vcc_lo, 10, v5
	s_or_b32 s5, vcc_lo, s5
	s_waitcnt vmcnt(1) lgkmcnt(0)
	v_mul_f32_e32 v103, v100, v101
	v_mul_f32_e32 v101, v99, v101
	s_waitcnt vmcnt(0)
	v_fma_f32 v99, v99, v102, -v103
	v_fmac_f32_e32 v101, v100, v102
	v_add_f32_e32 v8, v8, v99
	v_add_f32_e32 v2, v2, v101
	s_andn2_b32 exec_lo, exec_lo, s5
	s_cbranch_execnz .LBB108_61
; %bb.62:
	s_or_b32 exec_lo, exec_lo, s5
	v_mov_b32_e32 v5, 0
	ds_read_b64 v[5:6], v5 offset:96
	s_waitcnt lgkmcnt(0)
	v_mul_f32_e32 v7, v2, v6
	v_mul_f32_e32 v6, v8, v6
	v_fma_f32 v7, v8, v5, -v7
	v_fmac_f32_e32 v6, v2, v5
	buffer_store_dword v7, off, s[0:3], 0 offset:96
	buffer_store_dword v6, off, s[0:3], 0 offset:100
.LBB108_63:
	s_or_b32 exec_lo, exec_lo, s4
	s_waitcnt_vscnt null, 0x0
	s_barrier
	buffer_gl0_inv
	s_clause 0x1
	buffer_load_dword v5, off, s[0:3], 0 offset:104
	buffer_load_dword v6, off, s[0:3], 0 offset:108
	s_mov_b32 s4, exec_lo
	s_waitcnt vmcnt(0)
	ds_write_b64 v4, v[5:6]
	s_waitcnt lgkmcnt(0)
	s_barrier
	buffer_gl0_inv
	v_cmpx_gt_u32_e32 13, v0
	s_cbranch_execz .LBB108_67
; %bb.64:
	v_add_nc_u32_e32 v5, -1, v0
	v_add_nc_u32_e32 v6, 0x170, v3
	v_mov_b32_e32 v7, v3
	v_mov_b32_e32 v2, 0
	;; [unrolled: 1-line block ×3, first 2 shown]
	s_mov_b32 s5, 0
	.p2align	6
.LBB108_65:                             ; =>This Inner Loop Header: Depth=1
	s_clause 0x1
	buffer_load_dword v101, v7, s[0:3], 0 offen offset:4
	buffer_load_dword v102, v7, s[0:3], 0 offen
	ds_read_b64 v[99:100], v6
	v_add_nc_u32_e32 v5, 1, v5
	v_add_nc_u32_e32 v6, 8, v6
	;; [unrolled: 1-line block ×3, first 2 shown]
	v_cmp_lt_u32_e32 vcc_lo, 11, v5
	s_or_b32 s5, vcc_lo, s5
	s_waitcnt vmcnt(1) lgkmcnt(0)
	v_mul_f32_e32 v103, v100, v101
	v_mul_f32_e32 v101, v99, v101
	s_waitcnt vmcnt(0)
	v_fma_f32 v99, v99, v102, -v103
	v_fmac_f32_e32 v101, v100, v102
	v_add_f32_e32 v8, v8, v99
	v_add_f32_e32 v2, v2, v101
	s_andn2_b32 exec_lo, exec_lo, s5
	s_cbranch_execnz .LBB108_65
; %bb.66:
	s_or_b32 exec_lo, exec_lo, s5
	v_mov_b32_e32 v5, 0
	ds_read_b64 v[5:6], v5 offset:104
	s_waitcnt lgkmcnt(0)
	v_mul_f32_e32 v7, v2, v6
	v_mul_f32_e32 v6, v8, v6
	v_fma_f32 v7, v8, v5, -v7
	v_fmac_f32_e32 v6, v2, v5
	buffer_store_dword v7, off, s[0:3], 0 offset:104
	buffer_store_dword v6, off, s[0:3], 0 offset:108
.LBB108_67:
	s_or_b32 exec_lo, exec_lo, s4
	s_waitcnt_vscnt null, 0x0
	s_barrier
	buffer_gl0_inv
	s_clause 0x1
	buffer_load_dword v5, off, s[0:3], 0 offset:112
	buffer_load_dword v6, off, s[0:3], 0 offset:116
	s_mov_b32 s4, exec_lo
	s_waitcnt vmcnt(0)
	ds_write_b64 v4, v[5:6]
	s_waitcnt lgkmcnt(0)
	s_barrier
	buffer_gl0_inv
	v_cmpx_gt_u32_e32 14, v0
	s_cbranch_execz .LBB108_71
; %bb.68:
	v_add_nc_u32_e32 v5, -1, v0
	v_add_nc_u32_e32 v6, 0x170, v3
	v_mov_b32_e32 v7, v3
	v_mov_b32_e32 v2, 0
	;; [unrolled: 1-line block ×3, first 2 shown]
	s_mov_b32 s5, 0
	.p2align	6
.LBB108_69:                             ; =>This Inner Loop Header: Depth=1
	s_clause 0x1
	buffer_load_dword v101, v7, s[0:3], 0 offen offset:4
	buffer_load_dword v102, v7, s[0:3], 0 offen
	ds_read_b64 v[99:100], v6
	v_add_nc_u32_e32 v5, 1, v5
	v_add_nc_u32_e32 v6, 8, v6
	;; [unrolled: 1-line block ×3, first 2 shown]
	v_cmp_lt_u32_e32 vcc_lo, 12, v5
	s_or_b32 s5, vcc_lo, s5
	s_waitcnt vmcnt(1) lgkmcnt(0)
	v_mul_f32_e32 v103, v100, v101
	v_mul_f32_e32 v101, v99, v101
	s_waitcnt vmcnt(0)
	v_fma_f32 v99, v99, v102, -v103
	v_fmac_f32_e32 v101, v100, v102
	v_add_f32_e32 v8, v8, v99
	v_add_f32_e32 v2, v2, v101
	s_andn2_b32 exec_lo, exec_lo, s5
	s_cbranch_execnz .LBB108_69
; %bb.70:
	s_or_b32 exec_lo, exec_lo, s5
	v_mov_b32_e32 v5, 0
	ds_read_b64 v[5:6], v5 offset:112
	s_waitcnt lgkmcnt(0)
	v_mul_f32_e32 v7, v2, v6
	v_mul_f32_e32 v6, v8, v6
	v_fma_f32 v7, v8, v5, -v7
	v_fmac_f32_e32 v6, v2, v5
	buffer_store_dword v7, off, s[0:3], 0 offset:112
	buffer_store_dword v6, off, s[0:3], 0 offset:116
.LBB108_71:
	s_or_b32 exec_lo, exec_lo, s4
	s_waitcnt_vscnt null, 0x0
	s_barrier
	buffer_gl0_inv
	s_clause 0x1
	buffer_load_dword v5, off, s[0:3], 0 offset:120
	buffer_load_dword v6, off, s[0:3], 0 offset:124
	s_mov_b32 s4, exec_lo
	s_waitcnt vmcnt(0)
	ds_write_b64 v4, v[5:6]
	s_waitcnt lgkmcnt(0)
	s_barrier
	buffer_gl0_inv
	v_cmpx_gt_u32_e32 15, v0
	s_cbranch_execz .LBB108_75
; %bb.72:
	v_add_nc_u32_e32 v5, -1, v0
	v_add_nc_u32_e32 v6, 0x170, v3
	v_mov_b32_e32 v7, v3
	v_mov_b32_e32 v2, 0
	;; [unrolled: 1-line block ×3, first 2 shown]
	s_mov_b32 s5, 0
	.p2align	6
.LBB108_73:                             ; =>This Inner Loop Header: Depth=1
	s_clause 0x1
	buffer_load_dword v101, v7, s[0:3], 0 offen offset:4
	buffer_load_dword v102, v7, s[0:3], 0 offen
	ds_read_b64 v[99:100], v6
	v_add_nc_u32_e32 v5, 1, v5
	v_add_nc_u32_e32 v6, 8, v6
	;; [unrolled: 1-line block ×3, first 2 shown]
	v_cmp_lt_u32_e32 vcc_lo, 13, v5
	s_or_b32 s5, vcc_lo, s5
	s_waitcnt vmcnt(1) lgkmcnt(0)
	v_mul_f32_e32 v103, v100, v101
	v_mul_f32_e32 v101, v99, v101
	s_waitcnt vmcnt(0)
	v_fma_f32 v99, v99, v102, -v103
	v_fmac_f32_e32 v101, v100, v102
	v_add_f32_e32 v8, v8, v99
	v_add_f32_e32 v2, v2, v101
	s_andn2_b32 exec_lo, exec_lo, s5
	s_cbranch_execnz .LBB108_73
; %bb.74:
	s_or_b32 exec_lo, exec_lo, s5
	v_mov_b32_e32 v5, 0
	ds_read_b64 v[5:6], v5 offset:120
	s_waitcnt lgkmcnt(0)
	v_mul_f32_e32 v7, v2, v6
	v_mul_f32_e32 v6, v8, v6
	v_fma_f32 v7, v8, v5, -v7
	v_fmac_f32_e32 v6, v2, v5
	buffer_store_dword v7, off, s[0:3], 0 offset:120
	buffer_store_dword v6, off, s[0:3], 0 offset:124
.LBB108_75:
	s_or_b32 exec_lo, exec_lo, s4
	s_waitcnt_vscnt null, 0x0
	s_barrier
	buffer_gl0_inv
	s_clause 0x1
	buffer_load_dword v5, off, s[0:3], 0 offset:128
	buffer_load_dword v6, off, s[0:3], 0 offset:132
	s_mov_b32 s4, exec_lo
	s_waitcnt vmcnt(0)
	ds_write_b64 v4, v[5:6]
	s_waitcnt lgkmcnt(0)
	s_barrier
	buffer_gl0_inv
	v_cmpx_gt_u32_e32 16, v0
	s_cbranch_execz .LBB108_79
; %bb.76:
	v_add_nc_u32_e32 v5, -1, v0
	v_add_nc_u32_e32 v6, 0x170, v3
	v_mov_b32_e32 v7, v3
	v_mov_b32_e32 v2, 0
	;; [unrolled: 1-line block ×3, first 2 shown]
	s_mov_b32 s5, 0
	.p2align	6
.LBB108_77:                             ; =>This Inner Loop Header: Depth=1
	s_clause 0x1
	buffer_load_dword v101, v7, s[0:3], 0 offen offset:4
	buffer_load_dword v102, v7, s[0:3], 0 offen
	ds_read_b64 v[99:100], v6
	v_add_nc_u32_e32 v5, 1, v5
	v_add_nc_u32_e32 v6, 8, v6
	;; [unrolled: 1-line block ×3, first 2 shown]
	v_cmp_lt_u32_e32 vcc_lo, 14, v5
	s_or_b32 s5, vcc_lo, s5
	s_waitcnt vmcnt(1) lgkmcnt(0)
	v_mul_f32_e32 v103, v100, v101
	v_mul_f32_e32 v101, v99, v101
	s_waitcnt vmcnt(0)
	v_fma_f32 v99, v99, v102, -v103
	v_fmac_f32_e32 v101, v100, v102
	v_add_f32_e32 v8, v8, v99
	v_add_f32_e32 v2, v2, v101
	s_andn2_b32 exec_lo, exec_lo, s5
	s_cbranch_execnz .LBB108_77
; %bb.78:
	s_or_b32 exec_lo, exec_lo, s5
	v_mov_b32_e32 v5, 0
	ds_read_b64 v[5:6], v5 offset:128
	s_waitcnt lgkmcnt(0)
	v_mul_f32_e32 v7, v2, v6
	v_mul_f32_e32 v6, v8, v6
	v_fma_f32 v7, v8, v5, -v7
	v_fmac_f32_e32 v6, v2, v5
	buffer_store_dword v7, off, s[0:3], 0 offset:128
	buffer_store_dword v6, off, s[0:3], 0 offset:132
.LBB108_79:
	s_or_b32 exec_lo, exec_lo, s4
	s_waitcnt_vscnt null, 0x0
	s_barrier
	buffer_gl0_inv
	s_clause 0x1
	buffer_load_dword v5, off, s[0:3], 0 offset:136
	buffer_load_dword v6, off, s[0:3], 0 offset:140
	s_mov_b32 s4, exec_lo
	s_waitcnt vmcnt(0)
	ds_write_b64 v4, v[5:6]
	s_waitcnt lgkmcnt(0)
	s_barrier
	buffer_gl0_inv
	v_cmpx_gt_u32_e32 17, v0
	s_cbranch_execz .LBB108_83
; %bb.80:
	v_add_nc_u32_e32 v5, -1, v0
	v_add_nc_u32_e32 v6, 0x170, v3
	v_mov_b32_e32 v7, v3
	v_mov_b32_e32 v2, 0
	v_mov_b32_e32 v8, 0
	s_mov_b32 s5, 0
	.p2align	6
.LBB108_81:                             ; =>This Inner Loop Header: Depth=1
	s_clause 0x1
	buffer_load_dword v101, v7, s[0:3], 0 offen offset:4
	buffer_load_dword v102, v7, s[0:3], 0 offen
	ds_read_b64 v[99:100], v6
	v_add_nc_u32_e32 v5, 1, v5
	v_add_nc_u32_e32 v6, 8, v6
	;; [unrolled: 1-line block ×3, first 2 shown]
	v_cmp_lt_u32_e32 vcc_lo, 15, v5
	s_or_b32 s5, vcc_lo, s5
	s_waitcnt vmcnt(1) lgkmcnt(0)
	v_mul_f32_e32 v103, v100, v101
	v_mul_f32_e32 v101, v99, v101
	s_waitcnt vmcnt(0)
	v_fma_f32 v99, v99, v102, -v103
	v_fmac_f32_e32 v101, v100, v102
	v_add_f32_e32 v8, v8, v99
	v_add_f32_e32 v2, v2, v101
	s_andn2_b32 exec_lo, exec_lo, s5
	s_cbranch_execnz .LBB108_81
; %bb.82:
	s_or_b32 exec_lo, exec_lo, s5
	v_mov_b32_e32 v5, 0
	ds_read_b64 v[5:6], v5 offset:136
	s_waitcnt lgkmcnt(0)
	v_mul_f32_e32 v7, v2, v6
	v_mul_f32_e32 v6, v8, v6
	v_fma_f32 v7, v8, v5, -v7
	v_fmac_f32_e32 v6, v2, v5
	buffer_store_dword v7, off, s[0:3], 0 offset:136
	buffer_store_dword v6, off, s[0:3], 0 offset:140
.LBB108_83:
	s_or_b32 exec_lo, exec_lo, s4
	s_waitcnt_vscnt null, 0x0
	s_barrier
	buffer_gl0_inv
	s_clause 0x1
	buffer_load_dword v5, off, s[0:3], 0 offset:144
	buffer_load_dword v6, off, s[0:3], 0 offset:148
	s_mov_b32 s4, exec_lo
	s_waitcnt vmcnt(0)
	ds_write_b64 v4, v[5:6]
	s_waitcnt lgkmcnt(0)
	s_barrier
	buffer_gl0_inv
	v_cmpx_gt_u32_e32 18, v0
	s_cbranch_execz .LBB108_87
; %bb.84:
	v_add_nc_u32_e32 v5, -1, v0
	v_add_nc_u32_e32 v6, 0x170, v3
	v_mov_b32_e32 v7, v3
	v_mov_b32_e32 v2, 0
	;; [unrolled: 1-line block ×3, first 2 shown]
	s_mov_b32 s5, 0
	.p2align	6
.LBB108_85:                             ; =>This Inner Loop Header: Depth=1
	s_clause 0x1
	buffer_load_dword v101, v7, s[0:3], 0 offen offset:4
	buffer_load_dword v102, v7, s[0:3], 0 offen
	ds_read_b64 v[99:100], v6
	v_add_nc_u32_e32 v5, 1, v5
	v_add_nc_u32_e32 v6, 8, v6
	;; [unrolled: 1-line block ×3, first 2 shown]
	v_cmp_lt_u32_e32 vcc_lo, 16, v5
	s_or_b32 s5, vcc_lo, s5
	s_waitcnt vmcnt(1) lgkmcnt(0)
	v_mul_f32_e32 v103, v100, v101
	v_mul_f32_e32 v101, v99, v101
	s_waitcnt vmcnt(0)
	v_fma_f32 v99, v99, v102, -v103
	v_fmac_f32_e32 v101, v100, v102
	v_add_f32_e32 v8, v8, v99
	v_add_f32_e32 v2, v2, v101
	s_andn2_b32 exec_lo, exec_lo, s5
	s_cbranch_execnz .LBB108_85
; %bb.86:
	s_or_b32 exec_lo, exec_lo, s5
	v_mov_b32_e32 v5, 0
	ds_read_b64 v[5:6], v5 offset:144
	s_waitcnt lgkmcnt(0)
	v_mul_f32_e32 v7, v2, v6
	v_mul_f32_e32 v6, v8, v6
	v_fma_f32 v7, v8, v5, -v7
	v_fmac_f32_e32 v6, v2, v5
	buffer_store_dword v7, off, s[0:3], 0 offset:144
	buffer_store_dword v6, off, s[0:3], 0 offset:148
.LBB108_87:
	s_or_b32 exec_lo, exec_lo, s4
	s_waitcnt_vscnt null, 0x0
	s_barrier
	buffer_gl0_inv
	s_clause 0x1
	buffer_load_dword v5, off, s[0:3], 0 offset:152
	buffer_load_dword v6, off, s[0:3], 0 offset:156
	s_mov_b32 s4, exec_lo
	s_waitcnt vmcnt(0)
	ds_write_b64 v4, v[5:6]
	s_waitcnt lgkmcnt(0)
	s_barrier
	buffer_gl0_inv
	v_cmpx_gt_u32_e32 19, v0
	s_cbranch_execz .LBB108_91
; %bb.88:
	v_add_nc_u32_e32 v5, -1, v0
	v_add_nc_u32_e32 v6, 0x170, v3
	v_mov_b32_e32 v7, v3
	v_mov_b32_e32 v2, 0
	;; [unrolled: 1-line block ×3, first 2 shown]
	s_mov_b32 s5, 0
	.p2align	6
.LBB108_89:                             ; =>This Inner Loop Header: Depth=1
	s_clause 0x1
	buffer_load_dword v101, v7, s[0:3], 0 offen offset:4
	buffer_load_dword v102, v7, s[0:3], 0 offen
	ds_read_b64 v[99:100], v6
	v_add_nc_u32_e32 v5, 1, v5
	v_add_nc_u32_e32 v6, 8, v6
	;; [unrolled: 1-line block ×3, first 2 shown]
	v_cmp_lt_u32_e32 vcc_lo, 17, v5
	s_or_b32 s5, vcc_lo, s5
	s_waitcnt vmcnt(1) lgkmcnt(0)
	v_mul_f32_e32 v103, v100, v101
	v_mul_f32_e32 v101, v99, v101
	s_waitcnt vmcnt(0)
	v_fma_f32 v99, v99, v102, -v103
	v_fmac_f32_e32 v101, v100, v102
	v_add_f32_e32 v8, v8, v99
	v_add_f32_e32 v2, v2, v101
	s_andn2_b32 exec_lo, exec_lo, s5
	s_cbranch_execnz .LBB108_89
; %bb.90:
	s_or_b32 exec_lo, exec_lo, s5
	v_mov_b32_e32 v5, 0
	ds_read_b64 v[5:6], v5 offset:152
	s_waitcnt lgkmcnt(0)
	v_mul_f32_e32 v7, v2, v6
	v_mul_f32_e32 v6, v8, v6
	v_fma_f32 v7, v8, v5, -v7
	v_fmac_f32_e32 v6, v2, v5
	buffer_store_dword v7, off, s[0:3], 0 offset:152
	buffer_store_dword v6, off, s[0:3], 0 offset:156
.LBB108_91:
	s_or_b32 exec_lo, exec_lo, s4
	s_waitcnt_vscnt null, 0x0
	s_barrier
	buffer_gl0_inv
	s_clause 0x1
	buffer_load_dword v5, off, s[0:3], 0 offset:160
	buffer_load_dword v6, off, s[0:3], 0 offset:164
	s_mov_b32 s4, exec_lo
	s_waitcnt vmcnt(0)
	ds_write_b64 v4, v[5:6]
	s_waitcnt lgkmcnt(0)
	s_barrier
	buffer_gl0_inv
	v_cmpx_gt_u32_e32 20, v0
	s_cbranch_execz .LBB108_95
; %bb.92:
	v_add_nc_u32_e32 v5, -1, v0
	v_add_nc_u32_e32 v6, 0x170, v3
	v_mov_b32_e32 v7, v3
	v_mov_b32_e32 v2, 0
	;; [unrolled: 1-line block ×3, first 2 shown]
	s_mov_b32 s5, 0
	.p2align	6
.LBB108_93:                             ; =>This Inner Loop Header: Depth=1
	s_clause 0x1
	buffer_load_dword v101, v7, s[0:3], 0 offen offset:4
	buffer_load_dword v102, v7, s[0:3], 0 offen
	ds_read_b64 v[99:100], v6
	v_add_nc_u32_e32 v5, 1, v5
	v_add_nc_u32_e32 v6, 8, v6
	;; [unrolled: 1-line block ×3, first 2 shown]
	v_cmp_lt_u32_e32 vcc_lo, 18, v5
	s_or_b32 s5, vcc_lo, s5
	s_waitcnt vmcnt(1) lgkmcnt(0)
	v_mul_f32_e32 v103, v100, v101
	v_mul_f32_e32 v101, v99, v101
	s_waitcnt vmcnt(0)
	v_fma_f32 v99, v99, v102, -v103
	v_fmac_f32_e32 v101, v100, v102
	v_add_f32_e32 v8, v8, v99
	v_add_f32_e32 v2, v2, v101
	s_andn2_b32 exec_lo, exec_lo, s5
	s_cbranch_execnz .LBB108_93
; %bb.94:
	s_or_b32 exec_lo, exec_lo, s5
	v_mov_b32_e32 v5, 0
	ds_read_b64 v[5:6], v5 offset:160
	s_waitcnt lgkmcnt(0)
	v_mul_f32_e32 v7, v2, v6
	v_mul_f32_e32 v6, v8, v6
	v_fma_f32 v7, v8, v5, -v7
	v_fmac_f32_e32 v6, v2, v5
	buffer_store_dword v7, off, s[0:3], 0 offset:160
	buffer_store_dword v6, off, s[0:3], 0 offset:164
.LBB108_95:
	s_or_b32 exec_lo, exec_lo, s4
	s_waitcnt_vscnt null, 0x0
	s_barrier
	buffer_gl0_inv
	s_clause 0x1
	buffer_load_dword v5, off, s[0:3], 0 offset:168
	buffer_load_dword v6, off, s[0:3], 0 offset:172
	s_mov_b32 s4, exec_lo
	s_waitcnt vmcnt(0)
	ds_write_b64 v4, v[5:6]
	s_waitcnt lgkmcnt(0)
	s_barrier
	buffer_gl0_inv
	v_cmpx_gt_u32_e32 21, v0
	s_cbranch_execz .LBB108_99
; %bb.96:
	v_add_nc_u32_e32 v5, -1, v0
	v_add_nc_u32_e32 v6, 0x170, v3
	v_mov_b32_e32 v7, v3
	v_mov_b32_e32 v2, 0
	;; [unrolled: 1-line block ×3, first 2 shown]
	s_mov_b32 s5, 0
	.p2align	6
.LBB108_97:                             ; =>This Inner Loop Header: Depth=1
	s_clause 0x1
	buffer_load_dword v101, v7, s[0:3], 0 offen offset:4
	buffer_load_dword v102, v7, s[0:3], 0 offen
	ds_read_b64 v[99:100], v6
	v_add_nc_u32_e32 v5, 1, v5
	v_add_nc_u32_e32 v6, 8, v6
	;; [unrolled: 1-line block ×3, first 2 shown]
	v_cmp_lt_u32_e32 vcc_lo, 19, v5
	s_or_b32 s5, vcc_lo, s5
	s_waitcnt vmcnt(1) lgkmcnt(0)
	v_mul_f32_e32 v103, v100, v101
	v_mul_f32_e32 v101, v99, v101
	s_waitcnt vmcnt(0)
	v_fma_f32 v99, v99, v102, -v103
	v_fmac_f32_e32 v101, v100, v102
	v_add_f32_e32 v8, v8, v99
	v_add_f32_e32 v2, v2, v101
	s_andn2_b32 exec_lo, exec_lo, s5
	s_cbranch_execnz .LBB108_97
; %bb.98:
	s_or_b32 exec_lo, exec_lo, s5
	v_mov_b32_e32 v5, 0
	ds_read_b64 v[5:6], v5 offset:168
	s_waitcnt lgkmcnt(0)
	v_mul_f32_e32 v7, v2, v6
	v_mul_f32_e32 v6, v8, v6
	v_fma_f32 v7, v8, v5, -v7
	v_fmac_f32_e32 v6, v2, v5
	buffer_store_dword v7, off, s[0:3], 0 offset:168
	buffer_store_dword v6, off, s[0:3], 0 offset:172
.LBB108_99:
	s_or_b32 exec_lo, exec_lo, s4
	s_waitcnt_vscnt null, 0x0
	s_barrier
	buffer_gl0_inv
	s_clause 0x1
	buffer_load_dword v5, off, s[0:3], 0 offset:176
	buffer_load_dword v6, off, s[0:3], 0 offset:180
	s_mov_b32 s4, exec_lo
	s_waitcnt vmcnt(0)
	ds_write_b64 v4, v[5:6]
	s_waitcnt lgkmcnt(0)
	s_barrier
	buffer_gl0_inv
	v_cmpx_gt_u32_e32 22, v0
	s_cbranch_execz .LBB108_103
; %bb.100:
	v_add_nc_u32_e32 v5, -1, v0
	v_add_nc_u32_e32 v6, 0x170, v3
	v_mov_b32_e32 v7, v3
	v_mov_b32_e32 v2, 0
	;; [unrolled: 1-line block ×3, first 2 shown]
	s_mov_b32 s5, 0
	.p2align	6
.LBB108_101:                            ; =>This Inner Loop Header: Depth=1
	s_clause 0x1
	buffer_load_dword v101, v7, s[0:3], 0 offen offset:4
	buffer_load_dword v102, v7, s[0:3], 0 offen
	ds_read_b64 v[99:100], v6
	v_add_nc_u32_e32 v5, 1, v5
	v_add_nc_u32_e32 v6, 8, v6
	;; [unrolled: 1-line block ×3, first 2 shown]
	v_cmp_lt_u32_e32 vcc_lo, 20, v5
	s_or_b32 s5, vcc_lo, s5
	s_waitcnt vmcnt(1) lgkmcnt(0)
	v_mul_f32_e32 v103, v100, v101
	v_mul_f32_e32 v101, v99, v101
	s_waitcnt vmcnt(0)
	v_fma_f32 v99, v99, v102, -v103
	v_fmac_f32_e32 v101, v100, v102
	v_add_f32_e32 v8, v8, v99
	v_add_f32_e32 v2, v2, v101
	s_andn2_b32 exec_lo, exec_lo, s5
	s_cbranch_execnz .LBB108_101
; %bb.102:
	s_or_b32 exec_lo, exec_lo, s5
	v_mov_b32_e32 v5, 0
	ds_read_b64 v[5:6], v5 offset:176
	s_waitcnt lgkmcnt(0)
	v_mul_f32_e32 v7, v2, v6
	v_mul_f32_e32 v6, v8, v6
	v_fma_f32 v7, v8, v5, -v7
	v_fmac_f32_e32 v6, v2, v5
	buffer_store_dword v7, off, s[0:3], 0 offset:176
	buffer_store_dword v6, off, s[0:3], 0 offset:180
.LBB108_103:
	s_or_b32 exec_lo, exec_lo, s4
	s_waitcnt_vscnt null, 0x0
	s_barrier
	buffer_gl0_inv
	s_clause 0x1
	buffer_load_dword v5, off, s[0:3], 0 offset:184
	buffer_load_dword v6, off, s[0:3], 0 offset:188
	s_mov_b32 s4, exec_lo
	s_waitcnt vmcnt(0)
	ds_write_b64 v4, v[5:6]
	s_waitcnt lgkmcnt(0)
	s_barrier
	buffer_gl0_inv
	v_cmpx_gt_u32_e32 23, v0
	s_cbranch_execz .LBB108_107
; %bb.104:
	v_add_nc_u32_e32 v5, -1, v0
	v_add_nc_u32_e32 v6, 0x170, v3
	v_mov_b32_e32 v7, v3
	v_mov_b32_e32 v2, 0
	v_mov_b32_e32 v8, 0
	s_mov_b32 s5, 0
	.p2align	6
.LBB108_105:                            ; =>This Inner Loop Header: Depth=1
	s_clause 0x1
	buffer_load_dword v101, v7, s[0:3], 0 offen offset:4
	buffer_load_dword v102, v7, s[0:3], 0 offen
	ds_read_b64 v[99:100], v6
	v_add_nc_u32_e32 v5, 1, v5
	v_add_nc_u32_e32 v6, 8, v6
	;; [unrolled: 1-line block ×3, first 2 shown]
	v_cmp_lt_u32_e32 vcc_lo, 21, v5
	s_or_b32 s5, vcc_lo, s5
	s_waitcnt vmcnt(1) lgkmcnt(0)
	v_mul_f32_e32 v103, v100, v101
	v_mul_f32_e32 v101, v99, v101
	s_waitcnt vmcnt(0)
	v_fma_f32 v99, v99, v102, -v103
	v_fmac_f32_e32 v101, v100, v102
	v_add_f32_e32 v8, v8, v99
	v_add_f32_e32 v2, v2, v101
	s_andn2_b32 exec_lo, exec_lo, s5
	s_cbranch_execnz .LBB108_105
; %bb.106:
	s_or_b32 exec_lo, exec_lo, s5
	v_mov_b32_e32 v5, 0
	ds_read_b64 v[5:6], v5 offset:184
	s_waitcnt lgkmcnt(0)
	v_mul_f32_e32 v7, v2, v6
	v_mul_f32_e32 v6, v8, v6
	v_fma_f32 v7, v8, v5, -v7
	v_fmac_f32_e32 v6, v2, v5
	buffer_store_dword v7, off, s[0:3], 0 offset:184
	buffer_store_dword v6, off, s[0:3], 0 offset:188
.LBB108_107:
	s_or_b32 exec_lo, exec_lo, s4
	s_waitcnt_vscnt null, 0x0
	s_barrier
	buffer_gl0_inv
	s_clause 0x1
	buffer_load_dword v5, off, s[0:3], 0 offset:192
	buffer_load_dword v6, off, s[0:3], 0 offset:196
	s_mov_b32 s4, exec_lo
	s_waitcnt vmcnt(0)
	ds_write_b64 v4, v[5:6]
	s_waitcnt lgkmcnt(0)
	s_barrier
	buffer_gl0_inv
	v_cmpx_gt_u32_e32 24, v0
	s_cbranch_execz .LBB108_111
; %bb.108:
	v_add_nc_u32_e32 v5, -1, v0
	v_add_nc_u32_e32 v6, 0x170, v3
	v_mov_b32_e32 v7, v3
	v_mov_b32_e32 v2, 0
	;; [unrolled: 1-line block ×3, first 2 shown]
	s_mov_b32 s5, 0
	.p2align	6
.LBB108_109:                            ; =>This Inner Loop Header: Depth=1
	s_clause 0x1
	buffer_load_dword v101, v7, s[0:3], 0 offen offset:4
	buffer_load_dword v102, v7, s[0:3], 0 offen
	ds_read_b64 v[99:100], v6
	v_add_nc_u32_e32 v5, 1, v5
	v_add_nc_u32_e32 v6, 8, v6
	;; [unrolled: 1-line block ×3, first 2 shown]
	v_cmp_lt_u32_e32 vcc_lo, 22, v5
	s_or_b32 s5, vcc_lo, s5
	s_waitcnt vmcnt(1) lgkmcnt(0)
	v_mul_f32_e32 v103, v100, v101
	v_mul_f32_e32 v101, v99, v101
	s_waitcnt vmcnt(0)
	v_fma_f32 v99, v99, v102, -v103
	v_fmac_f32_e32 v101, v100, v102
	v_add_f32_e32 v8, v8, v99
	v_add_f32_e32 v2, v2, v101
	s_andn2_b32 exec_lo, exec_lo, s5
	s_cbranch_execnz .LBB108_109
; %bb.110:
	s_or_b32 exec_lo, exec_lo, s5
	v_mov_b32_e32 v5, 0
	ds_read_b64 v[5:6], v5 offset:192
	s_waitcnt lgkmcnt(0)
	v_mul_f32_e32 v7, v2, v6
	v_mul_f32_e32 v6, v8, v6
	v_fma_f32 v7, v8, v5, -v7
	v_fmac_f32_e32 v6, v2, v5
	buffer_store_dword v7, off, s[0:3], 0 offset:192
	buffer_store_dword v6, off, s[0:3], 0 offset:196
.LBB108_111:
	s_or_b32 exec_lo, exec_lo, s4
	s_waitcnt_vscnt null, 0x0
	s_barrier
	buffer_gl0_inv
	s_clause 0x1
	buffer_load_dword v5, off, s[0:3], 0 offset:200
	buffer_load_dword v6, off, s[0:3], 0 offset:204
	s_mov_b32 s4, exec_lo
	s_waitcnt vmcnt(0)
	ds_write_b64 v4, v[5:6]
	s_waitcnt lgkmcnt(0)
	s_barrier
	buffer_gl0_inv
	v_cmpx_gt_u32_e32 25, v0
	s_cbranch_execz .LBB108_115
; %bb.112:
	v_add_nc_u32_e32 v5, -1, v0
	v_add_nc_u32_e32 v6, 0x170, v3
	v_mov_b32_e32 v7, v3
	v_mov_b32_e32 v2, 0
	;; [unrolled: 1-line block ×3, first 2 shown]
	s_mov_b32 s5, 0
	.p2align	6
.LBB108_113:                            ; =>This Inner Loop Header: Depth=1
	s_clause 0x1
	buffer_load_dword v101, v7, s[0:3], 0 offen offset:4
	buffer_load_dword v102, v7, s[0:3], 0 offen
	ds_read_b64 v[99:100], v6
	v_add_nc_u32_e32 v5, 1, v5
	v_add_nc_u32_e32 v6, 8, v6
	;; [unrolled: 1-line block ×3, first 2 shown]
	v_cmp_lt_u32_e32 vcc_lo, 23, v5
	s_or_b32 s5, vcc_lo, s5
	s_waitcnt vmcnt(1) lgkmcnt(0)
	v_mul_f32_e32 v103, v100, v101
	v_mul_f32_e32 v101, v99, v101
	s_waitcnt vmcnt(0)
	v_fma_f32 v99, v99, v102, -v103
	v_fmac_f32_e32 v101, v100, v102
	v_add_f32_e32 v8, v8, v99
	v_add_f32_e32 v2, v2, v101
	s_andn2_b32 exec_lo, exec_lo, s5
	s_cbranch_execnz .LBB108_113
; %bb.114:
	s_or_b32 exec_lo, exec_lo, s5
	v_mov_b32_e32 v5, 0
	ds_read_b64 v[5:6], v5 offset:200
	s_waitcnt lgkmcnt(0)
	v_mul_f32_e32 v7, v2, v6
	v_mul_f32_e32 v6, v8, v6
	v_fma_f32 v7, v8, v5, -v7
	v_fmac_f32_e32 v6, v2, v5
	buffer_store_dword v7, off, s[0:3], 0 offset:200
	buffer_store_dword v6, off, s[0:3], 0 offset:204
.LBB108_115:
	s_or_b32 exec_lo, exec_lo, s4
	s_waitcnt_vscnt null, 0x0
	s_barrier
	buffer_gl0_inv
	s_clause 0x1
	buffer_load_dword v5, off, s[0:3], 0 offset:208
	buffer_load_dword v6, off, s[0:3], 0 offset:212
	s_mov_b32 s4, exec_lo
	s_waitcnt vmcnt(0)
	ds_write_b64 v4, v[5:6]
	s_waitcnt lgkmcnt(0)
	s_barrier
	buffer_gl0_inv
	v_cmpx_gt_u32_e32 26, v0
	s_cbranch_execz .LBB108_119
; %bb.116:
	v_add_nc_u32_e32 v5, -1, v0
	v_add_nc_u32_e32 v6, 0x170, v3
	v_mov_b32_e32 v7, v3
	v_mov_b32_e32 v2, 0
	;; [unrolled: 1-line block ×3, first 2 shown]
	s_mov_b32 s5, 0
	.p2align	6
.LBB108_117:                            ; =>This Inner Loop Header: Depth=1
	s_clause 0x1
	buffer_load_dword v101, v7, s[0:3], 0 offen offset:4
	buffer_load_dword v102, v7, s[0:3], 0 offen
	ds_read_b64 v[99:100], v6
	v_add_nc_u32_e32 v5, 1, v5
	v_add_nc_u32_e32 v6, 8, v6
	v_add_nc_u32_e32 v7, 8, v7
	v_cmp_lt_u32_e32 vcc_lo, 24, v5
	s_or_b32 s5, vcc_lo, s5
	s_waitcnt vmcnt(1) lgkmcnt(0)
	v_mul_f32_e32 v103, v100, v101
	v_mul_f32_e32 v101, v99, v101
	s_waitcnt vmcnt(0)
	v_fma_f32 v99, v99, v102, -v103
	v_fmac_f32_e32 v101, v100, v102
	v_add_f32_e32 v8, v8, v99
	v_add_f32_e32 v2, v2, v101
	s_andn2_b32 exec_lo, exec_lo, s5
	s_cbranch_execnz .LBB108_117
; %bb.118:
	s_or_b32 exec_lo, exec_lo, s5
	v_mov_b32_e32 v5, 0
	ds_read_b64 v[5:6], v5 offset:208
	s_waitcnt lgkmcnt(0)
	v_mul_f32_e32 v7, v2, v6
	v_mul_f32_e32 v6, v8, v6
	v_fma_f32 v7, v8, v5, -v7
	v_fmac_f32_e32 v6, v2, v5
	buffer_store_dword v7, off, s[0:3], 0 offset:208
	buffer_store_dword v6, off, s[0:3], 0 offset:212
.LBB108_119:
	s_or_b32 exec_lo, exec_lo, s4
	s_waitcnt_vscnt null, 0x0
	s_barrier
	buffer_gl0_inv
	s_clause 0x1
	buffer_load_dword v5, off, s[0:3], 0 offset:216
	buffer_load_dword v6, off, s[0:3], 0 offset:220
	s_mov_b32 s4, exec_lo
	s_waitcnt vmcnt(0)
	ds_write_b64 v4, v[5:6]
	s_waitcnt lgkmcnt(0)
	s_barrier
	buffer_gl0_inv
	v_cmpx_gt_u32_e32 27, v0
	s_cbranch_execz .LBB108_123
; %bb.120:
	v_add_nc_u32_e32 v5, -1, v0
	v_add_nc_u32_e32 v6, 0x170, v3
	v_mov_b32_e32 v7, v3
	v_mov_b32_e32 v2, 0
	;; [unrolled: 1-line block ×3, first 2 shown]
	s_mov_b32 s5, 0
	.p2align	6
.LBB108_121:                            ; =>This Inner Loop Header: Depth=1
	s_clause 0x1
	buffer_load_dword v101, v7, s[0:3], 0 offen offset:4
	buffer_load_dword v102, v7, s[0:3], 0 offen
	ds_read_b64 v[99:100], v6
	v_add_nc_u32_e32 v5, 1, v5
	v_add_nc_u32_e32 v6, 8, v6
	;; [unrolled: 1-line block ×3, first 2 shown]
	v_cmp_lt_u32_e32 vcc_lo, 25, v5
	s_or_b32 s5, vcc_lo, s5
	s_waitcnt vmcnt(1) lgkmcnt(0)
	v_mul_f32_e32 v103, v100, v101
	v_mul_f32_e32 v101, v99, v101
	s_waitcnt vmcnt(0)
	v_fma_f32 v99, v99, v102, -v103
	v_fmac_f32_e32 v101, v100, v102
	v_add_f32_e32 v8, v8, v99
	v_add_f32_e32 v2, v2, v101
	s_andn2_b32 exec_lo, exec_lo, s5
	s_cbranch_execnz .LBB108_121
; %bb.122:
	s_or_b32 exec_lo, exec_lo, s5
	v_mov_b32_e32 v5, 0
	ds_read_b64 v[5:6], v5 offset:216
	s_waitcnt lgkmcnt(0)
	v_mul_f32_e32 v7, v2, v6
	v_mul_f32_e32 v6, v8, v6
	v_fma_f32 v7, v8, v5, -v7
	v_fmac_f32_e32 v6, v2, v5
	buffer_store_dword v7, off, s[0:3], 0 offset:216
	buffer_store_dword v6, off, s[0:3], 0 offset:220
.LBB108_123:
	s_or_b32 exec_lo, exec_lo, s4
	s_waitcnt_vscnt null, 0x0
	s_barrier
	buffer_gl0_inv
	s_clause 0x1
	buffer_load_dword v5, off, s[0:3], 0 offset:224
	buffer_load_dword v6, off, s[0:3], 0 offset:228
	s_mov_b32 s4, exec_lo
	s_waitcnt vmcnt(0)
	ds_write_b64 v4, v[5:6]
	s_waitcnt lgkmcnt(0)
	s_barrier
	buffer_gl0_inv
	v_cmpx_gt_u32_e32 28, v0
	s_cbranch_execz .LBB108_127
; %bb.124:
	v_add_nc_u32_e32 v5, -1, v0
	v_add_nc_u32_e32 v6, 0x170, v3
	v_mov_b32_e32 v7, v3
	v_mov_b32_e32 v2, 0
	;; [unrolled: 1-line block ×3, first 2 shown]
	s_mov_b32 s5, 0
	.p2align	6
.LBB108_125:                            ; =>This Inner Loop Header: Depth=1
	s_clause 0x1
	buffer_load_dword v101, v7, s[0:3], 0 offen offset:4
	buffer_load_dword v102, v7, s[0:3], 0 offen
	ds_read_b64 v[99:100], v6
	v_add_nc_u32_e32 v5, 1, v5
	v_add_nc_u32_e32 v6, 8, v6
	;; [unrolled: 1-line block ×3, first 2 shown]
	v_cmp_lt_u32_e32 vcc_lo, 26, v5
	s_or_b32 s5, vcc_lo, s5
	s_waitcnt vmcnt(1) lgkmcnt(0)
	v_mul_f32_e32 v103, v100, v101
	v_mul_f32_e32 v101, v99, v101
	s_waitcnt vmcnt(0)
	v_fma_f32 v99, v99, v102, -v103
	v_fmac_f32_e32 v101, v100, v102
	v_add_f32_e32 v8, v8, v99
	v_add_f32_e32 v2, v2, v101
	s_andn2_b32 exec_lo, exec_lo, s5
	s_cbranch_execnz .LBB108_125
; %bb.126:
	s_or_b32 exec_lo, exec_lo, s5
	v_mov_b32_e32 v5, 0
	ds_read_b64 v[5:6], v5 offset:224
	s_waitcnt lgkmcnt(0)
	v_mul_f32_e32 v7, v2, v6
	v_mul_f32_e32 v6, v8, v6
	v_fma_f32 v7, v8, v5, -v7
	v_fmac_f32_e32 v6, v2, v5
	buffer_store_dword v7, off, s[0:3], 0 offset:224
	buffer_store_dword v6, off, s[0:3], 0 offset:228
.LBB108_127:
	s_or_b32 exec_lo, exec_lo, s4
	s_waitcnt_vscnt null, 0x0
	s_barrier
	buffer_gl0_inv
	s_clause 0x1
	buffer_load_dword v5, off, s[0:3], 0 offset:232
	buffer_load_dword v6, off, s[0:3], 0 offset:236
	s_mov_b32 s4, exec_lo
	s_waitcnt vmcnt(0)
	ds_write_b64 v4, v[5:6]
	s_waitcnt lgkmcnt(0)
	s_barrier
	buffer_gl0_inv
	v_cmpx_gt_u32_e32 29, v0
	s_cbranch_execz .LBB108_131
; %bb.128:
	v_add_nc_u32_e32 v5, -1, v0
	v_add_nc_u32_e32 v6, 0x170, v3
	v_mov_b32_e32 v7, v3
	v_mov_b32_e32 v2, 0
	;; [unrolled: 1-line block ×3, first 2 shown]
	s_mov_b32 s5, 0
	.p2align	6
.LBB108_129:                            ; =>This Inner Loop Header: Depth=1
	s_clause 0x1
	buffer_load_dword v101, v7, s[0:3], 0 offen offset:4
	buffer_load_dword v102, v7, s[0:3], 0 offen
	ds_read_b64 v[99:100], v6
	v_add_nc_u32_e32 v5, 1, v5
	v_add_nc_u32_e32 v6, 8, v6
	;; [unrolled: 1-line block ×3, first 2 shown]
	v_cmp_lt_u32_e32 vcc_lo, 27, v5
	s_or_b32 s5, vcc_lo, s5
	s_waitcnt vmcnt(1) lgkmcnt(0)
	v_mul_f32_e32 v103, v100, v101
	v_mul_f32_e32 v101, v99, v101
	s_waitcnt vmcnt(0)
	v_fma_f32 v99, v99, v102, -v103
	v_fmac_f32_e32 v101, v100, v102
	v_add_f32_e32 v8, v8, v99
	v_add_f32_e32 v2, v2, v101
	s_andn2_b32 exec_lo, exec_lo, s5
	s_cbranch_execnz .LBB108_129
; %bb.130:
	s_or_b32 exec_lo, exec_lo, s5
	v_mov_b32_e32 v5, 0
	ds_read_b64 v[5:6], v5 offset:232
	s_waitcnt lgkmcnt(0)
	v_mul_f32_e32 v7, v2, v6
	v_mul_f32_e32 v6, v8, v6
	v_fma_f32 v7, v8, v5, -v7
	v_fmac_f32_e32 v6, v2, v5
	buffer_store_dword v7, off, s[0:3], 0 offset:232
	buffer_store_dword v6, off, s[0:3], 0 offset:236
.LBB108_131:
	s_or_b32 exec_lo, exec_lo, s4
	s_waitcnt_vscnt null, 0x0
	s_barrier
	buffer_gl0_inv
	s_clause 0x1
	buffer_load_dword v5, off, s[0:3], 0 offset:240
	buffer_load_dword v6, off, s[0:3], 0 offset:244
	s_mov_b32 s4, exec_lo
	s_waitcnt vmcnt(0)
	ds_write_b64 v4, v[5:6]
	s_waitcnt lgkmcnt(0)
	s_barrier
	buffer_gl0_inv
	v_cmpx_gt_u32_e32 30, v0
	s_cbranch_execz .LBB108_135
; %bb.132:
	v_add_nc_u32_e32 v5, -1, v0
	v_add_nc_u32_e32 v6, 0x170, v3
	v_mov_b32_e32 v7, v3
	v_mov_b32_e32 v2, 0
	;; [unrolled: 1-line block ×3, first 2 shown]
	s_mov_b32 s5, 0
	.p2align	6
.LBB108_133:                            ; =>This Inner Loop Header: Depth=1
	s_clause 0x1
	buffer_load_dword v101, v7, s[0:3], 0 offen offset:4
	buffer_load_dword v102, v7, s[0:3], 0 offen
	ds_read_b64 v[99:100], v6
	v_add_nc_u32_e32 v5, 1, v5
	v_add_nc_u32_e32 v6, 8, v6
	;; [unrolled: 1-line block ×3, first 2 shown]
	v_cmp_lt_u32_e32 vcc_lo, 28, v5
	s_or_b32 s5, vcc_lo, s5
	s_waitcnt vmcnt(1) lgkmcnt(0)
	v_mul_f32_e32 v103, v100, v101
	v_mul_f32_e32 v101, v99, v101
	s_waitcnt vmcnt(0)
	v_fma_f32 v99, v99, v102, -v103
	v_fmac_f32_e32 v101, v100, v102
	v_add_f32_e32 v8, v8, v99
	v_add_f32_e32 v2, v2, v101
	s_andn2_b32 exec_lo, exec_lo, s5
	s_cbranch_execnz .LBB108_133
; %bb.134:
	s_or_b32 exec_lo, exec_lo, s5
	v_mov_b32_e32 v5, 0
	ds_read_b64 v[5:6], v5 offset:240
	s_waitcnt lgkmcnt(0)
	v_mul_f32_e32 v7, v2, v6
	v_mul_f32_e32 v6, v8, v6
	v_fma_f32 v7, v8, v5, -v7
	v_fmac_f32_e32 v6, v2, v5
	buffer_store_dword v7, off, s[0:3], 0 offset:240
	buffer_store_dword v6, off, s[0:3], 0 offset:244
.LBB108_135:
	s_or_b32 exec_lo, exec_lo, s4
	s_waitcnt_vscnt null, 0x0
	s_barrier
	buffer_gl0_inv
	s_clause 0x1
	buffer_load_dword v5, off, s[0:3], 0 offset:248
	buffer_load_dword v6, off, s[0:3], 0 offset:252
	s_mov_b32 s4, exec_lo
	s_waitcnt vmcnt(0)
	ds_write_b64 v4, v[5:6]
	s_waitcnt lgkmcnt(0)
	s_barrier
	buffer_gl0_inv
	v_cmpx_gt_u32_e32 31, v0
	s_cbranch_execz .LBB108_139
; %bb.136:
	v_add_nc_u32_e32 v5, -1, v0
	v_add_nc_u32_e32 v6, 0x170, v3
	v_mov_b32_e32 v7, v3
	v_mov_b32_e32 v2, 0
	;; [unrolled: 1-line block ×3, first 2 shown]
	s_mov_b32 s5, 0
	.p2align	6
.LBB108_137:                            ; =>This Inner Loop Header: Depth=1
	s_clause 0x1
	buffer_load_dword v101, v7, s[0:3], 0 offen offset:4
	buffer_load_dword v102, v7, s[0:3], 0 offen
	ds_read_b64 v[99:100], v6
	v_add_nc_u32_e32 v5, 1, v5
	v_add_nc_u32_e32 v6, 8, v6
	;; [unrolled: 1-line block ×3, first 2 shown]
	v_cmp_lt_u32_e32 vcc_lo, 29, v5
	s_or_b32 s5, vcc_lo, s5
	s_waitcnt vmcnt(1) lgkmcnt(0)
	v_mul_f32_e32 v103, v100, v101
	v_mul_f32_e32 v101, v99, v101
	s_waitcnt vmcnt(0)
	v_fma_f32 v99, v99, v102, -v103
	v_fmac_f32_e32 v101, v100, v102
	v_add_f32_e32 v8, v8, v99
	v_add_f32_e32 v2, v2, v101
	s_andn2_b32 exec_lo, exec_lo, s5
	s_cbranch_execnz .LBB108_137
; %bb.138:
	s_or_b32 exec_lo, exec_lo, s5
	v_mov_b32_e32 v5, 0
	ds_read_b64 v[5:6], v5 offset:248
	s_waitcnt lgkmcnt(0)
	v_mul_f32_e32 v7, v2, v6
	v_mul_f32_e32 v6, v8, v6
	v_fma_f32 v7, v8, v5, -v7
	v_fmac_f32_e32 v6, v2, v5
	buffer_store_dword v7, off, s[0:3], 0 offset:248
	buffer_store_dword v6, off, s[0:3], 0 offset:252
.LBB108_139:
	s_or_b32 exec_lo, exec_lo, s4
	s_waitcnt_vscnt null, 0x0
	s_barrier
	buffer_gl0_inv
	s_clause 0x1
	buffer_load_dword v5, off, s[0:3], 0 offset:256
	buffer_load_dword v6, off, s[0:3], 0 offset:260
	s_mov_b32 s4, exec_lo
	s_waitcnt vmcnt(0)
	ds_write_b64 v4, v[5:6]
	s_waitcnt lgkmcnt(0)
	s_barrier
	buffer_gl0_inv
	v_cmpx_gt_u32_e32 32, v0
	s_cbranch_execz .LBB108_143
; %bb.140:
	v_add_nc_u32_e32 v5, -1, v0
	v_add_nc_u32_e32 v6, 0x170, v3
	v_mov_b32_e32 v7, v3
	v_mov_b32_e32 v2, 0
	;; [unrolled: 1-line block ×3, first 2 shown]
	s_mov_b32 s5, 0
	.p2align	6
.LBB108_141:                            ; =>This Inner Loop Header: Depth=1
	s_clause 0x1
	buffer_load_dword v101, v7, s[0:3], 0 offen offset:4
	buffer_load_dword v102, v7, s[0:3], 0 offen
	ds_read_b64 v[99:100], v6
	v_add_nc_u32_e32 v5, 1, v5
	v_add_nc_u32_e32 v6, 8, v6
	;; [unrolled: 1-line block ×3, first 2 shown]
	v_cmp_lt_u32_e32 vcc_lo, 30, v5
	s_or_b32 s5, vcc_lo, s5
	s_waitcnt vmcnt(1) lgkmcnt(0)
	v_mul_f32_e32 v103, v100, v101
	v_mul_f32_e32 v101, v99, v101
	s_waitcnt vmcnt(0)
	v_fma_f32 v99, v99, v102, -v103
	v_fmac_f32_e32 v101, v100, v102
	v_add_f32_e32 v8, v8, v99
	v_add_f32_e32 v2, v2, v101
	s_andn2_b32 exec_lo, exec_lo, s5
	s_cbranch_execnz .LBB108_141
; %bb.142:
	s_or_b32 exec_lo, exec_lo, s5
	v_mov_b32_e32 v5, 0
	ds_read_b64 v[5:6], v5 offset:256
	s_waitcnt lgkmcnt(0)
	v_mul_f32_e32 v7, v2, v6
	v_mul_f32_e32 v6, v8, v6
	v_fma_f32 v7, v8, v5, -v7
	v_fmac_f32_e32 v6, v2, v5
	buffer_store_dword v7, off, s[0:3], 0 offset:256
	buffer_store_dword v6, off, s[0:3], 0 offset:260
.LBB108_143:
	s_or_b32 exec_lo, exec_lo, s4
	s_waitcnt_vscnt null, 0x0
	s_barrier
	buffer_gl0_inv
	s_clause 0x1
	buffer_load_dword v5, off, s[0:3], 0 offset:264
	buffer_load_dword v6, off, s[0:3], 0 offset:268
	s_mov_b32 s4, exec_lo
	s_waitcnt vmcnt(0)
	ds_write_b64 v4, v[5:6]
	s_waitcnt lgkmcnt(0)
	s_barrier
	buffer_gl0_inv
	v_cmpx_gt_u32_e32 33, v0
	s_cbranch_execz .LBB108_147
; %bb.144:
	v_add_nc_u32_e32 v5, -1, v0
	v_add_nc_u32_e32 v6, 0x170, v3
	v_mov_b32_e32 v7, v3
	v_mov_b32_e32 v2, 0
	;; [unrolled: 1-line block ×3, first 2 shown]
	s_mov_b32 s5, 0
	.p2align	6
.LBB108_145:                            ; =>This Inner Loop Header: Depth=1
	s_clause 0x1
	buffer_load_dword v101, v7, s[0:3], 0 offen offset:4
	buffer_load_dword v102, v7, s[0:3], 0 offen
	ds_read_b64 v[99:100], v6
	v_add_nc_u32_e32 v5, 1, v5
	v_add_nc_u32_e32 v6, 8, v6
	;; [unrolled: 1-line block ×3, first 2 shown]
	v_cmp_lt_u32_e32 vcc_lo, 31, v5
	s_or_b32 s5, vcc_lo, s5
	s_waitcnt vmcnt(1) lgkmcnt(0)
	v_mul_f32_e32 v103, v100, v101
	v_mul_f32_e32 v101, v99, v101
	s_waitcnt vmcnt(0)
	v_fma_f32 v99, v99, v102, -v103
	v_fmac_f32_e32 v101, v100, v102
	v_add_f32_e32 v8, v8, v99
	v_add_f32_e32 v2, v2, v101
	s_andn2_b32 exec_lo, exec_lo, s5
	s_cbranch_execnz .LBB108_145
; %bb.146:
	s_or_b32 exec_lo, exec_lo, s5
	v_mov_b32_e32 v5, 0
	ds_read_b64 v[5:6], v5 offset:264
	s_waitcnt lgkmcnt(0)
	v_mul_f32_e32 v7, v2, v6
	v_mul_f32_e32 v6, v8, v6
	v_fma_f32 v7, v8, v5, -v7
	v_fmac_f32_e32 v6, v2, v5
	buffer_store_dword v7, off, s[0:3], 0 offset:264
	buffer_store_dword v6, off, s[0:3], 0 offset:268
.LBB108_147:
	s_or_b32 exec_lo, exec_lo, s4
	s_waitcnt_vscnt null, 0x0
	s_barrier
	buffer_gl0_inv
	s_clause 0x1
	buffer_load_dword v5, off, s[0:3], 0 offset:272
	buffer_load_dword v6, off, s[0:3], 0 offset:276
	s_mov_b32 s4, exec_lo
	s_waitcnt vmcnt(0)
	ds_write_b64 v4, v[5:6]
	s_waitcnt lgkmcnt(0)
	s_barrier
	buffer_gl0_inv
	v_cmpx_gt_u32_e32 34, v0
	s_cbranch_execz .LBB108_151
; %bb.148:
	v_add_nc_u32_e32 v5, -1, v0
	v_add_nc_u32_e32 v6, 0x170, v3
	v_mov_b32_e32 v7, v3
	v_mov_b32_e32 v2, 0
	;; [unrolled: 1-line block ×3, first 2 shown]
	s_mov_b32 s5, 0
	.p2align	6
.LBB108_149:                            ; =>This Inner Loop Header: Depth=1
	s_clause 0x1
	buffer_load_dword v101, v7, s[0:3], 0 offen offset:4
	buffer_load_dword v102, v7, s[0:3], 0 offen
	ds_read_b64 v[99:100], v6
	v_add_nc_u32_e32 v5, 1, v5
	v_add_nc_u32_e32 v6, 8, v6
	;; [unrolled: 1-line block ×3, first 2 shown]
	v_cmp_lt_u32_e32 vcc_lo, 32, v5
	s_or_b32 s5, vcc_lo, s5
	s_waitcnt vmcnt(1) lgkmcnt(0)
	v_mul_f32_e32 v103, v100, v101
	v_mul_f32_e32 v101, v99, v101
	s_waitcnt vmcnt(0)
	v_fma_f32 v99, v99, v102, -v103
	v_fmac_f32_e32 v101, v100, v102
	v_add_f32_e32 v8, v8, v99
	v_add_f32_e32 v2, v2, v101
	s_andn2_b32 exec_lo, exec_lo, s5
	s_cbranch_execnz .LBB108_149
; %bb.150:
	s_or_b32 exec_lo, exec_lo, s5
	v_mov_b32_e32 v5, 0
	ds_read_b64 v[5:6], v5 offset:272
	s_waitcnt lgkmcnt(0)
	v_mul_f32_e32 v7, v2, v6
	v_mul_f32_e32 v6, v8, v6
	v_fma_f32 v7, v8, v5, -v7
	v_fmac_f32_e32 v6, v2, v5
	buffer_store_dword v7, off, s[0:3], 0 offset:272
	buffer_store_dword v6, off, s[0:3], 0 offset:276
.LBB108_151:
	s_or_b32 exec_lo, exec_lo, s4
	s_waitcnt_vscnt null, 0x0
	s_barrier
	buffer_gl0_inv
	s_clause 0x1
	buffer_load_dword v5, off, s[0:3], 0 offset:280
	buffer_load_dword v6, off, s[0:3], 0 offset:284
	s_mov_b32 s4, exec_lo
	s_waitcnt vmcnt(0)
	ds_write_b64 v4, v[5:6]
	s_waitcnt lgkmcnt(0)
	s_barrier
	buffer_gl0_inv
	v_cmpx_gt_u32_e32 35, v0
	s_cbranch_execz .LBB108_155
; %bb.152:
	v_add_nc_u32_e32 v5, -1, v0
	v_add_nc_u32_e32 v6, 0x170, v3
	v_mov_b32_e32 v7, v3
	v_mov_b32_e32 v2, 0
	;; [unrolled: 1-line block ×3, first 2 shown]
	s_mov_b32 s5, 0
	.p2align	6
.LBB108_153:                            ; =>This Inner Loop Header: Depth=1
	s_clause 0x1
	buffer_load_dword v101, v7, s[0:3], 0 offen offset:4
	buffer_load_dword v102, v7, s[0:3], 0 offen
	ds_read_b64 v[99:100], v6
	v_add_nc_u32_e32 v5, 1, v5
	v_add_nc_u32_e32 v6, 8, v6
	;; [unrolled: 1-line block ×3, first 2 shown]
	v_cmp_lt_u32_e32 vcc_lo, 33, v5
	s_or_b32 s5, vcc_lo, s5
	s_waitcnt vmcnt(1) lgkmcnt(0)
	v_mul_f32_e32 v103, v100, v101
	v_mul_f32_e32 v101, v99, v101
	s_waitcnt vmcnt(0)
	v_fma_f32 v99, v99, v102, -v103
	v_fmac_f32_e32 v101, v100, v102
	v_add_f32_e32 v8, v8, v99
	v_add_f32_e32 v2, v2, v101
	s_andn2_b32 exec_lo, exec_lo, s5
	s_cbranch_execnz .LBB108_153
; %bb.154:
	s_or_b32 exec_lo, exec_lo, s5
	v_mov_b32_e32 v5, 0
	ds_read_b64 v[5:6], v5 offset:280
	s_waitcnt lgkmcnt(0)
	v_mul_f32_e32 v7, v2, v6
	v_mul_f32_e32 v6, v8, v6
	v_fma_f32 v7, v8, v5, -v7
	v_fmac_f32_e32 v6, v2, v5
	buffer_store_dword v7, off, s[0:3], 0 offset:280
	buffer_store_dword v6, off, s[0:3], 0 offset:284
.LBB108_155:
	s_or_b32 exec_lo, exec_lo, s4
	s_waitcnt_vscnt null, 0x0
	s_barrier
	buffer_gl0_inv
	s_clause 0x1
	buffer_load_dword v5, off, s[0:3], 0 offset:288
	buffer_load_dword v6, off, s[0:3], 0 offset:292
	s_mov_b32 s4, exec_lo
	s_waitcnt vmcnt(0)
	ds_write_b64 v4, v[5:6]
	s_waitcnt lgkmcnt(0)
	s_barrier
	buffer_gl0_inv
	v_cmpx_gt_u32_e32 36, v0
	s_cbranch_execz .LBB108_159
; %bb.156:
	v_add_nc_u32_e32 v5, -1, v0
	v_add_nc_u32_e32 v6, 0x170, v3
	v_mov_b32_e32 v7, v3
	v_mov_b32_e32 v2, 0
	;; [unrolled: 1-line block ×3, first 2 shown]
	s_mov_b32 s5, 0
	.p2align	6
.LBB108_157:                            ; =>This Inner Loop Header: Depth=1
	s_clause 0x1
	buffer_load_dword v101, v7, s[0:3], 0 offen offset:4
	buffer_load_dword v102, v7, s[0:3], 0 offen
	ds_read_b64 v[99:100], v6
	v_add_nc_u32_e32 v5, 1, v5
	v_add_nc_u32_e32 v6, 8, v6
	;; [unrolled: 1-line block ×3, first 2 shown]
	v_cmp_lt_u32_e32 vcc_lo, 34, v5
	s_or_b32 s5, vcc_lo, s5
	s_waitcnt vmcnt(1) lgkmcnt(0)
	v_mul_f32_e32 v103, v100, v101
	v_mul_f32_e32 v101, v99, v101
	s_waitcnt vmcnt(0)
	v_fma_f32 v99, v99, v102, -v103
	v_fmac_f32_e32 v101, v100, v102
	v_add_f32_e32 v8, v8, v99
	v_add_f32_e32 v2, v2, v101
	s_andn2_b32 exec_lo, exec_lo, s5
	s_cbranch_execnz .LBB108_157
; %bb.158:
	s_or_b32 exec_lo, exec_lo, s5
	v_mov_b32_e32 v5, 0
	ds_read_b64 v[5:6], v5 offset:288
	s_waitcnt lgkmcnt(0)
	v_mul_f32_e32 v7, v2, v6
	v_mul_f32_e32 v6, v8, v6
	v_fma_f32 v7, v8, v5, -v7
	v_fmac_f32_e32 v6, v2, v5
	buffer_store_dword v7, off, s[0:3], 0 offset:288
	buffer_store_dword v6, off, s[0:3], 0 offset:292
.LBB108_159:
	s_or_b32 exec_lo, exec_lo, s4
	s_waitcnt_vscnt null, 0x0
	s_barrier
	buffer_gl0_inv
	s_clause 0x1
	buffer_load_dword v5, off, s[0:3], 0 offset:296
	buffer_load_dword v6, off, s[0:3], 0 offset:300
	s_mov_b32 s4, exec_lo
	s_waitcnt vmcnt(0)
	ds_write_b64 v4, v[5:6]
	s_waitcnt lgkmcnt(0)
	s_barrier
	buffer_gl0_inv
	v_cmpx_gt_u32_e32 37, v0
	s_cbranch_execz .LBB108_163
; %bb.160:
	v_add_nc_u32_e32 v5, -1, v0
	v_add_nc_u32_e32 v6, 0x170, v3
	v_mov_b32_e32 v7, v3
	v_mov_b32_e32 v2, 0
	;; [unrolled: 1-line block ×3, first 2 shown]
	s_mov_b32 s5, 0
	.p2align	6
.LBB108_161:                            ; =>This Inner Loop Header: Depth=1
	s_clause 0x1
	buffer_load_dword v101, v7, s[0:3], 0 offen offset:4
	buffer_load_dword v102, v7, s[0:3], 0 offen
	ds_read_b64 v[99:100], v6
	v_add_nc_u32_e32 v5, 1, v5
	v_add_nc_u32_e32 v6, 8, v6
	;; [unrolled: 1-line block ×3, first 2 shown]
	v_cmp_lt_u32_e32 vcc_lo, 35, v5
	s_or_b32 s5, vcc_lo, s5
	s_waitcnt vmcnt(1) lgkmcnt(0)
	v_mul_f32_e32 v103, v100, v101
	v_mul_f32_e32 v101, v99, v101
	s_waitcnt vmcnt(0)
	v_fma_f32 v99, v99, v102, -v103
	v_fmac_f32_e32 v101, v100, v102
	v_add_f32_e32 v8, v8, v99
	v_add_f32_e32 v2, v2, v101
	s_andn2_b32 exec_lo, exec_lo, s5
	s_cbranch_execnz .LBB108_161
; %bb.162:
	s_or_b32 exec_lo, exec_lo, s5
	v_mov_b32_e32 v5, 0
	ds_read_b64 v[5:6], v5 offset:296
	s_waitcnt lgkmcnt(0)
	v_mul_f32_e32 v7, v2, v6
	v_mul_f32_e32 v6, v8, v6
	v_fma_f32 v7, v8, v5, -v7
	v_fmac_f32_e32 v6, v2, v5
	buffer_store_dword v7, off, s[0:3], 0 offset:296
	buffer_store_dword v6, off, s[0:3], 0 offset:300
.LBB108_163:
	s_or_b32 exec_lo, exec_lo, s4
	s_waitcnt_vscnt null, 0x0
	s_barrier
	buffer_gl0_inv
	s_clause 0x1
	buffer_load_dword v5, off, s[0:3], 0 offset:304
	buffer_load_dword v6, off, s[0:3], 0 offset:308
	s_mov_b32 s4, exec_lo
	s_waitcnt vmcnt(0)
	ds_write_b64 v4, v[5:6]
	s_waitcnt lgkmcnt(0)
	s_barrier
	buffer_gl0_inv
	v_cmpx_gt_u32_e32 38, v0
	s_cbranch_execz .LBB108_167
; %bb.164:
	v_add_nc_u32_e32 v5, -1, v0
	v_add_nc_u32_e32 v6, 0x170, v3
	v_mov_b32_e32 v7, v3
	v_mov_b32_e32 v2, 0
	;; [unrolled: 1-line block ×3, first 2 shown]
	s_mov_b32 s5, 0
	.p2align	6
.LBB108_165:                            ; =>This Inner Loop Header: Depth=1
	s_clause 0x1
	buffer_load_dword v101, v7, s[0:3], 0 offen offset:4
	buffer_load_dword v102, v7, s[0:3], 0 offen
	ds_read_b64 v[99:100], v6
	v_add_nc_u32_e32 v5, 1, v5
	v_add_nc_u32_e32 v6, 8, v6
	;; [unrolled: 1-line block ×3, first 2 shown]
	v_cmp_lt_u32_e32 vcc_lo, 36, v5
	s_or_b32 s5, vcc_lo, s5
	s_waitcnt vmcnt(1) lgkmcnt(0)
	v_mul_f32_e32 v103, v100, v101
	v_mul_f32_e32 v101, v99, v101
	s_waitcnt vmcnt(0)
	v_fma_f32 v99, v99, v102, -v103
	v_fmac_f32_e32 v101, v100, v102
	v_add_f32_e32 v8, v8, v99
	v_add_f32_e32 v2, v2, v101
	s_andn2_b32 exec_lo, exec_lo, s5
	s_cbranch_execnz .LBB108_165
; %bb.166:
	s_or_b32 exec_lo, exec_lo, s5
	v_mov_b32_e32 v5, 0
	ds_read_b64 v[5:6], v5 offset:304
	s_waitcnt lgkmcnt(0)
	v_mul_f32_e32 v7, v2, v6
	v_mul_f32_e32 v6, v8, v6
	v_fma_f32 v7, v8, v5, -v7
	v_fmac_f32_e32 v6, v2, v5
	buffer_store_dword v7, off, s[0:3], 0 offset:304
	buffer_store_dword v6, off, s[0:3], 0 offset:308
.LBB108_167:
	s_or_b32 exec_lo, exec_lo, s4
	s_waitcnt_vscnt null, 0x0
	s_barrier
	buffer_gl0_inv
	s_clause 0x1
	buffer_load_dword v5, off, s[0:3], 0 offset:312
	buffer_load_dword v6, off, s[0:3], 0 offset:316
	s_mov_b32 s4, exec_lo
	s_waitcnt vmcnt(0)
	ds_write_b64 v4, v[5:6]
	s_waitcnt lgkmcnt(0)
	s_barrier
	buffer_gl0_inv
	v_cmpx_gt_u32_e32 39, v0
	s_cbranch_execz .LBB108_171
; %bb.168:
	v_add_nc_u32_e32 v5, -1, v0
	v_add_nc_u32_e32 v6, 0x170, v3
	v_mov_b32_e32 v7, v3
	v_mov_b32_e32 v2, 0
	;; [unrolled: 1-line block ×3, first 2 shown]
	s_mov_b32 s5, 0
	.p2align	6
.LBB108_169:                            ; =>This Inner Loop Header: Depth=1
	s_clause 0x1
	buffer_load_dword v101, v7, s[0:3], 0 offen offset:4
	buffer_load_dword v102, v7, s[0:3], 0 offen
	ds_read_b64 v[99:100], v6
	v_add_nc_u32_e32 v5, 1, v5
	v_add_nc_u32_e32 v6, 8, v6
	;; [unrolled: 1-line block ×3, first 2 shown]
	v_cmp_lt_u32_e32 vcc_lo, 37, v5
	s_or_b32 s5, vcc_lo, s5
	s_waitcnt vmcnt(1) lgkmcnt(0)
	v_mul_f32_e32 v103, v100, v101
	v_mul_f32_e32 v101, v99, v101
	s_waitcnt vmcnt(0)
	v_fma_f32 v99, v99, v102, -v103
	v_fmac_f32_e32 v101, v100, v102
	v_add_f32_e32 v8, v8, v99
	v_add_f32_e32 v2, v2, v101
	s_andn2_b32 exec_lo, exec_lo, s5
	s_cbranch_execnz .LBB108_169
; %bb.170:
	s_or_b32 exec_lo, exec_lo, s5
	v_mov_b32_e32 v5, 0
	ds_read_b64 v[5:6], v5 offset:312
	s_waitcnt lgkmcnt(0)
	v_mul_f32_e32 v7, v2, v6
	v_mul_f32_e32 v6, v8, v6
	v_fma_f32 v7, v8, v5, -v7
	v_fmac_f32_e32 v6, v2, v5
	buffer_store_dword v7, off, s[0:3], 0 offset:312
	buffer_store_dword v6, off, s[0:3], 0 offset:316
.LBB108_171:
	s_or_b32 exec_lo, exec_lo, s4
	s_waitcnt_vscnt null, 0x0
	s_barrier
	buffer_gl0_inv
	s_clause 0x1
	buffer_load_dword v5, off, s[0:3], 0 offset:320
	buffer_load_dword v6, off, s[0:3], 0 offset:324
	s_mov_b32 s4, exec_lo
	s_waitcnt vmcnt(0)
	ds_write_b64 v4, v[5:6]
	s_waitcnt lgkmcnt(0)
	s_barrier
	buffer_gl0_inv
	v_cmpx_gt_u32_e32 40, v0
	s_cbranch_execz .LBB108_175
; %bb.172:
	v_add_nc_u32_e32 v5, -1, v0
	v_add_nc_u32_e32 v6, 0x170, v3
	v_mov_b32_e32 v7, v3
	v_mov_b32_e32 v2, 0
	;; [unrolled: 1-line block ×3, first 2 shown]
	s_mov_b32 s5, 0
	.p2align	6
.LBB108_173:                            ; =>This Inner Loop Header: Depth=1
	s_clause 0x1
	buffer_load_dword v101, v7, s[0:3], 0 offen offset:4
	buffer_load_dword v102, v7, s[0:3], 0 offen
	ds_read_b64 v[99:100], v6
	v_add_nc_u32_e32 v5, 1, v5
	v_add_nc_u32_e32 v6, 8, v6
	;; [unrolled: 1-line block ×3, first 2 shown]
	v_cmp_lt_u32_e32 vcc_lo, 38, v5
	s_or_b32 s5, vcc_lo, s5
	s_waitcnt vmcnt(1) lgkmcnt(0)
	v_mul_f32_e32 v103, v100, v101
	v_mul_f32_e32 v101, v99, v101
	s_waitcnt vmcnt(0)
	v_fma_f32 v99, v99, v102, -v103
	v_fmac_f32_e32 v101, v100, v102
	v_add_f32_e32 v8, v8, v99
	v_add_f32_e32 v2, v2, v101
	s_andn2_b32 exec_lo, exec_lo, s5
	s_cbranch_execnz .LBB108_173
; %bb.174:
	s_or_b32 exec_lo, exec_lo, s5
	v_mov_b32_e32 v5, 0
	ds_read_b64 v[5:6], v5 offset:320
	s_waitcnt lgkmcnt(0)
	v_mul_f32_e32 v7, v2, v6
	v_mul_f32_e32 v6, v8, v6
	v_fma_f32 v7, v8, v5, -v7
	v_fmac_f32_e32 v6, v2, v5
	buffer_store_dword v7, off, s[0:3], 0 offset:320
	buffer_store_dword v6, off, s[0:3], 0 offset:324
.LBB108_175:
	s_or_b32 exec_lo, exec_lo, s4
	s_waitcnt_vscnt null, 0x0
	s_barrier
	buffer_gl0_inv
	s_clause 0x1
	buffer_load_dword v5, off, s[0:3], 0 offset:328
	buffer_load_dword v6, off, s[0:3], 0 offset:332
	s_mov_b32 s4, exec_lo
	s_waitcnt vmcnt(0)
	ds_write_b64 v4, v[5:6]
	s_waitcnt lgkmcnt(0)
	s_barrier
	buffer_gl0_inv
	v_cmpx_gt_u32_e32 41, v0
	s_cbranch_execz .LBB108_179
; %bb.176:
	v_add_nc_u32_e32 v5, -1, v0
	v_add_nc_u32_e32 v6, 0x170, v3
	v_mov_b32_e32 v7, v3
	v_mov_b32_e32 v2, 0
	;; [unrolled: 1-line block ×3, first 2 shown]
	s_mov_b32 s5, 0
	.p2align	6
.LBB108_177:                            ; =>This Inner Loop Header: Depth=1
	s_clause 0x1
	buffer_load_dword v101, v7, s[0:3], 0 offen offset:4
	buffer_load_dword v102, v7, s[0:3], 0 offen
	ds_read_b64 v[99:100], v6
	v_add_nc_u32_e32 v5, 1, v5
	v_add_nc_u32_e32 v6, 8, v6
	v_add_nc_u32_e32 v7, 8, v7
	v_cmp_lt_u32_e32 vcc_lo, 39, v5
	s_or_b32 s5, vcc_lo, s5
	s_waitcnt vmcnt(1) lgkmcnt(0)
	v_mul_f32_e32 v103, v100, v101
	v_mul_f32_e32 v101, v99, v101
	s_waitcnt vmcnt(0)
	v_fma_f32 v99, v99, v102, -v103
	v_fmac_f32_e32 v101, v100, v102
	v_add_f32_e32 v8, v8, v99
	v_add_f32_e32 v2, v2, v101
	s_andn2_b32 exec_lo, exec_lo, s5
	s_cbranch_execnz .LBB108_177
; %bb.178:
	s_or_b32 exec_lo, exec_lo, s5
	v_mov_b32_e32 v5, 0
	ds_read_b64 v[5:6], v5 offset:328
	s_waitcnt lgkmcnt(0)
	v_mul_f32_e32 v7, v2, v6
	v_mul_f32_e32 v6, v8, v6
	v_fma_f32 v7, v8, v5, -v7
	v_fmac_f32_e32 v6, v2, v5
	buffer_store_dword v7, off, s[0:3], 0 offset:328
	buffer_store_dword v6, off, s[0:3], 0 offset:332
.LBB108_179:
	s_or_b32 exec_lo, exec_lo, s4
	s_waitcnt_vscnt null, 0x0
	s_barrier
	buffer_gl0_inv
	s_clause 0x1
	buffer_load_dword v5, off, s[0:3], 0 offset:336
	buffer_load_dword v6, off, s[0:3], 0 offset:340
	s_mov_b32 s4, exec_lo
	s_waitcnt vmcnt(0)
	ds_write_b64 v4, v[5:6]
	s_waitcnt lgkmcnt(0)
	s_barrier
	buffer_gl0_inv
	v_cmpx_gt_u32_e32 42, v0
	s_cbranch_execz .LBB108_183
; %bb.180:
	v_add_nc_u32_e32 v5, -1, v0
	v_add_nc_u32_e32 v6, 0x170, v3
	v_mov_b32_e32 v7, v3
	v_mov_b32_e32 v2, 0
	;; [unrolled: 1-line block ×3, first 2 shown]
	s_mov_b32 s5, 0
	.p2align	6
.LBB108_181:                            ; =>This Inner Loop Header: Depth=1
	s_clause 0x1
	buffer_load_dword v101, v7, s[0:3], 0 offen offset:4
	buffer_load_dword v102, v7, s[0:3], 0 offen
	ds_read_b64 v[99:100], v6
	v_add_nc_u32_e32 v5, 1, v5
	v_add_nc_u32_e32 v6, 8, v6
	;; [unrolled: 1-line block ×3, first 2 shown]
	v_cmp_lt_u32_e32 vcc_lo, 40, v5
	s_or_b32 s5, vcc_lo, s5
	s_waitcnt vmcnt(1) lgkmcnt(0)
	v_mul_f32_e32 v103, v100, v101
	v_mul_f32_e32 v101, v99, v101
	s_waitcnt vmcnt(0)
	v_fma_f32 v99, v99, v102, -v103
	v_fmac_f32_e32 v101, v100, v102
	v_add_f32_e32 v8, v8, v99
	v_add_f32_e32 v2, v2, v101
	s_andn2_b32 exec_lo, exec_lo, s5
	s_cbranch_execnz .LBB108_181
; %bb.182:
	s_or_b32 exec_lo, exec_lo, s5
	v_mov_b32_e32 v5, 0
	ds_read_b64 v[5:6], v5 offset:336
	s_waitcnt lgkmcnt(0)
	v_mul_f32_e32 v7, v2, v6
	v_mul_f32_e32 v6, v8, v6
	v_fma_f32 v7, v8, v5, -v7
	v_fmac_f32_e32 v6, v2, v5
	buffer_store_dword v7, off, s[0:3], 0 offset:336
	buffer_store_dword v6, off, s[0:3], 0 offset:340
.LBB108_183:
	s_or_b32 exec_lo, exec_lo, s4
	s_waitcnt_vscnt null, 0x0
	s_barrier
	buffer_gl0_inv
	s_clause 0x1
	buffer_load_dword v5, off, s[0:3], 0 offset:344
	buffer_load_dword v6, off, s[0:3], 0 offset:348
	s_mov_b32 s4, exec_lo
	s_waitcnt vmcnt(0)
	ds_write_b64 v4, v[5:6]
	s_waitcnt lgkmcnt(0)
	s_barrier
	buffer_gl0_inv
	v_cmpx_gt_u32_e32 43, v0
	s_cbranch_execz .LBB108_187
; %bb.184:
	v_add_nc_u32_e32 v5, -1, v0
	v_add_nc_u32_e32 v6, 0x170, v3
	v_mov_b32_e32 v7, v3
	v_mov_b32_e32 v2, 0
	v_mov_b32_e32 v8, 0
	s_mov_b32 s5, 0
	.p2align	6
.LBB108_185:                            ; =>This Inner Loop Header: Depth=1
	s_clause 0x1
	buffer_load_dword v101, v7, s[0:3], 0 offen offset:4
	buffer_load_dword v102, v7, s[0:3], 0 offen
	ds_read_b64 v[99:100], v6
	v_add_nc_u32_e32 v5, 1, v5
	v_add_nc_u32_e32 v6, 8, v6
	;; [unrolled: 1-line block ×3, first 2 shown]
	v_cmp_lt_u32_e32 vcc_lo, 41, v5
	s_or_b32 s5, vcc_lo, s5
	s_waitcnt vmcnt(1) lgkmcnt(0)
	v_mul_f32_e32 v103, v100, v101
	v_mul_f32_e32 v101, v99, v101
	s_waitcnt vmcnt(0)
	v_fma_f32 v99, v99, v102, -v103
	v_fmac_f32_e32 v101, v100, v102
	v_add_f32_e32 v8, v8, v99
	v_add_f32_e32 v2, v2, v101
	s_andn2_b32 exec_lo, exec_lo, s5
	s_cbranch_execnz .LBB108_185
; %bb.186:
	s_or_b32 exec_lo, exec_lo, s5
	v_mov_b32_e32 v5, 0
	ds_read_b64 v[5:6], v5 offset:344
	s_waitcnt lgkmcnt(0)
	v_mul_f32_e32 v7, v2, v6
	v_mul_f32_e32 v6, v8, v6
	v_fma_f32 v7, v8, v5, -v7
	v_fmac_f32_e32 v6, v2, v5
	buffer_store_dword v7, off, s[0:3], 0 offset:344
	buffer_store_dword v6, off, s[0:3], 0 offset:348
.LBB108_187:
	s_or_b32 exec_lo, exec_lo, s4
	s_waitcnt_vscnt null, 0x0
	s_barrier
	buffer_gl0_inv
	s_clause 0x1
	buffer_load_dword v5, off, s[0:3], 0 offset:352
	buffer_load_dword v6, off, s[0:3], 0 offset:356
	s_mov_b32 s4, exec_lo
	s_waitcnt vmcnt(0)
	ds_write_b64 v4, v[5:6]
	s_waitcnt lgkmcnt(0)
	s_barrier
	buffer_gl0_inv
	v_cmpx_ne_u32_e32 44, v0
	s_cbranch_execz .LBB108_191
; %bb.188:
	v_mov_b32_e32 v2, 0
	v_mov_b32_e32 v5, 0
	s_mov_b32 s5, 0
	.p2align	6
.LBB108_189:                            ; =>This Inner Loop Header: Depth=1
	s_clause 0x1
	buffer_load_dword v8, v3, s[0:3], 0 offen offset:4
	buffer_load_dword v99, v3, s[0:3], 0 offen
	ds_read_b64 v[6:7], v4
	v_add_nc_u32_e32 v1, 1, v1
	v_add_nc_u32_e32 v4, 8, v4
	;; [unrolled: 1-line block ×3, first 2 shown]
	v_cmp_lt_u32_e32 vcc_lo, 42, v1
	s_or_b32 s5, vcc_lo, s5
	s_waitcnt vmcnt(1) lgkmcnt(0)
	v_mul_f32_e32 v100, v7, v8
	v_mul_f32_e32 v8, v6, v8
	s_waitcnt vmcnt(0)
	v_fma_f32 v6, v6, v99, -v100
	v_fmac_f32_e32 v8, v7, v99
	v_add_f32_e32 v5, v5, v6
	v_add_f32_e32 v2, v2, v8
	s_andn2_b32 exec_lo, exec_lo, s5
	s_cbranch_execnz .LBB108_189
; %bb.190:
	s_or_b32 exec_lo, exec_lo, s5
	v_mov_b32_e32 v1, 0
	ds_read_b64 v[3:4], v1 offset:352
	s_waitcnt lgkmcnt(0)
	v_mul_f32_e32 v1, v2, v4
	v_mul_f32_e32 v4, v5, v4
	v_fma_f32 v1, v5, v3, -v1
	v_fmac_f32_e32 v4, v2, v3
	buffer_store_dword v1, off, s[0:3], 0 offset:352
	buffer_store_dword v4, off, s[0:3], 0 offset:356
.LBB108_191:
	s_or_b32 exec_lo, exec_lo, s4
	s_mov_b32 s5, -1
	s_waitcnt_vscnt null, 0x0
	s_barrier
	buffer_gl0_inv
.LBB108_192:
	s_and_b32 vcc_lo, exec_lo, s5
	s_cbranch_vccz .LBB108_194
; %bb.193:
	s_lshl_b64 s[4:5], s[6:7], 2
	v_mov_b32_e32 v1, 0
	s_add_u32 s4, s10, s4
	s_addc_u32 s5, s11, s5
	global_load_dword v1, v1, s[4:5]
	s_waitcnt vmcnt(0)
	v_cmp_ne_u32_e32 vcc_lo, 0, v1
	s_cbranch_vccz .LBB108_195
.LBB108_194:
	s_endpgm
.LBB108_195:
	v_lshl_add_u32 v99, v0, 3, 0x170
	s_mov_b32 s4, exec_lo
	v_cmpx_eq_u32_e32 44, v0
	s_cbranch_execz .LBB108_197
; %bb.196:
	s_clause 0x1
	buffer_load_dword v1, off, s[0:3], 0 offset:344
	buffer_load_dword v2, off, s[0:3], 0 offset:348
	v_mov_b32_e32 v3, 0
	buffer_store_dword v3, off, s[0:3], 0 offset:344
	buffer_store_dword v3, off, s[0:3], 0 offset:348
	s_waitcnt vmcnt(0)
	ds_write_b64 v99, v[1:2]
.LBB108_197:
	s_or_b32 exec_lo, exec_lo, s4
	s_waitcnt lgkmcnt(0)
	s_waitcnt_vscnt null, 0x0
	s_barrier
	buffer_gl0_inv
	s_clause 0x3
	buffer_load_dword v4, off, s[0:3], 0 offset:356
	buffer_load_dword v5, off, s[0:3], 0 offset:352
	;; [unrolled: 1-line block ×4, first 2 shown]
	v_mov_b32_e32 v1, 0
	s_mov_b32 s4, exec_lo
	ds_read_b64 v[2:3], v1 offset:720
	s_waitcnt vmcnt(3) lgkmcnt(0)
	v_mul_f32_e32 v8, v3, v4
	v_mul_f32_e32 v4, v2, v4
	s_waitcnt vmcnt(2)
	v_fma_f32 v2, v2, v5, -v8
	v_fmac_f32_e32 v4, v3, v5
	v_add_f32_e32 v2, 0, v2
	v_add_f32_e32 v3, 0, v4
	s_waitcnt vmcnt(1)
	v_sub_f32_e32 v2, v6, v2
	s_waitcnt vmcnt(0)
	v_sub_f32_e32 v3, v7, v3
	buffer_store_dword v2, off, s[0:3], 0 offset:344
	buffer_store_dword v3, off, s[0:3], 0 offset:348
	v_cmpx_lt_u32_e32 42, v0
	s_cbranch_execz .LBB108_199
; %bb.198:
	s_clause 0x1
	buffer_load_dword v2, off, s[0:3], 0 offset:336
	buffer_load_dword v3, off, s[0:3], 0 offset:340
	buffer_store_dword v1, off, s[0:3], 0 offset:336
	buffer_store_dword v1, off, s[0:3], 0 offset:340
	s_waitcnt vmcnt(0)
	ds_write_b64 v99, v[2:3]
.LBB108_199:
	s_or_b32 exec_lo, exec_lo, s4
	s_waitcnt lgkmcnt(0)
	s_waitcnt_vscnt null, 0x0
	s_barrier
	buffer_gl0_inv
	s_clause 0x5
	buffer_load_dword v5, off, s[0:3], 0 offset:348
	buffer_load_dword v6, off, s[0:3], 0 offset:356
	;; [unrolled: 1-line block ×6, first 2 shown]
	ds_read2_b64 v[1:4], v1 offset0:89 offset1:90
	s_mov_b32 s4, exec_lo
	s_waitcnt vmcnt(5) lgkmcnt(0)
	v_mul_f32_e32 v102, v2, v5
	v_mul_f32_e32 v5, v1, v5
	s_waitcnt vmcnt(4)
	v_mul_f32_e32 v103, v3, v6
	v_mul_f32_e32 v6, v4, v6
	s_waitcnt vmcnt(3)
	v_fma_f32 v1, v1, v7, -v102
	v_fmac_f32_e32 v5, v2, v7
	s_waitcnt vmcnt(2)
	v_fmac_f32_e32 v103, v4, v8
	v_fma_f32 v2, v3, v8, -v6
	v_add_f32_e32 v1, 0, v1
	v_add_f32_e32 v3, 0, v5
	;; [unrolled: 1-line block ×4, first 2 shown]
	s_waitcnt vmcnt(1)
	v_sub_f32_e32 v1, v100, v1
	s_waitcnt vmcnt(0)
	v_sub_f32_e32 v2, v101, v2
	buffer_store_dword v1, off, s[0:3], 0 offset:336
	buffer_store_dword v2, off, s[0:3], 0 offset:340
	v_cmpx_lt_u32_e32 41, v0
	s_cbranch_execz .LBB108_201
; %bb.200:
	s_clause 0x1
	buffer_load_dword v1, off, s[0:3], 0 offset:328
	buffer_load_dword v2, off, s[0:3], 0 offset:332
	v_mov_b32_e32 v3, 0
	buffer_store_dword v3, off, s[0:3], 0 offset:328
	buffer_store_dword v3, off, s[0:3], 0 offset:332
	s_waitcnt vmcnt(0)
	ds_write_b64 v99, v[1:2]
.LBB108_201:
	s_or_b32 exec_lo, exec_lo, s4
	s_waitcnt lgkmcnt(0)
	s_waitcnt_vscnt null, 0x0
	s_barrier
	buffer_gl0_inv
	s_clause 0x7
	buffer_load_dword v8, off, s[0:3], 0 offset:340
	buffer_load_dword v100, off, s[0:3], 0 offset:348
	;; [unrolled: 1-line block ×8, first 2 shown]
	v_mov_b32_e32 v1, 0
	ds_read_b128 v[2:5], v1 offset:704
	ds_read_b64 v[6:7], v1 offset:720
	s_mov_b32 s4, exec_lo
	s_waitcnt vmcnt(7) lgkmcnt(1)
	v_mul_f32_e32 v107, v3, v8
	v_mul_f32_e32 v8, v2, v8
	s_waitcnt vmcnt(6)
	v_mul_f32_e32 v108, v4, v100
	v_mul_f32_e32 v100, v5, v100
	s_waitcnt vmcnt(5) lgkmcnt(0)
	v_mul_f32_e32 v109, v6, v101
	s_waitcnt vmcnt(4)
	v_fma_f32 v2, v2, v102, -v107
	v_fmac_f32_e32 v8, v3, v102
	v_mul_f32_e32 v3, v7, v101
	s_waitcnt vmcnt(3)
	v_fma_f32 v4, v4, v103, -v100
	v_fmac_f32_e32 v108, v5, v103
	v_add_f32_e32 v2, 0, v2
	v_add_f32_e32 v5, 0, v8
	s_waitcnt vmcnt(2)
	v_fma_f32 v3, v6, v104, -v3
	v_fmac_f32_e32 v109, v7, v104
	v_add_f32_e32 v2, v2, v4
	v_add_f32_e32 v4, v5, v108
	;; [unrolled: 1-line block ×4, first 2 shown]
	s_waitcnt vmcnt(1)
	v_sub_f32_e32 v2, v105, v2
	s_waitcnt vmcnt(0)
	v_sub_f32_e32 v3, v106, v3
	buffer_store_dword v2, off, s[0:3], 0 offset:328
	buffer_store_dword v3, off, s[0:3], 0 offset:332
	v_cmpx_lt_u32_e32 40, v0
	s_cbranch_execz .LBB108_203
; %bb.202:
	s_clause 0x1
	buffer_load_dword v2, off, s[0:3], 0 offset:320
	buffer_load_dword v3, off, s[0:3], 0 offset:324
	buffer_store_dword v1, off, s[0:3], 0 offset:320
	buffer_store_dword v1, off, s[0:3], 0 offset:324
	s_waitcnt vmcnt(0)
	ds_write_b64 v99, v[2:3]
.LBB108_203:
	s_or_b32 exec_lo, exec_lo, s4
	s_waitcnt lgkmcnt(0)
	s_waitcnt_vscnt null, 0x0
	s_barrier
	buffer_gl0_inv
	s_clause 0x9
	buffer_load_dword v6, off, s[0:3], 0 offset:332
	buffer_load_dword v7, off, s[0:3], 0 offset:340
	;; [unrolled: 1-line block ×10, first 2 shown]
	ds_read2_b64 v[2:5], v1 offset0:87 offset1:88
	ds_read2_b64 v[100:103], v1 offset0:89 offset1:90
	s_mov_b32 s4, exec_lo
	s_waitcnt vmcnt(9) lgkmcnt(1)
	v_mul_f32_e32 v1, v2, v6
	v_mul_f32_e32 v6, v3, v6
	s_waitcnt vmcnt(8)
	v_mul_f32_e32 v111, v4, v7
	v_mul_f32_e32 v7, v5, v7
	s_waitcnt vmcnt(7) lgkmcnt(0)
	v_mul_f32_e32 v112, v100, v8
	s_waitcnt vmcnt(5)
	v_fmac_f32_e32 v1, v3, v105
	v_fma_f32 v2, v2, v105, -v6
	v_mul_f32_e32 v3, v101, v8
	s_waitcnt vmcnt(4)
	v_fma_f32 v4, v4, v106, -v7
	v_fmac_f32_e32 v111, v5, v106
	v_add_f32_e32 v1, 0, v1
	v_add_f32_e32 v2, 0, v2
	v_mul_f32_e32 v5, v103, v104
	s_waitcnt vmcnt(3)
	v_fma_f32 v3, v100, v107, -v3
	v_mul_f32_e32 v113, v102, v104
	v_fmac_f32_e32 v112, v101, v107
	v_add_f32_e32 v2, v2, v4
	v_add_f32_e32 v1, v1, v111
	s_waitcnt vmcnt(2)
	v_fma_f32 v4, v102, v108, -v5
	v_fmac_f32_e32 v113, v103, v108
	v_add_f32_e32 v2, v2, v3
	v_add_f32_e32 v1, v1, v112
	;; [unrolled: 1-line block ×4, first 2 shown]
	s_waitcnt vmcnt(1)
	v_sub_f32_e32 v2, v109, v2
	s_waitcnt vmcnt(0)
	v_sub_f32_e32 v1, v110, v1
	buffer_store_dword v2, off, s[0:3], 0 offset:320
	buffer_store_dword v1, off, s[0:3], 0 offset:324
	v_cmpx_lt_u32_e32 39, v0
	s_cbranch_execz .LBB108_205
; %bb.204:
	s_clause 0x1
	buffer_load_dword v1, off, s[0:3], 0 offset:312
	buffer_load_dword v2, off, s[0:3], 0 offset:316
	v_mov_b32_e32 v3, 0
	buffer_store_dword v3, off, s[0:3], 0 offset:312
	buffer_store_dword v3, off, s[0:3], 0 offset:316
	s_waitcnt vmcnt(0)
	ds_write_b64 v99, v[1:2]
.LBB108_205:
	s_or_b32 exec_lo, exec_lo, s4
	s_waitcnt lgkmcnt(0)
	s_waitcnt_vscnt null, 0x0
	s_barrier
	buffer_gl0_inv
	s_clause 0xb
	buffer_load_dword v8, off, s[0:3], 0 offset:324
	buffer_load_dword v104, off, s[0:3], 0 offset:332
	;; [unrolled: 1-line block ×12, first 2 shown]
	v_mov_b32_e32 v1, 0
	ds_read_b128 v[2:5], v1 offset:688
	ds_read_b128 v[100:103], v1 offset:704
	ds_read_b64 v[6:7], v1 offset:720
	s_mov_b32 s4, exec_lo
	s_waitcnt vmcnt(11) lgkmcnt(2)
	v_mul_f32_e32 v115, v2, v8
	v_mul_f32_e32 v8, v3, v8
	s_waitcnt vmcnt(10)
	v_mul_f32_e32 v116, v4, v104
	v_mul_f32_e32 v104, v5, v104
	s_waitcnt vmcnt(9) lgkmcnt(1)
	v_mul_f32_e32 v117, v100, v105
	s_waitcnt vmcnt(6)
	v_fmac_f32_e32 v115, v3, v108
	v_fma_f32 v2, v2, v108, -v8
	v_mul_f32_e32 v3, v101, v105
	s_waitcnt vmcnt(5)
	v_fma_f32 v4, v4, v109, -v104
	v_fmac_f32_e32 v116, v5, v109
	v_add_f32_e32 v5, 0, v115
	v_add_f32_e32 v2, 0, v2
	v_mul_f32_e32 v8, v103, v106
	s_waitcnt vmcnt(4)
	v_fma_f32 v3, v100, v110, -v3
	v_mul_f32_e32 v118, v102, v106
	v_fmac_f32_e32 v117, v101, v110
	v_add_f32_e32 v2, v2, v4
	v_add_f32_e32 v4, v5, v116
	s_waitcnt lgkmcnt(0)
	v_mul_f32_e32 v5, v7, v107
	s_waitcnt vmcnt(3)
	v_fma_f32 v8, v102, v111, -v8
	v_mul_f32_e32 v119, v6, v107
	v_add_f32_e32 v2, v2, v3
	v_fmac_f32_e32 v118, v103, v111
	v_add_f32_e32 v3, v4, v117
	s_waitcnt vmcnt(2)
	v_fma_f32 v4, v6, v112, -v5
	v_fmac_f32_e32 v119, v7, v112
	v_add_f32_e32 v2, v2, v8
	v_add_f32_e32 v3, v3, v118
	;; [unrolled: 1-line block ×4, first 2 shown]
	s_waitcnt vmcnt(1)
	v_sub_f32_e32 v2, v113, v2
	s_waitcnt vmcnt(0)
	v_sub_f32_e32 v3, v114, v3
	buffer_store_dword v2, off, s[0:3], 0 offset:312
	buffer_store_dword v3, off, s[0:3], 0 offset:316
	v_cmpx_lt_u32_e32 38, v0
	s_cbranch_execz .LBB108_207
; %bb.206:
	s_clause 0x1
	buffer_load_dword v2, off, s[0:3], 0 offset:304
	buffer_load_dword v3, off, s[0:3], 0 offset:308
	buffer_store_dword v1, off, s[0:3], 0 offset:304
	buffer_store_dword v1, off, s[0:3], 0 offset:308
	s_waitcnt vmcnt(0)
	ds_write_b64 v99, v[2:3]
.LBB108_207:
	s_or_b32 exec_lo, exec_lo, s4
	s_waitcnt lgkmcnt(0)
	s_waitcnt_vscnt null, 0x0
	s_barrier
	buffer_gl0_inv
	s_clause 0xd
	buffer_load_dword v6, off, s[0:3], 0 offset:316
	buffer_load_dword v7, off, s[0:3], 0 offset:324
	;; [unrolled: 1-line block ×14, first 2 shown]
	ds_read2_b64 v[2:5], v1 offset0:85 offset1:86
	ds_read2_b64 v[100:103], v1 offset0:87 offset1:88
	;; [unrolled: 1-line block ×3, first 2 shown]
	s_mov_b32 s4, exec_lo
	s_waitcnt vmcnt(13) lgkmcnt(2)
	v_mul_f32_e32 v1, v2, v6
	v_mul_f32_e32 v6, v3, v6
	s_waitcnt vmcnt(12)
	v_mul_f32_e32 v119, v4, v7
	v_mul_f32_e32 v7, v5, v7
	s_waitcnt vmcnt(11) lgkmcnt(1)
	v_mul_f32_e32 v120, v100, v8
	s_waitcnt vmcnt(10)
	v_mul_f32_e32 v121, v102, v108
	s_waitcnt vmcnt(7)
	v_fma_f32 v2, v2, v111, -v6
	v_fmac_f32_e32 v1, v3, v111
	v_mul_f32_e32 v3, v101, v8
	s_waitcnt vmcnt(6)
	v_fma_f32 v4, v4, v112, -v7
	v_fmac_f32_e32 v119, v5, v112
	v_add_f32_e32 v2, 0, v2
	v_add_f32_e32 v1, 0, v1
	v_mul_f32_e32 v5, v103, v108
	s_waitcnt vmcnt(5)
	v_fma_f32 v3, v100, v113, -v3
	v_fmac_f32_e32 v120, v101, v113
	v_add_f32_e32 v2, v2, v4
	v_add_f32_e32 v1, v1, v119
	s_waitcnt lgkmcnt(0)
	v_mul_f32_e32 v4, v105, v109
	s_waitcnt vmcnt(4)
	v_fma_f32 v5, v102, v114, -v5
	v_mul_f32_e32 v122, v104, v109
	v_add_f32_e32 v2, v2, v3
	v_fmac_f32_e32 v121, v103, v114
	v_add_f32_e32 v1, v1, v120
	v_mul_f32_e32 v3, v107, v110
	s_waitcnt vmcnt(3)
	v_fma_f32 v4, v104, v115, -v4
	v_add_f32_e32 v2, v2, v5
	v_mul_f32_e32 v123, v106, v110
	v_fmac_f32_e32 v122, v105, v115
	v_add_f32_e32 v1, v1, v121
	s_waitcnt vmcnt(2)
	v_fma_f32 v3, v106, v116, -v3
	v_add_f32_e32 v2, v2, v4
	v_fmac_f32_e32 v123, v107, v116
	v_add_f32_e32 v1, v1, v122
	v_add_f32_e32 v2, v2, v3
	v_add_f32_e32 v1, v1, v123
	s_waitcnt vmcnt(1)
	v_sub_f32_e32 v2, v117, v2
	s_waitcnt vmcnt(0)
	v_sub_f32_e32 v1, v118, v1
	buffer_store_dword v2, off, s[0:3], 0 offset:304
	buffer_store_dword v1, off, s[0:3], 0 offset:308
	v_cmpx_lt_u32_e32 37, v0
	s_cbranch_execz .LBB108_209
; %bb.208:
	s_clause 0x1
	buffer_load_dword v1, off, s[0:3], 0 offset:296
	buffer_load_dword v2, off, s[0:3], 0 offset:300
	v_mov_b32_e32 v3, 0
	buffer_store_dword v3, off, s[0:3], 0 offset:296
	buffer_store_dword v3, off, s[0:3], 0 offset:300
	s_waitcnt vmcnt(0)
	ds_write_b64 v99, v[1:2]
.LBB108_209:
	s_or_b32 exec_lo, exec_lo, s4
	s_waitcnt lgkmcnt(0)
	s_waitcnt_vscnt null, 0x0
	s_barrier
	buffer_gl0_inv
	s_clause 0xf
	buffer_load_dword v8, off, s[0:3], 0 offset:308
	buffer_load_dword v108, off, s[0:3], 0 offset:316
	;; [unrolled: 1-line block ×16, first 2 shown]
	v_mov_b32_e32 v1, 0
	ds_read_b128 v[2:5], v1 offset:672
	ds_read_b128 v[100:103], v1 offset:688
	;; [unrolled: 1-line block ×3, first 2 shown]
	ds_read_b64 v[6:7], v1 offset:720
	s_mov_b32 s4, exec_lo
	s_waitcnt vmcnt(15) lgkmcnt(3)
	v_mul_f32_e32 v123, v2, v8
	v_mul_f32_e32 v8, v3, v8
	s_waitcnt vmcnt(14)
	v_mul_f32_e32 v124, v4, v108
	v_mul_f32_e32 v108, v5, v108
	s_waitcnt vmcnt(13) lgkmcnt(2)
	v_mul_f32_e32 v125, v100, v109
	s_waitcnt vmcnt(12)
	v_mul_f32_e32 v126, v102, v110
	s_waitcnt vmcnt(11) lgkmcnt(1)
	v_mul_f32_e32 v127, v104, v111
	s_waitcnt vmcnt(8)
	v_fma_f32 v2, v2, v114, -v8
	v_fmac_f32_e32 v123, v3, v114
	v_mul_f32_e32 v3, v101, v109
	s_waitcnt vmcnt(7)
	v_fma_f32 v4, v4, v115, -v108
	v_fmac_f32_e32 v124, v5, v115
	v_add_f32_e32 v2, 0, v2
	v_add_f32_e32 v5, 0, v123
	v_mul_f32_e32 v8, v103, v110
	s_waitcnt vmcnt(6)
	v_fma_f32 v3, v100, v116, -v3
	v_fmac_f32_e32 v125, v101, v116
	v_add_f32_e32 v2, v2, v4
	v_add_f32_e32 v4, v5, v124
	;; [unrolled: 6-line block ×3, first 2 shown]
	v_mul_f32_e32 v4, v107, v112
	s_waitcnt vmcnt(4)
	v_fma_f32 v5, v104, v118, -v5
	v_mul_f32_e32 v128, v106, v112
	v_add_f32_e32 v2, v2, v8
	v_fmac_f32_e32 v127, v105, v118
	v_add_f32_e32 v3, v3, v126
	s_waitcnt lgkmcnt(0)
	v_mul_f32_e32 v8, v7, v113
	s_waitcnt vmcnt(3)
	v_fma_f32 v4, v106, v119, -v4
	v_add_f32_e32 v2, v2, v5
	v_mul_f32_e32 v129, v6, v113
	v_fmac_f32_e32 v128, v107, v119
	v_add_f32_e32 v3, v3, v127
	s_waitcnt vmcnt(2)
	v_fma_f32 v5, v6, v120, -v8
	v_add_f32_e32 v2, v2, v4
	v_fmac_f32_e32 v129, v7, v120
	v_add_f32_e32 v3, v3, v128
	v_add_f32_e32 v2, v2, v5
	;; [unrolled: 1-line block ×3, first 2 shown]
	s_waitcnt vmcnt(1)
	v_sub_f32_e32 v2, v121, v2
	s_waitcnt vmcnt(0)
	v_sub_f32_e32 v3, v122, v3
	buffer_store_dword v2, off, s[0:3], 0 offset:296
	buffer_store_dword v3, off, s[0:3], 0 offset:300
	v_cmpx_lt_u32_e32 36, v0
	s_cbranch_execz .LBB108_211
; %bb.210:
	s_clause 0x1
	buffer_load_dword v2, off, s[0:3], 0 offset:288
	buffer_load_dword v3, off, s[0:3], 0 offset:292
	buffer_store_dword v1, off, s[0:3], 0 offset:288
	buffer_store_dword v1, off, s[0:3], 0 offset:292
	s_waitcnt vmcnt(0)
	ds_write_b64 v99, v[2:3]
.LBB108_211:
	s_or_b32 exec_lo, exec_lo, s4
	s_waitcnt lgkmcnt(0)
	s_waitcnt_vscnt null, 0x0
	s_barrier
	buffer_gl0_inv
	s_clause 0x11
	buffer_load_dword v6, off, s[0:3], 0 offset:300
	buffer_load_dword v7, off, s[0:3], 0 offset:308
	;; [unrolled: 1-line block ×18, first 2 shown]
	ds_read2_b64 v[2:5], v1 offset0:83 offset1:84
	ds_read2_b64 v[100:103], v1 offset0:85 offset1:86
	;; [unrolled: 1-line block ×4, first 2 shown]
	s_mov_b32 s4, exec_lo
	s_waitcnt vmcnt(17) lgkmcnt(3)
	v_mul_f32_e32 v1, v2, v6
	v_mul_f32_e32 v6, v3, v6
	s_waitcnt vmcnt(16)
	v_mul_f32_e32 v127, v4, v7
	v_mul_f32_e32 v7, v5, v7
	s_waitcnt vmcnt(15) lgkmcnt(2)
	v_mul_f32_e32 v128, v100, v8
	s_waitcnt vmcnt(14)
	v_mul_f32_e32 v129, v102, v112
	s_waitcnt vmcnt(13) lgkmcnt(1)
	v_mul_f32_e32 v130, v104, v113
	s_waitcnt vmcnt(12)
	v_mul_f32_e32 v131, v106, v114
	s_waitcnt vmcnt(9)
	v_fma_f32 v2, v2, v117, -v6
	v_fmac_f32_e32 v1, v3, v117
	v_mul_f32_e32 v3, v101, v8
	s_waitcnt vmcnt(8)
	v_fma_f32 v4, v4, v118, -v7
	v_fmac_f32_e32 v127, v5, v118
	v_add_f32_e32 v2, 0, v2
	v_add_f32_e32 v1, 0, v1
	v_mul_f32_e32 v5, v103, v112
	s_waitcnt vmcnt(7)
	v_fma_f32 v3, v100, v119, -v3
	v_fmac_f32_e32 v128, v101, v119
	v_add_f32_e32 v2, v2, v4
	v_add_f32_e32 v1, v1, v127
	v_mul_f32_e32 v4, v105, v113
	s_waitcnt vmcnt(6)
	v_fma_f32 v5, v102, v120, -v5
	v_fmac_f32_e32 v129, v103, v120
	v_add_f32_e32 v2, v2, v3
	v_add_f32_e32 v1, v1, v128
	v_mul_f32_e32 v3, v107, v114
	s_waitcnt vmcnt(5)
	v_fma_f32 v4, v104, v121, -v4
	v_fmac_f32_e32 v130, v105, v121
	v_add_f32_e32 v2, v2, v5
	v_add_f32_e32 v1, v1, v129
	s_waitcnt lgkmcnt(0)
	v_mul_f32_e32 v5, v109, v115
	s_waitcnt vmcnt(4)
	v_fma_f32 v3, v106, v122, -v3
	v_mul_f32_e32 v132, v108, v115
	v_add_f32_e32 v2, v2, v4
	v_fmac_f32_e32 v131, v107, v122
	v_add_f32_e32 v1, v1, v130
	v_mul_f32_e32 v4, v111, v116
	s_waitcnt vmcnt(3)
	v_fma_f32 v5, v108, v123, -v5
	v_add_f32_e32 v2, v2, v3
	v_mul_f32_e32 v133, v110, v116
	v_fmac_f32_e32 v132, v109, v123
	v_add_f32_e32 v1, v1, v131
	s_waitcnt vmcnt(2)
	v_fma_f32 v3, v110, v124, -v4
	v_add_f32_e32 v2, v2, v5
	v_fmac_f32_e32 v133, v111, v124
	v_add_f32_e32 v1, v1, v132
	v_add_f32_e32 v2, v2, v3
	;; [unrolled: 1-line block ×3, first 2 shown]
	s_waitcnt vmcnt(1)
	v_sub_f32_e32 v2, v125, v2
	s_waitcnt vmcnt(0)
	v_sub_f32_e32 v1, v126, v1
	buffer_store_dword v2, off, s[0:3], 0 offset:288
	buffer_store_dword v1, off, s[0:3], 0 offset:292
	v_cmpx_lt_u32_e32 35, v0
	s_cbranch_execz .LBB108_213
; %bb.212:
	s_clause 0x1
	buffer_load_dword v1, off, s[0:3], 0 offset:280
	buffer_load_dword v2, off, s[0:3], 0 offset:284
	v_mov_b32_e32 v3, 0
	buffer_store_dword v3, off, s[0:3], 0 offset:280
	buffer_store_dword v3, off, s[0:3], 0 offset:284
	s_waitcnt vmcnt(0)
	ds_write_b64 v99, v[1:2]
.LBB108_213:
	s_or_b32 exec_lo, exec_lo, s4
	s_waitcnt lgkmcnt(0)
	s_waitcnt_vscnt null, 0x0
	s_barrier
	buffer_gl0_inv
	s_clause 0x13
	buffer_load_dword v8, off, s[0:3], 0 offset:292
	buffer_load_dword v112, off, s[0:3], 0 offset:300
	;; [unrolled: 1-line block ×20, first 2 shown]
	v_mov_b32_e32 v1, 0
	ds_read_b128 v[2:5], v1 offset:656
	ds_read_b128 v[100:103], v1 offset:672
	;; [unrolled: 1-line block ×4, first 2 shown]
	ds_read_b64 v[6:7], v1 offset:720
	s_mov_b32 s4, exec_lo
	s_waitcnt vmcnt(19) lgkmcnt(4)
	v_mul_f32_e32 v131, v2, v8
	v_mul_f32_e32 v8, v3, v8
	s_waitcnt vmcnt(18)
	v_mul_f32_e32 v132, v4, v112
	v_mul_f32_e32 v112, v5, v112
	s_waitcnt vmcnt(17) lgkmcnt(3)
	v_mul_f32_e32 v133, v100, v113
	s_waitcnt vmcnt(16)
	v_mul_f32_e32 v134, v102, v114
	s_waitcnt vmcnt(15) lgkmcnt(2)
	v_mul_f32_e32 v135, v104, v115
	s_waitcnt vmcnt(14)
	;; [unrolled: 4-line block ×3, first 2 shown]
	v_fma_f32 v2, v2, v120, -v8
	v_fmac_f32_e32 v131, v3, v120
	v_mul_f32_e32 v3, v101, v113
	s_waitcnt vmcnt(9)
	v_fma_f32 v4, v4, v121, -v112
	v_fmac_f32_e32 v132, v5, v121
	v_add_f32_e32 v2, 0, v2
	v_add_f32_e32 v5, 0, v131
	v_mul_f32_e32 v8, v103, v114
	s_waitcnt vmcnt(8)
	v_fma_f32 v3, v100, v122, -v3
	v_fmac_f32_e32 v133, v101, v122
	v_add_f32_e32 v2, v2, v4
	v_add_f32_e32 v4, v5, v132
	;; [unrolled: 6-line block ×5, first 2 shown]
	v_mul_f32_e32 v5, v111, v118
	s_waitcnt vmcnt(4)
	v_fma_f32 v8, v108, v126, -v8
	v_mul_f32_e32 v138, v110, v118
	v_add_f32_e32 v2, v2, v4
	v_fmac_f32_e32 v137, v109, v126
	v_add_f32_e32 v3, v3, v136
	s_waitcnt lgkmcnt(0)
	v_mul_f32_e32 v4, v7, v119
	s_waitcnt vmcnt(3)
	v_fma_f32 v5, v110, v127, -v5
	v_add_f32_e32 v2, v2, v8
	v_mul_f32_e32 v139, v6, v119
	v_fmac_f32_e32 v138, v111, v127
	v_add_f32_e32 v3, v3, v137
	s_waitcnt vmcnt(2)
	v_fma_f32 v4, v6, v128, -v4
	v_add_f32_e32 v2, v2, v5
	v_fmac_f32_e32 v139, v7, v128
	v_add_f32_e32 v3, v3, v138
	v_add_f32_e32 v2, v2, v4
	;; [unrolled: 1-line block ×3, first 2 shown]
	s_waitcnt vmcnt(1)
	v_sub_f32_e32 v2, v129, v2
	s_waitcnt vmcnt(0)
	v_sub_f32_e32 v3, v130, v3
	buffer_store_dword v2, off, s[0:3], 0 offset:280
	buffer_store_dword v3, off, s[0:3], 0 offset:284
	v_cmpx_lt_u32_e32 34, v0
	s_cbranch_execz .LBB108_215
; %bb.214:
	s_clause 0x1
	buffer_load_dword v2, off, s[0:3], 0 offset:272
	buffer_load_dword v3, off, s[0:3], 0 offset:276
	buffer_store_dword v1, off, s[0:3], 0 offset:272
	buffer_store_dword v1, off, s[0:3], 0 offset:276
	s_waitcnt vmcnt(0)
	ds_write_b64 v99, v[2:3]
.LBB108_215:
	s_or_b32 exec_lo, exec_lo, s4
	s_waitcnt lgkmcnt(0)
	s_waitcnt_vscnt null, 0x0
	s_barrier
	buffer_gl0_inv
	s_clause 0x15
	buffer_load_dword v6, off, s[0:3], 0 offset:284
	buffer_load_dword v7, off, s[0:3], 0 offset:292
	;; [unrolled: 1-line block ×22, first 2 shown]
	ds_read2_b64 v[2:5], v1 offset0:81 offset1:82
	ds_read2_b64 v[100:103], v1 offset0:83 offset1:84
	ds_read2_b64 v[104:107], v1 offset0:85 offset1:86
	ds_read2_b64 v[108:111], v1 offset0:87 offset1:88
	ds_read2_b64 v[112:115], v1 offset0:89 offset1:90
	s_mov_b32 s4, exec_lo
	s_waitcnt vmcnt(21) lgkmcnt(4)
	v_mul_f32_e32 v1, v2, v6
	v_mul_f32_e32 v6, v3, v6
	s_waitcnt vmcnt(20)
	v_mul_f32_e32 v135, v4, v7
	v_mul_f32_e32 v7, v5, v7
	s_waitcnt vmcnt(19) lgkmcnt(3)
	v_mul_f32_e32 v136, v100, v8
	s_waitcnt vmcnt(18)
	v_mul_f32_e32 v137, v102, v116
	s_waitcnt vmcnt(17) lgkmcnt(2)
	v_mul_f32_e32 v138, v104, v117
	s_waitcnt vmcnt(16)
	;; [unrolled: 4-line block ×3, first 2 shown]
	v_mul_f32_e32 v141, v110, v120
	s_waitcnt vmcnt(11)
	v_fma_f32 v2, v2, v123, -v6
	v_fmac_f32_e32 v1, v3, v123
	v_mul_f32_e32 v3, v101, v8
	s_waitcnt vmcnt(10)
	v_fma_f32 v4, v4, v124, -v7
	v_fmac_f32_e32 v135, v5, v124
	v_add_f32_e32 v2, 0, v2
	v_add_f32_e32 v1, 0, v1
	v_mul_f32_e32 v5, v103, v116
	s_waitcnt vmcnt(9)
	v_fma_f32 v3, v100, v125, -v3
	v_fmac_f32_e32 v136, v101, v125
	v_add_f32_e32 v2, v2, v4
	v_add_f32_e32 v1, v1, v135
	;; [unrolled: 6-line block ×6, first 2 shown]
	s_waitcnt lgkmcnt(0)
	v_mul_f32_e32 v3, v113, v121
	s_waitcnt vmcnt(4)
	v_fma_f32 v4, v110, v130, -v4
	v_mul_f32_e32 v142, v112, v121
	v_add_f32_e32 v2, v2, v5
	v_fmac_f32_e32 v141, v111, v130
	v_add_f32_e32 v1, v1, v140
	v_mul_f32_e32 v5, v115, v122
	s_waitcnt vmcnt(3)
	v_fma_f32 v3, v112, v131, -v3
	v_add_f32_e32 v2, v2, v4
	v_mul_f32_e32 v143, v114, v122
	v_fmac_f32_e32 v142, v113, v131
	v_add_f32_e32 v1, v1, v141
	s_waitcnt vmcnt(2)
	v_fma_f32 v4, v114, v132, -v5
	v_add_f32_e32 v2, v2, v3
	v_fmac_f32_e32 v143, v115, v132
	v_add_f32_e32 v1, v1, v142
	v_add_f32_e32 v2, v2, v4
	;; [unrolled: 1-line block ×3, first 2 shown]
	s_waitcnt vmcnt(1)
	v_sub_f32_e32 v2, v133, v2
	s_waitcnt vmcnt(0)
	v_sub_f32_e32 v1, v134, v1
	buffer_store_dword v2, off, s[0:3], 0 offset:272
	buffer_store_dword v1, off, s[0:3], 0 offset:276
	v_cmpx_lt_u32_e32 33, v0
	s_cbranch_execz .LBB108_217
; %bb.216:
	s_clause 0x1
	buffer_load_dword v1, off, s[0:3], 0 offset:264
	buffer_load_dword v2, off, s[0:3], 0 offset:268
	v_mov_b32_e32 v3, 0
	buffer_store_dword v3, off, s[0:3], 0 offset:264
	buffer_store_dword v3, off, s[0:3], 0 offset:268
	s_waitcnt vmcnt(0)
	ds_write_b64 v99, v[1:2]
.LBB108_217:
	s_or_b32 exec_lo, exec_lo, s4
	s_waitcnt lgkmcnt(0)
	s_waitcnt_vscnt null, 0x0
	s_barrier
	buffer_gl0_inv
	s_clause 0x17
	buffer_load_dword v8, off, s[0:3], 0 offset:276
	buffer_load_dword v116, off, s[0:3], 0 offset:284
	;; [unrolled: 1-line block ×24, first 2 shown]
	v_mov_b32_e32 v1, 0
	ds_read_b128 v[2:5], v1 offset:640
	ds_read_b128 v[100:103], v1 offset:656
	;; [unrolled: 1-line block ×5, first 2 shown]
	ds_read_b64 v[6:7], v1 offset:720
	s_mov_b32 s4, exec_lo
	s_waitcnt vmcnt(23) lgkmcnt(5)
	v_mul_f32_e32 v139, v2, v8
	v_mul_f32_e32 v8, v3, v8
	s_waitcnt vmcnt(22)
	v_mul_f32_e32 v140, v4, v116
	v_mul_f32_e32 v116, v5, v116
	s_waitcnt vmcnt(21) lgkmcnt(4)
	v_mul_f32_e32 v141, v100, v117
	s_waitcnt vmcnt(20)
	v_mul_f32_e32 v142, v102, v118
	s_waitcnt vmcnt(19) lgkmcnt(3)
	v_mul_f32_e32 v143, v104, v119
	s_waitcnt vmcnt(18)
	;; [unrolled: 4-line block ×4, first 2 shown]
	v_fma_f32 v2, v2, v126, -v8
	v_fmac_f32_e32 v139, v3, v126
	v_mul_f32_e32 v3, v101, v117
	s_waitcnt vmcnt(11)
	v_fma_f32 v4, v4, v127, -v116
	v_fmac_f32_e32 v140, v5, v127
	v_add_f32_e32 v2, 0, v2
	v_add_f32_e32 v5, 0, v139
	v_mul_f32_e32 v8, v103, v118
	s_waitcnt vmcnt(10)
	v_fma_f32 v3, v100, v128, -v3
	v_fmac_f32_e32 v141, v101, v128
	v_add_f32_e32 v2, v2, v4
	v_add_f32_e32 v4, v5, v140
	v_mul_f32_e32 v5, v105, v119
	s_waitcnt vmcnt(9)
	v_fma_f32 v8, v102, v129, -v8
	v_fmac_f32_e32 v142, v103, v129
	v_add_f32_e32 v2, v2, v3
	v_add_f32_e32 v3, v4, v141
	v_mul_f32_e32 v4, v107, v120
	s_waitcnt vmcnt(8)
	v_fma_f32 v5, v104, v130, -v5
	v_fmac_f32_e32 v143, v105, v130
	v_add_f32_e32 v2, v2, v8
	v_add_f32_e32 v3, v3, v142
	v_mul_f32_e32 v8, v109, v121
	s_waitcnt vmcnt(7)
	v_fma_f32 v4, v106, v131, -v4
	v_fmac_f32_e32 v144, v107, v131
	v_add_f32_e32 v2, v2, v5
	v_add_f32_e32 v3, v3, v143
	v_mul_f32_e32 v5, v111, v122
	s_waitcnt vmcnt(6)
	v_fma_f32 v8, v108, v132, -v8
	v_fmac_f32_e32 v145, v109, v132
	v_add_f32_e32 v2, v2, v4
	v_add_f32_e32 v3, v3, v144
	v_mul_f32_e32 v4, v113, v123
	s_waitcnt vmcnt(5)
	v_fma_f32 v5, v110, v133, -v5
	v_fmac_f32_e32 v146, v111, v133
	v_add_f32_e32 v2, v2, v8
	v_add_f32_e32 v3, v3, v145
	v_mul_f32_e32 v8, v115, v124
	s_waitcnt vmcnt(4)
	v_fma_f32 v4, v112, v134, -v4
	v_mul_f32_e32 v148, v114, v124
	v_add_f32_e32 v2, v2, v5
	v_fmac_f32_e32 v147, v113, v134
	v_add_f32_e32 v3, v3, v146
	s_waitcnt lgkmcnt(0)
	v_mul_f32_e32 v5, v7, v125
	s_waitcnt vmcnt(3)
	v_fma_f32 v8, v114, v135, -v8
	v_add_f32_e32 v2, v2, v4
	v_mul_f32_e32 v149, v6, v125
	v_fmac_f32_e32 v148, v115, v135
	v_add_f32_e32 v3, v3, v147
	s_waitcnt vmcnt(2)
	v_fma_f32 v4, v6, v136, -v5
	v_add_f32_e32 v2, v2, v8
	v_fmac_f32_e32 v149, v7, v136
	v_add_f32_e32 v3, v3, v148
	v_add_f32_e32 v2, v2, v4
	;; [unrolled: 1-line block ×3, first 2 shown]
	s_waitcnt vmcnt(1)
	v_sub_f32_e32 v2, v137, v2
	s_waitcnt vmcnt(0)
	v_sub_f32_e32 v3, v138, v3
	buffer_store_dword v2, off, s[0:3], 0 offset:264
	buffer_store_dword v3, off, s[0:3], 0 offset:268
	v_cmpx_lt_u32_e32 32, v0
	s_cbranch_execz .LBB108_219
; %bb.218:
	s_clause 0x1
	buffer_load_dword v2, off, s[0:3], 0 offset:256
	buffer_load_dword v3, off, s[0:3], 0 offset:260
	buffer_store_dword v1, off, s[0:3], 0 offset:256
	buffer_store_dword v1, off, s[0:3], 0 offset:260
	s_waitcnt vmcnt(0)
	ds_write_b64 v99, v[2:3]
.LBB108_219:
	s_or_b32 exec_lo, exec_lo, s4
	s_waitcnt lgkmcnt(0)
	s_waitcnt_vscnt null, 0x0
	s_barrier
	buffer_gl0_inv
	s_clause 0x19
	buffer_load_dword v6, off, s[0:3], 0 offset:268
	buffer_load_dword v7, off, s[0:3], 0 offset:276
	;; [unrolled: 1-line block ×26, first 2 shown]
	ds_read2_b64 v[2:5], v1 offset0:79 offset1:80
	ds_read2_b64 v[100:103], v1 offset0:81 offset1:82
	;; [unrolled: 1-line block ×6, first 2 shown]
	s_mov_b32 s4, exec_lo
	s_waitcnt vmcnt(25) lgkmcnt(5)
	v_mul_f32_e32 v1, v2, v6
	v_mul_f32_e32 v6, v3, v6
	s_waitcnt vmcnt(24)
	v_mul_f32_e32 v143, v4, v7
	v_mul_f32_e32 v7, v5, v7
	s_waitcnt vmcnt(23) lgkmcnt(4)
	v_mul_f32_e32 v144, v100, v8
	s_waitcnt vmcnt(22)
	v_mul_f32_e32 v145, v102, v120
	s_waitcnt vmcnt(21) lgkmcnt(3)
	v_mul_f32_e32 v146, v104, v121
	s_waitcnt vmcnt(20)
	;; [unrolled: 4-line block ×4, first 2 shown]
	v_mul_f32_e32 v151, v114, v126
	s_waitcnt vmcnt(13)
	v_fma_f32 v2, v2, v129, -v6
	v_fmac_f32_e32 v1, v3, v129
	v_mul_f32_e32 v3, v101, v8
	s_waitcnt vmcnt(12)
	v_fma_f32 v4, v4, v130, -v7
	v_fmac_f32_e32 v143, v5, v130
	v_add_f32_e32 v2, 0, v2
	v_add_f32_e32 v1, 0, v1
	v_mul_f32_e32 v5, v103, v120
	s_waitcnt vmcnt(11)
	v_fma_f32 v3, v100, v131, -v3
	v_fmac_f32_e32 v144, v101, v131
	v_add_f32_e32 v2, v2, v4
	v_add_f32_e32 v1, v1, v143
	;; [unrolled: 6-line block ×8, first 2 shown]
	s_waitcnt lgkmcnt(0)
	v_mul_f32_e32 v4, v117, v127
	s_waitcnt vmcnt(4)
	v_fma_f32 v5, v114, v138, -v5
	v_mul_f32_e32 v152, v116, v127
	v_add_f32_e32 v2, v2, v3
	v_fmac_f32_e32 v151, v115, v138
	v_add_f32_e32 v1, v1, v150
	v_mul_f32_e32 v3, v119, v128
	s_waitcnt vmcnt(3)
	v_fma_f32 v4, v116, v139, -v4
	v_add_f32_e32 v2, v2, v5
	v_mul_f32_e32 v153, v118, v128
	v_fmac_f32_e32 v152, v117, v139
	v_add_f32_e32 v1, v1, v151
	s_waitcnt vmcnt(2)
	v_fma_f32 v3, v118, v140, -v3
	v_add_f32_e32 v2, v2, v4
	v_fmac_f32_e32 v153, v119, v140
	v_add_f32_e32 v1, v1, v152
	v_add_f32_e32 v2, v2, v3
	;; [unrolled: 1-line block ×3, first 2 shown]
	s_waitcnt vmcnt(1)
	v_sub_f32_e32 v2, v141, v2
	s_waitcnt vmcnt(0)
	v_sub_f32_e32 v1, v142, v1
	buffer_store_dword v2, off, s[0:3], 0 offset:256
	buffer_store_dword v1, off, s[0:3], 0 offset:260
	v_cmpx_lt_u32_e32 31, v0
	s_cbranch_execz .LBB108_221
; %bb.220:
	s_clause 0x1
	buffer_load_dword v1, off, s[0:3], 0 offset:248
	buffer_load_dword v2, off, s[0:3], 0 offset:252
	v_mov_b32_e32 v3, 0
	buffer_store_dword v3, off, s[0:3], 0 offset:248
	buffer_store_dword v3, off, s[0:3], 0 offset:252
	s_waitcnt vmcnt(0)
	ds_write_b64 v99, v[1:2]
.LBB108_221:
	s_or_b32 exec_lo, exec_lo, s4
	s_waitcnt lgkmcnt(0)
	s_waitcnt_vscnt null, 0x0
	s_barrier
	buffer_gl0_inv
	s_clause 0x1b
	buffer_load_dword v8, off, s[0:3], 0 offset:260
	buffer_load_dword v120, off, s[0:3], 0 offset:268
	;; [unrolled: 1-line block ×28, first 2 shown]
	v_mov_b32_e32 v1, 0
	ds_read_b128 v[2:5], v1 offset:624
	ds_read_b128 v[100:103], v1 offset:640
	;; [unrolled: 1-line block ×6, first 2 shown]
	ds_read_b64 v[6:7], v1 offset:720
	s_mov_b32 s4, exec_lo
	s_waitcnt vmcnt(27) lgkmcnt(6)
	v_mul_f32_e32 v147, v2, v8
	v_mul_f32_e32 v8, v3, v8
	s_waitcnt vmcnt(26)
	v_mul_f32_e32 v148, v4, v120
	v_mul_f32_e32 v120, v5, v120
	s_waitcnt vmcnt(25) lgkmcnt(5)
	v_mul_f32_e32 v149, v100, v121
	s_waitcnt vmcnt(24)
	v_mul_f32_e32 v150, v102, v122
	s_waitcnt vmcnt(23) lgkmcnt(4)
	v_mul_f32_e32 v151, v104, v123
	s_waitcnt vmcnt(22)
	;; [unrolled: 4-line block ×5, first 2 shown]
	v_fma_f32 v2, v2, v132, -v8
	v_fmac_f32_e32 v147, v3, v132
	v_mul_f32_e32 v3, v101, v121
	s_waitcnt vmcnt(13)
	v_fma_f32 v4, v4, v133, -v120
	v_fmac_f32_e32 v148, v5, v133
	v_add_f32_e32 v2, 0, v2
	v_add_f32_e32 v5, 0, v147
	v_mul_f32_e32 v8, v103, v122
	s_waitcnt vmcnt(12)
	v_fma_f32 v3, v100, v134, -v3
	v_fmac_f32_e32 v149, v101, v134
	v_add_f32_e32 v2, v2, v4
	v_add_f32_e32 v4, v5, v148
	;; [unrolled: 6-line block ×9, first 2 shown]
	v_mul_f32_e32 v4, v119, v130
	s_waitcnt vmcnt(4)
	v_fma_f32 v5, v116, v142, -v5
	v_mul_f32_e32 v158, v118, v130
	v_add_f32_e32 v2, v2, v8
	v_fmac_f32_e32 v157, v117, v142
	v_add_f32_e32 v3, v3, v156
	s_waitcnt lgkmcnt(0)
	v_mul_f32_e32 v8, v7, v131
	s_waitcnt vmcnt(3)
	v_fma_f32 v4, v118, v143, -v4
	v_add_f32_e32 v2, v2, v5
	v_mul_f32_e32 v159, v6, v131
	v_fmac_f32_e32 v158, v119, v143
	v_add_f32_e32 v3, v3, v157
	s_waitcnt vmcnt(2)
	v_fma_f32 v5, v6, v144, -v8
	v_add_f32_e32 v2, v2, v4
	v_fmac_f32_e32 v159, v7, v144
	v_add_f32_e32 v3, v3, v158
	v_add_f32_e32 v2, v2, v5
	v_add_f32_e32 v3, v3, v159
	s_waitcnt vmcnt(1)
	v_sub_f32_e32 v2, v145, v2
	s_waitcnt vmcnt(0)
	v_sub_f32_e32 v3, v146, v3
	buffer_store_dword v2, off, s[0:3], 0 offset:248
	buffer_store_dword v3, off, s[0:3], 0 offset:252
	v_cmpx_lt_u32_e32 30, v0
	s_cbranch_execz .LBB108_223
; %bb.222:
	s_clause 0x1
	buffer_load_dword v2, off, s[0:3], 0 offset:240
	buffer_load_dword v3, off, s[0:3], 0 offset:244
	buffer_store_dword v1, off, s[0:3], 0 offset:240
	buffer_store_dword v1, off, s[0:3], 0 offset:244
	s_waitcnt vmcnt(0)
	ds_write_b64 v99, v[2:3]
.LBB108_223:
	s_or_b32 exec_lo, exec_lo, s4
	s_waitcnt lgkmcnt(0)
	s_waitcnt_vscnt null, 0x0
	s_barrier
	buffer_gl0_inv
	s_clause 0x1d
	buffer_load_dword v6, off, s[0:3], 0 offset:252
	buffer_load_dword v7, off, s[0:3], 0 offset:260
	;; [unrolled: 1-line block ×30, first 2 shown]
	ds_read2_b64 v[2:5], v1 offset0:77 offset1:78
	ds_read2_b64 v[100:103], v1 offset0:79 offset1:80
	;; [unrolled: 1-line block ×7, first 2 shown]
	s_mov_b32 s4, exec_lo
	s_waitcnt vmcnt(29) lgkmcnt(6)
	v_mul_f32_e32 v1, v2, v6
	v_mul_f32_e32 v6, v3, v6
	s_waitcnt vmcnt(28)
	v_mul_f32_e32 v151, v4, v7
	v_mul_f32_e32 v7, v5, v7
	s_waitcnt vmcnt(27) lgkmcnt(5)
	v_mul_f32_e32 v152, v100, v8
	s_waitcnt vmcnt(26)
	v_mul_f32_e32 v153, v102, v124
	s_waitcnt vmcnt(25) lgkmcnt(4)
	v_mul_f32_e32 v154, v104, v125
	s_waitcnt vmcnt(24)
	;; [unrolled: 4-line block ×5, first 2 shown]
	v_mul_f32_e32 v161, v118, v132
	s_waitcnt vmcnt(15)
	v_fma_f32 v2, v2, v135, -v6
	v_fmac_f32_e32 v1, v3, v135
	v_mul_f32_e32 v3, v101, v8
	s_waitcnt vmcnt(14)
	v_fma_f32 v4, v4, v136, -v7
	v_fmac_f32_e32 v151, v5, v136
	v_add_f32_e32 v2, 0, v2
	v_add_f32_e32 v1, 0, v1
	v_mul_f32_e32 v5, v103, v124
	s_waitcnt vmcnt(13)
	v_fma_f32 v3, v100, v137, -v3
	v_fmac_f32_e32 v152, v101, v137
	v_add_f32_e32 v2, v2, v4
	v_add_f32_e32 v1, v1, v151
	;; [unrolled: 6-line block ×10, first 2 shown]
	s_waitcnt lgkmcnt(0)
	v_mul_f32_e32 v5, v121, v133
	s_waitcnt vmcnt(4)
	v_fma_f32 v3, v118, v146, -v3
	v_mul_f32_e32 v162, v120, v133
	v_add_f32_e32 v2, v2, v4
	v_fmac_f32_e32 v161, v119, v146
	v_add_f32_e32 v1, v1, v160
	v_mul_f32_e32 v4, v123, v134
	s_waitcnt vmcnt(3)
	v_fma_f32 v5, v120, v147, -v5
	v_add_f32_e32 v2, v2, v3
	v_mul_f32_e32 v163, v122, v134
	v_fmac_f32_e32 v162, v121, v147
	v_add_f32_e32 v1, v1, v161
	s_waitcnt vmcnt(2)
	v_fma_f32 v3, v122, v148, -v4
	v_add_f32_e32 v2, v2, v5
	v_fmac_f32_e32 v163, v123, v148
	v_add_f32_e32 v1, v1, v162
	v_add_f32_e32 v2, v2, v3
	;; [unrolled: 1-line block ×3, first 2 shown]
	s_waitcnt vmcnt(1)
	v_sub_f32_e32 v2, v149, v2
	s_waitcnt vmcnt(0)
	v_sub_f32_e32 v1, v150, v1
	buffer_store_dword v2, off, s[0:3], 0 offset:240
	buffer_store_dword v1, off, s[0:3], 0 offset:244
	v_cmpx_lt_u32_e32 29, v0
	s_cbranch_execz .LBB108_225
; %bb.224:
	s_clause 0x1
	buffer_load_dword v1, off, s[0:3], 0 offset:232
	buffer_load_dword v2, off, s[0:3], 0 offset:236
	v_mov_b32_e32 v3, 0
	buffer_store_dword v3, off, s[0:3], 0 offset:232
	buffer_store_dword v3, off, s[0:3], 0 offset:236
	s_waitcnt vmcnt(0)
	ds_write_b64 v99, v[1:2]
.LBB108_225:
	s_or_b32 exec_lo, exec_lo, s4
	s_waitcnt lgkmcnt(0)
	s_waitcnt_vscnt null, 0x0
	s_barrier
	buffer_gl0_inv
	s_clause 0x1f
	buffer_load_dword v8, off, s[0:3], 0 offset:244
	buffer_load_dword v124, off, s[0:3], 0 offset:252
	;; [unrolled: 1-line block ×32, first 2 shown]
	v_mov_b32_e32 v1, 0
	ds_read_b128 v[2:5], v1 offset:608
	ds_read_b128 v[100:103], v1 offset:624
	;; [unrolled: 1-line block ×7, first 2 shown]
	ds_read_b64 v[6:7], v1 offset:720
	s_mov_b32 s4, exec_lo
	s_waitcnt vmcnt(31) lgkmcnt(7)
	v_mul_f32_e32 v155, v2, v8
	v_mul_f32_e32 v8, v3, v8
	s_waitcnt vmcnt(30)
	v_mul_f32_e32 v156, v4, v124
	v_mul_f32_e32 v124, v5, v124
	s_waitcnt vmcnt(29) lgkmcnt(6)
	v_mul_f32_e32 v157, v100, v125
	s_waitcnt vmcnt(28)
	v_mul_f32_e32 v158, v102, v126
	s_waitcnt vmcnt(27) lgkmcnt(5)
	v_mul_f32_e32 v159, v104, v127
	s_waitcnt vmcnt(26)
	;; [unrolled: 4-line block ×6, first 2 shown]
	v_fma_f32 v2, v2, v138, -v8
	v_fmac_f32_e32 v155, v3, v138
	v_mul_f32_e32 v3, v101, v125
	s_waitcnt vmcnt(15)
	v_fma_f32 v4, v4, v139, -v124
	v_fmac_f32_e32 v156, v5, v139
	v_add_f32_e32 v2, 0, v2
	v_add_f32_e32 v5, 0, v155
	v_mul_f32_e32 v8, v103, v126
	s_waitcnt vmcnt(14)
	v_fma_f32 v3, v100, v140, -v3
	v_fmac_f32_e32 v157, v101, v140
	v_add_f32_e32 v2, v2, v4
	v_add_f32_e32 v4, v5, v156
	;; [unrolled: 6-line block ×11, first 2 shown]
	v_mul_f32_e32 v5, v123, v136
	s_waitcnt vmcnt(4)
	v_fma_f32 v8, v120, v150, -v8
	v_mul_f32_e32 v168, v122, v136
	v_add_f32_e32 v2, v2, v4
	v_fmac_f32_e32 v167, v121, v150
	v_add_f32_e32 v3, v3, v166
	s_waitcnt lgkmcnt(0)
	v_mul_f32_e32 v4, v7, v137
	s_waitcnt vmcnt(3)
	v_fma_f32 v5, v122, v151, -v5
	v_add_f32_e32 v2, v2, v8
	v_mul_f32_e32 v169, v6, v137
	v_fmac_f32_e32 v168, v123, v151
	v_add_f32_e32 v3, v3, v167
	s_waitcnt vmcnt(2)
	v_fma_f32 v4, v6, v152, -v4
	v_add_f32_e32 v2, v2, v5
	v_fmac_f32_e32 v169, v7, v152
	v_add_f32_e32 v3, v3, v168
	v_add_f32_e32 v2, v2, v4
	;; [unrolled: 1-line block ×3, first 2 shown]
	s_waitcnt vmcnt(1)
	v_sub_f32_e32 v2, v153, v2
	s_waitcnt vmcnt(0)
	v_sub_f32_e32 v3, v154, v3
	buffer_store_dword v2, off, s[0:3], 0 offset:232
	buffer_store_dword v3, off, s[0:3], 0 offset:236
	v_cmpx_lt_u32_e32 28, v0
	s_cbranch_execz .LBB108_227
; %bb.226:
	s_clause 0x1
	buffer_load_dword v2, off, s[0:3], 0 offset:224
	buffer_load_dword v3, off, s[0:3], 0 offset:228
	buffer_store_dword v1, off, s[0:3], 0 offset:224
	buffer_store_dword v1, off, s[0:3], 0 offset:228
	s_waitcnt vmcnt(0)
	ds_write_b64 v99, v[2:3]
.LBB108_227:
	s_or_b32 exec_lo, exec_lo, s4
	s_waitcnt lgkmcnt(0)
	s_waitcnt_vscnt null, 0x0
	s_barrier
	buffer_gl0_inv
	s_clause 0x21
	buffer_load_dword v6, off, s[0:3], 0 offset:236
	buffer_load_dword v7, off, s[0:3], 0 offset:244
	;; [unrolled: 1-line block ×34, first 2 shown]
	ds_read2_b64 v[2:5], v1 offset0:75 offset1:76
	ds_read2_b64 v[100:103], v1 offset0:77 offset1:78
	;; [unrolled: 1-line block ×8, first 2 shown]
	s_mov_b32 s4, exec_lo
	s_waitcnt vmcnt(33) lgkmcnt(7)
	v_mul_f32_e32 v1, v2, v6
	v_mul_f32_e32 v6, v3, v6
	s_waitcnt vmcnt(32)
	v_mul_f32_e32 v159, v4, v7
	v_mul_f32_e32 v7, v5, v7
	s_waitcnt vmcnt(31) lgkmcnt(6)
	v_mul_f32_e32 v160, v100, v8
	s_waitcnt vmcnt(30)
	v_mul_f32_e32 v161, v102, v128
	s_waitcnt vmcnt(29) lgkmcnt(5)
	v_mul_f32_e32 v162, v104, v129
	s_waitcnt vmcnt(28)
	;; [unrolled: 4-line block ×6, first 2 shown]
	v_mul_f32_e32 v171, v122, v138
	s_waitcnt vmcnt(17)
	v_fma_f32 v2, v2, v141, -v6
	v_fmac_f32_e32 v1, v3, v141
	v_mul_f32_e32 v3, v101, v8
	s_waitcnt vmcnt(16)
	v_fma_f32 v4, v4, v142, -v7
	v_fmac_f32_e32 v159, v5, v142
	v_add_f32_e32 v2, 0, v2
	v_add_f32_e32 v1, 0, v1
	v_mul_f32_e32 v5, v103, v128
	s_waitcnt vmcnt(15)
	v_fma_f32 v3, v100, v143, -v3
	v_fmac_f32_e32 v160, v101, v143
	v_add_f32_e32 v2, v2, v4
	v_add_f32_e32 v1, v1, v159
	v_mul_f32_e32 v4, v105, v129
	s_waitcnt vmcnt(14)
	v_fma_f32 v5, v102, v144, -v5
	v_fmac_f32_e32 v161, v103, v144
	v_add_f32_e32 v2, v2, v3
	v_add_f32_e32 v1, v1, v160
	v_mul_f32_e32 v3, v107, v130
	s_waitcnt vmcnt(13)
	v_fma_f32 v4, v104, v145, -v4
	v_fmac_f32_e32 v162, v105, v145
	v_add_f32_e32 v2, v2, v5
	v_add_f32_e32 v1, v1, v161
	v_mul_f32_e32 v5, v109, v131
	s_waitcnt vmcnt(12)
	v_fma_f32 v3, v106, v146, -v3
	v_fmac_f32_e32 v163, v107, v146
	v_add_f32_e32 v2, v2, v4
	v_add_f32_e32 v1, v1, v162
	v_mul_f32_e32 v4, v111, v132
	s_waitcnt vmcnt(11)
	v_fma_f32 v5, v108, v147, -v5
	v_fmac_f32_e32 v164, v109, v147
	v_add_f32_e32 v2, v2, v3
	v_add_f32_e32 v1, v1, v163
	v_mul_f32_e32 v3, v113, v133
	s_waitcnt vmcnt(10)
	v_fma_f32 v4, v110, v148, -v4
	v_fmac_f32_e32 v165, v111, v148
	v_add_f32_e32 v2, v2, v5
	v_add_f32_e32 v1, v1, v164
	v_mul_f32_e32 v5, v115, v134
	s_waitcnt vmcnt(9)
	v_fma_f32 v3, v112, v149, -v3
	v_fmac_f32_e32 v166, v113, v149
	v_add_f32_e32 v2, v2, v4
	v_add_f32_e32 v1, v1, v165
	v_mul_f32_e32 v4, v117, v135
	s_waitcnt vmcnt(8)
	v_fma_f32 v5, v114, v150, -v5
	v_fmac_f32_e32 v167, v115, v150
	v_add_f32_e32 v2, v2, v3
	v_add_f32_e32 v1, v1, v166
	v_mul_f32_e32 v3, v119, v136
	s_waitcnt vmcnt(7)
	v_fma_f32 v4, v116, v151, -v4
	v_fmac_f32_e32 v168, v117, v151
	v_add_f32_e32 v2, v2, v5
	v_add_f32_e32 v1, v1, v167
	v_mul_f32_e32 v5, v121, v137
	s_waitcnt vmcnt(6)
	v_fma_f32 v3, v118, v152, -v3
	v_fmac_f32_e32 v169, v119, v152
	v_add_f32_e32 v2, v2, v4
	v_add_f32_e32 v1, v1, v168
	v_mul_f32_e32 v4, v123, v138
	s_waitcnt vmcnt(5)
	v_fma_f32 v5, v120, v153, -v5
	v_fmac_f32_e32 v170, v121, v153
	v_add_f32_e32 v2, v2, v3
	v_add_f32_e32 v1, v1, v169
	s_waitcnt lgkmcnt(0)
	v_mul_f32_e32 v3, v125, v139
	s_waitcnt vmcnt(4)
	v_fma_f32 v4, v122, v154, -v4
	v_mul_f32_e32 v172, v124, v139
	v_add_f32_e32 v2, v2, v5
	v_fmac_f32_e32 v171, v123, v154
	v_add_f32_e32 v1, v1, v170
	v_mul_f32_e32 v5, v127, v140
	s_waitcnt vmcnt(3)
	v_fma_f32 v3, v124, v155, -v3
	v_add_f32_e32 v2, v2, v4
	v_mul_f32_e32 v173, v126, v140
	v_fmac_f32_e32 v172, v125, v155
	v_add_f32_e32 v1, v1, v171
	s_waitcnt vmcnt(2)
	v_fma_f32 v4, v126, v156, -v5
	v_add_f32_e32 v2, v2, v3
	v_fmac_f32_e32 v173, v127, v156
	v_add_f32_e32 v1, v1, v172
	v_add_f32_e32 v2, v2, v4
	;; [unrolled: 1-line block ×3, first 2 shown]
	s_waitcnt vmcnt(1)
	v_sub_f32_e32 v2, v157, v2
	s_waitcnt vmcnt(0)
	v_sub_f32_e32 v1, v158, v1
	buffer_store_dword v2, off, s[0:3], 0 offset:224
	buffer_store_dword v1, off, s[0:3], 0 offset:228
	v_cmpx_lt_u32_e32 27, v0
	s_cbranch_execz .LBB108_229
; %bb.228:
	s_clause 0x1
	buffer_load_dword v1, off, s[0:3], 0 offset:216
	buffer_load_dword v2, off, s[0:3], 0 offset:220
	v_mov_b32_e32 v3, 0
	buffer_store_dword v3, off, s[0:3], 0 offset:216
	buffer_store_dword v3, off, s[0:3], 0 offset:220
	s_waitcnt vmcnt(0)
	ds_write_b64 v99, v[1:2]
.LBB108_229:
	s_or_b32 exec_lo, exec_lo, s4
	s_waitcnt lgkmcnt(0)
	s_waitcnt_vscnt null, 0x0
	s_barrier
	buffer_gl0_inv
	s_clause 0x23
	buffer_load_dword v8, off, s[0:3], 0 offset:228
	buffer_load_dword v128, off, s[0:3], 0 offset:236
	;; [unrolled: 1-line block ×36, first 2 shown]
	v_mov_b32_e32 v1, 0
	ds_read_b128 v[2:5], v1 offset:592
	ds_read_b128 v[100:103], v1 offset:608
	;; [unrolled: 1-line block ×8, first 2 shown]
	ds_read_b64 v[6:7], v1 offset:720
	s_mov_b32 s4, exec_lo
	s_waitcnt vmcnt(35) lgkmcnt(8)
	v_mul_f32_e32 v163, v2, v8
	v_mul_f32_e32 v8, v3, v8
	s_waitcnt vmcnt(34)
	v_mul_f32_e32 v164, v4, v128
	v_mul_f32_e32 v128, v5, v128
	s_waitcnt vmcnt(33) lgkmcnt(7)
	v_mul_f32_e32 v165, v100, v129
	s_waitcnt vmcnt(32)
	v_mul_f32_e32 v166, v102, v130
	s_waitcnt vmcnt(31) lgkmcnt(6)
	v_mul_f32_e32 v167, v104, v131
	s_waitcnt vmcnt(30)
	;; [unrolled: 4-line block ×7, first 2 shown]
	v_fma_f32 v2, v2, v144, -v8
	v_fmac_f32_e32 v163, v3, v144
	v_mul_f32_e32 v3, v101, v129
	s_waitcnt vmcnt(17)
	v_fma_f32 v4, v4, v145, -v128
	v_fmac_f32_e32 v164, v5, v145
	v_add_f32_e32 v2, 0, v2
	v_add_f32_e32 v5, 0, v163
	v_mul_f32_e32 v8, v103, v130
	s_waitcnt vmcnt(16)
	v_fma_f32 v3, v100, v146, -v3
	v_fmac_f32_e32 v165, v101, v146
	v_add_f32_e32 v2, v2, v4
	v_add_f32_e32 v4, v5, v164
	;; [unrolled: 6-line block ×13, first 2 shown]
	v_mul_f32_e32 v8, v127, v142
	s_waitcnt vmcnt(4)
	v_fma_f32 v4, v124, v158, -v4
	v_mul_f32_e32 v178, v126, v142
	v_add_f32_e32 v2, v2, v5
	v_fmac_f32_e32 v177, v125, v158
	v_add_f32_e32 v3, v3, v176
	s_waitcnt lgkmcnt(0)
	v_mul_f32_e32 v5, v7, v143
	s_waitcnt vmcnt(3)
	v_fma_f32 v8, v126, v159, -v8
	v_add_f32_e32 v2, v2, v4
	v_mul_f32_e32 v179, v6, v143
	v_fmac_f32_e32 v178, v127, v159
	v_add_f32_e32 v3, v3, v177
	s_waitcnt vmcnt(2)
	v_fma_f32 v4, v6, v160, -v5
	v_add_f32_e32 v2, v2, v8
	v_fmac_f32_e32 v179, v7, v160
	v_add_f32_e32 v3, v3, v178
	v_add_f32_e32 v2, v2, v4
	;; [unrolled: 1-line block ×3, first 2 shown]
	s_waitcnt vmcnt(1)
	v_sub_f32_e32 v2, v161, v2
	s_waitcnt vmcnt(0)
	v_sub_f32_e32 v3, v162, v3
	buffer_store_dword v2, off, s[0:3], 0 offset:216
	buffer_store_dword v3, off, s[0:3], 0 offset:220
	v_cmpx_lt_u32_e32 26, v0
	s_cbranch_execz .LBB108_231
; %bb.230:
	s_clause 0x1
	buffer_load_dword v2, off, s[0:3], 0 offset:208
	buffer_load_dword v3, off, s[0:3], 0 offset:212
	buffer_store_dword v1, off, s[0:3], 0 offset:208
	buffer_store_dword v1, off, s[0:3], 0 offset:212
	s_waitcnt vmcnt(0)
	ds_write_b64 v99, v[2:3]
.LBB108_231:
	s_or_b32 exec_lo, exec_lo, s4
	s_waitcnt lgkmcnt(0)
	s_waitcnt_vscnt null, 0x0
	s_barrier
	buffer_gl0_inv
	s_clause 0x25
	buffer_load_dword v6, off, s[0:3], 0 offset:220
	buffer_load_dword v7, off, s[0:3], 0 offset:228
	;; [unrolled: 1-line block ×38, first 2 shown]
	ds_read2_b64 v[2:5], v1 offset0:73 offset1:74
	ds_read2_b64 v[100:103], v1 offset0:75 offset1:76
	;; [unrolled: 1-line block ×9, first 2 shown]
	s_mov_b32 s4, exec_lo
	s_waitcnt vmcnt(37) lgkmcnt(8)
	v_mul_f32_e32 v1, v2, v6
	v_mul_f32_e32 v6, v3, v6
	s_waitcnt vmcnt(36)
	v_mul_f32_e32 v167, v4, v7
	v_mul_f32_e32 v7, v5, v7
	s_waitcnt vmcnt(35) lgkmcnt(7)
	v_mul_f32_e32 v168, v100, v8
	s_waitcnt vmcnt(34)
	v_mul_f32_e32 v169, v102, v132
	s_waitcnt vmcnt(33) lgkmcnt(6)
	v_mul_f32_e32 v170, v104, v133
	s_waitcnt vmcnt(32)
	;; [unrolled: 4-line block ×7, first 2 shown]
	v_mul_f32_e32 v181, v126, v144
	s_waitcnt vmcnt(19)
	v_fma_f32 v2, v2, v147, -v6
	v_fmac_f32_e32 v1, v3, v147
	v_mul_f32_e32 v3, v101, v8
	s_waitcnt vmcnt(18)
	v_fma_f32 v4, v4, v148, -v7
	v_fmac_f32_e32 v167, v5, v148
	v_add_f32_e32 v2, 0, v2
	v_add_f32_e32 v1, 0, v1
	v_mul_f32_e32 v5, v103, v132
	s_waitcnt vmcnt(17)
	v_fma_f32 v3, v100, v149, -v3
	v_fmac_f32_e32 v168, v101, v149
	v_add_f32_e32 v2, v2, v4
	v_add_f32_e32 v1, v1, v167
	;; [unrolled: 6-line block ×14, first 2 shown]
	s_waitcnt lgkmcnt(0)
	v_mul_f32_e32 v4, v129, v145
	s_waitcnt vmcnt(4)
	v_fma_f32 v5, v126, v162, -v5
	v_mul_f32_e32 v182, v128, v145
	v_add_f32_e32 v2, v2, v3
	v_fmac_f32_e32 v181, v127, v162
	v_add_f32_e32 v1, v1, v180
	v_mul_f32_e32 v3, v131, v146
	s_waitcnt vmcnt(3)
	v_fma_f32 v4, v128, v163, -v4
	v_add_f32_e32 v2, v2, v5
	v_mul_f32_e32 v183, v130, v146
	v_fmac_f32_e32 v182, v129, v163
	v_add_f32_e32 v1, v1, v181
	s_waitcnt vmcnt(2)
	v_fma_f32 v3, v130, v164, -v3
	v_add_f32_e32 v2, v2, v4
	v_fmac_f32_e32 v183, v131, v164
	v_add_f32_e32 v1, v1, v182
	v_add_f32_e32 v2, v2, v3
	;; [unrolled: 1-line block ×3, first 2 shown]
	s_waitcnt vmcnt(1)
	v_sub_f32_e32 v2, v165, v2
	s_waitcnt vmcnt(0)
	v_sub_f32_e32 v1, v166, v1
	buffer_store_dword v2, off, s[0:3], 0 offset:208
	buffer_store_dword v1, off, s[0:3], 0 offset:212
	v_cmpx_lt_u32_e32 25, v0
	s_cbranch_execz .LBB108_233
; %bb.232:
	s_clause 0x1
	buffer_load_dword v1, off, s[0:3], 0 offset:200
	buffer_load_dword v2, off, s[0:3], 0 offset:204
	v_mov_b32_e32 v3, 0
	buffer_store_dword v3, off, s[0:3], 0 offset:200
	buffer_store_dword v3, off, s[0:3], 0 offset:204
	s_waitcnt vmcnt(0)
	ds_write_b64 v99, v[1:2]
.LBB108_233:
	s_or_b32 exec_lo, exec_lo, s4
	s_waitcnt lgkmcnt(0)
	s_waitcnt_vscnt null, 0x0
	s_barrier
	buffer_gl0_inv
	s_clause 0x27
	buffer_load_dword v8, off, s[0:3], 0 offset:212
	buffer_load_dword v132, off, s[0:3], 0 offset:220
	;; [unrolled: 1-line block ×40, first 2 shown]
	v_mov_b32_e32 v1, 0
	ds_read_b128 v[2:5], v1 offset:576
	ds_read_b128 v[100:103], v1 offset:592
	;; [unrolled: 1-line block ×9, first 2 shown]
	ds_read_b64 v[6:7], v1 offset:720
	s_mov_b32 s4, exec_lo
	s_waitcnt vmcnt(39) lgkmcnt(9)
	v_mul_f32_e32 v171, v2, v8
	v_mul_f32_e32 v8, v3, v8
	s_waitcnt vmcnt(38)
	v_mul_f32_e32 v172, v4, v132
	v_mul_f32_e32 v132, v5, v132
	s_waitcnt vmcnt(37) lgkmcnt(8)
	v_mul_f32_e32 v173, v100, v133
	s_waitcnt vmcnt(36)
	v_mul_f32_e32 v174, v102, v134
	s_waitcnt vmcnt(35) lgkmcnt(7)
	v_mul_f32_e32 v175, v104, v135
	s_waitcnt vmcnt(34)
	;; [unrolled: 4-line block ×8, first 2 shown]
	v_fma_f32 v2, v2, v150, -v8
	v_fmac_f32_e32 v171, v3, v150
	v_mul_f32_e32 v3, v101, v133
	s_waitcnt vmcnt(19)
	v_fma_f32 v4, v4, v151, -v132
	v_fmac_f32_e32 v172, v5, v151
	v_add_f32_e32 v2, 0, v2
	v_add_f32_e32 v5, 0, v171
	v_mul_f32_e32 v8, v103, v134
	s_waitcnt vmcnt(18)
	v_fma_f32 v3, v100, v152, -v3
	v_fmac_f32_e32 v173, v101, v152
	v_add_f32_e32 v2, v2, v4
	v_add_f32_e32 v4, v5, v172
	;; [unrolled: 6-line block ×15, first 2 shown]
	v_mul_f32_e32 v4, v131, v148
	s_waitcnt vmcnt(4)
	v_fma_f32 v5, v128, v166, -v5
	v_mul_f32_e32 v188, v130, v148
	v_add_f32_e32 v2, v2, v8
	v_fmac_f32_e32 v187, v129, v166
	v_add_f32_e32 v3, v3, v186
	s_waitcnt lgkmcnt(0)
	v_mul_f32_e32 v8, v7, v149
	s_waitcnt vmcnt(3)
	v_fma_f32 v4, v130, v167, -v4
	v_add_f32_e32 v2, v2, v5
	v_mul_f32_e32 v189, v6, v149
	v_fmac_f32_e32 v188, v131, v167
	v_add_f32_e32 v3, v3, v187
	s_waitcnt vmcnt(2)
	v_fma_f32 v5, v6, v168, -v8
	v_add_f32_e32 v2, v2, v4
	v_fmac_f32_e32 v189, v7, v168
	v_add_f32_e32 v3, v3, v188
	v_add_f32_e32 v2, v2, v5
	;; [unrolled: 1-line block ×3, first 2 shown]
	s_waitcnt vmcnt(1)
	v_sub_f32_e32 v2, v169, v2
	s_waitcnt vmcnt(0)
	v_sub_f32_e32 v3, v170, v3
	buffer_store_dword v2, off, s[0:3], 0 offset:200
	buffer_store_dword v3, off, s[0:3], 0 offset:204
	v_cmpx_lt_u32_e32 24, v0
	s_cbranch_execz .LBB108_235
; %bb.234:
	s_clause 0x1
	buffer_load_dword v2, off, s[0:3], 0 offset:192
	buffer_load_dword v3, off, s[0:3], 0 offset:196
	buffer_store_dword v1, off, s[0:3], 0 offset:192
	buffer_store_dword v1, off, s[0:3], 0 offset:196
	s_waitcnt vmcnt(0)
	ds_write_b64 v99, v[2:3]
.LBB108_235:
	s_or_b32 exec_lo, exec_lo, s4
	s_waitcnt lgkmcnt(0)
	s_waitcnt_vscnt null, 0x0
	s_barrier
	buffer_gl0_inv
	s_clause 0x29
	buffer_load_dword v6, off, s[0:3], 0 offset:204
	buffer_load_dword v7, off, s[0:3], 0 offset:212
	;; [unrolled: 1-line block ×42, first 2 shown]
	ds_read2_b64 v[2:5], v1 offset0:71 offset1:72
	ds_read2_b64 v[100:103], v1 offset0:73 offset1:74
	;; [unrolled: 1-line block ×10, first 2 shown]
	s_mov_b32 s4, exec_lo
	s_waitcnt vmcnt(41) lgkmcnt(9)
	v_mul_f32_e32 v1, v2, v6
	v_mul_f32_e32 v6, v3, v6
	s_waitcnt vmcnt(40)
	v_mul_f32_e32 v175, v4, v7
	v_mul_f32_e32 v7, v5, v7
	s_waitcnt vmcnt(39) lgkmcnt(8)
	v_mul_f32_e32 v176, v100, v8
	s_waitcnt vmcnt(38)
	v_mul_f32_e32 v177, v102, v136
	s_waitcnt vmcnt(37) lgkmcnt(7)
	v_mul_f32_e32 v178, v104, v137
	s_waitcnt vmcnt(36)
	;; [unrolled: 4-line block ×8, first 2 shown]
	v_mul_f32_e32 v191, v130, v150
	s_waitcnt vmcnt(21)
	v_fma_f32 v2, v2, v153, -v6
	v_fmac_f32_e32 v1, v3, v153
	v_mul_f32_e32 v3, v101, v8
	s_waitcnt vmcnt(20)
	v_fma_f32 v4, v4, v154, -v7
	v_fmac_f32_e32 v175, v5, v154
	v_add_f32_e32 v2, 0, v2
	v_add_f32_e32 v1, 0, v1
	v_mul_f32_e32 v5, v103, v136
	s_waitcnt vmcnt(19)
	v_fma_f32 v3, v100, v155, -v3
	v_fmac_f32_e32 v176, v101, v155
	v_add_f32_e32 v2, v2, v4
	v_add_f32_e32 v1, v1, v175
	;; [unrolled: 6-line block ×16, first 2 shown]
	s_waitcnt lgkmcnt(0)
	v_mul_f32_e32 v5, v133, v151
	s_waitcnt vmcnt(4)
	v_fma_f32 v3, v130, v170, -v3
	v_mul_f32_e32 v192, v132, v151
	v_add_f32_e32 v2, v2, v4
	v_fmac_f32_e32 v191, v131, v170
	v_add_f32_e32 v1, v1, v190
	v_mul_f32_e32 v4, v135, v152
	s_waitcnt vmcnt(3)
	v_fma_f32 v5, v132, v171, -v5
	v_add_f32_e32 v2, v2, v3
	v_mul_f32_e32 v193, v134, v152
	v_fmac_f32_e32 v192, v133, v171
	v_add_f32_e32 v1, v1, v191
	s_waitcnt vmcnt(2)
	v_fma_f32 v3, v134, v172, -v4
	v_add_f32_e32 v2, v2, v5
	v_fmac_f32_e32 v193, v135, v172
	v_add_f32_e32 v1, v1, v192
	v_add_f32_e32 v2, v2, v3
	;; [unrolled: 1-line block ×3, first 2 shown]
	s_waitcnt vmcnt(1)
	v_sub_f32_e32 v2, v173, v2
	s_waitcnt vmcnt(0)
	v_sub_f32_e32 v1, v174, v1
	buffer_store_dword v2, off, s[0:3], 0 offset:192
	buffer_store_dword v1, off, s[0:3], 0 offset:196
	v_cmpx_lt_u32_e32 23, v0
	s_cbranch_execz .LBB108_237
; %bb.236:
	s_clause 0x1
	buffer_load_dword v1, off, s[0:3], 0 offset:184
	buffer_load_dword v2, off, s[0:3], 0 offset:188
	v_mov_b32_e32 v3, 0
	buffer_store_dword v3, off, s[0:3], 0 offset:184
	buffer_store_dword v3, off, s[0:3], 0 offset:188
	s_waitcnt vmcnt(0)
	ds_write_b64 v99, v[1:2]
.LBB108_237:
	s_or_b32 exec_lo, exec_lo, s4
	s_waitcnt lgkmcnt(0)
	s_waitcnt_vscnt null, 0x0
	s_barrier
	buffer_gl0_inv
	s_clause 0x2b
	buffer_load_dword v8, off, s[0:3], 0 offset:196
	buffer_load_dword v136, off, s[0:3], 0 offset:204
	;; [unrolled: 1-line block ×44, first 2 shown]
	v_mov_b32_e32 v1, 0
	ds_read_b128 v[2:5], v1 offset:560
	ds_read_b128 v[100:103], v1 offset:576
	;; [unrolled: 1-line block ×10, first 2 shown]
	ds_read_b64 v[6:7], v1 offset:720
	s_mov_b32 s4, exec_lo
	s_waitcnt vmcnt(43) lgkmcnt(10)
	v_mul_f32_e32 v179, v2, v8
	v_mul_f32_e32 v8, v3, v8
	s_waitcnt vmcnt(42)
	v_mul_f32_e32 v180, v4, v136
	v_mul_f32_e32 v136, v5, v136
	s_waitcnt vmcnt(41) lgkmcnt(9)
	v_mul_f32_e32 v181, v100, v137
	s_waitcnt vmcnt(40)
	v_mul_f32_e32 v182, v102, v138
	s_waitcnt vmcnt(39) lgkmcnt(8)
	v_mul_f32_e32 v183, v104, v139
	s_waitcnt vmcnt(38)
	;; [unrolled: 4-line block ×9, first 2 shown]
	v_fma_f32 v2, v2, v156, -v8
	v_fmac_f32_e32 v179, v3, v156
	v_mul_f32_e32 v3, v101, v137
	s_waitcnt vmcnt(21)
	v_fma_f32 v4, v4, v157, -v136
	v_fmac_f32_e32 v180, v5, v157
	v_add_f32_e32 v2, 0, v2
	v_add_f32_e32 v5, 0, v179
	v_mul_f32_e32 v8, v103, v138
	s_waitcnt vmcnt(20)
	v_fma_f32 v3, v100, v158, -v3
	v_fmac_f32_e32 v181, v101, v158
	v_add_f32_e32 v2, v2, v4
	v_add_f32_e32 v4, v5, v180
	;; [unrolled: 6-line block ×17, first 2 shown]
	v_mul_f32_e32 v5, v135, v154
	s_waitcnt vmcnt(4)
	v_fma_f32 v8, v132, v174, -v8
	v_mul_f32_e32 v198, v134, v154
	v_add_f32_e32 v2, v2, v4
	v_fmac_f32_e32 v197, v133, v174
	v_add_f32_e32 v3, v3, v196
	s_waitcnt lgkmcnt(0)
	v_mul_f32_e32 v4, v7, v155
	s_waitcnt vmcnt(3)
	v_fma_f32 v5, v134, v175, -v5
	v_add_f32_e32 v2, v2, v8
	v_mul_f32_e32 v199, v6, v155
	v_fmac_f32_e32 v198, v135, v175
	v_add_f32_e32 v3, v3, v197
	s_waitcnt vmcnt(2)
	v_fma_f32 v4, v6, v176, -v4
	v_add_f32_e32 v2, v2, v5
	v_fmac_f32_e32 v199, v7, v176
	v_add_f32_e32 v3, v3, v198
	v_add_f32_e32 v2, v2, v4
	;; [unrolled: 1-line block ×3, first 2 shown]
	s_waitcnt vmcnt(1)
	v_sub_f32_e32 v2, v177, v2
	s_waitcnt vmcnt(0)
	v_sub_f32_e32 v3, v178, v3
	buffer_store_dword v2, off, s[0:3], 0 offset:184
	buffer_store_dword v3, off, s[0:3], 0 offset:188
	v_cmpx_lt_u32_e32 22, v0
	s_cbranch_execz .LBB108_239
; %bb.238:
	s_clause 0x1
	buffer_load_dword v2, off, s[0:3], 0 offset:176
	buffer_load_dword v3, off, s[0:3], 0 offset:180
	buffer_store_dword v1, off, s[0:3], 0 offset:176
	buffer_store_dword v1, off, s[0:3], 0 offset:180
	s_waitcnt vmcnt(0)
	ds_write_b64 v99, v[2:3]
.LBB108_239:
	s_or_b32 exec_lo, exec_lo, s4
	s_waitcnt lgkmcnt(0)
	s_waitcnt_vscnt null, 0x0
	s_barrier
	buffer_gl0_inv
	s_clause 0x2d
	buffer_load_dword v6, off, s[0:3], 0 offset:188
	buffer_load_dword v7, off, s[0:3], 0 offset:196
	buffer_load_dword v8, off, s[0:3], 0 offset:204
	buffer_load_dword v140, off, s[0:3], 0 offset:212
	buffer_load_dword v141, off, s[0:3], 0 offset:220
	buffer_load_dword v142, off, s[0:3], 0 offset:228
	buffer_load_dword v143, off, s[0:3], 0 offset:236
	buffer_load_dword v144, off, s[0:3], 0 offset:244
	buffer_load_dword v145, off, s[0:3], 0 offset:252
	buffer_load_dword v146, off, s[0:3], 0 offset:260
	buffer_load_dword v147, off, s[0:3], 0 offset:268
	buffer_load_dword v148, off, s[0:3], 0 offset:276
	buffer_load_dword v149, off, s[0:3], 0 offset:284
	buffer_load_dword v150, off, s[0:3], 0 offset:292
	buffer_load_dword v151, off, s[0:3], 0 offset:300
	buffer_load_dword v152, off, s[0:3], 0 offset:308
	buffer_load_dword v153, off, s[0:3], 0 offset:316
	buffer_load_dword v154, off, s[0:3], 0 offset:324
	buffer_load_dword v155, off, s[0:3], 0 offset:332
	buffer_load_dword v156, off, s[0:3], 0 offset:340
	buffer_load_dword v157, off, s[0:3], 0 offset:348
	buffer_load_dword v158, off, s[0:3], 0 offset:356
	buffer_load_dword v159, off, s[0:3], 0 offset:184
	buffer_load_dword v160, off, s[0:3], 0 offset:192
	buffer_load_dword v161, off, s[0:3], 0 offset:200
	buffer_load_dword v162, off, s[0:3], 0 offset:208
	buffer_load_dword v163, off, s[0:3], 0 offset:216
	buffer_load_dword v164, off, s[0:3], 0 offset:224
	buffer_load_dword v165, off, s[0:3], 0 offset:232
	buffer_load_dword v166, off, s[0:3], 0 offset:240
	buffer_load_dword v167, off, s[0:3], 0 offset:248
	buffer_load_dword v168, off, s[0:3], 0 offset:256
	buffer_load_dword v169, off, s[0:3], 0 offset:264
	buffer_load_dword v170, off, s[0:3], 0 offset:272
	buffer_load_dword v171, off, s[0:3], 0 offset:280
	buffer_load_dword v172, off, s[0:3], 0 offset:288
	buffer_load_dword v173, off, s[0:3], 0 offset:296
	buffer_load_dword v174, off, s[0:3], 0 offset:304
	buffer_load_dword v175, off, s[0:3], 0 offset:312
	buffer_load_dword v176, off, s[0:3], 0 offset:320
	buffer_load_dword v177, off, s[0:3], 0 offset:328
	buffer_load_dword v178, off, s[0:3], 0 offset:336
	buffer_load_dword v179, off, s[0:3], 0 offset:344
	buffer_load_dword v180, off, s[0:3], 0 offset:352
	buffer_load_dword v181, off, s[0:3], 0 offset:176
	buffer_load_dword v182, off, s[0:3], 0 offset:180
	ds_read2_b64 v[2:5], v1 offset0:69 offset1:70
	ds_read2_b64 v[100:103], v1 offset0:71 offset1:72
	;; [unrolled: 1-line block ×11, first 2 shown]
	s_mov_b32 s4, exec_lo
	s_waitcnt vmcnt(45) lgkmcnt(10)
	v_mul_f32_e32 v1, v2, v6
	v_mul_f32_e32 v6, v3, v6
	s_waitcnt vmcnt(44)
	v_mul_f32_e32 v183, v4, v7
	v_mul_f32_e32 v7, v5, v7
	s_waitcnt vmcnt(43) lgkmcnt(9)
	v_mul_f32_e32 v184, v100, v8
	s_waitcnt vmcnt(42)
	v_mul_f32_e32 v185, v102, v140
	s_waitcnt vmcnt(41) lgkmcnt(8)
	v_mul_f32_e32 v186, v104, v141
	s_waitcnt vmcnt(40)
	v_mul_f32_e32 v187, v106, v142
	s_waitcnt vmcnt(39) lgkmcnt(7)
	v_mul_f32_e32 v188, v108, v143
	s_waitcnt vmcnt(38)
	v_mul_f32_e32 v189, v110, v144
	s_waitcnt vmcnt(37) lgkmcnt(6)
	v_mul_f32_e32 v190, v112, v145
	s_waitcnt vmcnt(36)
	v_mul_f32_e32 v191, v114, v146
	s_waitcnt vmcnt(35) lgkmcnt(5)
	v_mul_f32_e32 v192, v116, v147
	s_waitcnt vmcnt(34)
	v_mul_f32_e32 v193, v118, v148
	s_waitcnt vmcnt(33) lgkmcnt(4)
	v_mul_f32_e32 v194, v120, v149
	s_waitcnt vmcnt(32)
	v_mul_f32_e32 v195, v122, v150
	s_waitcnt vmcnt(31) lgkmcnt(3)
	v_mul_f32_e32 v196, v124, v151
	s_waitcnt vmcnt(30)
	v_mul_f32_e32 v197, v126, v152
	s_waitcnt vmcnt(29) lgkmcnt(2)
	v_mul_f32_e32 v198, v128, v153
	s_waitcnt vmcnt(28)
	v_mul_f32_e32 v199, v130, v154
	s_waitcnt vmcnt(27) lgkmcnt(1)
	v_mul_f32_e32 v200, v132, v155
	s_waitcnt vmcnt(26)
	v_mul_f32_e32 v201, v134, v156
	s_waitcnt vmcnt(23)
	v_fma_f32 v2, v2, v159, -v6
	v_fmac_f32_e32 v1, v3, v159
	v_mul_f32_e32 v3, v101, v8
	s_waitcnt vmcnt(22)
	v_fma_f32 v4, v4, v160, -v7
	v_fmac_f32_e32 v183, v5, v160
	v_add_f32_e32 v2, 0, v2
	v_add_f32_e32 v1, 0, v1
	v_mul_f32_e32 v5, v103, v140
	s_waitcnt vmcnt(21)
	v_fma_f32 v3, v100, v161, -v3
	v_fmac_f32_e32 v184, v101, v161
	v_add_f32_e32 v2, v2, v4
	v_add_f32_e32 v1, v1, v183
	v_mul_f32_e32 v4, v105, v141
	s_waitcnt vmcnt(20)
	v_fma_f32 v5, v102, v162, -v5
	v_fmac_f32_e32 v185, v103, v162
	v_add_f32_e32 v2, v2, v3
	v_add_f32_e32 v1, v1, v184
	v_mul_f32_e32 v3, v107, v142
	s_waitcnt vmcnt(19)
	v_fma_f32 v4, v104, v163, -v4
	v_fmac_f32_e32 v186, v105, v163
	v_add_f32_e32 v2, v2, v5
	v_add_f32_e32 v1, v1, v185
	v_mul_f32_e32 v5, v109, v143
	s_waitcnt vmcnt(18)
	v_fma_f32 v3, v106, v164, -v3
	v_fmac_f32_e32 v187, v107, v164
	v_add_f32_e32 v2, v2, v4
	v_add_f32_e32 v1, v1, v186
	v_mul_f32_e32 v4, v111, v144
	s_waitcnt vmcnt(17)
	v_fma_f32 v5, v108, v165, -v5
	v_fmac_f32_e32 v188, v109, v165
	v_add_f32_e32 v2, v2, v3
	v_add_f32_e32 v1, v1, v187
	v_mul_f32_e32 v3, v113, v145
	s_waitcnt vmcnt(16)
	v_fma_f32 v4, v110, v166, -v4
	v_fmac_f32_e32 v189, v111, v166
	v_add_f32_e32 v2, v2, v5
	v_add_f32_e32 v1, v1, v188
	v_mul_f32_e32 v5, v115, v146
	s_waitcnt vmcnt(15)
	v_fma_f32 v3, v112, v167, -v3
	v_fmac_f32_e32 v190, v113, v167
	v_add_f32_e32 v2, v2, v4
	v_add_f32_e32 v1, v1, v189
	v_mul_f32_e32 v4, v117, v147
	s_waitcnt vmcnt(14)
	v_fma_f32 v5, v114, v168, -v5
	v_fmac_f32_e32 v191, v115, v168
	v_add_f32_e32 v2, v2, v3
	v_add_f32_e32 v1, v1, v190
	v_mul_f32_e32 v3, v119, v148
	s_waitcnt vmcnt(13)
	v_fma_f32 v4, v116, v169, -v4
	v_fmac_f32_e32 v192, v117, v169
	v_add_f32_e32 v2, v2, v5
	v_add_f32_e32 v1, v1, v191
	v_mul_f32_e32 v5, v121, v149
	s_waitcnt vmcnt(12)
	v_fma_f32 v3, v118, v170, -v3
	v_fmac_f32_e32 v193, v119, v170
	v_add_f32_e32 v2, v2, v4
	v_add_f32_e32 v1, v1, v192
	v_mul_f32_e32 v4, v123, v150
	s_waitcnt vmcnt(11)
	v_fma_f32 v5, v120, v171, -v5
	v_fmac_f32_e32 v194, v121, v171
	v_add_f32_e32 v2, v2, v3
	v_add_f32_e32 v1, v1, v193
	v_mul_f32_e32 v3, v125, v151
	s_waitcnt vmcnt(10)
	v_fma_f32 v4, v122, v172, -v4
	v_fmac_f32_e32 v195, v123, v172
	v_add_f32_e32 v2, v2, v5
	v_add_f32_e32 v1, v1, v194
	v_mul_f32_e32 v5, v127, v152
	s_waitcnt vmcnt(9)
	v_fma_f32 v3, v124, v173, -v3
	v_fmac_f32_e32 v196, v125, v173
	v_add_f32_e32 v2, v2, v4
	v_add_f32_e32 v1, v1, v195
	v_mul_f32_e32 v4, v129, v153
	s_waitcnt vmcnt(8)
	v_fma_f32 v5, v126, v174, -v5
	v_fmac_f32_e32 v197, v127, v174
	v_add_f32_e32 v2, v2, v3
	v_add_f32_e32 v1, v1, v196
	v_mul_f32_e32 v3, v131, v154
	s_waitcnt vmcnt(7)
	v_fma_f32 v4, v128, v175, -v4
	v_fmac_f32_e32 v198, v129, v175
	v_add_f32_e32 v2, v2, v5
	v_add_f32_e32 v1, v1, v197
	v_mul_f32_e32 v5, v133, v155
	s_waitcnt vmcnt(6)
	v_fma_f32 v3, v130, v176, -v3
	v_fmac_f32_e32 v199, v131, v176
	v_add_f32_e32 v2, v2, v4
	v_add_f32_e32 v1, v1, v198
	v_mul_f32_e32 v4, v135, v156
	s_waitcnt vmcnt(5)
	v_fma_f32 v5, v132, v177, -v5
	v_fmac_f32_e32 v200, v133, v177
	v_add_f32_e32 v2, v2, v3
	v_add_f32_e32 v1, v1, v199
	s_waitcnt lgkmcnt(0)
	v_mul_f32_e32 v3, v137, v157
	s_waitcnt vmcnt(4)
	v_fma_f32 v4, v134, v178, -v4
	v_mul_f32_e32 v202, v136, v157
	v_add_f32_e32 v2, v2, v5
	v_fmac_f32_e32 v201, v135, v178
	v_add_f32_e32 v1, v1, v200
	v_mul_f32_e32 v5, v139, v158
	s_waitcnt vmcnt(3)
	v_fma_f32 v3, v136, v179, -v3
	v_add_f32_e32 v2, v2, v4
	v_mul_f32_e32 v203, v138, v158
	v_fmac_f32_e32 v202, v137, v179
	v_add_f32_e32 v1, v1, v201
	s_waitcnt vmcnt(2)
	v_fma_f32 v4, v138, v180, -v5
	v_add_f32_e32 v2, v2, v3
	v_fmac_f32_e32 v203, v139, v180
	v_add_f32_e32 v1, v1, v202
	v_add_f32_e32 v2, v2, v4
	;; [unrolled: 1-line block ×3, first 2 shown]
	s_waitcnt vmcnt(1)
	v_sub_f32_e32 v2, v181, v2
	s_waitcnt vmcnt(0)
	v_sub_f32_e32 v1, v182, v1
	buffer_store_dword v2, off, s[0:3], 0 offset:176
	buffer_store_dword v1, off, s[0:3], 0 offset:180
	v_cmpx_lt_u32_e32 21, v0
	s_cbranch_execz .LBB108_241
; %bb.240:
	s_clause 0x1
	buffer_load_dword v1, off, s[0:3], 0 offset:168
	buffer_load_dword v2, off, s[0:3], 0 offset:172
	v_mov_b32_e32 v3, 0
	buffer_store_dword v3, off, s[0:3], 0 offset:168
	buffer_store_dword v3, off, s[0:3], 0 offset:172
	s_waitcnt vmcnt(0)
	ds_write_b64 v99, v[1:2]
.LBB108_241:
	s_or_b32 exec_lo, exec_lo, s4
	s_waitcnt lgkmcnt(0)
	s_waitcnt_vscnt null, 0x0
	s_barrier
	buffer_gl0_inv
	s_clause 0x2f
	buffer_load_dword v8, off, s[0:3], 0 offset:180
	buffer_load_dword v140, off, s[0:3], 0 offset:188
	;; [unrolled: 1-line block ×48, first 2 shown]
	v_mov_b32_e32 v1, 0
	ds_read_b128 v[2:5], v1 offset:544
	ds_read_b128 v[100:103], v1 offset:560
	;; [unrolled: 1-line block ×11, first 2 shown]
	ds_read_b64 v[6:7], v1 offset:720
	s_mov_b32 s4, exec_lo
	s_waitcnt vmcnt(47) lgkmcnt(11)
	v_mul_f32_e32 v187, v2, v8
	v_mul_f32_e32 v8, v3, v8
	s_waitcnt vmcnt(46)
	v_mul_f32_e32 v188, v4, v140
	v_mul_f32_e32 v140, v5, v140
	s_waitcnt vmcnt(45) lgkmcnt(10)
	v_mul_f32_e32 v189, v100, v141
	s_waitcnt vmcnt(44)
	v_mul_f32_e32 v190, v102, v142
	s_waitcnt vmcnt(43) lgkmcnt(9)
	v_mul_f32_e32 v191, v104, v143
	s_waitcnt vmcnt(42)
	;; [unrolled: 4-line block ×10, first 2 shown]
	v_fma_f32 v2, v2, v162, -v8
	v_fmac_f32_e32 v187, v3, v162
	v_mul_f32_e32 v3, v101, v141
	s_waitcnt vmcnt(23)
	v_fma_f32 v4, v4, v163, -v140
	v_fmac_f32_e32 v188, v5, v163
	v_add_f32_e32 v2, 0, v2
	v_add_f32_e32 v5, 0, v187
	v_mul_f32_e32 v8, v103, v142
	s_waitcnt vmcnt(22)
	v_fma_f32 v3, v100, v164, -v3
	v_fmac_f32_e32 v189, v101, v164
	v_add_f32_e32 v2, v2, v4
	v_add_f32_e32 v4, v5, v188
	;; [unrolled: 6-line block ×19, first 2 shown]
	v_mul_f32_e32 v8, v139, v160
	s_waitcnt vmcnt(4)
	v_fma_f32 v4, v136, v182, -v4
	v_mul_f32_e32 v208, v138, v160
	v_add_f32_e32 v2, v2, v5
	v_fmac_f32_e32 v207, v137, v182
	v_add_f32_e32 v3, v3, v206
	s_waitcnt lgkmcnt(0)
	v_mul_f32_e32 v5, v7, v161
	s_waitcnt vmcnt(3)
	v_fma_f32 v8, v138, v183, -v8
	v_add_f32_e32 v2, v2, v4
	v_mul_f32_e32 v209, v6, v161
	v_fmac_f32_e32 v208, v139, v183
	v_add_f32_e32 v3, v3, v207
	s_waitcnt vmcnt(2)
	v_fma_f32 v4, v6, v184, -v5
	v_add_f32_e32 v2, v2, v8
	v_fmac_f32_e32 v209, v7, v184
	v_add_f32_e32 v3, v3, v208
	v_add_f32_e32 v2, v2, v4
	;; [unrolled: 1-line block ×3, first 2 shown]
	s_waitcnt vmcnt(1)
	v_sub_f32_e32 v2, v185, v2
	s_waitcnt vmcnt(0)
	v_sub_f32_e32 v3, v186, v3
	buffer_store_dword v2, off, s[0:3], 0 offset:168
	buffer_store_dword v3, off, s[0:3], 0 offset:172
	v_cmpx_lt_u32_e32 20, v0
	s_cbranch_execz .LBB108_243
; %bb.242:
	s_clause 0x1
	buffer_load_dword v2, off, s[0:3], 0 offset:160
	buffer_load_dword v3, off, s[0:3], 0 offset:164
	buffer_store_dword v1, off, s[0:3], 0 offset:160
	buffer_store_dword v1, off, s[0:3], 0 offset:164
	s_waitcnt vmcnt(0)
	ds_write_b64 v99, v[2:3]
.LBB108_243:
	s_or_b32 exec_lo, exec_lo, s4
	s_waitcnt lgkmcnt(0)
	s_waitcnt_vscnt null, 0x0
	s_barrier
	buffer_gl0_inv
	s_clause 0x31
	buffer_load_dword v6, off, s[0:3], 0 offset:172
	buffer_load_dword v7, off, s[0:3], 0 offset:180
	;; [unrolled: 1-line block ×50, first 2 shown]
	ds_read2_b64 v[2:5], v1 offset0:67 offset1:68
	ds_read2_b64 v[100:103], v1 offset0:69 offset1:70
	;; [unrolled: 1-line block ×12, first 2 shown]
	s_mov_b32 s4, exec_lo
	s_waitcnt vmcnt(49) lgkmcnt(11)
	v_mul_f32_e32 v1, v2, v6
	v_mul_f32_e32 v6, v3, v6
	s_waitcnt vmcnt(48)
	v_mul_f32_e32 v191, v4, v7
	v_mul_f32_e32 v7, v5, v7
	s_waitcnt vmcnt(47) lgkmcnt(10)
	v_mul_f32_e32 v192, v100, v8
	s_waitcnt vmcnt(46)
	v_mul_f32_e32 v193, v102, v144
	s_waitcnt vmcnt(45) lgkmcnt(9)
	v_mul_f32_e32 v194, v104, v145
	s_waitcnt vmcnt(44)
	;; [unrolled: 4-line block ×10, first 2 shown]
	v_mul_f32_e32 v211, v138, v162
	s_waitcnt vmcnt(25)
	v_fma_f32 v2, v2, v165, -v6
	v_fmac_f32_e32 v1, v3, v165
	v_mul_f32_e32 v3, v101, v8
	s_waitcnt vmcnt(24)
	v_fma_f32 v4, v4, v166, -v7
	v_fmac_f32_e32 v191, v5, v166
	v_add_f32_e32 v2, 0, v2
	v_add_f32_e32 v1, 0, v1
	v_mul_f32_e32 v5, v103, v144
	s_waitcnt vmcnt(23)
	v_fma_f32 v3, v100, v167, -v3
	v_fmac_f32_e32 v192, v101, v167
	v_add_f32_e32 v2, v2, v4
	v_add_f32_e32 v1, v1, v191
	;; [unrolled: 6-line block ×20, first 2 shown]
	s_waitcnt lgkmcnt(0)
	v_mul_f32_e32 v4, v141, v163
	s_waitcnt vmcnt(4)
	v_fma_f32 v5, v138, v186, -v5
	v_mul_f32_e32 v212, v140, v163
	v_add_f32_e32 v2, v2, v3
	v_fmac_f32_e32 v211, v139, v186
	v_add_f32_e32 v1, v1, v210
	v_mul_f32_e32 v3, v143, v164
	s_waitcnt vmcnt(3)
	v_fma_f32 v4, v140, v187, -v4
	v_add_f32_e32 v2, v2, v5
	v_mul_f32_e32 v213, v142, v164
	v_fmac_f32_e32 v212, v141, v187
	v_add_f32_e32 v1, v1, v211
	s_waitcnt vmcnt(2)
	v_fma_f32 v3, v142, v188, -v3
	v_add_f32_e32 v2, v2, v4
	v_fmac_f32_e32 v213, v143, v188
	v_add_f32_e32 v1, v1, v212
	v_add_f32_e32 v2, v2, v3
	;; [unrolled: 1-line block ×3, first 2 shown]
	s_waitcnt vmcnt(1)
	v_sub_f32_e32 v2, v189, v2
	s_waitcnt vmcnt(0)
	v_sub_f32_e32 v1, v190, v1
	buffer_store_dword v2, off, s[0:3], 0 offset:160
	buffer_store_dword v1, off, s[0:3], 0 offset:164
	v_cmpx_lt_u32_e32 19, v0
	s_cbranch_execz .LBB108_245
; %bb.244:
	s_clause 0x1
	buffer_load_dword v1, off, s[0:3], 0 offset:152
	buffer_load_dword v2, off, s[0:3], 0 offset:156
	v_mov_b32_e32 v3, 0
	buffer_store_dword v3, off, s[0:3], 0 offset:152
	buffer_store_dword v3, off, s[0:3], 0 offset:156
	s_waitcnt vmcnt(0)
	ds_write_b64 v99, v[1:2]
.LBB108_245:
	s_or_b32 exec_lo, exec_lo, s4
	s_waitcnt lgkmcnt(0)
	s_waitcnt_vscnt null, 0x0
	s_barrier
	buffer_gl0_inv
	s_clause 0x33
	buffer_load_dword v8, off, s[0:3], 0 offset:164
	buffer_load_dword v144, off, s[0:3], 0 offset:172
	;; [unrolled: 1-line block ×52, first 2 shown]
	v_mov_b32_e32 v1, 0
	ds_read_b128 v[2:5], v1 offset:528
	ds_read_b128 v[100:103], v1 offset:544
	;; [unrolled: 1-line block ×12, first 2 shown]
	ds_read_b64 v[6:7], v1 offset:720
	s_mov_b32 s4, exec_lo
	s_waitcnt vmcnt(51) lgkmcnt(12)
	v_mul_f32_e32 v195, v2, v8
	v_mul_f32_e32 v8, v3, v8
	s_waitcnt vmcnt(50)
	v_mul_f32_e32 v196, v4, v144
	v_mul_f32_e32 v144, v5, v144
	s_waitcnt vmcnt(49) lgkmcnt(11)
	v_mul_f32_e32 v197, v100, v145
	s_waitcnt vmcnt(48)
	v_mul_f32_e32 v198, v102, v146
	s_waitcnt vmcnt(47) lgkmcnt(10)
	v_mul_f32_e32 v199, v104, v147
	s_waitcnt vmcnt(46)
	;; [unrolled: 4-line block ×11, first 2 shown]
	v_fma_f32 v2, v2, v168, -v8
	v_fmac_f32_e32 v195, v3, v168
	v_mul_f32_e32 v3, v101, v145
	s_waitcnt vmcnt(25)
	v_fma_f32 v4, v4, v169, -v144
	v_fmac_f32_e32 v196, v5, v169
	v_add_f32_e32 v2, 0, v2
	v_add_f32_e32 v5, 0, v195
	v_mul_f32_e32 v8, v103, v146
	s_waitcnt vmcnt(24)
	v_fma_f32 v3, v100, v170, -v3
	v_fmac_f32_e32 v197, v101, v170
	v_add_f32_e32 v2, v2, v4
	v_add_f32_e32 v4, v5, v196
	;; [unrolled: 6-line block ×21, first 2 shown]
	v_mul_f32_e32 v4, v143, v166
	s_waitcnt vmcnt(4)
	v_fma_f32 v5, v140, v190, -v5
	v_mul_f32_e32 v218, v142, v166
	v_add_f32_e32 v2, v2, v8
	v_fmac_f32_e32 v217, v141, v190
	v_add_f32_e32 v3, v3, v216
	s_waitcnt lgkmcnt(0)
	v_mul_f32_e32 v8, v7, v167
	s_waitcnt vmcnt(3)
	v_fma_f32 v4, v142, v191, -v4
	v_add_f32_e32 v2, v2, v5
	v_mul_f32_e32 v219, v6, v167
	v_fmac_f32_e32 v218, v143, v191
	v_add_f32_e32 v3, v3, v217
	s_waitcnt vmcnt(2)
	v_fma_f32 v5, v6, v192, -v8
	v_add_f32_e32 v2, v2, v4
	v_fmac_f32_e32 v219, v7, v192
	v_add_f32_e32 v3, v3, v218
	v_add_f32_e32 v2, v2, v5
	;; [unrolled: 1-line block ×3, first 2 shown]
	s_waitcnt vmcnt(1)
	v_sub_f32_e32 v2, v193, v2
	s_waitcnt vmcnt(0)
	v_sub_f32_e32 v3, v194, v3
	buffer_store_dword v2, off, s[0:3], 0 offset:152
	buffer_store_dword v3, off, s[0:3], 0 offset:156
	v_cmpx_lt_u32_e32 18, v0
	s_cbranch_execz .LBB108_247
; %bb.246:
	s_clause 0x1
	buffer_load_dword v2, off, s[0:3], 0 offset:144
	buffer_load_dword v3, off, s[0:3], 0 offset:148
	buffer_store_dword v1, off, s[0:3], 0 offset:144
	buffer_store_dword v1, off, s[0:3], 0 offset:148
	s_waitcnt vmcnt(0)
	ds_write_b64 v99, v[2:3]
.LBB108_247:
	s_or_b32 exec_lo, exec_lo, s4
	s_waitcnt lgkmcnt(0)
	s_waitcnt_vscnt null, 0x0
	s_barrier
	buffer_gl0_inv
	s_clause 0x35
	buffer_load_dword v6, off, s[0:3], 0 offset:156
	buffer_load_dword v7, off, s[0:3], 0 offset:164
	;; [unrolled: 1-line block ×54, first 2 shown]
	ds_read2_b64 v[2:5], v1 offset0:65 offset1:66
	ds_read2_b64 v[100:103], v1 offset0:67 offset1:68
	;; [unrolled: 1-line block ×13, first 2 shown]
	s_mov_b32 s4, exec_lo
	s_waitcnt vmcnt(53) lgkmcnt(12)
	v_mul_f32_e32 v1, v2, v6
	v_mul_f32_e32 v6, v3, v6
	s_waitcnt vmcnt(52)
	v_mul_f32_e32 v199, v4, v7
	v_mul_f32_e32 v7, v5, v7
	s_waitcnt vmcnt(51) lgkmcnt(11)
	v_mul_f32_e32 v200, v100, v8
	s_waitcnt vmcnt(50)
	v_mul_f32_e32 v201, v102, v148
	s_waitcnt vmcnt(49) lgkmcnt(10)
	v_mul_f32_e32 v202, v104, v149
	s_waitcnt vmcnt(48)
	;; [unrolled: 4-line block ×11, first 2 shown]
	v_mul_f32_e32 v221, v142, v168
	s_waitcnt vmcnt(27)
	v_fma_f32 v2, v2, v171, -v6
	v_fmac_f32_e32 v1, v3, v171
	v_mul_f32_e32 v3, v101, v8
	s_waitcnt vmcnt(26)
	v_fma_f32 v4, v4, v172, -v7
	v_fmac_f32_e32 v199, v5, v172
	v_add_f32_e32 v2, 0, v2
	v_add_f32_e32 v1, 0, v1
	v_mul_f32_e32 v5, v103, v148
	s_waitcnt vmcnt(25)
	v_fma_f32 v3, v100, v173, -v3
	v_fmac_f32_e32 v200, v101, v173
	v_add_f32_e32 v2, v2, v4
	v_add_f32_e32 v1, v1, v199
	;; [unrolled: 6-line block ×22, first 2 shown]
	s_waitcnt lgkmcnt(0)
	v_mul_f32_e32 v5, v145, v169
	s_waitcnt vmcnt(4)
	v_fma_f32 v3, v142, v194, -v3
	v_mul_f32_e32 v222, v144, v169
	v_add_f32_e32 v2, v2, v4
	v_fmac_f32_e32 v221, v143, v194
	v_add_f32_e32 v1, v1, v220
	v_mul_f32_e32 v4, v147, v170
	s_waitcnt vmcnt(3)
	v_fma_f32 v5, v144, v195, -v5
	v_add_f32_e32 v2, v2, v3
	v_mul_f32_e32 v223, v146, v170
	v_fmac_f32_e32 v222, v145, v195
	v_add_f32_e32 v1, v1, v221
	s_waitcnt vmcnt(2)
	v_fma_f32 v3, v146, v196, -v4
	v_add_f32_e32 v2, v2, v5
	v_fmac_f32_e32 v223, v147, v196
	v_add_f32_e32 v1, v1, v222
	v_add_f32_e32 v2, v2, v3
	;; [unrolled: 1-line block ×3, first 2 shown]
	s_waitcnt vmcnt(1)
	v_sub_f32_e32 v2, v197, v2
	s_waitcnt vmcnt(0)
	v_sub_f32_e32 v1, v198, v1
	buffer_store_dword v2, off, s[0:3], 0 offset:144
	buffer_store_dword v1, off, s[0:3], 0 offset:148
	v_cmpx_lt_u32_e32 17, v0
	s_cbranch_execz .LBB108_249
; %bb.248:
	s_clause 0x1
	buffer_load_dword v1, off, s[0:3], 0 offset:136
	buffer_load_dword v2, off, s[0:3], 0 offset:140
	v_mov_b32_e32 v3, 0
	buffer_store_dword v3, off, s[0:3], 0 offset:136
	buffer_store_dword v3, off, s[0:3], 0 offset:140
	s_waitcnt vmcnt(0)
	ds_write_b64 v99, v[1:2]
.LBB108_249:
	s_or_b32 exec_lo, exec_lo, s4
	s_waitcnt lgkmcnt(0)
	s_waitcnt_vscnt null, 0x0
	s_barrier
	buffer_gl0_inv
	s_clause 0x37
	buffer_load_dword v8, off, s[0:3], 0 offset:148
	buffer_load_dword v148, off, s[0:3], 0 offset:156
	;; [unrolled: 1-line block ×56, first 2 shown]
	v_mov_b32_e32 v1, 0
	ds_read_b128 v[2:5], v1 offset:512
	ds_read_b128 v[100:103], v1 offset:528
	;; [unrolled: 1-line block ×13, first 2 shown]
	ds_read_b64 v[6:7], v1 offset:720
	s_mov_b32 s4, exec_lo
	s_waitcnt vmcnt(55) lgkmcnt(13)
	v_mul_f32_e32 v203, v2, v8
	v_mul_f32_e32 v8, v3, v8
	s_waitcnt vmcnt(54)
	v_mul_f32_e32 v204, v4, v148
	v_mul_f32_e32 v148, v5, v148
	s_waitcnt vmcnt(53) lgkmcnt(12)
	v_mul_f32_e32 v205, v100, v149
	s_waitcnt vmcnt(52)
	v_mul_f32_e32 v206, v102, v150
	s_waitcnt vmcnt(51) lgkmcnt(11)
	v_mul_f32_e32 v207, v104, v151
	s_waitcnt vmcnt(50)
	;; [unrolled: 4-line block ×12, first 2 shown]
	v_fma_f32 v2, v2, v174, -v8
	v_fmac_f32_e32 v203, v3, v174
	v_mul_f32_e32 v3, v101, v149
	s_waitcnt vmcnt(27)
	v_fma_f32 v4, v4, v175, -v148
	v_fmac_f32_e32 v204, v5, v175
	v_add_f32_e32 v2, 0, v2
	v_add_f32_e32 v5, 0, v203
	v_mul_f32_e32 v8, v103, v150
	s_waitcnt vmcnt(26)
	v_fma_f32 v3, v100, v176, -v3
	v_fmac_f32_e32 v205, v101, v176
	v_add_f32_e32 v2, v2, v4
	v_add_f32_e32 v4, v5, v204
	v_mul_f32_e32 v5, v105, v151
	s_waitcnt vmcnt(25)
	v_fma_f32 v8, v102, v177, -v8
	v_fmac_f32_e32 v206, v103, v177
	v_add_f32_e32 v2, v2, v3
	v_add_f32_e32 v3, v4, v205
	v_mul_f32_e32 v4, v107, v152
	s_waitcnt vmcnt(24)
	v_fma_f32 v5, v104, v178, -v5
	v_fmac_f32_e32 v207, v105, v178
	v_add_f32_e32 v2, v2, v8
	v_add_f32_e32 v3, v3, v206
	v_mul_f32_e32 v8, v109, v153
	s_waitcnt vmcnt(23)
	v_fma_f32 v4, v106, v179, -v4
	v_fmac_f32_e32 v208, v107, v179
	v_add_f32_e32 v2, v2, v5
	v_add_f32_e32 v3, v3, v207
	v_mul_f32_e32 v5, v111, v154
	s_waitcnt vmcnt(22)
	v_fma_f32 v8, v108, v180, -v8
	v_fmac_f32_e32 v209, v109, v180
	v_add_f32_e32 v2, v2, v4
	v_add_f32_e32 v3, v3, v208
	v_mul_f32_e32 v4, v113, v155
	s_waitcnt vmcnt(21)
	v_fma_f32 v5, v110, v181, -v5
	v_fmac_f32_e32 v210, v111, v181
	v_add_f32_e32 v2, v2, v8
	v_add_f32_e32 v3, v3, v209
	v_mul_f32_e32 v8, v115, v156
	s_waitcnt vmcnt(20)
	v_fma_f32 v4, v112, v182, -v4
	v_fmac_f32_e32 v211, v113, v182
	v_add_f32_e32 v2, v2, v5
	v_add_f32_e32 v3, v3, v210
	v_mul_f32_e32 v5, v117, v157
	s_waitcnt vmcnt(19)
	v_fma_f32 v8, v114, v183, -v8
	v_fmac_f32_e32 v212, v115, v183
	v_add_f32_e32 v2, v2, v4
	v_add_f32_e32 v3, v3, v211
	v_mul_f32_e32 v4, v119, v158
	s_waitcnt vmcnt(18)
	v_fma_f32 v5, v116, v184, -v5
	v_fmac_f32_e32 v213, v117, v184
	v_add_f32_e32 v2, v2, v8
	v_add_f32_e32 v3, v3, v212
	v_mul_f32_e32 v8, v121, v159
	s_waitcnt vmcnt(17)
	v_fma_f32 v4, v118, v185, -v4
	v_fmac_f32_e32 v214, v119, v185
	v_add_f32_e32 v2, v2, v5
	v_add_f32_e32 v3, v3, v213
	v_mul_f32_e32 v5, v123, v160
	s_waitcnt vmcnt(16)
	v_fma_f32 v8, v120, v186, -v8
	v_fmac_f32_e32 v215, v121, v186
	v_add_f32_e32 v2, v2, v4
	v_add_f32_e32 v3, v3, v214
	v_mul_f32_e32 v4, v125, v161
	s_waitcnt vmcnt(15)
	v_fma_f32 v5, v122, v187, -v5
	v_fmac_f32_e32 v216, v123, v187
	v_add_f32_e32 v2, v2, v8
	v_add_f32_e32 v3, v3, v215
	v_mul_f32_e32 v8, v127, v162
	s_waitcnt vmcnt(14)
	v_fma_f32 v4, v124, v188, -v4
	v_fmac_f32_e32 v217, v125, v188
	v_add_f32_e32 v2, v2, v5
	v_add_f32_e32 v3, v3, v216
	v_mul_f32_e32 v5, v129, v163
	s_waitcnt vmcnt(13)
	v_fma_f32 v8, v126, v189, -v8
	v_fmac_f32_e32 v218, v127, v189
	v_add_f32_e32 v2, v2, v4
	v_add_f32_e32 v3, v3, v217
	v_mul_f32_e32 v4, v131, v164
	s_waitcnt vmcnt(12)
	v_fma_f32 v5, v128, v190, -v5
	v_fmac_f32_e32 v219, v129, v190
	v_add_f32_e32 v2, v2, v8
	v_add_f32_e32 v3, v3, v218
	v_mul_f32_e32 v8, v133, v165
	s_waitcnt vmcnt(11)
	v_fma_f32 v4, v130, v191, -v4
	v_fmac_f32_e32 v220, v131, v191
	v_add_f32_e32 v2, v2, v5
	v_add_f32_e32 v3, v3, v219
	v_mul_f32_e32 v5, v135, v166
	s_waitcnt vmcnt(10)
	v_fma_f32 v8, v132, v192, -v8
	v_fmac_f32_e32 v221, v133, v192
	v_add_f32_e32 v2, v2, v4
	v_add_f32_e32 v3, v3, v220
	v_mul_f32_e32 v4, v137, v167
	s_waitcnt vmcnt(9)
	v_fma_f32 v5, v134, v193, -v5
	v_fmac_f32_e32 v222, v135, v193
	v_add_f32_e32 v2, v2, v8
	v_add_f32_e32 v3, v3, v221
	v_mul_f32_e32 v8, v139, v168
	s_waitcnt vmcnt(8)
	v_fma_f32 v4, v136, v194, -v4
	v_fmac_f32_e32 v223, v137, v194
	v_add_f32_e32 v2, v2, v5
	v_add_f32_e32 v3, v3, v222
	v_mul_f32_e32 v5, v141, v169
	s_waitcnt vmcnt(7)
	v_fma_f32 v8, v138, v195, -v8
	v_fmac_f32_e32 v224, v139, v195
	v_add_f32_e32 v2, v2, v4
	v_add_f32_e32 v3, v3, v223
	v_mul_f32_e32 v4, v143, v170
	s_waitcnt vmcnt(6)
	v_fma_f32 v5, v140, v196, -v5
	v_fmac_f32_e32 v225, v141, v196
	v_add_f32_e32 v2, v2, v8
	v_add_f32_e32 v3, v3, v224
	v_mul_f32_e32 v8, v145, v171
	s_waitcnt vmcnt(5)
	v_fma_f32 v4, v142, v197, -v4
	v_fmac_f32_e32 v226, v143, v197
	v_add_f32_e32 v2, v2, v5
	v_add_f32_e32 v3, v3, v225
	v_mul_f32_e32 v5, v147, v172
	s_waitcnt vmcnt(4)
	v_fma_f32 v8, v144, v198, -v8
	v_mul_f32_e32 v228, v146, v172
	v_add_f32_e32 v2, v2, v4
	v_fmac_f32_e32 v227, v145, v198
	v_add_f32_e32 v3, v3, v226
	s_waitcnt lgkmcnt(0)
	v_mul_f32_e32 v4, v7, v173
	s_waitcnt vmcnt(3)
	v_fma_f32 v5, v146, v199, -v5
	v_add_f32_e32 v2, v2, v8
	v_mul_f32_e32 v229, v6, v173
	v_fmac_f32_e32 v228, v147, v199
	v_add_f32_e32 v3, v3, v227
	s_waitcnt vmcnt(2)
	v_fma_f32 v4, v6, v200, -v4
	v_add_f32_e32 v2, v2, v5
	v_fmac_f32_e32 v229, v7, v200
	v_add_f32_e32 v3, v3, v228
	v_add_f32_e32 v2, v2, v4
	;; [unrolled: 1-line block ×3, first 2 shown]
	s_waitcnt vmcnt(1)
	v_sub_f32_e32 v2, v201, v2
	s_waitcnt vmcnt(0)
	v_sub_f32_e32 v3, v202, v3
	buffer_store_dword v2, off, s[0:3], 0 offset:136
	buffer_store_dword v3, off, s[0:3], 0 offset:140
	v_cmpx_lt_u32_e32 16, v0
	s_cbranch_execz .LBB108_251
; %bb.250:
	s_clause 0x1
	buffer_load_dword v2, off, s[0:3], 0 offset:128
	buffer_load_dword v3, off, s[0:3], 0 offset:132
	buffer_store_dword v1, off, s[0:3], 0 offset:128
	buffer_store_dword v1, off, s[0:3], 0 offset:132
	s_waitcnt vmcnt(0)
	ds_write_b64 v99, v[2:3]
.LBB108_251:
	s_or_b32 exec_lo, exec_lo, s4
	s_waitcnt lgkmcnt(0)
	s_waitcnt_vscnt null, 0x0
	s_barrier
	buffer_gl0_inv
	s_clause 0x39
	buffer_load_dword v6, off, s[0:3], 0 offset:140
	buffer_load_dword v7, off, s[0:3], 0 offset:148
	;; [unrolled: 1-line block ×58, first 2 shown]
	ds_read2_b64 v[2:5], v1 offset0:63 offset1:64
	ds_read2_b64 v[100:103], v1 offset0:65 offset1:66
	;; [unrolled: 1-line block ×14, first 2 shown]
	s_mov_b32 s4, exec_lo
	s_waitcnt vmcnt(57) lgkmcnt(13)
	v_mul_f32_e32 v1, v2, v6
	v_mul_f32_e32 v6, v3, v6
	s_waitcnt vmcnt(56)
	v_mul_f32_e32 v207, v4, v7
	v_mul_f32_e32 v7, v5, v7
	s_waitcnt vmcnt(55) lgkmcnt(12)
	v_mul_f32_e32 v208, v100, v8
	s_waitcnt vmcnt(54)
	v_mul_f32_e32 v209, v102, v152
	s_waitcnt vmcnt(53) lgkmcnt(11)
	v_mul_f32_e32 v210, v104, v153
	s_waitcnt vmcnt(52)
	v_mul_f32_e32 v211, v106, v154
	s_waitcnt vmcnt(51) lgkmcnt(10)
	v_mul_f32_e32 v212, v108, v155
	s_waitcnt vmcnt(50)
	v_mul_f32_e32 v213, v110, v156
	s_waitcnt vmcnt(49) lgkmcnt(9)
	v_mul_f32_e32 v214, v112, v157
	s_waitcnt vmcnt(48)
	v_mul_f32_e32 v215, v114, v158
	s_waitcnt vmcnt(47) lgkmcnt(8)
	v_mul_f32_e32 v216, v116, v159
	s_waitcnt vmcnt(46)
	v_mul_f32_e32 v217, v118, v160
	s_waitcnt vmcnt(45) lgkmcnt(7)
	v_mul_f32_e32 v218, v120, v161
	s_waitcnt vmcnt(44)
	v_mul_f32_e32 v219, v122, v162
	s_waitcnt vmcnt(43) lgkmcnt(6)
	v_mul_f32_e32 v220, v124, v163
	s_waitcnt vmcnt(42)
	v_mul_f32_e32 v221, v126, v164
	s_waitcnt vmcnt(41) lgkmcnt(5)
	v_mul_f32_e32 v222, v128, v165
	s_waitcnt vmcnt(40)
	v_mul_f32_e32 v223, v130, v166
	s_waitcnt vmcnt(39) lgkmcnt(4)
	v_mul_f32_e32 v224, v132, v167
	s_waitcnt vmcnt(38)
	v_mul_f32_e32 v225, v134, v168
	s_waitcnt vmcnt(37) lgkmcnt(3)
	v_mul_f32_e32 v226, v136, v169
	s_waitcnt vmcnt(36)
	v_mul_f32_e32 v227, v138, v170
	s_waitcnt vmcnt(35) lgkmcnt(2)
	v_mul_f32_e32 v228, v140, v171
	s_waitcnt vmcnt(34)
	v_mul_f32_e32 v229, v142, v172
	s_waitcnt vmcnt(33) lgkmcnt(1)
	v_mul_f32_e32 v230, v144, v173
	s_waitcnt vmcnt(32)
	v_mul_f32_e32 v231, v146, v174
	s_waitcnt vmcnt(29)
	v_fma_f32 v2, v2, v177, -v6
	v_fmac_f32_e32 v1, v3, v177
	v_mul_f32_e32 v3, v101, v8
	s_waitcnt vmcnt(28)
	v_fma_f32 v4, v4, v178, -v7
	v_fmac_f32_e32 v207, v5, v178
	v_add_f32_e32 v2, 0, v2
	v_add_f32_e32 v1, 0, v1
	v_mul_f32_e32 v5, v103, v152
	s_waitcnt vmcnt(27)
	v_fma_f32 v3, v100, v179, -v3
	v_fmac_f32_e32 v208, v101, v179
	v_add_f32_e32 v2, v2, v4
	v_add_f32_e32 v1, v1, v207
	;; [unrolled: 6-line block ×24, first 2 shown]
	s_waitcnt lgkmcnt(0)
	v_mul_f32_e32 v3, v149, v175
	s_waitcnt vmcnt(4)
	v_fma_f32 v4, v146, v202, -v4
	v_mul_f32_e32 v232, v148, v175
	v_add_f32_e32 v2, v2, v5
	v_fmac_f32_e32 v231, v147, v202
	v_add_f32_e32 v1, v1, v230
	v_mul_f32_e32 v5, v151, v176
	s_waitcnt vmcnt(3)
	v_fma_f32 v3, v148, v203, -v3
	v_add_f32_e32 v2, v2, v4
	v_mul_f32_e32 v233, v150, v176
	v_fmac_f32_e32 v232, v149, v203
	v_add_f32_e32 v1, v1, v231
	s_waitcnt vmcnt(2)
	v_fma_f32 v4, v150, v204, -v5
	v_add_f32_e32 v2, v2, v3
	v_fmac_f32_e32 v233, v151, v204
	v_add_f32_e32 v1, v1, v232
	v_add_f32_e32 v2, v2, v4
	;; [unrolled: 1-line block ×3, first 2 shown]
	s_waitcnt vmcnt(1)
	v_sub_f32_e32 v2, v205, v2
	s_waitcnt vmcnt(0)
	v_sub_f32_e32 v1, v206, v1
	buffer_store_dword v2, off, s[0:3], 0 offset:128
	buffer_store_dword v1, off, s[0:3], 0 offset:132
	v_cmpx_lt_u32_e32 15, v0
	s_cbranch_execz .LBB108_253
; %bb.252:
	s_clause 0x1
	buffer_load_dword v1, off, s[0:3], 0 offset:120
	buffer_load_dword v2, off, s[0:3], 0 offset:124
	v_mov_b32_e32 v3, 0
	buffer_store_dword v3, off, s[0:3], 0 offset:120
	buffer_store_dword v3, off, s[0:3], 0 offset:124
	s_waitcnt vmcnt(0)
	ds_write_b64 v99, v[1:2]
.LBB108_253:
	s_or_b32 exec_lo, exec_lo, s4
	s_waitcnt lgkmcnt(0)
	s_waitcnt_vscnt null, 0x0
	s_barrier
	buffer_gl0_inv
	s_clause 0x3b
	buffer_load_dword v8, off, s[0:3], 0 offset:132
	buffer_load_dword v152, off, s[0:3], 0 offset:140
	;; [unrolled: 1-line block ×60, first 2 shown]
	v_mov_b32_e32 v1, 0
	ds_read_b128 v[2:5], v1 offset:496
	ds_read_b128 v[100:103], v1 offset:512
	;; [unrolled: 1-line block ×14, first 2 shown]
	ds_read_b64 v[6:7], v1 offset:720
	s_mov_b32 s4, exec_lo
	s_waitcnt vmcnt(59) lgkmcnt(14)
	v_mul_f32_e32 v211, v2, v8
	v_mul_f32_e32 v8, v3, v8
	s_waitcnt vmcnt(58)
	v_mul_f32_e32 v212, v4, v152
	v_mul_f32_e32 v152, v5, v152
	s_waitcnt vmcnt(57) lgkmcnt(13)
	v_mul_f32_e32 v213, v100, v153
	s_waitcnt vmcnt(56)
	v_mul_f32_e32 v214, v102, v154
	s_waitcnt vmcnt(55) lgkmcnt(12)
	v_mul_f32_e32 v215, v104, v155
	s_waitcnt vmcnt(54)
	;; [unrolled: 4-line block ×13, first 2 shown]
	v_fma_f32 v2, v2, v180, -v8
	v_fmac_f32_e32 v211, v3, v180
	v_mul_f32_e32 v3, v101, v153
	s_waitcnt vmcnt(29)
	v_fma_f32 v4, v4, v181, -v152
	v_fmac_f32_e32 v212, v5, v181
	v_add_f32_e32 v2, 0, v2
	v_add_f32_e32 v5, 0, v211
	v_mul_f32_e32 v8, v103, v154
	s_waitcnt vmcnt(28)
	v_fma_f32 v3, v100, v182, -v3
	v_fmac_f32_e32 v213, v101, v182
	v_add_f32_e32 v2, v2, v4
	v_add_f32_e32 v4, v5, v212
	;; [unrolled: 6-line block ×25, first 2 shown]
	v_mul_f32_e32 v8, v151, v178
	s_waitcnt vmcnt(4)
	v_fma_f32 v4, v148, v206, -v4
	v_mul_f32_e32 v238, v150, v178
	v_add_f32_e32 v2, v2, v5
	v_fmac_f32_e32 v237, v149, v206
	v_add_f32_e32 v3, v3, v236
	s_waitcnt lgkmcnt(0)
	v_mul_f32_e32 v5, v7, v179
	s_waitcnt vmcnt(3)
	v_fma_f32 v8, v150, v207, -v8
	v_add_f32_e32 v2, v2, v4
	v_mul_f32_e32 v239, v6, v179
	v_fmac_f32_e32 v238, v151, v207
	v_add_f32_e32 v3, v3, v237
	s_waitcnt vmcnt(2)
	v_fma_f32 v4, v6, v208, -v5
	v_add_f32_e32 v2, v2, v8
	v_fmac_f32_e32 v239, v7, v208
	v_add_f32_e32 v3, v3, v238
	v_add_f32_e32 v2, v2, v4
	;; [unrolled: 1-line block ×3, first 2 shown]
	s_waitcnt vmcnt(1)
	v_sub_f32_e32 v2, v209, v2
	s_waitcnt vmcnt(0)
	v_sub_f32_e32 v3, v210, v3
	buffer_store_dword v2, off, s[0:3], 0 offset:120
	buffer_store_dword v3, off, s[0:3], 0 offset:124
	v_cmpx_lt_u32_e32 14, v0
	s_cbranch_execz .LBB108_255
; %bb.254:
	s_clause 0x1
	buffer_load_dword v2, off, s[0:3], 0 offset:112
	buffer_load_dword v3, off, s[0:3], 0 offset:116
	buffer_store_dword v1, off, s[0:3], 0 offset:112
	buffer_store_dword v1, off, s[0:3], 0 offset:116
	s_waitcnt vmcnt(0)
	ds_write_b64 v99, v[2:3]
.LBB108_255:
	s_or_b32 exec_lo, exec_lo, s4
	s_waitcnt lgkmcnt(0)
	s_waitcnt_vscnt null, 0x0
	s_barrier
	buffer_gl0_inv
	s_clause 0x3d
	buffer_load_dword v6, off, s[0:3], 0 offset:124
	buffer_load_dword v7, off, s[0:3], 0 offset:132
	buffer_load_dword v8, off, s[0:3], 0 offset:140
	buffer_load_dword v156, off, s[0:3], 0 offset:148
	buffer_load_dword v157, off, s[0:3], 0 offset:156
	buffer_load_dword v158, off, s[0:3], 0 offset:164
	buffer_load_dword v159, off, s[0:3], 0 offset:172
	buffer_load_dword v160, off, s[0:3], 0 offset:180
	buffer_load_dword v161, off, s[0:3], 0 offset:188
	buffer_load_dword v162, off, s[0:3], 0 offset:196
	buffer_load_dword v163, off, s[0:3], 0 offset:204
	buffer_load_dword v164, off, s[0:3], 0 offset:212
	buffer_load_dword v165, off, s[0:3], 0 offset:220
	buffer_load_dword v166, off, s[0:3], 0 offset:228
	buffer_load_dword v167, off, s[0:3], 0 offset:236
	buffer_load_dword v168, off, s[0:3], 0 offset:244
	buffer_load_dword v169, off, s[0:3], 0 offset:252
	buffer_load_dword v170, off, s[0:3], 0 offset:260
	buffer_load_dword v171, off, s[0:3], 0 offset:268
	buffer_load_dword v172, off, s[0:3], 0 offset:276
	buffer_load_dword v173, off, s[0:3], 0 offset:284
	buffer_load_dword v174, off, s[0:3], 0 offset:292
	buffer_load_dword v175, off, s[0:3], 0 offset:300
	buffer_load_dword v176, off, s[0:3], 0 offset:308
	buffer_load_dword v177, off, s[0:3], 0 offset:316
	buffer_load_dword v178, off, s[0:3], 0 offset:324
	buffer_load_dword v179, off, s[0:3], 0 offset:332
	buffer_load_dword v180, off, s[0:3], 0 offset:340
	buffer_load_dword v181, off, s[0:3], 0 offset:348
	buffer_load_dword v182, off, s[0:3], 0 offset:356
	buffer_load_dword v183, off, s[0:3], 0 offset:120
	buffer_load_dword v184, off, s[0:3], 0 offset:128
	buffer_load_dword v185, off, s[0:3], 0 offset:136
	buffer_load_dword v186, off, s[0:3], 0 offset:144
	buffer_load_dword v187, off, s[0:3], 0 offset:152
	buffer_load_dword v188, off, s[0:3], 0 offset:160
	buffer_load_dword v189, off, s[0:3], 0 offset:168
	buffer_load_dword v190, off, s[0:3], 0 offset:176
	buffer_load_dword v191, off, s[0:3], 0 offset:184
	buffer_load_dword v192, off, s[0:3], 0 offset:192
	buffer_load_dword v193, off, s[0:3], 0 offset:200
	buffer_load_dword v194, off, s[0:3], 0 offset:208
	buffer_load_dword v195, off, s[0:3], 0 offset:216
	buffer_load_dword v196, off, s[0:3], 0 offset:224
	buffer_load_dword v197, off, s[0:3], 0 offset:232
	buffer_load_dword v198, off, s[0:3], 0 offset:240
	buffer_load_dword v199, off, s[0:3], 0 offset:248
	buffer_load_dword v200, off, s[0:3], 0 offset:256
	buffer_load_dword v201, off, s[0:3], 0 offset:264
	buffer_load_dword v202, off, s[0:3], 0 offset:272
	buffer_load_dword v203, off, s[0:3], 0 offset:280
	buffer_load_dword v204, off, s[0:3], 0 offset:288
	buffer_load_dword v205, off, s[0:3], 0 offset:296
	buffer_load_dword v206, off, s[0:3], 0 offset:304
	buffer_load_dword v207, off, s[0:3], 0 offset:312
	buffer_load_dword v208, off, s[0:3], 0 offset:320
	buffer_load_dword v209, off, s[0:3], 0 offset:328
	buffer_load_dword v210, off, s[0:3], 0 offset:336
	buffer_load_dword v211, off, s[0:3], 0 offset:344
	buffer_load_dword v212, off, s[0:3], 0 offset:352
	buffer_load_dword v213, off, s[0:3], 0 offset:112
	buffer_load_dword v214, off, s[0:3], 0 offset:116
	ds_read2_b64 v[2:5], v1 offset0:61 offset1:62
	ds_read2_b64 v[100:103], v1 offset0:63 offset1:64
	;; [unrolled: 1-line block ×15, first 2 shown]
	s_mov_b32 s4, exec_lo
	s_waitcnt vmcnt(61) lgkmcnt(14)
	v_mul_f32_e32 v1, v2, v6
	v_mul_f32_e32 v6, v3, v6
	s_waitcnt vmcnt(60)
	v_mul_f32_e32 v215, v4, v7
	v_mul_f32_e32 v7, v5, v7
	s_waitcnt vmcnt(59) lgkmcnt(13)
	v_mul_f32_e32 v216, v100, v8
	s_waitcnt vmcnt(58)
	v_mul_f32_e32 v217, v102, v156
	s_waitcnt vmcnt(57) lgkmcnt(12)
	v_mul_f32_e32 v218, v104, v157
	s_waitcnt vmcnt(56)
	;; [unrolled: 4-line block ×13, first 2 shown]
	v_mul_f32_e32 v241, v150, v180
	s_waitcnt vmcnt(31)
	v_fma_f32 v2, v2, v183, -v6
	v_fmac_f32_e32 v1, v3, v183
	v_mul_f32_e32 v3, v101, v8
	s_waitcnt vmcnt(30)
	v_fma_f32 v4, v4, v184, -v7
	v_fmac_f32_e32 v215, v5, v184
	v_add_f32_e32 v2, 0, v2
	v_add_f32_e32 v1, 0, v1
	v_mul_f32_e32 v5, v103, v156
	s_waitcnt vmcnt(29)
	v_fma_f32 v3, v100, v185, -v3
	v_fmac_f32_e32 v216, v101, v185
	v_add_f32_e32 v2, v2, v4
	v_add_f32_e32 v1, v1, v215
	;; [unrolled: 6-line block ×26, first 2 shown]
	s_waitcnt lgkmcnt(0)
	v_mul_f32_e32 v4, v153, v181
	s_waitcnt vmcnt(4)
	v_fma_f32 v5, v150, v210, -v5
	v_mul_f32_e32 v242, v152, v181
	v_add_f32_e32 v2, v2, v3
	v_fmac_f32_e32 v241, v151, v210
	v_add_f32_e32 v1, v1, v240
	v_mul_f32_e32 v3, v155, v182
	s_waitcnt vmcnt(3)
	v_fma_f32 v4, v152, v211, -v4
	v_add_f32_e32 v2, v2, v5
	v_mul_f32_e32 v243, v154, v182
	v_fmac_f32_e32 v242, v153, v211
	v_add_f32_e32 v1, v1, v241
	s_waitcnt vmcnt(2)
	v_fma_f32 v3, v154, v212, -v3
	v_add_f32_e32 v2, v2, v4
	v_fmac_f32_e32 v243, v155, v212
	v_add_f32_e32 v1, v1, v242
	v_add_f32_e32 v2, v2, v3
	;; [unrolled: 1-line block ×3, first 2 shown]
	s_waitcnt vmcnt(1)
	v_sub_f32_e32 v2, v213, v2
	s_waitcnt vmcnt(0)
	v_sub_f32_e32 v1, v214, v1
	buffer_store_dword v2, off, s[0:3], 0 offset:112
	buffer_store_dword v1, off, s[0:3], 0 offset:116
	v_cmpx_lt_u32_e32 13, v0
	s_cbranch_execz .LBB108_257
; %bb.256:
	s_clause 0x1
	buffer_load_dword v1, off, s[0:3], 0 offset:104
	buffer_load_dword v2, off, s[0:3], 0 offset:108
	v_mov_b32_e32 v3, 0
	buffer_store_dword v3, off, s[0:3], 0 offset:104
	buffer_store_dword v3, off, s[0:3], 0 offset:108
	s_waitcnt vmcnt(0)
	ds_write_b64 v99, v[1:2]
.LBB108_257:
	s_or_b32 exec_lo, exec_lo, s4
	s_waitcnt lgkmcnt(0)
	s_waitcnt_vscnt null, 0x0
	s_barrier
	buffer_gl0_inv
	s_clause 0x3e
	buffer_load_dword v8, off, s[0:3], 0 offset:116
	buffer_load_dword v156, off, s[0:3], 0 offset:124
	;; [unrolled: 1-line block ×64, first 2 shown]
	v_mov_b32_e32 v1, 0
	ds_read_b128 v[2:5], v1 offset:480
	ds_read_b128 v[100:103], v1 offset:496
	ds_read_b128 v[104:107], v1 offset:512
	ds_read_b128 v[108:111], v1 offset:528
	ds_read_b128 v[112:115], v1 offset:544
	ds_read_b128 v[116:119], v1 offset:560
	ds_read_b128 v[120:123], v1 offset:576
	ds_read_b128 v[124:127], v1 offset:592
	ds_read_b128 v[128:131], v1 offset:608
	ds_read_b128 v[132:135], v1 offset:624
	ds_read_b128 v[136:139], v1 offset:640
	ds_read_b128 v[140:143], v1 offset:656
	ds_read_b128 v[144:147], v1 offset:672
	ds_read_b128 v[148:151], v1 offset:688
	ds_read_b128 v[152:155], v1 offset:704
	ds_read_b64 v[6:7], v1 offset:720
	s_mov_b32 s4, exec_lo
	s_waitcnt vmcnt(62) lgkmcnt(15)
	v_mul_f32_e32 v219, v2, v8
	v_mul_f32_e32 v8, v3, v8
	;; [unrolled: 1-line block ×4, first 2 shown]
	s_waitcnt vmcnt(61) lgkmcnt(14)
	v_mul_f32_e32 v221, v100, v157
	s_waitcnt vmcnt(60)
	v_mul_f32_e32 v222, v102, v158
	s_waitcnt vmcnt(59) lgkmcnt(13)
	v_mul_f32_e32 v223, v104, v159
	s_waitcnt vmcnt(58)
	v_mul_f32_e32 v224, v106, v160
	;; [unrolled: 4-line block ×13, first 2 shown]
	s_waitcnt vmcnt(35) lgkmcnt(1)
	v_mul_f32_e32 v247, v152, v183
	s_waitcnt vmcnt(32)
	v_fma_f32 v2, v2, v186, -v8
	v_fmac_f32_e32 v219, v3, v186
	v_mul_f32_e32 v3, v101, v157
	s_waitcnt vmcnt(31)
	v_fma_f32 v4, v4, v187, -v156
	v_fmac_f32_e32 v220, v5, v187
	v_add_f32_e32 v2, 0, v2
	v_add_f32_e32 v5, 0, v219
	v_mul_f32_e32 v8, v103, v158
	s_waitcnt vmcnt(30)
	v_fma_f32 v3, v100, v188, -v3
	v_fmac_f32_e32 v221, v101, v188
	v_add_f32_e32 v2, v2, v4
	v_add_f32_e32 v4, v5, v220
	;; [unrolled: 6-line block ×27, first 2 shown]
	v_mul_f32_e32 v4, v155, v184
	s_waitcnt vmcnt(4)
	v_fma_f32 v5, v152, v214, -v5
	v_mul_f32_e32 v248, v154, v184
	v_add_f32_e32 v2, v2, v8
	v_fmac_f32_e32 v247, v153, v214
	v_add_f32_e32 v3, v3, v246
	s_waitcnt lgkmcnt(0)
	v_mul_f32_e32 v8, v7, v185
	s_waitcnt vmcnt(3)
	v_fma_f32 v4, v154, v215, -v4
	v_add_f32_e32 v2, v2, v5
	v_mul_f32_e32 v249, v6, v185
	v_fmac_f32_e32 v248, v155, v215
	v_add_f32_e32 v3, v3, v247
	s_waitcnt vmcnt(2)
	v_fma_f32 v5, v6, v216, -v8
	v_add_f32_e32 v2, v2, v4
	v_fmac_f32_e32 v249, v7, v216
	v_add_f32_e32 v3, v3, v248
	v_add_f32_e32 v2, v2, v5
	;; [unrolled: 1-line block ×3, first 2 shown]
	s_waitcnt vmcnt(1)
	v_sub_f32_e32 v2, v217, v2
	s_waitcnt vmcnt(0)
	v_sub_f32_e32 v3, v218, v3
	buffer_store_dword v2, off, s[0:3], 0 offset:104
	buffer_store_dword v3, off, s[0:3], 0 offset:108
	v_cmpx_lt_u32_e32 12, v0
	s_cbranch_execz .LBB108_259
; %bb.258:
	s_clause 0x1
	buffer_load_dword v2, off, s[0:3], 0 offset:96
	buffer_load_dword v3, off, s[0:3], 0 offset:100
	buffer_store_dword v1, off, s[0:3], 0 offset:96
	buffer_store_dword v1, off, s[0:3], 0 offset:100
	s_waitcnt vmcnt(0)
	ds_write_b64 v99, v[2:3]
.LBB108_259:
	s_or_b32 exec_lo, exec_lo, s4
	s_waitcnt lgkmcnt(0)
	s_waitcnt_vscnt null, 0x0
	s_barrier
	buffer_gl0_inv
	s_clause 0x3e
	buffer_load_dword v6, off, s[0:3], 0 offset:108
	buffer_load_dword v7, off, s[0:3], 0 offset:116
	;; [unrolled: 1-line block ×63, first 2 shown]
	s_clause 0x2
	buffer_load_dword v220, off, s[0:3], 0 offset:352
	buffer_load_dword v221, off, s[0:3], 0 offset:96
	;; [unrolled: 1-line block ×3, first 2 shown]
	ds_read2_b64 v[2:5], v1 offset0:59 offset1:60
	ds_read2_b64 v[100:103], v1 offset0:61 offset1:62
	ds_read2_b64 v[104:107], v1 offset0:63 offset1:64
	ds_read2_b64 v[108:111], v1 offset0:65 offset1:66
	ds_read2_b64 v[112:115], v1 offset0:67 offset1:68
	ds_read2_b64 v[116:119], v1 offset0:69 offset1:70
	ds_read2_b64 v[120:123], v1 offset0:71 offset1:72
	ds_read2_b64 v[124:127], v1 offset0:73 offset1:74
	ds_read2_b64 v[128:131], v1 offset0:75 offset1:76
	ds_read2_b64 v[132:135], v1 offset0:77 offset1:78
	ds_read2_b64 v[136:139], v1 offset0:79 offset1:80
	ds_read2_b64 v[140:143], v1 offset0:81 offset1:82
	ds_read2_b64 v[144:147], v1 offset0:83 offset1:84
	ds_read2_b64 v[148:151], v1 offset0:85 offset1:86
	ds_read2_b64 v[152:155], v1 offset0:87 offset1:88
	ds_read2_b64 v[156:159], v1 offset0:89 offset1:90
	s_mov_b32 s4, exec_lo
	s_waitcnt vmcnt(62) lgkmcnt(15)
	v_mul_f32_e32 v1, v2, v6
	v_mul_f32_e32 v6, v3, v6
	;; [unrolled: 1-line block ×4, first 2 shown]
	s_waitcnt lgkmcnt(14)
	v_mul_f32_e32 v224, v100, v8
	v_mul_f32_e32 v225, v102, v160
	s_waitcnt vmcnt(61) lgkmcnt(13)
	v_mul_f32_e32 v226, v104, v161
	s_waitcnt vmcnt(60)
	v_mul_f32_e32 v227, v106, v162
	s_waitcnt vmcnt(59) lgkmcnt(12)
	v_mul_f32_e32 v228, v108, v163
	s_waitcnt vmcnt(58)
	;; [unrolled: 4-line block ×13, first 2 shown]
	v_mul_f32_e32 v251, v154, v186
	s_waitcnt vmcnt(33)
	v_fma_f32 v2, v2, v189, -v6
	v_fmac_f32_e32 v1, v3, v189
	v_mul_f32_e32 v3, v101, v8
	s_waitcnt vmcnt(32)
	v_fma_f32 v4, v4, v190, -v7
	v_fmac_f32_e32 v223, v5, v190
	v_add_f32_e32 v2, 0, v2
	v_add_f32_e32 v1, 0, v1
	v_mul_f32_e32 v5, v103, v160
	s_waitcnt vmcnt(31)
	v_fma_f32 v3, v100, v191, -v3
	v_fmac_f32_e32 v224, v101, v191
	v_add_f32_e32 v2, v2, v4
	v_add_f32_e32 v1, v1, v223
	;; [unrolled: 6-line block ×28, first 2 shown]
	s_waitcnt lgkmcnt(0)
	v_mul_f32_e32 v5, v157, v187
	s_waitcnt vmcnt(4)
	v_fma_f32 v3, v154, v218, -v3
	v_mul_f32_e32 v252, v156, v187
	v_add_f32_e32 v2, v2, v4
	v_fmac_f32_e32 v251, v155, v218
	v_add_f32_e32 v1, v1, v250
	v_mul_f32_e32 v4, v159, v188
	s_waitcnt vmcnt(3)
	v_fma_f32 v5, v156, v219, -v5
	v_add_f32_e32 v2, v2, v3
	v_mul_f32_e32 v253, v158, v188
	v_fmac_f32_e32 v252, v157, v219
	v_add_f32_e32 v1, v1, v251
	s_waitcnt vmcnt(2)
	v_fma_f32 v3, v158, v220, -v4
	v_add_f32_e32 v2, v2, v5
	v_fmac_f32_e32 v253, v159, v220
	v_add_f32_e32 v1, v1, v252
	v_add_f32_e32 v2, v2, v3
	;; [unrolled: 1-line block ×3, first 2 shown]
	s_waitcnt vmcnt(1)
	v_sub_f32_e32 v2, v221, v2
	s_waitcnt vmcnt(0)
	v_sub_f32_e32 v1, v222, v1
	buffer_store_dword v2, off, s[0:3], 0 offset:96
	buffer_store_dword v1, off, s[0:3], 0 offset:100
	v_cmpx_lt_u32_e32 11, v0
	s_cbranch_execz .LBB108_261
; %bb.260:
	s_clause 0x1
	buffer_load_dword v1, off, s[0:3], 0 offset:88
	buffer_load_dword v2, off, s[0:3], 0 offset:92
	v_mov_b32_e32 v3, 0
	buffer_store_dword v3, off, s[0:3], 0 offset:88
	buffer_store_dword v3, off, s[0:3], 0 offset:92
	s_waitcnt vmcnt(0)
	ds_write_b64 v99, v[1:2]
.LBB108_261:
	s_or_b32 exec_lo, exec_lo, s4
	s_waitcnt lgkmcnt(0)
	s_waitcnt_vscnt null, 0x0
	s_barrier
	buffer_gl0_inv
	s_clause 0x23
	buffer_load_dword v101, off, s[0:3], 0 offset:100
	buffer_load_dword v103, off, s[0:3], 0 offset:108
	;; [unrolled: 1-line block ×36, first 2 shown]
	v_mov_b32_e32 v100, 0
	ds_read_b128 v[5:8], v100 offset:464
	ds_read_b128 v[1:4], v100 offset:480
	buffer_load_dword v145, off, s[0:3], 0 offset:92
	ds_read_b128 v[137:140], v100 offset:496
	ds_read_b128 v[141:144], v100 offset:512
	s_mov_b32 s4, exec_lo
	s_waitcnt vmcnt(36) lgkmcnt(3)
	v_mul_f32_e32 v146, v5, v101
	s_waitcnt vmcnt(35)
	v_mul_f32_e32 v147, v7, v103
	v_mul_f32_e32 v101, v6, v101
	;; [unrolled: 1-line block ×3, first 2 shown]
	s_waitcnt vmcnt(34) lgkmcnt(2)
	v_mul_f32_e32 v148, v1, v104
	v_mul_f32_e32 v104, v2, v104
	s_waitcnt vmcnt(30)
	v_mul_f32_e32 v149, v3, v105
	v_mul_f32_e32 v105, v4, v105
	v_fmac_f32_e32 v146, v6, v107
	v_fmac_f32_e32 v147, v8, v106
	v_fma_f32 v107, v5, v107, -v101
	v_fma_f32 v106, v7, v106, -v103
	ds_read_b128 v[5:8], v100 offset:528
	v_fmac_f32_e32 v148, v2, v102
	v_fma_f32 v150, v1, v102, -v104
	ds_read_b128 v[101:104], v100 offset:544
	s_waitcnt vmcnt(26)
	v_fmac_f32_e32 v149, v4, v116
	v_fma_f32 v105, v3, v116, -v105
	s_waitcnt vmcnt(25) lgkmcnt(3)
	v_mul_f32_e32 v116, v137, v114
	s_waitcnt vmcnt(24)
	v_mul_f32_e32 v151, v139, v115
	v_mul_f32_e32 v1, v138, v114
	v_mul_f32_e32 v2, v140, v115
	s_clause 0x1
	buffer_load_dword v114, off, s[0:3], 0 offset:236
	buffer_load_dword v115, off, s[0:3], 0 offset:244
	v_fmac_f32_e32 v116, v138, v111
	v_fmac_f32_e32 v151, v140, v109
	v_fma_f32 v111, v137, v111, -v1
	v_fma_f32 v109, v139, v109, -v2
	ds_read_b128 v[1:4], v100 offset:560
	s_waitcnt vmcnt(25) lgkmcnt(3)
	v_mul_f32_e32 v137, v141, v112
	v_mul_f32_e32 v112, v142, v112
	s_waitcnt vmcnt(24)
	v_mul_f32_e32 v138, v143, v110
	v_mul_f32_e32 v110, v144, v110
	s_waitcnt vmcnt(23) lgkmcnt(2)
	v_mul_f32_e32 v139, v5, v113
	v_fmac_f32_e32 v137, v142, v108
	v_fma_f32 v108, v141, v108, -v112
	s_waitcnt vmcnt(22)
	v_mul_f32_e32 v112, v7, v117
	v_mul_f32_e32 v113, v6, v113
	;; [unrolled: 1-line block ×3, first 2 shown]
	s_waitcnt vmcnt(18)
	v_fma_f32 v110, v143, v124, -v110
	v_fmac_f32_e32 v139, v6, v122
	v_fmac_f32_e32 v112, v8, v121
	v_fma_f32 v113, v5, v122, -v113
	v_fma_f32 v117, v7, v121, -v117
	s_clause 0x5
	buffer_load_dword v121, off, s[0:3], 0 offset:252
	buffer_load_dword v122, off, s[0:3], 0 offset:260
	buffer_load_dword v140, off, s[0:3], 0 offset:272
	buffer_load_dword v141, off, s[0:3], 0 offset:264
	buffer_load_dword v142, off, s[0:3], 0 offset:256
	buffer_load_dword v143, off, s[0:3], 0 offset:248
	v_fmac_f32_e32 v138, v144, v124
	s_waitcnt vmcnt(23) lgkmcnt(1)
	v_mul_f32_e32 v124, v101, v123
	v_mul_f32_e32 v123, v102, v123
	s_waitcnt vmcnt(22)
	v_mul_f32_e32 v144, v103, v119
	v_mul_f32_e32 v119, v104, v119
	ds_read_b128 v[5:8], v100 offset:576
	v_fmac_f32_e32 v124, v102, v118
	v_fma_f32 v101, v101, v118, -v123
	s_waitcnt vmcnt(18)
	v_fmac_f32_e32 v144, v104, v135
	v_fma_f32 v102, v103, v135, -v119
	s_waitcnt vmcnt(17) lgkmcnt(1)
	v_mul_f32_e32 v103, v1, v133
	v_mul_f32_e32 v104, v2, v133
	s_clause 0x1
	buffer_load_dword v123, off, s[0:3], 0 offset:268
	buffer_load_dword v133, off, s[0:3], 0 offset:276
	v_add_f32_e32 v107, 0, v107
	s_waitcnt vmcnt(18)
	v_mul_f32_e32 v118, v3, v134
	v_mul_f32_e32 v119, v4, v134
	v_fma_f32 v104, v1, v130, -v104
	v_add_f32_e32 v1, 0, v146
	v_add_f32_e32 v106, v107, v106
	v_fmac_f32_e32 v103, v2, v130
	v_fmac_f32_e32 v118, v4, v129
	v_fma_f32 v119, v3, v129, -v119
	v_add_f32_e32 v146, v1, v147
	s_clause 0x3
	buffer_load_dword v129, off, s[0:3], 0 offset:284
	buffer_load_dword v130, off, s[0:3], 0 offset:292
	;; [unrolled: 1-line block ×4, first 2 shown]
	ds_read_b128 v[1:4], v100 offset:592
	s_waitcnt vmcnt(21) lgkmcnt(1)
	v_mul_f32_e32 v147, v5, v128
	v_mul_f32_e32 v107, v6, v128
	v_add_f32_e32 v128, v146, v148
	s_waitcnt vmcnt(20)
	v_mul_f32_e32 v146, v7, v127
	v_mul_f32_e32 v127, v8, v127
	v_fmac_f32_e32 v147, v6, v125
	v_fma_f32 v125, v5, v125, -v107
	v_add_f32_e32 v5, v128, v149
	v_add_f32_e32 v106, v106, v150
	s_clause 0x3
	buffer_load_dword v128, off, s[0:3], 0 offset:316
	buffer_load_dword v148, off, s[0:3], 0 offset:324
	buffer_load_dword v149, off, s[0:3], 0 offset:332
	buffer_load_dword v150, off, s[0:3], 0 offset:340
	s_waitcnt vmcnt(20)
	v_fmac_f32_e32 v146, v8, v136
	v_fma_f32 v127, v7, v136, -v127
	v_add_f32_e32 v5, v5, v116
	s_clause 0x5
	buffer_load_dword v136, off, s[0:3], 0 offset:348
	buffer_load_dword v116, off, s[0:3], 0 offset:304
	;; [unrolled: 1-line block ×6, first 2 shown]
	v_add_f32_e32 v6, v106, v105
	v_add_f32_e32 v5, v5, v151
	s_waitcnt vmcnt(25) lgkmcnt(0)
	v_mul_f32_e32 v107, v2, v132
	v_add_f32_e32 v6, v6, v111
	v_add_f32_e32 v106, v5, v137
	v_mul_f32_e32 v137, v1, v132
	v_add_f32_e32 v105, v6, v109
	ds_read_b128 v[5:8], v100 offset:608
	v_add_f32_e32 v106, v106, v138
	v_fmac_f32_e32 v137, v2, v131
	v_fma_f32 v109, v1, v131, -v107
	v_add_f32_e32 v105, v105, v108
	v_add_f32_e32 v2, v106, v139
	s_clause 0x5
	buffer_load_dword v131, off, s[0:3], 0 offset:336
	buffer_load_dword v132, off, s[0:3], 0 offset:328
	;; [unrolled: 1-line block ×6, first 2 shown]
	v_add_f32_e32 v1, v105, v110
	v_add_f32_e32 v2, v2, v112
	;; [unrolled: 1-line block ×5, first 2 shown]
	buffer_load_dword v117, off, s[0:3], 0 offset:88
	v_add_f32_e32 v105, v105, v144
	v_add_f32_e32 v101, v1, v101
	v_add_f32_e32 v105, v105, v103
	v_add_f32_e32 v101, v101, v102
	v_add_f32_e32 v111, v105, v118
	v_add_f32_e32 v107, v101, v104
	ds_read_b128 v[101:104], v100 offset:640
	v_add_f32_e32 v111, v111, v147
	v_add_f32_e32 v110, v107, v119
	;; [unrolled: 1-line block ×4, first 2 shown]
	s_waitcnt vmcnt(30)
	v_mul_f32_e32 v124, v3, v114
	v_mul_f32_e32 v2, v4, v114
	s_waitcnt vmcnt(29) lgkmcnt(1)
	v_mul_f32_e32 v106, v6, v115
	v_fmac_f32_e32 v124, v4, v126
	v_fma_f32 v113, v3, v126, -v2
	ds_read_b128 v[1:4], v100 offset:624
	v_mul_f32_e32 v126, v5, v115
	v_fmac_f32_e32 v126, v6, v120
	v_fma_f32 v120, v5, v120, -v106
	s_waitcnt vmcnt(28)
	v_mul_f32_e32 v115, v7, v121
	v_mul_f32_e32 v108, v8, v121
	s_waitcnt vmcnt(23)
	v_fmac_f32_e32 v115, v8, v143
	v_fma_f32 v119, v7, v143, -v108
	ds_read_b128 v[5:8], v100 offset:656
	ds_read_b128 v[105:108], v100 offset:672
	s_waitcnt lgkmcnt(2)
	v_mul_f32_e32 v112, v2, v122
	v_mul_f32_e32 v118, v1, v122
	v_fma_f32 v122, v1, v142, -v112
	v_add_f32_e32 v1, v111, v146
	s_waitcnt vmcnt(22)
	v_mul_f32_e32 v121, v3, v123
	v_mul_f32_e32 v114, v4, v123
	v_add_f32_e32 v123, v110, v109
	v_fmac_f32_e32 v118, v2, v142
	v_add_f32_e32 v127, v1, v137
	v_fmac_f32_e32 v121, v4, v141
	v_fma_f32 v125, v3, v141, -v114
	v_add_f32_e32 v123, v123, v113
	s_waitcnt vmcnt(21)
	v_mul_f32_e32 v137, v101, v133
	v_add_f32_e32 v124, v127, v124
	s_waitcnt vmcnt(20)
	v_mul_f32_e32 v127, v103, v129
	v_mul_f32_e32 v129, v104, v129
	v_add_f32_e32 v120, v123, v120
	v_mul_f32_e32 v123, v102, v133
	v_add_f32_e32 v124, v124, v126
	v_fmac_f32_e32 v137, v102, v140
	ds_read_b128 v[109:112], v100 offset:688
	ds_read_b128 v[1:4], v100 offset:704
	v_add_f32_e32 v119, v120, v119
	v_add_f32_e32 v115, v124, v115
	v_fma_f32 v101, v101, v140, -v123
	s_waitcnt vmcnt(19) lgkmcnt(3)
	v_mul_f32_e32 v126, v5, v130
	s_waitcnt vmcnt(18)
	v_mul_f32_e32 v120, v7, v134
	v_add_f32_e32 v119, v119, v122
	v_add_f32_e32 v115, v115, v118
	s_waitcnt vmcnt(17) lgkmcnt(2)
	v_mul_f32_e32 v133, v105, v135
	s_waitcnt vmcnt(9)
	v_fmac_f32_e32 v126, v6, v153
	s_waitcnt vmcnt(8)
	v_fma_f32 v103, v103, v154, -v129
	v_add_f32_e32 v119, v119, v125
	v_add_f32_e32 v115, v115, v121
	v_mul_f32_e32 v125, v6, v130
	v_fmac_f32_e32 v127, v104, v154
	v_fmac_f32_e32 v120, v8, v152
	v_add_f32_e32 v101, v119, v101
	v_add_f32_e32 v104, v115, v137
	v_mul_f32_e32 v115, v8, v134
	v_fma_f32 v5, v5, v153, -v125
	v_mul_f32_e32 v8, v108, v128
	v_add_f32_e32 v6, v101, v103
	v_add_f32_e32 v101, v104, v127
	v_mul_f32_e32 v103, v106, v135
	v_fma_f32 v7, v7, v152, -v115
	v_mul_f32_e32 v124, v107, v128
	v_add_f32_e32 v5, v6, v5
	v_add_f32_e32 v6, v101, v126
	v_fma_f32 v101, v105, v116, -v103
	v_fmac_f32_e32 v133, v106, v116
	ds_read_b64 v[113:114], v100 offset:720
	v_add_f32_e32 v5, v5, v7
	v_add_f32_e32 v6, v6, v120
	s_waitcnt lgkmcnt(2)
	v_mul_f32_e32 v7, v110, v148
	s_waitcnt vmcnt(3)
	v_fma_f32 v8, v107, v139, -v8
	v_mul_f32_e32 v122, v109, v148
	v_add_f32_e32 v5, v5, v101
	v_fmac_f32_e32 v124, v108, v139
	v_add_f32_e32 v6, v6, v133
	v_mul_f32_e32 v101, v112, v149
	v_fma_f32 v7, v109, v138, -v7
	v_add_f32_e32 v5, v5, v8
	v_mul_f32_e32 v102, v111, v149
	v_fmac_f32_e32 v122, v110, v138
	v_add_f32_e32 v6, v6, v124
	s_waitcnt lgkmcnt(1)
	v_mul_f32_e32 v118, v1, v150
	v_mul_f32_e32 v8, v2, v150
	v_fma_f32 v101, v111, v132, -v101
	v_add_f32_e32 v5, v5, v7
	v_fmac_f32_e32 v102, v112, v132
	v_add_f32_e32 v6, v6, v122
	v_mul_f32_e32 v7, v4, v136
	v_fmac_f32_e32 v118, v2, v131
	v_fma_f32 v1, v1, v131, -v8
	v_add_f32_e32 v2, v5, v101
	v_mul_f32_e32 v123, v3, v136
	v_add_f32_e32 v5, v6, v102
	s_waitcnt lgkmcnt(0)
	v_mul_f32_e32 v6, v114, v155
	s_waitcnt vmcnt(1)
	v_fma_f32 v3, v3, v156, -v7
	v_add_f32_e32 v1, v2, v1
	v_mul_f32_e32 v121, v113, v155
	v_fmac_f32_e32 v123, v4, v156
	v_add_f32_e32 v2, v5, v118
	v_fma_f32 v4, v113, v151, -v6
	v_add_f32_e32 v1, v1, v3
	v_fmac_f32_e32 v121, v114, v151
	v_add_f32_e32 v2, v2, v123
	v_add_f32_e32 v1, v1, v4
	;; [unrolled: 1-line block ×3, first 2 shown]
	s_waitcnt vmcnt(0)
	v_sub_f32_e32 v1, v117, v1
	v_sub_f32_e32 v2, v145, v2
	buffer_store_dword v1, off, s[0:3], 0 offset:88
	buffer_store_dword v2, off, s[0:3], 0 offset:92
	v_cmpx_lt_u32_e32 10, v0
	s_cbranch_execz .LBB108_263
; %bb.262:
	s_clause 0x1
	buffer_load_dword v1, off, s[0:3], 0 offset:80
	buffer_load_dword v2, off, s[0:3], 0 offset:84
	buffer_store_dword v100, off, s[0:3], 0 offset:80
	buffer_store_dword v100, off, s[0:3], 0 offset:84
	s_waitcnt vmcnt(0)
	ds_write_b64 v99, v[1:2]
.LBB108_263:
	s_or_b32 exec_lo, exec_lo, s4
	s_waitcnt lgkmcnt(0)
	s_waitcnt_vscnt null, 0x0
	s_barrier
	buffer_gl0_inv
	s_clause 0x23
	buffer_load_dword v135, off, s[0:3], 0 offset:92
	buffer_load_dword v136, off, s[0:3], 0 offset:100
	buffer_load_dword v101, off, s[0:3], 0 offset:104
	buffer_load_dword v106, off, s[0:3], 0 offset:96
	buffer_load_dword v107, off, s[0:3], 0 offset:88
	buffer_load_dword v104, off, s[0:3], 0 offset:108
	buffer_load_dword v103, off, s[0:3], 0 offset:116
	buffer_load_dword v102, off, s[0:3], 0 offset:124
	buffer_load_dword v105, off, s[0:3], 0 offset:132
	buffer_load_dword v108, off, s[0:3], 0 offset:136
	buffer_load_dword v111, off, s[0:3], 0 offset:128
	buffer_load_dword v112, off, s[0:3], 0 offset:120
	buffer_load_dword v113, off, s[0:3], 0 offset:112
	buffer_load_dword v109, off, s[0:3], 0 offset:140
	buffer_load_dword v110, off, s[0:3], 0 offset:148
	buffer_load_dword v114, off, s[0:3], 0 offset:156
	buffer_load_dword v115, off, s[0:3], 0 offset:168
	buffer_load_dword v116, off, s[0:3], 0 offset:160
	buffer_load_dword v119, off, s[0:3], 0 offset:152
	buffer_load_dword v124, off, s[0:3], 0 offset:144
	buffer_load_dword v120, off, s[0:3], 0 offset:164
	buffer_load_dword v117, off, s[0:3], 0 offset:172
	buffer_load_dword v118, off, s[0:3], 0 offset:180
	buffer_load_dword v122, off, s[0:3], 0 offset:200
	buffer_load_dword v127, off, s[0:3], 0 offset:192
	buffer_load_dword v128, off, s[0:3], 0 offset:184
	buffer_load_dword v133, off, s[0:3], 0 offset:176
	buffer_load_dword v130, off, s[0:3], 0 offset:188
	buffer_load_dword v131, off, s[0:3], 0 offset:196
	buffer_load_dword v125, off, s[0:3], 0 offset:204
	buffer_load_dword v123, off, s[0:3], 0 offset:212
	buffer_load_dword v121, off, s[0:3], 0 offset:232
	buffer_load_dword v126, off, s[0:3], 0 offset:224
	buffer_load_dword v129, off, s[0:3], 0 offset:216
	buffer_load_dword v134, off, s[0:3], 0 offset:208
	buffer_load_dword v132, off, s[0:3], 0 offset:220
	ds_read2_b64 v[5:8], v100 offset0:57 offset1:58
	ds_read2_b64 v[1:4], v100 offset0:59 offset1:60
	;; [unrolled: 1-line block ×3, first 2 shown]
	s_clause 0x1
	buffer_load_dword v145, off, s[0:3], 0 offset:228
	buffer_load_dword v146, off, s[0:3], 0 offset:236
	ds_read2_b64 v[141:144], v100 offset0:63 offset1:64
	buffer_load_dword v149, off, s[0:3], 0 offset:84
	s_mov_b32 s4, exec_lo
	s_waitcnt vmcnt(38) lgkmcnt(3)
	v_mul_f32_e32 v147, v5, v135
	s_waitcnt vmcnt(37)
	v_mul_f32_e32 v148, v7, v136
	v_mul_f32_e32 v135, v6, v135
	;; [unrolled: 1-line block ×3, first 2 shown]
	s_waitcnt vmcnt(34)
	v_fmac_f32_e32 v147, v6, v107
	v_fmac_f32_e32 v148, v8, v106
	v_fma_f32 v107, v5, v107, -v135
	v_fma_f32 v106, v7, v106, -v136
	ds_read2_b64 v[5:8], v100 offset0:65 offset1:66
	s_waitcnt vmcnt(33) lgkmcnt(3)
	v_mul_f32_e32 v135, v1, v104
	v_mul_f32_e32 v104, v2, v104
	s_waitcnt vmcnt(32)
	v_mul_f32_e32 v136, v3, v103
	v_mul_f32_e32 v103, v4, v103
	s_waitcnt vmcnt(31) lgkmcnt(2)
	v_mul_f32_e32 v150, v137, v102
	v_fmac_f32_e32 v135, v2, v101
	v_fma_f32 v151, v1, v101, -v104
	s_waitcnt vmcnt(30)
	v_mul_f32_e32 v152, v139, v105
	v_mul_f32_e32 v101, v138, v102
	v_mul_f32_e32 v102, v140, v105
	s_waitcnt vmcnt(26)
	v_fmac_f32_e32 v136, v4, v113
	v_fma_f32 v105, v3, v113, -v103
	ds_read2_b64 v[1:4], v100 offset0:67 offset1:68
	v_fmac_f32_e32 v150, v138, v112
	v_fma_f32 v112, v137, v112, -v101
	s_waitcnt vmcnt(25) lgkmcnt(2)
	v_mul_f32_e32 v113, v141, v109
	s_waitcnt vmcnt(24)
	v_mul_f32_e32 v137, v143, v110
	v_mul_f32_e32 v109, v142, v109
	v_mul_f32_e32 v110, v144, v110
	v_fmac_f32_e32 v152, v140, v111
	v_fma_f32 v111, v139, v111, -v102
	ds_read2_b64 v[101:104], v100 offset0:69 offset1:70
	v_fmac_f32_e32 v113, v142, v108
	s_waitcnt vmcnt(19)
	v_fmac_f32_e32 v137, v144, v124
	v_fma_f32 v108, v141, v108, -v109
	v_fma_f32 v109, v143, v124, -v110
	s_clause 0x4
	buffer_load_dword v110, off, s[0:3], 0 offset:244
	buffer_load_dword v124, off, s[0:3], 0 offset:264
	;; [unrolled: 1-line block ×5, first 2 shown]
	s_waitcnt lgkmcnt(2)
	v_mul_f32_e32 v138, v5, v114
	v_mul_f32_e32 v114, v6, v114
	s_waitcnt vmcnt(23)
	v_mul_f32_e32 v142, v7, v120
	v_mul_f32_e32 v120, v8, v120
	v_fmac_f32_e32 v138, v6, v119
	v_fma_f32 v5, v5, v119, -v114
	s_waitcnt vmcnt(22) lgkmcnt(1)
	v_mul_f32_e32 v114, v1, v117
	v_fmac_f32_e32 v142, v8, v116
	v_fma_f32 v116, v7, v116, -v120
	s_waitcnt vmcnt(21)
	v_mul_f32_e32 v119, v3, v118
	v_mul_f32_e32 v6, v2, v117
	;; [unrolled: 1-line block ×3, first 2 shown]
	s_clause 0x2
	buffer_load_dword v117, off, s[0:3], 0 offset:252
	buffer_load_dword v118, off, s[0:3], 0 offset:260
	;; [unrolled: 1-line block ×3, first 2 shown]
	v_fmac_f32_e32 v114, v2, v115
	s_waitcnt vmcnt(20)
	v_fmac_f32_e32 v119, v4, v133
	v_fma_f32 v115, v1, v115, -v6
	v_fma_f32 v133, v3, v133, -v7
	ds_read2_b64 v[1:4], v100 offset0:71 offset1:72
	v_add_f32_e32 v6, 0, v147
	v_add_f32_e32 v7, 0, v107
	s_waitcnt vmcnt(19) lgkmcnt(1)
	v_mul_f32_e32 v143, v101, v130
	s_waitcnt vmcnt(18)
	v_mul_f32_e32 v144, v103, v131
	v_mul_f32_e32 v8, v102, v130
	v_add_f32_e32 v6, v6, v148
	v_mul_f32_e32 v107, v104, v131
	v_add_f32_e32 v7, v7, v106
	v_fmac_f32_e32 v143, v102, v128
	v_fmac_f32_e32 v144, v104, v127
	v_add_f32_e32 v6, v6, v135
	v_fma_f32 v101, v101, v128, -v8
	v_fma_f32 v106, v103, v127, -v107
	v_add_f32_e32 v7, v7, v151
	s_clause 0x7
	buffer_load_dword v127, off, s[0:3], 0 offset:276
	buffer_load_dword v128, off, s[0:3], 0 offset:284
	buffer_load_dword v130, off, s[0:3], 0 offset:292
	buffer_load_dword v131, off, s[0:3], 0 offset:300
	buffer_load_dword v135, off, s[0:3], 0 offset:296
	buffer_load_dword v147, off, s[0:3], 0 offset:288
	buffer_load_dword v148, off, s[0:3], 0 offset:280
	buffer_load_dword v151, off, s[0:3], 0 offset:272
	v_add_f32_e32 v6, v6, v136
	v_add_f32_e32 v7, v7, v105
	s_waitcnt vmcnt(25) lgkmcnt(0)
	v_mul_f32_e32 v8, v2, v125
	v_mul_f32_e32 v107, v1, v125
	s_clause 0x3
	buffer_load_dword v125, off, s[0:3], 0 offset:308
	buffer_load_dword v136, off, s[0:3], 0 offset:316
	buffer_load_dword v153, off, s[0:3], 0 offset:324
	buffer_load_dword v154, off, s[0:3], 0 offset:332
	v_fma_f32 v105, v1, v122, -v8
	v_add_f32_e32 v1, v6, v150
	v_fmac_f32_e32 v107, v2, v122
	v_add_f32_e32 v6, v7, v112
	s_waitcnt vmcnt(28)
	v_mul_f32_e32 v112, v3, v123
	v_mul_f32_e32 v2, v4, v123
	v_add_f32_e32 v7, v1, v152
	s_clause 0x2
	buffer_load_dword v122, off, s[0:3], 0 offset:340
	buffer_load_dword v150, off, s[0:3], 0 offset:348
	;; [unrolled: 1-line block ×3, first 2 shown]
	s_waitcnt vmcnt(27)
	v_fmac_f32_e32 v112, v4, v134
	v_fma_f32 v134, v3, v134, -v2
	ds_read2_b64 v[1:4], v100 offset0:73 offset1:74
	v_add_f32_e32 v7, v7, v113
	v_add_f32_e32 v6, v6, v111
	;; [unrolled: 1-line block ×3, first 2 shown]
	s_clause 0x3
	buffer_load_dword v137, off, s[0:3], 0 offset:328
	buffer_load_dword v152, off, s[0:3], 0 offset:320
	;; [unrolled: 1-line block ×4, first 2 shown]
	v_add_f32_e32 v6, v6, v108
	v_add_f32_e32 v102, v7, v138
	;; [unrolled: 1-line block ×5, first 2 shown]
	ds_read2_b64 v[5:8], v100 offset0:75 offset1:76
	s_waitcnt vmcnt(30) lgkmcnt(1)
	v_mul_f32_e32 v109, v1, v132
	v_mul_f32_e32 v104, v2, v132
	s_waitcnt vmcnt(29)
	v_mul_f32_e32 v113, v3, v145
	v_fmac_f32_e32 v109, v2, v129
	v_fma_f32 v111, v1, v129, -v104
	s_clause 0x3
	buffer_load_dword v129, off, s[0:3], 0 offset:352
	buffer_load_dword v132, off, s[0:3], 0 offset:344
	;; [unrolled: 1-line block ×4, first 2 shown]
	v_add_f32_e32 v1, v103, v116
	v_add_f32_e32 v2, v102, v114
	v_mul_f32_e32 v102, v4, v145
	v_fmac_f32_e32 v113, v4, v126
	v_add_f32_e32 v1, v1, v115
	v_add_f32_e32 v2, v2, v119
	v_fma_f32 v114, v3, v126, -v102
	v_add_f32_e32 v103, v1, v133
	v_add_f32_e32 v108, v2, v143
	ds_read2_b64 v[1:4], v100 offset0:77 offset1:78
	s_waitcnt vmcnt(32) lgkmcnt(1)
	v_mul_f32_e32 v116, v5, v146
	v_mul_f32_e32 v119, v6, v146
	v_add_f32_e32 v115, v103, v101
	ds_read2_b64 v[101:104], v100 offset0:79 offset1:80
	v_add_f32_e32 v108, v108, v144
	v_fmac_f32_e32 v116, v6, v121
	v_fma_f32 v119, v5, v121, -v119
	v_add_f32_e32 v106, v115, v106
	v_add_f32_e32 v115, v108, v107
	;; [unrolled: 1-line block ×5, first 2 shown]
	s_waitcnt vmcnt(30)
	v_mul_f32_e32 v126, v7, v110
	v_mul_f32_e32 v110, v8, v110
	s_waitcnt vmcnt(26)
	v_fmac_f32_e32 v126, v8, v141
	v_fma_f32 v121, v7, v141, -v110
	v_add_f32_e32 v110, v106, v105
	ds_read2_b64 v[5:8], v100 offset0:81 offset1:82
	ds_read2_b64 v[105:108], v100 offset0:83 offset1:84
	v_add_f32_e32 v110, v110, v134
	s_waitcnt vmcnt(25) lgkmcnt(3)
	v_mul_f32_e32 v133, v1, v117
	v_mul_f32_e32 v115, v2, v117
	s_waitcnt vmcnt(24)
	v_mul_f32_e32 v134, v3, v118
	v_mul_f32_e32 v117, v4, v118
	s_waitcnt vmcnt(23) lgkmcnt(2)
	v_mul_f32_e32 v118, v101, v120
	v_fmac_f32_e32 v133, v2, v140
	v_fma_f32 v140, v1, v140, -v115
	v_add_f32_e32 v115, v110, v111
	v_fmac_f32_e32 v134, v4, v139
	v_fma_f32 v117, v3, v139, -v117
	v_mul_f32_e32 v120, v102, v120
	ds_read2_b64 v[1:4], v100 offset0:85 offset1:86
	ds_read2_b64 v[109:112], v100 offset0:87 offset1:88
	v_add_f32_e32 v139, v115, v114
	v_fmac_f32_e32 v118, v102, v124
	v_add_f32_e32 v102, v113, v116
	ds_read2_b64 v[113:116], v100 offset0:89 offset1:90
	v_fma_f32 v101, v101, v124, -v120
	v_add_f32_e32 v100, v139, v119
	s_waitcnt vmcnt(22)
	v_mul_f32_e32 v120, v104, v127
	v_add_f32_e32 v102, v102, v126
	v_mul_f32_e32 v119, v103, v127
	s_waitcnt vmcnt(21) lgkmcnt(4)
	v_mul_f32_e32 v124, v5, v128
	v_add_f32_e32 v100, v100, v121
	v_mul_f32_e32 v126, v6, v128
	v_add_f32_e32 v102, v102, v133
	s_waitcnt vmcnt(15)
	v_fma_f32 v103, v103, v151, -v120
	v_fmac_f32_e32 v119, v104, v151
	v_add_f32_e32 v100, v100, v140
	v_fmac_f32_e32 v124, v6, v148
	v_add_f32_e32 v102, v102, v134
	v_fma_f32 v5, v5, v148, -v126
	v_mul_f32_e32 v121, v7, v130
	v_add_f32_e32 v100, v100, v117
	v_mul_f32_e32 v117, v8, v130
	s_waitcnt lgkmcnt(3)
	v_mul_f32_e32 v104, v105, v131
	s_waitcnt vmcnt(14)
	v_mul_f32_e32 v120, v107, v125
	v_fmac_f32_e32 v121, v8, v147
	v_add_f32_e32 v100, v100, v101
	v_add_f32_e32 v101, v102, v118
	v_fma_f32 v7, v7, v147, -v117
	v_mul_f32_e32 v8, v108, v125
	v_fmac_f32_e32 v104, v106, v135
	v_add_f32_e32 v6, v100, v103
	v_add_f32_e32 v100, v101, v119
	v_mul_f32_e32 v101, v106, v131
	s_waitcnt vmcnt(13) lgkmcnt(2)
	v_mul_f32_e32 v127, v1, v136
	s_waitcnt vmcnt(12)
	v_mul_f32_e32 v128, v3, v153
	v_add_f32_e32 v5, v6, v5
	v_add_f32_e32 v6, v100, v124
	v_fma_f32 v100, v105, v135, -v101
	s_waitcnt vmcnt(4)
	v_fma_f32 v8, v107, v156, -v8
	v_fmac_f32_e32 v120, v108, v156
	v_add_f32_e32 v5, v5, v7
	v_add_f32_e32 v6, v6, v121
	v_mul_f32_e32 v7, v2, v136
	v_fmac_f32_e32 v127, v2, v155
	s_waitcnt lgkmcnt(1)
	v_mul_f32_e32 v133, v109, v154
	v_add_f32_e32 v5, v5, v100
	v_add_f32_e32 v6, v6, v104
	v_mul_f32_e32 v100, v4, v153
	v_fma_f32 v1, v1, v155, -v7
	v_fmac_f32_e32 v128, v4, v152
	v_add_f32_e32 v2, v5, v8
	v_add_f32_e32 v5, v6, v120
	v_mul_f32_e32 v6, v110, v154
	v_fma_f32 v3, v3, v152, -v100
	v_mul_f32_e32 v4, v112, v122
	v_add_f32_e32 v1, v2, v1
	v_add_f32_e32 v2, v5, v127
	v_fma_f32 v5, v109, v137, -v6
	v_mul_f32_e32 v130, v111, v122
	v_fmac_f32_e32 v133, v110, v137
	v_add_f32_e32 v1, v1, v3
	v_add_f32_e32 v2, v2, v128
	s_waitcnt lgkmcnt(0)
	v_mul_f32_e32 v3, v114, v150
	s_waitcnt vmcnt(1)
	v_fma_f32 v4, v111, v138, -v4
	v_mul_f32_e32 v134, v113, v150
	v_add_f32_e32 v1, v1, v5
	v_fmac_f32_e32 v130, v112, v138
	v_add_f32_e32 v2, v2, v133
	v_mul_f32_e32 v5, v116, v123
	v_fma_f32 v3, v113, v132, -v3
	v_add_f32_e32 v1, v1, v4
	v_mul_f32_e32 v102, v115, v123
	v_fmac_f32_e32 v134, v114, v132
	v_add_f32_e32 v2, v2, v130
	v_fma_f32 v4, v115, v129, -v5
	v_add_f32_e32 v1, v1, v3
	v_fmac_f32_e32 v102, v116, v129
	v_add_f32_e32 v2, v2, v134
	v_add_f32_e32 v1, v1, v4
	;; [unrolled: 1-line block ×3, first 2 shown]
	s_waitcnt vmcnt(0)
	v_sub_f32_e32 v1, v142, v1
	v_sub_f32_e32 v2, v149, v2
	buffer_store_dword v1, off, s[0:3], 0 offset:80
	buffer_store_dword v2, off, s[0:3], 0 offset:84
	v_cmpx_lt_u32_e32 9, v0
	s_cbranch_execz .LBB108_265
; %bb.264:
	s_clause 0x1
	buffer_load_dword v1, off, s[0:3], 0 offset:72
	buffer_load_dword v2, off, s[0:3], 0 offset:76
	v_mov_b32_e32 v3, 0
	buffer_store_dword v3, off, s[0:3], 0 offset:72
	buffer_store_dword v3, off, s[0:3], 0 offset:76
	s_waitcnt vmcnt(0)
	ds_write_b64 v99, v[1:2]
.LBB108_265:
	s_or_b32 exec_lo, exec_lo, s4
	s_waitcnt lgkmcnt(0)
	s_waitcnt_vscnt null, 0x0
	s_barrier
	buffer_gl0_inv
	s_clause 0x2a
	buffer_load_dword v7, off, s[0:3], 0 offset:84
	buffer_load_dword v8, off, s[0:3], 0 offset:92
	;; [unrolled: 1-line block ×43, first 2 shown]
	v_mov_b32_e32 v1, 0
	ds_read_b128 v[132:135], v1 offset:448
	ds_read_b128 v[136:139], v1 offset:464
	;; [unrolled: 1-line block ×3, first 2 shown]
	buffer_load_dword v150, off, s[0:3], 0 offset:76
	s_mov_b32 s4, exec_lo
	s_waitcnt vmcnt(43) lgkmcnt(2)
	v_mul_f32_e32 v148, v132, v7
	s_waitcnt vmcnt(42)
	v_mul_f32_e32 v149, v134, v8
	v_mul_f32_e32 v7, v133, v7
	;; [unrolled: 1-line block ×3, first 2 shown]
	s_waitcnt vmcnt(39)
	v_fmac_f32_e32 v148, v133, v6
	v_fmac_f32_e32 v149, v135, v5
	v_fma_f32 v151, v132, v6, -v7
	v_fma_f32 v152, v134, v5, -v8
	ds_read_b128 v[5:8], v1 offset:496
	ds_read_b128 v[132:135], v1 offset:512
	s_waitcnt vmcnt(38) lgkmcnt(3)
	v_mul_f32_e32 v153, v136, v3
	v_mul_f32_e32 v3, v137, v3
	s_waitcnt vmcnt(37)
	v_mul_f32_e32 v154, v138, v4
	v_mul_f32_e32 v4, v139, v4
	s_waitcnt vmcnt(32) lgkmcnt(2)
	v_mul_f32_e32 v156, v140, v107
	v_fmac_f32_e32 v153, v137, v2
	v_fma_f32 v155, v136, v2, -v3
	v_mul_f32_e32 v2, v141, v107
	s_waitcnt vmcnt(31)
	v_mul_f32_e32 v157, v142, v106
	v_mul_f32_e32 v3, v143, v106
	v_fmac_f32_e32 v154, v139, v108
	v_fma_f32 v108, v138, v108, -v4
	v_fmac_f32_e32 v156, v141, v103
	v_fma_f32 v140, v140, v103, -v2
	;; [unrolled: 2-line block ×3, first 2 shown]
	ds_read_b128 v[136:139], v1 offset:528
	s_waitcnt vmcnt(30) lgkmcnt(2)
	v_mul_f32_e32 v141, v5, v104
	v_mul_f32_e32 v2, v6, v104
	s_waitcnt vmcnt(29)
	v_mul_f32_e32 v143, v7, v102
	v_mul_f32_e32 v3, v8, v102
	s_waitcnt vmcnt(28) lgkmcnt(1)
	v_mul_f32_e32 v158, v132, v105
	v_fmac_f32_e32 v141, v6, v100
	v_fma_f32 v6, v5, v100, -v2
	s_waitcnt vmcnt(24)
	v_fmac_f32_e32 v143, v8, v115
	v_fma_f32 v7, v7, v115, -v3
	s_waitcnt vmcnt(23)
	v_mul_f32_e32 v8, v134, v114
	v_mul_f32_e32 v100, v133, v105
	;; [unrolled: 1-line block ×3, first 2 shown]
	ds_read_b128 v[2:5], v1 offset:544
	v_fmac_f32_e32 v158, v133, v113
	v_fmac_f32_e32 v8, v135, v110
	v_fma_f32 v113, v132, v113, -v100
	v_fma_f32 v110, v134, v110, -v101
	ds_read_b128 v[100:103], v1 offset:560
	s_waitcnt vmcnt(22) lgkmcnt(2)
	v_mul_f32_e32 v114, v136, v112
	v_mul_f32_e32 v104, v137, v112
	s_waitcnt vmcnt(21)
	v_mul_f32_e32 v112, v138, v111
	v_mul_f32_e32 v105, v139, v111
	buffer_load_dword v111, off, s[0:3], 0 offset:244
	v_fmac_f32_e32 v114, v137, v109
	v_fma_f32 v109, v136, v109, -v104
	s_waitcnt vmcnt(18)
	v_fmac_f32_e32 v112, v139, v123
	v_fma_f32 v115, v138, v123, -v105
	s_waitcnt vmcnt(17) lgkmcnt(1)
	v_mul_f32_e32 v123, v2, v121
	s_waitcnt vmcnt(16)
	v_mul_f32_e32 v132, v4, v122
	v_mul_f32_e32 v104, v3, v121
	;; [unrolled: 1-line block ×3, first 2 shown]
	v_fmac_f32_e32 v123, v3, v118
	v_fmac_f32_e32 v132, v5, v117
	v_fma_f32 v118, v2, v118, -v104
	v_fma_f32 v117, v4, v117, -v105
	ds_read_b128 v[2:5], v1 offset:576
	s_waitcnt vmcnt(15) lgkmcnt(1)
	v_mul_f32_e32 v121, v100, v120
	v_mul_f32_e32 v106, v101, v120
	s_waitcnt vmcnt(14)
	v_mul_f32_e32 v120, v102, v119
	v_mul_f32_e32 v119, v103, v119
	v_fmac_f32_e32 v121, v101, v116
	v_fma_f32 v116, v100, v116, -v106
	ds_read_b128 v[104:107], v1 offset:592
	s_waitcnt vmcnt(10)
	v_fmac_f32_e32 v120, v103, v131
	v_fma_f32 v119, v102, v131, -v119
	s_clause 0x1
	buffer_load_dword v122, off, s[0:3], 0 offset:252
	buffer_load_dword v131, off, s[0:3], 0 offset:260
	s_waitcnt vmcnt(11) lgkmcnt(1)
	v_mul_f32_e32 v133, v2, v130
	v_mul_f32_e32 v100, v3, v130
	s_waitcnt vmcnt(10)
	v_mul_f32_e32 v134, v4, v129
	v_mul_f32_e32 v101, v5, v129
	buffer_load_dword v130, off, s[0:3], 0 offset:268
	v_fmac_f32_e32 v133, v3, v127
	v_fma_f32 v127, v2, v127, -v100
	v_fmac_f32_e32 v134, v5, v125
	s_waitcnt vmcnt(10) lgkmcnt(0)
	v_mul_f32_e32 v129, v104, v128
	v_mul_f32_e32 v2, v105, v128
	s_waitcnt vmcnt(9)
	v_mul_f32_e32 v3, v107, v126
	s_clause 0x3
	buffer_load_dword v128, off, s[0:3], 0 offset:288
	buffer_load_dword v135, off, s[0:3], 0 offset:280
	;; [unrolled: 1-line block ×4, first 2 shown]
	v_mul_f32_e32 v138, v106, v126
	v_fmac_f32_e32 v129, v105, v124
	v_fma_f32 v124, v104, v124, -v2
	v_add_f32_e32 v2, 0, v148
	s_clause 0x1
	buffer_load_dword v126, off, s[0:3], 0 offset:276
	buffer_load_dword v148, off, s[0:3], 0 offset:292
	s_waitcnt vmcnt(11)
	v_fma_f32 v139, v106, v147, -v3
	v_add_f32_e32 v3, 0, v151
	v_add_f32_e32 v2, v2, v149
	v_fmac_f32_e32 v138, v107, v147
	s_clause 0x4
	buffer_load_dword v147, off, s[0:3], 0 offset:284
	buffer_load_dword v149, off, s[0:3], 0 offset:300
	;; [unrolled: 1-line block ×5, first 2 shown]
	v_add_f32_e32 v3, v3, v152
	v_add_f32_e32 v2, v2, v153
	s_clause 0x1
	buffer_load_dword v152, off, s[0:3], 0 offset:332
	buffer_load_dword v153, off, s[0:3], 0 offset:340
	v_fma_f32 v125, v4, v125, -v101
	v_add_f32_e32 v3, v3, v155
	v_add_f32_e32 v2, v2, v154
	s_clause 0x1
	buffer_load_dword v154, off, s[0:3], 0 offset:348
	buffer_load_dword v155, off, s[0:3], 0 offset:356
	v_add_f32_e32 v3, v3, v108
	v_add_f32_e32 v2, v2, v156
	;; [unrolled: 1-line block ×4, first 2 shown]
	s_clause 0x3
	buffer_load_dword v140, off, s[0:3], 0 offset:320
	buffer_load_dword v156, off, s[0:3], 0 offset:312
	buffer_load_dword v157, off, s[0:3], 0 offset:304
	buffer_load_dword v161, off, s[0:3], 0 offset:296
	v_add_f32_e32 v3, v3, v142
	v_add_f32_e32 v2, v2, v141
	;; [unrolled: 1-line block ×4, first 2 shown]
	s_clause 0x4
	buffer_load_dword v141, off, s[0:3], 0 offset:352
	buffer_load_dword v142, off, s[0:3], 0 offset:344
	;; [unrolled: 1-line block ×5, first 2 shown]
	ds_read_b128 v[100:103], v1 offset:624
	v_add_f32_e32 v3, v3, v7
	v_add_f32_e32 v2, v2, v158
	;; [unrolled: 1-line block ×5, first 2 shown]
	ds_read_b128 v[2:5], v1 offset:608
	v_add_f32_e32 v6, v6, v114
	v_add_f32_e32 v7, v7, v109
	;; [unrolled: 1-line block ×14, first 2 shown]
	s_waitcnt vmcnt(27) lgkmcnt(0)
	v_mul_f32_e32 v8, v2, v111
	v_mul_f32_e32 v104, v3, v111
	v_fmac_f32_e32 v8, v3, v146
	v_add_f32_e32 v3, v7, v116
	v_fma_f32 v116, v2, v146, -v104
	v_add_f32_e32 v8, v123, v8
	v_add_f32_e32 v7, v3, v119
	v_add_f32_e32 v7, v7, v127
	v_add_f32_e32 v7, v7, v125
	v_add_f32_e32 v7, v7, v124
	s_waitcnt vmcnt(26)
	v_mul_f32_e32 v117, v4, v122
	v_mul_f32_e32 v105, v5, v122
	v_add_f32_e32 v124, v7, v139
	s_waitcnt vmcnt(25)
	v_mul_f32_e32 v112, v101, v131
	v_mul_f32_e32 v119, v100, v131
	v_fmac_f32_e32 v117, v5, v145
	v_fma_f32 v118, v4, v145, -v105
	ds_read_b128 v[2:5], v1 offset:640
	ds_read_b128 v[104:107], v1 offset:656
	v_add_f32_e32 v116, v124, v116
	v_fma_f32 v122, v100, v144, -v112
	v_fmac_f32_e32 v119, v101, v144
	v_add_f32_e32 v8, v8, v117
	ds_read_b128 v[108:111], v1 offset:672
	ds_read_b128 v[112:115], v1 offset:688
	s_waitcnt vmcnt(24)
	v_mul_f32_e32 v121, v103, v130
	v_add_f32_e32 v116, v116, v118
	v_mul_f32_e32 v120, v102, v130
	v_add_f32_e32 v8, v8, v119
	v_add_f32_e32 v116, v116, v122
	s_waitcnt vmcnt(20)
	v_fma_f32 v121, v102, v137, -v121
	v_fmac_f32_e32 v120, v103, v137
	ds_read_b128 v[100:103], v1 offset:704
	ds_read_b64 v[6:7], v1 offset:720
	s_waitcnt vmcnt(19) lgkmcnt(5)
	v_mul_f32_e32 v124, v3, v126
	v_mul_f32_e32 v125, v2, v126
	v_add_f32_e32 v116, v116, v121
	v_add_f32_e32 v8, v8, v120
	s_waitcnt vmcnt(18) lgkmcnt(4)
	v_mul_f32_e32 v123, v104, v148
	v_fma_f32 v2, v2, v136, -v124
	s_waitcnt vmcnt(17)
	v_mul_f32_e32 v126, v5, v147
	v_mul_f32_e32 v127, v4, v147
	v_fmac_f32_e32 v125, v3, v136
	v_mul_f32_e32 v124, v105, v148
	v_add_f32_e32 v2, v116, v2
	v_fma_f32 v4, v4, v135, -v126
	v_fmac_f32_e32 v127, v5, v135
	v_add_f32_e32 v5, v8, v125
	s_waitcnt vmcnt(16)
	v_mul_f32_e32 v8, v107, v149
	v_fma_f32 v104, v104, v128, -v124
	v_add_f32_e32 v2, v2, v4
	v_mul_f32_e32 v118, v106, v149
	v_fmac_f32_e32 v123, v105, v128
	v_add_f32_e32 v4, v5, v127
	s_waitcnt vmcnt(15) lgkmcnt(3)
	v_mul_f32_e32 v5, v109, v151
	v_add_f32_e32 v2, v2, v104
	v_mul_f32_e32 v129, v108, v151
	s_waitcnt vmcnt(14)
	v_mul_f32_e32 v104, v111, v159
	v_add_f32_e32 v4, v4, v123
	s_waitcnt vmcnt(5)
	v_fma_f32 v8, v106, v161, -v8
	v_fmac_f32_e32 v118, v107, v161
	v_fma_f32 v5, v108, v157, -v5
	v_mul_f32_e32 v117, v110, v159
	v_fmac_f32_e32 v129, v109, v157
	v_add_f32_e32 v2, v2, v8
	v_add_f32_e32 v4, v4, v118
	s_waitcnt lgkmcnt(2)
	v_mul_f32_e32 v8, v113, v160
	v_fma_f32 v104, v110, v156, -v104
	v_mul_f32_e32 v122, v112, v160
	v_add_f32_e32 v2, v2, v5
	v_fmac_f32_e32 v117, v111, v156
	v_add_f32_e32 v4, v4, v129
	v_mul_f32_e32 v5, v115, v152
	v_fma_f32 v8, v112, v140, -v8
	v_add_f32_e32 v2, v2, v104
	v_mul_f32_e32 v3, v114, v152
	v_fmac_f32_e32 v122, v113, v140
	v_add_f32_e32 v4, v4, v117
	s_waitcnt lgkmcnt(1)
	v_mul_f32_e32 v104, v101, v153
	s_waitcnt vmcnt(1)
	v_fma_f32 v5, v114, v162, -v5
	v_add_f32_e32 v2, v2, v8
	v_mul_f32_e32 v119, v100, v153
	v_fmac_f32_e32 v3, v115, v162
	v_add_f32_e32 v4, v4, v122
	v_mul_f32_e32 v8, v103, v154
	v_fma_f32 v100, v100, v143, -v104
	v_add_f32_e32 v2, v2, v5
	v_mul_f32_e32 v121, v102, v154
	v_fmac_f32_e32 v119, v101, v143
	v_add_f32_e32 v3, v4, v3
	s_waitcnt lgkmcnt(0)
	v_mul_f32_e32 v4, v7, v155
	v_fma_f32 v5, v102, v142, -v8
	v_add_f32_e32 v2, v2, v100
	v_mul_f32_e32 v120, v6, v155
	v_fmac_f32_e32 v121, v103, v142
	v_add_f32_e32 v3, v3, v119
	v_fma_f32 v4, v6, v141, -v4
	v_add_f32_e32 v2, v2, v5
	v_fmac_f32_e32 v120, v7, v141
	v_add_f32_e32 v3, v3, v121
	v_add_f32_e32 v2, v2, v4
	;; [unrolled: 1-line block ×3, first 2 shown]
	s_waitcnt vmcnt(0)
	v_sub_f32_e32 v2, v163, v2
	v_sub_f32_e32 v3, v150, v3
	buffer_store_dword v2, off, s[0:3], 0 offset:72
	buffer_store_dword v3, off, s[0:3], 0 offset:76
	v_cmpx_lt_u32_e32 8, v0
	s_cbranch_execz .LBB108_267
; %bb.266:
	s_clause 0x1
	buffer_load_dword v2, off, s[0:3], 0 offset:64
	buffer_load_dword v3, off, s[0:3], 0 offset:68
	buffer_store_dword v1, off, s[0:3], 0 offset:64
	buffer_store_dword v1, off, s[0:3], 0 offset:68
	s_waitcnt vmcnt(0)
	ds_write_b64 v99, v[2:3]
.LBB108_267:
	s_or_b32 exec_lo, exec_lo, s4
	s_waitcnt lgkmcnt(0)
	s_waitcnt_vscnt null, 0x0
	s_barrier
	buffer_gl0_inv
	s_clause 0x2a
	buffer_load_dword v7, off, s[0:3], 0 offset:76
	buffer_load_dword v8, off, s[0:3], 0 offset:84
	;; [unrolled: 1-line block ×43, first 2 shown]
	ds_read2_b64 v[132:135], v1 offset0:55 offset1:56
	ds_read2_b64 v[136:139], v1 offset0:57 offset1:58
	;; [unrolled: 1-line block ×3, first 2 shown]
	buffer_load_dword v150, off, s[0:3], 0 offset:68
	s_mov_b32 s4, exec_lo
	s_waitcnt vmcnt(43) lgkmcnt(2)
	v_mul_f32_e32 v148, v132, v7
	s_waitcnt vmcnt(42)
	v_mul_f32_e32 v149, v134, v8
	v_mul_f32_e32 v7, v133, v7
	;; [unrolled: 1-line block ×3, first 2 shown]
	s_waitcnt vmcnt(39)
	v_fmac_f32_e32 v148, v133, v6
	v_fmac_f32_e32 v149, v135, v5
	v_fma_f32 v151, v132, v6, -v7
	v_fma_f32 v152, v134, v5, -v8
	ds_read2_b64 v[5:8], v1 offset0:61 offset1:62
	ds_read2_b64 v[132:135], v1 offset0:63 offset1:64
	s_waitcnt vmcnt(38) lgkmcnt(3)
	v_mul_f32_e32 v153, v136, v3
	s_waitcnt vmcnt(37)
	v_mul_f32_e32 v154, v138, v4
	v_mul_f32_e32 v3, v137, v3
	;; [unrolled: 1-line block ×3, first 2 shown]
	v_fmac_f32_e32 v153, v137, v2
	s_waitcnt vmcnt(33)
	v_fmac_f32_e32 v154, v139, v107
	v_fma_f32 v136, v136, v2, -v3
	v_fma_f32 v137, v138, v107, -v4
	s_waitcnt vmcnt(32) lgkmcnt(2)
	v_mul_f32_e32 v138, v140, v105
	v_mul_f32_e32 v2, v141, v105
	s_waitcnt vmcnt(31)
	v_mul_f32_e32 v3, v143, v106
	v_mul_f32_e32 v139, v142, v106
	v_fmac_f32_e32 v138, v141, v104
	v_fma_f32 v140, v140, v104, -v2
	v_fma_f32 v141, v142, v101, -v3
	ds_read2_b64 v[104:107], v1 offset0:65 offset1:66
	s_waitcnt vmcnt(30) lgkmcnt(2)
	v_mul_f32_e32 v142, v5, v102
	v_mul_f32_e32 v2, v6, v102
	s_waitcnt vmcnt(29)
	v_mul_f32_e32 v3, v8, v103
	v_fmac_f32_e32 v139, v143, v101
	v_mul_f32_e32 v143, v7, v103
	v_fmac_f32_e32 v142, v6, v100
	v_fma_f32 v6, v5, v100, -v2
	s_waitcnt vmcnt(25)
	v_fma_f32 v7, v7, v115, -v3
	ds_read2_b64 v[2:5], v1 offset0:67 offset1:68
	v_fmac_f32_e32 v143, v8, v115
	s_waitcnt vmcnt(24) lgkmcnt(2)
	v_mul_f32_e32 v8, v132, v113
	s_waitcnt vmcnt(23)
	v_mul_f32_e32 v115, v134, v114
	v_mul_f32_e32 v100, v133, v113
	;; [unrolled: 1-line block ×3, first 2 shown]
	v_fmac_f32_e32 v8, v133, v112
	v_fmac_f32_e32 v115, v135, v109
	v_fma_f32 v112, v132, v112, -v100
	v_fma_f32 v109, v134, v109, -v101
	ds_read2_b64 v[100:103], v1 offset0:69 offset1:70
	s_waitcnt vmcnt(22) lgkmcnt(2)
	v_mul_f32_e32 v113, v104, v110
	s_waitcnt vmcnt(21)
	v_mul_f32_e32 v114, v106, v111
	v_mul_f32_e32 v110, v105, v110
	;; [unrolled: 1-line block ×3, first 2 shown]
	v_fmac_f32_e32 v113, v105, v108
	s_waitcnt vmcnt(17)
	v_fmac_f32_e32 v114, v107, v123
	v_fma_f32 v108, v104, v108, -v110
	v_fma_f32 v110, v106, v123, -v111
	s_waitcnt vmcnt(16) lgkmcnt(1)
	v_mul_f32_e32 v111, v2, v121
	s_waitcnt vmcnt(15)
	v_mul_f32_e32 v123, v4, v122
	v_mul_f32_e32 v121, v3, v121
	;; [unrolled: 1-line block ×3, first 2 shown]
	ds_read2_b64 v[104:107], v1 offset0:71 offset1:72
	v_fmac_f32_e32 v111, v3, v120
	v_fmac_f32_e32 v123, v5, v117
	v_fma_f32 v120, v2, v120, -v121
	v_fma_f32 v117, v4, v117, -v122
	s_clause 0x1
	buffer_load_dword v121, off, s[0:3], 0 offset:236
	buffer_load_dword v122, off, s[0:3], 0 offset:244
	s_waitcnt vmcnt(16) lgkmcnt(1)
	v_mul_f32_e32 v132, v100, v118
	v_mul_f32_e32 v2, v101, v118
	s_waitcnt vmcnt(15)
	v_mul_f32_e32 v3, v103, v119
	v_mul_f32_e32 v133, v102, v119
	buffer_load_dword v119, off, s[0:3], 0 offset:252
	v_fmac_f32_e32 v132, v101, v116
	v_fma_f32 v116, v100, v116, -v2
	s_waitcnt vmcnt(12)
	v_fma_f32 v118, v102, v131, -v3
	ds_read2_b64 v[2:5], v1 offset0:73 offset1:74
	v_fmac_f32_e32 v133, v103, v131
	s_waitcnt vmcnt(11) lgkmcnt(1)
	v_mul_f32_e32 v131, v104, v129
	s_waitcnt vmcnt(10)
	v_mul_f32_e32 v134, v106, v130
	v_mul_f32_e32 v100, v105, v129
	;; [unrolled: 1-line block ×3, first 2 shown]
	s_clause 0x5
	buffer_load_dword v129, off, s[0:3], 0 offset:260
	buffer_load_dword v130, off, s[0:3], 0 offset:280
	;; [unrolled: 1-line block ×6, first 2 shown]
	v_fmac_f32_e32 v131, v105, v128
	v_fma_f32 v128, v104, v128, -v100
	v_fmac_f32_e32 v134, v107, v127
	v_fma_f32 v127, v106, v127, -v101
	s_waitcnt vmcnt(15) lgkmcnt(0)
	v_mul_f32_e32 v157, v2, v126
	v_mul_f32_e32 v100, v3, v126
	s_waitcnt vmcnt(14)
	v_mul_f32_e32 v126, v4, v125
	v_fmac_f32_e32 v157, v3, v124
	v_add_f32_e32 v3, 0, v148
	v_fma_f32 v124, v2, v124, -v100
	v_add_f32_e32 v2, 0, v151
	v_mul_f32_e32 v100, v5, v125
	s_clause 0x1
	buffer_load_dword v125, off, s[0:3], 0 offset:276
	buffer_load_dword v148, off, s[0:3], 0 offset:284
	v_add_f32_e32 v3, v3, v149
	v_add_f32_e32 v2, v2, v152
	buffer_load_dword v149, off, s[0:3], 0 offset:292
	s_waitcnt vmcnt(13)
	v_fmac_f32_e32 v126, v5, v147
	v_fma_f32 v147, v4, v147, -v100
	v_add_f32_e32 v3, v3, v153
	v_add_f32_e32 v2, v2, v136
	s_clause 0x2
	buffer_load_dword v136, off, s[0:3], 0 offset:300
	buffer_load_dword v151, off, s[0:3], 0 offset:308
	;; [unrolled: 1-line block ×3, first 2 shown]
	v_add_f32_e32 v3, v3, v154
	v_add_f32_e32 v2, v2, v137
	s_clause 0x3
	buffer_load_dword v137, off, s[0:3], 0 offset:324
	buffer_load_dword v153, off, s[0:3], 0 offset:332
	;; [unrolled: 1-line block ×4, first 2 shown]
	v_add_f32_e32 v3, v3, v138
	v_add_f32_e32 v2, v2, v140
	buffer_load_dword v138, off, s[0:3], 0 offset:356
	v_add_f32_e32 v3, v3, v139
	v_add_f32_e32 v2, v2, v141
	s_clause 0x3
	buffer_load_dword v139, off, s[0:3], 0 offset:312
	buffer_load_dword v140, off, s[0:3], 0 offset:304
	;; [unrolled: 1-line block ×4, first 2 shown]
	v_add_f32_e32 v3, v3, v142
	v_add_f32_e32 v2, v2, v6
	;; [unrolled: 1-line block ×4, first 2 shown]
	s_clause 0x4
	buffer_load_dword v6, off, s[0:3], 0 offset:344
	buffer_load_dword v7, off, s[0:3], 0 offset:336
	;; [unrolled: 1-line block ×5, first 2 shown]
	v_add_f32_e32 v3, v3, v8
	buffer_load_dword v8, off, s[0:3], 0 offset:352
	v_add_f32_e32 v2, v2, v112
	v_add_f32_e32 v3, v3, v115
	;; [unrolled: 1-line block ×5, first 2 shown]
	ds_read2_b64 v[2:5], v1 offset0:75 offset1:76
	v_add_f32_e32 v100, v100, v114
	v_add_f32_e32 v101, v101, v110
	;; [unrolled: 1-line block ×4, first 2 shown]
	ds_read2_b64 v[100:103], v1 offset0:77 offset1:78
	v_add_f32_e32 v104, v104, v123
	v_add_f32_e32 v105, v105, v117
	;; [unrolled: 1-line block ×10, first 2 shown]
	s_waitcnt vmcnt(29) lgkmcnt(1)
	v_mul_f32_e32 v120, v2, v121
	v_mul_f32_e32 v106, v3, v121
	s_waitcnt vmcnt(28)
	v_mul_f32_e32 v121, v4, v122
	v_mul_f32_e32 v107, v5, v122
	v_fmac_f32_e32 v120, v3, v146
	v_fma_f32 v122, v2, v146, -v106
	v_fmac_f32_e32 v121, v5, v145
	v_fma_f32 v123, v4, v145, -v107
	ds_read2_b64 v[2:5], v1 offset0:79 offset1:80
	ds_read2_b64 v[104:107], v1 offset0:81 offset1:82
	s_waitcnt vmcnt(27) lgkmcnt(2)
	v_mul_f32_e32 v132, v100, v119
	v_mul_f32_e32 v110, v101, v119
	v_fmac_f32_e32 v132, v101, v144
	v_add_f32_e32 v101, v109, v134
	v_fma_f32 v128, v100, v144, -v110
	s_waitcnt vmcnt(26)
	v_mul_f32_e32 v133, v102, v129
	v_mul_f32_e32 v111, v103, v129
	v_add_f32_e32 v113, v101, v157
	s_waitcnt vmcnt(22)
	v_fmac_f32_e32 v133, v103, v156
	v_fma_f32 v127, v102, v156, -v111
	v_add_f32_e32 v118, v113, v126
	v_add_f32_e32 v126, v116, v147
	s_waitcnt vmcnt(21) lgkmcnt(1)
	v_mul_f32_e32 v124, v2, v158
	v_mul_f32_e32 v117, v3, v158
	ds_read2_b64 v[100:103], v1 offset0:83 offset1:84
	ds_read2_b64 v[108:111], v1 offset0:85 offset1:86
	;; [unrolled: 1-line block ×3, first 2 shown]
	v_fmac_f32_e32 v124, v3, v155
	v_fma_f32 v2, v2, v155, -v117
	v_add_f32_e32 v3, v118, v120
	ds_read2_b64 v[116:119], v1 offset0:89 offset1:90
	v_add_f32_e32 v1, v126, v122
	s_waitcnt vmcnt(20)
	v_mul_f32_e32 v122, v5, v125
	v_add_f32_e32 v3, v3, v121
	v_mul_f32_e32 v120, v4, v125
	v_add_f32_e32 v1, v1, v123
	s_waitcnt vmcnt(19) lgkmcnt(4)
	v_mul_f32_e32 v125, v105, v148
	v_fma_f32 v4, v4, v135, -v122
	v_add_f32_e32 v3, v3, v132
	v_mul_f32_e32 v121, v104, v148
	v_add_f32_e32 v1, v1, v128
	v_fmac_f32_e32 v120, v5, v135
	v_fma_f32 v104, v104, v130, -v125
	v_add_f32_e32 v3, v3, v133
	s_waitcnt vmcnt(18)
	v_mul_f32_e32 v123, v106, v149
	v_add_f32_e32 v1, v1, v127
	v_mul_f32_e32 v127, v107, v149
	v_fmac_f32_e32 v121, v105, v130
	s_waitcnt vmcnt(17) lgkmcnt(3)
	v_mul_f32_e32 v5, v100, v136
	s_waitcnt vmcnt(16)
	v_mul_f32_e32 v122, v102, v151
	v_add_f32_e32 v1, v1, v2
	v_add_f32_e32 v2, v3, v124
	s_waitcnt vmcnt(15) lgkmcnt(2)
	v_mul_f32_e32 v126, v108, v152
	s_waitcnt vmcnt(14)
	v_mul_f32_e32 v128, v110, v137
	s_waitcnt vmcnt(8)
	v_fmac_f32_e32 v122, v103, v140
	v_add_f32_e32 v1, v1, v4
	v_add_f32_e32 v2, v2, v120
	v_mul_f32_e32 v4, v101, v136
	s_waitcnt vmcnt(6)
	v_fma_f32 v105, v106, v160, -v127
	v_fmac_f32_e32 v123, v107, v160
	v_add_f32_e32 v1, v1, v104
	v_add_f32_e32 v2, v2, v121
	v_mul_f32_e32 v104, v103, v151
	v_fma_f32 v4, v100, v141, -v4
	v_fmac_f32_e32 v5, v101, v141
	v_add_f32_e32 v1, v1, v105
	v_add_f32_e32 v2, v2, v123
	v_mul_f32_e32 v100, v109, v152
	;; [unrolled: 5-line block ×3, first 2 shown]
	v_fma_f32 v5, v108, v139, -v100
	s_waitcnt lgkmcnt(1)
	v_mul_f32_e32 v100, v113, v153
	v_add_f32_e32 v1, v1, v101
	v_add_f32_e32 v2, v2, v122
	s_waitcnt vmcnt(2)
	v_fma_f32 v4, v110, v143, -v4
	v_mul_f32_e32 v129, v112, v153
	v_fmac_f32_e32 v128, v111, v143
	v_add_f32_e32 v1, v1, v5
	v_add_f32_e32 v2, v2, v126
	v_mul_f32_e32 v5, v115, v154
	v_fma_f32 v100, v112, v142, -v100
	v_mul_f32_e32 v131, v114, v154
	v_add_f32_e32 v1, v1, v4
	v_fmac_f32_e32 v129, v113, v142
	v_add_f32_e32 v2, v2, v128
	s_waitcnt lgkmcnt(0)
	v_mul_f32_e32 v4, v117, v159
	v_fma_f32 v5, v114, v7, -v5
	v_add_f32_e32 v1, v1, v100
	v_mul_f32_e32 v132, v116, v159
	v_fmac_f32_e32 v131, v115, v7
	v_add_f32_e32 v2, v2, v129
	v_mul_f32_e32 v7, v119, v138
	v_fma_f32 v4, v116, v6, -v4
	v_add_f32_e32 v1, v1, v5
	v_mul_f32_e32 v3, v118, v138
	v_fmac_f32_e32 v132, v117, v6
	v_add_f32_e32 v2, v2, v131
	s_waitcnt vmcnt(0)
	v_fma_f32 v5, v118, v8, -v7
	v_add_f32_e32 v1, v1, v4
	v_fmac_f32_e32 v3, v119, v8
	v_add_f32_e32 v2, v2, v132
	v_add_f32_e32 v1, v1, v5
	;; [unrolled: 1-line block ×3, first 2 shown]
	v_sub_f32_e32 v1, v161, v1
	v_sub_f32_e32 v2, v150, v2
	buffer_store_dword v1, off, s[0:3], 0 offset:64
	buffer_store_dword v2, off, s[0:3], 0 offset:68
	v_cmpx_lt_u32_e32 7, v0
	s_cbranch_execz .LBB108_269
; %bb.268:
	s_clause 0x1
	buffer_load_dword v1, off, s[0:3], 0 offset:56
	buffer_load_dword v2, off, s[0:3], 0 offset:60
	v_mov_b32_e32 v3, 0
	buffer_store_dword v3, off, s[0:3], 0 offset:56
	buffer_store_dword v3, off, s[0:3], 0 offset:60
	s_waitcnt vmcnt(0)
	ds_write_b64 v99, v[1:2]
.LBB108_269:
	s_or_b32 exec_lo, exec_lo, s4
	s_waitcnt lgkmcnt(0)
	s_waitcnt_vscnt null, 0x0
	s_barrier
	buffer_gl0_inv
	s_clause 0x2b
	buffer_load_dword v131, off, s[0:3], 0 offset:68
	buffer_load_dword v2, off, s[0:3], 0 offset:80
	buffer_load_dword v5, off, s[0:3], 0 offset:72
	buffer_load_dword v101, off, s[0:3], 0 offset:64
	buffer_load_dword v100, off, s[0:3], 0 offset:76
	buffer_load_dword v7, off, s[0:3], 0 offset:84
	buffer_load_dword v4, off, s[0:3], 0 offset:92
	buffer_load_dword v3, off, s[0:3], 0 offset:112
	buffer_load_dword v6, off, s[0:3], 0 offset:104
	buffer_load_dword v102, off, s[0:3], 0 offset:96
	buffer_load_dword v105, off, s[0:3], 0 offset:88
	buffer_load_dword v104, off, s[0:3], 0 offset:100
	buffer_load_dword v103, off, s[0:3], 0 offset:108
	buffer_load_dword v8, off, s[0:3], 0 offset:116
	buffer_load_dword v106, off, s[0:3], 0 offset:124
	buffer_load_dword v107, off, s[0:3], 0 offset:144
	buffer_load_dword v108, off, s[0:3], 0 offset:136
	buffer_load_dword v110, off, s[0:3], 0 offset:128
	buffer_load_dword v114, off, s[0:3], 0 offset:120
	buffer_load_dword v113, off, s[0:3], 0 offset:132
	buffer_load_dword v111, off, s[0:3], 0 offset:140
	buffer_load_dword v109, off, s[0:3], 0 offset:148
	buffer_load_dword v112, off, s[0:3], 0 offset:156
	buffer_load_dword v115, off, s[0:3], 0 offset:176
	buffer_load_dword v116, off, s[0:3], 0 offset:168
	buffer_load_dword v119, off, s[0:3], 0 offset:160
	buffer_load_dword v123, off, s[0:3], 0 offset:152
	buffer_load_dword v122, off, s[0:3], 0 offset:164
	buffer_load_dword v121, off, s[0:3], 0 offset:172
	buffer_load_dword v117, off, s[0:3], 0 offset:180
	buffer_load_dword v120, off, s[0:3], 0 offset:188
	buffer_load_dword v118, off, s[0:3], 0 offset:208
	buffer_load_dword v125, off, s[0:3], 0 offset:200
	buffer_load_dword v128, off, s[0:3], 0 offset:192
	buffer_load_dword v130, off, s[0:3], 0 offset:184
	buffer_load_dword v129, off, s[0:3], 0 offset:196
	buffer_load_dword v127, off, s[0:3], 0 offset:204
	buffer_load_dword v124, off, s[0:3], 0 offset:212
	buffer_load_dword v126, off, s[0:3], 0 offset:220
	buffer_load_dword v144, off, s[0:3], 0 offset:240
	buffer_load_dword v145, off, s[0:3], 0 offset:232
	buffer_load_dword v146, off, s[0:3], 0 offset:224
	buffer_load_dword v147, off, s[0:3], 0 offset:216
	buffer_load_dword v148, off, s[0:3], 0 offset:228
	v_mov_b32_e32 v1, 0
	ds_read_b128 v[132:135], v1 offset:432
	ds_read_b128 v[136:139], v1 offset:448
	;; [unrolled: 1-line block ×3, first 2 shown]
	buffer_load_dword v150, off, s[0:3], 0 offset:60
	s_mov_b32 s4, exec_lo
	s_waitcnt vmcnt(44) lgkmcnt(2)
	v_mul_f32_e32 v149, v132, v131
	v_mul_f32_e32 v131, v133, v131
	s_waitcnt vmcnt(40)
	v_mul_f32_e32 v152, v134, v100
	v_mul_f32_e32 v100, v135, v100
	v_fmac_f32_e32 v149, v133, v101
	v_fma_f32 v151, v132, v101, -v131
	s_waitcnt vmcnt(39) lgkmcnt(1)
	v_mul_f32_e32 v154, v136, v7
	v_fmac_f32_e32 v152, v135, v5
	v_fma_f32 v153, v134, v5, -v100
	v_mul_f32_e32 v5, v137, v7
	ds_read_b128 v[131:134], v1 offset:480
	v_fmac_f32_e32 v154, v137, v2
	s_waitcnt vmcnt(38)
	v_mul_f32_e32 v156, v138, v4
	v_fma_f32 v155, v136, v2, -v5
	v_mul_f32_e32 v2, v139, v4
	s_waitcnt vmcnt(34)
	v_fmac_f32_e32 v156, v139, v105
	s_waitcnt vmcnt(33) lgkmcnt(1)
	v_mul_f32_e32 v139, v140, v104
	v_fma_f32 v105, v138, v105, -v2
	v_mul_f32_e32 v2, v141, v104
	ds_read_b128 v[135:138], v1 offset:496
	v_fmac_f32_e32 v139, v141, v102
	v_fma_f32 v104, v140, v102, -v2
	s_waitcnt vmcnt(32)
	v_mul_f32_e32 v140, v142, v103
	v_mul_f32_e32 v2, v143, v103
	ds_read_b128 v[100:103], v1 offset:528
	v_fmac_f32_e32 v140, v143, v6
	v_fma_f32 v141, v142, v6, -v2
	s_waitcnt vmcnt(31) lgkmcnt(2)
	v_mul_f32_e32 v2, v132, v8
	ds_read_b128 v[4:7], v1 offset:512
	v_mul_f32_e32 v142, v131, v8
	v_fma_f32 v8, v131, v3, -v2
	s_waitcnt vmcnt(30)
	v_mul_f32_e32 v2, v134, v106
	v_mul_f32_e32 v131, v133, v106
	v_fmac_f32_e32 v142, v132, v3
	s_waitcnt vmcnt(24) lgkmcnt(2)
	v_mul_f32_e32 v132, v137, v111
	v_fma_f32 v106, v133, v114, -v2
	v_mul_f32_e32 v2, v136, v113
	v_fmac_f32_e32 v131, v134, v114
	v_mul_f32_e32 v114, v135, v113
	v_fmac_f32_e32 v132, v138, v108
	v_fma_f32 v113, v135, v110, -v2
	v_mul_f32_e32 v2, v138, v111
	v_fmac_f32_e32 v114, v136, v110
	s_waitcnt vmcnt(23) lgkmcnt(0)
	v_mul_f32_e32 v134, v4, v109
	s_waitcnt vmcnt(22)
	v_mul_f32_e32 v135, v6, v112
	v_fma_f32 v133, v137, v108, -v2
	v_mul_f32_e32 v2, v5, v109
	ds_read_b128 v[108:111], v1 offset:544
	v_fmac_f32_e32 v134, v5, v107
	s_waitcnt vmcnt(18)
	v_fmac_f32_e32 v135, v7, v123
	v_fma_f32 v107, v4, v107, -v2
	v_mul_f32_e32 v2, v7, v112
	s_waitcnt vmcnt(17)
	v_mul_f32_e32 v7, v100, v122
	s_waitcnt vmcnt(16)
	v_mul_f32_e32 v112, v102, v121
	v_mul_f32_e32 v121, v103, v121
	v_fma_f32 v6, v6, v123, -v2
	v_mul_f32_e32 v2, v101, v122
	v_fmac_f32_e32 v7, v101, v119
	v_fmac_f32_e32 v112, v103, v116
	v_fma_f32 v116, v102, v116, -v121
	v_add_f32_e32 v102, 0, v149
	v_fma_f32 v119, v100, v119, -v2
	ds_read_b128 v[2:5], v1 offset:560
	s_clause 0x2
	buffer_load_dword v121, off, s[0:3], 0 offset:236
	buffer_load_dword v122, off, s[0:3], 0 offset:244
	;; [unrolled: 1-line block ×3, first 2 shown]
	s_waitcnt vmcnt(18) lgkmcnt(1)
	v_mul_f32_e32 v123, v108, v117
	v_mul_f32_e32 v100, v109, v117
	s_waitcnt vmcnt(17)
	v_mul_f32_e32 v117, v110, v120
	v_mul_f32_e32 v101, v111, v120
	v_fmac_f32_e32 v123, v109, v115
	v_fma_f32 v108, v108, v115, -v100
	s_waitcnt vmcnt(13)
	v_fmac_f32_e32 v117, v111, v130
	v_fma_f32 v109, v110, v130, -v101
	v_add_f32_e32 v111, v102, v152
	ds_read_b128 v[100:103], v1 offset:576
	v_add_f32_e32 v110, 0, v151
	v_add_f32_e32 v111, v111, v154
	;; [unrolled: 1-line block ×3, first 2 shown]
	s_waitcnt vmcnt(12) lgkmcnt(1)
	v_mul_f32_e32 v115, v2, v129
	v_mul_f32_e32 v120, v3, v129
	s_clause 0x3
	buffer_load_dword v129, off, s[0:3], 0 offset:272
	buffer_load_dword v130, off, s[0:3], 0 offset:264
	;; [unrolled: 1-line block ×4, first 2 shown]
	v_fmac_f32_e32 v115, v3, v128
	v_fma_f32 v120, v2, v128, -v120
	s_clause 0x1
	buffer_load_dword v128, off, s[0:3], 0 offset:260
	buffer_load_dword v143, off, s[0:3], 0 offset:268
	v_add_f32_e32 v2, v110, v155
	v_add_f32_e32 v3, v111, v156
	s_waitcnt vmcnt(17)
	v_mul_f32_e32 v110, v4, v127
	v_mul_f32_e32 v111, v5, v127
	buffer_load_dword v127, off, s[0:3], 0 offset:276
	v_add_f32_e32 v2, v2, v105
	v_add_f32_e32 v3, v3, v139
	v_fmac_f32_e32 v110, v5, v125
	v_fma_f32 v111, v4, v125, -v111
	s_clause 0x3
	buffer_load_dword v125, off, s[0:3], 0 offset:284
	buffer_load_dword v139, off, s[0:3], 0 offset:292
	;; [unrolled: 1-line block ×4, first 2 shown]
	v_add_f32_e32 v104, v2, v104
	v_add_f32_e32 v105, v3, v140
	ds_read_b128 v[2:5], v1 offset:592
	s_waitcnt vmcnt(21) lgkmcnt(1)
	v_mul_f32_e32 v140, v100, v124
	v_mul_f32_e32 v124, v101, v124
	v_add_f32_e32 v104, v104, v141
	v_add_f32_e32 v105, v105, v142
	s_waitcnt vmcnt(20)
	v_mul_f32_e32 v141, v102, v126
	v_fmac_f32_e32 v140, v101, v118
	v_fma_f32 v118, v100, v118, -v124
	v_add_f32_e32 v8, v104, v8
	v_add_f32_e32 v100, v105, v131
	v_mul_f32_e32 v104, v103, v126
	s_clause 0x4
	buffer_load_dword v124, off, s[0:3], 0 offset:316
	buffer_load_dword v126, off, s[0:3], 0 offset:324
	;; [unrolled: 1-line block ×5, first 2 shown]
	v_add_f32_e32 v8, v8, v106
	s_clause 0x4
	buffer_load_dword v153, off, s[0:3], 0 offset:304
	buffer_load_dword v154, off, s[0:3], 0 offset:296
	;; [unrolled: 1-line block ×5, first 2 shown]
	v_add_f32_e32 v100, v100, v114
	s_waitcnt vmcnt(26)
	v_fmac_f32_e32 v141, v103, v147
	v_fma_f32 v147, v102, v147, -v104
	v_add_f32_e32 v8, v8, v113
	v_add_f32_e32 v100, v100, v132
	s_waitcnt vmcnt(25) lgkmcnt(0)
	v_mul_f32_e32 v105, v3, v148
	v_mul_f32_e32 v132, v2, v148
	v_add_f32_e32 v8, v8, v133
	v_add_f32_e32 v104, v100, v134
	ds_read_b128 v[100:103], v1 offset:608
	v_fma_f32 v113, v2, v146, -v105
	v_add_f32_e32 v8, v8, v107
	v_fmac_f32_e32 v132, v3, v146
	v_add_f32_e32 v104, v104, v135
	v_add_f32_e32 v2, v8, v6
	s_clause 0x3
	buffer_load_dword v8, off, s[0:3], 0 offset:336
	buffer_load_dword v133, off, s[0:3], 0 offset:328
	;; [unrolled: 1-line block ×4, first 2 shown]
	v_add_f32_e32 v3, v104, v7
	v_add_f32_e32 v2, v2, v119
	s_clause 0x1
	buffer_load_dword v119, off, s[0:3], 0 offset:352
	buffer_load_dword v146, off, s[0:3], 0 offset:344
	v_add_f32_e32 v3, v3, v112
	ds_read_b128 v[104:107], v1 offset:640
	v_add_f32_e32 v2, v2, v116
	buffer_load_dword v116, off, s[0:3], 0 offset:56
	v_add_f32_e32 v6, v3, v123
	v_add_f32_e32 v7, v2, v108
	v_add_f32_e32 v6, v6, v117
	v_add_f32_e32 v7, v7, v109
	v_add_f32_e32 v6, v6, v115
	v_add_f32_e32 v7, v7, v120
	v_add_f32_e32 v6, v6, v110
	v_add_f32_e32 v7, v7, v111
	v_add_f32_e32 v6, v6, v140
	v_add_f32_e32 v7, v7, v118
	v_add_f32_e32 v7, v7, v147
	s_waitcnt vmcnt(30)
	v_mul_f32_e32 v123, v4, v121
	v_mul_f32_e32 v3, v5, v121
	s_waitcnt vmcnt(29) lgkmcnt(1)
	v_mul_f32_e32 v108, v101, v122
	v_mul_f32_e32 v117, v100, v122
	s_waitcnt vmcnt(28)
	v_mul_f32_e32 v109, v103, v136
	v_fmac_f32_e32 v123, v5, v145
	v_fma_f32 v121, v4, v145, -v3
	ds_read_b128 v[2:5], v1 offset:624
	v_fma_f32 v120, v100, v144, -v108
	v_mul_f32_e32 v122, v102, v136
	v_fmac_f32_e32 v117, v101, v144
	s_waitcnt vmcnt(24)
	v_fma_f32 v136, v102, v138, -v109
	v_fmac_f32_e32 v122, v103, v138
	ds_read_b128 v[100:103], v1 offset:656
	ds_read_b128 v[108:111], v1 offset:672
	s_waitcnt vmcnt(23) lgkmcnt(2)
	v_mul_f32_e32 v118, v2, v128
	v_mul_f32_e32 v112, v3, v128
	s_waitcnt vmcnt(22)
	v_mul_f32_e32 v128, v4, v143
	v_mul_f32_e32 v138, v5, v143
	v_fmac_f32_e32 v118, v3, v137
	v_fma_f32 v137, v2, v137, -v112
	v_add_f32_e32 v2, v6, v141
	v_add_f32_e32 v6, v7, v113
	v_fmac_f32_e32 v128, v5, v130
	v_fma_f32 v130, v4, v130, -v138
	s_waitcnt vmcnt(21)
	v_mul_f32_e32 v138, v104, v127
	v_add_f32_e32 v132, v2, v132
	v_add_f32_e32 v121, v6, v121
	ds_read_b128 v[112:115], v1 offset:688
	ds_read_b128 v[2:5], v1 offset:704
	v_fmac_f32_e32 v138, v105, v129
	v_add_f32_e32 v123, v132, v123
	v_add_f32_e32 v120, v121, v120
	v_mul_f32_e32 v121, v105, v127
	s_waitcnt vmcnt(20)
	v_mul_f32_e32 v132, v106, v125
	v_mul_f32_e32 v125, v107, v125
	v_add_f32_e32 v117, v123, v117
	v_add_f32_e32 v120, v120, v136
	v_fma_f32 v104, v104, v129, -v121
	s_waitcnt vmcnt(19) lgkmcnt(3)
	v_mul_f32_e32 v123, v100, v139
	v_mul_f32_e32 v129, v101, v139
	v_add_f32_e32 v117, v117, v122
	v_add_f32_e32 v120, v120, v137
	s_waitcnt vmcnt(8)
	v_fma_f32 v106, v106, v156, -v125
	v_fmac_f32_e32 v132, v107, v156
	v_fmac_f32_e32 v123, v101, v155
	v_add_f32_e32 v117, v117, v118
	v_add_f32_e32 v120, v120, v130
	v_fma_f32 v100, v100, v155, -v129
	v_mul_f32_e32 v127, v102, v149
	s_waitcnt lgkmcnt(2)
	v_mul_f32_e32 v136, v108, v151
	v_add_f32_e32 v117, v117, v128
	v_add_f32_e32 v104, v120, v104
	v_mul_f32_e32 v122, v110, v124
	v_fmac_f32_e32 v127, v103, v154
	v_fmac_f32_e32 v136, v109, v153
	v_add_f32_e32 v107, v117, v138
	v_mul_f32_e32 v117, v103, v149
	v_add_f32_e32 v101, v104, v106
	v_mul_f32_e32 v106, v109, v151
	v_mul_f32_e32 v103, v111, v124
	v_add_f32_e32 v104, v107, v132
	v_fma_f32 v102, v102, v154, -v117
	v_add_f32_e32 v100, v101, v100
	ds_read_b64 v[6:7], v1 offset:720
	s_waitcnt vmcnt(3)
	v_fma_f32 v103, v110, v135, -v103
	v_add_f32_e32 v101, v104, v123
	v_fma_f32 v104, v108, v153, -v106
	v_add_f32_e32 v100, v100, v102
	s_waitcnt lgkmcnt(2)
	v_mul_f32_e32 v102, v113, v126
	v_mul_f32_e32 v137, v112, v126
	v_add_f32_e32 v101, v101, v127
	v_fmac_f32_e32 v122, v111, v135
	v_add_f32_e32 v100, v100, v104
	v_mul_f32_e32 v104, v115, v131
	v_fma_f32 v102, v112, v134, -v102
	v_add_f32_e32 v101, v101, v136
	v_mul_f32_e32 v105, v114, v131
	v_add_f32_e32 v100, v100, v103
	v_fmac_f32_e32 v137, v113, v134
	s_waitcnt lgkmcnt(1)
	v_mul_f32_e32 v118, v2, v142
	v_add_f32_e32 v101, v101, v122
	v_mul_f32_e32 v103, v3, v142
	v_fma_f32 v104, v114, v133, -v104
	v_add_f32_e32 v100, v100, v102
	v_fmac_f32_e32 v105, v115, v133
	v_add_f32_e32 v101, v101, v137
	v_mul_f32_e32 v102, v5, v152
	v_fmac_f32_e32 v118, v3, v8
	v_fma_f32 v2, v2, v8, -v103
	v_add_f32_e32 v3, v100, v104
	v_mul_f32_e32 v121, v4, v152
	v_add_f32_e32 v8, v101, v105
	s_waitcnt lgkmcnt(0)
	v_mul_f32_e32 v100, v7, v157
	s_waitcnt vmcnt(1)
	v_fma_f32 v4, v4, v146, -v102
	v_add_f32_e32 v2, v3, v2
	v_mul_f32_e32 v128, v6, v157
	v_fmac_f32_e32 v121, v5, v146
	v_add_f32_e32 v3, v8, v118
	v_fma_f32 v5, v6, v119, -v100
	v_add_f32_e32 v2, v2, v4
	v_fmac_f32_e32 v128, v7, v119
	v_add_f32_e32 v3, v3, v121
	v_add_f32_e32 v2, v2, v5
	;; [unrolled: 1-line block ×3, first 2 shown]
	s_waitcnt vmcnt(0)
	v_sub_f32_e32 v2, v116, v2
	v_sub_f32_e32 v3, v150, v3
	buffer_store_dword v2, off, s[0:3], 0 offset:56
	buffer_store_dword v3, off, s[0:3], 0 offset:60
	v_cmpx_lt_u32_e32 6, v0
	s_cbranch_execz .LBB108_271
; %bb.270:
	s_clause 0x1
	buffer_load_dword v2, off, s[0:3], 0 offset:48
	buffer_load_dword v3, off, s[0:3], 0 offset:52
	buffer_store_dword v1, off, s[0:3], 0 offset:48
	buffer_store_dword v1, off, s[0:3], 0 offset:52
	s_waitcnt vmcnt(0)
	ds_write_b64 v99, v[2:3]
.LBB108_271:
	s_or_b32 exec_lo, exec_lo, s4
	s_waitcnt lgkmcnt(0)
	s_waitcnt_vscnt null, 0x0
	s_barrier
	buffer_gl0_inv
	s_clause 0x2b
	buffer_load_dword v131, off, s[0:3], 0 offset:60
	buffer_load_dword v2, off, s[0:3], 0 offset:72
	;; [unrolled: 1-line block ×44, first 2 shown]
	ds_read2_b64 v[132:135], v1 offset0:53 offset1:54
	ds_read2_b64 v[136:139], v1 offset0:55 offset1:56
	;; [unrolled: 1-line block ×3, first 2 shown]
	buffer_load_dword v150, off, s[0:3], 0 offset:52
	s_mov_b32 s4, exec_lo
	s_waitcnt vmcnt(44) lgkmcnt(2)
	v_mul_f32_e32 v149, v132, v131
	v_mul_f32_e32 v131, v133, v131
	s_waitcnt vmcnt(40)
	v_mul_f32_e32 v152, v134, v100
	v_mul_f32_e32 v100, v135, v100
	s_waitcnt vmcnt(39) lgkmcnt(1)
	v_mul_f32_e32 v154, v136, v7
	v_fmac_f32_e32 v149, v133, v101
	v_fma_f32 v151, v132, v101, -v131
	v_fmac_f32_e32 v152, v135, v5
	v_fma_f32 v153, v134, v5, -v100
	v_mul_f32_e32 v5, v137, v7
	ds_read2_b64 v[131:134], v1 offset0:59 offset1:60
	v_fmac_f32_e32 v154, v137, v2
	s_waitcnt vmcnt(38)
	v_mul_f32_e32 v156, v138, v4
	v_fma_f32 v155, v136, v2, -v5
	v_mul_f32_e32 v2, v139, v4
	s_waitcnt vmcnt(34)
	v_fmac_f32_e32 v156, v139, v105
	s_waitcnt vmcnt(33) lgkmcnt(1)
	v_mul_f32_e32 v139, v140, v104
	v_fma_f32 v105, v138, v105, -v2
	v_mul_f32_e32 v2, v141, v104
	ds_read2_b64 v[135:138], v1 offset0:61 offset1:62
	v_fmac_f32_e32 v139, v141, v102
	v_fma_f32 v104, v140, v102, -v2
	s_waitcnt vmcnt(32)
	v_mul_f32_e32 v140, v142, v103
	v_mul_f32_e32 v2, v143, v103
	ds_read2_b64 v[100:103], v1 offset0:65 offset1:66
	v_fmac_f32_e32 v140, v143, v6
	v_fma_f32 v141, v142, v6, -v2
	ds_read2_b64 v[4:7], v1 offset0:63 offset1:64
	s_waitcnt vmcnt(31) lgkmcnt(3)
	v_mul_f32_e32 v2, v132, v8
	v_mul_f32_e32 v142, v131, v8
	s_waitcnt vmcnt(30)
	v_mul_f32_e32 v143, v133, v106
	v_fma_f32 v8, v131, v3, -v2
	v_mul_f32_e32 v2, v134, v106
	s_waitcnt vmcnt(26)
	v_fmac_f32_e32 v143, v134, v114
	v_fmac_f32_e32 v142, v132, v3
	s_waitcnt vmcnt(24) lgkmcnt(2)
	v_mul_f32_e32 v3, v138, v112
	v_fma_f32 v106, v133, v114, -v2
	v_mul_f32_e32 v114, v135, v113
	v_mul_f32_e32 v2, v136, v113
	;; [unrolled: 1-line block ×3, first 2 shown]
	ds_read2_b64 v[131:134], v1 offset0:67 offset1:68
	v_fmac_f32_e32 v114, v136, v110
	v_fma_f32 v110, v135, v110, -v2
	s_waitcnt vmcnt(23) lgkmcnt(1)
	v_mul_f32_e32 v112, v4, v109
	v_mul_f32_e32 v2, v5, v109
	s_waitcnt vmcnt(22)
	v_mul_f32_e32 v109, v6, v111
	v_fmac_f32_e32 v113, v138, v108
	v_fma_f32 v108, v137, v108, -v3
	v_fmac_f32_e32 v112, v5, v107
	v_fma_f32 v107, v4, v107, -v2
	v_mul_f32_e32 v2, v7, v111
	s_waitcnt vmcnt(18)
	v_fmac_f32_e32 v109, v7, v124
	s_clause 0x1
	buffer_load_dword v7, off, s[0:3], 0 offset:228
	buffer_load_dword v111, off, s[0:3], 0 offset:236
	s_waitcnt vmcnt(18)
	v_mul_f32_e32 v3, v103, v121
	v_fma_f32 v6, v6, v124, -v2
	v_mul_f32_e32 v124, v100, v122
	v_mul_f32_e32 v2, v101, v122
	;; [unrolled: 1-line block ×3, first 2 shown]
	s_waitcnt vmcnt(17) lgkmcnt(0)
	v_mul_f32_e32 v121, v131, v120
	v_mul_f32_e32 v120, v132, v120
	v_fmac_f32_e32 v124, v101, v118
	v_fma_f32 v118, v100, v118, -v2
	s_waitcnt vmcnt(16)
	v_mul_f32_e32 v135, v133, v125
	v_mul_f32_e32 v100, v134, v125
	v_fmac_f32_e32 v122, v103, v117
	v_fma_f32 v117, v102, v117, -v3
	ds_read2_b64 v[2:5], v1 offset0:69 offset1:70
	v_fmac_f32_e32 v121, v132, v115
	v_fma_f32 v115, v131, v115, -v120
	s_waitcnt vmcnt(12)
	v_fmac_f32_e32 v135, v134, v130
	v_fma_f32 v120, v133, v130, -v100
	s_clause 0x7
	buffer_load_dword v125, off, s[0:3], 0 offset:244
	buffer_load_dword v130, off, s[0:3], 0 offset:264
	;; [unrolled: 1-line block ×8, first 2 shown]
	v_add_f32_e32 v100, 0, v149
	v_add_f32_e32 v101, 0, v151
	;; [unrolled: 1-line block ×6, first 2 shown]
	s_waitcnt vmcnt(19) lgkmcnt(0)
	v_mul_f32_e32 v149, v2, v129
	v_mul_f32_e32 v129, v3, v129
	v_add_f32_e32 v138, v100, v156
	v_add_f32_e32 v105, v101, v105
	ds_read2_b64 v[100:103], v1 offset0:71 offset1:72
	v_fmac_f32_e32 v149, v3, v127
	v_fma_f32 v127, v2, v127, -v129
	v_add_f32_e32 v138, v138, v139
	v_add_f32_e32 v104, v105, v104
	s_waitcnt vmcnt(18)
	v_mul_f32_e32 v139, v4, v128
	v_mul_f32_e32 v105, v5, v128
	v_add_f32_e32 v3, v138, v140
	v_add_f32_e32 v104, v104, v141
	v_fmac_f32_e32 v139, v5, v126
	v_fma_f32 v126, v4, v126, -v105
	v_add_f32_e32 v2, v3, v142
	v_add_f32_e32 v3, v104, v8
	s_clause 0x7
	buffer_load_dword v8, off, s[0:3], 0 offset:276
	buffer_load_dword v128, off, s[0:3], 0 offset:284
	;; [unrolled: 1-line block ×8, first 2 shown]
	v_add_f32_e32 v2, v2, v143
	v_add_f32_e32 v3, v3, v106
	s_waitcnt vmcnt(25) lgkmcnt(0)
	v_mul_f32_e32 v152, v100, v123
	v_mul_f32_e32 v4, v101, v123
	s_clause 0x3
	buffer_load_dword v123, off, s[0:3], 0 offset:308
	buffer_load_dword v143, off, s[0:3], 0 offset:316
	;; [unrolled: 1-line block ×4, first 2 shown]
	v_add_f32_e32 v2, v2, v114
	s_clause 0x1
	buffer_load_dword v155, off, s[0:3], 0 offset:340
	buffer_load_dword v156, off, s[0:3], 0 offset:348
	v_fmac_f32_e32 v152, v101, v116
	v_fma_f32 v116, v100, v116, -v4
	v_add_f32_e32 v100, v3, v110
	s_waitcnt vmcnt(30)
	v_mul_f32_e32 v3, v103, v119
	v_mul_f32_e32 v114, v102, v119
	v_add_f32_e32 v101, v2, v113
	buffer_load_dword v157, off, s[0:3], 0 offset:356
	v_add_f32_e32 v100, v100, v108
	s_waitcnt vmcnt(27)
	v_fma_f32 v113, v102, v147, -v3
	ds_read2_b64 v[2:5], v1 offset0:73 offset1:74
	v_fmac_f32_e32 v114, v103, v147
	v_add_f32_e32 v101, v101, v112
	s_clause 0x3
	buffer_load_dword v147, off, s[0:3], 0 offset:328
	buffer_load_dword v158, off, s[0:3], 0 offset:320
	;; [unrolled: 1-line block ×4, first 2 shown]
	v_add_f32_e32 v100, v100, v107
	v_add_f32_e32 v101, v101, v109
	;; [unrolled: 1-line block ×4, first 2 shown]
	ds_read2_b64 v[100:103], v1 offset0:75 offset1:76
	v_add_f32_e32 v6, v6, v118
	v_add_f32_e32 v104, v104, v122
	s_waitcnt vmcnt(30) lgkmcnt(1)
	v_mul_f32_e32 v112, v2, v148
	v_mul_f32_e32 v105, v3, v148
	v_fmac_f32_e32 v112, v3, v146
	v_fma_f32 v118, v2, v146, -v105
	v_add_f32_e32 v2, v6, v117
	v_add_f32_e32 v3, v104, v121
	s_clause 0x3
	buffer_load_dword v6, off, s[0:3], 0 offset:352
	buffer_load_dword v121, off, s[0:3], 0 offset:344
	;; [unrolled: 1-line block ×4, first 2 shown]
	v_add_f32_e32 v2, v2, v115
	v_add_f32_e32 v3, v3, v135
	;; [unrolled: 1-line block ×6, first 2 shown]
	ds_read2_b64 v[104:107], v1 offset0:79 offset1:80
	v_add_f32_e32 v109, v109, v126
	v_add_f32_e32 v119, v108, v152
	;; [unrolled: 1-line block ×6, first 2 shown]
	s_waitcnt vmcnt(32)
	v_mul_f32_e32 v115, v4, v7
	v_mul_f32_e32 v7, v5, v7
	s_waitcnt vmcnt(31) lgkmcnt(1)
	v_mul_f32_e32 v117, v100, v111
	v_mul_f32_e32 v110, v101, v111
	v_fmac_f32_e32 v115, v5, v145
	v_fma_f32 v7, v4, v145, -v7
	ds_read2_b64 v[2:5], v1 offset0:77 offset1:78
	v_fmac_f32_e32 v117, v101, v144
	s_waitcnt vmcnt(30)
	v_mul_f32_e32 v120, v102, v125
	v_mul_f32_e32 v111, v103, v125
	v_fma_f32 v125, v100, v144, -v110
	s_waitcnt vmcnt(26)
	v_fmac_f32_e32 v120, v103, v133
	v_fma_f32 v126, v102, v133, -v111
	ds_read2_b64 v[100:103], v1 offset0:81 offset1:82
	ds_read2_b64 v[108:111], v1 offset0:83 offset1:84
	s_waitcnt vmcnt(23) lgkmcnt(3)
	v_mul_f32_e32 v135, v105, v137
	s_waitcnt lgkmcnt(2)
	v_mul_f32_e32 v127, v2, v134
	v_mul_f32_e32 v116, v3, v134
	v_mul_f32_e32 v133, v4, v136
	v_mul_f32_e32 v119, v5, v136
	v_mul_f32_e32 v134, v104, v137
	v_fmac_f32_e32 v127, v3, v132
	v_fma_f32 v132, v2, v132, -v116
	v_add_f32_e32 v116, v113, v118
	v_add_f32_e32 v118, v112, v115
	v_fmac_f32_e32 v133, v5, v131
	v_fma_f32 v131, v4, v131, -v119
	ds_read2_b64 v[2:5], v1 offset0:85 offset1:86
	ds_read2_b64 v[112:115], v1 offset0:87 offset1:88
	v_add_f32_e32 v7, v116, v7
	v_fmac_f32_e32 v134, v105, v130
	v_add_f32_e32 v105, v118, v117
	ds_read2_b64 v[116:119], v1 offset0:89 offset1:90
	v_fma_f32 v104, v104, v130, -v135
	v_add_f32_e32 v1, v7, v125
	v_add_f32_e32 v105, v105, v120
	s_waitcnt vmcnt(22)
	v_mul_f32_e32 v7, v106, v8
	v_add_f32_e32 v1, v1, v126
	v_mul_f32_e32 v8, v107, v8
	v_add_f32_e32 v105, v105, v127
	s_waitcnt vmcnt(21) lgkmcnt(4)
	v_mul_f32_e32 v126, v101, v128
	v_mul_f32_e32 v120, v100, v128
	v_add_f32_e32 v1, v1, v132
	s_waitcnt vmcnt(15)
	v_fma_f32 v8, v106, v151, -v8
	v_add_f32_e32 v105, v105, v133
	v_fmac_f32_e32 v7, v107, v151
	v_mul_f32_e32 v125, v102, v129
	v_add_f32_e32 v1, v1, v131
	v_mul_f32_e32 v129, v103, v129
	v_fma_f32 v100, v100, v142, -v126
	v_fmac_f32_e32 v120, v101, v142
	s_waitcnt lgkmcnt(3)
	v_mul_f32_e32 v106, v108, v138
	v_add_f32_e32 v1, v1, v104
	v_add_f32_e32 v104, v105, v134
	v_fma_f32 v101, v102, v141, -v129
	v_fmac_f32_e32 v125, v103, v141
	s_waitcnt vmcnt(14)
	v_mul_f32_e32 v107, v110, v123
	v_add_f32_e32 v1, v1, v8
	v_add_f32_e32 v7, v104, v7
	v_mul_f32_e32 v8, v109, v138
	v_fmac_f32_e32 v106, v109, v140
	s_waitcnt vmcnt(13) lgkmcnt(2)
	v_mul_f32_e32 v127, v2, v143
	v_add_f32_e32 v1, v1, v100
	v_add_f32_e32 v7, v7, v120
	v_mul_f32_e32 v100, v111, v123
	v_fma_f32 v8, v108, v140, -v8
	s_waitcnt vmcnt(4)
	v_fmac_f32_e32 v107, v111, v160
	v_add_f32_e32 v1, v1, v101
	v_add_f32_e32 v7, v7, v125
	v_mul_f32_e32 v101, v3, v143
	v_fma_f32 v100, v110, v160, -v100
	v_mul_f32_e32 v128, v4, v153
	v_add_f32_e32 v1, v1, v8
	v_add_f32_e32 v7, v7, v106
	v_mul_f32_e32 v8, v5, v153
	v_fma_f32 v2, v2, v159, -v101
	v_fmac_f32_e32 v127, v3, v159
	v_add_f32_e32 v1, v1, v100
	v_add_f32_e32 v3, v7, v107
	s_waitcnt lgkmcnt(1)
	v_mul_f32_e32 v7, v113, v154
	v_fma_f32 v4, v4, v158, -v8
	v_mul_f32_e32 v130, v112, v154
	v_add_f32_e32 v1, v1, v2
	v_fmac_f32_e32 v128, v5, v158
	v_add_f32_e32 v2, v3, v127
	v_mul_f32_e32 v3, v115, v155
	v_fma_f32 v5, v112, v147, -v7
	v_add_f32_e32 v1, v1, v4
	v_mul_f32_e32 v131, v114, v155
	v_fmac_f32_e32 v130, v113, v147
	v_add_f32_e32 v2, v2, v128
	s_waitcnt lgkmcnt(0)
	v_mul_f32_e32 v4, v117, v156
	s_waitcnt vmcnt(1)
	v_fma_f32 v3, v114, v122, -v3
	v_add_f32_e32 v1, v1, v5
	v_mul_f32_e32 v132, v116, v156
	v_fmac_f32_e32 v131, v115, v122
	v_add_f32_e32 v2, v2, v130
	v_mul_f32_e32 v5, v119, v157
	v_fma_f32 v4, v116, v121, -v4
	v_add_f32_e32 v1, v1, v3
	v_mul_f32_e32 v105, v118, v157
	v_fmac_f32_e32 v132, v117, v121
	v_add_f32_e32 v2, v2, v131
	v_fma_f32 v3, v118, v6, -v5
	v_add_f32_e32 v1, v1, v4
	v_fmac_f32_e32 v105, v119, v6
	v_add_f32_e32 v2, v2, v132
	v_add_f32_e32 v1, v1, v3
	v_add_f32_e32 v2, v2, v105
	s_waitcnt vmcnt(0)
	v_sub_f32_e32 v1, v124, v1
	v_sub_f32_e32 v2, v150, v2
	buffer_store_dword v1, off, s[0:3], 0 offset:48
	buffer_store_dword v2, off, s[0:3], 0 offset:52
	v_cmpx_lt_u32_e32 5, v0
	s_cbranch_execz .LBB108_273
; %bb.272:
	s_clause 0x1
	buffer_load_dword v1, off, s[0:3], 0 offset:40
	buffer_load_dword v2, off, s[0:3], 0 offset:44
	v_mov_b32_e32 v3, 0
	buffer_store_dword v3, off, s[0:3], 0 offset:40
	buffer_store_dword v3, off, s[0:3], 0 offset:44
	s_waitcnt vmcnt(0)
	ds_write_b64 v99, v[1:2]
.LBB108_273:
	s_or_b32 exec_lo, exec_lo, s4
	s_waitcnt lgkmcnt(0)
	s_waitcnt_vscnt null, 0x0
	s_barrier
	buffer_gl0_inv
	s_clause 0x2c
	buffer_load_dword v130, off, s[0:3], 0 offset:52
	buffer_load_dword v131, off, s[0:3], 0 offset:60
	;; [unrolled: 1-line block ×45, first 2 shown]
	v_mov_b32_e32 v1, 0
	ds_read_b128 v[132:135], v1 offset:416
	ds_read_b128 v[136:139], v1 offset:432
	buffer_load_dword v148, off, s[0:3], 0 offset:44
	s_mov_b32 s4, exec_lo
	s_waitcnt vmcnt(45) lgkmcnt(1)
	v_mul_f32_e32 v146, v132, v130
	v_mul_f32_e32 v130, v133, v130
	s_waitcnt vmcnt(44)
	v_mul_f32_e32 v147, v134, v131
	v_mul_f32_e32 v131, v135, v131
	s_waitcnt vmcnt(41)
	v_fmac_f32_e32 v146, v133, v101
	v_fma_f32 v149, v132, v101, -v130
	s_waitcnt vmcnt(40) lgkmcnt(0)
	v_mul_f32_e32 v151, v136, v4
	v_fma_f32 v150, v134, v7, -v131
	ds_read_b128 v[130:133], v1 offset:448
	s_waitcnt vmcnt(39)
	v_mul_f32_e32 v152, v138, v5
	v_mul_f32_e32 v4, v137, v4
	v_fmac_f32_e32 v147, v135, v7
	v_mul_f32_e32 v5, v139, v5
	v_fmac_f32_e32 v151, v137, v2
	s_waitcnt vmcnt(35)
	v_fmac_f32_e32 v152, v139, v104
	v_fma_f32 v139, v136, v2, -v4
	ds_read_b128 v[134:137], v1 offset:464
	v_fma_f32 v104, v138, v104, -v5
	s_waitcnt vmcnt(34) lgkmcnt(1)
	v_mul_f32_e32 v138, v130, v103
	v_mul_f32_e32 v2, v131, v103
	s_waitcnt vmcnt(33)
	v_mul_f32_e32 v153, v132, v102
	v_mul_f32_e32 v4, v133, v102
	v_fmac_f32_e32 v138, v131, v100
	v_fma_f32 v130, v130, v100, -v2
	v_fmac_f32_e32 v153, v133, v6
	v_fma_f32 v131, v132, v6, -v4
	ds_read_b128 v[4:7], v1 offset:480
	s_waitcnt vmcnt(32) lgkmcnt(1)
	v_mul_f32_e32 v132, v134, v8
	v_mul_f32_e32 v2, v135, v8
	s_waitcnt vmcnt(31)
	v_mul_f32_e32 v8, v136, v105
	v_mul_f32_e32 v100, v137, v105
	v_fmac_f32_e32 v132, v135, v3
	v_fma_f32 v105, v134, v3, -v2
	s_waitcnt vmcnt(27)
	v_fmac_f32_e32 v8, v137, v113
	v_fma_f32 v113, v136, v113, -v100
	ds_read_b128 v[100:103], v1 offset:496
	buffer_load_dword v137, off, s[0:3], 0 offset:236
	s_waitcnt vmcnt(27) lgkmcnt(1)
	v_mul_f32_e32 v133, v4, v111
	v_mul_f32_e32 v2, v5, v111
	s_waitcnt vmcnt(26)
	v_mul_f32_e32 v111, v6, v110
	v_mul_f32_e32 v3, v7, v110
	v_fmac_f32_e32 v133, v5, v109
	v_fma_f32 v109, v4, v109, -v2
	v_fmac_f32_e32 v111, v7, v107
	v_fma_f32 v6, v6, v107, -v3
	ds_read_b128 v[2:5], v1 offset:512
	s_waitcnt vmcnt(25) lgkmcnt(1)
	v_mul_f32_e32 v7, v100, v108
	v_mul_f32_e32 v107, v101, v108
	s_waitcnt vmcnt(24)
	v_mul_f32_e32 v108, v102, v112
	v_mul_f32_e32 v110, v103, v112
	v_fmac_f32_e32 v7, v101, v106
	v_fma_f32 v106, v100, v106, -v107
	s_waitcnt vmcnt(20)
	v_fmac_f32_e32 v108, v103, v121
	v_fma_f32 v107, v102, v121, -v110
	ds_read_b128 v[100:103], v1 offset:528
	s_waitcnt vmcnt(19) lgkmcnt(1)
	v_mul_f32_e32 v110, v2, v119
	v_mul_f32_e32 v112, v3, v119
	s_waitcnt vmcnt(18)
	v_mul_f32_e32 v119, v4, v118
	v_mul_f32_e32 v118, v5, v118
	v_fmac_f32_e32 v110, v3, v117
	v_fma_f32 v112, v2, v117, -v112
	v_fmac_f32_e32 v119, v5, v115
	v_fma_f32 v115, v4, v115, -v118
	ds_read_b128 v[2:5], v1 offset:544
	s_waitcnt vmcnt(17) lgkmcnt(1)
	v_mul_f32_e32 v117, v100, v116
	v_mul_f32_e32 v116, v101, v116
	s_waitcnt vmcnt(16)
	v_mul_f32_e32 v118, v102, v120
	v_mul_f32_e32 v120, v103, v120
	v_fmac_f32_e32 v117, v101, v114
	v_fma_f32 v114, v100, v114, -v116
	s_waitcnt vmcnt(12)
	v_fmac_f32_e32 v118, v103, v128
	v_fma_f32 v116, v102, v128, -v120
	ds_read_b128 v[100:103], v1 offset:560
	s_waitcnt vmcnt(11) lgkmcnt(1)
	v_mul_f32_e32 v120, v2, v127
	v_mul_f32_e32 v121, v3, v127
	s_waitcnt vmcnt(10)
	v_mul_f32_e32 v127, v4, v126
	v_mul_f32_e32 v126, v5, v126
	v_fmac_f32_e32 v120, v3, v125
	v_fma_f32 v121, v2, v125, -v121
	v_fmac_f32_e32 v127, v5, v123
	v_fma_f32 v123, v4, v123, -v126
	ds_read_b128 v[2:5], v1 offset:576
	s_waitcnt vmcnt(8) lgkmcnt(1)
	v_mul_f32_e32 v126, v102, v129
	v_mul_f32_e32 v128, v103, v129
	buffer_load_dword v129, off, s[0:3], 0 offset:228
	v_mul_f32_e32 v125, v100, v124
	v_mul_f32_e32 v124, v101, v124
	s_waitcnt vmcnt(5)
	v_fmac_f32_e32 v126, v103, v143
	v_fmac_f32_e32 v125, v101, v122
	v_fma_f32 v122, v100, v122, -v124
	v_fma_f32 v124, v102, v143, -v128
	ds_read_b128 v[100:103], v1 offset:592
	s_waitcnt vmcnt(4) lgkmcnt(1)
	v_mul_f32_e32 v128, v2, v144
	v_mul_f32_e32 v134, v3, v144
	s_waitcnt vmcnt(3)
	v_mul_f32_e32 v135, v4, v145
	v_mul_f32_e32 v136, v5, v145
	v_fmac_f32_e32 v128, v3, v142
	v_fma_f32 v134, v2, v142, -v134
	v_fmac_f32_e32 v135, v5, v141
	v_fma_f32 v136, v4, v141, -v136
	s_clause 0x4
	buffer_load_dword v141, off, s[0:3], 0 offset:256
	buffer_load_dword v142, off, s[0:3], 0 offset:248
	;; [unrolled: 1-line block ×5, first 2 shown]
	s_waitcnt vmcnt(6) lgkmcnt(0)
	v_mul_f32_e32 v4, v103, v137
	s_waitcnt vmcnt(5)
	v_mul_f32_e32 v144, v100, v129
	v_mul_f32_e32 v3, v101, v129
	;; [unrolled: 1-line block ×3, first 2 shown]
	v_fmac_f32_e32 v144, v101, v140
	v_fma_f32 v137, v100, v140, -v3
	buffer_load_dword v140, off, s[0:3], 0 offset:244
	v_add_f32_e32 v3, 0, v149
	v_add_f32_e32 v3, v3, v150
	v_add_f32_e32 v3, v3, v139
	v_add_f32_e32 v3, v3, v104
	s_waitcnt vmcnt(2)
	v_fmac_f32_e32 v129, v103, v2
	v_fma_f32 v145, v102, v2, -v4
	v_add_f32_e32 v2, 0, v146
	buffer_load_dword v146, off, s[0:3], 0 offset:260
	v_add_f32_e32 v3, v3, v130
	v_add_f32_e32 v2, v2, v147
	buffer_load_dword v147, off, s[0:3], 0 offset:268
	v_add_f32_e32 v3, v3, v131
	v_add_f32_e32 v2, v2, v151
	s_clause 0x3
	buffer_load_dword v149, off, s[0:3], 0 offset:288
	buffer_load_dword v150, off, s[0:3], 0 offset:280
	;; [unrolled: 1-line block ×4, first 2 shown]
	v_add_f32_e32 v3, v3, v105
	v_add_f32_e32 v2, v2, v152
	s_clause 0x1
	buffer_load_dword v139, off, s[0:3], 0 offset:276
	buffer_load_dword v152, off, s[0:3], 0 offset:284
	v_add_f32_e32 v3, v3, v113
	v_add_f32_e32 v2, v2, v138
	buffer_load_dword v138, off, s[0:3], 0 offset:292
	v_add_f32_e32 v3, v3, v109
	v_add_f32_e32 v2, v2, v153
	s_clause 0x3
	buffer_load_dword v130, off, s[0:3], 0 offset:300
	buffer_load_dword v153, off, s[0:3], 0 offset:308
	;; [unrolled: 1-line block ×4, first 2 shown]
	v_add_f32_e32 v3, v3, v6
	v_add_f32_e32 v2, v2, v132
	s_clause 0x1
	buffer_load_dword v131, off, s[0:3], 0 offset:332
	buffer_load_dword v132, off, s[0:3], 0 offset:340
	v_add_f32_e32 v3, v3, v106
	v_add_f32_e32 v2, v2, v8
	s_clause 0x1
	buffer_load_dword v8, off, s[0:3], 0 offset:348
	buffer_load_dword v158, off, s[0:3], 0 offset:356
	v_add_f32_e32 v3, v3, v107
	v_add_f32_e32 v2, v2, v133
	s_clause 0x8
	buffer_load_dword v133, off, s[0:3], 0 offset:320
	buffer_load_dword v159, off, s[0:3], 0 offset:312
	buffer_load_dword v160, off, s[0:3], 0 offset:304
	buffer_load_dword v161, off, s[0:3], 0 offset:296
	;; [unrolled: 1-line block ×7, first 2 shown]
	v_add_f32_e32 v3, v3, v112
	v_add_f32_e32 v2, v2, v111
	ds_read_b128 v[100:103], v1 offset:624
	v_add_f32_e32 v2, v2, v7
	v_add_f32_e32 v7, v3, v115
	;; [unrolled: 1-line block ×7, first 2 shown]
	ds_read_b128 v[2:5], v1 offset:608
	v_add_f32_e32 v7, v7, v121
	v_add_f32_e32 v6, v6, v117
	;; [unrolled: 1-line block ×6, first 2 shown]
	s_waitcnt vmcnt(27) lgkmcnt(0)
	v_mul_f32_e32 v117, v4, v154
	v_mul_f32_e32 v105, v5, v154
	v_add_f32_e32 v6, v6, v125
	v_fmac_f32_e32 v117, v5, v142
	v_fma_f32 v119, v4, v142, -v105
	v_add_f32_e32 v6, v6, v126
	v_add_f32_e32 v6, v6, v128
	;; [unrolled: 1-line block ×3, first 2 shown]
	s_waitcnt vmcnt(26)
	v_mul_f32_e32 v116, v2, v140
	v_mul_f32_e32 v104, v3, v140
	v_fmac_f32_e32 v116, v3, v143
	v_add_f32_e32 v3, v7, v122
	v_fma_f32 v118, v2, v143, -v104
	v_add_f32_e32 v7, v3, v124
	ds_read_b128 v[2:5], v1 offset:640
	ds_read_b128 v[104:107], v1 offset:656
	v_add_f32_e32 v124, v6, v144
	ds_read_b128 v[108:111], v1 offset:672
	v_add_f32_e32 v7, v7, v134
	v_add_f32_e32 v124, v124, v129
	;; [unrolled: 1-line block ×3, first 2 shown]
	s_waitcnt vmcnt(25)
	v_mul_f32_e32 v112, v101, v146
	v_mul_f32_e32 v120, v100, v146
	v_add_f32_e32 v116, v124, v116
	v_add_f32_e32 v7, v7, v137
	s_waitcnt vmcnt(24)
	v_mul_f32_e32 v122, v103, v147
	v_fma_f32 v123, v100, v141, -v112
	v_mul_f32_e32 v121, v102, v147
	v_fmac_f32_e32 v120, v101, v141
	v_add_f32_e32 v125, v7, v145
	v_add_f32_e32 v116, v116, v117
	s_waitcnt vmcnt(20)
	v_fma_f32 v122, v102, v155, -v122
	v_fmac_f32_e32 v121, v103, v155
	ds_read_b128 v[112:115], v1 offset:688
	v_add_f32_e32 v118, v125, v118
	s_waitcnt vmcnt(19) lgkmcnt(3)
	v_mul_f32_e32 v125, v3, v139
	v_mul_f32_e32 v126, v2, v139
	v_add_f32_e32 v116, v116, v120
	s_waitcnt vmcnt(18)
	v_mul_f32_e32 v128, v5, v152
	v_add_f32_e32 v118, v118, v119
	v_fma_f32 v2, v2, v151, -v125
	v_mul_f32_e32 v127, v4, v152
	v_fmac_f32_e32 v126, v3, v151
	v_add_f32_e32 v116, v116, v121
	v_add_f32_e32 v118, v118, v123
	s_waitcnt vmcnt(17) lgkmcnt(2)
	v_mul_f32_e32 v125, v105, v138
	v_fma_f32 v4, v4, v150, -v128
	v_mul_f32_e32 v124, v104, v138
	v_fmac_f32_e32 v127, v5, v150
	v_add_f32_e32 v118, v118, v122
	v_add_f32_e32 v5, v116, v126
	s_waitcnt vmcnt(16)
	v_mul_f32_e32 v116, v107, v130
	v_fma_f32 v104, v104, v149, -v125
	v_mul_f32_e32 v119, v106, v130
	v_add_f32_e32 v2, v118, v2
	v_fmac_f32_e32 v124, v105, v149
	ds_read_b128 v[100:103], v1 offset:704
	ds_read_b64 v[6:7], v1 offset:720
	s_waitcnt vmcnt(15) lgkmcnt(3)
	v_mul_f32_e32 v129, v108, v153
	s_waitcnt vmcnt(14)
	v_mul_f32_e32 v117, v110, v156
	v_add_f32_e32 v2, v2, v4
	v_add_f32_e32 v4, v5, v127
	v_mul_f32_e32 v5, v109, v153
	s_waitcnt vmcnt(5)
	v_fma_f32 v105, v106, v161, -v116
	v_fmac_f32_e32 v119, v107, v161
	v_add_f32_e32 v2, v2, v104
	v_add_f32_e32 v4, v4, v124
	v_mul_f32_e32 v104, v111, v156
	v_fma_f32 v5, v108, v160, -v5
	v_fmac_f32_e32 v129, v109, v160
	v_add_f32_e32 v2, v2, v105
	v_add_f32_e32 v4, v4, v119
	s_waitcnt lgkmcnt(2)
	v_mul_f32_e32 v105, v113, v157
	v_fma_f32 v104, v110, v159, -v104
	v_mul_f32_e32 v123, v112, v157
	v_add_f32_e32 v2, v2, v5
	v_fmac_f32_e32 v117, v111, v159
	v_add_f32_e32 v4, v4, v129
	v_mul_f32_e32 v5, v115, v131
	v_fma_f32 v105, v112, v133, -v105
	v_add_f32_e32 v2, v2, v104
	v_mul_f32_e32 v3, v114, v131
	v_fmac_f32_e32 v123, v113, v133
	v_add_f32_e32 v4, v4, v117
	s_waitcnt lgkmcnt(1)
	v_mul_f32_e32 v104, v101, v132
	s_waitcnt vmcnt(1)
	v_fma_f32 v5, v114, v165, -v5
	v_add_f32_e32 v2, v2, v105
	v_mul_f32_e32 v120, v100, v132
	v_fmac_f32_e32 v3, v115, v165
	v_add_f32_e32 v4, v4, v123
	v_mul_f32_e32 v122, v102, v8
	v_mul_f32_e32 v8, v103, v8
	v_fma_f32 v100, v100, v164, -v104
	v_add_f32_e32 v2, v2, v5
	v_fmac_f32_e32 v120, v101, v164
	v_add_f32_e32 v3, v4, v3
	s_waitcnt lgkmcnt(0)
	v_mul_f32_e32 v4, v7, v158
	v_fma_f32 v5, v102, v163, -v8
	v_add_f32_e32 v2, v2, v100
	v_mul_f32_e32 v121, v6, v158
	v_fmac_f32_e32 v122, v103, v163
	v_add_f32_e32 v3, v3, v120
	v_fma_f32 v4, v6, v162, -v4
	v_add_f32_e32 v2, v2, v5
	v_fmac_f32_e32 v121, v7, v162
	v_add_f32_e32 v3, v3, v122
	v_add_f32_e32 v2, v2, v4
	;; [unrolled: 1-line block ×3, first 2 shown]
	s_waitcnt vmcnt(0)
	v_sub_f32_e32 v2, v166, v2
	v_sub_f32_e32 v3, v148, v3
	buffer_store_dword v2, off, s[0:3], 0 offset:40
	buffer_store_dword v3, off, s[0:3], 0 offset:44
	v_cmpx_lt_u32_e32 4, v0
	s_cbranch_execz .LBB108_275
; %bb.274:
	s_clause 0x1
	buffer_load_dword v2, off, s[0:3], 0 offset:32
	buffer_load_dword v3, off, s[0:3], 0 offset:36
	buffer_store_dword v1, off, s[0:3], 0 offset:32
	buffer_store_dword v1, off, s[0:3], 0 offset:36
	s_waitcnt vmcnt(0)
	ds_write_b64 v99, v[2:3]
.LBB108_275:
	s_or_b32 exec_lo, exec_lo, s4
	s_waitcnt lgkmcnt(0)
	s_waitcnt_vscnt null, 0x0
	s_barrier
	buffer_gl0_inv
	s_clause 0x2c
	buffer_load_dword v6, off, s[0:3], 0 offset:44
	buffer_load_dword v7, off, s[0:3], 0 offset:52
	;; [unrolled: 1-line block ×45, first 2 shown]
	ds_read2_b64 v[2:5], v1 offset0:51 offset1:52
	ds_read2_b64 v[100:103], v1 offset0:53 offset1:54
	s_clause 0x2
	buffer_load_dword v148, off, s[0:3], 0 offset:36
	buffer_load_dword v149, off, s[0:3], 0 offset:220
	;; [unrolled: 1-line block ×3, first 2 shown]
	s_mov_b32 s4, exec_lo
	s_waitcnt vmcnt(47) lgkmcnt(1)
	v_mul_f32_e32 v146, v3, v6
	v_mul_f32_e32 v6, v2, v6
	s_waitcnt vmcnt(46)
	v_mul_f32_e32 v147, v4, v7
	v_mul_f32_e32 v7, v5, v7
	s_waitcnt vmcnt(43)
	v_fma_f32 v146, v2, v105, -v146
	v_fmac_f32_e32 v6, v3, v105
	v_fmac_f32_e32 v147, v5, v104
	v_fma_f32 v7, v4, v104, -v7
	ds_read2_b64 v[2:5], v1 offset0:55 offset1:56
	s_waitcnt vmcnt(42) lgkmcnt(1)
	v_mul_f32_e32 v104, v100, v106
	v_mul_f32_e32 v105, v101, v106
	s_waitcnt vmcnt(41)
	v_mul_f32_e32 v106, v102, v107
	v_mul_f32_e32 v107, v103, v107
	v_fmac_f32_e32 v104, v101, v8
	v_fma_f32 v8, v100, v8, -v105
	s_waitcnt vmcnt(37)
	v_fmac_f32_e32 v106, v103, v111
	v_fma_f32 v105, v102, v111, -v107
	ds_read2_b64 v[100:103], v1 offset0:57 offset1:58
	s_waitcnt vmcnt(36) lgkmcnt(1)
	v_mul_f32_e32 v107, v2, v112
	v_mul_f32_e32 v111, v3, v112
	s_waitcnt vmcnt(35)
	v_mul_f32_e32 v112, v4, v113
	v_mul_f32_e32 v113, v5, v113
	v_fmac_f32_e32 v107, v3, v110
	v_fma_f32 v110, v2, v110, -v111
	v_fmac_f32_e32 v112, v5, v109
	v_fma_f32 v109, v4, v109, -v113
	ds_read2_b64 v[2:5], v1 offset0:59 offset1:60
	s_waitcnt vmcnt(34) lgkmcnt(1)
	v_mul_f32_e32 v111, v100, v114
	v_mul_f32_e32 v113, v101, v114
	s_waitcnt vmcnt(33)
	v_mul_f32_e32 v114, v102, v115
	v_mul_f32_e32 v115, v103, v115
	v_fmac_f32_e32 v111, v101, v108
	v_fma_f32 v108, v100, v108, -v113
	s_waitcnt vmcnt(29)
	v_fmac_f32_e32 v114, v103, v119
	v_fma_f32 v113, v102, v119, -v115
	ds_read2_b64 v[100:103], v1 offset0:61 offset1:62
	s_waitcnt vmcnt(28) lgkmcnt(1)
	v_mul_f32_e32 v115, v2, v120
	v_mul_f32_e32 v119, v3, v120
	s_waitcnt vmcnt(27)
	v_mul_f32_e32 v120, v4, v121
	v_mul_f32_e32 v121, v5, v121
	v_fmac_f32_e32 v115, v3, v118
	v_fma_f32 v118, v2, v118, -v119
	;; [unrolled: 23-line block ×5, first 2 shown]
	v_fmac_f32_e32 v144, v5, v141
	v_fma_f32 v141, v4, v141, -v145
	s_clause 0x5
	buffer_load_dword v143, off, s[0:3], 0 offset:248
	buffer_load_dword v145, off, s[0:3], 0 offset:240
	;; [unrolled: 1-line block ×6, first 2 shown]
	v_add_f32_e32 v4, 0, v6
	buffer_load_dword v6, off, s[0:3], 0 offset:252
	v_add_f32_e32 v3, 0, v146
	s_waitcnt vmcnt(8) lgkmcnt(0)
	v_mul_f32_e32 v5, v101, v149
	s_waitcnt vmcnt(7)
	v_mul_f32_e32 v156, v102, v150
	v_add_f32_e32 v4, v4, v147
	v_add_f32_e32 v3, v3, v7
	v_mul_f32_e32 v7, v100, v149
	v_add_f32_e32 v4, v4, v104
	v_add_f32_e32 v3, v3, v8
	s_clause 0x7
	buffer_load_dword v8, off, s[0:3], 0 offset:260
	buffer_load_dword v146, off, s[0:3], 0 offset:280
	;; [unrolled: 1-line block ×8, first 2 shown]
	v_add_f32_e32 v3, v3, v105
	v_add_f32_e32 v4, v4, v106
	v_fmac_f32_e32 v7, v101, v140
	v_fma_f32 v140, v100, v140, -v5
	v_mul_f32_e32 v5, v103, v150
	v_add_f32_e32 v3, v3, v110
	v_add_f32_e32 v4, v4, v107
	s_clause 0x7
	buffer_load_dword v150, off, s[0:3], 0 offset:276
	buffer_load_dword v159, off, s[0:3], 0 offset:300
	;; [unrolled: 1-line block ×8, first 2 shown]
	v_add_f32_e32 v3, v3, v109
	v_add_f32_e32 v4, v4, v112
	buffer_load_dword v166, off, s[0:3], 0 offset:356
	s_waitcnt vmcnt(20)
	v_fmac_f32_e32 v156, v103, v2
	v_fma_f32 v112, v102, v2, -v5
	v_add_f32_e32 v2, v3, v108
	v_add_f32_e32 v3, v4, v111
	;; [unrolled: 1-line block ×8, first 2 shown]
	s_clause 0x3
	buffer_load_dword v120, off, s[0:3], 0 offset:312
	buffer_load_dword v167, off, s[0:3], 0 offset:304
	;; [unrolled: 1-line block ×4, first 2 shown]
	v_add_f32_e32 v2, v2, v116
	v_add_f32_e32 v3, v3, v119
	;; [unrolled: 1-line block ×4, first 2 shown]
	s_clause 0x3
	buffer_load_dword v121, off, s[0:3], 0 offset:344
	buffer_load_dword v122, off, s[0:3], 0 offset:336
	buffer_load_dword v170, off, s[0:3], 0 offset:328
	buffer_load_dword v171, off, s[0:3], 0 offset:320
	v_add_f32_e32 v2, v2, v126
	buffer_load_dword v126, off, s[0:3], 0 offset:352
	v_add_f32_e32 v3, v3, v123
	buffer_load_dword v123, off, s[0:3], 0 offset:32
	v_add_f32_e32 v2, v2, v125
	v_add_f32_e32 v3, v3, v128
	;; [unrolled: 1-line block ×4, first 2 shown]
	ds_read2_b64 v[2:5], v1 offset0:75 offset1:76
	v_add_f32_e32 v100, v100, v129
	v_add_f32_e32 v101, v101, v130
	;; [unrolled: 1-line block ×4, first 2 shown]
	ds_read2_b64 v[100:103], v1 offset0:77 offset1:78
	v_add_f32_e32 v104, v104, v133
	v_add_f32_e32 v105, v105, v136
	;; [unrolled: 1-line block ×4, first 2 shown]
	s_waitcnt vmcnt(29) lgkmcnt(1)
	v_mul_f32_e32 v124, v2, v152
	v_mul_f32_e32 v106, v3, v152
	s_waitcnt vmcnt(28)
	v_mul_f32_e32 v125, v4, v153
	v_mul_f32_e32 v107, v5, v153
	v_add_f32_e32 v109, v104, v137
	v_fmac_f32_e32 v124, v3, v151
	v_fma_f32 v116, v2, v151, -v106
	v_fmac_f32_e32 v125, v5, v145
	v_fma_f32 v127, v4, v145, -v107
	ds_read2_b64 v[2:5], v1 offset0:79 offset1:80
	ds_read2_b64 v[104:107], v1 offset0:81 offset1:82
	v_add_f32_e32 v108, v108, v138
	s_waitcnt vmcnt(27) lgkmcnt(2)
	v_mul_f32_e32 v128, v100, v6
	v_add_f32_e32 v109, v109, v142
	v_mul_f32_e32 v6, v101, v6
	s_waitcnt vmcnt(26)
	v_mul_f32_e32 v129, v102, v8
	v_add_f32_e32 v108, v108, v139
	v_fmac_f32_e32 v128, v101, v143
	v_add_f32_e32 v101, v109, v141
	v_mul_f32_e32 v8, v103, v8
	v_fma_f32 v6, v100, v143, -v6
	v_add_f32_e32 v113, v108, v144
	s_waitcnt vmcnt(22)
	v_fmac_f32_e32 v129, v103, v154
	v_add_f32_e32 v114, v101, v140
	v_fma_f32 v8, v102, v154, -v8
	ds_read2_b64 v[100:103], v1 offset0:83 offset1:84
	ds_read2_b64 v[108:111], v1 offset0:85 offset1:86
	v_add_f32_e32 v7, v113, v7
	v_add_f32_e32 v118, v114, v112
	s_waitcnt vmcnt(21) lgkmcnt(3)
	v_mul_f32_e32 v130, v2, v155
	v_mul_f32_e32 v117, v3, v155
	v_add_f32_e32 v7, v7, v156
	ds_read2_b64 v[112:115], v1 offset0:87 offset1:88
	s_waitcnt vmcnt(20) lgkmcnt(3)
	v_mul_f32_e32 v131, v105, v157
	v_fmac_f32_e32 v130, v3, v149
	v_add_f32_e32 v3, v118, v116
	v_fma_f32 v2, v2, v149, -v117
	ds_read2_b64 v[116:119], v1 offset0:89 offset1:90
	v_add_f32_e32 v1, v7, v124
	s_waitcnt vmcnt(18)
	v_mul_f32_e32 v124, v5, v150
	v_add_f32_e32 v3, v3, v127
	v_mul_f32_e32 v7, v4, v150
	v_mul_f32_e32 v127, v104, v157
	v_add_f32_e32 v1, v1, v125
	v_fma_f32 v4, v4, v147, -v124
	v_add_f32_e32 v3, v3, v6
	v_fmac_f32_e32 v7, v5, v147
	v_fma_f32 v104, v104, v146, -v131
	v_add_f32_e32 v1, v1, v128
	v_mul_f32_e32 v125, v106, v158
	v_add_f32_e32 v3, v3, v8
	v_mul_f32_e32 v8, v107, v158
	v_fmac_f32_e32 v127, v105, v146
	v_add_f32_e32 v1, v1, v129
	s_waitcnt vmcnt(17) lgkmcnt(3)
	v_mul_f32_e32 v5, v100, v159
	v_add_f32_e32 v2, v3, v2
	s_waitcnt vmcnt(16)
	v_mul_f32_e32 v124, v102, v160
	s_waitcnt vmcnt(15) lgkmcnt(2)
	v_mul_f32_e32 v6, v108, v161
	v_add_f32_e32 v1, v1, v130
	s_waitcnt vmcnt(14)
	v_mul_f32_e32 v128, v110, v162
	v_add_f32_e32 v2, v2, v4
	v_mul_f32_e32 v4, v101, v159
	s_waitcnt vmcnt(13) lgkmcnt(1)
	v_mul_f32_e32 v132, v112, v163
	v_add_f32_e32 v1, v1, v7
	s_waitcnt vmcnt(12)
	v_mul_f32_e32 v129, v114, v164
	v_add_f32_e32 v2, v2, v104
	s_waitcnt vmcnt(11) lgkmcnt(0)
	v_mul_f32_e32 v133, v116, v165
	s_waitcnt vmcnt(10)
	v_mul_f32_e32 v3, v118, v166
	v_add_f32_e32 v1, v1, v127
	s_waitcnt vmcnt(9)
	v_fmac_f32_e32 v6, v109, v120
	s_waitcnt vmcnt(8)
	v_fmac_f32_e32 v124, v103, v167
	s_waitcnt vmcnt(7)
	v_fma_f32 v4, v100, v168, -v4
	s_waitcnt vmcnt(6)
	v_fma_f32 v7, v106, v169, -v8
	v_fmac_f32_e32 v125, v107, v169
	v_mul_f32_e32 v8, v103, v160
	v_fmac_f32_e32 v5, v101, v168
	v_add_f32_e32 v2, v2, v7
	v_add_f32_e32 v1, v1, v125
	v_mul_f32_e32 v7, v109, v161
	v_fma_f32 v8, v102, v167, -v8
	s_waitcnt vmcnt(3)
	v_fmac_f32_e32 v132, v113, v170
	v_add_f32_e32 v2, v2, v4
	v_add_f32_e32 v1, v1, v5
	v_mul_f32_e32 v4, v111, v162
	v_fma_f32 v5, v108, v120, -v7
	v_mul_f32_e32 v7, v113, v163
	v_add_f32_e32 v2, v2, v8
	v_add_f32_e32 v1, v1, v124
	s_waitcnt vmcnt(2)
	v_fma_f32 v4, v110, v171, -v4
	v_fmac_f32_e32 v128, v111, v171
	v_fmac_f32_e32 v129, v115, v122
	v_add_f32_e32 v2, v2, v5
	v_add_f32_e32 v1, v1, v6
	v_mul_f32_e32 v5, v115, v164
	v_fma_f32 v6, v112, v170, -v7
	v_fmac_f32_e32 v133, v117, v121
	v_add_f32_e32 v2, v2, v4
	v_add_f32_e32 v1, v1, v128
	v_mul_f32_e32 v4, v117, v165
	v_fma_f32 v5, v114, v122, -v5
	s_waitcnt vmcnt(1)
	v_fmac_f32_e32 v3, v119, v126
	v_add_f32_e32 v2, v2, v6
	v_add_f32_e32 v1, v1, v132
	v_mul_f32_e32 v6, v119, v166
	v_fma_f32 v4, v116, v121, -v4
	v_add_f32_e32 v2, v2, v5
	v_add_f32_e32 v1, v1, v129
	v_fma_f32 v5, v118, v126, -v6
	v_add_f32_e32 v2, v2, v4
	v_add_f32_e32 v1, v1, v133
	;; [unrolled: 1-line block ×4, first 2 shown]
	s_waitcnt vmcnt(0)
	v_sub_f32_e32 v2, v123, v2
	v_sub_f32_e32 v1, v148, v1
	buffer_store_dword v2, off, s[0:3], 0 offset:32
	buffer_store_dword v1, off, s[0:3], 0 offset:36
	v_cmpx_lt_u32_e32 3, v0
	s_cbranch_execz .LBB108_277
; %bb.276:
	s_clause 0x1
	buffer_load_dword v1, off, s[0:3], 0 offset:24
	buffer_load_dword v2, off, s[0:3], 0 offset:28
	v_mov_b32_e32 v3, 0
	buffer_store_dword v3, off, s[0:3], 0 offset:24
	buffer_store_dword v3, off, s[0:3], 0 offset:28
	s_waitcnt vmcnt(0)
	ds_write_b64 v99, v[1:2]
.LBB108_277:
	s_or_b32 exec_lo, exec_lo, s4
	s_waitcnt lgkmcnt(0)
	s_waitcnt_vscnt null, 0x0
	s_barrier
	buffer_gl0_inv
	s_clause 0x24
	buffer_load_dword v2, off, s[0:3], 0 offset:36
	buffer_load_dword v3, off, s[0:3], 0 offset:44
	;; [unrolled: 1-line block ×37, first 2 shown]
	v_mov_b32_e32 v1, 0
	ds_read_b128 v[108:111], v1 offset:400
	ds_read_b128 v[112:115], v1 offset:416
	;; [unrolled: 1-line block ×3, first 2 shown]
	s_clause 0x1
	buffer_load_dword v146, off, s[0:3], 0 offset:180
	buffer_load_dword v147, off, s[0:3], 0 offset:28
	ds_read_b128 v[120:123], v1 offset:448
	s_mov_b32 s4, exec_lo
	s_waitcnt vmcnt(38) lgkmcnt(3)
	v_mul_f32_e32 v148, v109, v2
	v_mul_f32_e32 v2, v108, v2
	s_waitcnt vmcnt(37)
	v_mul_f32_e32 v149, v110, v3
	v_mul_f32_e32 v3, v111, v3
	s_waitcnt vmcnt(34)
	v_fma_f32 v148, v108, v126, -v148
	v_fmac_f32_e32 v2, v109, v126
	v_fmac_f32_e32 v149, v111, v125
	v_fma_f32 v3, v110, v125, -v3
	ds_read_b128 v[108:111], v1 offset:464
	s_waitcnt vmcnt(33) lgkmcnt(3)
	v_mul_f32_e32 v125, v112, v127
	v_mul_f32_e32 v126, v113, v127
	s_waitcnt vmcnt(32)
	v_mul_f32_e32 v127, v114, v128
	v_mul_f32_e32 v128, v115, v128
	s_waitcnt vmcnt(31) lgkmcnt(2)
	v_mul_f32_e32 v150, v116, v129
	v_fmac_f32_e32 v125, v113, v124
	v_fma_f32 v124, v112, v124, -v126
	s_waitcnt vmcnt(26)
	v_fmac_f32_e32 v127, v115, v134
	v_fma_f32 v128, v114, v134, -v128
	ds_read_b128 v[112:115], v1 offset:480
	v_mul_f32_e32 v129, v117, v129
	v_mul_f32_e32 v126, v118, v130
	;; [unrolled: 1-line block ×3, first 2 shown]
	v_fmac_f32_e32 v150, v117, v133
	s_waitcnt vmcnt(24) lgkmcnt(2)
	v_mul_f32_e32 v134, v122, v136
	v_fma_f32 v129, v116, v133, -v129
	v_fmac_f32_e32 v126, v119, v132
	v_fma_f32 v130, v118, v132, -v130
	v_mul_f32_e32 v132, v120, v135
	v_mul_f32_e32 v133, v121, v135
	;; [unrolled: 1-line block ×3, first 2 shown]
	ds_read_b128 v[116:119], v1 offset:496
	s_waitcnt vmcnt(19)
	v_fmac_f32_e32 v134, v123, v139
	v_fmac_f32_e32 v132, v121, v131
	v_fma_f32 v120, v120, v131, -v133
	v_fma_f32 v121, v122, v139, -v135
	s_clause 0x4
	buffer_load_dword v122, off, s[0:3], 0 offset:188
	buffer_load_dword v123, off, s[0:3], 0 offset:208
	;; [unrolled: 1-line block ×5, first 2 shown]
	s_waitcnt lgkmcnt(2)
	v_mul_f32_e32 v136, v108, v137
	v_mul_f32_e32 v137, v109, v137
	s_waitcnt vmcnt(23)
	v_mul_f32_e32 v139, v110, v140
	v_mul_f32_e32 v140, v111, v140
	s_waitcnt vmcnt(21) lgkmcnt(1)
	v_mul_f32_e32 v151, v114, v142
	v_fmac_f32_e32 v136, v109, v138
	v_fma_f32 v137, v108, v138, -v137
	v_mul_f32_e32 v138, v112, v141
	v_mul_f32_e32 v108, v113, v141
	buffer_load_dword v141, off, s[0:3], 0 offset:196
	v_fmac_f32_e32 v139, v111, v105
	v_fma_f32 v140, v110, v105, -v140
	v_mul_f32_e32 v105, v115, v142
	v_fmac_f32_e32 v138, v113, v8
	v_fma_f32 v8, v112, v8, -v108
	ds_read_b128 v[108:111], v1 offset:512
	s_waitcnt vmcnt(18)
	v_fmac_f32_e32 v151, v115, v143
	v_fma_f32 v142, v114, v143, -v105
	ds_read_b128 v[112:115], v1 offset:528
	s_waitcnt vmcnt(17) lgkmcnt(2)
	v_mul_f32_e32 v143, v116, v144
	v_mul_f32_e32 v105, v117, v144
	s_waitcnt vmcnt(16)
	v_mul_f32_e32 v144, v118, v145
	v_mul_f32_e32 v145, v119, v145
	v_add_f32_e32 v2, 0, v2
	v_fmac_f32_e32 v143, v117, v106
	v_fma_f32 v116, v116, v106, -v105
	v_fmac_f32_e32 v144, v119, v100
	v_fma_f32 v117, v118, v100, -v145
	s_clause 0x2
	buffer_load_dword v118, off, s[0:3], 0 offset:204
	buffer_load_dword v119, off, s[0:3], 0 offset:212
	;; [unrolled: 1-line block ×3, first 2 shown]
	s_waitcnt vmcnt(18) lgkmcnt(1)
	v_mul_f32_e32 v145, v108, v102
	v_mul_f32_e32 v100, v109, v102
	s_waitcnt vmcnt(17)
	v_mul_f32_e32 v152, v110, v101
	v_mul_f32_e32 v101, v111, v101
	v_fmac_f32_e32 v145, v109, v5
	v_fma_f32 v109, v108, v5, -v100
	s_waitcnt vmcnt(13)
	v_fmac_f32_e32 v152, v111, v107
	s_waitcnt vmcnt(12) lgkmcnt(0)
	v_mul_f32_e32 v111, v112, v104
	v_mul_f32_e32 v5, v113, v104
	s_waitcnt vmcnt(11)
	v_mul_f32_e32 v104, v114, v103
	v_mul_f32_e32 v100, v115, v103
	v_fma_f32 v110, v110, v107, -v101
	ds_read_b128 v[105:108], v1 offset:544
	v_fmac_f32_e32 v111, v113, v7
	v_fma_f32 v7, v112, v7, -v5
	v_fmac_f32_e32 v104, v115, v6
	v_fma_f32 v6, v114, v6, -v100
	s_clause 0x4
	buffer_load_dword v112, off, s[0:3], 0 offset:240
	buffer_load_dword v113, off, s[0:3], 0 offset:232
	;; [unrolled: 1-line block ×5, first 2 shown]
	v_add_f32_e32 v5, 0, v148
	v_add_f32_e32 v3, v5, v3
	;; [unrolled: 1-line block ×3, first 2 shown]
	s_waitcnt vmcnt(15) lgkmcnt(0)
	v_mul_f32_e32 v148, v105, v146
	v_mul_f32_e32 v100, v106, v146
	v_add_f32_e32 v101, v101, v128
	v_fmac_f32_e32 v148, v106, v4
	buffer_load_dword v106, off, s[0:3], 0 offset:236
	v_fma_f32 v105, v105, v4, -v100
	v_add_f32_e32 v100, v2, v149
	ds_read_b128 v[2:5], v1 offset:560
	v_add_f32_e32 v101, v101, v129
	v_add_f32_e32 v100, v100, v125
	buffer_load_dword v125, off, s[0:3], 0 offset:252
	v_add_f32_e32 v100, v100, v127
	v_add_f32_e32 v127, v101, v130
	;; [unrolled: 1-line block ×3, first 2 shown]
	s_waitcnt vmcnt(15)
	v_mul_f32_e32 v124, v107, v122
	v_mul_f32_e32 v102, v108, v122
	buffer_load_dword v122, off, s[0:3], 0 offset:244
	s_waitcnt vmcnt(12)
	v_fmac_f32_e32 v124, v108, v135
	v_add_f32_e32 v108, v100, v150
	v_fma_f32 v107, v107, v135, -v102
	ds_read_b128 v[100:103], v1 offset:576
	v_add_f32_e32 v108, v108, v126
	s_clause 0x3
	buffer_load_dword v126, off, s[0:3], 0 offset:272
	buffer_load_dword v127, off, s[0:3], 0 offset:264
	;; [unrolled: 1-line block ×4, first 2 shown]
	s_waitcnt vmcnt(15) lgkmcnt(1)
	v_mul_f32_e32 v128, v2, v141
	v_mul_f32_e32 v129, v3, v141
	v_fmac_f32_e32 v128, v3, v133
	v_fma_f32 v129, v2, v133, -v129
	v_add_f32_e32 v2, v108, v132
	s_clause 0x1
	buffer_load_dword v132, off, s[0:3], 0 offset:260
	buffer_load_dword v133, off, s[0:3], 0 offset:268
	v_add_f32_e32 v3, v120, v121
	buffer_load_dword v120, off, s[0:3], 0 offset:276
	v_add_f32_e32 v2, v2, v134
	v_add_f32_e32 v3, v3, v137
	;; [unrolled: 1-line block ×3, first 2 shown]
	s_waitcnt vmcnt(17)
	v_mul_f32_e32 v108, v4, v118
	v_add_f32_e32 v140, v3, v140
	v_mul_f32_e32 v118, v5, v118
	v_add_f32_e32 v121, v121, v139
	s_waitcnt vmcnt(16) lgkmcnt(0)
	v_mul_f32_e32 v139, v100, v119
	v_add_f32_e32 v8, v140, v8
	v_mul_f32_e32 v119, v101, v119
	v_fmac_f32_e32 v108, v5, v131
	v_add_f32_e32 v121, v121, v138
	v_fma_f32 v118, v4, v131, -v118
	s_clause 0x3
	buffer_load_dword v131, off, s[0:3], 0 offset:284
	buffer_load_dword v134, off, s[0:3], 0 offset:292
	;; [unrolled: 1-line block ×4, first 2 shown]
	ds_read_b128 v[2:5], v1 offset:592
	v_add_f32_e32 v8, v8, v142
	s_waitcnt vmcnt(19)
	v_mul_f32_e32 v140, v102, v153
	v_mul_f32_e32 v138, v103, v153
	v_fma_f32 v119, v100, v123, -v119
	v_add_f32_e32 v100, v121, v151
	v_add_f32_e32 v8, v8, v116
	v_fmac_f32_e32 v139, v101, v123
	s_clause 0x3
	buffer_load_dword v121, off, s[0:3], 0 offset:316
	buffer_load_dword v123, off, s[0:3], 0 offset:324
	;; [unrolled: 1-line block ×4, first 2 shown]
	v_add_f32_e32 v100, v100, v143
	v_add_f32_e32 v8, v8, v117
	s_waitcnt vmcnt(19)
	v_fmac_f32_e32 v140, v103, v115
	v_fma_f32 v115, v102, v115, -v138
	s_clause 0x5
	buffer_load_dword v138, off, s[0:3], 0 offset:348
	buffer_load_dword v116, off, s[0:3], 0 offset:304
	;; [unrolled: 1-line block ×6, first 2 shown]
	v_add_f32_e32 v117, v100, v144
	v_add_f32_e32 v8, v8, v109
	ds_read_b128 v[100:103], v1 offset:608
	s_waitcnt vmcnt(24) lgkmcnt(1)
	v_mul_f32_e32 v144, v3, v154
	v_add_f32_e32 v109, v117, v145
	v_mul_f32_e32 v117, v2, v154
	v_add_f32_e32 v8, v8, v110
	v_fmac_f32_e32 v117, v3, v114
	v_fma_f32 v114, v2, v114, -v144
	v_add_f32_e32 v3, v8, v7
	s_clause 0x3
	buffer_load_dword v8, off, s[0:3], 0 offset:336
	buffer_load_dword v144, off, s[0:3], 0 offset:328
	;; [unrolled: 1-line block ×4, first 2 shown]
	v_add_f32_e32 v2, v109, v152
	s_clause 0x2
	buffer_load_dword v152, off, s[0:3], 0 offset:352
	buffer_load_dword v153, off, s[0:3], 0 offset:344
	;; [unrolled: 1-line block ×3, first 2 shown]
	v_add_f32_e32 v3, v3, v6
	s_waitcnt vmcnt(30)
	v_mul_f32_e32 v155, v4, v106
	v_add_f32_e32 v2, v2, v111
	v_add_f32_e32 v6, v3, v105
	v_mul_f32_e32 v3, v5, v106
	v_add_f32_e32 v2, v2, v104
	v_fmac_f32_e32 v155, v5, v113
	s_waitcnt vmcnt(29) lgkmcnt(0)
	v_mul_f32_e32 v110, v103, v125
	v_add_f32_e32 v6, v6, v107
	ds_read_b128 v[104:107], v1 offset:640
	v_add_f32_e32 v7, v2, v148
	v_fma_f32 v148, v4, v113, -v3
	ds_read_b128 v[2:5], v1 offset:624
	v_add_f32_e32 v6, v6, v129
	v_add_f32_e32 v7, v7, v124
	;; [unrolled: 1-line block ×9, first 2 shown]
	s_waitcnt vmcnt(28)
	v_mul_f32_e32 v124, v100, v122
	v_mul_f32_e32 v109, v101, v122
	;; [unrolled: 1-line block ×3, first 2 shown]
	v_fmac_f32_e32 v124, v101, v112
	v_fma_f32 v125, v100, v112, -v109
	s_waitcnt vmcnt(24)
	v_fma_f32 v118, v102, v135, -v110
	v_fmac_f32_e32 v122, v103, v135
	ds_read_b128 v[100:103], v1 offset:656
	ds_read_b128 v[108:111], v1 offset:672
	s_waitcnt vmcnt(23) lgkmcnt(2)
	v_mul_f32_e32 v119, v2, v132
	v_mul_f32_e32 v112, v3, v132
	s_waitcnt vmcnt(22)
	v_mul_f32_e32 v128, v4, v133
	v_mul_f32_e32 v129, v5, v133
	s_waitcnt vmcnt(21)
	v_mul_f32_e32 v132, v104, v120
	v_fmac_f32_e32 v119, v3, v130
	v_fma_f32 v130, v2, v130, -v112
	v_add_f32_e32 v2, v7, v140
	v_fmac_f32_e32 v128, v5, v127
	v_fma_f32 v127, v4, v127, -v129
	v_add_f32_e32 v129, v6, v148
	v_mul_f32_e32 v120, v105, v120
	v_add_f32_e32 v117, v2, v117
	v_fmac_f32_e32 v132, v105, v126
	ds_read_b128 v[112:115], v1 offset:688
	ds_read_b128 v[2:5], v1 offset:704
	v_add_f32_e32 v125, v129, v125
	v_add_f32_e32 v117, v117, v155
	v_fma_f32 v104, v104, v126, -v120
	s_waitcnt vmcnt(20)
	v_mul_f32_e32 v129, v107, v131
	v_mul_f32_e32 v133, v106, v131
	v_add_f32_e32 v118, v125, v118
	v_add_f32_e32 v117, v117, v124
	s_waitcnt vmcnt(19) lgkmcnt(3)
	v_mul_f32_e32 v124, v100, v134
	v_mul_f32_e32 v126, v101, v134
	s_waitcnt vmcnt(18)
	v_mul_f32_e32 v125, v102, v136
	v_add_f32_e32 v118, v118, v130
	v_add_f32_e32 v117, v117, v122
	s_waitcnt vmcnt(17) lgkmcnt(2)
	v_mul_f32_e32 v131, v108, v137
	s_waitcnt vmcnt(16)
	v_mul_f32_e32 v122, v110, v121
	ds_read_b64 v[6:7], v1 offset:720
	v_add_f32_e32 v118, v118, v127
	v_add_f32_e32 v117, v117, v119
	s_waitcnt vmcnt(15) lgkmcnt(2)
	v_mul_f32_e32 v130, v112, v123
	s_waitcnt vmcnt(11)
	v_fmac_f32_e32 v131, v109, v116
	v_add_f32_e32 v104, v118, v104
	v_add_f32_e32 v117, v117, v128
	s_waitcnt vmcnt(8)
	v_fma_f32 v106, v106, v149, -v129
	v_fmac_f32_e32 v133, v107, v149
	v_fmac_f32_e32 v124, v101, v146
	v_fma_f32 v100, v100, v146, -v126
	v_add_f32_e32 v107, v117, v132
	v_mul_f32_e32 v117, v103, v136
	v_add_f32_e32 v101, v104, v106
	v_mul_f32_e32 v106, v109, v137
	v_fmac_f32_e32 v125, v103, v143
	v_add_f32_e32 v104, v107, v133
	v_fma_f32 v102, v102, v143, -v117
	v_add_f32_e32 v100, v101, v100
	v_mul_f32_e32 v103, v111, v121
	v_mul_f32_e32 v105, v114, v141
	v_add_f32_e32 v101, v104, v124
	v_fma_f32 v104, v108, v116, -v106
	v_add_f32_e32 v100, v100, v102
	v_mul_f32_e32 v102, v113, v123
	s_waitcnt vmcnt(3)
	v_fma_f32 v103, v110, v151, -v103
	v_add_f32_e32 v101, v101, v125
	v_fmac_f32_e32 v122, v111, v151
	v_add_f32_e32 v100, v100, v104
	v_mul_f32_e32 v104, v115, v141
	v_fma_f32 v102, v112, v145, -v102
	v_add_f32_e32 v101, v101, v131
	v_fmac_f32_e32 v130, v113, v145
	v_add_f32_e32 v100, v100, v103
	s_waitcnt lgkmcnt(1)
	v_mul_f32_e32 v119, v2, v142
	v_mul_f32_e32 v103, v3, v142
	v_add_f32_e32 v101, v101, v122
	v_fma_f32 v104, v114, v144, -v104
	v_add_f32_e32 v100, v100, v102
	v_fmac_f32_e32 v105, v115, v144
	v_mul_f32_e32 v102, v5, v138
	v_add_f32_e32 v101, v101, v130
	v_fmac_f32_e32 v119, v3, v8
	v_fma_f32 v2, v2, v8, -v103
	v_add_f32_e32 v3, v100, v104
	v_mul_f32_e32 v120, v4, v138
	v_add_f32_e32 v8, v101, v105
	s_waitcnt lgkmcnt(0)
	v_mul_f32_e32 v100, v7, v150
	s_waitcnt vmcnt(1)
	v_fma_f32 v4, v4, v153, -v102
	v_add_f32_e32 v2, v3, v2
	v_mul_f32_e32 v127, v6, v150
	v_fmac_f32_e32 v120, v5, v153
	v_add_f32_e32 v3, v8, v119
	v_fma_f32 v5, v6, v152, -v100
	v_add_f32_e32 v2, v2, v4
	v_fmac_f32_e32 v127, v7, v152
	v_add_f32_e32 v3, v3, v120
	v_add_f32_e32 v2, v2, v5
	;; [unrolled: 1-line block ×3, first 2 shown]
	s_waitcnt vmcnt(0)
	v_sub_f32_e32 v2, v154, v2
	v_sub_f32_e32 v3, v147, v3
	buffer_store_dword v2, off, s[0:3], 0 offset:24
	buffer_store_dword v3, off, s[0:3], 0 offset:28
	v_cmpx_lt_u32_e32 2, v0
	s_cbranch_execz .LBB108_279
; %bb.278:
	s_clause 0x1
	buffer_load_dword v2, off, s[0:3], 0 offset:16
	buffer_load_dword v3, off, s[0:3], 0 offset:20
	buffer_store_dword v1, off, s[0:3], 0 offset:16
	buffer_store_dword v1, off, s[0:3], 0 offset:20
	s_waitcnt vmcnt(0)
	ds_write_b64 v99, v[2:3]
.LBB108_279:
	s_or_b32 exec_lo, exec_lo, s4
	s_waitcnt lgkmcnt(0)
	s_waitcnt_vscnt null, 0x0
	s_barrier
	buffer_gl0_inv
	s_clause 0x24
	buffer_load_dword v128, off, s[0:3], 0 offset:28
	buffer_load_dword v2, off, s[0:3], 0 offset:36
	;; [unrolled: 1-line block ×37, first 2 shown]
	ds_read2_b64 v[112:115], v1 offset0:49 offset1:50
	ds_read2_b64 v[116:119], v1 offset0:51 offset1:52
	ds_read2_b64 v[120:123], v1 offset0:53 offset1:54
	s_clause 0x1
	buffer_load_dword v146, off, s[0:3], 0 offset:172
	buffer_load_dword v147, off, s[0:3], 0 offset:180
	ds_read2_b64 v[124:127], v1 offset0:55 offset1:56
	buffer_load_dword v149, off, s[0:3], 0 offset:20
	s_mov_b32 s4, exec_lo
	s_waitcnt vmcnt(39) lgkmcnt(3)
	v_mul_f32_e32 v148, v113, v128
	v_mul_f32_e32 v128, v112, v128
	s_waitcnt vmcnt(38)
	v_mul_f32_e32 v150, v114, v2
	v_mul_f32_e32 v2, v115, v2
	s_waitcnt vmcnt(35)
	v_fma_f32 v148, v112, v131, -v148
	v_fmac_f32_e32 v128, v113, v131
	v_fmac_f32_e32 v150, v115, v130
	v_fma_f32 v2, v114, v130, -v2
	s_waitcnt vmcnt(33) lgkmcnt(2)
	v_mul_f32_e32 v130, v118, v133
	v_mul_f32_e32 v113, v119, v133
	;; [unrolled: 1-line block ×4, first 2 shown]
	s_waitcnt vmcnt(32) lgkmcnt(1)
	v_mul_f32_e32 v132, v120, v134
	v_mul_f32_e32 v133, v121, v134
	s_waitcnt vmcnt(28)
	v_fmac_f32_e32 v130, v119, v137
	v_fma_f32 v134, v118, v137, -v113
	s_waitcnt vmcnt(27)
	v_mul_f32_e32 v137, v122, v138
	v_mul_f32_e32 v138, v123, v138
	v_fmac_f32_e32 v131, v117, v129
	v_fma_f32 v129, v116, v129, -v112
	ds_read2_b64 v[112:115], v1 offset0:57 offset1:58
	ds_read2_b64 v[116:119], v1 offset0:59 offset1:60
	v_fmac_f32_e32 v132, v121, v136
	v_fma_f32 v133, v120, v136, -v133
	s_waitcnt vmcnt(26) lgkmcnt(2)
	v_mul_f32_e32 v136, v124, v139
	v_mul_f32_e32 v120, v125, v139
	v_fmac_f32_e32 v137, v123, v135
	v_fma_f32 v135, v122, v135, -v138
	s_waitcnt vmcnt(25)
	v_mul_f32_e32 v138, v126, v140
	v_mul_f32_e32 v121, v127, v140
	s_clause 0x3
	buffer_load_dword v139, off, s[0:3], 0 offset:200
	buffer_load_dword v140, off, s[0:3], 0 offset:192
	;; [unrolled: 1-line block ×4, first 2 shown]
	v_fmac_f32_e32 v136, v125, v102
	v_fma_f32 v124, v124, v102, -v120
	s_waitcnt vmcnt(25)
	v_fmac_f32_e32 v138, v127, v141
	v_fma_f32 v125, v126, v141, -v121
	ds_read2_b64 v[120:123], v1 offset0:61 offset1:62
	s_clause 0x1
	buffer_load_dword v153, off, s[0:3], 0 offset:188
	buffer_load_dword v154, off, s[0:3], 0 offset:196
	s_waitcnt vmcnt(26) lgkmcnt(2)
	v_mul_f32_e32 v126, v112, v142
	v_mul_f32_e32 v102, v113, v142
	s_waitcnt vmcnt(25)
	v_mul_f32_e32 v127, v114, v143
	v_mul_f32_e32 v141, v115, v143
	s_waitcnt vmcnt(24) lgkmcnt(1)
	v_mul_f32_e32 v143, v116, v144
	v_fmac_f32_e32 v126, v113, v109
	v_fma_f32 v142, v112, v109, -v102
	v_fmac_f32_e32 v127, v115, v103
	v_fma_f32 v141, v114, v103, -v141
	ds_read2_b64 v[112:115], v1 offset0:63 offset1:64
	v_mul_f32_e32 v102, v117, v144
	s_waitcnt vmcnt(23)
	v_mul_f32_e32 v103, v119, v108
	v_mul_f32_e32 v144, v118, v108
	v_fmac_f32_e32 v143, v117, v6
	v_fma_f32 v6, v116, v6, -v102
	s_waitcnt vmcnt(19)
	v_fma_f32 v116, v118, v145, -v103
	s_waitcnt vmcnt(18) lgkmcnt(1)
	v_mul_f32_e32 v117, v120, v111
	v_mul_f32_e32 v102, v121, v111
	s_waitcnt vmcnt(17)
	v_mul_f32_e32 v118, v122, v110
	v_mul_f32_e32 v103, v123, v110
	ds_read2_b64 v[108:111], v1 offset0:65 offset1:66
	v_fmac_f32_e32 v144, v119, v145
	v_fmac_f32_e32 v117, v121, v104
	buffer_load_dword v119, off, s[0:3], 0 offset:204
	v_fma_f32 v104, v120, v104, -v102
	v_fmac_f32_e32 v118, v123, v8
	v_fma_f32 v8, v122, v8, -v103
	s_waitcnt vmcnt(16) lgkmcnt(1)
	v_mul_f32_e32 v121, v114, v100
	v_mul_f32_e32 v100, v115, v100
	;; [unrolled: 1-line block ×4, first 2 shown]
	s_waitcnt vmcnt(12)
	v_fmac_f32_e32 v121, v115, v107
	v_fma_f32 v107, v114, v107, -v100
	buffer_load_dword v114, off, s[0:3], 0 offset:212
	v_fmac_f32_e32 v120, v113, v4
	v_fma_f32 v112, v112, v4, -v101
	ds_read2_b64 v[100:103], v1 offset0:67 offset1:68
	s_waitcnt vmcnt(12) lgkmcnt(1)
	v_mul_f32_e32 v113, v108, v106
	v_mul_f32_e32 v4, v109, v106
	s_waitcnt vmcnt(11)
	v_mul_f32_e32 v106, v110, v105
	v_mul_f32_e32 v105, v111, v105
	v_fmac_f32_e32 v113, v109, v7
	v_fma_f32 v7, v108, v7, -v4
	v_fmac_f32_e32 v106, v111, v5
	v_fma_f32 v105, v110, v5, -v105
	s_clause 0x4
	buffer_load_dword v108, off, s[0:3], 0 offset:232
	buffer_load_dword v109, off, s[0:3], 0 offset:224
	;; [unrolled: 1-line block ×5, first 2 shown]
	v_add_f32_e32 v4, 0, v148
	v_add_f32_e32 v5, 0, v128
	s_clause 0x1
	buffer_load_dword v122, off, s[0:3], 0 offset:228
	buffer_load_dword v123, off, s[0:3], 0 offset:236
	v_add_f32_e32 v2, v4, v2
	v_add_f32_e32 v4, v5, v150
	s_waitcnt vmcnt(17) lgkmcnt(0)
	v_mul_f32_e32 v128, v100, v146
	v_mul_f32_e32 v5, v101, v146
	v_add_f32_e32 v2, v2, v129
	v_add_f32_e32 v4, v4, v131
	s_waitcnt vmcnt(16)
	v_mul_f32_e32 v131, v103, v147
	v_fmac_f32_e32 v128, v101, v3
	v_fma_f32 v145, v100, v3, -v5
	v_add_f32_e32 v100, v2, v134
	v_add_f32_e32 v101, v4, v130
	ds_read2_b64 v[2:5], v1 offset0:69 offset1:70
	v_mul_f32_e32 v129, v102, v147
	v_add_f32_e32 v100, v100, v133
	v_add_f32_e32 v101, v101, v132
	;; [unrolled: 1-line block ×10, first 2 shown]
	s_waitcnt vmcnt(11)
	v_fma_f32 v130, v102, v152, -v131
	s_clause 0x7
	buffer_load_dword v131, off, s[0:3], 0 offset:244
	buffer_load_dword v132, off, s[0:3], 0 offset:264
	;; [unrolled: 1-line block ×8, first 2 shown]
	v_fmac_f32_e32 v129, v103, v152
	ds_read2_b64 v[100:103], v1 offset0:71 offset1:72
	s_waitcnt vmcnt(18) lgkmcnt(1)
	v_mul_f32_e32 v138, v2, v153
	v_mul_f32_e32 v147, v3, v153
	s_waitcnt vmcnt(17)
	v_mul_f32_e32 v137, v4, v154
	v_mul_f32_e32 v142, v5, v154
	v_fmac_f32_e32 v138, v3, v151
	v_add_f32_e32 v3, v125, v141
	v_add_f32_e32 v125, v126, v127
	v_fma_f32 v126, v2, v151, -v147
	v_fmac_f32_e32 v137, v5, v140
	v_fma_f32 v127, v4, v140, -v142
	v_add_f32_e32 v2, v3, v6
	v_add_f32_e32 v3, v125, v143
	s_clause 0x7
	buffer_load_dword v6, off, s[0:3], 0 offset:276
	buffer_load_dword v125, off, s[0:3], 0 offset:284
	;; [unrolled: 1-line block ×8, first 2 shown]
	v_add_f32_e32 v2, v2, v116
	v_add_f32_e32 v3, v3, v144
	s_clause 0x3
	buffer_load_dword v144, off, s[0:3], 0 offset:308
	buffer_load_dword v151, off, s[0:3], 0 offset:316
	;; [unrolled: 1-line block ×4, first 2 shown]
	v_add_f32_e32 v2, v2, v104
	v_add_f32_e32 v8, v2, v8
	s_waitcnt vmcnt(28) lgkmcnt(0)
	v_mul_f32_e32 v4, v101, v119
	v_mul_f32_e32 v150, v100, v119
	v_add_f32_e32 v8, v8, v112
	v_fma_f32 v116, v100, v139, -v4
	v_add_f32_e32 v100, v3, v117
	v_fmac_f32_e32 v150, v101, v139
	s_clause 0x2
	buffer_load_dword v139, off, s[0:3], 0 offset:340
	buffer_load_dword v154, off, s[0:3], 0 offset:348
	;; [unrolled: 1-line block ×3, first 2 shown]
	v_add_f32_e32 v8, v8, v107
	v_add_f32_e32 v100, v100, v118
	s_waitcnt vmcnt(30)
	v_mul_f32_e32 v3, v103, v114
	v_mul_f32_e32 v117, v102, v114
	v_add_f32_e32 v7, v8, v7
	v_add_f32_e32 v100, v100, v120
	;; [unrolled: 1-line block ×4, first 2 shown]
	s_waitcnt vmcnt(26)
	v_fma_f32 v114, v102, v111, -v3
	ds_read2_b64 v[2:5], v1 offset0:73 offset1:74
	s_clause 0x3
	buffer_load_dword v120, off, s[0:3], 0 offset:328
	buffer_load_dword v156, off, s[0:3], 0 offset:320
	;; [unrolled: 1-line block ×4, first 2 shown]
	v_add_f32_e32 v8, v100, v113
	v_fmac_f32_e32 v117, v103, v111
	ds_read2_b64 v[100:103], v1 offset0:75 offset1:76
	s_waitcnt vmcnt(29) lgkmcnt(1)
	v_mul_f32_e32 v112, v2, v115
	v_mul_f32_e32 v104, v3, v115
	s_waitcnt vmcnt(28)
	v_mul_f32_e32 v118, v4, v122
	s_waitcnt vmcnt(27) lgkmcnt(0)
	v_mul_f32_e32 v111, v101, v123
	v_fmac_f32_e32 v112, v3, v110
	v_fma_f32 v113, v2, v110, -v104
	v_add_f32_e32 v2, v8, v106
	v_add_f32_e32 v3, v7, v145
	s_clause 0x2
	buffer_load_dword v7, off, s[0:3], 0 offset:352
	buffer_load_dword v8, off, s[0:3], 0 offset:344
	;; [unrolled: 1-line block ×3, first 2 shown]
	v_mul_f32_e32 v104, v5, v122
	v_fmac_f32_e32 v118, v5, v109
	v_add_f32_e32 v2, v2, v128
	buffer_load_dword v128, off, s[0:3], 0 offset:16
	v_add_f32_e32 v3, v3, v130
	v_fma_f32 v115, v4, v109, -v104
	v_mul_f32_e32 v122, v100, v123
	v_add_f32_e32 v105, v2, v129
	v_add_f32_e32 v109, v3, v126
	ds_read2_b64 v[2:5], v1 offset0:77 offset1:78
	v_fma_f32 v126, v100, v108, -v111
	v_add_f32_e32 v110, v105, v138
	ds_read2_b64 v[104:107], v1 offset0:79 offset1:80
	v_add_f32_e32 v109, v109, v127
	v_fmac_f32_e32 v122, v101, v108
	v_add_f32_e32 v110, v110, v137
	v_add_f32_e32 v116, v109, v116
	;; [unrolled: 1-line block ×4, first 2 shown]
	s_waitcnt vmcnt(30)
	v_mul_f32_e32 v119, v103, v131
	v_mul_f32_e32 v123, v102, v131
	s_waitcnt vmcnt(25) lgkmcnt(1)
	v_mul_f32_e32 v129, v2, v124
	v_mul_f32_e32 v116, v3, v124
	v_fma_f32 v127, v102, v146, -v119
	v_add_f32_e32 v119, v110, v150
	s_waitcnt vmcnt(23) lgkmcnt(0)
	v_mul_f32_e32 v130, v104, v136
	v_fmac_f32_e32 v129, v3, v134
	v_fma_f32 v134, v2, v134, -v116
	v_mul_f32_e32 v124, v4, v135
	v_add_f32_e32 v117, v119, v117
	v_mul_f32_e32 v119, v5, v135
	v_mul_f32_e32 v131, v105, v136
	v_fmac_f32_e32 v130, v105, v132
	v_fmac_f32_e32 v123, v103, v146
	v_add_f32_e32 v116, v117, v112
	v_add_f32_e32 v117, v113, v115
	ds_read2_b64 v[100:103], v1 offset0:81 offset1:82
	ds_read2_b64 v[108:111], v1 offset0:83 offset1:84
	v_fmac_f32_e32 v124, v5, v133
	v_fma_f32 v133, v4, v133, -v119
	v_add_f32_e32 v135, v116, v118
	v_add_f32_e32 v105, v117, v126
	ds_read2_b64 v[2:5], v1 offset0:85 offset1:86
	ds_read2_b64 v[112:115], v1 offset0:87 offset1:88
	;; [unrolled: 1-line block ×3, first 2 shown]
	v_fma_f32 v104, v104, v132, -v131
	v_add_f32_e32 v1, v135, v122
	v_add_f32_e32 v105, v105, v127
	s_waitcnt vmcnt(22)
	v_mul_f32_e32 v122, v106, v6
	v_mul_f32_e32 v6, v107, v6
	v_add_f32_e32 v1, v1, v123
	v_add_f32_e32 v105, v105, v134
	s_waitcnt vmcnt(15)
	v_fmac_f32_e32 v122, v107, v148
	v_fma_f32 v6, v106, v148, -v6
	v_add_f32_e32 v1, v1, v129
	v_add_f32_e32 v105, v105, v133
	s_waitcnt lgkmcnt(4)
	v_mul_f32_e32 v126, v100, v125
	v_mul_f32_e32 v125, v101, v125
	;; [unrolled: 1-line block ×3, first 2 shown]
	v_add_f32_e32 v1, v1, v124
	v_add_f32_e32 v104, v105, v104
	v_mul_f32_e32 v124, v103, v140
	v_fma_f32 v100, v100, v147, -v125
	v_fmac_f32_e32 v126, v101, v147
	v_add_f32_e32 v1, v1, v130
	v_add_f32_e32 v6, v104, v6
	s_waitcnt lgkmcnt(3)
	v_mul_f32_e32 v101, v109, v141
	v_fma_f32 v102, v102, v143, -v124
	v_mul_f32_e32 v106, v108, v141
	v_add_f32_e32 v1, v1, v122
	v_add_f32_e32 v6, v6, v100
	v_fmac_f32_e32 v123, v103, v143
	s_waitcnt vmcnt(14)
	v_mul_f32_e32 v100, v111, v144
	v_fma_f32 v101, v108, v142, -v101
	v_add_f32_e32 v1, v1, v126
	v_add_f32_e32 v6, v6, v102
	v_mul_f32_e32 v107, v110, v144
	v_fmac_f32_e32 v106, v109, v142
	s_waitcnt vmcnt(13) lgkmcnt(2)
	v_mul_f32_e32 v127, v2, v151
	v_add_f32_e32 v1, v1, v123
	v_mul_f32_e32 v102, v3, v151
	v_add_f32_e32 v6, v6, v101
	s_waitcnt vmcnt(4)
	v_fma_f32 v100, v110, v158, -v100
	v_fmac_f32_e32 v107, v111, v158
	v_add_f32_e32 v1, v1, v106
	v_mul_f32_e32 v101, v5, v152
	v_fmac_f32_e32 v127, v3, v157
	v_fma_f32 v2, v2, v157, -v102
	v_add_f32_e32 v3, v6, v100
	v_mul_f32_e32 v129, v4, v152
	v_add_f32_e32 v1, v1, v107
	s_waitcnt lgkmcnt(1)
	v_mul_f32_e32 v6, v113, v153
	v_fma_f32 v4, v4, v156, -v101
	v_add_f32_e32 v2, v3, v2
	v_mul_f32_e32 v131, v112, v153
	v_fmac_f32_e32 v129, v5, v156
	v_add_f32_e32 v1, v1, v127
	v_mul_f32_e32 v3, v115, v139
	v_fma_f32 v5, v112, v120, -v6
	v_add_f32_e32 v2, v2, v4
	v_mul_f32_e32 v132, v114, v139
	v_fmac_f32_e32 v131, v113, v120
	v_add_f32_e32 v1, v1, v129
	s_waitcnt lgkmcnt(0)
	v_mul_f32_e32 v4, v117, v154
	v_add_f32_e32 v2, v2, v5
	v_mul_f32_e32 v133, v116, v154
	v_mul_f32_e32 v5, v119, v155
	v_add_f32_e32 v1, v1, v131
	v_mul_f32_e32 v105, v118, v155
	s_waitcnt vmcnt(2)
	v_fma_f32 v4, v116, v8, -v4
	s_waitcnt vmcnt(1)
	v_fma_f32 v3, v114, v121, -v3
	v_fmac_f32_e32 v132, v115, v121
	v_fmac_f32_e32 v133, v117, v8
	v_fmac_f32_e32 v105, v119, v7
	v_add_f32_e32 v2, v2, v3
	v_add_f32_e32 v1, v1, v132
	v_fma_f32 v3, v118, v7, -v5
	v_add_f32_e32 v2, v2, v4
	v_add_f32_e32 v1, v1, v133
	;; [unrolled: 1-line block ×4, first 2 shown]
	s_waitcnt vmcnt(0)
	v_sub_f32_e32 v2, v128, v2
	v_sub_f32_e32 v1, v149, v1
	buffer_store_dword v2, off, s[0:3], 0 offset:16
	buffer_store_dword v1, off, s[0:3], 0 offset:20
	v_cmpx_lt_u32_e32 1, v0
	s_cbranch_execz .LBB108_281
; %bb.280:
	s_clause 0x1
	buffer_load_dword v1, off, s[0:3], 0 offset:8
	buffer_load_dword v2, off, s[0:3], 0 offset:12
	v_mov_b32_e32 v3, 0
	buffer_store_dword v3, off, s[0:3], 0 offset:8
	buffer_store_dword v3, off, s[0:3], 0 offset:12
	s_waitcnt vmcnt(0)
	ds_write_b64 v99, v[1:2]
.LBB108_281:
	s_or_b32 exec_lo, exec_lo, s4
	s_waitcnt lgkmcnt(0)
	s_waitcnt_vscnt null, 0x0
	s_barrier
	buffer_gl0_inv
	s_clause 0x2c
	buffer_load_dword v138, off, s[0:3], 0 offset:20
	buffer_load_dword v139, off, s[0:3], 0 offset:28
	;; [unrolled: 1-line block ×45, first 2 shown]
	v_mov_b32_e32 v1, 0
	ds_read_b128 v[130:133], v1 offset:384
	ds_read_b128 v[134:137], v1 offset:400
	buffer_load_dword v148, off, s[0:3], 0 offset:12
	s_mov_b32 s4, exec_lo
	s_waitcnt vmcnt(45) lgkmcnt(1)
	v_mul_f32_e32 v146, v131, v138
	v_mul_f32_e32 v138, v130, v138
	s_waitcnt vmcnt(44)
	v_mul_f32_e32 v147, v132, v139
	v_mul_f32_e32 v139, v133, v139
	s_waitcnt vmcnt(41)
	v_fma_f32 v146, v130, v127, -v146
	v_fmac_f32_e32 v138, v131, v127
	v_fmac_f32_e32 v147, v133, v123
	v_fma_f32 v139, v132, v123, -v139
	ds_read_b128 v[130:133], v1 offset:416
	s_waitcnt vmcnt(40) lgkmcnt(1)
	v_mul_f32_e32 v149, v134, v122
	v_mul_f32_e32 v122, v135, v122
	s_waitcnt vmcnt(39)
	v_mul_f32_e32 v150, v136, v120
	v_mul_f32_e32 v120, v137, v120
	v_fmac_f32_e32 v149, v135, v109
	v_fma_f32 v109, v134, v109, -v122
	s_waitcnt vmcnt(35)
	v_fmac_f32_e32 v150, v137, v128
	v_fma_f32 v151, v136, v128, -v120
	ds_read_b128 v[134:137], v1 offset:432
	s_waitcnt vmcnt(34) lgkmcnt(1)
	v_mul_f32_e32 v152, v130, v126
	v_mul_f32_e32 v120, v131, v126
	s_waitcnt vmcnt(33)
	v_mul_f32_e32 v153, v132, v125
	v_mul_f32_e32 v122, v133, v125
	ds_read_b128 v[125:128], v1 offset:448
	v_fmac_f32_e32 v152, v131, v117
	v_fma_f32 v117, v130, v117, -v120
	v_fmac_f32_e32 v153, v133, v112
	v_fma_f32 v154, v132, v112, -v122
	ds_read_b128 v[130:133], v1 offset:464
	s_waitcnt vmcnt(32) lgkmcnt(2)
	v_mul_f32_e32 v155, v134, v116
	v_mul_f32_e32 v112, v135, v116
	s_waitcnt vmcnt(31)
	v_mul_f32_e32 v116, v136, v114
	v_mul_f32_e32 v114, v137, v114
	v_fmac_f32_e32 v155, v135, v8
	v_fma_f32 v8, v134, v8, -v112
	s_waitcnt vmcnt(27)
	v_fmac_f32_e32 v116, v137, v124
	v_fma_f32 v134, v136, v124, -v114
	s_waitcnt vmcnt(26) lgkmcnt(1)
	v_mul_f32_e32 v135, v125, v121
	v_mul_f32_e32 v112, v126, v121
	s_waitcnt vmcnt(25)
	v_mul_f32_e32 v136, v127, v119
	v_mul_f32_e32 v114, v128, v119
	ds_read_b128 v[119:122], v1 offset:480
	v_fmac_f32_e32 v135, v126, v110
	v_fma_f32 v110, v125, v110, -v112
	ds_read_b128 v[123:126], v1 offset:496
	v_fmac_f32_e32 v136, v128, v104
	v_fma_f32 v127, v127, v104, -v114
	s_waitcnt vmcnt(24) lgkmcnt(2)
	v_mul_f32_e32 v128, v130, v108
	v_mul_f32_e32 v104, v131, v108
	s_waitcnt vmcnt(23)
	v_mul_f32_e32 v108, v132, v106
	v_mul_f32_e32 v106, v133, v106
	v_fmac_f32_e32 v128, v131, v4
	v_fma_f32 v130, v130, v4, -v104
	s_waitcnt vmcnt(19)
	v_fmac_f32_e32 v108, v133, v118
	v_fma_f32 v118, v132, v118, -v106
	s_waitcnt vmcnt(18) lgkmcnt(1)
	v_mul_f32_e32 v131, v119, v115
	v_mul_f32_e32 v4, v120, v115
	s_waitcnt vmcnt(17)
	v_mul_f32_e32 v132, v121, v113
	v_mul_f32_e32 v104, v122, v113
	ds_read_b128 v[112:115], v1 offset:512
	v_fmac_f32_e32 v131, v120, v103
	v_fma_f32 v119, v119, v103, -v4
	v_fmac_f32_e32 v132, v122, v100
	v_fma_f32 v120, v121, v100, -v104
	s_waitcnt vmcnt(15) lgkmcnt(1)
	v_mul_f32_e32 v122, v125, v101
	v_mul_f32_e32 v100, v126, v101
	;; [unrolled: 1-line block ×4, first 2 shown]
	s_waitcnt vmcnt(11)
	v_fmac_f32_e32 v122, v126, v111
	v_fma_f32 v111, v125, v111, -v100
	ds_read_b128 v[100:103], v1 offset:528
	v_fmac_f32_e32 v121, v124, v3
	v_fma_f32 v123, v123, v3, -v4
	s_waitcnt vmcnt(10) lgkmcnt(1)
	v_mul_f32_e32 v124, v112, v107
	v_mul_f32_e32 v3, v113, v107
	s_waitcnt vmcnt(9)
	v_mul_f32_e32 v125, v114, v105
	v_mul_f32_e32 v4, v115, v105
	ds_read_b128 v[104:107], v1 offset:544
	v_fmac_f32_e32 v124, v113, v7
	v_fma_f32 v7, v112, v7, -v3
	v_fmac_f32_e32 v125, v115, v5
	v_fma_f32 v112, v114, v5, -v4
	buffer_load_dword v114, off, s[0:3], 0 offset:196
	s_waitcnt vmcnt(8) lgkmcnt(1)
	v_mul_f32_e32 v4, v103, v129
	v_mul_f32_e32 v113, v100, v6
	;; [unrolled: 1-line block ×4, first 2 shown]
	s_waitcnt vmcnt(4)
	v_fma_f32 v126, v102, v143, -v4
	buffer_load_dword v102, off, s[0:3], 0 offset:204
	v_fmac_f32_e32 v113, v101, v2
	v_fma_f32 v115, v100, v2, -v3
	ds_read_b128 v[2:5], v1 offset:560
	v_fmac_f32_e32 v6, v103, v143
	s_waitcnt vmcnt(4) lgkmcnt(1)
	v_mul_f32_e32 v129, v104, v144
	v_mul_f32_e32 v100, v105, v144
	s_waitcnt vmcnt(3)
	v_mul_f32_e32 v133, v106, v145
	v_mul_f32_e32 v101, v107, v145
	v_fmac_f32_e32 v129, v105, v142
	v_fma_f32 v104, v104, v142, -v100
	v_fmac_f32_e32 v133, v107, v141
	v_fma_f32 v105, v106, v141, -v101
	s_clause 0x4
	buffer_load_dword v106, off, s[0:3], 0 offset:224
	buffer_load_dword v107, off, s[0:3], 0 offset:216
	;; [unrolled: 1-line block ×5, first 2 shown]
	s_waitcnt vmcnt(6) lgkmcnt(0)
	v_mul_f32_e32 v142, v2, v114
	v_mul_f32_e32 v101, v3, v114
	v_fmac_f32_e32 v142, v3, v140
	v_fma_f32 v114, v2, v140, -v101
	s_waitcnt vmcnt(5)
	v_mul_f32_e32 v140, v4, v102
	v_mul_f32_e32 v2, v5, v102
	s_waitcnt vmcnt(1)
	v_fmac_f32_e32 v140, v5, v100
	v_fma_f32 v143, v4, v100, -v2
	ds_read_b128 v[2:5], v1 offset:576
	ds_read_b128 v[100:103], v1 offset:592
	s_waitcnt vmcnt(0) lgkmcnt(1)
	v_mul_f32_e32 v144, v2, v141
	v_mul_f32_e32 v141, v3, v141
	v_fmac_f32_e32 v144, v3, v137
	v_fma_f32 v137, v2, v137, -v141
	buffer_load_dword v2, off, s[0:3], 0 offset:220
	s_waitcnt vmcnt(0)
	v_mul_f32_e32 v141, v4, v2
	v_mul_f32_e32 v2, v5, v2
	v_fmac_f32_e32 v141, v5, v107
	v_fma_f32 v145, v4, v107, -v2
	buffer_load_dword v2, off, s[0:3], 0 offset:228
	s_waitcnt vmcnt(0) lgkmcnt(0)
	v_mul_f32_e32 v156, v100, v2
	v_mul_f32_e32 v2, v101, v2
	v_fmac_f32_e32 v156, v101, v106
	v_fma_f32 v157, v100, v106, -v2
	s_clause 0x4
	buffer_load_dword v2, off, s[0:3], 0 offset:236
	buffer_load_dword v158, off, s[0:3], 0 offset:256
	;; [unrolled: 1-line block ×5, first 2 shown]
	s_waitcnt vmcnt(4)
	v_mul_f32_e32 v159, v102, v2
	v_mul_f32_e32 v2, v103, v2
	s_waitcnt vmcnt(0)
	v_fmac_f32_e32 v159, v103, v3
	v_fma_f32 v160, v102, v3, -v2
	v_add_f32_e32 v2, 0, v146
	v_add_f32_e32 v3, 0, v138
	buffer_load_dword v138, off, s[0:3], 0 offset:252
	v_add_f32_e32 v2, v2, v139
	v_add_f32_e32 v3, v3, v147
	buffer_load_dword v139, off, s[0:3], 0 offset:268
	v_add_f32_e32 v2, v2, v109
	buffer_load_dword v109, off, s[0:3], 0 offset:244
	v_add_f32_e32 v3, v3, v149
	v_add_f32_e32 v2, v2, v151
	;; [unrolled: 1-line block ×4, first 2 shown]
	buffer_load_dword v117, off, s[0:3], 0 offset:260
	v_add_f32_e32 v3, v3, v152
	v_add_f32_e32 v2, v2, v154
	;; [unrolled: 1-line block ×4, first 2 shown]
	s_clause 0x3
	buffer_load_dword v8, off, s[0:3], 0 offset:288
	buffer_load_dword v146, off, s[0:3], 0 offset:280
	;; [unrolled: 1-line block ×4, first 2 shown]
	v_add_f32_e32 v3, v3, v155
	v_add_f32_e32 v2, v2, v134
	s_clause 0x1
	buffer_load_dword v134, off, s[0:3], 0 offset:276
	buffer_load_dword v150, off, s[0:3], 0 offset:284
	v_add_f32_e32 v3, v3, v116
	buffer_load_dword v116, off, s[0:3], 0 offset:292
	v_add_f32_e32 v2, v2, v110
	v_add_f32_e32 v3, v3, v135
	;; [unrolled: 1-line block ×3, first 2 shown]
	s_clause 0x3
	buffer_load_dword v127, off, s[0:3], 0 offset:300
	buffer_load_dword v135, off, s[0:3], 0 offset:308
	buffer_load_dword v151, off, s[0:3], 0 offset:316
	buffer_load_dword v152, off, s[0:3], 0 offset:324
	v_add_f32_e32 v3, v3, v136
	v_add_f32_e32 v2, v2, v130
	s_clause 0x1
	buffer_load_dword v130, off, s[0:3], 0 offset:332
	buffer_load_dword v136, off, s[0:3], 0 offset:340
	v_add_f32_e32 v3, v3, v128
	v_add_f32_e32 v2, v2, v118
	s_clause 0x1
	buffer_load_dword v118, off, s[0:3], 0 offset:348
	buffer_load_dword v128, off, s[0:3], 0 offset:356
	v_add_f32_e32 v3, v3, v108
	v_add_f32_e32 v2, v2, v119
	;; [unrolled: 1-line block ×4, first 2 shown]
	s_clause 0x3
	buffer_load_dword v119, off, s[0:3], 0 offset:320
	buffer_load_dword v120, off, s[0:3], 0 offset:312
	;; [unrolled: 1-line block ×4, first 2 shown]
	v_add_f32_e32 v3, v3, v132
	v_add_f32_e32 v2, v2, v123
	;; [unrolled: 1-line block ×3, first 2 shown]
	s_clause 0x3
	buffer_load_dword v121, off, s[0:3], 0 offset:352
	buffer_load_dword v123, off, s[0:3], 0 offset:344
	;; [unrolled: 1-line block ×4, first 2 shown]
	v_add_f32_e32 v2, v2, v111
	v_add_f32_e32 v3, v3, v122
	buffer_load_dword v122, off, s[0:3], 0 offset:8
	v_add_f32_e32 v2, v2, v7
	v_add_f32_e32 v3, v3, v124
	;; [unrolled: 1-line block ×4, first 2 shown]
	ds_read_b128 v[2:5], v1 offset:608
	v_add_f32_e32 v7, v7, v115
	v_add_f32_e32 v100, v100, v113
	;; [unrolled: 1-line block ×4, first 2 shown]
	ds_read_b128 v[100:103], v1 offset:624
	v_add_f32_e32 v7, v7, v104
	v_add_f32_e32 v6, v6, v129
	;; [unrolled: 1-line block ×8, first 2 shown]
	s_waitcnt vmcnt(27) lgkmcnt(1)
	v_mul_f32_e32 v125, v4, v138
	v_mul_f32_e32 v105, v5, v138
	v_fmac_f32_e32 v125, v5, v106
	v_fma_f32 v129, v4, v106, -v105
	s_waitcnt vmcnt(25)
	v_mul_f32_e32 v124, v2, v109
	v_mul_f32_e32 v104, v3, v109
	v_fmac_f32_e32 v124, v3, v107
	v_add_f32_e32 v3, v7, v114
	v_fma_f32 v126, v2, v107, -v104
	s_waitcnt vmcnt(24) lgkmcnt(0)
	v_mul_f32_e32 v133, v100, v117
	v_add_f32_e32 v7, v3, v143
	ds_read_b128 v[2:5], v1 offset:640
	ds_read_b128 v[104:107], v1 offset:656
	v_mul_f32_e32 v112, v101, v117
	v_mul_f32_e32 v117, v102, v139
	v_fmac_f32_e32 v133, v101, v158
	v_add_f32_e32 v7, v7, v137
	v_mul_f32_e32 v137, v103, v139
	v_add_f32_e32 v139, v6, v156
	v_fma_f32 v138, v100, v158, -v112
	ds_read_b128 v[108:111], v1 offset:672
	ds_read_b128 v[112:115], v1 offset:688
	v_add_f32_e32 v7, v7, v145
	v_add_f32_e32 v139, v139, v159
	s_waitcnt vmcnt(20)
	v_fma_f32 v137, v102, v149, -v137
	v_fmac_f32_e32 v117, v103, v149
	v_add_f32_e32 v7, v7, v157
	v_add_f32_e32 v124, v139, v124
	s_waitcnt vmcnt(19) lgkmcnt(3)
	v_mul_f32_e32 v141, v2, v134
	v_add_f32_e32 v140, v7, v160
	v_add_f32_e32 v124, v124, v125
	v_mul_f32_e32 v134, v3, v134
	s_waitcnt vmcnt(18)
	v_mul_f32_e32 v142, v4, v150
	v_fmac_f32_e32 v141, v3, v147
	v_add_f32_e32 v126, v140, v126
	v_add_f32_e32 v124, v124, v133
	v_mul_f32_e32 v140, v5, v150
	v_fma_f32 v2, v2, v147, -v134
	s_waitcnt vmcnt(17) lgkmcnt(2)
	v_mul_f32_e32 v139, v104, v116
	v_add_f32_e32 v126, v126, v129
	v_add_f32_e32 v117, v124, v117
	v_mul_f32_e32 v116, v105, v116
	v_fma_f32 v4, v4, v146, -v140
	v_fmac_f32_e32 v142, v5, v146
	v_add_f32_e32 v126, v126, v138
	v_add_f32_e32 v5, v117, v141
	s_waitcnt vmcnt(16)
	v_mul_f32_e32 v117, v107, v127
	v_fmac_f32_e32 v139, v105, v8
	v_fma_f32 v8, v104, v8, -v116
	v_add_f32_e32 v126, v126, v137
	v_mul_f32_e32 v129, v106, v127
	ds_read_b128 v[100:103], v1 offset:704
	ds_read_b64 v[6:7], v1 offset:720
	s_waitcnt vmcnt(5)
	v_fma_f32 v104, v106, v153, -v117
	s_waitcnt lgkmcnt(3)
	v_mul_f32_e32 v143, v108, v135
	v_add_f32_e32 v2, v126, v2
	v_fmac_f32_e32 v129, v107, v153
	v_mul_f32_e32 v125, v110, v151
	s_waitcnt lgkmcnt(2)
	v_mul_f32_e32 v138, v112, v152
	v_fmac_f32_e32 v143, v109, v131
	v_add_f32_e32 v2, v2, v4
	v_add_f32_e32 v4, v5, v142
	v_mul_f32_e32 v5, v109, v135
	v_fmac_f32_e32 v125, v111, v120
	v_mul_f32_e32 v3, v114, v130
	v_add_f32_e32 v2, v2, v8
	v_add_f32_e32 v4, v4, v139
	v_mul_f32_e32 v8, v111, v151
	v_fma_f32 v5, v108, v131, -v5
	v_fmac_f32_e32 v138, v113, v119
	v_add_f32_e32 v2, v2, v104
	v_add_f32_e32 v4, v4, v129
	v_mul_f32_e32 v104, v113, v152
	v_fma_f32 v8, v110, v120, -v8
	s_waitcnt lgkmcnt(1)
	v_mul_f32_e32 v133, v100, v136
	v_add_f32_e32 v2, v2, v5
	v_add_f32_e32 v4, v4, v143
	v_mul_f32_e32 v5, v115, v130
	v_fma_f32 v104, v112, v119, -v104
	s_waitcnt vmcnt(1)
	v_fmac_f32_e32 v3, v115, v154
	v_add_f32_e32 v2, v2, v8
	v_add_f32_e32 v4, v4, v125
	v_mul_f32_e32 v8, v101, v136
	v_fma_f32 v5, v114, v154, -v5
	v_mul_f32_e32 v134, v102, v118
	v_add_f32_e32 v2, v2, v104
	v_add_f32_e32 v4, v4, v138
	v_mul_f32_e32 v104, v103, v118
	v_fma_f32 v8, v100, v132, -v8
	v_fmac_f32_e32 v133, v101, v132
	v_add_f32_e32 v2, v2, v5
	v_add_f32_e32 v3, v4, v3
	s_waitcnt lgkmcnt(0)
	v_mul_f32_e32 v4, v7, v128
	v_fma_f32 v5, v102, v123, -v104
	v_mul_f32_e32 v124, v6, v128
	v_add_f32_e32 v2, v2, v8
	v_fmac_f32_e32 v134, v103, v123
	v_add_f32_e32 v3, v3, v133
	v_fma_f32 v4, v6, v121, -v4
	v_fmac_f32_e32 v124, v7, v121
	v_add_f32_e32 v2, v2, v5
	v_add_f32_e32 v3, v3, v134
	;; [unrolled: 1-line block ×4, first 2 shown]
	s_waitcnt vmcnt(0)
	v_sub_f32_e32 v2, v122, v2
	v_sub_f32_e32 v3, v148, v3
	buffer_store_dword v2, off, s[0:3], 0 offset:8
	buffer_store_dword v3, off, s[0:3], 0 offset:12
	v_cmpx_ne_u32_e32 0, v0
	s_cbranch_execz .LBB108_283
; %bb.282:
	s_clause 0x1
	buffer_load_dword v2, off, s[0:3], 0
	buffer_load_dword v3, off, s[0:3], 0 offset:4
	buffer_store_dword v1, off, s[0:3], 0
	buffer_store_dword v1, off, s[0:3], 0 offset:4
	s_waitcnt vmcnt(0)
	ds_write_b64 v99, v[2:3]
.LBB108_283:
	s_or_b32 exec_lo, exec_lo, s4
	s_waitcnt lgkmcnt(0)
	s_waitcnt_vscnt null, 0x0
	s_barrier
	buffer_gl0_inv
	s_clause 0x24
	buffer_load_dword v0, off, s[0:3], 0 offset:12
	buffer_load_dword v2, off, s[0:3], 0 offset:20
	buffer_load_dword v124, off, s[0:3], 0 offset:28
	buffer_load_dword v120, off, s[0:3], 0 offset:36
	buffer_load_dword v117, off, s[0:3], 0 offset:24
	buffer_load_dword v118, off, s[0:3], 0 offset:16
	buffer_load_dword v123, off, s[0:3], 0 offset:8
	buffer_load_dword v106, off, s[0:3], 0 offset:56
	buffer_load_dword v112, off, s[0:3], 0 offset:48
	buffer_load_dword v114, off, s[0:3], 0 offset:40
	buffer_load_dword v128, off, s[0:3], 0 offset:32
	buffer_load_dword v127, off, s[0:3], 0 offset:44
	buffer_load_dword v125, off, s[0:3], 0 offset:52
	buffer_load_dword v121, off, s[0:3], 0 offset:60
	buffer_load_dword v119, off, s[0:3], 0 offset:68
	buffer_load_dword v6, off, s[0:3], 0 offset:88
	buffer_load_dword v107, off, s[0:3], 0 offset:80
	buffer_load_dword v111, off, s[0:3], 0 offset:72
	buffer_load_dword v122, off, s[0:3], 0 offset:64
	buffer_load_dword v116, off, s[0:3], 0 offset:76
	buffer_load_dword v115, off, s[0:3], 0 offset:84
	buffer_load_dword v110, off, s[0:3], 0 offset:92
	buffer_load_dword v108, off, s[0:3], 0 offset:100
	buffer_load_dword v109, off, s[0:3], 0 offset:108
	buffer_load_dword v4, off, s[0:3], 0 offset:120
	buffer_load_dword v8, off, s[0:3], 0 offset:112
	buffer_load_dword v103, off, s[0:3], 0 offset:104
	buffer_load_dword v113, off, s[0:3], 0 offset:96
	buffer_load_dword v104, off, s[0:3], 0 offset:116
	buffer_load_dword v100, off, s[0:3], 0 offset:124
	buffer_load_dword v99, off, s[0:3], 0 offset:132
	buffer_load_dword v3, off, s[0:3], 0 offset:152
	buffer_load_dword v5, off, s[0:3], 0 offset:144
	buffer_load_dword v7, off, s[0:3], 0 offset:136
	buffer_load_dword v105, off, s[0:3], 0 offset:128
	buffer_load_dword v102, off, s[0:3], 0 offset:140
	buffer_load_dword v101, off, s[0:3], 0 offset:148
	ds_read2_b64 v[129:132], v1 offset0:47 offset1:48
	ds_read2_b64 v[133:136], v1 offset0:49 offset1:50
	buffer_load_dword v126, off, s[0:3], 0 offset:156
	ds_read2_b64 v[137:140], v1 offset0:51 offset1:52
	ds_read2_b64 v[141:144], v1 offset0:53 offset1:54
	buffer_load_dword v145, off, s[0:3], 0 offset:4
	s_and_b32 vcc_lo, exec_lo, s16
	s_waitcnt vmcnt(38) lgkmcnt(3)
	v_mul_f32_e32 v146, v130, v0
	v_mul_f32_e32 v0, v129, v0
	s_waitcnt vmcnt(37)
	v_mul_f32_e32 v147, v131, v2
	v_mul_f32_e32 v2, v132, v2
	s_waitcnt vmcnt(36) lgkmcnt(2)
	v_mul_f32_e32 v148, v133, v124
	v_mul_f32_e32 v124, v134, v124
	s_waitcnt vmcnt(35)
	v_mul_f32_e32 v149, v135, v120
	v_mul_f32_e32 v120, v136, v120
	s_waitcnt vmcnt(32)
	v_fma_f32 v146, v129, v123, -v146
	v_fmac_f32_e32 v0, v130, v123
	v_fmac_f32_e32 v147, v132, v118
	v_fma_f32 v150, v131, v118, -v2
	v_fmac_f32_e32 v148, v134, v117
	v_fma_f32 v151, v133, v117, -v124
	s_waitcnt vmcnt(28)
	v_fmac_f32_e32 v149, v136, v128
	v_fma_f32 v136, v135, v128, -v120
	ds_read2_b64 v[128:131], v1 offset0:55 offset1:56
	ds_read2_b64 v[132:135], v1 offset0:57 offset1:58
	s_waitcnt vmcnt(27) lgkmcnt(3)
	v_mul_f32_e32 v152, v137, v127
	v_mul_f32_e32 v2, v138, v127
	s_waitcnt vmcnt(26)
	v_mul_f32_e32 v117, v140, v125
	v_mul_f32_e32 v127, v139, v125
	s_waitcnt vmcnt(25) lgkmcnt(2)
	v_mul_f32_e32 v125, v141, v121
	v_mul_f32_e32 v121, v142, v121
	s_waitcnt vmcnt(24)
	v_mul_f32_e32 v123, v144, v119
	v_mul_f32_e32 v153, v143, v119
	v_fmac_f32_e32 v152, v138, v114
	v_fma_f32 v114, v137, v114, -v2
	v_fma_f32 v137, v139, v112, -v117
	ds_read2_b64 v[117:120], v1 offset0:59 offset1:60
	v_fmac_f32_e32 v127, v140, v112
	v_fmac_f32_e32 v125, v142, v106
	v_fma_f32 v138, v141, v106, -v121
	s_waitcnt vmcnt(20)
	v_fma_f32 v139, v143, v122, -v123
	s_clause 0x4
	buffer_load_dword v2, off, s[0:3], 0 offset:164
	buffer_load_dword v140, off, s[0:3], 0 offset:184
	;; [unrolled: 1-line block ×5, first 2 shown]
	v_fmac_f32_e32 v153, v144, v122
	s_waitcnt vmcnt(24) lgkmcnt(2)
	v_mul_f32_e32 v144, v128, v116
	v_mul_f32_e32 v106, v129, v116
	s_waitcnt vmcnt(23)
	v_mul_f32_e32 v116, v130, v115
	v_mul_f32_e32 v112, v131, v115
	ds_read2_b64 v[121:124], v1 offset0:61 offset1:62
	v_fmac_f32_e32 v144, v129, v111
	v_fma_f32 v115, v128, v111, -v106
	v_fmac_f32_e32 v116, v131, v107
	v_fma_f32 v128, v130, v107, -v112
	s_waitcnt vmcnt(22) lgkmcnt(2)
	v_mul_f32_e32 v129, v132, v110
	v_mul_f32_e32 v106, v133, v110
	s_waitcnt vmcnt(21)
	v_mul_f32_e32 v107, v135, v108
	v_mul_f32_e32 v130, v134, v108
	s_waitcnt vmcnt(20) lgkmcnt(1)
	v_mul_f32_e32 v131, v117, v109
	v_mul_f32_e32 v110, v118, v109
	v_fmac_f32_e32 v129, v133, v6
	v_fma_f32 v6, v132, v6, -v106
	s_waitcnt vmcnt(16)
	v_fma_f32 v132, v134, v113, -v107
	s_clause 0x1
	buffer_load_dword v133, off, s[0:3], 0 offset:172
	buffer_load_dword v134, off, s[0:3], 0 offset:180
	v_fmac_f32_e32 v131, v118, v103
	v_fma_f32 v103, v117, v103, -v110
	s_waitcnt vmcnt(17)
	v_mul_f32_e32 v117, v119, v104
	v_mul_f32_e32 v104, v120, v104
	ds_read2_b64 v[106:109], v1 offset0:63 offset1:64
	s_waitcnt vmcnt(16) lgkmcnt(1)
	v_mul_f32_e32 v118, v121, v100
	v_mul_f32_e32 v100, v122, v100
	v_fmac_f32_e32 v117, v120, v8
	v_fma_f32 v8, v119, v8, -v104
	s_clause 0x1
	buffer_load_dword v104, off, s[0:3], 0 offset:188
	buffer_load_dword v120, off, s[0:3], 0 offset:196
	s_waitcnt vmcnt(17)
	v_mul_f32_e32 v119, v123, v99
	v_mul_f32_e32 v99, v124, v99
	v_fmac_f32_e32 v130, v135, v113
	v_fmac_f32_e32 v118, v122, v4
	v_fma_f32 v121, v121, v4, -v100
	s_waitcnt vmcnt(13)
	v_fmac_f32_e32 v119, v124, v105
	v_fma_f32 v105, v123, v105, -v99
	ds_read2_b64 v[110:113], v1 offset0:65 offset1:66
	v_add_f32_e32 v0, 0, v0
	s_waitcnt vmcnt(12) lgkmcnt(1)
	v_mul_f32_e32 v122, v106, v102
	v_mul_f32_e32 v4, v107, v102
	s_waitcnt vmcnt(11)
	v_mul_f32_e32 v123, v108, v101
	v_mul_f32_e32 v99, v109, v101
	v_add_f32_e32 v0, v0, v147
	v_fmac_f32_e32 v122, v107, v7
	v_fma_f32 v7, v106, v7, -v4
	v_fmac_f32_e32 v123, v109, v5
	v_fma_f32 v106, v108, v5, -v99
	s_clause 0x5
	buffer_load_dword v107, off, s[0:3], 0 offset:216
	buffer_load_dword v108, off, s[0:3], 0 offset:208
	;; [unrolled: 1-line block ×6, first 2 shown]
	v_add_f32_e32 v99, 0, v146
	v_add_f32_e32 v0, v0, v148
	s_waitcnt vmcnt(16) lgkmcnt(0)
	v_mul_f32_e32 v155, v110, v126
	v_mul_f32_e32 v4, v111, v126
	v_add_f32_e32 v99, v99, v150
	buffer_load_dword v126, off, s[0:3], 0 offset:220
	v_add_f32_e32 v0, v0, v149
	v_fmac_f32_e32 v155, v111, v3
	v_fma_f32 v110, v110, v3, -v4
	v_add_f32_e32 v0, v0, v152
	v_add_f32_e32 v0, v0, v127
	;; [unrolled: 1-line block ×15, first 2 shown]
	s_waitcnt vmcnt(15)
	v_mul_f32_e32 v111, v112, v2
	v_mul_f32_e32 v2, v113, v2
	s_waitcnt vmcnt(11)
	v_fmac_f32_e32 v111, v113, v143
	v_fma_f32 v112, v112, v143, -v2
	ds_read2_b64 v[2:5], v1 offset0:67 offset1:68
	v_add_f32_e32 v113, v99, v151
	ds_read2_b64 v[99:102], v1 offset0:69 offset1:70
	v_add_f32_e32 v0, v0, v111
	v_add_f32_e32 v113, v113, v136
	;; [unrolled: 1-line block ×4, first 2 shown]
	s_waitcnt vmcnt(10) lgkmcnt(1)
	v_mul_f32_e32 v136, v2, v133
	v_mul_f32_e32 v133, v3, v133
	s_waitcnt vmcnt(9)
	v_mul_f32_e32 v143, v4, v134
	v_mul_f32_e32 v134, v5, v134
	v_add_f32_e32 v113, v113, v138
	v_fmac_f32_e32 v136, v3, v142
	v_fma_f32 v133, v2, v142, -v133
	v_fmac_f32_e32 v143, v5, v141
	v_fma_f32 v114, v4, v141, -v134
	ds_read2_b64 v[2:5], v1 offset0:71 offset1:72
	s_clause 0x5
	buffer_load_dword v127, off, s[0:3], 0 offset:228
	buffer_load_dword v134, off, s[0:3], 0 offset:236
	;; [unrolled: 1-line block ×6, first 2 shown]
	s_waitcnt vmcnt(14) lgkmcnt(1)
	v_mul_f32_e32 v138, v99, v104
	v_mul_f32_e32 v104, v100, v104
	s_waitcnt vmcnt(13)
	v_mul_f32_e32 v125, v101, v120
	v_mul_f32_e32 v120, v102, v120
	v_add_f32_e32 v0, v0, v136
	v_fmac_f32_e32 v138, v100, v140
	v_fma_f32 v104, v99, v140, -v104
	v_add_f32_e32 v99, v113, v139
	s_clause 0x2
	buffer_load_dword v113, off, s[0:3], 0 offset:244
	buffer_load_dword v139, off, s[0:3], 0 offset:252
	buffer_load_dword v140, off, s[0:3], 0 offset:260
	v_add_f32_e32 v0, v0, v143
	v_add_f32_e32 v115, v99, v115
	;; [unrolled: 1-line block ×4, first 2 shown]
	s_waitcnt vmcnt(12)
	v_fmac_f32_e32 v125, v102, v124
	v_fma_f32 v120, v101, v124, -v120
	ds_read2_b64 v[99:102], v1 offset0:73 offset1:74
	s_clause 0x3
	buffer_load_dword v128, off, s[0:3], 0 offset:280
	buffer_load_dword v144, off, s[0:3], 0 offset:272
	;; [unrolled: 1-line block ×4, first 2 shown]
	s_waitcnt vmcnt(15) lgkmcnt(1)
	v_mul_f32_e32 v124, v2, v135
	v_mul_f32_e32 v135, v3, v135
	v_add_f32_e32 v0, v0, v125
	v_fmac_f32_e32 v124, v3, v109
	v_fma_f32 v109, v2, v109, -v135
	v_add_f32_e32 v2, v115, v6
	s_clause 0x4
	buffer_load_dword v6, off, s[0:3], 0 offset:268
	buffer_load_dword v135, off, s[0:3], 0 offset:276
	buffer_load_dword v129, off, s[0:3], 0 offset:284
	buffer_load_dword v148, off, s[0:3], 0 offset:292
	buffer_load_dword v149, off, s[0:3], 0 offset:300
	s_waitcnt vmcnt(19)
	v_mul_f32_e32 v115, v4, v154
	v_add_f32_e32 v2, v2, v132
	v_mul_f32_e32 v3, v5, v154
	s_clause 0x1
	buffer_load_dword v130, off, s[0:3], 0 offset:308
	buffer_load_dword v150, off, s[0:3], 0 offset:316
	v_add_f32_e32 v0, v0, v124
	v_fmac_f32_e32 v115, v5, v108
	v_add_f32_e32 v2, v2, v103
	v_fma_f32 v132, v4, v108, -v3
	s_waitcnt vmcnt(20) lgkmcnt(0)
	v_mul_f32_e32 v111, v99, v126
	v_add_f32_e32 v0, v0, v115
	v_add_f32_e32 v2, v2, v8
	s_clause 0x3
	buffer_load_dword v8, off, s[0:3], 0 offset:324
	buffer_load_dword v131, off, s[0:3], 0 offset:332
	;; [unrolled: 1-line block ×4, first 2 shown]
	v_fmac_f32_e32 v111, v100, v107
	v_add_f32_e32 v2, v2, v121
	s_clause 0x4
	buffer_load_dword v121, off, s[0:3], 0 offset:356
	buffer_load_dword v153, off, s[0:3], 0 offset:312
	;; [unrolled: 1-line block ×5, first 2 shown]
	v_add_f32_e32 v0, v0, v111
	v_add_f32_e32 v2, v2, v105
	v_mul_f32_e32 v105, v100, v126
	v_add_f32_e32 v2, v2, v7
	s_clause 0x5
	buffer_load_dword v7, off, s[0:3], 0 offset:344
	buffer_load_dword v119, off, s[0:3], 0 offset:336
	;; [unrolled: 1-line block ×5, first 2 shown]
	buffer_load_dword v159, off, s[0:3], 0
	v_add_f32_e32 v2, v2, v106
	v_add_f32_e32 v2, v2, v110
	;; [unrolled: 1-line block ×3, first 2 shown]
	v_fma_f32 v112, v99, v107, -v105
	v_add_f32_e32 v103, v2, v133
	ds_read2_b64 v[2:5], v1 offset0:75 offset1:76
	v_add_f32_e32 v103, v103, v114
	v_add_f32_e32 v99, v103, v104
	ds_read2_b64 v[103:106], v1 offset0:77 offset1:78
	v_add_f32_e32 v99, v99, v120
	s_waitcnt vmcnt(34)
	v_mul_f32_e32 v100, v102, v127
	s_waitcnt vmcnt(33) lgkmcnt(1)
	v_mul_f32_e32 v107, v3, v134
	v_mul_f32_e32 v120, v2, v134
	;; [unrolled: 1-line block ×3, first 2 shown]
	s_waitcnt vmcnt(29)
	v_fma_f32 v118, v101, v146, -v100
	v_fma_f32 v125, v2, v142, -v107
	v_add_f32_e32 v2, v99, v109
	v_fmac_f32_e32 v120, v3, v142
	v_fmac_f32_e32 v117, v102, v146
	ds_read2_b64 v[99:102], v1 offset0:79 offset1:80
	ds_read2_b64 v[107:110], v1 offset0:81 offset1:82
	v_add_f32_e32 v2, v2, v132
	s_waitcnt vmcnt(28)
	v_mul_f32_e32 v124, v4, v113
	v_mul_f32_e32 v3, v5, v113
	s_waitcnt vmcnt(27) lgkmcnt(2)
	v_mul_f32_e32 v113, v104, v139
	v_mul_f32_e32 v126, v103, v139
	s_waitcnt vmcnt(26)
	v_mul_f32_e32 v127, v105, v140
	v_mul_f32_e32 v115, v106, v140
	v_add_f32_e32 v0, v0, v117
	v_fma_f32 v133, v103, v137, -v113
	v_add_f32_e32 v103, v2, v112
	v_fmac_f32_e32 v124, v5, v141
	v_fma_f32 v132, v4, v141, -v3
	v_fmac_f32_e32 v126, v104, v137
	ds_read2_b64 v[2:5], v1 offset0:83 offset1:84
	ds_read2_b64 v[111:114], v1 offset0:85 offset1:86
	v_add_f32_e32 v134, v103, v118
	s_waitcnt vmcnt(22)
	v_fmac_f32_e32 v127, v106, v116
	v_fma_f32 v136, v105, v116, -v115
	ds_read2_b64 v[103:106], v1 offset0:87 offset1:88
	ds_read2_b64 v[115:118], v1 offset0:89 offset1:90
	v_add_f32_e32 v0, v0, v120
	v_add_f32_e32 v1, v134, v125
	;; [unrolled: 1-line block ×4, first 2 shown]
	s_waitcnt vmcnt(21) lgkmcnt(5)
	v_mul_f32_e32 v125, v99, v6
	v_mul_f32_e32 v6, v100, v6
	s_waitcnt vmcnt(20)
	v_mul_f32_e32 v134, v102, v135
	v_add_f32_e32 v0, v0, v126
	v_add_f32_e32 v1, v1, v133
	v_mul_f32_e32 v120, v101, v135
	v_fma_f32 v6, v99, v147, -v6
	v_fmac_f32_e32 v125, v100, v147
	v_add_f32_e32 v0, v0, v127
	v_add_f32_e32 v1, v1, v136
	s_waitcnt vmcnt(19) lgkmcnt(4)
	v_mul_f32_e32 v132, v107, v129
	v_mul_f32_e32 v129, v108, v129
	v_fma_f32 v101, v101, v144, -v134
	v_fmac_f32_e32 v120, v102, v144
	v_add_f32_e32 v1, v1, v6
	v_add_f32_e32 v0, v0, v125
	s_waitcnt vmcnt(18)
	v_mul_f32_e32 v135, v110, v148
	v_fma_f32 v107, v107, v128, -v129
	v_mul_f32_e32 v99, v109, v148
	v_add_f32_e32 v1, v1, v101
	v_fmac_f32_e32 v132, v108, v128
	v_add_f32_e32 v0, v0, v120
	s_waitcnt vmcnt(17) lgkmcnt(3)
	v_mul_f32_e32 v101, v3, v149
	s_waitcnt vmcnt(6)
	v_fma_f32 v108, v109, v157, -v135
	v_add_f32_e32 v1, v1, v107
	v_mul_f32_e32 v100, v2, v149
	v_fmac_f32_e32 v99, v110, v157
	v_add_f32_e32 v0, v0, v132
	v_mul_f32_e32 v107, v5, v130
	v_fma_f32 v2, v2, v156, -v101
	v_add_f32_e32 v1, v1, v108
	v_mul_f32_e32 v124, v4, v130
	v_fmac_f32_e32 v100, v3, v156
	v_add_f32_e32 v0, v0, v99
	s_waitcnt lgkmcnt(2)
	v_mul_f32_e32 v3, v112, v150
	v_fma_f32 v4, v4, v154, -v107
	v_add_f32_e32 v1, v1, v2
	v_mul_f32_e32 v126, v111, v150
	v_fmac_f32_e32 v124, v5, v154
	v_add_f32_e32 v0, v0, v100
	v_mul_f32_e32 v2, v114, v8
	v_fma_f32 v3, v111, v153, -v3
	v_add_f32_e32 v1, v1, v4
	v_mul_f32_e32 v102, v113, v8
	v_fmac_f32_e32 v126, v112, v153
	v_add_f32_e32 v0, v0, v124
	s_waitcnt lgkmcnt(1)
	v_mul_f32_e32 v4, v104, v131
	s_waitcnt vmcnt(2)
	v_fma_f32 v2, v113, v158, -v2
	v_add_f32_e32 v1, v1, v3
	v_mul_f32_e32 v133, v103, v131
	v_fmac_f32_e32 v102, v114, v158
	v_add_f32_e32 v0, v0, v126
	v_mul_f32_e32 v3, v106, v151
	v_fma_f32 v4, v103, v122, -v4
	v_add_f32_e32 v1, v1, v2
	v_mul_f32_e32 v127, v105, v151
	v_fmac_f32_e32 v133, v104, v122
	v_add_f32_e32 v0, v0, v102
	s_waitcnt lgkmcnt(0)
	v_mul_f32_e32 v2, v116, v152
	v_fma_f32 v3, v105, v119, -v3
	v_add_f32_e32 v1, v1, v4
	v_mul_f32_e32 v134, v115, v152
	v_fmac_f32_e32 v127, v106, v119
	v_add_f32_e32 v0, v0, v133
	v_mul_f32_e32 v4, v118, v121
	v_fma_f32 v2, v115, v7, -v2
	v_add_f32_e32 v1, v1, v3
	v_mul_f32_e32 v6, v117, v121
	v_fmac_f32_e32 v134, v116, v7
	v_add_f32_e32 v0, v0, v127
	s_waitcnt vmcnt(1)
	v_fma_f32 v3, v117, v123, -v4
	v_add_f32_e32 v1, v1, v2
	v_fmac_f32_e32 v6, v118, v123
	v_add_f32_e32 v0, v0, v134
	v_add_f32_e32 v1, v1, v3
	;; [unrolled: 1-line block ×3, first 2 shown]
	s_waitcnt vmcnt(0)
	v_sub_f32_e32 v1, v159, v1
	v_sub_f32_e32 v0, v145, v0
	buffer_store_dword v1, off, s[0:3], 0
	buffer_store_dword v0, off, s[0:3], 0 offset:4
	s_cbranch_vccz .LBB108_372
; %bb.284:
	v_mov_b32_e32 v0, 0
	global_load_dword v1, v0, s[12:13] offset:172
	s_waitcnt vmcnt(0)
	v_add_nc_u32_e32 v1, -1, v1
	v_cmp_ne_u32_e32 vcc_lo, 43, v1
	s_cbranch_vccz .LBB108_286
; %bb.285:
	v_lshlrev_b32_e32 v1, 3, v1
	s_clause 0x3
	buffer_load_dword v2, v1, s[0:3], 0 offen
	buffer_load_dword v3, v1, s[0:3], 0 offen offset:4
	buffer_load_dword v4, off, s[0:3], 0 offset:344
	buffer_load_dword v5, off, s[0:3], 0 offset:348
	s_waitcnt vmcnt(3)
	buffer_store_dword v2, off, s[0:3], 0 offset:344
	s_waitcnt vmcnt(2)
	buffer_store_dword v3, off, s[0:3], 0 offset:348
	s_waitcnt vmcnt(1)
	buffer_store_dword v4, v1, s[0:3], 0 offen
	s_waitcnt vmcnt(0)
	buffer_store_dword v5, v1, s[0:3], 0 offen offset:4
.LBB108_286:
	global_load_dword v0, v0, s[12:13] offset:168
	s_waitcnt vmcnt(0)
	v_add_nc_u32_e32 v0, -1, v0
	v_cmp_eq_u32_e32 vcc_lo, 42, v0
	s_cbranch_vccnz .LBB108_288
; %bb.287:
	v_lshlrev_b32_e32 v0, 3, v0
	s_clause 0x3
	buffer_load_dword v1, v0, s[0:3], 0 offen
	buffer_load_dword v2, v0, s[0:3], 0 offen offset:4
	buffer_load_dword v3, off, s[0:3], 0 offset:340
	buffer_load_dword v4, off, s[0:3], 0 offset:336
	s_waitcnt vmcnt(3)
	buffer_store_dword v1, off, s[0:3], 0 offset:336
	s_waitcnt vmcnt(2)
	buffer_store_dword v2, off, s[0:3], 0 offset:340
	s_waitcnt vmcnt(1)
	buffer_store_dword v3, v0, s[0:3], 0 offen offset:4
	s_waitcnt vmcnt(0)
	buffer_store_dword v4, v0, s[0:3], 0 offen
.LBB108_288:
	v_mov_b32_e32 v0, 0
	global_load_dword v1, v0, s[12:13] offset:164
	s_waitcnt vmcnt(0)
	v_add_nc_u32_e32 v1, -1, v1
	v_cmp_eq_u32_e32 vcc_lo, 41, v1
	s_cbranch_vccnz .LBB108_290
; %bb.289:
	v_lshlrev_b32_e32 v1, 3, v1
	s_clause 0x3
	buffer_load_dword v2, v1, s[0:3], 0 offen
	buffer_load_dword v3, v1, s[0:3], 0 offen offset:4
	buffer_load_dword v4, off, s[0:3], 0 offset:328
	buffer_load_dword v5, off, s[0:3], 0 offset:332
	s_waitcnt vmcnt(3)
	buffer_store_dword v2, off, s[0:3], 0 offset:328
	s_waitcnt vmcnt(2)
	buffer_store_dword v3, off, s[0:3], 0 offset:332
	s_waitcnt vmcnt(1)
	buffer_store_dword v4, v1, s[0:3], 0 offen
	s_waitcnt vmcnt(0)
	buffer_store_dword v5, v1, s[0:3], 0 offen offset:4
.LBB108_290:
	global_load_dword v0, v0, s[12:13] offset:160
	s_waitcnt vmcnt(0)
	v_add_nc_u32_e32 v0, -1, v0
	v_cmp_eq_u32_e32 vcc_lo, 40, v0
	s_cbranch_vccnz .LBB108_292
; %bb.291:
	v_lshlrev_b32_e32 v0, 3, v0
	s_clause 0x3
	buffer_load_dword v1, v0, s[0:3], 0 offen
	buffer_load_dword v2, v0, s[0:3], 0 offen offset:4
	buffer_load_dword v3, off, s[0:3], 0 offset:324
	buffer_load_dword v4, off, s[0:3], 0 offset:320
	s_waitcnt vmcnt(3)
	buffer_store_dword v1, off, s[0:3], 0 offset:320
	s_waitcnt vmcnt(2)
	buffer_store_dword v2, off, s[0:3], 0 offset:324
	s_waitcnt vmcnt(1)
	buffer_store_dword v3, v0, s[0:3], 0 offen offset:4
	s_waitcnt vmcnt(0)
	buffer_store_dword v4, v0, s[0:3], 0 offen
.LBB108_292:
	v_mov_b32_e32 v0, 0
	global_load_dword v1, v0, s[12:13] offset:156
	s_waitcnt vmcnt(0)
	v_add_nc_u32_e32 v1, -1, v1
	v_cmp_eq_u32_e32 vcc_lo, 39, v1
	s_cbranch_vccnz .LBB108_294
; %bb.293:
	v_lshlrev_b32_e32 v1, 3, v1
	s_clause 0x3
	buffer_load_dword v2, v1, s[0:3], 0 offen
	buffer_load_dword v3, v1, s[0:3], 0 offen offset:4
	buffer_load_dword v4, off, s[0:3], 0 offset:312
	buffer_load_dword v5, off, s[0:3], 0 offset:316
	s_waitcnt vmcnt(3)
	buffer_store_dword v2, off, s[0:3], 0 offset:312
	s_waitcnt vmcnt(2)
	buffer_store_dword v3, off, s[0:3], 0 offset:316
	s_waitcnt vmcnt(1)
	buffer_store_dword v4, v1, s[0:3], 0 offen
	s_waitcnt vmcnt(0)
	buffer_store_dword v5, v1, s[0:3], 0 offen offset:4
.LBB108_294:
	;; [unrolled: 43-line block ×21, first 2 shown]
	global_load_dword v0, v0, s[12:13]
	s_waitcnt vmcnt(0)
	v_add_nc_u32_e32 v0, -1, v0
	v_cmp_eq_u32_e32 vcc_lo, 0, v0
	s_cbranch_vccnz .LBB108_372
; %bb.371:
	v_lshlrev_b32_e32 v0, 3, v0
	s_clause 0x3
	buffer_load_dword v1, v0, s[0:3], 0 offen
	buffer_load_dword v2, v0, s[0:3], 0 offen offset:4
	buffer_load_dword v3, off, s[0:3], 0 offset:4
	buffer_load_dword v4, off, s[0:3], 0
	s_waitcnt vmcnt(3)
	buffer_store_dword v1, off, s[0:3], 0
	s_waitcnt vmcnt(2)
	buffer_store_dword v2, off, s[0:3], 0 offset:4
	s_waitcnt vmcnt(1)
	buffer_store_dword v3, v0, s[0:3], 0 offen offset:4
	s_waitcnt vmcnt(0)
	buffer_store_dword v4, v0, s[0:3], 0 offen
.LBB108_372:
	s_clause 0x1
	buffer_load_dword v0, off, s[0:3], 0
	buffer_load_dword v1, off, s[0:3], 0 offset:4
	s_waitcnt vmcnt(0)
	flat_store_dwordx2 v[9:10], v[0:1]
	s_clause 0x1
	buffer_load_dword v0, off, s[0:3], 0 offset:8
	buffer_load_dword v1, off, s[0:3], 0 offset:12
	s_waitcnt vmcnt(0)
	flat_store_dwordx2 v[11:12], v[0:1]
	s_clause 0x1
	buffer_load_dword v0, off, s[0:3], 0 offset:16
	;; [unrolled: 5-line block ×44, first 2 shown]
	buffer_load_dword v1, off, s[0:3], 0 offset:356
	s_waitcnt vmcnt(0)
	flat_store_dwordx2 v[97:98], v[0:1]
	s_endpgm
	.section	.rodata,"a",@progbits
	.p2align	6, 0x0
	.amdhsa_kernel _ZN9rocsolver6v33100L18getri_kernel_smallILi45E19rocblas_complex_numIfEPKPS3_EEvT1_iilPiilS8_bb
		.amdhsa_group_segment_fixed_size 728
		.amdhsa_private_segment_fixed_size 368
		.amdhsa_kernarg_size 60
		.amdhsa_user_sgpr_count 6
		.amdhsa_user_sgpr_private_segment_buffer 1
		.amdhsa_user_sgpr_dispatch_ptr 0
		.amdhsa_user_sgpr_queue_ptr 0
		.amdhsa_user_sgpr_kernarg_segment_ptr 1
		.amdhsa_user_sgpr_dispatch_id 0
		.amdhsa_user_sgpr_flat_scratch_init 0
		.amdhsa_user_sgpr_private_segment_size 0
		.amdhsa_wavefront_size32 1
		.amdhsa_uses_dynamic_stack 0
		.amdhsa_system_sgpr_private_segment_wavefront_offset 1
		.amdhsa_system_sgpr_workgroup_id_x 1
		.amdhsa_system_sgpr_workgroup_id_y 0
		.amdhsa_system_sgpr_workgroup_id_z 0
		.amdhsa_system_sgpr_workgroup_info 0
		.amdhsa_system_vgpr_workitem_id 0
		.amdhsa_next_free_vgpr 254
		.amdhsa_next_free_sgpr 20
		.amdhsa_reserve_vcc 1
		.amdhsa_reserve_flat_scratch 0
		.amdhsa_float_round_mode_32 0
		.amdhsa_float_round_mode_16_64 0
		.amdhsa_float_denorm_mode_32 3
		.amdhsa_float_denorm_mode_16_64 3
		.amdhsa_dx10_clamp 1
		.amdhsa_ieee_mode 1
		.amdhsa_fp16_overflow 0
		.amdhsa_workgroup_processor_mode 1
		.amdhsa_memory_ordered 1
		.amdhsa_forward_progress 1
		.amdhsa_shared_vgpr_count 0
		.amdhsa_exception_fp_ieee_invalid_op 0
		.amdhsa_exception_fp_denorm_src 0
		.amdhsa_exception_fp_ieee_div_zero 0
		.amdhsa_exception_fp_ieee_overflow 0
		.amdhsa_exception_fp_ieee_underflow 0
		.amdhsa_exception_fp_ieee_inexact 0
		.amdhsa_exception_int_div_zero 0
	.end_amdhsa_kernel
	.section	.text._ZN9rocsolver6v33100L18getri_kernel_smallILi45E19rocblas_complex_numIfEPKPS3_EEvT1_iilPiilS8_bb,"axG",@progbits,_ZN9rocsolver6v33100L18getri_kernel_smallILi45E19rocblas_complex_numIfEPKPS3_EEvT1_iilPiilS8_bb,comdat
.Lfunc_end108:
	.size	_ZN9rocsolver6v33100L18getri_kernel_smallILi45E19rocblas_complex_numIfEPKPS3_EEvT1_iilPiilS8_bb, .Lfunc_end108-_ZN9rocsolver6v33100L18getri_kernel_smallILi45E19rocblas_complex_numIfEPKPS3_EEvT1_iilPiilS8_bb
                                        ; -- End function
	.set _ZN9rocsolver6v33100L18getri_kernel_smallILi45E19rocblas_complex_numIfEPKPS3_EEvT1_iilPiilS8_bb.num_vgpr, 254
	.set _ZN9rocsolver6v33100L18getri_kernel_smallILi45E19rocblas_complex_numIfEPKPS3_EEvT1_iilPiilS8_bb.num_agpr, 0
	.set _ZN9rocsolver6v33100L18getri_kernel_smallILi45E19rocblas_complex_numIfEPKPS3_EEvT1_iilPiilS8_bb.numbered_sgpr, 20
	.set _ZN9rocsolver6v33100L18getri_kernel_smallILi45E19rocblas_complex_numIfEPKPS3_EEvT1_iilPiilS8_bb.num_named_barrier, 0
	.set _ZN9rocsolver6v33100L18getri_kernel_smallILi45E19rocblas_complex_numIfEPKPS3_EEvT1_iilPiilS8_bb.private_seg_size, 368
	.set _ZN9rocsolver6v33100L18getri_kernel_smallILi45E19rocblas_complex_numIfEPKPS3_EEvT1_iilPiilS8_bb.uses_vcc, 1
	.set _ZN9rocsolver6v33100L18getri_kernel_smallILi45E19rocblas_complex_numIfEPKPS3_EEvT1_iilPiilS8_bb.uses_flat_scratch, 0
	.set _ZN9rocsolver6v33100L18getri_kernel_smallILi45E19rocblas_complex_numIfEPKPS3_EEvT1_iilPiilS8_bb.has_dyn_sized_stack, 0
	.set _ZN9rocsolver6v33100L18getri_kernel_smallILi45E19rocblas_complex_numIfEPKPS3_EEvT1_iilPiilS8_bb.has_recursion, 0
	.set _ZN9rocsolver6v33100L18getri_kernel_smallILi45E19rocblas_complex_numIfEPKPS3_EEvT1_iilPiilS8_bb.has_indirect_call, 0
	.section	.AMDGPU.csdata,"",@progbits
; Kernel info:
; codeLenInByte = 81796
; TotalNumSgprs: 22
; NumVgprs: 254
; ScratchSize: 368
; MemoryBound: 0
; FloatMode: 240
; IeeeMode: 1
; LDSByteSize: 728 bytes/workgroup (compile time only)
; SGPRBlocks: 0
; VGPRBlocks: 31
; NumSGPRsForWavesPerEU: 22
; NumVGPRsForWavesPerEU: 254
; Occupancy: 4
; WaveLimiterHint : 1
; COMPUTE_PGM_RSRC2:SCRATCH_EN: 1
; COMPUTE_PGM_RSRC2:USER_SGPR: 6
; COMPUTE_PGM_RSRC2:TRAP_HANDLER: 0
; COMPUTE_PGM_RSRC2:TGID_X_EN: 1
; COMPUTE_PGM_RSRC2:TGID_Y_EN: 0
; COMPUTE_PGM_RSRC2:TGID_Z_EN: 0
; COMPUTE_PGM_RSRC2:TIDIG_COMP_CNT: 0
	.section	.text._ZN9rocsolver6v33100L18getri_kernel_smallILi46E19rocblas_complex_numIfEPKPS3_EEvT1_iilPiilS8_bb,"axG",@progbits,_ZN9rocsolver6v33100L18getri_kernel_smallILi46E19rocblas_complex_numIfEPKPS3_EEvT1_iilPiilS8_bb,comdat
	.globl	_ZN9rocsolver6v33100L18getri_kernel_smallILi46E19rocblas_complex_numIfEPKPS3_EEvT1_iilPiilS8_bb ; -- Begin function _ZN9rocsolver6v33100L18getri_kernel_smallILi46E19rocblas_complex_numIfEPKPS3_EEvT1_iilPiilS8_bb
	.p2align	8
	.type	_ZN9rocsolver6v33100L18getri_kernel_smallILi46E19rocblas_complex_numIfEPKPS3_EEvT1_iilPiilS8_bb,@function
_ZN9rocsolver6v33100L18getri_kernel_smallILi46E19rocblas_complex_numIfEPKPS3_EEvT1_iilPiilS8_bb: ; @_ZN9rocsolver6v33100L18getri_kernel_smallILi46E19rocblas_complex_numIfEPKPS3_EEvT1_iilPiilS8_bb
; %bb.0:
	s_add_u32 s0, s0, s7
	s_addc_u32 s1, s1, 0
	s_mov_b32 s7, exec_lo
	v_cmpx_gt_u32_e32 46, v0
	s_cbranch_execz .LBB109_198
; %bb.1:
	s_clause 0x2
	s_load_dword s17, s[4:5], 0x38
	s_load_dwordx2 s[12:13], s[4:5], 0x0
	s_load_dwordx4 s[8:11], s[4:5], 0x28
	s_waitcnt lgkmcnt(0)
	s_bitcmp1_b32 s17, 8
	s_cselect_b32 s16, -1, 0
	s_ashr_i32 s7, s6, 31
	s_lshl_b64 s[14:15], s[6:7], 3
	s_add_u32 s12, s12, s14
	s_addc_u32 s13, s13, s15
	s_load_dwordx2 s[14:15], s[12:13], 0x0
	s_bfe_u32 s12, s17, 0x10008
	s_cmp_eq_u32 s12, 0
                                        ; implicit-def: $sgpr12_sgpr13
	s_cbranch_scc1 .LBB109_3
; %bb.2:
	s_clause 0x1
	s_load_dword s12, s[4:5], 0x20
	s_load_dwordx2 s[18:19], s[4:5], 0x18
	s_mul_i32 s13, s8, s7
	s_mul_hi_u32 s17, s8, s6
	s_mul_i32 s9, s9, s6
	s_add_i32 s13, s17, s13
	s_mul_i32 s8, s8, s6
	s_add_i32 s9, s13, s9
	s_lshl_b64 s[8:9], s[8:9], 2
	s_waitcnt lgkmcnt(0)
	s_ashr_i32 s13, s12, 31
	s_add_u32 s17, s18, s8
	s_addc_u32 s18, s19, s9
	s_lshl_b64 s[8:9], s[12:13], 2
	s_add_u32 s12, s17, s8
	s_addc_u32 s13, s18, s9
.LBB109_3:
	s_clause 0x1
	s_load_dwordx2 s[8:9], s[4:5], 0x8
	s_load_dword s17, s[4:5], 0x38
	v_lshlrev_b32_e32 v3, 3, v0
	s_waitcnt lgkmcnt(0)
	s_ashr_i32 s5, s8, 31
	s_mov_b32 s4, s8
	v_add3_u32 v4, s9, s9, v0
	s_lshl_b64 s[4:5], s[4:5], 3
	s_add_u32 s4, s14, s4
	s_addc_u32 s5, s15, s5
	v_add_co_u32 v9, s8, s4, v3
	v_add_co_ci_u32_e64 v10, null, s5, 0, s8
	s_mov_b32 s14, s9
	s_ashr_i32 s15, s9, 31
	v_ashrrev_i32_e32 v5, 31, v4
	flat_load_dwordx2 v[1:2], v[9:10]
	s_lshl_b64 s[14:15], s[14:15], 3
	s_bitcmp0_b32 s17, 0
	v_add_co_u32 v11, vcc_lo, v9, s14
	v_add_co_ci_u32_e64 v12, null, s15, v10, vcc_lo
	v_lshlrev_b64 v[5:6], 3, v[4:5]
	v_add_nc_u32_e32 v4, s9, v4
	s_waitcnt vmcnt(0) lgkmcnt(0)
	buffer_store_dword v2, off, s[0:3], 0 offset:4
	buffer_store_dword v1, off, s[0:3], 0
	flat_load_dwordx2 v[1:2], v[11:12]
	v_add_co_u32 v13, vcc_lo, s4, v5
	v_add_co_ci_u32_e64 v14, null, s5, v6, vcc_lo
	v_ashrrev_i32_e32 v5, 31, v4
	s_waitcnt vmcnt(0) lgkmcnt(0)
	buffer_store_dword v2, off, s[0:3], 0 offset:12
	buffer_store_dword v1, off, s[0:3], 0 offset:8
	flat_load_dwordx2 v[1:2], v[13:14]
	v_lshlrev_b64 v[5:6], 3, v[4:5]
	v_add_nc_u32_e32 v4, s9, v4
	s_waitcnt vmcnt(0) lgkmcnt(0)
	buffer_store_dword v2, off, s[0:3], 0 offset:20
	buffer_store_dword v1, off, s[0:3], 0 offset:16
	v_add_co_u32 v15, vcc_lo, s4, v5
	v_add_co_ci_u32_e64 v16, null, s5, v6, vcc_lo
	v_ashrrev_i32_e32 v5, 31, v4
	flat_load_dwordx2 v[1:2], v[15:16]
	s_waitcnt vmcnt(0) lgkmcnt(0)
	buffer_store_dword v2, off, s[0:3], 0 offset:28
	buffer_store_dword v1, off, s[0:3], 0 offset:24
	v_lshlrev_b64 v[5:6], 3, v[4:5]
	v_add_nc_u32_e32 v4, s9, v4
	v_add_co_u32 v17, vcc_lo, s4, v5
	v_add_co_ci_u32_e64 v18, null, s5, v6, vcc_lo
	v_ashrrev_i32_e32 v5, 31, v4
	flat_load_dwordx2 v[1:2], v[17:18]
	s_waitcnt vmcnt(0) lgkmcnt(0)
	buffer_store_dword v2, off, s[0:3], 0 offset:36
	buffer_store_dword v1, off, s[0:3], 0 offset:32
	v_lshlrev_b64 v[5:6], 3, v[4:5]
	v_add_nc_u32_e32 v4, s9, v4
	v_add_co_u32 v19, vcc_lo, s4, v5
	v_add_co_ci_u32_e64 v20, null, s5, v6, vcc_lo
	v_ashrrev_i32_e32 v5, 31, v4
	flat_load_dwordx2 v[1:2], v[19:20]
	s_waitcnt vmcnt(0) lgkmcnt(0)
	buffer_store_dword v2, off, s[0:3], 0 offset:44
	buffer_store_dword v1, off, s[0:3], 0 offset:40
	v_lshlrev_b64 v[5:6], 3, v[4:5]
	v_add_nc_u32_e32 v4, s9, v4
	v_add_co_u32 v21, vcc_lo, s4, v5
	v_add_co_ci_u32_e64 v22, null, s5, v6, vcc_lo
	v_ashrrev_i32_e32 v5, 31, v4
	flat_load_dwordx2 v[1:2], v[21:22]
	s_waitcnt vmcnt(0) lgkmcnt(0)
	buffer_store_dword v2, off, s[0:3], 0 offset:52
	buffer_store_dword v1, off, s[0:3], 0 offset:48
	v_lshlrev_b64 v[5:6], 3, v[4:5]
	v_add_nc_u32_e32 v4, s9, v4
	v_add_co_u32 v23, vcc_lo, s4, v5
	v_add_co_ci_u32_e64 v24, null, s5, v6, vcc_lo
	v_ashrrev_i32_e32 v5, 31, v4
	flat_load_dwordx2 v[1:2], v[23:24]
	s_waitcnt vmcnt(0) lgkmcnt(0)
	buffer_store_dword v2, off, s[0:3], 0 offset:60
	buffer_store_dword v1, off, s[0:3], 0 offset:56
	v_lshlrev_b64 v[5:6], 3, v[4:5]
	v_add_nc_u32_e32 v4, s9, v4
	v_add_co_u32 v25, vcc_lo, s4, v5
	v_add_co_ci_u32_e64 v26, null, s5, v6, vcc_lo
	v_ashrrev_i32_e32 v5, 31, v4
	flat_load_dwordx2 v[1:2], v[25:26]
	s_waitcnt vmcnt(0) lgkmcnt(0)
	buffer_store_dword v2, off, s[0:3], 0 offset:68
	buffer_store_dword v1, off, s[0:3], 0 offset:64
	v_lshlrev_b64 v[5:6], 3, v[4:5]
	v_add_nc_u32_e32 v4, s9, v4
	v_add_co_u32 v27, vcc_lo, s4, v5
	v_add_co_ci_u32_e64 v28, null, s5, v6, vcc_lo
	v_ashrrev_i32_e32 v5, 31, v4
	flat_load_dwordx2 v[1:2], v[27:28]
	s_waitcnt vmcnt(0) lgkmcnt(0)
	buffer_store_dword v2, off, s[0:3], 0 offset:76
	buffer_store_dword v1, off, s[0:3], 0 offset:72
	v_lshlrev_b64 v[5:6], 3, v[4:5]
	v_add_nc_u32_e32 v4, s9, v4
	v_add_co_u32 v29, vcc_lo, s4, v5
	v_add_co_ci_u32_e64 v30, null, s5, v6, vcc_lo
	v_ashrrev_i32_e32 v5, 31, v4
	flat_load_dwordx2 v[1:2], v[29:30]
	s_waitcnt vmcnt(0) lgkmcnt(0)
	buffer_store_dword v2, off, s[0:3], 0 offset:84
	buffer_store_dword v1, off, s[0:3], 0 offset:80
	v_lshlrev_b64 v[5:6], 3, v[4:5]
	v_add_nc_u32_e32 v4, s9, v4
	v_add_co_u32 v31, vcc_lo, s4, v5
	v_add_co_ci_u32_e64 v32, null, s5, v6, vcc_lo
	v_ashrrev_i32_e32 v5, 31, v4
	flat_load_dwordx2 v[1:2], v[31:32]
	s_waitcnt vmcnt(0) lgkmcnt(0)
	buffer_store_dword v2, off, s[0:3], 0 offset:92
	buffer_store_dword v1, off, s[0:3], 0 offset:88
	v_lshlrev_b64 v[5:6], 3, v[4:5]
	v_add_nc_u32_e32 v4, s9, v4
	v_add_co_u32 v33, vcc_lo, s4, v5
	v_add_co_ci_u32_e64 v34, null, s5, v6, vcc_lo
	v_ashrrev_i32_e32 v5, 31, v4
	flat_load_dwordx2 v[1:2], v[33:34]
	s_waitcnt vmcnt(0) lgkmcnt(0)
	buffer_store_dword v2, off, s[0:3], 0 offset:100
	buffer_store_dword v1, off, s[0:3], 0 offset:96
	v_lshlrev_b64 v[5:6], 3, v[4:5]
	v_add_nc_u32_e32 v4, s9, v4
	v_add_co_u32 v35, vcc_lo, s4, v5
	v_add_co_ci_u32_e64 v36, null, s5, v6, vcc_lo
	v_ashrrev_i32_e32 v5, 31, v4
	flat_load_dwordx2 v[1:2], v[35:36]
	s_waitcnt vmcnt(0) lgkmcnt(0)
	buffer_store_dword v2, off, s[0:3], 0 offset:108
	buffer_store_dword v1, off, s[0:3], 0 offset:104
	v_lshlrev_b64 v[5:6], 3, v[4:5]
	v_add_nc_u32_e32 v4, s9, v4
	v_add_co_u32 v37, vcc_lo, s4, v5
	v_add_co_ci_u32_e64 v38, null, s5, v6, vcc_lo
	v_ashrrev_i32_e32 v5, 31, v4
	flat_load_dwordx2 v[1:2], v[37:38]
	s_waitcnt vmcnt(0) lgkmcnt(0)
	buffer_store_dword v2, off, s[0:3], 0 offset:116
	buffer_store_dword v1, off, s[0:3], 0 offset:112
	v_lshlrev_b64 v[5:6], 3, v[4:5]
	v_add_nc_u32_e32 v4, s9, v4
	v_add_co_u32 v39, vcc_lo, s4, v5
	v_add_co_ci_u32_e64 v40, null, s5, v6, vcc_lo
	v_ashrrev_i32_e32 v5, 31, v4
	flat_load_dwordx2 v[1:2], v[39:40]
	s_waitcnt vmcnt(0) lgkmcnt(0)
	buffer_store_dword v2, off, s[0:3], 0 offset:124
	buffer_store_dword v1, off, s[0:3], 0 offset:120
	v_lshlrev_b64 v[5:6], 3, v[4:5]
	v_add_nc_u32_e32 v4, s9, v4
	v_add_co_u32 v41, vcc_lo, s4, v5
	v_add_co_ci_u32_e64 v42, null, s5, v6, vcc_lo
	v_ashrrev_i32_e32 v5, 31, v4
	flat_load_dwordx2 v[1:2], v[41:42]
	s_waitcnt vmcnt(0) lgkmcnt(0)
	buffer_store_dword v2, off, s[0:3], 0 offset:132
	buffer_store_dword v1, off, s[0:3], 0 offset:128
	v_lshlrev_b64 v[5:6], 3, v[4:5]
	v_add_nc_u32_e32 v4, s9, v4
	v_add_co_u32 v43, vcc_lo, s4, v5
	v_add_co_ci_u32_e64 v44, null, s5, v6, vcc_lo
	v_ashrrev_i32_e32 v5, 31, v4
	flat_load_dwordx2 v[1:2], v[43:44]
	s_waitcnt vmcnt(0) lgkmcnt(0)
	buffer_store_dword v2, off, s[0:3], 0 offset:140
	buffer_store_dword v1, off, s[0:3], 0 offset:136
	v_lshlrev_b64 v[5:6], 3, v[4:5]
	v_add_nc_u32_e32 v4, s9, v4
	v_add_co_u32 v45, vcc_lo, s4, v5
	v_add_co_ci_u32_e64 v46, null, s5, v6, vcc_lo
	v_ashrrev_i32_e32 v5, 31, v4
	flat_load_dwordx2 v[1:2], v[45:46]
	s_waitcnt vmcnt(0) lgkmcnt(0)
	buffer_store_dword v2, off, s[0:3], 0 offset:148
	buffer_store_dword v1, off, s[0:3], 0 offset:144
	v_lshlrev_b64 v[5:6], 3, v[4:5]
	v_add_nc_u32_e32 v4, s9, v4
	v_add_co_u32 v47, vcc_lo, s4, v5
	v_add_co_ci_u32_e64 v48, null, s5, v6, vcc_lo
	v_ashrrev_i32_e32 v5, 31, v4
	flat_load_dwordx2 v[1:2], v[47:48]
	s_waitcnt vmcnt(0) lgkmcnt(0)
	buffer_store_dword v2, off, s[0:3], 0 offset:156
	buffer_store_dword v1, off, s[0:3], 0 offset:152
	v_lshlrev_b64 v[5:6], 3, v[4:5]
	v_add_nc_u32_e32 v4, s9, v4
	v_add_co_u32 v49, vcc_lo, s4, v5
	v_add_co_ci_u32_e64 v50, null, s5, v6, vcc_lo
	v_ashrrev_i32_e32 v5, 31, v4
	flat_load_dwordx2 v[1:2], v[49:50]
	s_waitcnt vmcnt(0) lgkmcnt(0)
	buffer_store_dword v2, off, s[0:3], 0 offset:164
	buffer_store_dword v1, off, s[0:3], 0 offset:160
	v_lshlrev_b64 v[5:6], 3, v[4:5]
	v_add_nc_u32_e32 v4, s9, v4
	v_add_co_u32 v51, vcc_lo, s4, v5
	v_add_co_ci_u32_e64 v52, null, s5, v6, vcc_lo
	v_ashrrev_i32_e32 v5, 31, v4
	flat_load_dwordx2 v[1:2], v[51:52]
	s_waitcnt vmcnt(0) lgkmcnt(0)
	buffer_store_dword v2, off, s[0:3], 0 offset:172
	buffer_store_dword v1, off, s[0:3], 0 offset:168
	v_lshlrev_b64 v[5:6], 3, v[4:5]
	v_add_nc_u32_e32 v4, s9, v4
	v_add_co_u32 v53, vcc_lo, s4, v5
	v_add_co_ci_u32_e64 v54, null, s5, v6, vcc_lo
	v_ashrrev_i32_e32 v5, 31, v4
	flat_load_dwordx2 v[1:2], v[53:54]
	s_waitcnt vmcnt(0) lgkmcnt(0)
	buffer_store_dword v2, off, s[0:3], 0 offset:180
	buffer_store_dword v1, off, s[0:3], 0 offset:176
	v_lshlrev_b64 v[5:6], 3, v[4:5]
	v_add_nc_u32_e32 v4, s9, v4
	v_add_co_u32 v55, vcc_lo, s4, v5
	v_add_co_ci_u32_e64 v56, null, s5, v6, vcc_lo
	v_ashrrev_i32_e32 v5, 31, v4
	flat_load_dwordx2 v[1:2], v[55:56]
	s_waitcnt vmcnt(0) lgkmcnt(0)
	buffer_store_dword v2, off, s[0:3], 0 offset:188
	buffer_store_dword v1, off, s[0:3], 0 offset:184
	v_lshlrev_b64 v[5:6], 3, v[4:5]
	v_add_nc_u32_e32 v4, s9, v4
	v_add_co_u32 v57, vcc_lo, s4, v5
	v_add_co_ci_u32_e64 v58, null, s5, v6, vcc_lo
	v_ashrrev_i32_e32 v5, 31, v4
	flat_load_dwordx2 v[1:2], v[57:58]
	s_waitcnt vmcnt(0) lgkmcnt(0)
	buffer_store_dword v2, off, s[0:3], 0 offset:196
	buffer_store_dword v1, off, s[0:3], 0 offset:192
	v_lshlrev_b64 v[5:6], 3, v[4:5]
	v_add_nc_u32_e32 v4, s9, v4
	v_add_co_u32 v59, vcc_lo, s4, v5
	v_add_co_ci_u32_e64 v60, null, s5, v6, vcc_lo
	v_ashrrev_i32_e32 v5, 31, v4
	flat_load_dwordx2 v[1:2], v[59:60]
	s_waitcnt vmcnt(0) lgkmcnt(0)
	buffer_store_dword v2, off, s[0:3], 0 offset:204
	buffer_store_dword v1, off, s[0:3], 0 offset:200
	v_lshlrev_b64 v[5:6], 3, v[4:5]
	v_add_nc_u32_e32 v4, s9, v4
	v_add_co_u32 v61, vcc_lo, s4, v5
	v_add_co_ci_u32_e64 v62, null, s5, v6, vcc_lo
	v_ashrrev_i32_e32 v5, 31, v4
	flat_load_dwordx2 v[1:2], v[61:62]
	s_waitcnt vmcnt(0) lgkmcnt(0)
	buffer_store_dword v2, off, s[0:3], 0 offset:212
	buffer_store_dword v1, off, s[0:3], 0 offset:208
	v_lshlrev_b64 v[5:6], 3, v[4:5]
	v_add_nc_u32_e32 v4, s9, v4
	v_add_co_u32 v63, vcc_lo, s4, v5
	v_add_co_ci_u32_e64 v64, null, s5, v6, vcc_lo
	v_ashrrev_i32_e32 v5, 31, v4
	flat_load_dwordx2 v[1:2], v[63:64]
	s_waitcnt vmcnt(0) lgkmcnt(0)
	buffer_store_dword v2, off, s[0:3], 0 offset:220
	buffer_store_dword v1, off, s[0:3], 0 offset:216
	v_lshlrev_b64 v[5:6], 3, v[4:5]
	v_add_nc_u32_e32 v4, s9, v4
	v_add_co_u32 v65, vcc_lo, s4, v5
	v_add_co_ci_u32_e64 v66, null, s5, v6, vcc_lo
	v_ashrrev_i32_e32 v5, 31, v4
	flat_load_dwordx2 v[1:2], v[65:66]
	s_waitcnt vmcnt(0) lgkmcnt(0)
	buffer_store_dword v2, off, s[0:3], 0 offset:228
	buffer_store_dword v1, off, s[0:3], 0 offset:224
	v_lshlrev_b64 v[5:6], 3, v[4:5]
	v_add_nc_u32_e32 v4, s9, v4
	v_add_co_u32 v67, vcc_lo, s4, v5
	v_add_co_ci_u32_e64 v68, null, s5, v6, vcc_lo
	v_ashrrev_i32_e32 v5, 31, v4
	flat_load_dwordx2 v[1:2], v[67:68]
	s_waitcnt vmcnt(0) lgkmcnt(0)
	buffer_store_dword v2, off, s[0:3], 0 offset:236
	buffer_store_dword v1, off, s[0:3], 0 offset:232
	v_lshlrev_b64 v[5:6], 3, v[4:5]
	v_add_nc_u32_e32 v4, s9, v4
	v_add_co_u32 v69, vcc_lo, s4, v5
	v_add_co_ci_u32_e64 v70, null, s5, v6, vcc_lo
	v_ashrrev_i32_e32 v5, 31, v4
	flat_load_dwordx2 v[1:2], v[69:70]
	s_waitcnt vmcnt(0) lgkmcnt(0)
	buffer_store_dword v2, off, s[0:3], 0 offset:244
	buffer_store_dword v1, off, s[0:3], 0 offset:240
	v_lshlrev_b64 v[5:6], 3, v[4:5]
	v_add_nc_u32_e32 v4, s9, v4
	v_add_co_u32 v71, vcc_lo, s4, v5
	v_add_co_ci_u32_e64 v72, null, s5, v6, vcc_lo
	v_ashrrev_i32_e32 v5, 31, v4
	flat_load_dwordx2 v[1:2], v[71:72]
	s_waitcnt vmcnt(0) lgkmcnt(0)
	buffer_store_dword v2, off, s[0:3], 0 offset:252
	buffer_store_dword v1, off, s[0:3], 0 offset:248
	v_lshlrev_b64 v[5:6], 3, v[4:5]
	v_add_nc_u32_e32 v4, s9, v4
	v_add_co_u32 v73, vcc_lo, s4, v5
	v_add_co_ci_u32_e64 v74, null, s5, v6, vcc_lo
	v_ashrrev_i32_e32 v5, 31, v4
	flat_load_dwordx2 v[1:2], v[73:74]
	s_waitcnt vmcnt(0) lgkmcnt(0)
	buffer_store_dword v2, off, s[0:3], 0 offset:260
	buffer_store_dword v1, off, s[0:3], 0 offset:256
	v_lshlrev_b64 v[5:6], 3, v[4:5]
	v_add_nc_u32_e32 v4, s9, v4
	v_add_co_u32 v75, vcc_lo, s4, v5
	v_add_co_ci_u32_e64 v76, null, s5, v6, vcc_lo
	v_ashrrev_i32_e32 v5, 31, v4
	flat_load_dwordx2 v[1:2], v[75:76]
	s_waitcnt vmcnt(0) lgkmcnt(0)
	buffer_store_dword v2, off, s[0:3], 0 offset:268
	buffer_store_dword v1, off, s[0:3], 0 offset:264
	v_lshlrev_b64 v[5:6], 3, v[4:5]
	v_add_nc_u32_e32 v4, s9, v4
	v_add_co_u32 v77, vcc_lo, s4, v5
	v_add_co_ci_u32_e64 v78, null, s5, v6, vcc_lo
	v_ashrrev_i32_e32 v5, 31, v4
	flat_load_dwordx2 v[1:2], v[77:78]
	s_waitcnt vmcnt(0) lgkmcnt(0)
	buffer_store_dword v2, off, s[0:3], 0 offset:276
	buffer_store_dword v1, off, s[0:3], 0 offset:272
	v_lshlrev_b64 v[5:6], 3, v[4:5]
	v_add_nc_u32_e32 v4, s9, v4
	v_add_co_u32 v79, vcc_lo, s4, v5
	v_add_co_ci_u32_e64 v80, null, s5, v6, vcc_lo
	v_ashrrev_i32_e32 v5, 31, v4
	flat_load_dwordx2 v[1:2], v[79:80]
	s_waitcnt vmcnt(0) lgkmcnt(0)
	buffer_store_dword v2, off, s[0:3], 0 offset:284
	buffer_store_dword v1, off, s[0:3], 0 offset:280
	v_lshlrev_b64 v[5:6], 3, v[4:5]
	v_add_nc_u32_e32 v4, s9, v4
	v_add_co_u32 v81, vcc_lo, s4, v5
	v_add_co_ci_u32_e64 v82, null, s5, v6, vcc_lo
	v_ashrrev_i32_e32 v5, 31, v4
	flat_load_dwordx2 v[1:2], v[81:82]
	s_waitcnt vmcnt(0) lgkmcnt(0)
	buffer_store_dword v2, off, s[0:3], 0 offset:292
	buffer_store_dword v1, off, s[0:3], 0 offset:288
	v_lshlrev_b64 v[5:6], 3, v[4:5]
	v_add_nc_u32_e32 v4, s9, v4
	v_add_co_u32 v83, vcc_lo, s4, v5
	v_add_co_ci_u32_e64 v84, null, s5, v6, vcc_lo
	v_ashrrev_i32_e32 v5, 31, v4
	flat_load_dwordx2 v[1:2], v[83:84]
	s_waitcnt vmcnt(0) lgkmcnt(0)
	buffer_store_dword v2, off, s[0:3], 0 offset:300
	buffer_store_dword v1, off, s[0:3], 0 offset:296
	v_lshlrev_b64 v[5:6], 3, v[4:5]
	v_add_nc_u32_e32 v4, s9, v4
	v_add_co_u32 v85, vcc_lo, s4, v5
	v_add_co_ci_u32_e64 v86, null, s5, v6, vcc_lo
	v_ashrrev_i32_e32 v5, 31, v4
	flat_load_dwordx2 v[1:2], v[85:86]
	s_waitcnt vmcnt(0) lgkmcnt(0)
	buffer_store_dword v2, off, s[0:3], 0 offset:308
	buffer_store_dword v1, off, s[0:3], 0 offset:304
	v_lshlrev_b64 v[5:6], 3, v[4:5]
	v_add_nc_u32_e32 v4, s9, v4
	v_add_co_u32 v87, vcc_lo, s4, v5
	v_add_co_ci_u32_e64 v88, null, s5, v6, vcc_lo
	v_ashrrev_i32_e32 v5, 31, v4
	flat_load_dwordx2 v[1:2], v[87:88]
	s_waitcnt vmcnt(0) lgkmcnt(0)
	buffer_store_dword v2, off, s[0:3], 0 offset:316
	buffer_store_dword v1, off, s[0:3], 0 offset:312
	v_lshlrev_b64 v[5:6], 3, v[4:5]
	v_add_nc_u32_e32 v4, s9, v4
	v_add_co_u32 v89, vcc_lo, s4, v5
	v_add_co_ci_u32_e64 v90, null, s5, v6, vcc_lo
	v_ashrrev_i32_e32 v5, 31, v4
	flat_load_dwordx2 v[1:2], v[89:90]
	s_waitcnt vmcnt(0) lgkmcnt(0)
	buffer_store_dword v2, off, s[0:3], 0 offset:324
	buffer_store_dword v1, off, s[0:3], 0 offset:320
	v_lshlrev_b64 v[5:6], 3, v[4:5]
	v_add_nc_u32_e32 v4, s9, v4
	v_add_co_u32 v91, vcc_lo, s4, v5
	v_add_co_ci_u32_e64 v92, null, s5, v6, vcc_lo
	v_ashrrev_i32_e32 v5, 31, v4
	flat_load_dwordx2 v[1:2], v[91:92]
	s_waitcnt vmcnt(0) lgkmcnt(0)
	buffer_store_dword v2, off, s[0:3], 0 offset:332
	buffer_store_dword v1, off, s[0:3], 0 offset:328
	v_lshlrev_b64 v[5:6], 3, v[4:5]
	v_add_nc_u32_e32 v4, s9, v4
	v_add_co_u32 v93, vcc_lo, s4, v5
	v_add_co_ci_u32_e64 v94, null, s5, v6, vcc_lo
	v_ashrrev_i32_e32 v5, 31, v4
	flat_load_dwordx2 v[1:2], v[93:94]
	s_waitcnt vmcnt(0) lgkmcnt(0)
	buffer_store_dword v2, off, s[0:3], 0 offset:340
	buffer_store_dword v1, off, s[0:3], 0 offset:336
	v_lshlrev_b64 v[5:6], 3, v[4:5]
	v_add_nc_u32_e32 v4, s9, v4
	v_add_co_u32 v95, vcc_lo, s4, v5
	v_add_co_ci_u32_e64 v96, null, s5, v6, vcc_lo
	v_ashrrev_i32_e32 v5, 31, v4
	flat_load_dwordx2 v[1:2], v[95:96]
	s_waitcnt vmcnt(0) lgkmcnt(0)
	buffer_store_dword v2, off, s[0:3], 0 offset:348
	buffer_store_dword v1, off, s[0:3], 0 offset:344
	v_lshlrev_b64 v[5:6], 3, v[4:5]
	v_add_nc_u32_e32 v4, s9, v4
	v_add_co_u32 v97, vcc_lo, s4, v5
	v_add_co_ci_u32_e64 v98, null, s5, v6, vcc_lo
	v_ashrrev_i32_e32 v5, 31, v4
	flat_load_dwordx2 v[1:2], v[97:98]
	s_waitcnt vmcnt(0) lgkmcnt(0)
	buffer_store_dword v2, off, s[0:3], 0 offset:356
	buffer_store_dword v1, off, s[0:3], 0 offset:352
	v_lshlrev_b64 v[4:5], 3, v[4:5]
	v_add_co_u32 v99, vcc_lo, s4, v4
	v_add_co_ci_u32_e64 v100, null, s5, v5, vcc_lo
	s_mov_b32 s5, -1
	flat_load_dwordx2 v[1:2], v[99:100]
	s_waitcnt vmcnt(0) lgkmcnt(0)
	buffer_store_dword v2, off, s[0:3], 0 offset:364
	buffer_store_dword v1, off, s[0:3], 0 offset:360
	s_cbranch_scc1 .LBB109_196
; %bb.4:
	v_cmp_eq_u32_e64 s4, 0, v0
	s_and_saveexec_b32 s5, s4
; %bb.5:
	v_mov_b32_e32 v1, 0
	ds_write_b32 v1, v1 offset:736
; %bb.6:
	s_or_b32 exec_lo, exec_lo, s5
	v_lshl_add_u32 v5, v0, 3, 0
	s_waitcnt lgkmcnt(0)
	s_waitcnt_vscnt null, 0x0
	s_barrier
	buffer_gl0_inv
	s_clause 0x1
	buffer_load_dword v1, v5, s[0:3], 0 offen
	buffer_load_dword v2, v5, s[0:3], 0 offen offset:4
	s_waitcnt vmcnt(1)
	v_cmp_eq_f32_e32 vcc_lo, 0, v1
	s_waitcnt vmcnt(0)
	v_cmp_eq_f32_e64 s5, 0, v2
	s_and_b32 s5, vcc_lo, s5
	s_and_saveexec_b32 s8, s5
	s_cbranch_execz .LBB109_10
; %bb.7:
	v_mov_b32_e32 v1, 0
	s_mov_b32 s9, 0
	ds_read_b32 v2, v1 offset:736
	s_waitcnt lgkmcnt(0)
	v_readfirstlane_b32 s5, v2
	v_add_nc_u32_e32 v2, 1, v0
	s_cmp_eq_u32 s5, 0
	v_cmp_gt_i32_e32 vcc_lo, s5, v2
	s_cselect_b32 s14, -1, 0
	s_or_b32 s14, s14, vcc_lo
	s_and_b32 exec_lo, exec_lo, s14
	s_cbranch_execz .LBB109_10
; %bb.8:
	v_mov_b32_e32 v4, s5
.LBB109_9:                              ; =>This Inner Loop Header: Depth=1
	ds_cmpst_rtn_b32 v4, v1, v4, v2 offset:736
	s_waitcnt lgkmcnt(0)
	v_cmp_ne_u32_e32 vcc_lo, 0, v4
	v_cmp_le_i32_e64 s5, v4, v2
	s_and_b32 s5, vcc_lo, s5
	s_and_b32 s5, exec_lo, s5
	s_or_b32 s9, s5, s9
	s_andn2_b32 exec_lo, exec_lo, s9
	s_cbranch_execnz .LBB109_9
.LBB109_10:
	s_or_b32 exec_lo, exec_lo, s8
	v_mov_b32_e32 v1, 0
	s_barrier
	buffer_gl0_inv
	ds_read_b32 v2, v1 offset:736
	s_and_saveexec_b32 s5, s4
	s_cbranch_execz .LBB109_12
; %bb.11:
	s_lshl_b64 s[8:9], s[6:7], 2
	s_add_u32 s8, s10, s8
	s_addc_u32 s9, s11, s9
	s_waitcnt lgkmcnt(0)
	global_store_dword v1, v2, s[8:9]
.LBB109_12:
	s_or_b32 exec_lo, exec_lo, s5
	s_waitcnt lgkmcnt(0)
	v_cmp_ne_u32_e32 vcc_lo, 0, v2
	s_mov_b32 s5, 0
	s_cbranch_vccnz .LBB109_196
; %bb.13:
	s_clause 0x1
	buffer_load_dword v2, v5, s[0:3], 0 offen
	buffer_load_dword v4, v5, s[0:3], 0 offen offset:4
                                        ; implicit-def: $vgpr7
                                        ; implicit-def: $vgpr6
                                        ; implicit-def: $vgpr1
	s_waitcnt vmcnt(0)
	v_cmp_ngt_f32_e64 s5, |v2|, |v4|
	s_and_saveexec_b32 s8, s5
	s_xor_b32 s5, exec_lo, s8
	s_cbranch_execz .LBB109_15
; %bb.14:
	v_div_scale_f32 v1, null, v4, v4, v2
	v_div_scale_f32 v8, vcc_lo, v2, v4, v2
	v_rcp_f32_e32 v6, v1
	v_fma_f32 v7, -v1, v6, 1.0
	v_fmac_f32_e32 v6, v7, v6
	v_mul_f32_e32 v7, v8, v6
	v_fma_f32 v101, -v1, v7, v8
	v_fmac_f32_e32 v7, v101, v6
	v_fma_f32 v1, -v1, v7, v8
	v_div_fmas_f32 v1, v1, v6, v7
	v_div_fixup_f32 v1, v1, v4, v2
	v_fmac_f32_e32 v4, v2, v1
	v_div_scale_f32 v2, null, v4, v4, 1.0
	v_rcp_f32_e32 v6, v2
	v_fma_f32 v7, -v2, v6, 1.0
	v_fmac_f32_e32 v6, v7, v6
	v_div_scale_f32 v7, vcc_lo, 1.0, v4, 1.0
	v_mul_f32_e32 v8, v7, v6
	v_fma_f32 v101, -v2, v8, v7
	v_fmac_f32_e32 v8, v101, v6
	v_fma_f32 v2, -v2, v8, v7
	v_div_fmas_f32 v2, v2, v6, v8
	v_div_fixup_f32 v2, v2, v4, 1.0
                                        ; implicit-def: $vgpr4
	v_mul_f32_e32 v7, v1, v2
	v_xor_b32_e32 v6, 0x80000000, v2
                                        ; implicit-def: $vgpr2
	v_xor_b32_e32 v1, 0x80000000, v7
.LBB109_15:
	s_andn2_saveexec_b32 s5, s5
	s_cbranch_execz .LBB109_17
; %bb.16:
	v_div_scale_f32 v1, null, v2, v2, v4
	v_div_scale_f32 v8, vcc_lo, v4, v2, v4
	v_rcp_f32_e32 v6, v1
	v_fma_f32 v7, -v1, v6, 1.0
	v_fmac_f32_e32 v6, v7, v6
	v_mul_f32_e32 v7, v8, v6
	v_fma_f32 v101, -v1, v7, v8
	v_fmac_f32_e32 v7, v101, v6
	v_fma_f32 v1, -v1, v7, v8
	v_div_fmas_f32 v1, v1, v6, v7
	v_div_fixup_f32 v6, v1, v2, v4
	v_fmac_f32_e32 v2, v4, v6
	v_div_scale_f32 v1, null, v2, v2, 1.0
	v_div_scale_f32 v8, vcc_lo, 1.0, v2, 1.0
	v_rcp_f32_e32 v4, v1
	v_fma_f32 v7, -v1, v4, 1.0
	v_fmac_f32_e32 v4, v7, v4
	v_mul_f32_e32 v7, v8, v4
	v_fma_f32 v101, -v1, v7, v8
	v_fmac_f32_e32 v7, v101, v4
	v_fma_f32 v1, -v1, v7, v8
	v_div_fmas_f32 v1, v1, v4, v7
	v_div_fixup_f32 v7, v1, v2, 1.0
	v_xor_b32_e32 v1, 0x80000000, v7
	v_mul_f32_e64 v6, v6, -v7
.LBB109_17:
	s_or_b32 exec_lo, exec_lo, s5
	buffer_store_dword v7, v5, s[0:3], 0 offen
	buffer_store_dword v6, v5, s[0:3], 0 offen offset:4
	s_clause 0x1
	buffer_load_dword v8, off, s[0:3], 0 offset:12
	buffer_load_dword v7, off, s[0:3], 0 offset:8
	v_xor_b32_e32 v2, 0x80000000, v6
	v_add_nc_u32_e32 v4, 0x170, v3
	s_waitcnt vmcnt(0)
	ds_write2_b64 v3, v[1:2], v[7:8] offset1:46
	s_waitcnt lgkmcnt(0)
	s_waitcnt_vscnt null, 0x0
	s_barrier
	buffer_gl0_inv
	s_and_saveexec_b32 s5, s4
	s_cbranch_execz .LBB109_19
; %bb.18:
	s_clause 0x1
	buffer_load_dword v8, v5, s[0:3], 0 offen offset:4
	buffer_load_dword v101, v5, s[0:3], 0 offen
	ds_read_b64 v[1:2], v4
	v_mov_b32_e32 v6, 0
	ds_read_b64 v[6:7], v6 offset:8
	s_waitcnt vmcnt(1) lgkmcnt(1)
	v_mul_f32_e32 v102, v1, v8
	v_mul_f32_e32 v8, v2, v8
	s_waitcnt vmcnt(0)
	v_fmac_f32_e32 v102, v2, v101
	v_fma_f32 v1, v1, v101, -v8
	v_add_f32_e32 v2, 0, v102
	v_add_f32_e32 v1, 0, v1
	s_waitcnt lgkmcnt(0)
	v_mul_f32_e32 v8, v2, v7
	v_mul_f32_e32 v7, v1, v7
	v_fma_f32 v1, v1, v6, -v8
	v_fmac_f32_e32 v7, v2, v6
	buffer_store_dword v1, off, s[0:3], 0 offset:8
	buffer_store_dword v7, off, s[0:3], 0 offset:12
.LBB109_19:
	s_or_b32 exec_lo, exec_lo, s5
	s_waitcnt_vscnt null, 0x0
	s_barrier
	buffer_gl0_inv
	s_clause 0x1
	buffer_load_dword v1, off, s[0:3], 0 offset:16
	buffer_load_dword v2, off, s[0:3], 0 offset:20
	s_mov_b32 s5, exec_lo
	s_waitcnt vmcnt(0)
	ds_write_b64 v4, v[1:2]
	s_waitcnt lgkmcnt(0)
	s_barrier
	buffer_gl0_inv
	v_cmpx_gt_u32_e32 2, v0
	s_cbranch_execz .LBB109_23
; %bb.20:
	s_clause 0x1
	buffer_load_dword v6, v5, s[0:3], 0 offen offset:4
	buffer_load_dword v5, v5, s[0:3], 0 offen
	ds_read_b64 v[1:2], v4
	s_waitcnt vmcnt(1) lgkmcnt(0)
	v_mul_f32_e32 v7, v2, v6
	v_mul_f32_e32 v6, v1, v6
	s_waitcnt vmcnt(0)
	v_fma_f32 v1, v1, v5, -v7
	v_fmac_f32_e32 v6, v2, v5
	v_add_f32_e32 v2, 0, v1
	v_add_f32_e32 v1, 0, v6
	s_and_saveexec_b32 s8, s4
	s_cbranch_execz .LBB109_22
; %bb.21:
	s_clause 0x1
	buffer_load_dword v7, off, s[0:3], 0 offset:12
	buffer_load_dword v8, off, s[0:3], 0 offset:8
	v_mov_b32_e32 v5, 0
	ds_read_b64 v[5:6], v5 offset:376
	s_waitcnt vmcnt(1) lgkmcnt(0)
	v_mul_f32_e32 v101, v5, v7
	v_mul_f32_e32 v7, v6, v7
	s_waitcnt vmcnt(0)
	v_fmac_f32_e32 v101, v6, v8
	v_fma_f32 v5, v5, v8, -v7
	v_add_f32_e32 v1, v1, v101
	v_add_f32_e32 v2, v2, v5
.LBB109_22:
	s_or_b32 exec_lo, exec_lo, s8
	v_mov_b32_e32 v5, 0
	ds_read_b64 v[5:6], v5 offset:16
	s_waitcnt lgkmcnt(0)
	v_mul_f32_e32 v7, v1, v6
	v_mul_f32_e32 v6, v2, v6
	v_fma_f32 v2, v2, v5, -v7
	v_fmac_f32_e32 v6, v1, v5
	buffer_store_dword v2, off, s[0:3], 0 offset:16
	buffer_store_dword v6, off, s[0:3], 0 offset:20
.LBB109_23:
	s_or_b32 exec_lo, exec_lo, s5
	s_waitcnt_vscnt null, 0x0
	s_barrier
	buffer_gl0_inv
	s_clause 0x1
	buffer_load_dword v5, off, s[0:3], 0 offset:24
	buffer_load_dword v6, off, s[0:3], 0 offset:28
	v_add_nc_u32_e32 v1, -1, v0
	s_mov_b32 s4, exec_lo
	s_waitcnt vmcnt(0)
	ds_write_b64 v4, v[5:6]
	s_waitcnt lgkmcnt(0)
	s_barrier
	buffer_gl0_inv
	v_cmpx_gt_u32_e32 3, v0
	s_cbranch_execz .LBB109_27
; %bb.24:
	v_add_nc_u32_e32 v5, -1, v0
	v_add_nc_u32_e32 v6, 0x170, v3
	v_mov_b32_e32 v7, v3
	v_mov_b32_e32 v2, 0
	;; [unrolled: 1-line block ×3, first 2 shown]
	s_mov_b32 s5, 0
	.p2align	6
.LBB109_25:                             ; =>This Inner Loop Header: Depth=1
	s_clause 0x1
	buffer_load_dword v103, v7, s[0:3], 0 offen offset:4
	buffer_load_dword v104, v7, s[0:3], 0 offen
	ds_read_b64 v[101:102], v6
	v_add_nc_u32_e32 v5, 1, v5
	v_add_nc_u32_e32 v6, 8, v6
	;; [unrolled: 1-line block ×3, first 2 shown]
	v_cmp_lt_u32_e32 vcc_lo, 1, v5
	s_or_b32 s5, vcc_lo, s5
	s_waitcnt vmcnt(1) lgkmcnt(0)
	v_mul_f32_e32 v105, v102, v103
	v_mul_f32_e32 v103, v101, v103
	s_waitcnt vmcnt(0)
	v_fma_f32 v101, v101, v104, -v105
	v_fmac_f32_e32 v103, v102, v104
	v_add_f32_e32 v8, v8, v101
	v_add_f32_e32 v2, v2, v103
	s_andn2_b32 exec_lo, exec_lo, s5
	s_cbranch_execnz .LBB109_25
; %bb.26:
	s_or_b32 exec_lo, exec_lo, s5
	v_mov_b32_e32 v5, 0
	ds_read_b64 v[5:6], v5 offset:24
	s_waitcnt lgkmcnt(0)
	v_mul_f32_e32 v7, v2, v6
	v_mul_f32_e32 v6, v8, v6
	v_fma_f32 v7, v8, v5, -v7
	v_fmac_f32_e32 v6, v2, v5
	buffer_store_dword v7, off, s[0:3], 0 offset:24
	buffer_store_dword v6, off, s[0:3], 0 offset:28
.LBB109_27:
	s_or_b32 exec_lo, exec_lo, s4
	s_waitcnt_vscnt null, 0x0
	s_barrier
	buffer_gl0_inv
	s_clause 0x1
	buffer_load_dword v5, off, s[0:3], 0 offset:32
	buffer_load_dword v6, off, s[0:3], 0 offset:36
	s_mov_b32 s4, exec_lo
	s_waitcnt vmcnt(0)
	ds_write_b64 v4, v[5:6]
	s_waitcnt lgkmcnt(0)
	s_barrier
	buffer_gl0_inv
	v_cmpx_gt_u32_e32 4, v0
	s_cbranch_execz .LBB109_31
; %bb.28:
	v_add_nc_u32_e32 v5, -1, v0
	v_add_nc_u32_e32 v6, 0x170, v3
	v_mov_b32_e32 v7, v3
	v_mov_b32_e32 v2, 0
	v_mov_b32_e32 v8, 0
	s_mov_b32 s5, 0
	.p2align	6
.LBB109_29:                             ; =>This Inner Loop Header: Depth=1
	s_clause 0x1
	buffer_load_dword v103, v7, s[0:3], 0 offen offset:4
	buffer_load_dword v104, v7, s[0:3], 0 offen
	ds_read_b64 v[101:102], v6
	v_add_nc_u32_e32 v5, 1, v5
	v_add_nc_u32_e32 v6, 8, v6
	;; [unrolled: 1-line block ×3, first 2 shown]
	v_cmp_lt_u32_e32 vcc_lo, 2, v5
	s_or_b32 s5, vcc_lo, s5
	s_waitcnt vmcnt(1) lgkmcnt(0)
	v_mul_f32_e32 v105, v102, v103
	v_mul_f32_e32 v103, v101, v103
	s_waitcnt vmcnt(0)
	v_fma_f32 v101, v101, v104, -v105
	v_fmac_f32_e32 v103, v102, v104
	v_add_f32_e32 v8, v8, v101
	v_add_f32_e32 v2, v2, v103
	s_andn2_b32 exec_lo, exec_lo, s5
	s_cbranch_execnz .LBB109_29
; %bb.30:
	s_or_b32 exec_lo, exec_lo, s5
	v_mov_b32_e32 v5, 0
	ds_read_b64 v[5:6], v5 offset:32
	s_waitcnt lgkmcnt(0)
	v_mul_f32_e32 v7, v2, v6
	v_mul_f32_e32 v6, v8, v6
	v_fma_f32 v7, v8, v5, -v7
	v_fmac_f32_e32 v6, v2, v5
	buffer_store_dword v7, off, s[0:3], 0 offset:32
	buffer_store_dword v6, off, s[0:3], 0 offset:36
.LBB109_31:
	s_or_b32 exec_lo, exec_lo, s4
	s_waitcnt_vscnt null, 0x0
	s_barrier
	buffer_gl0_inv
	s_clause 0x1
	buffer_load_dword v5, off, s[0:3], 0 offset:40
	buffer_load_dword v6, off, s[0:3], 0 offset:44
	s_mov_b32 s4, exec_lo
	s_waitcnt vmcnt(0)
	ds_write_b64 v4, v[5:6]
	s_waitcnt lgkmcnt(0)
	s_barrier
	buffer_gl0_inv
	v_cmpx_gt_u32_e32 5, v0
	s_cbranch_execz .LBB109_35
; %bb.32:
	v_add_nc_u32_e32 v5, -1, v0
	v_add_nc_u32_e32 v6, 0x170, v3
	v_mov_b32_e32 v7, v3
	v_mov_b32_e32 v2, 0
	;; [unrolled: 1-line block ×3, first 2 shown]
	s_mov_b32 s5, 0
	.p2align	6
.LBB109_33:                             ; =>This Inner Loop Header: Depth=1
	s_clause 0x1
	buffer_load_dword v103, v7, s[0:3], 0 offen offset:4
	buffer_load_dword v104, v7, s[0:3], 0 offen
	ds_read_b64 v[101:102], v6
	v_add_nc_u32_e32 v5, 1, v5
	v_add_nc_u32_e32 v6, 8, v6
	;; [unrolled: 1-line block ×3, first 2 shown]
	v_cmp_lt_u32_e32 vcc_lo, 3, v5
	s_or_b32 s5, vcc_lo, s5
	s_waitcnt vmcnt(1) lgkmcnt(0)
	v_mul_f32_e32 v105, v102, v103
	v_mul_f32_e32 v103, v101, v103
	s_waitcnt vmcnt(0)
	v_fma_f32 v101, v101, v104, -v105
	v_fmac_f32_e32 v103, v102, v104
	v_add_f32_e32 v8, v8, v101
	v_add_f32_e32 v2, v2, v103
	s_andn2_b32 exec_lo, exec_lo, s5
	s_cbranch_execnz .LBB109_33
; %bb.34:
	s_or_b32 exec_lo, exec_lo, s5
	v_mov_b32_e32 v5, 0
	ds_read_b64 v[5:6], v5 offset:40
	s_waitcnt lgkmcnt(0)
	v_mul_f32_e32 v7, v2, v6
	v_mul_f32_e32 v6, v8, v6
	v_fma_f32 v7, v8, v5, -v7
	v_fmac_f32_e32 v6, v2, v5
	buffer_store_dword v7, off, s[0:3], 0 offset:40
	buffer_store_dword v6, off, s[0:3], 0 offset:44
.LBB109_35:
	s_or_b32 exec_lo, exec_lo, s4
	s_waitcnt_vscnt null, 0x0
	s_barrier
	buffer_gl0_inv
	s_clause 0x1
	buffer_load_dword v5, off, s[0:3], 0 offset:48
	buffer_load_dword v6, off, s[0:3], 0 offset:52
	s_mov_b32 s4, exec_lo
	s_waitcnt vmcnt(0)
	ds_write_b64 v4, v[5:6]
	s_waitcnt lgkmcnt(0)
	s_barrier
	buffer_gl0_inv
	v_cmpx_gt_u32_e32 6, v0
	s_cbranch_execz .LBB109_39
; %bb.36:
	v_add_nc_u32_e32 v5, -1, v0
	v_add_nc_u32_e32 v6, 0x170, v3
	v_mov_b32_e32 v7, v3
	v_mov_b32_e32 v2, 0
	;; [unrolled: 1-line block ×3, first 2 shown]
	s_mov_b32 s5, 0
	.p2align	6
.LBB109_37:                             ; =>This Inner Loop Header: Depth=1
	s_clause 0x1
	buffer_load_dword v103, v7, s[0:3], 0 offen offset:4
	buffer_load_dword v104, v7, s[0:3], 0 offen
	ds_read_b64 v[101:102], v6
	v_add_nc_u32_e32 v5, 1, v5
	v_add_nc_u32_e32 v6, 8, v6
	;; [unrolled: 1-line block ×3, first 2 shown]
	v_cmp_lt_u32_e32 vcc_lo, 4, v5
	s_or_b32 s5, vcc_lo, s5
	s_waitcnt vmcnt(1) lgkmcnt(0)
	v_mul_f32_e32 v105, v102, v103
	v_mul_f32_e32 v103, v101, v103
	s_waitcnt vmcnt(0)
	v_fma_f32 v101, v101, v104, -v105
	v_fmac_f32_e32 v103, v102, v104
	v_add_f32_e32 v8, v8, v101
	v_add_f32_e32 v2, v2, v103
	s_andn2_b32 exec_lo, exec_lo, s5
	s_cbranch_execnz .LBB109_37
; %bb.38:
	s_or_b32 exec_lo, exec_lo, s5
	v_mov_b32_e32 v5, 0
	ds_read_b64 v[5:6], v5 offset:48
	s_waitcnt lgkmcnt(0)
	v_mul_f32_e32 v7, v2, v6
	v_mul_f32_e32 v6, v8, v6
	v_fma_f32 v7, v8, v5, -v7
	v_fmac_f32_e32 v6, v2, v5
	buffer_store_dword v7, off, s[0:3], 0 offset:48
	buffer_store_dword v6, off, s[0:3], 0 offset:52
.LBB109_39:
	s_or_b32 exec_lo, exec_lo, s4
	s_waitcnt_vscnt null, 0x0
	s_barrier
	buffer_gl0_inv
	s_clause 0x1
	buffer_load_dword v5, off, s[0:3], 0 offset:56
	buffer_load_dword v6, off, s[0:3], 0 offset:60
	s_mov_b32 s4, exec_lo
	s_waitcnt vmcnt(0)
	ds_write_b64 v4, v[5:6]
	s_waitcnt lgkmcnt(0)
	s_barrier
	buffer_gl0_inv
	v_cmpx_gt_u32_e32 7, v0
	s_cbranch_execz .LBB109_43
; %bb.40:
	v_add_nc_u32_e32 v5, -1, v0
	v_add_nc_u32_e32 v6, 0x170, v3
	v_mov_b32_e32 v7, v3
	v_mov_b32_e32 v2, 0
	;; [unrolled: 1-line block ×3, first 2 shown]
	s_mov_b32 s5, 0
	.p2align	6
.LBB109_41:                             ; =>This Inner Loop Header: Depth=1
	s_clause 0x1
	buffer_load_dword v103, v7, s[0:3], 0 offen offset:4
	buffer_load_dword v104, v7, s[0:3], 0 offen
	ds_read_b64 v[101:102], v6
	v_add_nc_u32_e32 v5, 1, v5
	v_add_nc_u32_e32 v6, 8, v6
	v_add_nc_u32_e32 v7, 8, v7
	v_cmp_lt_u32_e32 vcc_lo, 5, v5
	s_or_b32 s5, vcc_lo, s5
	s_waitcnt vmcnt(1) lgkmcnt(0)
	v_mul_f32_e32 v105, v102, v103
	v_mul_f32_e32 v103, v101, v103
	s_waitcnt vmcnt(0)
	v_fma_f32 v101, v101, v104, -v105
	v_fmac_f32_e32 v103, v102, v104
	v_add_f32_e32 v8, v8, v101
	v_add_f32_e32 v2, v2, v103
	s_andn2_b32 exec_lo, exec_lo, s5
	s_cbranch_execnz .LBB109_41
; %bb.42:
	s_or_b32 exec_lo, exec_lo, s5
	v_mov_b32_e32 v5, 0
	ds_read_b64 v[5:6], v5 offset:56
	s_waitcnt lgkmcnt(0)
	v_mul_f32_e32 v7, v2, v6
	v_mul_f32_e32 v6, v8, v6
	v_fma_f32 v7, v8, v5, -v7
	v_fmac_f32_e32 v6, v2, v5
	buffer_store_dword v7, off, s[0:3], 0 offset:56
	buffer_store_dword v6, off, s[0:3], 0 offset:60
.LBB109_43:
	s_or_b32 exec_lo, exec_lo, s4
	s_waitcnt_vscnt null, 0x0
	s_barrier
	buffer_gl0_inv
	s_clause 0x1
	buffer_load_dword v5, off, s[0:3], 0 offset:64
	buffer_load_dword v6, off, s[0:3], 0 offset:68
	s_mov_b32 s4, exec_lo
	s_waitcnt vmcnt(0)
	ds_write_b64 v4, v[5:6]
	s_waitcnt lgkmcnt(0)
	s_barrier
	buffer_gl0_inv
	v_cmpx_gt_u32_e32 8, v0
	s_cbranch_execz .LBB109_47
; %bb.44:
	v_add_nc_u32_e32 v5, -1, v0
	v_add_nc_u32_e32 v6, 0x170, v3
	v_mov_b32_e32 v7, v3
	v_mov_b32_e32 v2, 0
	;; [unrolled: 1-line block ×3, first 2 shown]
	s_mov_b32 s5, 0
	.p2align	6
.LBB109_45:                             ; =>This Inner Loop Header: Depth=1
	s_clause 0x1
	buffer_load_dword v103, v7, s[0:3], 0 offen offset:4
	buffer_load_dword v104, v7, s[0:3], 0 offen
	ds_read_b64 v[101:102], v6
	v_add_nc_u32_e32 v5, 1, v5
	v_add_nc_u32_e32 v6, 8, v6
	;; [unrolled: 1-line block ×3, first 2 shown]
	v_cmp_lt_u32_e32 vcc_lo, 6, v5
	s_or_b32 s5, vcc_lo, s5
	s_waitcnt vmcnt(1) lgkmcnt(0)
	v_mul_f32_e32 v105, v102, v103
	v_mul_f32_e32 v103, v101, v103
	s_waitcnt vmcnt(0)
	v_fma_f32 v101, v101, v104, -v105
	v_fmac_f32_e32 v103, v102, v104
	v_add_f32_e32 v8, v8, v101
	v_add_f32_e32 v2, v2, v103
	s_andn2_b32 exec_lo, exec_lo, s5
	s_cbranch_execnz .LBB109_45
; %bb.46:
	s_or_b32 exec_lo, exec_lo, s5
	v_mov_b32_e32 v5, 0
	ds_read_b64 v[5:6], v5 offset:64
	s_waitcnt lgkmcnt(0)
	v_mul_f32_e32 v7, v2, v6
	v_mul_f32_e32 v6, v8, v6
	v_fma_f32 v7, v8, v5, -v7
	v_fmac_f32_e32 v6, v2, v5
	buffer_store_dword v7, off, s[0:3], 0 offset:64
	buffer_store_dword v6, off, s[0:3], 0 offset:68
.LBB109_47:
	s_or_b32 exec_lo, exec_lo, s4
	s_waitcnt_vscnt null, 0x0
	s_barrier
	buffer_gl0_inv
	s_clause 0x1
	buffer_load_dword v5, off, s[0:3], 0 offset:72
	buffer_load_dword v6, off, s[0:3], 0 offset:76
	s_mov_b32 s4, exec_lo
	s_waitcnt vmcnt(0)
	ds_write_b64 v4, v[5:6]
	s_waitcnt lgkmcnt(0)
	s_barrier
	buffer_gl0_inv
	v_cmpx_gt_u32_e32 9, v0
	s_cbranch_execz .LBB109_51
; %bb.48:
	v_add_nc_u32_e32 v5, -1, v0
	v_add_nc_u32_e32 v6, 0x170, v3
	v_mov_b32_e32 v7, v3
	v_mov_b32_e32 v2, 0
	;; [unrolled: 1-line block ×3, first 2 shown]
	s_mov_b32 s5, 0
	.p2align	6
.LBB109_49:                             ; =>This Inner Loop Header: Depth=1
	s_clause 0x1
	buffer_load_dword v103, v7, s[0:3], 0 offen offset:4
	buffer_load_dword v104, v7, s[0:3], 0 offen
	ds_read_b64 v[101:102], v6
	v_add_nc_u32_e32 v5, 1, v5
	v_add_nc_u32_e32 v6, 8, v6
	;; [unrolled: 1-line block ×3, first 2 shown]
	v_cmp_lt_u32_e32 vcc_lo, 7, v5
	s_or_b32 s5, vcc_lo, s5
	s_waitcnt vmcnt(1) lgkmcnt(0)
	v_mul_f32_e32 v105, v102, v103
	v_mul_f32_e32 v103, v101, v103
	s_waitcnt vmcnt(0)
	v_fma_f32 v101, v101, v104, -v105
	v_fmac_f32_e32 v103, v102, v104
	v_add_f32_e32 v8, v8, v101
	v_add_f32_e32 v2, v2, v103
	s_andn2_b32 exec_lo, exec_lo, s5
	s_cbranch_execnz .LBB109_49
; %bb.50:
	s_or_b32 exec_lo, exec_lo, s5
	v_mov_b32_e32 v5, 0
	ds_read_b64 v[5:6], v5 offset:72
	s_waitcnt lgkmcnt(0)
	v_mul_f32_e32 v7, v2, v6
	v_mul_f32_e32 v6, v8, v6
	v_fma_f32 v7, v8, v5, -v7
	v_fmac_f32_e32 v6, v2, v5
	buffer_store_dword v7, off, s[0:3], 0 offset:72
	buffer_store_dword v6, off, s[0:3], 0 offset:76
.LBB109_51:
	s_or_b32 exec_lo, exec_lo, s4
	s_waitcnt_vscnt null, 0x0
	s_barrier
	buffer_gl0_inv
	s_clause 0x1
	buffer_load_dword v5, off, s[0:3], 0 offset:80
	buffer_load_dword v6, off, s[0:3], 0 offset:84
	s_mov_b32 s4, exec_lo
	s_waitcnt vmcnt(0)
	ds_write_b64 v4, v[5:6]
	s_waitcnt lgkmcnt(0)
	s_barrier
	buffer_gl0_inv
	v_cmpx_gt_u32_e32 10, v0
	s_cbranch_execz .LBB109_55
; %bb.52:
	v_add_nc_u32_e32 v5, -1, v0
	v_add_nc_u32_e32 v6, 0x170, v3
	v_mov_b32_e32 v7, v3
	v_mov_b32_e32 v2, 0
	;; [unrolled: 1-line block ×3, first 2 shown]
	s_mov_b32 s5, 0
	.p2align	6
.LBB109_53:                             ; =>This Inner Loop Header: Depth=1
	s_clause 0x1
	buffer_load_dword v103, v7, s[0:3], 0 offen offset:4
	buffer_load_dword v104, v7, s[0:3], 0 offen
	ds_read_b64 v[101:102], v6
	v_add_nc_u32_e32 v5, 1, v5
	v_add_nc_u32_e32 v6, 8, v6
	;; [unrolled: 1-line block ×3, first 2 shown]
	v_cmp_lt_u32_e32 vcc_lo, 8, v5
	s_or_b32 s5, vcc_lo, s5
	s_waitcnt vmcnt(1) lgkmcnt(0)
	v_mul_f32_e32 v105, v102, v103
	v_mul_f32_e32 v103, v101, v103
	s_waitcnt vmcnt(0)
	v_fma_f32 v101, v101, v104, -v105
	v_fmac_f32_e32 v103, v102, v104
	v_add_f32_e32 v8, v8, v101
	v_add_f32_e32 v2, v2, v103
	s_andn2_b32 exec_lo, exec_lo, s5
	s_cbranch_execnz .LBB109_53
; %bb.54:
	s_or_b32 exec_lo, exec_lo, s5
	v_mov_b32_e32 v5, 0
	ds_read_b64 v[5:6], v5 offset:80
	s_waitcnt lgkmcnt(0)
	v_mul_f32_e32 v7, v2, v6
	v_mul_f32_e32 v6, v8, v6
	v_fma_f32 v7, v8, v5, -v7
	v_fmac_f32_e32 v6, v2, v5
	buffer_store_dword v7, off, s[0:3], 0 offset:80
	buffer_store_dword v6, off, s[0:3], 0 offset:84
.LBB109_55:
	s_or_b32 exec_lo, exec_lo, s4
	s_waitcnt_vscnt null, 0x0
	s_barrier
	buffer_gl0_inv
	s_clause 0x1
	buffer_load_dword v5, off, s[0:3], 0 offset:88
	buffer_load_dword v6, off, s[0:3], 0 offset:92
	s_mov_b32 s4, exec_lo
	s_waitcnt vmcnt(0)
	ds_write_b64 v4, v[5:6]
	s_waitcnt lgkmcnt(0)
	s_barrier
	buffer_gl0_inv
	v_cmpx_gt_u32_e32 11, v0
	s_cbranch_execz .LBB109_59
; %bb.56:
	v_add_nc_u32_e32 v5, -1, v0
	v_add_nc_u32_e32 v6, 0x170, v3
	v_mov_b32_e32 v7, v3
	v_mov_b32_e32 v2, 0
	;; [unrolled: 1-line block ×3, first 2 shown]
	s_mov_b32 s5, 0
	.p2align	6
.LBB109_57:                             ; =>This Inner Loop Header: Depth=1
	s_clause 0x1
	buffer_load_dword v103, v7, s[0:3], 0 offen offset:4
	buffer_load_dword v104, v7, s[0:3], 0 offen
	ds_read_b64 v[101:102], v6
	v_add_nc_u32_e32 v5, 1, v5
	v_add_nc_u32_e32 v6, 8, v6
	;; [unrolled: 1-line block ×3, first 2 shown]
	v_cmp_lt_u32_e32 vcc_lo, 9, v5
	s_or_b32 s5, vcc_lo, s5
	s_waitcnt vmcnt(1) lgkmcnt(0)
	v_mul_f32_e32 v105, v102, v103
	v_mul_f32_e32 v103, v101, v103
	s_waitcnt vmcnt(0)
	v_fma_f32 v101, v101, v104, -v105
	v_fmac_f32_e32 v103, v102, v104
	v_add_f32_e32 v8, v8, v101
	v_add_f32_e32 v2, v2, v103
	s_andn2_b32 exec_lo, exec_lo, s5
	s_cbranch_execnz .LBB109_57
; %bb.58:
	s_or_b32 exec_lo, exec_lo, s5
	v_mov_b32_e32 v5, 0
	ds_read_b64 v[5:6], v5 offset:88
	s_waitcnt lgkmcnt(0)
	v_mul_f32_e32 v7, v2, v6
	v_mul_f32_e32 v6, v8, v6
	v_fma_f32 v7, v8, v5, -v7
	v_fmac_f32_e32 v6, v2, v5
	buffer_store_dword v7, off, s[0:3], 0 offset:88
	buffer_store_dword v6, off, s[0:3], 0 offset:92
.LBB109_59:
	s_or_b32 exec_lo, exec_lo, s4
	s_waitcnt_vscnt null, 0x0
	s_barrier
	buffer_gl0_inv
	s_clause 0x1
	buffer_load_dword v5, off, s[0:3], 0 offset:96
	buffer_load_dword v6, off, s[0:3], 0 offset:100
	s_mov_b32 s4, exec_lo
	s_waitcnt vmcnt(0)
	ds_write_b64 v4, v[5:6]
	s_waitcnt lgkmcnt(0)
	s_barrier
	buffer_gl0_inv
	v_cmpx_gt_u32_e32 12, v0
	s_cbranch_execz .LBB109_63
; %bb.60:
	v_add_nc_u32_e32 v5, -1, v0
	v_add_nc_u32_e32 v6, 0x170, v3
	v_mov_b32_e32 v7, v3
	v_mov_b32_e32 v2, 0
	;; [unrolled: 1-line block ×3, first 2 shown]
	s_mov_b32 s5, 0
	.p2align	6
.LBB109_61:                             ; =>This Inner Loop Header: Depth=1
	s_clause 0x1
	buffer_load_dword v103, v7, s[0:3], 0 offen offset:4
	buffer_load_dword v104, v7, s[0:3], 0 offen
	ds_read_b64 v[101:102], v6
	v_add_nc_u32_e32 v5, 1, v5
	v_add_nc_u32_e32 v6, 8, v6
	;; [unrolled: 1-line block ×3, first 2 shown]
	v_cmp_lt_u32_e32 vcc_lo, 10, v5
	s_or_b32 s5, vcc_lo, s5
	s_waitcnt vmcnt(1) lgkmcnt(0)
	v_mul_f32_e32 v105, v102, v103
	v_mul_f32_e32 v103, v101, v103
	s_waitcnt vmcnt(0)
	v_fma_f32 v101, v101, v104, -v105
	v_fmac_f32_e32 v103, v102, v104
	v_add_f32_e32 v8, v8, v101
	v_add_f32_e32 v2, v2, v103
	s_andn2_b32 exec_lo, exec_lo, s5
	s_cbranch_execnz .LBB109_61
; %bb.62:
	s_or_b32 exec_lo, exec_lo, s5
	v_mov_b32_e32 v5, 0
	ds_read_b64 v[5:6], v5 offset:96
	s_waitcnt lgkmcnt(0)
	v_mul_f32_e32 v7, v2, v6
	v_mul_f32_e32 v6, v8, v6
	v_fma_f32 v7, v8, v5, -v7
	v_fmac_f32_e32 v6, v2, v5
	buffer_store_dword v7, off, s[0:3], 0 offset:96
	buffer_store_dword v6, off, s[0:3], 0 offset:100
.LBB109_63:
	s_or_b32 exec_lo, exec_lo, s4
	s_waitcnt_vscnt null, 0x0
	s_barrier
	buffer_gl0_inv
	s_clause 0x1
	buffer_load_dword v5, off, s[0:3], 0 offset:104
	buffer_load_dword v6, off, s[0:3], 0 offset:108
	s_mov_b32 s4, exec_lo
	s_waitcnt vmcnt(0)
	ds_write_b64 v4, v[5:6]
	s_waitcnt lgkmcnt(0)
	s_barrier
	buffer_gl0_inv
	v_cmpx_gt_u32_e32 13, v0
	s_cbranch_execz .LBB109_67
; %bb.64:
	v_add_nc_u32_e32 v5, -1, v0
	v_add_nc_u32_e32 v6, 0x170, v3
	v_mov_b32_e32 v7, v3
	v_mov_b32_e32 v2, 0
	;; [unrolled: 1-line block ×3, first 2 shown]
	s_mov_b32 s5, 0
	.p2align	6
.LBB109_65:                             ; =>This Inner Loop Header: Depth=1
	s_clause 0x1
	buffer_load_dword v103, v7, s[0:3], 0 offen offset:4
	buffer_load_dword v104, v7, s[0:3], 0 offen
	ds_read_b64 v[101:102], v6
	v_add_nc_u32_e32 v5, 1, v5
	v_add_nc_u32_e32 v6, 8, v6
	;; [unrolled: 1-line block ×3, first 2 shown]
	v_cmp_lt_u32_e32 vcc_lo, 11, v5
	s_or_b32 s5, vcc_lo, s5
	s_waitcnt vmcnt(1) lgkmcnt(0)
	v_mul_f32_e32 v105, v102, v103
	v_mul_f32_e32 v103, v101, v103
	s_waitcnt vmcnt(0)
	v_fma_f32 v101, v101, v104, -v105
	v_fmac_f32_e32 v103, v102, v104
	v_add_f32_e32 v8, v8, v101
	v_add_f32_e32 v2, v2, v103
	s_andn2_b32 exec_lo, exec_lo, s5
	s_cbranch_execnz .LBB109_65
; %bb.66:
	s_or_b32 exec_lo, exec_lo, s5
	v_mov_b32_e32 v5, 0
	ds_read_b64 v[5:6], v5 offset:104
	s_waitcnt lgkmcnt(0)
	v_mul_f32_e32 v7, v2, v6
	v_mul_f32_e32 v6, v8, v6
	v_fma_f32 v7, v8, v5, -v7
	v_fmac_f32_e32 v6, v2, v5
	buffer_store_dword v7, off, s[0:3], 0 offset:104
	buffer_store_dword v6, off, s[0:3], 0 offset:108
.LBB109_67:
	s_or_b32 exec_lo, exec_lo, s4
	s_waitcnt_vscnt null, 0x0
	s_barrier
	buffer_gl0_inv
	s_clause 0x1
	buffer_load_dword v5, off, s[0:3], 0 offset:112
	buffer_load_dword v6, off, s[0:3], 0 offset:116
	s_mov_b32 s4, exec_lo
	s_waitcnt vmcnt(0)
	ds_write_b64 v4, v[5:6]
	s_waitcnt lgkmcnt(0)
	s_barrier
	buffer_gl0_inv
	v_cmpx_gt_u32_e32 14, v0
	s_cbranch_execz .LBB109_71
; %bb.68:
	v_add_nc_u32_e32 v5, -1, v0
	v_add_nc_u32_e32 v6, 0x170, v3
	v_mov_b32_e32 v7, v3
	v_mov_b32_e32 v2, 0
	;; [unrolled: 1-line block ×3, first 2 shown]
	s_mov_b32 s5, 0
	.p2align	6
.LBB109_69:                             ; =>This Inner Loop Header: Depth=1
	s_clause 0x1
	buffer_load_dword v103, v7, s[0:3], 0 offen offset:4
	buffer_load_dword v104, v7, s[0:3], 0 offen
	ds_read_b64 v[101:102], v6
	v_add_nc_u32_e32 v5, 1, v5
	v_add_nc_u32_e32 v6, 8, v6
	;; [unrolled: 1-line block ×3, first 2 shown]
	v_cmp_lt_u32_e32 vcc_lo, 12, v5
	s_or_b32 s5, vcc_lo, s5
	s_waitcnt vmcnt(1) lgkmcnt(0)
	v_mul_f32_e32 v105, v102, v103
	v_mul_f32_e32 v103, v101, v103
	s_waitcnt vmcnt(0)
	v_fma_f32 v101, v101, v104, -v105
	v_fmac_f32_e32 v103, v102, v104
	v_add_f32_e32 v8, v8, v101
	v_add_f32_e32 v2, v2, v103
	s_andn2_b32 exec_lo, exec_lo, s5
	s_cbranch_execnz .LBB109_69
; %bb.70:
	s_or_b32 exec_lo, exec_lo, s5
	v_mov_b32_e32 v5, 0
	ds_read_b64 v[5:6], v5 offset:112
	s_waitcnt lgkmcnt(0)
	v_mul_f32_e32 v7, v2, v6
	v_mul_f32_e32 v6, v8, v6
	v_fma_f32 v7, v8, v5, -v7
	v_fmac_f32_e32 v6, v2, v5
	buffer_store_dword v7, off, s[0:3], 0 offset:112
	buffer_store_dword v6, off, s[0:3], 0 offset:116
.LBB109_71:
	s_or_b32 exec_lo, exec_lo, s4
	s_waitcnt_vscnt null, 0x0
	s_barrier
	buffer_gl0_inv
	s_clause 0x1
	buffer_load_dword v5, off, s[0:3], 0 offset:120
	buffer_load_dword v6, off, s[0:3], 0 offset:124
	s_mov_b32 s4, exec_lo
	s_waitcnt vmcnt(0)
	ds_write_b64 v4, v[5:6]
	s_waitcnt lgkmcnt(0)
	s_barrier
	buffer_gl0_inv
	v_cmpx_gt_u32_e32 15, v0
	s_cbranch_execz .LBB109_75
; %bb.72:
	v_add_nc_u32_e32 v5, -1, v0
	v_add_nc_u32_e32 v6, 0x170, v3
	v_mov_b32_e32 v7, v3
	v_mov_b32_e32 v2, 0
	;; [unrolled: 1-line block ×3, first 2 shown]
	s_mov_b32 s5, 0
	.p2align	6
.LBB109_73:                             ; =>This Inner Loop Header: Depth=1
	s_clause 0x1
	buffer_load_dword v103, v7, s[0:3], 0 offen offset:4
	buffer_load_dword v104, v7, s[0:3], 0 offen
	ds_read_b64 v[101:102], v6
	v_add_nc_u32_e32 v5, 1, v5
	v_add_nc_u32_e32 v6, 8, v6
	;; [unrolled: 1-line block ×3, first 2 shown]
	v_cmp_lt_u32_e32 vcc_lo, 13, v5
	s_or_b32 s5, vcc_lo, s5
	s_waitcnt vmcnt(1) lgkmcnt(0)
	v_mul_f32_e32 v105, v102, v103
	v_mul_f32_e32 v103, v101, v103
	s_waitcnt vmcnt(0)
	v_fma_f32 v101, v101, v104, -v105
	v_fmac_f32_e32 v103, v102, v104
	v_add_f32_e32 v8, v8, v101
	v_add_f32_e32 v2, v2, v103
	s_andn2_b32 exec_lo, exec_lo, s5
	s_cbranch_execnz .LBB109_73
; %bb.74:
	s_or_b32 exec_lo, exec_lo, s5
	v_mov_b32_e32 v5, 0
	ds_read_b64 v[5:6], v5 offset:120
	s_waitcnt lgkmcnt(0)
	v_mul_f32_e32 v7, v2, v6
	v_mul_f32_e32 v6, v8, v6
	v_fma_f32 v7, v8, v5, -v7
	v_fmac_f32_e32 v6, v2, v5
	buffer_store_dword v7, off, s[0:3], 0 offset:120
	buffer_store_dword v6, off, s[0:3], 0 offset:124
.LBB109_75:
	s_or_b32 exec_lo, exec_lo, s4
	s_waitcnt_vscnt null, 0x0
	s_barrier
	buffer_gl0_inv
	s_clause 0x1
	buffer_load_dword v5, off, s[0:3], 0 offset:128
	buffer_load_dword v6, off, s[0:3], 0 offset:132
	s_mov_b32 s4, exec_lo
	s_waitcnt vmcnt(0)
	ds_write_b64 v4, v[5:6]
	s_waitcnt lgkmcnt(0)
	s_barrier
	buffer_gl0_inv
	v_cmpx_gt_u32_e32 16, v0
	s_cbranch_execz .LBB109_79
; %bb.76:
	v_add_nc_u32_e32 v5, -1, v0
	v_add_nc_u32_e32 v6, 0x170, v3
	v_mov_b32_e32 v7, v3
	v_mov_b32_e32 v2, 0
	;; [unrolled: 1-line block ×3, first 2 shown]
	s_mov_b32 s5, 0
	.p2align	6
.LBB109_77:                             ; =>This Inner Loop Header: Depth=1
	s_clause 0x1
	buffer_load_dword v103, v7, s[0:3], 0 offen offset:4
	buffer_load_dword v104, v7, s[0:3], 0 offen
	ds_read_b64 v[101:102], v6
	v_add_nc_u32_e32 v5, 1, v5
	v_add_nc_u32_e32 v6, 8, v6
	;; [unrolled: 1-line block ×3, first 2 shown]
	v_cmp_lt_u32_e32 vcc_lo, 14, v5
	s_or_b32 s5, vcc_lo, s5
	s_waitcnt vmcnt(1) lgkmcnt(0)
	v_mul_f32_e32 v105, v102, v103
	v_mul_f32_e32 v103, v101, v103
	s_waitcnt vmcnt(0)
	v_fma_f32 v101, v101, v104, -v105
	v_fmac_f32_e32 v103, v102, v104
	v_add_f32_e32 v8, v8, v101
	v_add_f32_e32 v2, v2, v103
	s_andn2_b32 exec_lo, exec_lo, s5
	s_cbranch_execnz .LBB109_77
; %bb.78:
	s_or_b32 exec_lo, exec_lo, s5
	v_mov_b32_e32 v5, 0
	ds_read_b64 v[5:6], v5 offset:128
	s_waitcnt lgkmcnt(0)
	v_mul_f32_e32 v7, v2, v6
	v_mul_f32_e32 v6, v8, v6
	v_fma_f32 v7, v8, v5, -v7
	v_fmac_f32_e32 v6, v2, v5
	buffer_store_dword v7, off, s[0:3], 0 offset:128
	buffer_store_dword v6, off, s[0:3], 0 offset:132
.LBB109_79:
	s_or_b32 exec_lo, exec_lo, s4
	s_waitcnt_vscnt null, 0x0
	s_barrier
	buffer_gl0_inv
	s_clause 0x1
	buffer_load_dword v5, off, s[0:3], 0 offset:136
	buffer_load_dword v6, off, s[0:3], 0 offset:140
	s_mov_b32 s4, exec_lo
	s_waitcnt vmcnt(0)
	ds_write_b64 v4, v[5:6]
	s_waitcnt lgkmcnt(0)
	s_barrier
	buffer_gl0_inv
	v_cmpx_gt_u32_e32 17, v0
	s_cbranch_execz .LBB109_83
; %bb.80:
	v_add_nc_u32_e32 v5, -1, v0
	v_add_nc_u32_e32 v6, 0x170, v3
	v_mov_b32_e32 v7, v3
	v_mov_b32_e32 v2, 0
	;; [unrolled: 1-line block ×3, first 2 shown]
	s_mov_b32 s5, 0
	.p2align	6
.LBB109_81:                             ; =>This Inner Loop Header: Depth=1
	s_clause 0x1
	buffer_load_dword v103, v7, s[0:3], 0 offen offset:4
	buffer_load_dword v104, v7, s[0:3], 0 offen
	ds_read_b64 v[101:102], v6
	v_add_nc_u32_e32 v5, 1, v5
	v_add_nc_u32_e32 v6, 8, v6
	;; [unrolled: 1-line block ×3, first 2 shown]
	v_cmp_lt_u32_e32 vcc_lo, 15, v5
	s_or_b32 s5, vcc_lo, s5
	s_waitcnt vmcnt(1) lgkmcnt(0)
	v_mul_f32_e32 v105, v102, v103
	v_mul_f32_e32 v103, v101, v103
	s_waitcnt vmcnt(0)
	v_fma_f32 v101, v101, v104, -v105
	v_fmac_f32_e32 v103, v102, v104
	v_add_f32_e32 v8, v8, v101
	v_add_f32_e32 v2, v2, v103
	s_andn2_b32 exec_lo, exec_lo, s5
	s_cbranch_execnz .LBB109_81
; %bb.82:
	s_or_b32 exec_lo, exec_lo, s5
	v_mov_b32_e32 v5, 0
	ds_read_b64 v[5:6], v5 offset:136
	s_waitcnt lgkmcnt(0)
	v_mul_f32_e32 v7, v2, v6
	v_mul_f32_e32 v6, v8, v6
	v_fma_f32 v7, v8, v5, -v7
	v_fmac_f32_e32 v6, v2, v5
	buffer_store_dword v7, off, s[0:3], 0 offset:136
	buffer_store_dword v6, off, s[0:3], 0 offset:140
.LBB109_83:
	s_or_b32 exec_lo, exec_lo, s4
	s_waitcnt_vscnt null, 0x0
	s_barrier
	buffer_gl0_inv
	s_clause 0x1
	buffer_load_dword v5, off, s[0:3], 0 offset:144
	buffer_load_dword v6, off, s[0:3], 0 offset:148
	s_mov_b32 s4, exec_lo
	s_waitcnt vmcnt(0)
	ds_write_b64 v4, v[5:6]
	s_waitcnt lgkmcnt(0)
	s_barrier
	buffer_gl0_inv
	v_cmpx_gt_u32_e32 18, v0
	s_cbranch_execz .LBB109_87
; %bb.84:
	v_add_nc_u32_e32 v5, -1, v0
	v_add_nc_u32_e32 v6, 0x170, v3
	v_mov_b32_e32 v7, v3
	v_mov_b32_e32 v2, 0
	;; [unrolled: 1-line block ×3, first 2 shown]
	s_mov_b32 s5, 0
	.p2align	6
.LBB109_85:                             ; =>This Inner Loop Header: Depth=1
	s_clause 0x1
	buffer_load_dword v103, v7, s[0:3], 0 offen offset:4
	buffer_load_dword v104, v7, s[0:3], 0 offen
	ds_read_b64 v[101:102], v6
	v_add_nc_u32_e32 v5, 1, v5
	v_add_nc_u32_e32 v6, 8, v6
	v_add_nc_u32_e32 v7, 8, v7
	v_cmp_lt_u32_e32 vcc_lo, 16, v5
	s_or_b32 s5, vcc_lo, s5
	s_waitcnt vmcnt(1) lgkmcnt(0)
	v_mul_f32_e32 v105, v102, v103
	v_mul_f32_e32 v103, v101, v103
	s_waitcnt vmcnt(0)
	v_fma_f32 v101, v101, v104, -v105
	v_fmac_f32_e32 v103, v102, v104
	v_add_f32_e32 v8, v8, v101
	v_add_f32_e32 v2, v2, v103
	s_andn2_b32 exec_lo, exec_lo, s5
	s_cbranch_execnz .LBB109_85
; %bb.86:
	s_or_b32 exec_lo, exec_lo, s5
	v_mov_b32_e32 v5, 0
	ds_read_b64 v[5:6], v5 offset:144
	s_waitcnt lgkmcnt(0)
	v_mul_f32_e32 v7, v2, v6
	v_mul_f32_e32 v6, v8, v6
	v_fma_f32 v7, v8, v5, -v7
	v_fmac_f32_e32 v6, v2, v5
	buffer_store_dword v7, off, s[0:3], 0 offset:144
	buffer_store_dword v6, off, s[0:3], 0 offset:148
.LBB109_87:
	s_or_b32 exec_lo, exec_lo, s4
	s_waitcnt_vscnt null, 0x0
	s_barrier
	buffer_gl0_inv
	s_clause 0x1
	buffer_load_dword v5, off, s[0:3], 0 offset:152
	buffer_load_dword v6, off, s[0:3], 0 offset:156
	s_mov_b32 s4, exec_lo
	s_waitcnt vmcnt(0)
	ds_write_b64 v4, v[5:6]
	s_waitcnt lgkmcnt(0)
	s_barrier
	buffer_gl0_inv
	v_cmpx_gt_u32_e32 19, v0
	s_cbranch_execz .LBB109_91
; %bb.88:
	v_add_nc_u32_e32 v5, -1, v0
	v_add_nc_u32_e32 v6, 0x170, v3
	v_mov_b32_e32 v7, v3
	v_mov_b32_e32 v2, 0
	;; [unrolled: 1-line block ×3, first 2 shown]
	s_mov_b32 s5, 0
	.p2align	6
.LBB109_89:                             ; =>This Inner Loop Header: Depth=1
	s_clause 0x1
	buffer_load_dword v103, v7, s[0:3], 0 offen offset:4
	buffer_load_dword v104, v7, s[0:3], 0 offen
	ds_read_b64 v[101:102], v6
	v_add_nc_u32_e32 v5, 1, v5
	v_add_nc_u32_e32 v6, 8, v6
	;; [unrolled: 1-line block ×3, first 2 shown]
	v_cmp_lt_u32_e32 vcc_lo, 17, v5
	s_or_b32 s5, vcc_lo, s5
	s_waitcnt vmcnt(1) lgkmcnt(0)
	v_mul_f32_e32 v105, v102, v103
	v_mul_f32_e32 v103, v101, v103
	s_waitcnt vmcnt(0)
	v_fma_f32 v101, v101, v104, -v105
	v_fmac_f32_e32 v103, v102, v104
	v_add_f32_e32 v8, v8, v101
	v_add_f32_e32 v2, v2, v103
	s_andn2_b32 exec_lo, exec_lo, s5
	s_cbranch_execnz .LBB109_89
; %bb.90:
	s_or_b32 exec_lo, exec_lo, s5
	v_mov_b32_e32 v5, 0
	ds_read_b64 v[5:6], v5 offset:152
	s_waitcnt lgkmcnt(0)
	v_mul_f32_e32 v7, v2, v6
	v_mul_f32_e32 v6, v8, v6
	v_fma_f32 v7, v8, v5, -v7
	v_fmac_f32_e32 v6, v2, v5
	buffer_store_dword v7, off, s[0:3], 0 offset:152
	buffer_store_dword v6, off, s[0:3], 0 offset:156
.LBB109_91:
	s_or_b32 exec_lo, exec_lo, s4
	s_waitcnt_vscnt null, 0x0
	s_barrier
	buffer_gl0_inv
	s_clause 0x1
	buffer_load_dword v5, off, s[0:3], 0 offset:160
	buffer_load_dword v6, off, s[0:3], 0 offset:164
	s_mov_b32 s4, exec_lo
	s_waitcnt vmcnt(0)
	ds_write_b64 v4, v[5:6]
	s_waitcnt lgkmcnt(0)
	s_barrier
	buffer_gl0_inv
	v_cmpx_gt_u32_e32 20, v0
	s_cbranch_execz .LBB109_95
; %bb.92:
	v_add_nc_u32_e32 v5, -1, v0
	v_add_nc_u32_e32 v6, 0x170, v3
	v_mov_b32_e32 v7, v3
	v_mov_b32_e32 v2, 0
	;; [unrolled: 1-line block ×3, first 2 shown]
	s_mov_b32 s5, 0
	.p2align	6
.LBB109_93:                             ; =>This Inner Loop Header: Depth=1
	s_clause 0x1
	buffer_load_dword v103, v7, s[0:3], 0 offen offset:4
	buffer_load_dword v104, v7, s[0:3], 0 offen
	ds_read_b64 v[101:102], v6
	v_add_nc_u32_e32 v5, 1, v5
	v_add_nc_u32_e32 v6, 8, v6
	v_add_nc_u32_e32 v7, 8, v7
	v_cmp_lt_u32_e32 vcc_lo, 18, v5
	s_or_b32 s5, vcc_lo, s5
	s_waitcnt vmcnt(1) lgkmcnt(0)
	v_mul_f32_e32 v105, v102, v103
	v_mul_f32_e32 v103, v101, v103
	s_waitcnt vmcnt(0)
	v_fma_f32 v101, v101, v104, -v105
	v_fmac_f32_e32 v103, v102, v104
	v_add_f32_e32 v8, v8, v101
	v_add_f32_e32 v2, v2, v103
	s_andn2_b32 exec_lo, exec_lo, s5
	s_cbranch_execnz .LBB109_93
; %bb.94:
	s_or_b32 exec_lo, exec_lo, s5
	v_mov_b32_e32 v5, 0
	ds_read_b64 v[5:6], v5 offset:160
	s_waitcnt lgkmcnt(0)
	v_mul_f32_e32 v7, v2, v6
	v_mul_f32_e32 v6, v8, v6
	v_fma_f32 v7, v8, v5, -v7
	v_fmac_f32_e32 v6, v2, v5
	buffer_store_dword v7, off, s[0:3], 0 offset:160
	buffer_store_dword v6, off, s[0:3], 0 offset:164
.LBB109_95:
	s_or_b32 exec_lo, exec_lo, s4
	s_waitcnt_vscnt null, 0x0
	s_barrier
	buffer_gl0_inv
	s_clause 0x1
	buffer_load_dword v5, off, s[0:3], 0 offset:168
	buffer_load_dword v6, off, s[0:3], 0 offset:172
	s_mov_b32 s4, exec_lo
	s_waitcnt vmcnt(0)
	ds_write_b64 v4, v[5:6]
	s_waitcnt lgkmcnt(0)
	s_barrier
	buffer_gl0_inv
	v_cmpx_gt_u32_e32 21, v0
	s_cbranch_execz .LBB109_99
; %bb.96:
	v_add_nc_u32_e32 v5, -1, v0
	v_add_nc_u32_e32 v6, 0x170, v3
	v_mov_b32_e32 v7, v3
	v_mov_b32_e32 v2, 0
	;; [unrolled: 1-line block ×3, first 2 shown]
	s_mov_b32 s5, 0
	.p2align	6
.LBB109_97:                             ; =>This Inner Loop Header: Depth=1
	s_clause 0x1
	buffer_load_dword v103, v7, s[0:3], 0 offen offset:4
	buffer_load_dword v104, v7, s[0:3], 0 offen
	ds_read_b64 v[101:102], v6
	v_add_nc_u32_e32 v5, 1, v5
	v_add_nc_u32_e32 v6, 8, v6
	v_add_nc_u32_e32 v7, 8, v7
	v_cmp_lt_u32_e32 vcc_lo, 19, v5
	s_or_b32 s5, vcc_lo, s5
	s_waitcnt vmcnt(1) lgkmcnt(0)
	v_mul_f32_e32 v105, v102, v103
	v_mul_f32_e32 v103, v101, v103
	s_waitcnt vmcnt(0)
	v_fma_f32 v101, v101, v104, -v105
	v_fmac_f32_e32 v103, v102, v104
	v_add_f32_e32 v8, v8, v101
	v_add_f32_e32 v2, v2, v103
	s_andn2_b32 exec_lo, exec_lo, s5
	s_cbranch_execnz .LBB109_97
; %bb.98:
	s_or_b32 exec_lo, exec_lo, s5
	v_mov_b32_e32 v5, 0
	ds_read_b64 v[5:6], v5 offset:168
	s_waitcnt lgkmcnt(0)
	v_mul_f32_e32 v7, v2, v6
	v_mul_f32_e32 v6, v8, v6
	v_fma_f32 v7, v8, v5, -v7
	v_fmac_f32_e32 v6, v2, v5
	buffer_store_dword v7, off, s[0:3], 0 offset:168
	buffer_store_dword v6, off, s[0:3], 0 offset:172
.LBB109_99:
	s_or_b32 exec_lo, exec_lo, s4
	s_waitcnt_vscnt null, 0x0
	s_barrier
	buffer_gl0_inv
	s_clause 0x1
	buffer_load_dword v5, off, s[0:3], 0 offset:176
	buffer_load_dword v6, off, s[0:3], 0 offset:180
	s_mov_b32 s4, exec_lo
	s_waitcnt vmcnt(0)
	ds_write_b64 v4, v[5:6]
	s_waitcnt lgkmcnt(0)
	s_barrier
	buffer_gl0_inv
	v_cmpx_gt_u32_e32 22, v0
	s_cbranch_execz .LBB109_103
; %bb.100:
	v_add_nc_u32_e32 v5, -1, v0
	v_add_nc_u32_e32 v6, 0x170, v3
	v_mov_b32_e32 v7, v3
	v_mov_b32_e32 v2, 0
	;; [unrolled: 1-line block ×3, first 2 shown]
	s_mov_b32 s5, 0
	.p2align	6
.LBB109_101:                            ; =>This Inner Loop Header: Depth=1
	s_clause 0x1
	buffer_load_dword v103, v7, s[0:3], 0 offen offset:4
	buffer_load_dword v104, v7, s[0:3], 0 offen
	ds_read_b64 v[101:102], v6
	v_add_nc_u32_e32 v5, 1, v5
	v_add_nc_u32_e32 v6, 8, v6
	;; [unrolled: 1-line block ×3, first 2 shown]
	v_cmp_lt_u32_e32 vcc_lo, 20, v5
	s_or_b32 s5, vcc_lo, s5
	s_waitcnt vmcnt(1) lgkmcnt(0)
	v_mul_f32_e32 v105, v102, v103
	v_mul_f32_e32 v103, v101, v103
	s_waitcnt vmcnt(0)
	v_fma_f32 v101, v101, v104, -v105
	v_fmac_f32_e32 v103, v102, v104
	v_add_f32_e32 v8, v8, v101
	v_add_f32_e32 v2, v2, v103
	s_andn2_b32 exec_lo, exec_lo, s5
	s_cbranch_execnz .LBB109_101
; %bb.102:
	s_or_b32 exec_lo, exec_lo, s5
	v_mov_b32_e32 v5, 0
	ds_read_b64 v[5:6], v5 offset:176
	s_waitcnt lgkmcnt(0)
	v_mul_f32_e32 v7, v2, v6
	v_mul_f32_e32 v6, v8, v6
	v_fma_f32 v7, v8, v5, -v7
	v_fmac_f32_e32 v6, v2, v5
	buffer_store_dword v7, off, s[0:3], 0 offset:176
	buffer_store_dword v6, off, s[0:3], 0 offset:180
.LBB109_103:
	s_or_b32 exec_lo, exec_lo, s4
	s_waitcnt_vscnt null, 0x0
	s_barrier
	buffer_gl0_inv
	s_clause 0x1
	buffer_load_dword v5, off, s[0:3], 0 offset:184
	buffer_load_dword v6, off, s[0:3], 0 offset:188
	s_mov_b32 s4, exec_lo
	s_waitcnt vmcnt(0)
	ds_write_b64 v4, v[5:6]
	s_waitcnt lgkmcnt(0)
	s_barrier
	buffer_gl0_inv
	v_cmpx_gt_u32_e32 23, v0
	s_cbranch_execz .LBB109_107
; %bb.104:
	v_add_nc_u32_e32 v5, -1, v0
	v_add_nc_u32_e32 v6, 0x170, v3
	v_mov_b32_e32 v7, v3
	v_mov_b32_e32 v2, 0
	;; [unrolled: 1-line block ×3, first 2 shown]
	s_mov_b32 s5, 0
	.p2align	6
.LBB109_105:                            ; =>This Inner Loop Header: Depth=1
	s_clause 0x1
	buffer_load_dword v103, v7, s[0:3], 0 offen offset:4
	buffer_load_dword v104, v7, s[0:3], 0 offen
	ds_read_b64 v[101:102], v6
	v_add_nc_u32_e32 v5, 1, v5
	v_add_nc_u32_e32 v6, 8, v6
	;; [unrolled: 1-line block ×3, first 2 shown]
	v_cmp_lt_u32_e32 vcc_lo, 21, v5
	s_or_b32 s5, vcc_lo, s5
	s_waitcnt vmcnt(1) lgkmcnt(0)
	v_mul_f32_e32 v105, v102, v103
	v_mul_f32_e32 v103, v101, v103
	s_waitcnt vmcnt(0)
	v_fma_f32 v101, v101, v104, -v105
	v_fmac_f32_e32 v103, v102, v104
	v_add_f32_e32 v8, v8, v101
	v_add_f32_e32 v2, v2, v103
	s_andn2_b32 exec_lo, exec_lo, s5
	s_cbranch_execnz .LBB109_105
; %bb.106:
	s_or_b32 exec_lo, exec_lo, s5
	v_mov_b32_e32 v5, 0
	ds_read_b64 v[5:6], v5 offset:184
	s_waitcnt lgkmcnt(0)
	v_mul_f32_e32 v7, v2, v6
	v_mul_f32_e32 v6, v8, v6
	v_fma_f32 v7, v8, v5, -v7
	v_fmac_f32_e32 v6, v2, v5
	buffer_store_dword v7, off, s[0:3], 0 offset:184
	buffer_store_dword v6, off, s[0:3], 0 offset:188
.LBB109_107:
	s_or_b32 exec_lo, exec_lo, s4
	s_waitcnt_vscnt null, 0x0
	s_barrier
	buffer_gl0_inv
	s_clause 0x1
	buffer_load_dword v5, off, s[0:3], 0 offset:192
	buffer_load_dword v6, off, s[0:3], 0 offset:196
	s_mov_b32 s4, exec_lo
	s_waitcnt vmcnt(0)
	ds_write_b64 v4, v[5:6]
	s_waitcnt lgkmcnt(0)
	s_barrier
	buffer_gl0_inv
	v_cmpx_gt_u32_e32 24, v0
	s_cbranch_execz .LBB109_111
; %bb.108:
	v_add_nc_u32_e32 v5, -1, v0
	v_add_nc_u32_e32 v6, 0x170, v3
	v_mov_b32_e32 v7, v3
	v_mov_b32_e32 v2, 0
	;; [unrolled: 1-line block ×3, first 2 shown]
	s_mov_b32 s5, 0
	.p2align	6
.LBB109_109:                            ; =>This Inner Loop Header: Depth=1
	s_clause 0x1
	buffer_load_dword v103, v7, s[0:3], 0 offen offset:4
	buffer_load_dword v104, v7, s[0:3], 0 offen
	ds_read_b64 v[101:102], v6
	v_add_nc_u32_e32 v5, 1, v5
	v_add_nc_u32_e32 v6, 8, v6
	;; [unrolled: 1-line block ×3, first 2 shown]
	v_cmp_lt_u32_e32 vcc_lo, 22, v5
	s_or_b32 s5, vcc_lo, s5
	s_waitcnt vmcnt(1) lgkmcnt(0)
	v_mul_f32_e32 v105, v102, v103
	v_mul_f32_e32 v103, v101, v103
	s_waitcnt vmcnt(0)
	v_fma_f32 v101, v101, v104, -v105
	v_fmac_f32_e32 v103, v102, v104
	v_add_f32_e32 v8, v8, v101
	v_add_f32_e32 v2, v2, v103
	s_andn2_b32 exec_lo, exec_lo, s5
	s_cbranch_execnz .LBB109_109
; %bb.110:
	s_or_b32 exec_lo, exec_lo, s5
	v_mov_b32_e32 v5, 0
	ds_read_b64 v[5:6], v5 offset:192
	s_waitcnt lgkmcnt(0)
	v_mul_f32_e32 v7, v2, v6
	v_mul_f32_e32 v6, v8, v6
	v_fma_f32 v7, v8, v5, -v7
	v_fmac_f32_e32 v6, v2, v5
	buffer_store_dword v7, off, s[0:3], 0 offset:192
	buffer_store_dword v6, off, s[0:3], 0 offset:196
.LBB109_111:
	s_or_b32 exec_lo, exec_lo, s4
	s_waitcnt_vscnt null, 0x0
	s_barrier
	buffer_gl0_inv
	s_clause 0x1
	buffer_load_dword v5, off, s[0:3], 0 offset:200
	buffer_load_dword v6, off, s[0:3], 0 offset:204
	s_mov_b32 s4, exec_lo
	s_waitcnt vmcnt(0)
	ds_write_b64 v4, v[5:6]
	s_waitcnt lgkmcnt(0)
	s_barrier
	buffer_gl0_inv
	v_cmpx_gt_u32_e32 25, v0
	s_cbranch_execz .LBB109_115
; %bb.112:
	v_add_nc_u32_e32 v5, -1, v0
	v_add_nc_u32_e32 v6, 0x170, v3
	v_mov_b32_e32 v7, v3
	v_mov_b32_e32 v2, 0
	;; [unrolled: 1-line block ×3, first 2 shown]
	s_mov_b32 s5, 0
	.p2align	6
.LBB109_113:                            ; =>This Inner Loop Header: Depth=1
	s_clause 0x1
	buffer_load_dword v103, v7, s[0:3], 0 offen offset:4
	buffer_load_dword v104, v7, s[0:3], 0 offen
	ds_read_b64 v[101:102], v6
	v_add_nc_u32_e32 v5, 1, v5
	v_add_nc_u32_e32 v6, 8, v6
	v_add_nc_u32_e32 v7, 8, v7
	v_cmp_lt_u32_e32 vcc_lo, 23, v5
	s_or_b32 s5, vcc_lo, s5
	s_waitcnt vmcnt(1) lgkmcnt(0)
	v_mul_f32_e32 v105, v102, v103
	v_mul_f32_e32 v103, v101, v103
	s_waitcnt vmcnt(0)
	v_fma_f32 v101, v101, v104, -v105
	v_fmac_f32_e32 v103, v102, v104
	v_add_f32_e32 v8, v8, v101
	v_add_f32_e32 v2, v2, v103
	s_andn2_b32 exec_lo, exec_lo, s5
	s_cbranch_execnz .LBB109_113
; %bb.114:
	s_or_b32 exec_lo, exec_lo, s5
	v_mov_b32_e32 v5, 0
	ds_read_b64 v[5:6], v5 offset:200
	s_waitcnt lgkmcnt(0)
	v_mul_f32_e32 v7, v2, v6
	v_mul_f32_e32 v6, v8, v6
	v_fma_f32 v7, v8, v5, -v7
	v_fmac_f32_e32 v6, v2, v5
	buffer_store_dword v7, off, s[0:3], 0 offset:200
	buffer_store_dword v6, off, s[0:3], 0 offset:204
.LBB109_115:
	s_or_b32 exec_lo, exec_lo, s4
	s_waitcnt_vscnt null, 0x0
	s_barrier
	buffer_gl0_inv
	s_clause 0x1
	buffer_load_dword v5, off, s[0:3], 0 offset:208
	buffer_load_dword v6, off, s[0:3], 0 offset:212
	s_mov_b32 s4, exec_lo
	s_waitcnt vmcnt(0)
	ds_write_b64 v4, v[5:6]
	s_waitcnt lgkmcnt(0)
	s_barrier
	buffer_gl0_inv
	v_cmpx_gt_u32_e32 26, v0
	s_cbranch_execz .LBB109_119
; %bb.116:
	v_add_nc_u32_e32 v5, -1, v0
	v_add_nc_u32_e32 v6, 0x170, v3
	v_mov_b32_e32 v7, v3
	v_mov_b32_e32 v2, 0
	;; [unrolled: 1-line block ×3, first 2 shown]
	s_mov_b32 s5, 0
	.p2align	6
.LBB109_117:                            ; =>This Inner Loop Header: Depth=1
	s_clause 0x1
	buffer_load_dword v103, v7, s[0:3], 0 offen offset:4
	buffer_load_dword v104, v7, s[0:3], 0 offen
	ds_read_b64 v[101:102], v6
	v_add_nc_u32_e32 v5, 1, v5
	v_add_nc_u32_e32 v6, 8, v6
	;; [unrolled: 1-line block ×3, first 2 shown]
	v_cmp_lt_u32_e32 vcc_lo, 24, v5
	s_or_b32 s5, vcc_lo, s5
	s_waitcnt vmcnt(1) lgkmcnt(0)
	v_mul_f32_e32 v105, v102, v103
	v_mul_f32_e32 v103, v101, v103
	s_waitcnt vmcnt(0)
	v_fma_f32 v101, v101, v104, -v105
	v_fmac_f32_e32 v103, v102, v104
	v_add_f32_e32 v8, v8, v101
	v_add_f32_e32 v2, v2, v103
	s_andn2_b32 exec_lo, exec_lo, s5
	s_cbranch_execnz .LBB109_117
; %bb.118:
	s_or_b32 exec_lo, exec_lo, s5
	v_mov_b32_e32 v5, 0
	ds_read_b64 v[5:6], v5 offset:208
	s_waitcnt lgkmcnt(0)
	v_mul_f32_e32 v7, v2, v6
	v_mul_f32_e32 v6, v8, v6
	v_fma_f32 v7, v8, v5, -v7
	v_fmac_f32_e32 v6, v2, v5
	buffer_store_dword v7, off, s[0:3], 0 offset:208
	buffer_store_dword v6, off, s[0:3], 0 offset:212
.LBB109_119:
	s_or_b32 exec_lo, exec_lo, s4
	s_waitcnt_vscnt null, 0x0
	s_barrier
	buffer_gl0_inv
	s_clause 0x1
	buffer_load_dword v5, off, s[0:3], 0 offset:216
	buffer_load_dword v6, off, s[0:3], 0 offset:220
	s_mov_b32 s4, exec_lo
	s_waitcnt vmcnt(0)
	ds_write_b64 v4, v[5:6]
	s_waitcnt lgkmcnt(0)
	s_barrier
	buffer_gl0_inv
	v_cmpx_gt_u32_e32 27, v0
	s_cbranch_execz .LBB109_123
; %bb.120:
	v_add_nc_u32_e32 v5, -1, v0
	v_add_nc_u32_e32 v6, 0x170, v3
	v_mov_b32_e32 v7, v3
	v_mov_b32_e32 v2, 0
	;; [unrolled: 1-line block ×3, first 2 shown]
	s_mov_b32 s5, 0
	.p2align	6
.LBB109_121:                            ; =>This Inner Loop Header: Depth=1
	s_clause 0x1
	buffer_load_dword v103, v7, s[0:3], 0 offen offset:4
	buffer_load_dword v104, v7, s[0:3], 0 offen
	ds_read_b64 v[101:102], v6
	v_add_nc_u32_e32 v5, 1, v5
	v_add_nc_u32_e32 v6, 8, v6
	;; [unrolled: 1-line block ×3, first 2 shown]
	v_cmp_lt_u32_e32 vcc_lo, 25, v5
	s_or_b32 s5, vcc_lo, s5
	s_waitcnt vmcnt(1) lgkmcnt(0)
	v_mul_f32_e32 v105, v102, v103
	v_mul_f32_e32 v103, v101, v103
	s_waitcnt vmcnt(0)
	v_fma_f32 v101, v101, v104, -v105
	v_fmac_f32_e32 v103, v102, v104
	v_add_f32_e32 v8, v8, v101
	v_add_f32_e32 v2, v2, v103
	s_andn2_b32 exec_lo, exec_lo, s5
	s_cbranch_execnz .LBB109_121
; %bb.122:
	s_or_b32 exec_lo, exec_lo, s5
	v_mov_b32_e32 v5, 0
	ds_read_b64 v[5:6], v5 offset:216
	s_waitcnt lgkmcnt(0)
	v_mul_f32_e32 v7, v2, v6
	v_mul_f32_e32 v6, v8, v6
	v_fma_f32 v7, v8, v5, -v7
	v_fmac_f32_e32 v6, v2, v5
	buffer_store_dword v7, off, s[0:3], 0 offset:216
	buffer_store_dword v6, off, s[0:3], 0 offset:220
.LBB109_123:
	s_or_b32 exec_lo, exec_lo, s4
	s_waitcnt_vscnt null, 0x0
	s_barrier
	buffer_gl0_inv
	s_clause 0x1
	buffer_load_dword v5, off, s[0:3], 0 offset:224
	buffer_load_dword v6, off, s[0:3], 0 offset:228
	s_mov_b32 s4, exec_lo
	s_waitcnt vmcnt(0)
	ds_write_b64 v4, v[5:6]
	s_waitcnt lgkmcnt(0)
	s_barrier
	buffer_gl0_inv
	v_cmpx_gt_u32_e32 28, v0
	s_cbranch_execz .LBB109_127
; %bb.124:
	v_add_nc_u32_e32 v5, -1, v0
	v_add_nc_u32_e32 v6, 0x170, v3
	v_mov_b32_e32 v7, v3
	v_mov_b32_e32 v2, 0
	v_mov_b32_e32 v8, 0
	s_mov_b32 s5, 0
	.p2align	6
.LBB109_125:                            ; =>This Inner Loop Header: Depth=1
	s_clause 0x1
	buffer_load_dword v103, v7, s[0:3], 0 offen offset:4
	buffer_load_dword v104, v7, s[0:3], 0 offen
	ds_read_b64 v[101:102], v6
	v_add_nc_u32_e32 v5, 1, v5
	v_add_nc_u32_e32 v6, 8, v6
	;; [unrolled: 1-line block ×3, first 2 shown]
	v_cmp_lt_u32_e32 vcc_lo, 26, v5
	s_or_b32 s5, vcc_lo, s5
	s_waitcnt vmcnt(1) lgkmcnt(0)
	v_mul_f32_e32 v105, v102, v103
	v_mul_f32_e32 v103, v101, v103
	s_waitcnt vmcnt(0)
	v_fma_f32 v101, v101, v104, -v105
	v_fmac_f32_e32 v103, v102, v104
	v_add_f32_e32 v8, v8, v101
	v_add_f32_e32 v2, v2, v103
	s_andn2_b32 exec_lo, exec_lo, s5
	s_cbranch_execnz .LBB109_125
; %bb.126:
	s_or_b32 exec_lo, exec_lo, s5
	v_mov_b32_e32 v5, 0
	ds_read_b64 v[5:6], v5 offset:224
	s_waitcnt lgkmcnt(0)
	v_mul_f32_e32 v7, v2, v6
	v_mul_f32_e32 v6, v8, v6
	v_fma_f32 v7, v8, v5, -v7
	v_fmac_f32_e32 v6, v2, v5
	buffer_store_dword v7, off, s[0:3], 0 offset:224
	buffer_store_dword v6, off, s[0:3], 0 offset:228
.LBB109_127:
	s_or_b32 exec_lo, exec_lo, s4
	s_waitcnt_vscnt null, 0x0
	s_barrier
	buffer_gl0_inv
	s_clause 0x1
	buffer_load_dword v5, off, s[0:3], 0 offset:232
	buffer_load_dword v6, off, s[0:3], 0 offset:236
	s_mov_b32 s4, exec_lo
	s_waitcnt vmcnt(0)
	ds_write_b64 v4, v[5:6]
	s_waitcnt lgkmcnt(0)
	s_barrier
	buffer_gl0_inv
	v_cmpx_gt_u32_e32 29, v0
	s_cbranch_execz .LBB109_131
; %bb.128:
	v_add_nc_u32_e32 v5, -1, v0
	v_add_nc_u32_e32 v6, 0x170, v3
	v_mov_b32_e32 v7, v3
	v_mov_b32_e32 v2, 0
	;; [unrolled: 1-line block ×3, first 2 shown]
	s_mov_b32 s5, 0
	.p2align	6
.LBB109_129:                            ; =>This Inner Loop Header: Depth=1
	s_clause 0x1
	buffer_load_dword v103, v7, s[0:3], 0 offen offset:4
	buffer_load_dword v104, v7, s[0:3], 0 offen
	ds_read_b64 v[101:102], v6
	v_add_nc_u32_e32 v5, 1, v5
	v_add_nc_u32_e32 v6, 8, v6
	;; [unrolled: 1-line block ×3, first 2 shown]
	v_cmp_lt_u32_e32 vcc_lo, 27, v5
	s_or_b32 s5, vcc_lo, s5
	s_waitcnt vmcnt(1) lgkmcnt(0)
	v_mul_f32_e32 v105, v102, v103
	v_mul_f32_e32 v103, v101, v103
	s_waitcnt vmcnt(0)
	v_fma_f32 v101, v101, v104, -v105
	v_fmac_f32_e32 v103, v102, v104
	v_add_f32_e32 v8, v8, v101
	v_add_f32_e32 v2, v2, v103
	s_andn2_b32 exec_lo, exec_lo, s5
	s_cbranch_execnz .LBB109_129
; %bb.130:
	s_or_b32 exec_lo, exec_lo, s5
	v_mov_b32_e32 v5, 0
	ds_read_b64 v[5:6], v5 offset:232
	s_waitcnt lgkmcnt(0)
	v_mul_f32_e32 v7, v2, v6
	v_mul_f32_e32 v6, v8, v6
	v_fma_f32 v7, v8, v5, -v7
	v_fmac_f32_e32 v6, v2, v5
	buffer_store_dword v7, off, s[0:3], 0 offset:232
	buffer_store_dword v6, off, s[0:3], 0 offset:236
.LBB109_131:
	s_or_b32 exec_lo, exec_lo, s4
	s_waitcnt_vscnt null, 0x0
	s_barrier
	buffer_gl0_inv
	s_clause 0x1
	buffer_load_dword v5, off, s[0:3], 0 offset:240
	buffer_load_dword v6, off, s[0:3], 0 offset:244
	s_mov_b32 s4, exec_lo
	s_waitcnt vmcnt(0)
	ds_write_b64 v4, v[5:6]
	s_waitcnt lgkmcnt(0)
	s_barrier
	buffer_gl0_inv
	v_cmpx_gt_u32_e32 30, v0
	s_cbranch_execz .LBB109_135
; %bb.132:
	v_add_nc_u32_e32 v5, -1, v0
	v_add_nc_u32_e32 v6, 0x170, v3
	v_mov_b32_e32 v7, v3
	v_mov_b32_e32 v2, 0
	;; [unrolled: 1-line block ×3, first 2 shown]
	s_mov_b32 s5, 0
	.p2align	6
.LBB109_133:                            ; =>This Inner Loop Header: Depth=1
	s_clause 0x1
	buffer_load_dword v103, v7, s[0:3], 0 offen offset:4
	buffer_load_dword v104, v7, s[0:3], 0 offen
	ds_read_b64 v[101:102], v6
	v_add_nc_u32_e32 v5, 1, v5
	v_add_nc_u32_e32 v6, 8, v6
	;; [unrolled: 1-line block ×3, first 2 shown]
	v_cmp_lt_u32_e32 vcc_lo, 28, v5
	s_or_b32 s5, vcc_lo, s5
	s_waitcnt vmcnt(1) lgkmcnt(0)
	v_mul_f32_e32 v105, v102, v103
	v_mul_f32_e32 v103, v101, v103
	s_waitcnt vmcnt(0)
	v_fma_f32 v101, v101, v104, -v105
	v_fmac_f32_e32 v103, v102, v104
	v_add_f32_e32 v8, v8, v101
	v_add_f32_e32 v2, v2, v103
	s_andn2_b32 exec_lo, exec_lo, s5
	s_cbranch_execnz .LBB109_133
; %bb.134:
	s_or_b32 exec_lo, exec_lo, s5
	v_mov_b32_e32 v5, 0
	ds_read_b64 v[5:6], v5 offset:240
	s_waitcnt lgkmcnt(0)
	v_mul_f32_e32 v7, v2, v6
	v_mul_f32_e32 v6, v8, v6
	v_fma_f32 v7, v8, v5, -v7
	v_fmac_f32_e32 v6, v2, v5
	buffer_store_dword v7, off, s[0:3], 0 offset:240
	buffer_store_dword v6, off, s[0:3], 0 offset:244
.LBB109_135:
	s_or_b32 exec_lo, exec_lo, s4
	s_waitcnt_vscnt null, 0x0
	s_barrier
	buffer_gl0_inv
	s_clause 0x1
	buffer_load_dword v5, off, s[0:3], 0 offset:248
	buffer_load_dword v6, off, s[0:3], 0 offset:252
	s_mov_b32 s4, exec_lo
	s_waitcnt vmcnt(0)
	ds_write_b64 v4, v[5:6]
	s_waitcnt lgkmcnt(0)
	s_barrier
	buffer_gl0_inv
	v_cmpx_gt_u32_e32 31, v0
	s_cbranch_execz .LBB109_139
; %bb.136:
	v_add_nc_u32_e32 v5, -1, v0
	v_add_nc_u32_e32 v6, 0x170, v3
	v_mov_b32_e32 v7, v3
	v_mov_b32_e32 v2, 0
	;; [unrolled: 1-line block ×3, first 2 shown]
	s_mov_b32 s5, 0
	.p2align	6
.LBB109_137:                            ; =>This Inner Loop Header: Depth=1
	s_clause 0x1
	buffer_load_dword v103, v7, s[0:3], 0 offen offset:4
	buffer_load_dword v104, v7, s[0:3], 0 offen
	ds_read_b64 v[101:102], v6
	v_add_nc_u32_e32 v5, 1, v5
	v_add_nc_u32_e32 v6, 8, v6
	;; [unrolled: 1-line block ×3, first 2 shown]
	v_cmp_lt_u32_e32 vcc_lo, 29, v5
	s_or_b32 s5, vcc_lo, s5
	s_waitcnt vmcnt(1) lgkmcnt(0)
	v_mul_f32_e32 v105, v102, v103
	v_mul_f32_e32 v103, v101, v103
	s_waitcnt vmcnt(0)
	v_fma_f32 v101, v101, v104, -v105
	v_fmac_f32_e32 v103, v102, v104
	v_add_f32_e32 v8, v8, v101
	v_add_f32_e32 v2, v2, v103
	s_andn2_b32 exec_lo, exec_lo, s5
	s_cbranch_execnz .LBB109_137
; %bb.138:
	s_or_b32 exec_lo, exec_lo, s5
	v_mov_b32_e32 v5, 0
	ds_read_b64 v[5:6], v5 offset:248
	s_waitcnt lgkmcnt(0)
	v_mul_f32_e32 v7, v2, v6
	v_mul_f32_e32 v6, v8, v6
	v_fma_f32 v7, v8, v5, -v7
	v_fmac_f32_e32 v6, v2, v5
	buffer_store_dword v7, off, s[0:3], 0 offset:248
	buffer_store_dword v6, off, s[0:3], 0 offset:252
.LBB109_139:
	s_or_b32 exec_lo, exec_lo, s4
	s_waitcnt_vscnt null, 0x0
	s_barrier
	buffer_gl0_inv
	s_clause 0x1
	buffer_load_dword v5, off, s[0:3], 0 offset:256
	buffer_load_dword v6, off, s[0:3], 0 offset:260
	s_mov_b32 s4, exec_lo
	s_waitcnt vmcnt(0)
	ds_write_b64 v4, v[5:6]
	s_waitcnt lgkmcnt(0)
	s_barrier
	buffer_gl0_inv
	v_cmpx_gt_u32_e32 32, v0
	s_cbranch_execz .LBB109_143
; %bb.140:
	v_add_nc_u32_e32 v5, -1, v0
	v_add_nc_u32_e32 v6, 0x170, v3
	v_mov_b32_e32 v7, v3
	v_mov_b32_e32 v2, 0
	;; [unrolled: 1-line block ×3, first 2 shown]
	s_mov_b32 s5, 0
	.p2align	6
.LBB109_141:                            ; =>This Inner Loop Header: Depth=1
	s_clause 0x1
	buffer_load_dword v103, v7, s[0:3], 0 offen offset:4
	buffer_load_dword v104, v7, s[0:3], 0 offen
	ds_read_b64 v[101:102], v6
	v_add_nc_u32_e32 v5, 1, v5
	v_add_nc_u32_e32 v6, 8, v6
	;; [unrolled: 1-line block ×3, first 2 shown]
	v_cmp_lt_u32_e32 vcc_lo, 30, v5
	s_or_b32 s5, vcc_lo, s5
	s_waitcnt vmcnt(1) lgkmcnt(0)
	v_mul_f32_e32 v105, v102, v103
	v_mul_f32_e32 v103, v101, v103
	s_waitcnt vmcnt(0)
	v_fma_f32 v101, v101, v104, -v105
	v_fmac_f32_e32 v103, v102, v104
	v_add_f32_e32 v8, v8, v101
	v_add_f32_e32 v2, v2, v103
	s_andn2_b32 exec_lo, exec_lo, s5
	s_cbranch_execnz .LBB109_141
; %bb.142:
	s_or_b32 exec_lo, exec_lo, s5
	v_mov_b32_e32 v5, 0
	ds_read_b64 v[5:6], v5 offset:256
	s_waitcnt lgkmcnt(0)
	v_mul_f32_e32 v7, v2, v6
	v_mul_f32_e32 v6, v8, v6
	v_fma_f32 v7, v8, v5, -v7
	v_fmac_f32_e32 v6, v2, v5
	buffer_store_dword v7, off, s[0:3], 0 offset:256
	buffer_store_dword v6, off, s[0:3], 0 offset:260
.LBB109_143:
	s_or_b32 exec_lo, exec_lo, s4
	s_waitcnt_vscnt null, 0x0
	s_barrier
	buffer_gl0_inv
	s_clause 0x1
	buffer_load_dword v5, off, s[0:3], 0 offset:264
	buffer_load_dword v6, off, s[0:3], 0 offset:268
	s_mov_b32 s4, exec_lo
	s_waitcnt vmcnt(0)
	ds_write_b64 v4, v[5:6]
	s_waitcnt lgkmcnt(0)
	s_barrier
	buffer_gl0_inv
	v_cmpx_gt_u32_e32 33, v0
	s_cbranch_execz .LBB109_147
; %bb.144:
	v_add_nc_u32_e32 v5, -1, v0
	v_add_nc_u32_e32 v6, 0x170, v3
	v_mov_b32_e32 v7, v3
	v_mov_b32_e32 v2, 0
	;; [unrolled: 1-line block ×3, first 2 shown]
	s_mov_b32 s5, 0
	.p2align	6
.LBB109_145:                            ; =>This Inner Loop Header: Depth=1
	s_clause 0x1
	buffer_load_dword v103, v7, s[0:3], 0 offen offset:4
	buffer_load_dword v104, v7, s[0:3], 0 offen
	ds_read_b64 v[101:102], v6
	v_add_nc_u32_e32 v5, 1, v5
	v_add_nc_u32_e32 v6, 8, v6
	;; [unrolled: 1-line block ×3, first 2 shown]
	v_cmp_lt_u32_e32 vcc_lo, 31, v5
	s_or_b32 s5, vcc_lo, s5
	s_waitcnt vmcnt(1) lgkmcnt(0)
	v_mul_f32_e32 v105, v102, v103
	v_mul_f32_e32 v103, v101, v103
	s_waitcnt vmcnt(0)
	v_fma_f32 v101, v101, v104, -v105
	v_fmac_f32_e32 v103, v102, v104
	v_add_f32_e32 v8, v8, v101
	v_add_f32_e32 v2, v2, v103
	s_andn2_b32 exec_lo, exec_lo, s5
	s_cbranch_execnz .LBB109_145
; %bb.146:
	s_or_b32 exec_lo, exec_lo, s5
	v_mov_b32_e32 v5, 0
	ds_read_b64 v[5:6], v5 offset:264
	s_waitcnt lgkmcnt(0)
	v_mul_f32_e32 v7, v2, v6
	v_mul_f32_e32 v6, v8, v6
	v_fma_f32 v7, v8, v5, -v7
	v_fmac_f32_e32 v6, v2, v5
	buffer_store_dword v7, off, s[0:3], 0 offset:264
	buffer_store_dword v6, off, s[0:3], 0 offset:268
.LBB109_147:
	s_or_b32 exec_lo, exec_lo, s4
	s_waitcnt_vscnt null, 0x0
	s_barrier
	buffer_gl0_inv
	s_clause 0x1
	buffer_load_dword v5, off, s[0:3], 0 offset:272
	buffer_load_dword v6, off, s[0:3], 0 offset:276
	s_mov_b32 s4, exec_lo
	s_waitcnt vmcnt(0)
	ds_write_b64 v4, v[5:6]
	s_waitcnt lgkmcnt(0)
	s_barrier
	buffer_gl0_inv
	v_cmpx_gt_u32_e32 34, v0
	s_cbranch_execz .LBB109_151
; %bb.148:
	v_add_nc_u32_e32 v5, -1, v0
	v_add_nc_u32_e32 v6, 0x170, v3
	v_mov_b32_e32 v7, v3
	v_mov_b32_e32 v2, 0
	;; [unrolled: 1-line block ×3, first 2 shown]
	s_mov_b32 s5, 0
	.p2align	6
.LBB109_149:                            ; =>This Inner Loop Header: Depth=1
	s_clause 0x1
	buffer_load_dword v103, v7, s[0:3], 0 offen offset:4
	buffer_load_dword v104, v7, s[0:3], 0 offen
	ds_read_b64 v[101:102], v6
	v_add_nc_u32_e32 v5, 1, v5
	v_add_nc_u32_e32 v6, 8, v6
	;; [unrolled: 1-line block ×3, first 2 shown]
	v_cmp_lt_u32_e32 vcc_lo, 32, v5
	s_or_b32 s5, vcc_lo, s5
	s_waitcnt vmcnt(1) lgkmcnt(0)
	v_mul_f32_e32 v105, v102, v103
	v_mul_f32_e32 v103, v101, v103
	s_waitcnt vmcnt(0)
	v_fma_f32 v101, v101, v104, -v105
	v_fmac_f32_e32 v103, v102, v104
	v_add_f32_e32 v8, v8, v101
	v_add_f32_e32 v2, v2, v103
	s_andn2_b32 exec_lo, exec_lo, s5
	s_cbranch_execnz .LBB109_149
; %bb.150:
	s_or_b32 exec_lo, exec_lo, s5
	v_mov_b32_e32 v5, 0
	ds_read_b64 v[5:6], v5 offset:272
	s_waitcnt lgkmcnt(0)
	v_mul_f32_e32 v7, v2, v6
	v_mul_f32_e32 v6, v8, v6
	v_fma_f32 v7, v8, v5, -v7
	v_fmac_f32_e32 v6, v2, v5
	buffer_store_dword v7, off, s[0:3], 0 offset:272
	buffer_store_dword v6, off, s[0:3], 0 offset:276
.LBB109_151:
	s_or_b32 exec_lo, exec_lo, s4
	s_waitcnt_vscnt null, 0x0
	s_barrier
	buffer_gl0_inv
	s_clause 0x1
	buffer_load_dword v5, off, s[0:3], 0 offset:280
	buffer_load_dword v6, off, s[0:3], 0 offset:284
	s_mov_b32 s4, exec_lo
	s_waitcnt vmcnt(0)
	ds_write_b64 v4, v[5:6]
	s_waitcnt lgkmcnt(0)
	s_barrier
	buffer_gl0_inv
	v_cmpx_gt_u32_e32 35, v0
	s_cbranch_execz .LBB109_155
; %bb.152:
	v_add_nc_u32_e32 v5, -1, v0
	v_add_nc_u32_e32 v6, 0x170, v3
	v_mov_b32_e32 v7, v3
	v_mov_b32_e32 v2, 0
	;; [unrolled: 1-line block ×3, first 2 shown]
	s_mov_b32 s5, 0
	.p2align	6
.LBB109_153:                            ; =>This Inner Loop Header: Depth=1
	s_clause 0x1
	buffer_load_dword v103, v7, s[0:3], 0 offen offset:4
	buffer_load_dword v104, v7, s[0:3], 0 offen
	ds_read_b64 v[101:102], v6
	v_add_nc_u32_e32 v5, 1, v5
	v_add_nc_u32_e32 v6, 8, v6
	;; [unrolled: 1-line block ×3, first 2 shown]
	v_cmp_lt_u32_e32 vcc_lo, 33, v5
	s_or_b32 s5, vcc_lo, s5
	s_waitcnt vmcnt(1) lgkmcnt(0)
	v_mul_f32_e32 v105, v102, v103
	v_mul_f32_e32 v103, v101, v103
	s_waitcnt vmcnt(0)
	v_fma_f32 v101, v101, v104, -v105
	v_fmac_f32_e32 v103, v102, v104
	v_add_f32_e32 v8, v8, v101
	v_add_f32_e32 v2, v2, v103
	s_andn2_b32 exec_lo, exec_lo, s5
	s_cbranch_execnz .LBB109_153
; %bb.154:
	s_or_b32 exec_lo, exec_lo, s5
	v_mov_b32_e32 v5, 0
	ds_read_b64 v[5:6], v5 offset:280
	s_waitcnt lgkmcnt(0)
	v_mul_f32_e32 v7, v2, v6
	v_mul_f32_e32 v6, v8, v6
	v_fma_f32 v7, v8, v5, -v7
	v_fmac_f32_e32 v6, v2, v5
	buffer_store_dword v7, off, s[0:3], 0 offset:280
	buffer_store_dword v6, off, s[0:3], 0 offset:284
.LBB109_155:
	s_or_b32 exec_lo, exec_lo, s4
	s_waitcnt_vscnt null, 0x0
	s_barrier
	buffer_gl0_inv
	s_clause 0x1
	buffer_load_dword v5, off, s[0:3], 0 offset:288
	buffer_load_dword v6, off, s[0:3], 0 offset:292
	s_mov_b32 s4, exec_lo
	s_waitcnt vmcnt(0)
	ds_write_b64 v4, v[5:6]
	s_waitcnt lgkmcnt(0)
	s_barrier
	buffer_gl0_inv
	v_cmpx_gt_u32_e32 36, v0
	s_cbranch_execz .LBB109_159
; %bb.156:
	v_add_nc_u32_e32 v5, -1, v0
	v_add_nc_u32_e32 v6, 0x170, v3
	v_mov_b32_e32 v7, v3
	v_mov_b32_e32 v2, 0
	;; [unrolled: 1-line block ×3, first 2 shown]
	s_mov_b32 s5, 0
	.p2align	6
.LBB109_157:                            ; =>This Inner Loop Header: Depth=1
	s_clause 0x1
	buffer_load_dword v103, v7, s[0:3], 0 offen offset:4
	buffer_load_dword v104, v7, s[0:3], 0 offen
	ds_read_b64 v[101:102], v6
	v_add_nc_u32_e32 v5, 1, v5
	v_add_nc_u32_e32 v6, 8, v6
	;; [unrolled: 1-line block ×3, first 2 shown]
	v_cmp_lt_u32_e32 vcc_lo, 34, v5
	s_or_b32 s5, vcc_lo, s5
	s_waitcnt vmcnt(1) lgkmcnt(0)
	v_mul_f32_e32 v105, v102, v103
	v_mul_f32_e32 v103, v101, v103
	s_waitcnt vmcnt(0)
	v_fma_f32 v101, v101, v104, -v105
	v_fmac_f32_e32 v103, v102, v104
	v_add_f32_e32 v8, v8, v101
	v_add_f32_e32 v2, v2, v103
	s_andn2_b32 exec_lo, exec_lo, s5
	s_cbranch_execnz .LBB109_157
; %bb.158:
	s_or_b32 exec_lo, exec_lo, s5
	v_mov_b32_e32 v5, 0
	ds_read_b64 v[5:6], v5 offset:288
	s_waitcnt lgkmcnt(0)
	v_mul_f32_e32 v7, v2, v6
	v_mul_f32_e32 v6, v8, v6
	v_fma_f32 v7, v8, v5, -v7
	v_fmac_f32_e32 v6, v2, v5
	buffer_store_dword v7, off, s[0:3], 0 offset:288
	buffer_store_dword v6, off, s[0:3], 0 offset:292
.LBB109_159:
	s_or_b32 exec_lo, exec_lo, s4
	s_waitcnt_vscnt null, 0x0
	s_barrier
	buffer_gl0_inv
	s_clause 0x1
	buffer_load_dword v5, off, s[0:3], 0 offset:296
	buffer_load_dword v6, off, s[0:3], 0 offset:300
	s_mov_b32 s4, exec_lo
	s_waitcnt vmcnt(0)
	ds_write_b64 v4, v[5:6]
	s_waitcnt lgkmcnt(0)
	s_barrier
	buffer_gl0_inv
	v_cmpx_gt_u32_e32 37, v0
	s_cbranch_execz .LBB109_163
; %bb.160:
	v_add_nc_u32_e32 v5, -1, v0
	v_add_nc_u32_e32 v6, 0x170, v3
	v_mov_b32_e32 v7, v3
	v_mov_b32_e32 v2, 0
	;; [unrolled: 1-line block ×3, first 2 shown]
	s_mov_b32 s5, 0
	.p2align	6
.LBB109_161:                            ; =>This Inner Loop Header: Depth=1
	s_clause 0x1
	buffer_load_dword v103, v7, s[0:3], 0 offen offset:4
	buffer_load_dword v104, v7, s[0:3], 0 offen
	ds_read_b64 v[101:102], v6
	v_add_nc_u32_e32 v5, 1, v5
	v_add_nc_u32_e32 v6, 8, v6
	v_add_nc_u32_e32 v7, 8, v7
	v_cmp_lt_u32_e32 vcc_lo, 35, v5
	s_or_b32 s5, vcc_lo, s5
	s_waitcnt vmcnt(1) lgkmcnt(0)
	v_mul_f32_e32 v105, v102, v103
	v_mul_f32_e32 v103, v101, v103
	s_waitcnt vmcnt(0)
	v_fma_f32 v101, v101, v104, -v105
	v_fmac_f32_e32 v103, v102, v104
	v_add_f32_e32 v8, v8, v101
	v_add_f32_e32 v2, v2, v103
	s_andn2_b32 exec_lo, exec_lo, s5
	s_cbranch_execnz .LBB109_161
; %bb.162:
	s_or_b32 exec_lo, exec_lo, s5
	v_mov_b32_e32 v5, 0
	ds_read_b64 v[5:6], v5 offset:296
	s_waitcnt lgkmcnt(0)
	v_mul_f32_e32 v7, v2, v6
	v_mul_f32_e32 v6, v8, v6
	v_fma_f32 v7, v8, v5, -v7
	v_fmac_f32_e32 v6, v2, v5
	buffer_store_dword v7, off, s[0:3], 0 offset:296
	buffer_store_dword v6, off, s[0:3], 0 offset:300
.LBB109_163:
	s_or_b32 exec_lo, exec_lo, s4
	s_waitcnt_vscnt null, 0x0
	s_barrier
	buffer_gl0_inv
	s_clause 0x1
	buffer_load_dword v5, off, s[0:3], 0 offset:304
	buffer_load_dword v6, off, s[0:3], 0 offset:308
	s_mov_b32 s4, exec_lo
	s_waitcnt vmcnt(0)
	ds_write_b64 v4, v[5:6]
	s_waitcnt lgkmcnt(0)
	s_barrier
	buffer_gl0_inv
	v_cmpx_gt_u32_e32 38, v0
	s_cbranch_execz .LBB109_167
; %bb.164:
	v_add_nc_u32_e32 v5, -1, v0
	v_add_nc_u32_e32 v6, 0x170, v3
	v_mov_b32_e32 v7, v3
	v_mov_b32_e32 v2, 0
	;; [unrolled: 1-line block ×3, first 2 shown]
	s_mov_b32 s5, 0
	.p2align	6
.LBB109_165:                            ; =>This Inner Loop Header: Depth=1
	s_clause 0x1
	buffer_load_dword v103, v7, s[0:3], 0 offen offset:4
	buffer_load_dword v104, v7, s[0:3], 0 offen
	ds_read_b64 v[101:102], v6
	v_add_nc_u32_e32 v5, 1, v5
	v_add_nc_u32_e32 v6, 8, v6
	;; [unrolled: 1-line block ×3, first 2 shown]
	v_cmp_lt_u32_e32 vcc_lo, 36, v5
	s_or_b32 s5, vcc_lo, s5
	s_waitcnt vmcnt(1) lgkmcnt(0)
	v_mul_f32_e32 v105, v102, v103
	v_mul_f32_e32 v103, v101, v103
	s_waitcnt vmcnt(0)
	v_fma_f32 v101, v101, v104, -v105
	v_fmac_f32_e32 v103, v102, v104
	v_add_f32_e32 v8, v8, v101
	v_add_f32_e32 v2, v2, v103
	s_andn2_b32 exec_lo, exec_lo, s5
	s_cbranch_execnz .LBB109_165
; %bb.166:
	s_or_b32 exec_lo, exec_lo, s5
	v_mov_b32_e32 v5, 0
	ds_read_b64 v[5:6], v5 offset:304
	s_waitcnt lgkmcnt(0)
	v_mul_f32_e32 v7, v2, v6
	v_mul_f32_e32 v6, v8, v6
	v_fma_f32 v7, v8, v5, -v7
	v_fmac_f32_e32 v6, v2, v5
	buffer_store_dword v7, off, s[0:3], 0 offset:304
	buffer_store_dword v6, off, s[0:3], 0 offset:308
.LBB109_167:
	s_or_b32 exec_lo, exec_lo, s4
	s_waitcnt_vscnt null, 0x0
	s_barrier
	buffer_gl0_inv
	s_clause 0x1
	buffer_load_dword v5, off, s[0:3], 0 offset:312
	buffer_load_dword v6, off, s[0:3], 0 offset:316
	s_mov_b32 s4, exec_lo
	s_waitcnt vmcnt(0)
	ds_write_b64 v4, v[5:6]
	s_waitcnt lgkmcnt(0)
	s_barrier
	buffer_gl0_inv
	v_cmpx_gt_u32_e32 39, v0
	s_cbranch_execz .LBB109_171
; %bb.168:
	v_add_nc_u32_e32 v5, -1, v0
	v_add_nc_u32_e32 v6, 0x170, v3
	v_mov_b32_e32 v7, v3
	v_mov_b32_e32 v2, 0
	;; [unrolled: 1-line block ×3, first 2 shown]
	s_mov_b32 s5, 0
	.p2align	6
.LBB109_169:                            ; =>This Inner Loop Header: Depth=1
	s_clause 0x1
	buffer_load_dword v103, v7, s[0:3], 0 offen offset:4
	buffer_load_dword v104, v7, s[0:3], 0 offen
	ds_read_b64 v[101:102], v6
	v_add_nc_u32_e32 v5, 1, v5
	v_add_nc_u32_e32 v6, 8, v6
	;; [unrolled: 1-line block ×3, first 2 shown]
	v_cmp_lt_u32_e32 vcc_lo, 37, v5
	s_or_b32 s5, vcc_lo, s5
	s_waitcnt vmcnt(1) lgkmcnt(0)
	v_mul_f32_e32 v105, v102, v103
	v_mul_f32_e32 v103, v101, v103
	s_waitcnt vmcnt(0)
	v_fma_f32 v101, v101, v104, -v105
	v_fmac_f32_e32 v103, v102, v104
	v_add_f32_e32 v8, v8, v101
	v_add_f32_e32 v2, v2, v103
	s_andn2_b32 exec_lo, exec_lo, s5
	s_cbranch_execnz .LBB109_169
; %bb.170:
	s_or_b32 exec_lo, exec_lo, s5
	v_mov_b32_e32 v5, 0
	ds_read_b64 v[5:6], v5 offset:312
	s_waitcnt lgkmcnt(0)
	v_mul_f32_e32 v7, v2, v6
	v_mul_f32_e32 v6, v8, v6
	v_fma_f32 v7, v8, v5, -v7
	v_fmac_f32_e32 v6, v2, v5
	buffer_store_dword v7, off, s[0:3], 0 offset:312
	buffer_store_dword v6, off, s[0:3], 0 offset:316
.LBB109_171:
	s_or_b32 exec_lo, exec_lo, s4
	s_waitcnt_vscnt null, 0x0
	s_barrier
	buffer_gl0_inv
	s_clause 0x1
	buffer_load_dword v5, off, s[0:3], 0 offset:320
	buffer_load_dword v6, off, s[0:3], 0 offset:324
	s_mov_b32 s4, exec_lo
	s_waitcnt vmcnt(0)
	ds_write_b64 v4, v[5:6]
	s_waitcnt lgkmcnt(0)
	s_barrier
	buffer_gl0_inv
	v_cmpx_gt_u32_e32 40, v0
	s_cbranch_execz .LBB109_175
; %bb.172:
	v_add_nc_u32_e32 v5, -1, v0
	v_add_nc_u32_e32 v6, 0x170, v3
	v_mov_b32_e32 v7, v3
	v_mov_b32_e32 v2, 0
	;; [unrolled: 1-line block ×3, first 2 shown]
	s_mov_b32 s5, 0
	.p2align	6
.LBB109_173:                            ; =>This Inner Loop Header: Depth=1
	s_clause 0x1
	buffer_load_dword v103, v7, s[0:3], 0 offen offset:4
	buffer_load_dword v104, v7, s[0:3], 0 offen
	ds_read_b64 v[101:102], v6
	v_add_nc_u32_e32 v5, 1, v5
	v_add_nc_u32_e32 v6, 8, v6
	;; [unrolled: 1-line block ×3, first 2 shown]
	v_cmp_lt_u32_e32 vcc_lo, 38, v5
	s_or_b32 s5, vcc_lo, s5
	s_waitcnt vmcnt(1) lgkmcnt(0)
	v_mul_f32_e32 v105, v102, v103
	v_mul_f32_e32 v103, v101, v103
	s_waitcnt vmcnt(0)
	v_fma_f32 v101, v101, v104, -v105
	v_fmac_f32_e32 v103, v102, v104
	v_add_f32_e32 v8, v8, v101
	v_add_f32_e32 v2, v2, v103
	s_andn2_b32 exec_lo, exec_lo, s5
	s_cbranch_execnz .LBB109_173
; %bb.174:
	s_or_b32 exec_lo, exec_lo, s5
	v_mov_b32_e32 v5, 0
	ds_read_b64 v[5:6], v5 offset:320
	s_waitcnt lgkmcnt(0)
	v_mul_f32_e32 v7, v2, v6
	v_mul_f32_e32 v6, v8, v6
	v_fma_f32 v7, v8, v5, -v7
	v_fmac_f32_e32 v6, v2, v5
	buffer_store_dword v7, off, s[0:3], 0 offset:320
	buffer_store_dword v6, off, s[0:3], 0 offset:324
.LBB109_175:
	s_or_b32 exec_lo, exec_lo, s4
	s_waitcnt_vscnt null, 0x0
	s_barrier
	buffer_gl0_inv
	s_clause 0x1
	buffer_load_dword v5, off, s[0:3], 0 offset:328
	buffer_load_dword v6, off, s[0:3], 0 offset:332
	s_mov_b32 s4, exec_lo
	s_waitcnt vmcnt(0)
	ds_write_b64 v4, v[5:6]
	s_waitcnt lgkmcnt(0)
	s_barrier
	buffer_gl0_inv
	v_cmpx_gt_u32_e32 41, v0
	s_cbranch_execz .LBB109_179
; %bb.176:
	v_add_nc_u32_e32 v5, -1, v0
	v_add_nc_u32_e32 v6, 0x170, v3
	v_mov_b32_e32 v7, v3
	v_mov_b32_e32 v2, 0
	;; [unrolled: 1-line block ×3, first 2 shown]
	s_mov_b32 s5, 0
	.p2align	6
.LBB109_177:                            ; =>This Inner Loop Header: Depth=1
	s_clause 0x1
	buffer_load_dword v103, v7, s[0:3], 0 offen offset:4
	buffer_load_dword v104, v7, s[0:3], 0 offen
	ds_read_b64 v[101:102], v6
	v_add_nc_u32_e32 v5, 1, v5
	v_add_nc_u32_e32 v6, 8, v6
	v_add_nc_u32_e32 v7, 8, v7
	v_cmp_lt_u32_e32 vcc_lo, 39, v5
	s_or_b32 s5, vcc_lo, s5
	s_waitcnt vmcnt(1) lgkmcnt(0)
	v_mul_f32_e32 v105, v102, v103
	v_mul_f32_e32 v103, v101, v103
	s_waitcnt vmcnt(0)
	v_fma_f32 v101, v101, v104, -v105
	v_fmac_f32_e32 v103, v102, v104
	v_add_f32_e32 v8, v8, v101
	v_add_f32_e32 v2, v2, v103
	s_andn2_b32 exec_lo, exec_lo, s5
	s_cbranch_execnz .LBB109_177
; %bb.178:
	s_or_b32 exec_lo, exec_lo, s5
	v_mov_b32_e32 v5, 0
	ds_read_b64 v[5:6], v5 offset:328
	s_waitcnt lgkmcnt(0)
	v_mul_f32_e32 v7, v2, v6
	v_mul_f32_e32 v6, v8, v6
	v_fma_f32 v7, v8, v5, -v7
	v_fmac_f32_e32 v6, v2, v5
	buffer_store_dword v7, off, s[0:3], 0 offset:328
	buffer_store_dword v6, off, s[0:3], 0 offset:332
.LBB109_179:
	s_or_b32 exec_lo, exec_lo, s4
	s_waitcnt_vscnt null, 0x0
	s_barrier
	buffer_gl0_inv
	s_clause 0x1
	buffer_load_dword v5, off, s[0:3], 0 offset:336
	buffer_load_dword v6, off, s[0:3], 0 offset:340
	s_mov_b32 s4, exec_lo
	s_waitcnt vmcnt(0)
	ds_write_b64 v4, v[5:6]
	s_waitcnt lgkmcnt(0)
	s_barrier
	buffer_gl0_inv
	v_cmpx_gt_u32_e32 42, v0
	s_cbranch_execz .LBB109_183
; %bb.180:
	v_add_nc_u32_e32 v5, -1, v0
	v_add_nc_u32_e32 v6, 0x170, v3
	v_mov_b32_e32 v7, v3
	v_mov_b32_e32 v2, 0
	;; [unrolled: 1-line block ×3, first 2 shown]
	s_mov_b32 s5, 0
	.p2align	6
.LBB109_181:                            ; =>This Inner Loop Header: Depth=1
	s_clause 0x1
	buffer_load_dword v103, v7, s[0:3], 0 offen offset:4
	buffer_load_dword v104, v7, s[0:3], 0 offen
	ds_read_b64 v[101:102], v6
	v_add_nc_u32_e32 v5, 1, v5
	v_add_nc_u32_e32 v6, 8, v6
	;; [unrolled: 1-line block ×3, first 2 shown]
	v_cmp_lt_u32_e32 vcc_lo, 40, v5
	s_or_b32 s5, vcc_lo, s5
	s_waitcnt vmcnt(1) lgkmcnt(0)
	v_mul_f32_e32 v105, v102, v103
	v_mul_f32_e32 v103, v101, v103
	s_waitcnt vmcnt(0)
	v_fma_f32 v101, v101, v104, -v105
	v_fmac_f32_e32 v103, v102, v104
	v_add_f32_e32 v8, v8, v101
	v_add_f32_e32 v2, v2, v103
	s_andn2_b32 exec_lo, exec_lo, s5
	s_cbranch_execnz .LBB109_181
; %bb.182:
	s_or_b32 exec_lo, exec_lo, s5
	v_mov_b32_e32 v5, 0
	ds_read_b64 v[5:6], v5 offset:336
	s_waitcnt lgkmcnt(0)
	v_mul_f32_e32 v7, v2, v6
	v_mul_f32_e32 v6, v8, v6
	v_fma_f32 v7, v8, v5, -v7
	v_fmac_f32_e32 v6, v2, v5
	buffer_store_dword v7, off, s[0:3], 0 offset:336
	buffer_store_dword v6, off, s[0:3], 0 offset:340
.LBB109_183:
	s_or_b32 exec_lo, exec_lo, s4
	s_waitcnt_vscnt null, 0x0
	s_barrier
	buffer_gl0_inv
	s_clause 0x1
	buffer_load_dword v5, off, s[0:3], 0 offset:344
	buffer_load_dword v6, off, s[0:3], 0 offset:348
	s_mov_b32 s4, exec_lo
	s_waitcnt vmcnt(0)
	ds_write_b64 v4, v[5:6]
	s_waitcnt lgkmcnt(0)
	s_barrier
	buffer_gl0_inv
	v_cmpx_gt_u32_e32 43, v0
	s_cbranch_execz .LBB109_187
; %bb.184:
	v_add_nc_u32_e32 v5, -1, v0
	v_add_nc_u32_e32 v6, 0x170, v3
	v_mov_b32_e32 v7, v3
	v_mov_b32_e32 v2, 0
	;; [unrolled: 1-line block ×3, first 2 shown]
	s_mov_b32 s5, 0
	.p2align	6
.LBB109_185:                            ; =>This Inner Loop Header: Depth=1
	s_clause 0x1
	buffer_load_dword v103, v7, s[0:3], 0 offen offset:4
	buffer_load_dword v104, v7, s[0:3], 0 offen
	ds_read_b64 v[101:102], v6
	v_add_nc_u32_e32 v5, 1, v5
	v_add_nc_u32_e32 v6, 8, v6
	;; [unrolled: 1-line block ×3, first 2 shown]
	v_cmp_lt_u32_e32 vcc_lo, 41, v5
	s_or_b32 s5, vcc_lo, s5
	s_waitcnt vmcnt(1) lgkmcnt(0)
	v_mul_f32_e32 v105, v102, v103
	v_mul_f32_e32 v103, v101, v103
	s_waitcnt vmcnt(0)
	v_fma_f32 v101, v101, v104, -v105
	v_fmac_f32_e32 v103, v102, v104
	v_add_f32_e32 v8, v8, v101
	v_add_f32_e32 v2, v2, v103
	s_andn2_b32 exec_lo, exec_lo, s5
	s_cbranch_execnz .LBB109_185
; %bb.186:
	s_or_b32 exec_lo, exec_lo, s5
	v_mov_b32_e32 v5, 0
	ds_read_b64 v[5:6], v5 offset:344
	s_waitcnt lgkmcnt(0)
	v_mul_f32_e32 v7, v2, v6
	v_mul_f32_e32 v6, v8, v6
	v_fma_f32 v7, v8, v5, -v7
	v_fmac_f32_e32 v6, v2, v5
	buffer_store_dword v7, off, s[0:3], 0 offset:344
	buffer_store_dword v6, off, s[0:3], 0 offset:348
.LBB109_187:
	s_or_b32 exec_lo, exec_lo, s4
	s_waitcnt_vscnt null, 0x0
	s_barrier
	buffer_gl0_inv
	s_clause 0x1
	buffer_load_dword v5, off, s[0:3], 0 offset:352
	buffer_load_dword v6, off, s[0:3], 0 offset:356
	s_mov_b32 s4, exec_lo
	s_waitcnt vmcnt(0)
	ds_write_b64 v4, v[5:6]
	s_waitcnt lgkmcnt(0)
	s_barrier
	buffer_gl0_inv
	v_cmpx_gt_u32_e32 44, v0
	s_cbranch_execz .LBB109_191
; %bb.188:
	v_add_nc_u32_e32 v5, -1, v0
	v_add_nc_u32_e32 v6, 0x170, v3
	v_mov_b32_e32 v7, v3
	v_mov_b32_e32 v2, 0
	;; [unrolled: 1-line block ×3, first 2 shown]
	s_mov_b32 s5, 0
	.p2align	6
.LBB109_189:                            ; =>This Inner Loop Header: Depth=1
	s_clause 0x1
	buffer_load_dword v103, v7, s[0:3], 0 offen offset:4
	buffer_load_dword v104, v7, s[0:3], 0 offen
	ds_read_b64 v[101:102], v6
	v_add_nc_u32_e32 v5, 1, v5
	v_add_nc_u32_e32 v6, 8, v6
	;; [unrolled: 1-line block ×3, first 2 shown]
	v_cmp_lt_u32_e32 vcc_lo, 42, v5
	s_or_b32 s5, vcc_lo, s5
	s_waitcnt vmcnt(1) lgkmcnt(0)
	v_mul_f32_e32 v105, v102, v103
	v_mul_f32_e32 v103, v101, v103
	s_waitcnt vmcnt(0)
	v_fma_f32 v101, v101, v104, -v105
	v_fmac_f32_e32 v103, v102, v104
	v_add_f32_e32 v8, v8, v101
	v_add_f32_e32 v2, v2, v103
	s_andn2_b32 exec_lo, exec_lo, s5
	s_cbranch_execnz .LBB109_189
; %bb.190:
	s_or_b32 exec_lo, exec_lo, s5
	v_mov_b32_e32 v5, 0
	ds_read_b64 v[5:6], v5 offset:352
	s_waitcnt lgkmcnt(0)
	v_mul_f32_e32 v7, v2, v6
	v_mul_f32_e32 v6, v8, v6
	v_fma_f32 v7, v8, v5, -v7
	v_fmac_f32_e32 v6, v2, v5
	buffer_store_dword v7, off, s[0:3], 0 offset:352
	buffer_store_dword v6, off, s[0:3], 0 offset:356
.LBB109_191:
	s_or_b32 exec_lo, exec_lo, s4
	s_waitcnt_vscnt null, 0x0
	s_barrier
	buffer_gl0_inv
	s_clause 0x1
	buffer_load_dword v5, off, s[0:3], 0 offset:360
	buffer_load_dword v6, off, s[0:3], 0 offset:364
	s_mov_b32 s4, exec_lo
	s_waitcnt vmcnt(0)
	ds_write_b64 v4, v[5:6]
	s_waitcnt lgkmcnt(0)
	s_barrier
	buffer_gl0_inv
	v_cmpx_ne_u32_e32 45, v0
	s_cbranch_execz .LBB109_195
; %bb.192:
	v_mov_b32_e32 v2, 0
	v_mov_b32_e32 v5, 0
	s_mov_b32 s5, 0
	.p2align	6
.LBB109_193:                            ; =>This Inner Loop Header: Depth=1
	s_clause 0x1
	buffer_load_dword v8, v3, s[0:3], 0 offen offset:4
	buffer_load_dword v101, v3, s[0:3], 0 offen
	ds_read_b64 v[6:7], v4
	v_add_nc_u32_e32 v1, 1, v1
	v_add_nc_u32_e32 v4, 8, v4
	;; [unrolled: 1-line block ×3, first 2 shown]
	v_cmp_lt_u32_e32 vcc_lo, 43, v1
	s_or_b32 s5, vcc_lo, s5
	s_waitcnt vmcnt(1) lgkmcnt(0)
	v_mul_f32_e32 v102, v7, v8
	v_mul_f32_e32 v8, v6, v8
	s_waitcnt vmcnt(0)
	v_fma_f32 v6, v6, v101, -v102
	v_fmac_f32_e32 v8, v7, v101
	v_add_f32_e32 v5, v5, v6
	v_add_f32_e32 v2, v2, v8
	s_andn2_b32 exec_lo, exec_lo, s5
	s_cbranch_execnz .LBB109_193
; %bb.194:
	s_or_b32 exec_lo, exec_lo, s5
	v_mov_b32_e32 v1, 0
	ds_read_b64 v[3:4], v1 offset:360
	s_waitcnt lgkmcnt(0)
	v_mul_f32_e32 v1, v2, v4
	v_mul_f32_e32 v4, v5, v4
	v_fma_f32 v1, v5, v3, -v1
	v_fmac_f32_e32 v4, v2, v3
	buffer_store_dword v1, off, s[0:3], 0 offset:360
	buffer_store_dword v4, off, s[0:3], 0 offset:364
.LBB109_195:
	s_or_b32 exec_lo, exec_lo, s4
	s_mov_b32 s5, -1
	s_waitcnt_vscnt null, 0x0
	s_barrier
	buffer_gl0_inv
.LBB109_196:
	s_and_b32 vcc_lo, exec_lo, s5
	s_cbranch_vccz .LBB109_198
; %bb.197:
	s_lshl_b64 s[4:5], s[6:7], 2
	v_mov_b32_e32 v1, 0
	s_add_u32 s4, s10, s4
	s_addc_u32 s5, s11, s5
	global_load_dword v1, v1, s[4:5]
	s_waitcnt vmcnt(0)
	v_cmp_ne_u32_e32 vcc_lo, 0, v1
	s_cbranch_vccz .LBB109_199
.LBB109_198:
	s_endpgm
.LBB109_199:
	v_lshl_add_u32 v101, v0, 3, 0x170
	s_mov_b32 s4, exec_lo
	v_cmpx_eq_u32_e32 45, v0
	s_cbranch_execz .LBB109_201
; %bb.200:
	s_clause 0x1
	buffer_load_dword v1, off, s[0:3], 0 offset:352
	buffer_load_dword v2, off, s[0:3], 0 offset:356
	v_mov_b32_e32 v3, 0
	buffer_store_dword v3, off, s[0:3], 0 offset:352
	buffer_store_dword v3, off, s[0:3], 0 offset:356
	s_waitcnt vmcnt(0)
	ds_write_b64 v101, v[1:2]
.LBB109_201:
	s_or_b32 exec_lo, exec_lo, s4
	s_waitcnt lgkmcnt(0)
	s_waitcnt_vscnt null, 0x0
	s_barrier
	buffer_gl0_inv
	s_clause 0x3
	buffer_load_dword v4, off, s[0:3], 0 offset:364
	buffer_load_dword v5, off, s[0:3], 0 offset:360
	;; [unrolled: 1-line block ×4, first 2 shown]
	v_mov_b32_e32 v1, 0
	s_mov_b32 s4, exec_lo
	ds_read_b64 v[2:3], v1 offset:728
	s_waitcnt vmcnt(3) lgkmcnt(0)
	v_mul_f32_e32 v8, v3, v4
	v_mul_f32_e32 v4, v2, v4
	s_waitcnt vmcnt(2)
	v_fma_f32 v2, v2, v5, -v8
	v_fmac_f32_e32 v4, v3, v5
	v_add_f32_e32 v2, 0, v2
	v_add_f32_e32 v3, 0, v4
	s_waitcnt vmcnt(1)
	v_sub_f32_e32 v2, v6, v2
	s_waitcnt vmcnt(0)
	v_sub_f32_e32 v3, v7, v3
	buffer_store_dword v2, off, s[0:3], 0 offset:352
	buffer_store_dword v3, off, s[0:3], 0 offset:356
	v_cmpx_lt_u32_e32 43, v0
	s_cbranch_execz .LBB109_203
; %bb.202:
	s_clause 0x1
	buffer_load_dword v2, off, s[0:3], 0 offset:344
	buffer_load_dword v3, off, s[0:3], 0 offset:348
	buffer_store_dword v1, off, s[0:3], 0 offset:344
	buffer_store_dword v1, off, s[0:3], 0 offset:348
	s_waitcnt vmcnt(0)
	ds_write_b64 v101, v[2:3]
.LBB109_203:
	s_or_b32 exec_lo, exec_lo, s4
	s_waitcnt lgkmcnt(0)
	s_waitcnt_vscnt null, 0x0
	s_barrier
	buffer_gl0_inv
	s_clause 0x5
	buffer_load_dword v5, off, s[0:3], 0 offset:356
	buffer_load_dword v6, off, s[0:3], 0 offset:364
	;; [unrolled: 1-line block ×6, first 2 shown]
	ds_read_b128 v[1:4], v1 offset:720
	s_mov_b32 s4, exec_lo
	s_waitcnt vmcnt(5) lgkmcnt(0)
	v_mul_f32_e32 v104, v2, v5
	v_mul_f32_e32 v5, v1, v5
	s_waitcnt vmcnt(4)
	v_mul_f32_e32 v105, v3, v6
	v_mul_f32_e32 v6, v4, v6
	s_waitcnt vmcnt(3)
	v_fma_f32 v1, v1, v7, -v104
	v_fmac_f32_e32 v5, v2, v7
	s_waitcnt vmcnt(2)
	v_fmac_f32_e32 v105, v4, v8
	v_fma_f32 v2, v3, v8, -v6
	v_add_f32_e32 v1, 0, v1
	v_add_f32_e32 v3, 0, v5
	;; [unrolled: 1-line block ×4, first 2 shown]
	s_waitcnt vmcnt(1)
	v_sub_f32_e32 v1, v102, v1
	s_waitcnt vmcnt(0)
	v_sub_f32_e32 v2, v103, v2
	buffer_store_dword v1, off, s[0:3], 0 offset:344
	buffer_store_dword v2, off, s[0:3], 0 offset:348
	v_cmpx_lt_u32_e32 42, v0
	s_cbranch_execz .LBB109_205
; %bb.204:
	s_clause 0x1
	buffer_load_dword v1, off, s[0:3], 0 offset:336
	buffer_load_dword v2, off, s[0:3], 0 offset:340
	v_mov_b32_e32 v3, 0
	buffer_store_dword v3, off, s[0:3], 0 offset:336
	buffer_store_dword v3, off, s[0:3], 0 offset:340
	s_waitcnt vmcnt(0)
	ds_write_b64 v101, v[1:2]
.LBB109_205:
	s_or_b32 exec_lo, exec_lo, s4
	s_waitcnt lgkmcnt(0)
	s_waitcnt_vscnt null, 0x0
	s_barrier
	buffer_gl0_inv
	s_clause 0x7
	buffer_load_dword v8, off, s[0:3], 0 offset:348
	buffer_load_dword v102, off, s[0:3], 0 offset:356
	;; [unrolled: 1-line block ×8, first 2 shown]
	v_mov_b32_e32 v1, 0
	ds_read2_b64 v[2:5], v1 offset0:89 offset1:90
	ds_read_b64 v[6:7], v1 offset:728
	s_mov_b32 s4, exec_lo
	s_waitcnt vmcnt(7) lgkmcnt(1)
	v_mul_f32_e32 v109, v3, v8
	v_mul_f32_e32 v8, v2, v8
	s_waitcnt vmcnt(6)
	v_mul_f32_e32 v110, v4, v102
	v_mul_f32_e32 v102, v5, v102
	s_waitcnt vmcnt(5) lgkmcnt(0)
	v_mul_f32_e32 v111, v6, v103
	s_waitcnt vmcnt(4)
	v_fma_f32 v2, v2, v104, -v109
	v_fmac_f32_e32 v8, v3, v104
	v_mul_f32_e32 v3, v7, v103
	s_waitcnt vmcnt(3)
	v_fma_f32 v4, v4, v105, -v102
	v_fmac_f32_e32 v110, v5, v105
	v_add_f32_e32 v2, 0, v2
	v_add_f32_e32 v5, 0, v8
	s_waitcnt vmcnt(2)
	v_fma_f32 v3, v6, v106, -v3
	v_fmac_f32_e32 v111, v7, v106
	v_add_f32_e32 v2, v2, v4
	v_add_f32_e32 v4, v5, v110
	;; [unrolled: 1-line block ×4, first 2 shown]
	s_waitcnt vmcnt(1)
	v_sub_f32_e32 v2, v107, v2
	s_waitcnt vmcnt(0)
	v_sub_f32_e32 v3, v108, v3
	buffer_store_dword v2, off, s[0:3], 0 offset:336
	buffer_store_dword v3, off, s[0:3], 0 offset:340
	v_cmpx_lt_u32_e32 41, v0
	s_cbranch_execz .LBB109_207
; %bb.206:
	s_clause 0x1
	buffer_load_dword v2, off, s[0:3], 0 offset:328
	buffer_load_dword v3, off, s[0:3], 0 offset:332
	buffer_store_dword v1, off, s[0:3], 0 offset:328
	buffer_store_dword v1, off, s[0:3], 0 offset:332
	s_waitcnt vmcnt(0)
	ds_write_b64 v101, v[2:3]
.LBB109_207:
	s_or_b32 exec_lo, exec_lo, s4
	s_waitcnt lgkmcnt(0)
	s_waitcnt_vscnt null, 0x0
	s_barrier
	buffer_gl0_inv
	s_clause 0x9
	buffer_load_dword v6, off, s[0:3], 0 offset:340
	buffer_load_dword v7, off, s[0:3], 0 offset:348
	buffer_load_dword v8, off, s[0:3], 0 offset:356
	buffer_load_dword v106, off, s[0:3], 0 offset:364
	buffer_load_dword v107, off, s[0:3], 0 offset:336
	buffer_load_dword v108, off, s[0:3], 0 offset:344
	buffer_load_dword v109, off, s[0:3], 0 offset:352
	buffer_load_dword v110, off, s[0:3], 0 offset:360
	buffer_load_dword v111, off, s[0:3], 0 offset:328
	buffer_load_dword v112, off, s[0:3], 0 offset:332
	ds_read_b128 v[2:5], v1 offset:704
	ds_read_b128 v[102:105], v1 offset:720
	s_mov_b32 s4, exec_lo
	s_waitcnt vmcnt(9) lgkmcnt(1)
	v_mul_f32_e32 v1, v2, v6
	v_mul_f32_e32 v6, v3, v6
	s_waitcnt vmcnt(8)
	v_mul_f32_e32 v113, v4, v7
	v_mul_f32_e32 v7, v5, v7
	s_waitcnt vmcnt(7) lgkmcnt(0)
	v_mul_f32_e32 v114, v102, v8
	s_waitcnt vmcnt(5)
	v_fmac_f32_e32 v1, v3, v107
	v_fma_f32 v2, v2, v107, -v6
	v_mul_f32_e32 v3, v103, v8
	s_waitcnt vmcnt(4)
	v_fma_f32 v4, v4, v108, -v7
	v_fmac_f32_e32 v113, v5, v108
	v_add_f32_e32 v1, 0, v1
	v_add_f32_e32 v2, 0, v2
	v_mul_f32_e32 v5, v105, v106
	s_waitcnt vmcnt(3)
	v_fma_f32 v3, v102, v109, -v3
	v_mul_f32_e32 v115, v104, v106
	v_fmac_f32_e32 v114, v103, v109
	v_add_f32_e32 v2, v2, v4
	v_add_f32_e32 v1, v1, v113
	s_waitcnt vmcnt(2)
	v_fma_f32 v4, v104, v110, -v5
	v_fmac_f32_e32 v115, v105, v110
	v_add_f32_e32 v2, v2, v3
	v_add_f32_e32 v1, v1, v114
	;; [unrolled: 1-line block ×4, first 2 shown]
	s_waitcnt vmcnt(1)
	v_sub_f32_e32 v2, v111, v2
	s_waitcnt vmcnt(0)
	v_sub_f32_e32 v1, v112, v1
	buffer_store_dword v2, off, s[0:3], 0 offset:328
	buffer_store_dword v1, off, s[0:3], 0 offset:332
	v_cmpx_lt_u32_e32 40, v0
	s_cbranch_execz .LBB109_209
; %bb.208:
	s_clause 0x1
	buffer_load_dword v1, off, s[0:3], 0 offset:320
	buffer_load_dword v2, off, s[0:3], 0 offset:324
	v_mov_b32_e32 v3, 0
	buffer_store_dword v3, off, s[0:3], 0 offset:320
	buffer_store_dword v3, off, s[0:3], 0 offset:324
	s_waitcnt vmcnt(0)
	ds_write_b64 v101, v[1:2]
.LBB109_209:
	s_or_b32 exec_lo, exec_lo, s4
	s_waitcnt lgkmcnt(0)
	s_waitcnt_vscnt null, 0x0
	s_barrier
	buffer_gl0_inv
	s_clause 0xb
	buffer_load_dword v8, off, s[0:3], 0 offset:332
	buffer_load_dword v106, off, s[0:3], 0 offset:340
	;; [unrolled: 1-line block ×12, first 2 shown]
	v_mov_b32_e32 v1, 0
	ds_read2_b64 v[2:5], v1 offset0:87 offset1:88
	ds_read2_b64 v[102:105], v1 offset0:89 offset1:90
	ds_read_b64 v[6:7], v1 offset:728
	s_mov_b32 s4, exec_lo
	s_waitcnt vmcnt(11) lgkmcnt(2)
	v_mul_f32_e32 v117, v2, v8
	v_mul_f32_e32 v8, v3, v8
	s_waitcnt vmcnt(10)
	v_mul_f32_e32 v118, v4, v106
	v_mul_f32_e32 v106, v5, v106
	s_waitcnt vmcnt(9) lgkmcnt(1)
	v_mul_f32_e32 v119, v102, v107
	s_waitcnt vmcnt(6)
	v_fmac_f32_e32 v117, v3, v110
	v_fma_f32 v2, v2, v110, -v8
	v_mul_f32_e32 v3, v103, v107
	s_waitcnt vmcnt(5)
	v_fma_f32 v4, v4, v111, -v106
	v_fmac_f32_e32 v118, v5, v111
	v_add_f32_e32 v5, 0, v117
	v_add_f32_e32 v2, 0, v2
	v_mul_f32_e32 v8, v105, v108
	s_waitcnt vmcnt(4)
	v_fma_f32 v3, v102, v112, -v3
	v_mul_f32_e32 v120, v104, v108
	v_fmac_f32_e32 v119, v103, v112
	v_add_f32_e32 v2, v2, v4
	v_add_f32_e32 v4, v5, v118
	s_waitcnt lgkmcnt(0)
	v_mul_f32_e32 v5, v7, v109
	s_waitcnt vmcnt(3)
	v_fma_f32 v8, v104, v113, -v8
	v_mul_f32_e32 v121, v6, v109
	v_add_f32_e32 v2, v2, v3
	v_fmac_f32_e32 v120, v105, v113
	v_add_f32_e32 v3, v4, v119
	s_waitcnt vmcnt(2)
	v_fma_f32 v4, v6, v114, -v5
	v_fmac_f32_e32 v121, v7, v114
	v_add_f32_e32 v2, v2, v8
	v_add_f32_e32 v3, v3, v120
	;; [unrolled: 1-line block ×4, first 2 shown]
	s_waitcnt vmcnt(1)
	v_sub_f32_e32 v2, v115, v2
	s_waitcnt vmcnt(0)
	v_sub_f32_e32 v3, v116, v3
	buffer_store_dword v2, off, s[0:3], 0 offset:320
	buffer_store_dword v3, off, s[0:3], 0 offset:324
	v_cmpx_lt_u32_e32 39, v0
	s_cbranch_execz .LBB109_211
; %bb.210:
	s_clause 0x1
	buffer_load_dword v2, off, s[0:3], 0 offset:312
	buffer_load_dword v3, off, s[0:3], 0 offset:316
	buffer_store_dword v1, off, s[0:3], 0 offset:312
	buffer_store_dword v1, off, s[0:3], 0 offset:316
	s_waitcnt vmcnt(0)
	ds_write_b64 v101, v[2:3]
.LBB109_211:
	s_or_b32 exec_lo, exec_lo, s4
	s_waitcnt lgkmcnt(0)
	s_waitcnt_vscnt null, 0x0
	s_barrier
	buffer_gl0_inv
	s_clause 0xd
	buffer_load_dword v6, off, s[0:3], 0 offset:324
	buffer_load_dword v7, off, s[0:3], 0 offset:332
	;; [unrolled: 1-line block ×14, first 2 shown]
	ds_read_b128 v[2:5], v1 offset:688
	ds_read_b128 v[102:105], v1 offset:704
	;; [unrolled: 1-line block ×3, first 2 shown]
	s_mov_b32 s4, exec_lo
	s_waitcnt vmcnt(13) lgkmcnt(2)
	v_mul_f32_e32 v1, v2, v6
	v_mul_f32_e32 v6, v3, v6
	s_waitcnt vmcnt(12)
	v_mul_f32_e32 v121, v4, v7
	v_mul_f32_e32 v7, v5, v7
	s_waitcnt vmcnt(11) lgkmcnt(1)
	v_mul_f32_e32 v122, v102, v8
	s_waitcnt vmcnt(10)
	v_mul_f32_e32 v123, v104, v110
	s_waitcnt vmcnt(7)
	v_fma_f32 v2, v2, v113, -v6
	v_fmac_f32_e32 v1, v3, v113
	v_mul_f32_e32 v3, v103, v8
	s_waitcnt vmcnt(6)
	v_fma_f32 v4, v4, v114, -v7
	v_fmac_f32_e32 v121, v5, v114
	v_add_f32_e32 v2, 0, v2
	v_add_f32_e32 v1, 0, v1
	v_mul_f32_e32 v5, v105, v110
	s_waitcnt vmcnt(5)
	v_fma_f32 v3, v102, v115, -v3
	v_fmac_f32_e32 v122, v103, v115
	v_add_f32_e32 v2, v2, v4
	v_add_f32_e32 v1, v1, v121
	s_waitcnt lgkmcnt(0)
	v_mul_f32_e32 v4, v107, v111
	s_waitcnt vmcnt(4)
	v_fma_f32 v5, v104, v116, -v5
	v_mul_f32_e32 v124, v106, v111
	v_add_f32_e32 v2, v2, v3
	v_fmac_f32_e32 v123, v105, v116
	v_add_f32_e32 v1, v1, v122
	v_mul_f32_e32 v3, v109, v112
	s_waitcnt vmcnt(3)
	v_fma_f32 v4, v106, v117, -v4
	v_add_f32_e32 v2, v2, v5
	v_mul_f32_e32 v125, v108, v112
	v_fmac_f32_e32 v124, v107, v117
	v_add_f32_e32 v1, v1, v123
	s_waitcnt vmcnt(2)
	v_fma_f32 v3, v108, v118, -v3
	v_add_f32_e32 v2, v2, v4
	v_fmac_f32_e32 v125, v109, v118
	v_add_f32_e32 v1, v1, v124
	v_add_f32_e32 v2, v2, v3
	;; [unrolled: 1-line block ×3, first 2 shown]
	s_waitcnt vmcnt(1)
	v_sub_f32_e32 v2, v119, v2
	s_waitcnt vmcnt(0)
	v_sub_f32_e32 v1, v120, v1
	buffer_store_dword v2, off, s[0:3], 0 offset:312
	buffer_store_dword v1, off, s[0:3], 0 offset:316
	v_cmpx_lt_u32_e32 38, v0
	s_cbranch_execz .LBB109_213
; %bb.212:
	s_clause 0x1
	buffer_load_dword v1, off, s[0:3], 0 offset:304
	buffer_load_dword v2, off, s[0:3], 0 offset:308
	v_mov_b32_e32 v3, 0
	buffer_store_dword v3, off, s[0:3], 0 offset:304
	buffer_store_dword v3, off, s[0:3], 0 offset:308
	s_waitcnt vmcnt(0)
	ds_write_b64 v101, v[1:2]
.LBB109_213:
	s_or_b32 exec_lo, exec_lo, s4
	s_waitcnt lgkmcnt(0)
	s_waitcnt_vscnt null, 0x0
	s_barrier
	buffer_gl0_inv
	s_clause 0xf
	buffer_load_dword v8, off, s[0:3], 0 offset:316
	buffer_load_dword v110, off, s[0:3], 0 offset:324
	buffer_load_dword v111, off, s[0:3], 0 offset:332
	buffer_load_dword v112, off, s[0:3], 0 offset:340
	buffer_load_dword v113, off, s[0:3], 0 offset:348
	buffer_load_dword v114, off, s[0:3], 0 offset:356
	buffer_load_dword v115, off, s[0:3], 0 offset:364
	buffer_load_dword v116, off, s[0:3], 0 offset:312
	buffer_load_dword v117, off, s[0:3], 0 offset:320
	buffer_load_dword v118, off, s[0:3], 0 offset:328
	buffer_load_dword v119, off, s[0:3], 0 offset:336
	buffer_load_dword v120, off, s[0:3], 0 offset:344
	buffer_load_dword v121, off, s[0:3], 0 offset:352
	buffer_load_dword v122, off, s[0:3], 0 offset:360
	buffer_load_dword v123, off, s[0:3], 0 offset:304
	buffer_load_dword v124, off, s[0:3], 0 offset:308
	v_mov_b32_e32 v1, 0
	ds_read2_b64 v[2:5], v1 offset0:85 offset1:86
	ds_read2_b64 v[102:105], v1 offset0:87 offset1:88
	ds_read2_b64 v[106:109], v1 offset0:89 offset1:90
	ds_read_b64 v[6:7], v1 offset:728
	s_mov_b32 s4, exec_lo
	s_waitcnt vmcnt(15) lgkmcnt(3)
	v_mul_f32_e32 v125, v2, v8
	v_mul_f32_e32 v8, v3, v8
	s_waitcnt vmcnt(14)
	v_mul_f32_e32 v126, v4, v110
	v_mul_f32_e32 v110, v5, v110
	s_waitcnt vmcnt(13) lgkmcnt(2)
	v_mul_f32_e32 v127, v102, v111
	s_waitcnt vmcnt(12)
	v_mul_f32_e32 v128, v104, v112
	s_waitcnt vmcnt(11) lgkmcnt(1)
	v_mul_f32_e32 v129, v106, v113
	s_waitcnt vmcnt(8)
	v_fma_f32 v2, v2, v116, -v8
	v_fmac_f32_e32 v125, v3, v116
	v_mul_f32_e32 v3, v103, v111
	s_waitcnt vmcnt(7)
	v_fma_f32 v4, v4, v117, -v110
	v_fmac_f32_e32 v126, v5, v117
	v_add_f32_e32 v2, 0, v2
	v_add_f32_e32 v5, 0, v125
	v_mul_f32_e32 v8, v105, v112
	s_waitcnt vmcnt(6)
	v_fma_f32 v3, v102, v118, -v3
	v_fmac_f32_e32 v127, v103, v118
	v_add_f32_e32 v2, v2, v4
	v_add_f32_e32 v4, v5, v126
	v_mul_f32_e32 v5, v107, v113
	s_waitcnt vmcnt(5)
	v_fma_f32 v8, v104, v119, -v8
	v_fmac_f32_e32 v128, v105, v119
	v_add_f32_e32 v2, v2, v3
	v_add_f32_e32 v3, v4, v127
	v_mul_f32_e32 v4, v109, v114
	s_waitcnt vmcnt(4)
	v_fma_f32 v5, v106, v120, -v5
	v_mul_f32_e32 v130, v108, v114
	v_add_f32_e32 v2, v2, v8
	v_fmac_f32_e32 v129, v107, v120
	v_add_f32_e32 v3, v3, v128
	s_waitcnt lgkmcnt(0)
	v_mul_f32_e32 v8, v7, v115
	s_waitcnt vmcnt(3)
	v_fma_f32 v4, v108, v121, -v4
	v_add_f32_e32 v2, v2, v5
	v_mul_f32_e32 v131, v6, v115
	v_fmac_f32_e32 v130, v109, v121
	v_add_f32_e32 v3, v3, v129
	s_waitcnt vmcnt(2)
	v_fma_f32 v5, v6, v122, -v8
	v_add_f32_e32 v2, v2, v4
	v_fmac_f32_e32 v131, v7, v122
	v_add_f32_e32 v3, v3, v130
	v_add_f32_e32 v2, v2, v5
	;; [unrolled: 1-line block ×3, first 2 shown]
	s_waitcnt vmcnt(1)
	v_sub_f32_e32 v2, v123, v2
	s_waitcnt vmcnt(0)
	v_sub_f32_e32 v3, v124, v3
	buffer_store_dword v2, off, s[0:3], 0 offset:304
	buffer_store_dword v3, off, s[0:3], 0 offset:308
	v_cmpx_lt_u32_e32 37, v0
	s_cbranch_execz .LBB109_215
; %bb.214:
	s_clause 0x1
	buffer_load_dword v2, off, s[0:3], 0 offset:296
	buffer_load_dword v3, off, s[0:3], 0 offset:300
	buffer_store_dword v1, off, s[0:3], 0 offset:296
	buffer_store_dword v1, off, s[0:3], 0 offset:300
	s_waitcnt vmcnt(0)
	ds_write_b64 v101, v[2:3]
.LBB109_215:
	s_or_b32 exec_lo, exec_lo, s4
	s_waitcnt lgkmcnt(0)
	s_waitcnt_vscnt null, 0x0
	s_barrier
	buffer_gl0_inv
	s_clause 0x11
	buffer_load_dword v6, off, s[0:3], 0 offset:308
	buffer_load_dword v7, off, s[0:3], 0 offset:316
	;; [unrolled: 1-line block ×18, first 2 shown]
	ds_read_b128 v[2:5], v1 offset:672
	ds_read_b128 v[102:105], v1 offset:688
	;; [unrolled: 1-line block ×4, first 2 shown]
	s_mov_b32 s4, exec_lo
	s_waitcnt vmcnt(17) lgkmcnt(3)
	v_mul_f32_e32 v1, v2, v6
	v_mul_f32_e32 v6, v3, v6
	s_waitcnt vmcnt(16)
	v_mul_f32_e32 v129, v4, v7
	v_mul_f32_e32 v7, v5, v7
	s_waitcnt vmcnt(15) lgkmcnt(2)
	v_mul_f32_e32 v130, v102, v8
	s_waitcnt vmcnt(14)
	v_mul_f32_e32 v131, v104, v114
	s_waitcnt vmcnt(13) lgkmcnt(1)
	v_mul_f32_e32 v132, v106, v115
	s_waitcnt vmcnt(12)
	v_mul_f32_e32 v133, v108, v116
	s_waitcnt vmcnt(9)
	v_fma_f32 v2, v2, v119, -v6
	v_fmac_f32_e32 v1, v3, v119
	v_mul_f32_e32 v3, v103, v8
	s_waitcnt vmcnt(8)
	v_fma_f32 v4, v4, v120, -v7
	v_fmac_f32_e32 v129, v5, v120
	v_add_f32_e32 v2, 0, v2
	v_add_f32_e32 v1, 0, v1
	v_mul_f32_e32 v5, v105, v114
	s_waitcnt vmcnt(7)
	v_fma_f32 v3, v102, v121, -v3
	v_fmac_f32_e32 v130, v103, v121
	v_add_f32_e32 v2, v2, v4
	v_add_f32_e32 v1, v1, v129
	;; [unrolled: 6-line block ×4, first 2 shown]
	s_waitcnt lgkmcnt(0)
	v_mul_f32_e32 v5, v111, v117
	s_waitcnt vmcnt(4)
	v_fma_f32 v3, v108, v124, -v3
	v_mul_f32_e32 v134, v110, v117
	v_add_f32_e32 v2, v2, v4
	v_fmac_f32_e32 v133, v109, v124
	v_add_f32_e32 v1, v1, v132
	v_mul_f32_e32 v4, v113, v118
	s_waitcnt vmcnt(3)
	v_fma_f32 v5, v110, v125, -v5
	v_add_f32_e32 v2, v2, v3
	v_mul_f32_e32 v135, v112, v118
	v_fmac_f32_e32 v134, v111, v125
	v_add_f32_e32 v1, v1, v133
	s_waitcnt vmcnt(2)
	v_fma_f32 v3, v112, v126, -v4
	v_add_f32_e32 v2, v2, v5
	v_fmac_f32_e32 v135, v113, v126
	v_add_f32_e32 v1, v1, v134
	v_add_f32_e32 v2, v2, v3
	;; [unrolled: 1-line block ×3, first 2 shown]
	s_waitcnt vmcnt(1)
	v_sub_f32_e32 v2, v127, v2
	s_waitcnt vmcnt(0)
	v_sub_f32_e32 v1, v128, v1
	buffer_store_dword v2, off, s[0:3], 0 offset:296
	buffer_store_dword v1, off, s[0:3], 0 offset:300
	v_cmpx_lt_u32_e32 36, v0
	s_cbranch_execz .LBB109_217
; %bb.216:
	s_clause 0x1
	buffer_load_dword v1, off, s[0:3], 0 offset:288
	buffer_load_dword v2, off, s[0:3], 0 offset:292
	v_mov_b32_e32 v3, 0
	buffer_store_dword v3, off, s[0:3], 0 offset:288
	buffer_store_dword v3, off, s[0:3], 0 offset:292
	s_waitcnt vmcnt(0)
	ds_write_b64 v101, v[1:2]
.LBB109_217:
	s_or_b32 exec_lo, exec_lo, s4
	s_waitcnt lgkmcnt(0)
	s_waitcnt_vscnt null, 0x0
	s_barrier
	buffer_gl0_inv
	s_clause 0x13
	buffer_load_dword v8, off, s[0:3], 0 offset:300
	buffer_load_dword v114, off, s[0:3], 0 offset:308
	;; [unrolled: 1-line block ×20, first 2 shown]
	v_mov_b32_e32 v1, 0
	ds_read2_b64 v[2:5], v1 offset0:83 offset1:84
	ds_read2_b64 v[102:105], v1 offset0:85 offset1:86
	ds_read2_b64 v[106:109], v1 offset0:87 offset1:88
	ds_read2_b64 v[110:113], v1 offset0:89 offset1:90
	ds_read_b64 v[6:7], v1 offset:728
	s_mov_b32 s4, exec_lo
	s_waitcnt vmcnt(19) lgkmcnt(4)
	v_mul_f32_e32 v133, v2, v8
	v_mul_f32_e32 v8, v3, v8
	s_waitcnt vmcnt(18)
	v_mul_f32_e32 v134, v4, v114
	v_mul_f32_e32 v114, v5, v114
	s_waitcnt vmcnt(17) lgkmcnt(3)
	v_mul_f32_e32 v135, v102, v115
	s_waitcnt vmcnt(16)
	v_mul_f32_e32 v136, v104, v116
	s_waitcnt vmcnt(15) lgkmcnt(2)
	v_mul_f32_e32 v137, v106, v117
	s_waitcnt vmcnt(14)
	;; [unrolled: 4-line block ×3, first 2 shown]
	v_fma_f32 v2, v2, v122, -v8
	v_fmac_f32_e32 v133, v3, v122
	v_mul_f32_e32 v3, v103, v115
	s_waitcnt vmcnt(9)
	v_fma_f32 v4, v4, v123, -v114
	v_fmac_f32_e32 v134, v5, v123
	v_add_f32_e32 v2, 0, v2
	v_add_f32_e32 v5, 0, v133
	v_mul_f32_e32 v8, v105, v116
	s_waitcnt vmcnt(8)
	v_fma_f32 v3, v102, v124, -v3
	v_fmac_f32_e32 v135, v103, v124
	v_add_f32_e32 v2, v2, v4
	v_add_f32_e32 v4, v5, v134
	;; [unrolled: 6-line block ×5, first 2 shown]
	v_mul_f32_e32 v5, v113, v120
	s_waitcnt vmcnt(4)
	v_fma_f32 v8, v110, v128, -v8
	v_mul_f32_e32 v140, v112, v120
	v_add_f32_e32 v2, v2, v4
	v_fmac_f32_e32 v139, v111, v128
	v_add_f32_e32 v3, v3, v138
	s_waitcnt lgkmcnt(0)
	v_mul_f32_e32 v4, v7, v121
	s_waitcnt vmcnt(3)
	v_fma_f32 v5, v112, v129, -v5
	v_add_f32_e32 v2, v2, v8
	v_mul_f32_e32 v141, v6, v121
	v_fmac_f32_e32 v140, v113, v129
	v_add_f32_e32 v3, v3, v139
	s_waitcnt vmcnt(2)
	v_fma_f32 v4, v6, v130, -v4
	v_add_f32_e32 v2, v2, v5
	v_fmac_f32_e32 v141, v7, v130
	v_add_f32_e32 v3, v3, v140
	v_add_f32_e32 v2, v2, v4
	;; [unrolled: 1-line block ×3, first 2 shown]
	s_waitcnt vmcnt(1)
	v_sub_f32_e32 v2, v131, v2
	s_waitcnt vmcnt(0)
	v_sub_f32_e32 v3, v132, v3
	buffer_store_dword v2, off, s[0:3], 0 offset:288
	buffer_store_dword v3, off, s[0:3], 0 offset:292
	v_cmpx_lt_u32_e32 35, v0
	s_cbranch_execz .LBB109_219
; %bb.218:
	s_clause 0x1
	buffer_load_dword v2, off, s[0:3], 0 offset:280
	buffer_load_dword v3, off, s[0:3], 0 offset:284
	buffer_store_dword v1, off, s[0:3], 0 offset:280
	buffer_store_dword v1, off, s[0:3], 0 offset:284
	s_waitcnt vmcnt(0)
	ds_write_b64 v101, v[2:3]
.LBB109_219:
	s_or_b32 exec_lo, exec_lo, s4
	s_waitcnt lgkmcnt(0)
	s_waitcnt_vscnt null, 0x0
	s_barrier
	buffer_gl0_inv
	s_clause 0x15
	buffer_load_dword v6, off, s[0:3], 0 offset:292
	buffer_load_dword v7, off, s[0:3], 0 offset:300
	;; [unrolled: 1-line block ×22, first 2 shown]
	ds_read_b128 v[2:5], v1 offset:656
	ds_read_b128 v[102:105], v1 offset:672
	;; [unrolled: 1-line block ×5, first 2 shown]
	s_mov_b32 s4, exec_lo
	s_waitcnt vmcnt(21) lgkmcnt(4)
	v_mul_f32_e32 v1, v2, v6
	v_mul_f32_e32 v6, v3, v6
	s_waitcnt vmcnt(20)
	v_mul_f32_e32 v137, v4, v7
	v_mul_f32_e32 v7, v5, v7
	s_waitcnt vmcnt(19) lgkmcnt(3)
	v_mul_f32_e32 v138, v102, v8
	s_waitcnt vmcnt(18)
	v_mul_f32_e32 v139, v104, v118
	s_waitcnt vmcnt(17) lgkmcnt(2)
	v_mul_f32_e32 v140, v106, v119
	s_waitcnt vmcnt(16)
	;; [unrolled: 4-line block ×3, first 2 shown]
	v_mul_f32_e32 v143, v112, v122
	s_waitcnt vmcnt(11)
	v_fma_f32 v2, v2, v125, -v6
	v_fmac_f32_e32 v1, v3, v125
	v_mul_f32_e32 v3, v103, v8
	s_waitcnt vmcnt(10)
	v_fma_f32 v4, v4, v126, -v7
	v_fmac_f32_e32 v137, v5, v126
	v_add_f32_e32 v2, 0, v2
	v_add_f32_e32 v1, 0, v1
	v_mul_f32_e32 v5, v105, v118
	s_waitcnt vmcnt(9)
	v_fma_f32 v3, v102, v127, -v3
	v_fmac_f32_e32 v138, v103, v127
	v_add_f32_e32 v2, v2, v4
	v_add_f32_e32 v1, v1, v137
	;; [unrolled: 6-line block ×6, first 2 shown]
	s_waitcnt lgkmcnt(0)
	v_mul_f32_e32 v3, v115, v123
	s_waitcnt vmcnt(4)
	v_fma_f32 v4, v112, v132, -v4
	v_mul_f32_e32 v144, v114, v123
	v_add_f32_e32 v2, v2, v5
	v_fmac_f32_e32 v143, v113, v132
	v_add_f32_e32 v1, v1, v142
	v_mul_f32_e32 v5, v117, v124
	s_waitcnt vmcnt(3)
	v_fma_f32 v3, v114, v133, -v3
	v_add_f32_e32 v2, v2, v4
	v_mul_f32_e32 v145, v116, v124
	v_fmac_f32_e32 v144, v115, v133
	v_add_f32_e32 v1, v1, v143
	s_waitcnt vmcnt(2)
	v_fma_f32 v4, v116, v134, -v5
	v_add_f32_e32 v2, v2, v3
	v_fmac_f32_e32 v145, v117, v134
	v_add_f32_e32 v1, v1, v144
	v_add_f32_e32 v2, v2, v4
	;; [unrolled: 1-line block ×3, first 2 shown]
	s_waitcnt vmcnt(1)
	v_sub_f32_e32 v2, v135, v2
	s_waitcnt vmcnt(0)
	v_sub_f32_e32 v1, v136, v1
	buffer_store_dword v2, off, s[0:3], 0 offset:280
	buffer_store_dword v1, off, s[0:3], 0 offset:284
	v_cmpx_lt_u32_e32 34, v0
	s_cbranch_execz .LBB109_221
; %bb.220:
	s_clause 0x1
	buffer_load_dword v1, off, s[0:3], 0 offset:272
	buffer_load_dword v2, off, s[0:3], 0 offset:276
	v_mov_b32_e32 v3, 0
	buffer_store_dword v3, off, s[0:3], 0 offset:272
	buffer_store_dword v3, off, s[0:3], 0 offset:276
	s_waitcnt vmcnt(0)
	ds_write_b64 v101, v[1:2]
.LBB109_221:
	s_or_b32 exec_lo, exec_lo, s4
	s_waitcnt lgkmcnt(0)
	s_waitcnt_vscnt null, 0x0
	s_barrier
	buffer_gl0_inv
	s_clause 0x17
	buffer_load_dword v8, off, s[0:3], 0 offset:284
	buffer_load_dword v118, off, s[0:3], 0 offset:292
	;; [unrolled: 1-line block ×24, first 2 shown]
	v_mov_b32_e32 v1, 0
	ds_read2_b64 v[2:5], v1 offset0:81 offset1:82
	ds_read2_b64 v[102:105], v1 offset0:83 offset1:84
	;; [unrolled: 1-line block ×5, first 2 shown]
	ds_read_b64 v[6:7], v1 offset:728
	s_mov_b32 s4, exec_lo
	s_waitcnt vmcnt(23) lgkmcnt(5)
	v_mul_f32_e32 v141, v2, v8
	v_mul_f32_e32 v8, v3, v8
	s_waitcnt vmcnt(22)
	v_mul_f32_e32 v142, v4, v118
	v_mul_f32_e32 v118, v5, v118
	s_waitcnt vmcnt(21) lgkmcnt(4)
	v_mul_f32_e32 v143, v102, v119
	s_waitcnt vmcnt(20)
	v_mul_f32_e32 v144, v104, v120
	s_waitcnt vmcnt(19) lgkmcnt(3)
	v_mul_f32_e32 v145, v106, v121
	s_waitcnt vmcnt(18)
	v_mul_f32_e32 v146, v108, v122
	s_waitcnt vmcnt(17) lgkmcnt(2)
	v_mul_f32_e32 v147, v110, v123
	s_waitcnt vmcnt(16)
	v_mul_f32_e32 v148, v112, v124
	s_waitcnt vmcnt(15) lgkmcnt(1)
	v_mul_f32_e32 v149, v114, v125
	s_waitcnt vmcnt(12)
	v_fma_f32 v2, v2, v128, -v8
	v_fmac_f32_e32 v141, v3, v128
	v_mul_f32_e32 v3, v103, v119
	s_waitcnt vmcnt(11)
	v_fma_f32 v4, v4, v129, -v118
	v_fmac_f32_e32 v142, v5, v129
	v_add_f32_e32 v2, 0, v2
	v_add_f32_e32 v5, 0, v141
	v_mul_f32_e32 v8, v105, v120
	s_waitcnt vmcnt(10)
	v_fma_f32 v3, v102, v130, -v3
	v_fmac_f32_e32 v143, v103, v130
	v_add_f32_e32 v2, v2, v4
	v_add_f32_e32 v4, v5, v142
	;; [unrolled: 6-line block ×7, first 2 shown]
	v_mul_f32_e32 v8, v117, v126
	s_waitcnt vmcnt(4)
	v_fma_f32 v4, v114, v136, -v4
	v_mul_f32_e32 v150, v116, v126
	v_add_f32_e32 v2, v2, v5
	v_fmac_f32_e32 v149, v115, v136
	v_add_f32_e32 v3, v3, v148
	s_waitcnt lgkmcnt(0)
	v_mul_f32_e32 v5, v7, v127
	s_waitcnt vmcnt(3)
	v_fma_f32 v8, v116, v137, -v8
	v_add_f32_e32 v2, v2, v4
	v_mul_f32_e32 v151, v6, v127
	v_fmac_f32_e32 v150, v117, v137
	v_add_f32_e32 v3, v3, v149
	s_waitcnt vmcnt(2)
	v_fma_f32 v4, v6, v138, -v5
	v_add_f32_e32 v2, v2, v8
	v_fmac_f32_e32 v151, v7, v138
	v_add_f32_e32 v3, v3, v150
	v_add_f32_e32 v2, v2, v4
	;; [unrolled: 1-line block ×3, first 2 shown]
	s_waitcnt vmcnt(1)
	v_sub_f32_e32 v2, v139, v2
	s_waitcnt vmcnt(0)
	v_sub_f32_e32 v3, v140, v3
	buffer_store_dword v2, off, s[0:3], 0 offset:272
	buffer_store_dword v3, off, s[0:3], 0 offset:276
	v_cmpx_lt_u32_e32 33, v0
	s_cbranch_execz .LBB109_223
; %bb.222:
	s_clause 0x1
	buffer_load_dword v2, off, s[0:3], 0 offset:264
	buffer_load_dword v3, off, s[0:3], 0 offset:268
	buffer_store_dword v1, off, s[0:3], 0 offset:264
	buffer_store_dword v1, off, s[0:3], 0 offset:268
	s_waitcnt vmcnt(0)
	ds_write_b64 v101, v[2:3]
.LBB109_223:
	s_or_b32 exec_lo, exec_lo, s4
	s_waitcnt lgkmcnt(0)
	s_waitcnt_vscnt null, 0x0
	s_barrier
	buffer_gl0_inv
	s_clause 0x19
	buffer_load_dword v6, off, s[0:3], 0 offset:276
	buffer_load_dword v7, off, s[0:3], 0 offset:284
	;; [unrolled: 1-line block ×26, first 2 shown]
	ds_read_b128 v[2:5], v1 offset:640
	ds_read_b128 v[102:105], v1 offset:656
	;; [unrolled: 1-line block ×6, first 2 shown]
	s_mov_b32 s4, exec_lo
	s_waitcnt vmcnt(25) lgkmcnt(5)
	v_mul_f32_e32 v1, v2, v6
	v_mul_f32_e32 v6, v3, v6
	s_waitcnt vmcnt(24)
	v_mul_f32_e32 v145, v4, v7
	v_mul_f32_e32 v7, v5, v7
	s_waitcnt vmcnt(23) lgkmcnt(4)
	v_mul_f32_e32 v146, v102, v8
	s_waitcnt vmcnt(22)
	v_mul_f32_e32 v147, v104, v122
	s_waitcnt vmcnt(21) lgkmcnt(3)
	v_mul_f32_e32 v148, v106, v123
	s_waitcnt vmcnt(20)
	;; [unrolled: 4-line block ×4, first 2 shown]
	v_mul_f32_e32 v153, v116, v128
	s_waitcnt vmcnt(13)
	v_fma_f32 v2, v2, v131, -v6
	v_fmac_f32_e32 v1, v3, v131
	v_mul_f32_e32 v3, v103, v8
	s_waitcnt vmcnt(12)
	v_fma_f32 v4, v4, v132, -v7
	v_fmac_f32_e32 v145, v5, v132
	v_add_f32_e32 v2, 0, v2
	v_add_f32_e32 v1, 0, v1
	v_mul_f32_e32 v5, v105, v122
	s_waitcnt vmcnt(11)
	v_fma_f32 v3, v102, v133, -v3
	v_fmac_f32_e32 v146, v103, v133
	v_add_f32_e32 v2, v2, v4
	v_add_f32_e32 v1, v1, v145
	;; [unrolled: 6-line block ×8, first 2 shown]
	s_waitcnt lgkmcnt(0)
	v_mul_f32_e32 v4, v119, v129
	s_waitcnt vmcnt(4)
	v_fma_f32 v5, v116, v140, -v5
	v_mul_f32_e32 v154, v118, v129
	v_add_f32_e32 v2, v2, v3
	v_fmac_f32_e32 v153, v117, v140
	v_add_f32_e32 v1, v1, v152
	v_mul_f32_e32 v3, v121, v130
	s_waitcnt vmcnt(3)
	v_fma_f32 v4, v118, v141, -v4
	v_add_f32_e32 v2, v2, v5
	v_mul_f32_e32 v155, v120, v130
	v_fmac_f32_e32 v154, v119, v141
	v_add_f32_e32 v1, v1, v153
	s_waitcnt vmcnt(2)
	v_fma_f32 v3, v120, v142, -v3
	v_add_f32_e32 v2, v2, v4
	v_fmac_f32_e32 v155, v121, v142
	v_add_f32_e32 v1, v1, v154
	v_add_f32_e32 v2, v2, v3
	v_add_f32_e32 v1, v1, v155
	s_waitcnt vmcnt(1)
	v_sub_f32_e32 v2, v143, v2
	s_waitcnt vmcnt(0)
	v_sub_f32_e32 v1, v144, v1
	buffer_store_dword v2, off, s[0:3], 0 offset:264
	buffer_store_dword v1, off, s[0:3], 0 offset:268
	v_cmpx_lt_u32_e32 32, v0
	s_cbranch_execz .LBB109_225
; %bb.224:
	s_clause 0x1
	buffer_load_dword v1, off, s[0:3], 0 offset:256
	buffer_load_dword v2, off, s[0:3], 0 offset:260
	v_mov_b32_e32 v3, 0
	buffer_store_dword v3, off, s[0:3], 0 offset:256
	buffer_store_dword v3, off, s[0:3], 0 offset:260
	s_waitcnt vmcnt(0)
	ds_write_b64 v101, v[1:2]
.LBB109_225:
	s_or_b32 exec_lo, exec_lo, s4
	s_waitcnt lgkmcnt(0)
	s_waitcnt_vscnt null, 0x0
	s_barrier
	buffer_gl0_inv
	s_clause 0x1b
	buffer_load_dword v8, off, s[0:3], 0 offset:268
	buffer_load_dword v122, off, s[0:3], 0 offset:276
	;; [unrolled: 1-line block ×28, first 2 shown]
	v_mov_b32_e32 v1, 0
	ds_read2_b64 v[2:5], v1 offset0:79 offset1:80
	ds_read2_b64 v[102:105], v1 offset0:81 offset1:82
	ds_read2_b64 v[106:109], v1 offset0:83 offset1:84
	ds_read2_b64 v[110:113], v1 offset0:85 offset1:86
	ds_read2_b64 v[114:117], v1 offset0:87 offset1:88
	ds_read2_b64 v[118:121], v1 offset0:89 offset1:90
	ds_read_b64 v[6:7], v1 offset:728
	s_mov_b32 s4, exec_lo
	s_waitcnt vmcnt(27) lgkmcnt(6)
	v_mul_f32_e32 v149, v2, v8
	v_mul_f32_e32 v8, v3, v8
	s_waitcnt vmcnt(26)
	v_mul_f32_e32 v150, v4, v122
	v_mul_f32_e32 v122, v5, v122
	s_waitcnt vmcnt(25) lgkmcnt(5)
	v_mul_f32_e32 v151, v102, v123
	s_waitcnt vmcnt(24)
	v_mul_f32_e32 v152, v104, v124
	s_waitcnt vmcnt(23) lgkmcnt(4)
	v_mul_f32_e32 v153, v106, v125
	s_waitcnt vmcnt(22)
	;; [unrolled: 4-line block ×5, first 2 shown]
	v_fma_f32 v2, v2, v134, -v8
	v_fmac_f32_e32 v149, v3, v134
	v_mul_f32_e32 v3, v103, v123
	s_waitcnt vmcnt(13)
	v_fma_f32 v4, v4, v135, -v122
	v_fmac_f32_e32 v150, v5, v135
	v_add_f32_e32 v2, 0, v2
	v_add_f32_e32 v5, 0, v149
	v_mul_f32_e32 v8, v105, v124
	s_waitcnt vmcnt(12)
	v_fma_f32 v3, v102, v136, -v3
	v_fmac_f32_e32 v151, v103, v136
	v_add_f32_e32 v2, v2, v4
	v_add_f32_e32 v4, v5, v150
	;; [unrolled: 6-line block ×9, first 2 shown]
	v_mul_f32_e32 v4, v121, v132
	s_waitcnt vmcnt(4)
	v_fma_f32 v5, v118, v144, -v5
	v_mul_f32_e32 v160, v120, v132
	v_add_f32_e32 v2, v2, v8
	v_fmac_f32_e32 v159, v119, v144
	v_add_f32_e32 v3, v3, v158
	s_waitcnt lgkmcnt(0)
	v_mul_f32_e32 v8, v7, v133
	s_waitcnt vmcnt(3)
	v_fma_f32 v4, v120, v145, -v4
	v_add_f32_e32 v2, v2, v5
	v_mul_f32_e32 v161, v6, v133
	v_fmac_f32_e32 v160, v121, v145
	v_add_f32_e32 v3, v3, v159
	s_waitcnt vmcnt(2)
	v_fma_f32 v5, v6, v146, -v8
	v_add_f32_e32 v2, v2, v4
	v_fmac_f32_e32 v161, v7, v146
	v_add_f32_e32 v3, v3, v160
	v_add_f32_e32 v2, v2, v5
	;; [unrolled: 1-line block ×3, first 2 shown]
	s_waitcnt vmcnt(1)
	v_sub_f32_e32 v2, v147, v2
	s_waitcnt vmcnt(0)
	v_sub_f32_e32 v3, v148, v3
	buffer_store_dword v2, off, s[0:3], 0 offset:256
	buffer_store_dword v3, off, s[0:3], 0 offset:260
	v_cmpx_lt_u32_e32 31, v0
	s_cbranch_execz .LBB109_227
; %bb.226:
	s_clause 0x1
	buffer_load_dword v2, off, s[0:3], 0 offset:248
	buffer_load_dword v3, off, s[0:3], 0 offset:252
	buffer_store_dword v1, off, s[0:3], 0 offset:248
	buffer_store_dword v1, off, s[0:3], 0 offset:252
	s_waitcnt vmcnt(0)
	ds_write_b64 v101, v[2:3]
.LBB109_227:
	s_or_b32 exec_lo, exec_lo, s4
	s_waitcnt lgkmcnt(0)
	s_waitcnt_vscnt null, 0x0
	s_barrier
	buffer_gl0_inv
	s_clause 0x1d
	buffer_load_dword v6, off, s[0:3], 0 offset:260
	buffer_load_dword v7, off, s[0:3], 0 offset:268
	;; [unrolled: 1-line block ×30, first 2 shown]
	ds_read_b128 v[2:5], v1 offset:624
	ds_read_b128 v[102:105], v1 offset:640
	;; [unrolled: 1-line block ×7, first 2 shown]
	s_mov_b32 s4, exec_lo
	s_waitcnt vmcnt(29) lgkmcnt(6)
	v_mul_f32_e32 v1, v2, v6
	v_mul_f32_e32 v6, v3, v6
	s_waitcnt vmcnt(28)
	v_mul_f32_e32 v153, v4, v7
	v_mul_f32_e32 v7, v5, v7
	s_waitcnt vmcnt(27) lgkmcnt(5)
	v_mul_f32_e32 v154, v102, v8
	s_waitcnt vmcnt(26)
	v_mul_f32_e32 v155, v104, v126
	s_waitcnt vmcnt(25) lgkmcnt(4)
	v_mul_f32_e32 v156, v106, v127
	s_waitcnt vmcnt(24)
	;; [unrolled: 4-line block ×5, first 2 shown]
	v_mul_f32_e32 v163, v120, v134
	s_waitcnt vmcnt(15)
	v_fma_f32 v2, v2, v137, -v6
	v_fmac_f32_e32 v1, v3, v137
	v_mul_f32_e32 v3, v103, v8
	s_waitcnt vmcnt(14)
	v_fma_f32 v4, v4, v138, -v7
	v_fmac_f32_e32 v153, v5, v138
	v_add_f32_e32 v2, 0, v2
	v_add_f32_e32 v1, 0, v1
	v_mul_f32_e32 v5, v105, v126
	s_waitcnt vmcnt(13)
	v_fma_f32 v3, v102, v139, -v3
	v_fmac_f32_e32 v154, v103, v139
	v_add_f32_e32 v2, v2, v4
	v_add_f32_e32 v1, v1, v153
	;; [unrolled: 6-line block ×10, first 2 shown]
	s_waitcnt lgkmcnt(0)
	v_mul_f32_e32 v5, v123, v135
	s_waitcnt vmcnt(4)
	v_fma_f32 v3, v120, v148, -v3
	v_mul_f32_e32 v164, v122, v135
	v_add_f32_e32 v2, v2, v4
	v_fmac_f32_e32 v163, v121, v148
	v_add_f32_e32 v1, v1, v162
	v_mul_f32_e32 v4, v125, v136
	s_waitcnt vmcnt(3)
	v_fma_f32 v5, v122, v149, -v5
	v_add_f32_e32 v2, v2, v3
	v_mul_f32_e32 v165, v124, v136
	v_fmac_f32_e32 v164, v123, v149
	v_add_f32_e32 v1, v1, v163
	s_waitcnt vmcnt(2)
	v_fma_f32 v3, v124, v150, -v4
	v_add_f32_e32 v2, v2, v5
	v_fmac_f32_e32 v165, v125, v150
	v_add_f32_e32 v1, v1, v164
	v_add_f32_e32 v2, v2, v3
	;; [unrolled: 1-line block ×3, first 2 shown]
	s_waitcnt vmcnt(1)
	v_sub_f32_e32 v2, v151, v2
	s_waitcnt vmcnt(0)
	v_sub_f32_e32 v1, v152, v1
	buffer_store_dword v2, off, s[0:3], 0 offset:248
	buffer_store_dword v1, off, s[0:3], 0 offset:252
	v_cmpx_lt_u32_e32 30, v0
	s_cbranch_execz .LBB109_229
; %bb.228:
	s_clause 0x1
	buffer_load_dword v1, off, s[0:3], 0 offset:240
	buffer_load_dword v2, off, s[0:3], 0 offset:244
	v_mov_b32_e32 v3, 0
	buffer_store_dword v3, off, s[0:3], 0 offset:240
	buffer_store_dword v3, off, s[0:3], 0 offset:244
	s_waitcnt vmcnt(0)
	ds_write_b64 v101, v[1:2]
.LBB109_229:
	s_or_b32 exec_lo, exec_lo, s4
	s_waitcnt lgkmcnt(0)
	s_waitcnt_vscnt null, 0x0
	s_barrier
	buffer_gl0_inv
	s_clause 0x1f
	buffer_load_dword v8, off, s[0:3], 0 offset:252
	buffer_load_dword v126, off, s[0:3], 0 offset:260
	buffer_load_dword v127, off, s[0:3], 0 offset:268
	buffer_load_dword v128, off, s[0:3], 0 offset:276
	buffer_load_dword v129, off, s[0:3], 0 offset:284
	buffer_load_dword v130, off, s[0:3], 0 offset:292
	buffer_load_dword v131, off, s[0:3], 0 offset:300
	buffer_load_dword v132, off, s[0:3], 0 offset:308
	buffer_load_dword v133, off, s[0:3], 0 offset:316
	buffer_load_dword v134, off, s[0:3], 0 offset:324
	buffer_load_dword v135, off, s[0:3], 0 offset:332
	buffer_load_dword v136, off, s[0:3], 0 offset:340
	buffer_load_dword v137, off, s[0:3], 0 offset:348
	buffer_load_dword v138, off, s[0:3], 0 offset:356
	buffer_load_dword v139, off, s[0:3], 0 offset:364
	buffer_load_dword v140, off, s[0:3], 0 offset:248
	buffer_load_dword v141, off, s[0:3], 0 offset:256
	buffer_load_dword v142, off, s[0:3], 0 offset:264
	buffer_load_dword v143, off, s[0:3], 0 offset:272
	buffer_load_dword v144, off, s[0:3], 0 offset:280
	buffer_load_dword v145, off, s[0:3], 0 offset:288
	buffer_load_dword v146, off, s[0:3], 0 offset:296
	buffer_load_dword v147, off, s[0:3], 0 offset:304
	buffer_load_dword v148, off, s[0:3], 0 offset:312
	buffer_load_dword v149, off, s[0:3], 0 offset:320
	buffer_load_dword v150, off, s[0:3], 0 offset:328
	buffer_load_dword v151, off, s[0:3], 0 offset:336
	buffer_load_dword v152, off, s[0:3], 0 offset:344
	buffer_load_dword v153, off, s[0:3], 0 offset:352
	buffer_load_dword v154, off, s[0:3], 0 offset:360
	buffer_load_dword v155, off, s[0:3], 0 offset:240
	buffer_load_dword v156, off, s[0:3], 0 offset:244
	v_mov_b32_e32 v1, 0
	ds_read2_b64 v[2:5], v1 offset0:77 offset1:78
	ds_read2_b64 v[102:105], v1 offset0:79 offset1:80
	;; [unrolled: 1-line block ×7, first 2 shown]
	ds_read_b64 v[6:7], v1 offset:728
	s_mov_b32 s4, exec_lo
	s_waitcnt vmcnt(31) lgkmcnt(7)
	v_mul_f32_e32 v157, v2, v8
	v_mul_f32_e32 v8, v3, v8
	s_waitcnt vmcnt(30)
	v_mul_f32_e32 v158, v4, v126
	v_mul_f32_e32 v126, v5, v126
	s_waitcnt vmcnt(29) lgkmcnt(6)
	v_mul_f32_e32 v159, v102, v127
	s_waitcnt vmcnt(28)
	v_mul_f32_e32 v160, v104, v128
	s_waitcnt vmcnt(27) lgkmcnt(5)
	v_mul_f32_e32 v161, v106, v129
	s_waitcnt vmcnt(26)
	;; [unrolled: 4-line block ×6, first 2 shown]
	v_fma_f32 v2, v2, v140, -v8
	v_fmac_f32_e32 v157, v3, v140
	v_mul_f32_e32 v3, v103, v127
	s_waitcnt vmcnt(15)
	v_fma_f32 v4, v4, v141, -v126
	v_fmac_f32_e32 v158, v5, v141
	v_add_f32_e32 v2, 0, v2
	v_add_f32_e32 v5, 0, v157
	v_mul_f32_e32 v8, v105, v128
	s_waitcnt vmcnt(14)
	v_fma_f32 v3, v102, v142, -v3
	v_fmac_f32_e32 v159, v103, v142
	v_add_f32_e32 v2, v2, v4
	v_add_f32_e32 v4, v5, v158
	;; [unrolled: 6-line block ×11, first 2 shown]
	v_mul_f32_e32 v5, v125, v138
	s_waitcnt vmcnt(4)
	v_fma_f32 v8, v122, v152, -v8
	v_mul_f32_e32 v170, v124, v138
	v_add_f32_e32 v2, v2, v4
	v_fmac_f32_e32 v169, v123, v152
	v_add_f32_e32 v3, v3, v168
	s_waitcnt lgkmcnt(0)
	v_mul_f32_e32 v4, v7, v139
	s_waitcnt vmcnt(3)
	v_fma_f32 v5, v124, v153, -v5
	v_add_f32_e32 v2, v2, v8
	v_mul_f32_e32 v171, v6, v139
	v_fmac_f32_e32 v170, v125, v153
	v_add_f32_e32 v3, v3, v169
	s_waitcnt vmcnt(2)
	v_fma_f32 v4, v6, v154, -v4
	v_add_f32_e32 v2, v2, v5
	v_fmac_f32_e32 v171, v7, v154
	v_add_f32_e32 v3, v3, v170
	v_add_f32_e32 v2, v2, v4
	;; [unrolled: 1-line block ×3, first 2 shown]
	s_waitcnt vmcnt(1)
	v_sub_f32_e32 v2, v155, v2
	s_waitcnt vmcnt(0)
	v_sub_f32_e32 v3, v156, v3
	buffer_store_dword v2, off, s[0:3], 0 offset:240
	buffer_store_dword v3, off, s[0:3], 0 offset:244
	v_cmpx_lt_u32_e32 29, v0
	s_cbranch_execz .LBB109_231
; %bb.230:
	s_clause 0x1
	buffer_load_dword v2, off, s[0:3], 0 offset:232
	buffer_load_dword v3, off, s[0:3], 0 offset:236
	buffer_store_dword v1, off, s[0:3], 0 offset:232
	buffer_store_dword v1, off, s[0:3], 0 offset:236
	s_waitcnt vmcnt(0)
	ds_write_b64 v101, v[2:3]
.LBB109_231:
	s_or_b32 exec_lo, exec_lo, s4
	s_waitcnt lgkmcnt(0)
	s_waitcnt_vscnt null, 0x0
	s_barrier
	buffer_gl0_inv
	s_clause 0x21
	buffer_load_dword v6, off, s[0:3], 0 offset:244
	buffer_load_dword v7, off, s[0:3], 0 offset:252
	;; [unrolled: 1-line block ×34, first 2 shown]
	ds_read_b128 v[2:5], v1 offset:608
	ds_read_b128 v[102:105], v1 offset:624
	;; [unrolled: 1-line block ×8, first 2 shown]
	s_mov_b32 s4, exec_lo
	s_waitcnt vmcnt(33) lgkmcnt(7)
	v_mul_f32_e32 v1, v2, v6
	v_mul_f32_e32 v6, v3, v6
	s_waitcnt vmcnt(32)
	v_mul_f32_e32 v161, v4, v7
	v_mul_f32_e32 v7, v5, v7
	s_waitcnt vmcnt(31) lgkmcnt(6)
	v_mul_f32_e32 v162, v102, v8
	s_waitcnt vmcnt(30)
	v_mul_f32_e32 v163, v104, v130
	s_waitcnt vmcnt(29) lgkmcnt(5)
	v_mul_f32_e32 v164, v106, v131
	s_waitcnt vmcnt(28)
	;; [unrolled: 4-line block ×6, first 2 shown]
	v_mul_f32_e32 v173, v124, v140
	s_waitcnt vmcnt(17)
	v_fma_f32 v2, v2, v143, -v6
	v_fmac_f32_e32 v1, v3, v143
	v_mul_f32_e32 v3, v103, v8
	s_waitcnt vmcnt(16)
	v_fma_f32 v4, v4, v144, -v7
	v_fmac_f32_e32 v161, v5, v144
	v_add_f32_e32 v2, 0, v2
	v_add_f32_e32 v1, 0, v1
	v_mul_f32_e32 v5, v105, v130
	s_waitcnt vmcnt(15)
	v_fma_f32 v3, v102, v145, -v3
	v_fmac_f32_e32 v162, v103, v145
	v_add_f32_e32 v2, v2, v4
	v_add_f32_e32 v1, v1, v161
	;; [unrolled: 6-line block ×12, first 2 shown]
	s_waitcnt lgkmcnt(0)
	v_mul_f32_e32 v3, v127, v141
	s_waitcnt vmcnt(4)
	v_fma_f32 v4, v124, v156, -v4
	v_mul_f32_e32 v174, v126, v141
	v_add_f32_e32 v2, v2, v5
	v_fmac_f32_e32 v173, v125, v156
	v_add_f32_e32 v1, v1, v172
	v_mul_f32_e32 v5, v129, v142
	s_waitcnt vmcnt(3)
	v_fma_f32 v3, v126, v157, -v3
	v_add_f32_e32 v2, v2, v4
	v_mul_f32_e32 v175, v128, v142
	v_fmac_f32_e32 v174, v127, v157
	v_add_f32_e32 v1, v1, v173
	s_waitcnt vmcnt(2)
	v_fma_f32 v4, v128, v158, -v5
	v_add_f32_e32 v2, v2, v3
	v_fmac_f32_e32 v175, v129, v158
	v_add_f32_e32 v1, v1, v174
	v_add_f32_e32 v2, v2, v4
	;; [unrolled: 1-line block ×3, first 2 shown]
	s_waitcnt vmcnt(1)
	v_sub_f32_e32 v2, v159, v2
	s_waitcnt vmcnt(0)
	v_sub_f32_e32 v1, v160, v1
	buffer_store_dword v2, off, s[0:3], 0 offset:232
	buffer_store_dword v1, off, s[0:3], 0 offset:236
	v_cmpx_lt_u32_e32 28, v0
	s_cbranch_execz .LBB109_233
; %bb.232:
	s_clause 0x1
	buffer_load_dword v1, off, s[0:3], 0 offset:224
	buffer_load_dword v2, off, s[0:3], 0 offset:228
	v_mov_b32_e32 v3, 0
	buffer_store_dword v3, off, s[0:3], 0 offset:224
	buffer_store_dword v3, off, s[0:3], 0 offset:228
	s_waitcnt vmcnt(0)
	ds_write_b64 v101, v[1:2]
.LBB109_233:
	s_or_b32 exec_lo, exec_lo, s4
	s_waitcnt lgkmcnt(0)
	s_waitcnt_vscnt null, 0x0
	s_barrier
	buffer_gl0_inv
	s_clause 0x23
	buffer_load_dword v8, off, s[0:3], 0 offset:236
	buffer_load_dword v130, off, s[0:3], 0 offset:244
	;; [unrolled: 1-line block ×36, first 2 shown]
	v_mov_b32_e32 v1, 0
	ds_read2_b64 v[2:5], v1 offset0:75 offset1:76
	ds_read2_b64 v[102:105], v1 offset0:77 offset1:78
	;; [unrolled: 1-line block ×8, first 2 shown]
	ds_read_b64 v[6:7], v1 offset:728
	s_mov_b32 s4, exec_lo
	s_waitcnt vmcnt(35) lgkmcnt(8)
	v_mul_f32_e32 v165, v2, v8
	v_mul_f32_e32 v8, v3, v8
	s_waitcnt vmcnt(34)
	v_mul_f32_e32 v166, v4, v130
	v_mul_f32_e32 v130, v5, v130
	s_waitcnt vmcnt(33) lgkmcnt(7)
	v_mul_f32_e32 v167, v102, v131
	s_waitcnt vmcnt(32)
	v_mul_f32_e32 v168, v104, v132
	s_waitcnt vmcnt(31) lgkmcnt(6)
	v_mul_f32_e32 v169, v106, v133
	s_waitcnt vmcnt(30)
	;; [unrolled: 4-line block ×7, first 2 shown]
	v_fma_f32 v2, v2, v146, -v8
	v_fmac_f32_e32 v165, v3, v146
	v_mul_f32_e32 v3, v103, v131
	s_waitcnt vmcnt(17)
	v_fma_f32 v4, v4, v147, -v130
	v_fmac_f32_e32 v166, v5, v147
	v_add_f32_e32 v2, 0, v2
	v_add_f32_e32 v5, 0, v165
	v_mul_f32_e32 v8, v105, v132
	s_waitcnt vmcnt(16)
	v_fma_f32 v3, v102, v148, -v3
	v_fmac_f32_e32 v167, v103, v148
	v_add_f32_e32 v2, v2, v4
	v_add_f32_e32 v4, v5, v166
	;; [unrolled: 6-line block ×13, first 2 shown]
	v_mul_f32_e32 v8, v129, v144
	s_waitcnt vmcnt(4)
	v_fma_f32 v4, v126, v160, -v4
	v_mul_f32_e32 v180, v128, v144
	v_add_f32_e32 v2, v2, v5
	v_fmac_f32_e32 v179, v127, v160
	v_add_f32_e32 v3, v3, v178
	s_waitcnt lgkmcnt(0)
	v_mul_f32_e32 v5, v7, v145
	s_waitcnt vmcnt(3)
	v_fma_f32 v8, v128, v161, -v8
	v_add_f32_e32 v2, v2, v4
	v_mul_f32_e32 v181, v6, v145
	v_fmac_f32_e32 v180, v129, v161
	v_add_f32_e32 v3, v3, v179
	s_waitcnt vmcnt(2)
	v_fma_f32 v4, v6, v162, -v5
	v_add_f32_e32 v2, v2, v8
	v_fmac_f32_e32 v181, v7, v162
	v_add_f32_e32 v3, v3, v180
	v_add_f32_e32 v2, v2, v4
	;; [unrolled: 1-line block ×3, first 2 shown]
	s_waitcnt vmcnt(1)
	v_sub_f32_e32 v2, v163, v2
	s_waitcnt vmcnt(0)
	v_sub_f32_e32 v3, v164, v3
	buffer_store_dword v2, off, s[0:3], 0 offset:224
	buffer_store_dword v3, off, s[0:3], 0 offset:228
	v_cmpx_lt_u32_e32 27, v0
	s_cbranch_execz .LBB109_235
; %bb.234:
	s_clause 0x1
	buffer_load_dword v2, off, s[0:3], 0 offset:216
	buffer_load_dword v3, off, s[0:3], 0 offset:220
	buffer_store_dword v1, off, s[0:3], 0 offset:216
	buffer_store_dword v1, off, s[0:3], 0 offset:220
	s_waitcnt vmcnt(0)
	ds_write_b64 v101, v[2:3]
.LBB109_235:
	s_or_b32 exec_lo, exec_lo, s4
	s_waitcnt lgkmcnt(0)
	s_waitcnt_vscnt null, 0x0
	s_barrier
	buffer_gl0_inv
	s_clause 0x25
	buffer_load_dword v6, off, s[0:3], 0 offset:228
	buffer_load_dword v7, off, s[0:3], 0 offset:236
	;; [unrolled: 1-line block ×38, first 2 shown]
	ds_read_b128 v[2:5], v1 offset:592
	ds_read_b128 v[102:105], v1 offset:608
	;; [unrolled: 1-line block ×9, first 2 shown]
	s_mov_b32 s4, exec_lo
	s_waitcnt vmcnt(37) lgkmcnt(8)
	v_mul_f32_e32 v1, v2, v6
	v_mul_f32_e32 v6, v3, v6
	s_waitcnt vmcnt(36)
	v_mul_f32_e32 v169, v4, v7
	v_mul_f32_e32 v7, v5, v7
	s_waitcnt vmcnt(35) lgkmcnt(7)
	v_mul_f32_e32 v170, v102, v8
	s_waitcnt vmcnt(34)
	v_mul_f32_e32 v171, v104, v134
	s_waitcnt vmcnt(33) lgkmcnt(6)
	v_mul_f32_e32 v172, v106, v135
	s_waitcnt vmcnt(32)
	;; [unrolled: 4-line block ×7, first 2 shown]
	v_mul_f32_e32 v183, v128, v146
	s_waitcnt vmcnt(19)
	v_fma_f32 v2, v2, v149, -v6
	v_fmac_f32_e32 v1, v3, v149
	v_mul_f32_e32 v3, v103, v8
	s_waitcnt vmcnt(18)
	v_fma_f32 v4, v4, v150, -v7
	v_fmac_f32_e32 v169, v5, v150
	v_add_f32_e32 v2, 0, v2
	v_add_f32_e32 v1, 0, v1
	v_mul_f32_e32 v5, v105, v134
	s_waitcnt vmcnt(17)
	v_fma_f32 v3, v102, v151, -v3
	v_fmac_f32_e32 v170, v103, v151
	v_add_f32_e32 v2, v2, v4
	v_add_f32_e32 v1, v1, v169
	;; [unrolled: 6-line block ×14, first 2 shown]
	s_waitcnt lgkmcnt(0)
	v_mul_f32_e32 v4, v131, v147
	s_waitcnt vmcnt(4)
	v_fma_f32 v5, v128, v164, -v5
	v_mul_f32_e32 v184, v130, v147
	v_add_f32_e32 v2, v2, v3
	v_fmac_f32_e32 v183, v129, v164
	v_add_f32_e32 v1, v1, v182
	v_mul_f32_e32 v3, v133, v148
	s_waitcnt vmcnt(3)
	v_fma_f32 v4, v130, v165, -v4
	v_add_f32_e32 v2, v2, v5
	v_mul_f32_e32 v185, v132, v148
	v_fmac_f32_e32 v184, v131, v165
	v_add_f32_e32 v1, v1, v183
	s_waitcnt vmcnt(2)
	v_fma_f32 v3, v132, v166, -v3
	v_add_f32_e32 v2, v2, v4
	v_fmac_f32_e32 v185, v133, v166
	v_add_f32_e32 v1, v1, v184
	v_add_f32_e32 v2, v2, v3
	;; [unrolled: 1-line block ×3, first 2 shown]
	s_waitcnt vmcnt(1)
	v_sub_f32_e32 v2, v167, v2
	s_waitcnt vmcnt(0)
	v_sub_f32_e32 v1, v168, v1
	buffer_store_dword v2, off, s[0:3], 0 offset:216
	buffer_store_dword v1, off, s[0:3], 0 offset:220
	v_cmpx_lt_u32_e32 26, v0
	s_cbranch_execz .LBB109_237
; %bb.236:
	s_clause 0x1
	buffer_load_dword v1, off, s[0:3], 0 offset:208
	buffer_load_dword v2, off, s[0:3], 0 offset:212
	v_mov_b32_e32 v3, 0
	buffer_store_dword v3, off, s[0:3], 0 offset:208
	buffer_store_dword v3, off, s[0:3], 0 offset:212
	s_waitcnt vmcnt(0)
	ds_write_b64 v101, v[1:2]
.LBB109_237:
	s_or_b32 exec_lo, exec_lo, s4
	s_waitcnt lgkmcnt(0)
	s_waitcnt_vscnt null, 0x0
	s_barrier
	buffer_gl0_inv
	s_clause 0x27
	buffer_load_dword v8, off, s[0:3], 0 offset:220
	buffer_load_dword v134, off, s[0:3], 0 offset:228
	;; [unrolled: 1-line block ×40, first 2 shown]
	v_mov_b32_e32 v1, 0
	ds_read2_b64 v[2:5], v1 offset0:73 offset1:74
	ds_read2_b64 v[102:105], v1 offset0:75 offset1:76
	;; [unrolled: 1-line block ×9, first 2 shown]
	ds_read_b64 v[6:7], v1 offset:728
	s_mov_b32 s4, exec_lo
	s_waitcnt vmcnt(39) lgkmcnt(9)
	v_mul_f32_e32 v173, v2, v8
	v_mul_f32_e32 v8, v3, v8
	s_waitcnt vmcnt(38)
	v_mul_f32_e32 v174, v4, v134
	v_mul_f32_e32 v134, v5, v134
	s_waitcnt vmcnt(37) lgkmcnt(8)
	v_mul_f32_e32 v175, v102, v135
	s_waitcnt vmcnt(36)
	v_mul_f32_e32 v176, v104, v136
	s_waitcnt vmcnt(35) lgkmcnt(7)
	v_mul_f32_e32 v177, v106, v137
	s_waitcnt vmcnt(34)
	;; [unrolled: 4-line block ×8, first 2 shown]
	v_fma_f32 v2, v2, v152, -v8
	v_fmac_f32_e32 v173, v3, v152
	v_mul_f32_e32 v3, v103, v135
	s_waitcnt vmcnt(19)
	v_fma_f32 v4, v4, v153, -v134
	v_fmac_f32_e32 v174, v5, v153
	v_add_f32_e32 v2, 0, v2
	v_add_f32_e32 v5, 0, v173
	v_mul_f32_e32 v8, v105, v136
	s_waitcnt vmcnt(18)
	v_fma_f32 v3, v102, v154, -v3
	v_fmac_f32_e32 v175, v103, v154
	v_add_f32_e32 v2, v2, v4
	v_add_f32_e32 v4, v5, v174
	;; [unrolled: 6-line block ×15, first 2 shown]
	v_mul_f32_e32 v4, v133, v150
	s_waitcnt vmcnt(4)
	v_fma_f32 v5, v130, v168, -v5
	v_mul_f32_e32 v190, v132, v150
	v_add_f32_e32 v2, v2, v8
	v_fmac_f32_e32 v189, v131, v168
	v_add_f32_e32 v3, v3, v188
	s_waitcnt lgkmcnt(0)
	v_mul_f32_e32 v8, v7, v151
	s_waitcnt vmcnt(3)
	v_fma_f32 v4, v132, v169, -v4
	v_add_f32_e32 v2, v2, v5
	v_mul_f32_e32 v191, v6, v151
	v_fmac_f32_e32 v190, v133, v169
	v_add_f32_e32 v3, v3, v189
	s_waitcnt vmcnt(2)
	v_fma_f32 v5, v6, v170, -v8
	v_add_f32_e32 v2, v2, v4
	v_fmac_f32_e32 v191, v7, v170
	v_add_f32_e32 v3, v3, v190
	v_add_f32_e32 v2, v2, v5
	;; [unrolled: 1-line block ×3, first 2 shown]
	s_waitcnt vmcnt(1)
	v_sub_f32_e32 v2, v171, v2
	s_waitcnt vmcnt(0)
	v_sub_f32_e32 v3, v172, v3
	buffer_store_dword v2, off, s[0:3], 0 offset:208
	buffer_store_dword v3, off, s[0:3], 0 offset:212
	v_cmpx_lt_u32_e32 25, v0
	s_cbranch_execz .LBB109_239
; %bb.238:
	s_clause 0x1
	buffer_load_dword v2, off, s[0:3], 0 offset:200
	buffer_load_dword v3, off, s[0:3], 0 offset:204
	buffer_store_dword v1, off, s[0:3], 0 offset:200
	buffer_store_dword v1, off, s[0:3], 0 offset:204
	s_waitcnt vmcnt(0)
	ds_write_b64 v101, v[2:3]
.LBB109_239:
	s_or_b32 exec_lo, exec_lo, s4
	s_waitcnt lgkmcnt(0)
	s_waitcnt_vscnt null, 0x0
	s_barrier
	buffer_gl0_inv
	s_clause 0x29
	buffer_load_dword v6, off, s[0:3], 0 offset:212
	buffer_load_dword v7, off, s[0:3], 0 offset:220
	;; [unrolled: 1-line block ×42, first 2 shown]
	ds_read_b128 v[2:5], v1 offset:576
	ds_read_b128 v[102:105], v1 offset:592
	;; [unrolled: 1-line block ×10, first 2 shown]
	s_mov_b32 s4, exec_lo
	s_waitcnt vmcnt(41) lgkmcnt(9)
	v_mul_f32_e32 v1, v2, v6
	v_mul_f32_e32 v6, v3, v6
	s_waitcnt vmcnt(40)
	v_mul_f32_e32 v177, v4, v7
	v_mul_f32_e32 v7, v5, v7
	s_waitcnt vmcnt(39) lgkmcnt(8)
	v_mul_f32_e32 v178, v102, v8
	s_waitcnt vmcnt(38)
	v_mul_f32_e32 v179, v104, v138
	s_waitcnt vmcnt(37) lgkmcnt(7)
	v_mul_f32_e32 v180, v106, v139
	s_waitcnt vmcnt(36)
	;; [unrolled: 4-line block ×8, first 2 shown]
	v_mul_f32_e32 v193, v132, v152
	s_waitcnt vmcnt(21)
	v_fma_f32 v2, v2, v155, -v6
	v_fmac_f32_e32 v1, v3, v155
	v_mul_f32_e32 v3, v103, v8
	s_waitcnt vmcnt(20)
	v_fma_f32 v4, v4, v156, -v7
	v_fmac_f32_e32 v177, v5, v156
	v_add_f32_e32 v2, 0, v2
	v_add_f32_e32 v1, 0, v1
	v_mul_f32_e32 v5, v105, v138
	s_waitcnt vmcnt(19)
	v_fma_f32 v3, v102, v157, -v3
	v_fmac_f32_e32 v178, v103, v157
	v_add_f32_e32 v2, v2, v4
	v_add_f32_e32 v1, v1, v177
	;; [unrolled: 6-line block ×16, first 2 shown]
	s_waitcnt lgkmcnt(0)
	v_mul_f32_e32 v5, v135, v153
	s_waitcnt vmcnt(4)
	v_fma_f32 v3, v132, v172, -v3
	v_mul_f32_e32 v194, v134, v153
	v_add_f32_e32 v2, v2, v4
	v_fmac_f32_e32 v193, v133, v172
	v_add_f32_e32 v1, v1, v192
	v_mul_f32_e32 v4, v137, v154
	s_waitcnt vmcnt(3)
	v_fma_f32 v5, v134, v173, -v5
	v_add_f32_e32 v2, v2, v3
	v_mul_f32_e32 v195, v136, v154
	v_fmac_f32_e32 v194, v135, v173
	v_add_f32_e32 v1, v1, v193
	s_waitcnt vmcnt(2)
	v_fma_f32 v3, v136, v174, -v4
	v_add_f32_e32 v2, v2, v5
	v_fmac_f32_e32 v195, v137, v174
	v_add_f32_e32 v1, v1, v194
	v_add_f32_e32 v2, v2, v3
	;; [unrolled: 1-line block ×3, first 2 shown]
	s_waitcnt vmcnt(1)
	v_sub_f32_e32 v2, v175, v2
	s_waitcnt vmcnt(0)
	v_sub_f32_e32 v1, v176, v1
	buffer_store_dword v2, off, s[0:3], 0 offset:200
	buffer_store_dword v1, off, s[0:3], 0 offset:204
	v_cmpx_lt_u32_e32 24, v0
	s_cbranch_execz .LBB109_241
; %bb.240:
	s_clause 0x1
	buffer_load_dword v1, off, s[0:3], 0 offset:192
	buffer_load_dword v2, off, s[0:3], 0 offset:196
	v_mov_b32_e32 v3, 0
	buffer_store_dword v3, off, s[0:3], 0 offset:192
	buffer_store_dword v3, off, s[0:3], 0 offset:196
	s_waitcnt vmcnt(0)
	ds_write_b64 v101, v[1:2]
.LBB109_241:
	s_or_b32 exec_lo, exec_lo, s4
	s_waitcnt lgkmcnt(0)
	s_waitcnt_vscnt null, 0x0
	s_barrier
	buffer_gl0_inv
	s_clause 0x2b
	buffer_load_dword v8, off, s[0:3], 0 offset:204
	buffer_load_dword v138, off, s[0:3], 0 offset:212
	;; [unrolled: 1-line block ×44, first 2 shown]
	v_mov_b32_e32 v1, 0
	ds_read2_b64 v[2:5], v1 offset0:71 offset1:72
	ds_read2_b64 v[102:105], v1 offset0:73 offset1:74
	;; [unrolled: 1-line block ×10, first 2 shown]
	ds_read_b64 v[6:7], v1 offset:728
	s_mov_b32 s4, exec_lo
	s_waitcnt vmcnt(43) lgkmcnt(10)
	v_mul_f32_e32 v181, v2, v8
	v_mul_f32_e32 v8, v3, v8
	s_waitcnt vmcnt(42)
	v_mul_f32_e32 v182, v4, v138
	v_mul_f32_e32 v138, v5, v138
	s_waitcnt vmcnt(41) lgkmcnt(9)
	v_mul_f32_e32 v183, v102, v139
	s_waitcnt vmcnt(40)
	v_mul_f32_e32 v184, v104, v140
	s_waitcnt vmcnt(39) lgkmcnt(8)
	v_mul_f32_e32 v185, v106, v141
	s_waitcnt vmcnt(38)
	;; [unrolled: 4-line block ×9, first 2 shown]
	v_fma_f32 v2, v2, v158, -v8
	v_fmac_f32_e32 v181, v3, v158
	v_mul_f32_e32 v3, v103, v139
	s_waitcnt vmcnt(21)
	v_fma_f32 v4, v4, v159, -v138
	v_fmac_f32_e32 v182, v5, v159
	v_add_f32_e32 v2, 0, v2
	v_add_f32_e32 v5, 0, v181
	v_mul_f32_e32 v8, v105, v140
	s_waitcnt vmcnt(20)
	v_fma_f32 v3, v102, v160, -v3
	v_fmac_f32_e32 v183, v103, v160
	v_add_f32_e32 v2, v2, v4
	v_add_f32_e32 v4, v5, v182
	;; [unrolled: 6-line block ×17, first 2 shown]
	v_mul_f32_e32 v5, v137, v156
	s_waitcnt vmcnt(4)
	v_fma_f32 v8, v134, v176, -v8
	v_mul_f32_e32 v200, v136, v156
	v_add_f32_e32 v2, v2, v4
	v_fmac_f32_e32 v199, v135, v176
	v_add_f32_e32 v3, v3, v198
	s_waitcnt lgkmcnt(0)
	v_mul_f32_e32 v4, v7, v157
	s_waitcnt vmcnt(3)
	v_fma_f32 v5, v136, v177, -v5
	v_add_f32_e32 v2, v2, v8
	v_mul_f32_e32 v201, v6, v157
	v_fmac_f32_e32 v200, v137, v177
	v_add_f32_e32 v3, v3, v199
	s_waitcnt vmcnt(2)
	v_fma_f32 v4, v6, v178, -v4
	v_add_f32_e32 v2, v2, v5
	v_fmac_f32_e32 v201, v7, v178
	v_add_f32_e32 v3, v3, v200
	v_add_f32_e32 v2, v2, v4
	;; [unrolled: 1-line block ×3, first 2 shown]
	s_waitcnt vmcnt(1)
	v_sub_f32_e32 v2, v179, v2
	s_waitcnt vmcnt(0)
	v_sub_f32_e32 v3, v180, v3
	buffer_store_dword v2, off, s[0:3], 0 offset:192
	buffer_store_dword v3, off, s[0:3], 0 offset:196
	v_cmpx_lt_u32_e32 23, v0
	s_cbranch_execz .LBB109_243
; %bb.242:
	s_clause 0x1
	buffer_load_dword v2, off, s[0:3], 0 offset:184
	buffer_load_dword v3, off, s[0:3], 0 offset:188
	buffer_store_dword v1, off, s[0:3], 0 offset:184
	buffer_store_dword v1, off, s[0:3], 0 offset:188
	s_waitcnt vmcnt(0)
	ds_write_b64 v101, v[2:3]
.LBB109_243:
	s_or_b32 exec_lo, exec_lo, s4
	s_waitcnt lgkmcnt(0)
	s_waitcnt_vscnt null, 0x0
	s_barrier
	buffer_gl0_inv
	s_clause 0x2d
	buffer_load_dword v6, off, s[0:3], 0 offset:196
	buffer_load_dword v7, off, s[0:3], 0 offset:204
	;; [unrolled: 1-line block ×46, first 2 shown]
	ds_read_b128 v[2:5], v1 offset:560
	ds_read_b128 v[102:105], v1 offset:576
	;; [unrolled: 1-line block ×11, first 2 shown]
	s_mov_b32 s4, exec_lo
	s_waitcnt vmcnt(45) lgkmcnt(10)
	v_mul_f32_e32 v1, v2, v6
	v_mul_f32_e32 v6, v3, v6
	s_waitcnt vmcnt(44)
	v_mul_f32_e32 v185, v4, v7
	v_mul_f32_e32 v7, v5, v7
	s_waitcnt vmcnt(43) lgkmcnt(9)
	v_mul_f32_e32 v186, v102, v8
	s_waitcnt vmcnt(42)
	v_mul_f32_e32 v187, v104, v142
	s_waitcnt vmcnt(41) lgkmcnt(8)
	v_mul_f32_e32 v188, v106, v143
	s_waitcnt vmcnt(40)
	;; [unrolled: 4-line block ×9, first 2 shown]
	v_mul_f32_e32 v203, v136, v158
	s_waitcnt vmcnt(23)
	v_fma_f32 v2, v2, v161, -v6
	v_fmac_f32_e32 v1, v3, v161
	v_mul_f32_e32 v3, v103, v8
	s_waitcnt vmcnt(22)
	v_fma_f32 v4, v4, v162, -v7
	v_fmac_f32_e32 v185, v5, v162
	v_add_f32_e32 v2, 0, v2
	v_add_f32_e32 v1, 0, v1
	v_mul_f32_e32 v5, v105, v142
	s_waitcnt vmcnt(21)
	v_fma_f32 v3, v102, v163, -v3
	v_fmac_f32_e32 v186, v103, v163
	v_add_f32_e32 v2, v2, v4
	v_add_f32_e32 v1, v1, v185
	;; [unrolled: 6-line block ×18, first 2 shown]
	s_waitcnt lgkmcnt(0)
	v_mul_f32_e32 v3, v139, v159
	s_waitcnt vmcnt(4)
	v_fma_f32 v4, v136, v180, -v4
	v_mul_f32_e32 v204, v138, v159
	v_add_f32_e32 v2, v2, v5
	v_fmac_f32_e32 v203, v137, v180
	v_add_f32_e32 v1, v1, v202
	v_mul_f32_e32 v5, v141, v160
	s_waitcnt vmcnt(3)
	v_fma_f32 v3, v138, v181, -v3
	v_add_f32_e32 v2, v2, v4
	v_mul_f32_e32 v205, v140, v160
	v_fmac_f32_e32 v204, v139, v181
	v_add_f32_e32 v1, v1, v203
	s_waitcnt vmcnt(2)
	v_fma_f32 v4, v140, v182, -v5
	v_add_f32_e32 v2, v2, v3
	v_fmac_f32_e32 v205, v141, v182
	v_add_f32_e32 v1, v1, v204
	v_add_f32_e32 v2, v2, v4
	;; [unrolled: 1-line block ×3, first 2 shown]
	s_waitcnt vmcnt(1)
	v_sub_f32_e32 v2, v183, v2
	s_waitcnt vmcnt(0)
	v_sub_f32_e32 v1, v184, v1
	buffer_store_dword v2, off, s[0:3], 0 offset:184
	buffer_store_dword v1, off, s[0:3], 0 offset:188
	v_cmpx_lt_u32_e32 22, v0
	s_cbranch_execz .LBB109_245
; %bb.244:
	s_clause 0x1
	buffer_load_dword v1, off, s[0:3], 0 offset:176
	buffer_load_dword v2, off, s[0:3], 0 offset:180
	v_mov_b32_e32 v3, 0
	buffer_store_dword v3, off, s[0:3], 0 offset:176
	buffer_store_dword v3, off, s[0:3], 0 offset:180
	s_waitcnt vmcnt(0)
	ds_write_b64 v101, v[1:2]
.LBB109_245:
	s_or_b32 exec_lo, exec_lo, s4
	s_waitcnt lgkmcnt(0)
	s_waitcnt_vscnt null, 0x0
	s_barrier
	buffer_gl0_inv
	s_clause 0x2f
	buffer_load_dword v8, off, s[0:3], 0 offset:188
	buffer_load_dword v142, off, s[0:3], 0 offset:196
	;; [unrolled: 1-line block ×48, first 2 shown]
	v_mov_b32_e32 v1, 0
	ds_read2_b64 v[2:5], v1 offset0:69 offset1:70
	ds_read2_b64 v[102:105], v1 offset0:71 offset1:72
	;; [unrolled: 1-line block ×11, first 2 shown]
	ds_read_b64 v[6:7], v1 offset:728
	s_mov_b32 s4, exec_lo
	s_waitcnt vmcnt(47) lgkmcnt(11)
	v_mul_f32_e32 v189, v2, v8
	v_mul_f32_e32 v8, v3, v8
	s_waitcnt vmcnt(46)
	v_mul_f32_e32 v190, v4, v142
	v_mul_f32_e32 v142, v5, v142
	s_waitcnt vmcnt(45) lgkmcnt(10)
	v_mul_f32_e32 v191, v102, v143
	s_waitcnt vmcnt(44)
	v_mul_f32_e32 v192, v104, v144
	s_waitcnt vmcnt(43) lgkmcnt(9)
	v_mul_f32_e32 v193, v106, v145
	s_waitcnt vmcnt(42)
	;; [unrolled: 4-line block ×10, first 2 shown]
	v_fma_f32 v2, v2, v164, -v8
	v_fmac_f32_e32 v189, v3, v164
	v_mul_f32_e32 v3, v103, v143
	s_waitcnt vmcnt(23)
	v_fma_f32 v4, v4, v165, -v142
	v_fmac_f32_e32 v190, v5, v165
	v_add_f32_e32 v2, 0, v2
	v_add_f32_e32 v5, 0, v189
	v_mul_f32_e32 v8, v105, v144
	s_waitcnt vmcnt(22)
	v_fma_f32 v3, v102, v166, -v3
	v_fmac_f32_e32 v191, v103, v166
	v_add_f32_e32 v2, v2, v4
	v_add_f32_e32 v4, v5, v190
	;; [unrolled: 6-line block ×19, first 2 shown]
	v_mul_f32_e32 v8, v141, v162
	s_waitcnt vmcnt(4)
	v_fma_f32 v4, v138, v184, -v4
	v_mul_f32_e32 v210, v140, v162
	v_add_f32_e32 v2, v2, v5
	v_fmac_f32_e32 v209, v139, v184
	v_add_f32_e32 v3, v3, v208
	s_waitcnt lgkmcnt(0)
	v_mul_f32_e32 v5, v7, v163
	s_waitcnt vmcnt(3)
	v_fma_f32 v8, v140, v185, -v8
	v_add_f32_e32 v2, v2, v4
	v_mul_f32_e32 v211, v6, v163
	v_fmac_f32_e32 v210, v141, v185
	v_add_f32_e32 v3, v3, v209
	s_waitcnt vmcnt(2)
	v_fma_f32 v4, v6, v186, -v5
	v_add_f32_e32 v2, v2, v8
	v_fmac_f32_e32 v211, v7, v186
	v_add_f32_e32 v3, v3, v210
	v_add_f32_e32 v2, v2, v4
	;; [unrolled: 1-line block ×3, first 2 shown]
	s_waitcnt vmcnt(1)
	v_sub_f32_e32 v2, v187, v2
	s_waitcnt vmcnt(0)
	v_sub_f32_e32 v3, v188, v3
	buffer_store_dword v2, off, s[0:3], 0 offset:176
	buffer_store_dword v3, off, s[0:3], 0 offset:180
	v_cmpx_lt_u32_e32 21, v0
	s_cbranch_execz .LBB109_247
; %bb.246:
	s_clause 0x1
	buffer_load_dword v2, off, s[0:3], 0 offset:168
	buffer_load_dword v3, off, s[0:3], 0 offset:172
	buffer_store_dword v1, off, s[0:3], 0 offset:168
	buffer_store_dword v1, off, s[0:3], 0 offset:172
	s_waitcnt vmcnt(0)
	ds_write_b64 v101, v[2:3]
.LBB109_247:
	s_or_b32 exec_lo, exec_lo, s4
	s_waitcnt lgkmcnt(0)
	s_waitcnt_vscnt null, 0x0
	s_barrier
	buffer_gl0_inv
	s_clause 0x31
	buffer_load_dword v6, off, s[0:3], 0 offset:180
	buffer_load_dword v7, off, s[0:3], 0 offset:188
	;; [unrolled: 1-line block ×50, first 2 shown]
	ds_read_b128 v[2:5], v1 offset:544
	ds_read_b128 v[102:105], v1 offset:560
	;; [unrolled: 1-line block ×12, first 2 shown]
	s_mov_b32 s4, exec_lo
	s_waitcnt vmcnt(49) lgkmcnt(11)
	v_mul_f32_e32 v1, v2, v6
	v_mul_f32_e32 v6, v3, v6
	s_waitcnt vmcnt(48)
	v_mul_f32_e32 v193, v4, v7
	v_mul_f32_e32 v7, v5, v7
	s_waitcnt vmcnt(47) lgkmcnt(10)
	v_mul_f32_e32 v194, v102, v8
	s_waitcnt vmcnt(46)
	v_mul_f32_e32 v195, v104, v146
	s_waitcnt vmcnt(45) lgkmcnt(9)
	v_mul_f32_e32 v196, v106, v147
	s_waitcnt vmcnt(44)
	;; [unrolled: 4-line block ×10, first 2 shown]
	v_mul_f32_e32 v213, v140, v164
	s_waitcnt vmcnt(25)
	v_fma_f32 v2, v2, v167, -v6
	v_fmac_f32_e32 v1, v3, v167
	v_mul_f32_e32 v3, v103, v8
	s_waitcnt vmcnt(24)
	v_fma_f32 v4, v4, v168, -v7
	v_fmac_f32_e32 v193, v5, v168
	v_add_f32_e32 v2, 0, v2
	v_add_f32_e32 v1, 0, v1
	v_mul_f32_e32 v5, v105, v146
	s_waitcnt vmcnt(23)
	v_fma_f32 v3, v102, v169, -v3
	v_fmac_f32_e32 v194, v103, v169
	v_add_f32_e32 v2, v2, v4
	v_add_f32_e32 v1, v1, v193
	;; [unrolled: 6-line block ×20, first 2 shown]
	s_waitcnt lgkmcnt(0)
	v_mul_f32_e32 v4, v143, v165
	s_waitcnt vmcnt(4)
	v_fma_f32 v5, v140, v188, -v5
	v_mul_f32_e32 v214, v142, v165
	v_add_f32_e32 v2, v2, v3
	v_fmac_f32_e32 v213, v141, v188
	v_add_f32_e32 v1, v1, v212
	v_mul_f32_e32 v3, v145, v166
	s_waitcnt vmcnt(3)
	v_fma_f32 v4, v142, v189, -v4
	v_add_f32_e32 v2, v2, v5
	v_mul_f32_e32 v215, v144, v166
	v_fmac_f32_e32 v214, v143, v189
	v_add_f32_e32 v1, v1, v213
	s_waitcnt vmcnt(2)
	v_fma_f32 v3, v144, v190, -v3
	v_add_f32_e32 v2, v2, v4
	v_fmac_f32_e32 v215, v145, v190
	v_add_f32_e32 v1, v1, v214
	v_add_f32_e32 v2, v2, v3
	;; [unrolled: 1-line block ×3, first 2 shown]
	s_waitcnt vmcnt(1)
	v_sub_f32_e32 v2, v191, v2
	s_waitcnt vmcnt(0)
	v_sub_f32_e32 v1, v192, v1
	buffer_store_dword v2, off, s[0:3], 0 offset:168
	buffer_store_dword v1, off, s[0:3], 0 offset:172
	v_cmpx_lt_u32_e32 20, v0
	s_cbranch_execz .LBB109_249
; %bb.248:
	s_clause 0x1
	buffer_load_dword v1, off, s[0:3], 0 offset:160
	buffer_load_dword v2, off, s[0:3], 0 offset:164
	v_mov_b32_e32 v3, 0
	buffer_store_dword v3, off, s[0:3], 0 offset:160
	buffer_store_dword v3, off, s[0:3], 0 offset:164
	s_waitcnt vmcnt(0)
	ds_write_b64 v101, v[1:2]
.LBB109_249:
	s_or_b32 exec_lo, exec_lo, s4
	s_waitcnt lgkmcnt(0)
	s_waitcnt_vscnt null, 0x0
	s_barrier
	buffer_gl0_inv
	s_clause 0x33
	buffer_load_dword v8, off, s[0:3], 0 offset:172
	buffer_load_dword v146, off, s[0:3], 0 offset:180
	;; [unrolled: 1-line block ×52, first 2 shown]
	v_mov_b32_e32 v1, 0
	ds_read2_b64 v[2:5], v1 offset0:67 offset1:68
	ds_read2_b64 v[102:105], v1 offset0:69 offset1:70
	;; [unrolled: 1-line block ×12, first 2 shown]
	ds_read_b64 v[6:7], v1 offset:728
	s_mov_b32 s4, exec_lo
	s_waitcnt vmcnt(51) lgkmcnt(12)
	v_mul_f32_e32 v197, v2, v8
	v_mul_f32_e32 v8, v3, v8
	s_waitcnt vmcnt(50)
	v_mul_f32_e32 v198, v4, v146
	v_mul_f32_e32 v146, v5, v146
	s_waitcnt vmcnt(49) lgkmcnt(11)
	v_mul_f32_e32 v199, v102, v147
	s_waitcnt vmcnt(48)
	v_mul_f32_e32 v200, v104, v148
	s_waitcnt vmcnt(47) lgkmcnt(10)
	v_mul_f32_e32 v201, v106, v149
	s_waitcnt vmcnt(46)
	;; [unrolled: 4-line block ×11, first 2 shown]
	v_fma_f32 v2, v2, v170, -v8
	v_fmac_f32_e32 v197, v3, v170
	v_mul_f32_e32 v3, v103, v147
	s_waitcnt vmcnt(25)
	v_fma_f32 v4, v4, v171, -v146
	v_fmac_f32_e32 v198, v5, v171
	v_add_f32_e32 v2, 0, v2
	v_add_f32_e32 v5, 0, v197
	v_mul_f32_e32 v8, v105, v148
	s_waitcnt vmcnt(24)
	v_fma_f32 v3, v102, v172, -v3
	v_fmac_f32_e32 v199, v103, v172
	v_add_f32_e32 v2, v2, v4
	v_add_f32_e32 v4, v5, v198
	;; [unrolled: 6-line block ×21, first 2 shown]
	v_mul_f32_e32 v4, v145, v168
	s_waitcnt vmcnt(4)
	v_fma_f32 v5, v142, v192, -v5
	v_mul_f32_e32 v220, v144, v168
	v_add_f32_e32 v2, v2, v8
	v_fmac_f32_e32 v219, v143, v192
	v_add_f32_e32 v3, v3, v218
	s_waitcnt lgkmcnt(0)
	v_mul_f32_e32 v8, v7, v169
	s_waitcnt vmcnt(3)
	v_fma_f32 v4, v144, v193, -v4
	v_add_f32_e32 v2, v2, v5
	v_mul_f32_e32 v221, v6, v169
	v_fmac_f32_e32 v220, v145, v193
	v_add_f32_e32 v3, v3, v219
	s_waitcnt vmcnt(2)
	v_fma_f32 v5, v6, v194, -v8
	v_add_f32_e32 v2, v2, v4
	v_fmac_f32_e32 v221, v7, v194
	v_add_f32_e32 v3, v3, v220
	v_add_f32_e32 v2, v2, v5
	;; [unrolled: 1-line block ×3, first 2 shown]
	s_waitcnt vmcnt(1)
	v_sub_f32_e32 v2, v195, v2
	s_waitcnt vmcnt(0)
	v_sub_f32_e32 v3, v196, v3
	buffer_store_dword v2, off, s[0:3], 0 offset:160
	buffer_store_dword v3, off, s[0:3], 0 offset:164
	v_cmpx_lt_u32_e32 19, v0
	s_cbranch_execz .LBB109_251
; %bb.250:
	s_clause 0x1
	buffer_load_dword v2, off, s[0:3], 0 offset:152
	buffer_load_dword v3, off, s[0:3], 0 offset:156
	buffer_store_dword v1, off, s[0:3], 0 offset:152
	buffer_store_dword v1, off, s[0:3], 0 offset:156
	s_waitcnt vmcnt(0)
	ds_write_b64 v101, v[2:3]
.LBB109_251:
	s_or_b32 exec_lo, exec_lo, s4
	s_waitcnt lgkmcnt(0)
	s_waitcnt_vscnt null, 0x0
	s_barrier
	buffer_gl0_inv
	s_clause 0x35
	buffer_load_dword v6, off, s[0:3], 0 offset:164
	buffer_load_dword v7, off, s[0:3], 0 offset:172
	;; [unrolled: 1-line block ×54, first 2 shown]
	ds_read_b128 v[2:5], v1 offset:528
	ds_read_b128 v[102:105], v1 offset:544
	;; [unrolled: 1-line block ×13, first 2 shown]
	s_mov_b32 s4, exec_lo
	s_waitcnt vmcnt(53) lgkmcnt(12)
	v_mul_f32_e32 v1, v2, v6
	v_mul_f32_e32 v6, v3, v6
	s_waitcnt vmcnt(52)
	v_mul_f32_e32 v201, v4, v7
	v_mul_f32_e32 v7, v5, v7
	s_waitcnt vmcnt(51) lgkmcnt(11)
	v_mul_f32_e32 v202, v102, v8
	s_waitcnt vmcnt(50)
	v_mul_f32_e32 v203, v104, v150
	s_waitcnt vmcnt(49) lgkmcnt(10)
	v_mul_f32_e32 v204, v106, v151
	s_waitcnt vmcnt(48)
	;; [unrolled: 4-line block ×11, first 2 shown]
	v_mul_f32_e32 v223, v144, v170
	s_waitcnt vmcnt(27)
	v_fma_f32 v2, v2, v173, -v6
	v_fmac_f32_e32 v1, v3, v173
	v_mul_f32_e32 v3, v103, v8
	s_waitcnt vmcnt(26)
	v_fma_f32 v4, v4, v174, -v7
	v_fmac_f32_e32 v201, v5, v174
	v_add_f32_e32 v2, 0, v2
	v_add_f32_e32 v1, 0, v1
	v_mul_f32_e32 v5, v105, v150
	s_waitcnt vmcnt(25)
	v_fma_f32 v3, v102, v175, -v3
	v_fmac_f32_e32 v202, v103, v175
	v_add_f32_e32 v2, v2, v4
	v_add_f32_e32 v1, v1, v201
	;; [unrolled: 6-line block ×22, first 2 shown]
	s_waitcnt lgkmcnt(0)
	v_mul_f32_e32 v5, v147, v171
	s_waitcnt vmcnt(4)
	v_fma_f32 v3, v144, v196, -v3
	v_mul_f32_e32 v224, v146, v171
	v_add_f32_e32 v2, v2, v4
	v_fmac_f32_e32 v223, v145, v196
	v_add_f32_e32 v1, v1, v222
	v_mul_f32_e32 v4, v149, v172
	s_waitcnt vmcnt(3)
	v_fma_f32 v5, v146, v197, -v5
	v_add_f32_e32 v2, v2, v3
	v_mul_f32_e32 v225, v148, v172
	v_fmac_f32_e32 v224, v147, v197
	v_add_f32_e32 v1, v1, v223
	s_waitcnt vmcnt(2)
	v_fma_f32 v3, v148, v198, -v4
	v_add_f32_e32 v2, v2, v5
	v_fmac_f32_e32 v225, v149, v198
	v_add_f32_e32 v1, v1, v224
	v_add_f32_e32 v2, v2, v3
	;; [unrolled: 1-line block ×3, first 2 shown]
	s_waitcnt vmcnt(1)
	v_sub_f32_e32 v2, v199, v2
	s_waitcnt vmcnt(0)
	v_sub_f32_e32 v1, v200, v1
	buffer_store_dword v2, off, s[0:3], 0 offset:152
	buffer_store_dword v1, off, s[0:3], 0 offset:156
	v_cmpx_lt_u32_e32 18, v0
	s_cbranch_execz .LBB109_253
; %bb.252:
	s_clause 0x1
	buffer_load_dword v1, off, s[0:3], 0 offset:144
	buffer_load_dword v2, off, s[0:3], 0 offset:148
	v_mov_b32_e32 v3, 0
	buffer_store_dword v3, off, s[0:3], 0 offset:144
	buffer_store_dword v3, off, s[0:3], 0 offset:148
	s_waitcnt vmcnt(0)
	ds_write_b64 v101, v[1:2]
.LBB109_253:
	s_or_b32 exec_lo, exec_lo, s4
	s_waitcnt lgkmcnt(0)
	s_waitcnt_vscnt null, 0x0
	s_barrier
	buffer_gl0_inv
	s_clause 0x37
	buffer_load_dword v8, off, s[0:3], 0 offset:156
	buffer_load_dword v150, off, s[0:3], 0 offset:164
	;; [unrolled: 1-line block ×56, first 2 shown]
	v_mov_b32_e32 v1, 0
	ds_read2_b64 v[2:5], v1 offset0:65 offset1:66
	ds_read2_b64 v[102:105], v1 offset0:67 offset1:68
	;; [unrolled: 1-line block ×13, first 2 shown]
	ds_read_b64 v[6:7], v1 offset:728
	s_mov_b32 s4, exec_lo
	s_waitcnt vmcnt(55) lgkmcnt(13)
	v_mul_f32_e32 v205, v2, v8
	v_mul_f32_e32 v8, v3, v8
	s_waitcnt vmcnt(54)
	v_mul_f32_e32 v206, v4, v150
	v_mul_f32_e32 v150, v5, v150
	s_waitcnt vmcnt(53) lgkmcnt(12)
	v_mul_f32_e32 v207, v102, v151
	s_waitcnt vmcnt(52)
	v_mul_f32_e32 v208, v104, v152
	s_waitcnt vmcnt(51) lgkmcnt(11)
	v_mul_f32_e32 v209, v106, v153
	s_waitcnt vmcnt(50)
	v_mul_f32_e32 v210, v108, v154
	s_waitcnt vmcnt(49) lgkmcnt(10)
	v_mul_f32_e32 v211, v110, v155
	s_waitcnt vmcnt(48)
	v_mul_f32_e32 v212, v112, v156
	s_waitcnt vmcnt(47) lgkmcnt(9)
	v_mul_f32_e32 v213, v114, v157
	s_waitcnt vmcnt(46)
	v_mul_f32_e32 v214, v116, v158
	s_waitcnt vmcnt(45) lgkmcnt(8)
	v_mul_f32_e32 v215, v118, v159
	s_waitcnt vmcnt(44)
	v_mul_f32_e32 v216, v120, v160
	s_waitcnt vmcnt(43) lgkmcnt(7)
	v_mul_f32_e32 v217, v122, v161
	s_waitcnt vmcnt(42)
	v_mul_f32_e32 v218, v124, v162
	s_waitcnt vmcnt(41) lgkmcnt(6)
	v_mul_f32_e32 v219, v126, v163
	s_waitcnt vmcnt(40)
	v_mul_f32_e32 v220, v128, v164
	s_waitcnt vmcnt(39) lgkmcnt(5)
	v_mul_f32_e32 v221, v130, v165
	s_waitcnt vmcnt(38)
	v_mul_f32_e32 v222, v132, v166
	s_waitcnt vmcnt(37) lgkmcnt(4)
	v_mul_f32_e32 v223, v134, v167
	s_waitcnt vmcnt(36)
	v_mul_f32_e32 v224, v136, v168
	s_waitcnt vmcnt(35) lgkmcnt(3)
	v_mul_f32_e32 v225, v138, v169
	s_waitcnt vmcnt(34)
	v_mul_f32_e32 v226, v140, v170
	s_waitcnt vmcnt(33) lgkmcnt(2)
	v_mul_f32_e32 v227, v142, v171
	s_waitcnt vmcnt(32)
	v_mul_f32_e32 v228, v144, v172
	s_waitcnt vmcnt(31) lgkmcnt(1)
	v_mul_f32_e32 v229, v146, v173
	s_waitcnt vmcnt(28)
	v_fma_f32 v2, v2, v176, -v8
	v_fmac_f32_e32 v205, v3, v176
	v_mul_f32_e32 v3, v103, v151
	s_waitcnt vmcnt(27)
	v_fma_f32 v4, v4, v177, -v150
	v_fmac_f32_e32 v206, v5, v177
	v_add_f32_e32 v2, 0, v2
	v_add_f32_e32 v5, 0, v205
	v_mul_f32_e32 v8, v105, v152
	s_waitcnt vmcnt(26)
	v_fma_f32 v3, v102, v178, -v3
	v_fmac_f32_e32 v207, v103, v178
	v_add_f32_e32 v2, v2, v4
	v_add_f32_e32 v4, v5, v206
	;; [unrolled: 6-line block ×23, first 2 shown]
	v_mul_f32_e32 v5, v149, v174
	s_waitcnt vmcnt(4)
	v_fma_f32 v8, v146, v200, -v8
	v_mul_f32_e32 v230, v148, v174
	v_add_f32_e32 v2, v2, v4
	v_fmac_f32_e32 v229, v147, v200
	v_add_f32_e32 v3, v3, v228
	s_waitcnt lgkmcnt(0)
	v_mul_f32_e32 v4, v7, v175
	s_waitcnt vmcnt(3)
	v_fma_f32 v5, v148, v201, -v5
	v_add_f32_e32 v2, v2, v8
	v_mul_f32_e32 v231, v6, v175
	v_fmac_f32_e32 v230, v149, v201
	v_add_f32_e32 v3, v3, v229
	s_waitcnt vmcnt(2)
	v_fma_f32 v4, v6, v202, -v4
	v_add_f32_e32 v2, v2, v5
	v_fmac_f32_e32 v231, v7, v202
	v_add_f32_e32 v3, v3, v230
	v_add_f32_e32 v2, v2, v4
	;; [unrolled: 1-line block ×3, first 2 shown]
	s_waitcnt vmcnt(1)
	v_sub_f32_e32 v2, v203, v2
	s_waitcnt vmcnt(0)
	v_sub_f32_e32 v3, v204, v3
	buffer_store_dword v2, off, s[0:3], 0 offset:144
	buffer_store_dword v3, off, s[0:3], 0 offset:148
	v_cmpx_lt_u32_e32 17, v0
	s_cbranch_execz .LBB109_255
; %bb.254:
	s_clause 0x1
	buffer_load_dword v2, off, s[0:3], 0 offset:136
	buffer_load_dword v3, off, s[0:3], 0 offset:140
	buffer_store_dword v1, off, s[0:3], 0 offset:136
	buffer_store_dword v1, off, s[0:3], 0 offset:140
	s_waitcnt vmcnt(0)
	ds_write_b64 v101, v[2:3]
.LBB109_255:
	s_or_b32 exec_lo, exec_lo, s4
	s_waitcnt lgkmcnt(0)
	s_waitcnt_vscnt null, 0x0
	s_barrier
	buffer_gl0_inv
	s_clause 0x39
	buffer_load_dword v6, off, s[0:3], 0 offset:148
	buffer_load_dword v7, off, s[0:3], 0 offset:156
	;; [unrolled: 1-line block ×58, first 2 shown]
	ds_read_b128 v[2:5], v1 offset:512
	ds_read_b128 v[102:105], v1 offset:528
	;; [unrolled: 1-line block ×14, first 2 shown]
	s_mov_b32 s4, exec_lo
	s_waitcnt vmcnt(57) lgkmcnt(13)
	v_mul_f32_e32 v1, v2, v6
	v_mul_f32_e32 v6, v3, v6
	s_waitcnt vmcnt(56)
	v_mul_f32_e32 v209, v4, v7
	v_mul_f32_e32 v7, v5, v7
	s_waitcnt vmcnt(55) lgkmcnt(12)
	v_mul_f32_e32 v210, v102, v8
	s_waitcnt vmcnt(54)
	v_mul_f32_e32 v211, v104, v154
	s_waitcnt vmcnt(53) lgkmcnt(11)
	v_mul_f32_e32 v212, v106, v155
	s_waitcnt vmcnt(52)
	v_mul_f32_e32 v213, v108, v156
	s_waitcnt vmcnt(51) lgkmcnt(10)
	v_mul_f32_e32 v214, v110, v157
	s_waitcnt vmcnt(50)
	v_mul_f32_e32 v215, v112, v158
	s_waitcnt vmcnt(49) lgkmcnt(9)
	v_mul_f32_e32 v216, v114, v159
	s_waitcnt vmcnt(48)
	v_mul_f32_e32 v217, v116, v160
	s_waitcnt vmcnt(47) lgkmcnt(8)
	v_mul_f32_e32 v218, v118, v161
	s_waitcnt vmcnt(46)
	v_mul_f32_e32 v219, v120, v162
	s_waitcnt vmcnt(45) lgkmcnt(7)
	v_mul_f32_e32 v220, v122, v163
	s_waitcnt vmcnt(44)
	v_mul_f32_e32 v221, v124, v164
	s_waitcnt vmcnt(43) lgkmcnt(6)
	v_mul_f32_e32 v222, v126, v165
	s_waitcnt vmcnt(42)
	v_mul_f32_e32 v223, v128, v166
	s_waitcnt vmcnt(41) lgkmcnt(5)
	v_mul_f32_e32 v224, v130, v167
	s_waitcnt vmcnt(40)
	v_mul_f32_e32 v225, v132, v168
	s_waitcnt vmcnt(39) lgkmcnt(4)
	v_mul_f32_e32 v226, v134, v169
	s_waitcnt vmcnt(38)
	v_mul_f32_e32 v227, v136, v170
	s_waitcnt vmcnt(37) lgkmcnt(3)
	v_mul_f32_e32 v228, v138, v171
	s_waitcnt vmcnt(36)
	v_mul_f32_e32 v229, v140, v172
	s_waitcnt vmcnt(35) lgkmcnt(2)
	v_mul_f32_e32 v230, v142, v173
	s_waitcnt vmcnt(34)
	v_mul_f32_e32 v231, v144, v174
	s_waitcnt vmcnt(33) lgkmcnt(1)
	v_mul_f32_e32 v232, v146, v175
	s_waitcnt vmcnt(32)
	v_mul_f32_e32 v233, v148, v176
	s_waitcnt vmcnt(29)
	v_fma_f32 v2, v2, v179, -v6
	v_fmac_f32_e32 v1, v3, v179
	v_mul_f32_e32 v3, v103, v8
	s_waitcnt vmcnt(28)
	v_fma_f32 v4, v4, v180, -v7
	v_fmac_f32_e32 v209, v5, v180
	v_add_f32_e32 v2, 0, v2
	v_add_f32_e32 v1, 0, v1
	v_mul_f32_e32 v5, v105, v154
	s_waitcnt vmcnt(27)
	v_fma_f32 v3, v102, v181, -v3
	v_fmac_f32_e32 v210, v103, v181
	v_add_f32_e32 v2, v2, v4
	v_add_f32_e32 v1, v1, v209
	;; [unrolled: 6-line block ×24, first 2 shown]
	s_waitcnt lgkmcnt(0)
	v_mul_f32_e32 v3, v151, v177
	s_waitcnt vmcnt(4)
	v_fma_f32 v4, v148, v204, -v4
	v_mul_f32_e32 v234, v150, v177
	v_add_f32_e32 v2, v2, v5
	v_fmac_f32_e32 v233, v149, v204
	v_add_f32_e32 v1, v1, v232
	v_mul_f32_e32 v5, v153, v178
	s_waitcnt vmcnt(3)
	v_fma_f32 v3, v150, v205, -v3
	v_add_f32_e32 v2, v2, v4
	v_mul_f32_e32 v235, v152, v178
	v_fmac_f32_e32 v234, v151, v205
	v_add_f32_e32 v1, v1, v233
	s_waitcnt vmcnt(2)
	v_fma_f32 v4, v152, v206, -v5
	v_add_f32_e32 v2, v2, v3
	v_fmac_f32_e32 v235, v153, v206
	v_add_f32_e32 v1, v1, v234
	v_add_f32_e32 v2, v2, v4
	;; [unrolled: 1-line block ×3, first 2 shown]
	s_waitcnt vmcnt(1)
	v_sub_f32_e32 v2, v207, v2
	s_waitcnt vmcnt(0)
	v_sub_f32_e32 v1, v208, v1
	buffer_store_dword v2, off, s[0:3], 0 offset:136
	buffer_store_dword v1, off, s[0:3], 0 offset:140
	v_cmpx_lt_u32_e32 16, v0
	s_cbranch_execz .LBB109_257
; %bb.256:
	s_clause 0x1
	buffer_load_dword v1, off, s[0:3], 0 offset:128
	buffer_load_dword v2, off, s[0:3], 0 offset:132
	v_mov_b32_e32 v3, 0
	buffer_store_dword v3, off, s[0:3], 0 offset:128
	buffer_store_dword v3, off, s[0:3], 0 offset:132
	s_waitcnt vmcnt(0)
	ds_write_b64 v101, v[1:2]
.LBB109_257:
	s_or_b32 exec_lo, exec_lo, s4
	s_waitcnt lgkmcnt(0)
	s_waitcnt_vscnt null, 0x0
	s_barrier
	buffer_gl0_inv
	s_clause 0x3b
	buffer_load_dword v8, off, s[0:3], 0 offset:140
	buffer_load_dword v154, off, s[0:3], 0 offset:148
	;; [unrolled: 1-line block ×60, first 2 shown]
	v_mov_b32_e32 v1, 0
	ds_read2_b64 v[2:5], v1 offset0:63 offset1:64
	ds_read2_b64 v[102:105], v1 offset0:65 offset1:66
	ds_read2_b64 v[106:109], v1 offset0:67 offset1:68
	ds_read2_b64 v[110:113], v1 offset0:69 offset1:70
	ds_read2_b64 v[114:117], v1 offset0:71 offset1:72
	ds_read2_b64 v[118:121], v1 offset0:73 offset1:74
	ds_read2_b64 v[122:125], v1 offset0:75 offset1:76
	ds_read2_b64 v[126:129], v1 offset0:77 offset1:78
	ds_read2_b64 v[130:133], v1 offset0:79 offset1:80
	ds_read2_b64 v[134:137], v1 offset0:81 offset1:82
	ds_read2_b64 v[138:141], v1 offset0:83 offset1:84
	ds_read2_b64 v[142:145], v1 offset0:85 offset1:86
	ds_read2_b64 v[146:149], v1 offset0:87 offset1:88
	ds_read2_b64 v[150:153], v1 offset0:89 offset1:90
	ds_read_b64 v[6:7], v1 offset:728
	s_mov_b32 s4, exec_lo
	s_waitcnt vmcnt(59) lgkmcnt(14)
	v_mul_f32_e32 v213, v2, v8
	v_mul_f32_e32 v8, v3, v8
	s_waitcnt vmcnt(58)
	v_mul_f32_e32 v214, v4, v154
	v_mul_f32_e32 v154, v5, v154
	s_waitcnt vmcnt(57) lgkmcnt(13)
	v_mul_f32_e32 v215, v102, v155
	s_waitcnt vmcnt(56)
	v_mul_f32_e32 v216, v104, v156
	s_waitcnt vmcnt(55) lgkmcnt(12)
	v_mul_f32_e32 v217, v106, v157
	s_waitcnt vmcnt(54)
	;; [unrolled: 4-line block ×13, first 2 shown]
	v_fma_f32 v2, v2, v182, -v8
	v_fmac_f32_e32 v213, v3, v182
	v_mul_f32_e32 v3, v103, v155
	s_waitcnt vmcnt(29)
	v_fma_f32 v4, v4, v183, -v154
	v_fmac_f32_e32 v214, v5, v183
	v_add_f32_e32 v2, 0, v2
	v_add_f32_e32 v5, 0, v213
	v_mul_f32_e32 v8, v105, v156
	s_waitcnt vmcnt(28)
	v_fma_f32 v3, v102, v184, -v3
	v_fmac_f32_e32 v215, v103, v184
	v_add_f32_e32 v2, v2, v4
	v_add_f32_e32 v4, v5, v214
	;; [unrolled: 6-line block ×25, first 2 shown]
	v_mul_f32_e32 v8, v153, v180
	s_waitcnt vmcnt(4)
	v_fma_f32 v4, v150, v208, -v4
	v_mul_f32_e32 v240, v152, v180
	v_add_f32_e32 v2, v2, v5
	v_fmac_f32_e32 v239, v151, v208
	v_add_f32_e32 v3, v3, v238
	s_waitcnt lgkmcnt(0)
	v_mul_f32_e32 v5, v7, v181
	s_waitcnt vmcnt(3)
	v_fma_f32 v8, v152, v209, -v8
	v_add_f32_e32 v2, v2, v4
	v_mul_f32_e32 v241, v6, v181
	v_fmac_f32_e32 v240, v153, v209
	v_add_f32_e32 v3, v3, v239
	s_waitcnt vmcnt(2)
	v_fma_f32 v4, v6, v210, -v5
	v_add_f32_e32 v2, v2, v8
	v_fmac_f32_e32 v241, v7, v210
	v_add_f32_e32 v3, v3, v240
	v_add_f32_e32 v2, v2, v4
	v_add_f32_e32 v3, v3, v241
	s_waitcnt vmcnt(1)
	v_sub_f32_e32 v2, v211, v2
	s_waitcnt vmcnt(0)
	v_sub_f32_e32 v3, v212, v3
	buffer_store_dword v2, off, s[0:3], 0 offset:128
	buffer_store_dword v3, off, s[0:3], 0 offset:132
	v_cmpx_lt_u32_e32 15, v0
	s_cbranch_execz .LBB109_259
; %bb.258:
	s_clause 0x1
	buffer_load_dword v2, off, s[0:3], 0 offset:120
	buffer_load_dword v3, off, s[0:3], 0 offset:124
	buffer_store_dword v1, off, s[0:3], 0 offset:120
	buffer_store_dword v1, off, s[0:3], 0 offset:124
	s_waitcnt vmcnt(0)
	ds_write_b64 v101, v[2:3]
.LBB109_259:
	s_or_b32 exec_lo, exec_lo, s4
	s_waitcnt lgkmcnt(0)
	s_waitcnt_vscnt null, 0x0
	s_barrier
	buffer_gl0_inv
	s_clause 0x3d
	buffer_load_dword v6, off, s[0:3], 0 offset:132
	buffer_load_dword v7, off, s[0:3], 0 offset:140
	;; [unrolled: 1-line block ×62, first 2 shown]
	ds_read_b128 v[2:5], v1 offset:496
	ds_read_b128 v[102:105], v1 offset:512
	;; [unrolled: 1-line block ×15, first 2 shown]
	s_mov_b32 s4, exec_lo
	s_waitcnt vmcnt(61) lgkmcnt(14)
	v_mul_f32_e32 v1, v2, v6
	v_mul_f32_e32 v6, v3, v6
	s_waitcnt vmcnt(60)
	v_mul_f32_e32 v217, v4, v7
	v_mul_f32_e32 v7, v5, v7
	s_waitcnt vmcnt(59) lgkmcnt(13)
	v_mul_f32_e32 v218, v102, v8
	s_waitcnt vmcnt(58)
	v_mul_f32_e32 v219, v104, v158
	s_waitcnt vmcnt(57) lgkmcnt(12)
	v_mul_f32_e32 v220, v106, v159
	s_waitcnt vmcnt(56)
	;; [unrolled: 4-line block ×13, first 2 shown]
	v_mul_f32_e32 v243, v152, v182
	s_waitcnt vmcnt(31)
	v_fma_f32 v2, v2, v185, -v6
	v_fmac_f32_e32 v1, v3, v185
	v_mul_f32_e32 v3, v103, v8
	s_waitcnt vmcnt(30)
	v_fma_f32 v4, v4, v186, -v7
	v_fmac_f32_e32 v217, v5, v186
	v_add_f32_e32 v2, 0, v2
	v_add_f32_e32 v1, 0, v1
	v_mul_f32_e32 v5, v105, v158
	s_waitcnt vmcnt(29)
	v_fma_f32 v3, v102, v187, -v3
	v_fmac_f32_e32 v218, v103, v187
	v_add_f32_e32 v2, v2, v4
	v_add_f32_e32 v1, v1, v217
	;; [unrolled: 6-line block ×26, first 2 shown]
	s_waitcnt lgkmcnt(0)
	v_mul_f32_e32 v4, v155, v183
	s_waitcnt vmcnt(4)
	v_fma_f32 v5, v152, v212, -v5
	v_mul_f32_e32 v244, v154, v183
	v_add_f32_e32 v2, v2, v3
	v_fmac_f32_e32 v243, v153, v212
	v_add_f32_e32 v1, v1, v242
	v_mul_f32_e32 v3, v157, v184
	s_waitcnt vmcnt(3)
	v_fma_f32 v4, v154, v213, -v4
	v_add_f32_e32 v2, v2, v5
	v_mul_f32_e32 v245, v156, v184
	v_fmac_f32_e32 v244, v155, v213
	v_add_f32_e32 v1, v1, v243
	s_waitcnt vmcnt(2)
	v_fma_f32 v3, v156, v214, -v3
	v_add_f32_e32 v2, v2, v4
	v_fmac_f32_e32 v245, v157, v214
	v_add_f32_e32 v1, v1, v244
	v_add_f32_e32 v2, v2, v3
	;; [unrolled: 1-line block ×3, first 2 shown]
	s_waitcnt vmcnt(1)
	v_sub_f32_e32 v2, v215, v2
	s_waitcnt vmcnt(0)
	v_sub_f32_e32 v1, v216, v1
	buffer_store_dword v2, off, s[0:3], 0 offset:120
	buffer_store_dword v1, off, s[0:3], 0 offset:124
	v_cmpx_lt_u32_e32 14, v0
	s_cbranch_execz .LBB109_261
; %bb.260:
	s_clause 0x1
	buffer_load_dword v1, off, s[0:3], 0 offset:112
	buffer_load_dword v2, off, s[0:3], 0 offset:116
	v_mov_b32_e32 v3, 0
	buffer_store_dword v3, off, s[0:3], 0 offset:112
	buffer_store_dword v3, off, s[0:3], 0 offset:116
	s_waitcnt vmcnt(0)
	ds_write_b64 v101, v[1:2]
.LBB109_261:
	s_or_b32 exec_lo, exec_lo, s4
	s_waitcnt lgkmcnt(0)
	s_waitcnt_vscnt null, 0x0
	s_barrier
	buffer_gl0_inv
	s_clause 0x3e
	buffer_load_dword v8, off, s[0:3], 0 offset:124
	buffer_load_dword v158, off, s[0:3], 0 offset:132
	;; [unrolled: 1-line block ×64, first 2 shown]
	v_mov_b32_e32 v1, 0
	ds_read2_b64 v[2:5], v1 offset0:61 offset1:62
	ds_read2_b64 v[102:105], v1 offset0:63 offset1:64
	;; [unrolled: 1-line block ×15, first 2 shown]
	ds_read_b64 v[6:7], v1 offset:728
	s_mov_b32 s4, exec_lo
	s_waitcnt vmcnt(62) lgkmcnt(15)
	v_mul_f32_e32 v221, v2, v8
	v_mul_f32_e32 v8, v3, v8
	;; [unrolled: 1-line block ×4, first 2 shown]
	s_waitcnt vmcnt(61) lgkmcnt(14)
	v_mul_f32_e32 v223, v102, v159
	s_waitcnt vmcnt(60)
	v_mul_f32_e32 v224, v104, v160
	s_waitcnt vmcnt(59) lgkmcnt(13)
	v_mul_f32_e32 v225, v106, v161
	s_waitcnt vmcnt(58)
	v_mul_f32_e32 v226, v108, v162
	;; [unrolled: 4-line block ×13, first 2 shown]
	s_waitcnt vmcnt(35) lgkmcnt(1)
	v_mul_f32_e32 v249, v154, v185
	s_waitcnt vmcnt(32)
	v_fma_f32 v2, v2, v188, -v8
	v_fmac_f32_e32 v221, v3, v188
	v_mul_f32_e32 v3, v103, v159
	s_waitcnt vmcnt(31)
	v_fma_f32 v4, v4, v189, -v158
	v_fmac_f32_e32 v222, v5, v189
	v_add_f32_e32 v2, 0, v2
	v_add_f32_e32 v5, 0, v221
	v_mul_f32_e32 v8, v105, v160
	s_waitcnt vmcnt(30)
	v_fma_f32 v3, v102, v190, -v3
	v_fmac_f32_e32 v223, v103, v190
	v_add_f32_e32 v2, v2, v4
	v_add_f32_e32 v4, v5, v222
	v_mul_f32_e32 v5, v107, v161
	s_waitcnt vmcnt(29)
	v_fma_f32 v8, v104, v191, -v8
	v_fmac_f32_e32 v224, v105, v191
	v_add_f32_e32 v2, v2, v3
	v_add_f32_e32 v3, v4, v223
	v_mul_f32_e32 v4, v109, v162
	s_waitcnt vmcnt(28)
	v_fma_f32 v5, v106, v192, -v5
	v_fmac_f32_e32 v225, v107, v192
	v_add_f32_e32 v2, v2, v8
	v_add_f32_e32 v3, v3, v224
	v_mul_f32_e32 v8, v111, v163
	s_waitcnt vmcnt(27)
	v_fma_f32 v4, v108, v193, -v4
	v_fmac_f32_e32 v226, v109, v193
	v_add_f32_e32 v2, v2, v5
	v_add_f32_e32 v3, v3, v225
	v_mul_f32_e32 v5, v113, v164
	s_waitcnt vmcnt(26)
	v_fma_f32 v8, v110, v194, -v8
	v_fmac_f32_e32 v227, v111, v194
	v_add_f32_e32 v2, v2, v4
	v_add_f32_e32 v3, v3, v226
	v_mul_f32_e32 v4, v115, v165
	s_waitcnt vmcnt(25)
	v_fma_f32 v5, v112, v195, -v5
	v_fmac_f32_e32 v228, v113, v195
	v_add_f32_e32 v2, v2, v8
	v_add_f32_e32 v3, v3, v227
	v_mul_f32_e32 v8, v117, v166
	s_waitcnt vmcnt(24)
	v_fma_f32 v4, v114, v196, -v4
	v_fmac_f32_e32 v229, v115, v196
	v_add_f32_e32 v2, v2, v5
	v_add_f32_e32 v3, v3, v228
	v_mul_f32_e32 v5, v119, v167
	s_waitcnt vmcnt(23)
	v_fma_f32 v8, v116, v197, -v8
	v_fmac_f32_e32 v230, v117, v197
	v_add_f32_e32 v2, v2, v4
	v_add_f32_e32 v3, v3, v229
	v_mul_f32_e32 v4, v121, v168
	s_waitcnt vmcnt(22)
	v_fma_f32 v5, v118, v198, -v5
	v_fmac_f32_e32 v231, v119, v198
	v_add_f32_e32 v2, v2, v8
	v_add_f32_e32 v3, v3, v230
	v_mul_f32_e32 v8, v123, v169
	s_waitcnt vmcnt(21)
	v_fma_f32 v4, v120, v199, -v4
	v_fmac_f32_e32 v232, v121, v199
	v_add_f32_e32 v2, v2, v5
	v_add_f32_e32 v3, v3, v231
	v_mul_f32_e32 v5, v125, v170
	s_waitcnt vmcnt(20)
	v_fma_f32 v8, v122, v200, -v8
	v_fmac_f32_e32 v233, v123, v200
	v_add_f32_e32 v2, v2, v4
	v_add_f32_e32 v3, v3, v232
	v_mul_f32_e32 v4, v127, v171
	s_waitcnt vmcnt(19)
	v_fma_f32 v5, v124, v201, -v5
	v_fmac_f32_e32 v234, v125, v201
	v_add_f32_e32 v2, v2, v8
	v_add_f32_e32 v3, v3, v233
	v_mul_f32_e32 v8, v129, v172
	s_waitcnt vmcnt(18)
	v_fma_f32 v4, v126, v202, -v4
	v_fmac_f32_e32 v235, v127, v202
	v_add_f32_e32 v2, v2, v5
	v_add_f32_e32 v3, v3, v234
	v_mul_f32_e32 v5, v131, v173
	s_waitcnt vmcnt(17)
	v_fma_f32 v8, v128, v203, -v8
	v_fmac_f32_e32 v236, v129, v203
	v_add_f32_e32 v2, v2, v4
	v_add_f32_e32 v3, v3, v235
	v_mul_f32_e32 v4, v133, v174
	s_waitcnt vmcnt(16)
	v_fma_f32 v5, v130, v204, -v5
	v_fmac_f32_e32 v237, v131, v204
	v_add_f32_e32 v2, v2, v8
	v_add_f32_e32 v3, v3, v236
	v_mul_f32_e32 v8, v135, v175
	s_waitcnt vmcnt(15)
	v_fma_f32 v4, v132, v205, -v4
	v_fmac_f32_e32 v238, v133, v205
	v_add_f32_e32 v2, v2, v5
	v_add_f32_e32 v3, v3, v237
	v_mul_f32_e32 v5, v137, v176
	s_waitcnt vmcnt(14)
	v_fma_f32 v8, v134, v206, -v8
	v_fmac_f32_e32 v239, v135, v206
	v_add_f32_e32 v2, v2, v4
	v_add_f32_e32 v3, v3, v238
	v_mul_f32_e32 v4, v139, v177
	s_waitcnt vmcnt(13)
	v_fma_f32 v5, v136, v207, -v5
	v_fmac_f32_e32 v240, v137, v207
	v_add_f32_e32 v2, v2, v8
	v_add_f32_e32 v3, v3, v239
	v_mul_f32_e32 v8, v141, v178
	s_waitcnt vmcnt(12)
	v_fma_f32 v4, v138, v208, -v4
	v_fmac_f32_e32 v241, v139, v208
	v_add_f32_e32 v2, v2, v5
	v_add_f32_e32 v3, v3, v240
	v_mul_f32_e32 v5, v143, v179
	s_waitcnt vmcnt(11)
	v_fma_f32 v8, v140, v209, -v8
	v_fmac_f32_e32 v242, v141, v209
	v_add_f32_e32 v2, v2, v4
	v_add_f32_e32 v3, v3, v241
	v_mul_f32_e32 v4, v145, v180
	s_waitcnt vmcnt(10)
	v_fma_f32 v5, v142, v210, -v5
	v_fmac_f32_e32 v243, v143, v210
	v_add_f32_e32 v2, v2, v8
	v_add_f32_e32 v3, v3, v242
	v_mul_f32_e32 v8, v147, v181
	s_waitcnt vmcnt(9)
	v_fma_f32 v4, v144, v211, -v4
	v_fmac_f32_e32 v244, v145, v211
	v_add_f32_e32 v2, v2, v5
	v_add_f32_e32 v3, v3, v243
	v_mul_f32_e32 v5, v149, v182
	s_waitcnt vmcnt(8)
	v_fma_f32 v8, v146, v212, -v8
	v_fmac_f32_e32 v245, v147, v212
	v_add_f32_e32 v2, v2, v4
	v_add_f32_e32 v3, v3, v244
	v_mul_f32_e32 v4, v151, v183
	s_waitcnt vmcnt(7)
	v_fma_f32 v5, v148, v213, -v5
	v_fmac_f32_e32 v246, v149, v213
	v_add_f32_e32 v2, v2, v8
	v_add_f32_e32 v3, v3, v245
	v_mul_f32_e32 v8, v153, v184
	s_waitcnt vmcnt(6)
	v_fma_f32 v4, v150, v214, -v4
	v_fmac_f32_e32 v247, v151, v214
	v_add_f32_e32 v2, v2, v5
	v_add_f32_e32 v3, v3, v246
	v_mul_f32_e32 v5, v155, v185
	s_waitcnt vmcnt(5)
	v_fma_f32 v8, v152, v215, -v8
	v_fmac_f32_e32 v248, v153, v215
	v_add_f32_e32 v2, v2, v4
	v_add_f32_e32 v3, v3, v247
	v_mul_f32_e32 v4, v157, v186
	s_waitcnt vmcnt(4)
	v_fma_f32 v5, v154, v216, -v5
	v_mul_f32_e32 v250, v156, v186
	v_add_f32_e32 v2, v2, v8
	v_fmac_f32_e32 v249, v155, v216
	v_add_f32_e32 v3, v3, v248
	s_waitcnt lgkmcnt(0)
	v_mul_f32_e32 v8, v7, v187
	s_waitcnt vmcnt(3)
	v_fma_f32 v4, v156, v217, -v4
	v_add_f32_e32 v2, v2, v5
	v_mul_f32_e32 v251, v6, v187
	v_fmac_f32_e32 v250, v157, v217
	v_add_f32_e32 v3, v3, v249
	s_waitcnt vmcnt(2)
	v_fma_f32 v5, v6, v218, -v8
	v_add_f32_e32 v2, v2, v4
	v_fmac_f32_e32 v251, v7, v218
	v_add_f32_e32 v3, v3, v250
	v_add_f32_e32 v2, v2, v5
	;; [unrolled: 1-line block ×3, first 2 shown]
	s_waitcnt vmcnt(1)
	v_sub_f32_e32 v2, v219, v2
	s_waitcnt vmcnt(0)
	v_sub_f32_e32 v3, v220, v3
	buffer_store_dword v2, off, s[0:3], 0 offset:112
	buffer_store_dword v3, off, s[0:3], 0 offset:116
	v_cmpx_lt_u32_e32 13, v0
	s_cbranch_execz .LBB109_263
; %bb.262:
	s_clause 0x1
	buffer_load_dword v2, off, s[0:3], 0 offset:104
	buffer_load_dword v3, off, s[0:3], 0 offset:108
	buffer_store_dword v1, off, s[0:3], 0 offset:104
	buffer_store_dword v1, off, s[0:3], 0 offset:108
	s_waitcnt vmcnt(0)
	ds_write_b64 v101, v[2:3]
.LBB109_263:
	s_or_b32 exec_lo, exec_lo, s4
	s_waitcnt lgkmcnt(0)
	s_waitcnt_vscnt null, 0x0
	s_barrier
	buffer_gl0_inv
	s_clause 0x23
	buffer_load_dword v3, off, s[0:3], 0 offset:116
	buffer_load_dword v4, off, s[0:3], 0 offset:124
	;; [unrolled: 1-line block ×36, first 2 shown]
	ds_read_b128 v[126:129], v1 offset:480
	ds_read_b128 v[130:133], v1 offset:496
	s_clause 0x1
	buffer_load_dword v147, off, s[0:3], 0 offset:244
	buffer_load_dword v148, off, s[0:3], 0 offset:252
	ds_read_b128 v[134:137], v1 offset:512
	ds_read_b128 v[138:141], v1 offset:528
	buffer_load_dword v149, off, s[0:3], 0 offset:108
	s_mov_b32 s4, exec_lo
	s_waitcnt vmcnt(38) lgkmcnt(3)
	v_mul_f32_e32 v150, v126, v3
	v_mul_f32_e32 v3, v127, v3
	s_waitcnt vmcnt(37)
	v_mul_f32_e32 v151, v128, v4
	v_mul_f32_e32 v4, v129, v4
	s_waitcnt vmcnt(36) lgkmcnt(2)
	v_mul_f32_e32 v152, v130, v5
	s_waitcnt vmcnt(33)
	v_fmac_f32_e32 v150, v127, v8
	v_fma_f32 v8, v126, v8, -v3
	v_mul_f32_e32 v3, v131, v5
	s_waitcnt vmcnt(32)
	v_mul_f32_e32 v5, v133, v7
	v_mul_f32_e32 v153, v132, v7
	v_fmac_f32_e32 v151, v129, v6
	v_fma_f32 v6, v128, v6, -v4
	v_fmac_f32_e32 v152, v131, v2
	v_fma_f32 v7, v130, v2, -v3
	s_waitcnt vmcnt(28)
	v_fma_f32 v130, v132, v109, -v5
	ds_read_b128 v[2:5], v1 offset:544
	ds_read_b128 v[126:129], v1 offset:560
	s_waitcnt vmcnt(27) lgkmcnt(3)
	v_mul_f32_e32 v131, v134, v108
	v_mul_f32_e32 v108, v135, v108
	v_fmac_f32_e32 v153, v133, v109
	s_waitcnt vmcnt(26)
	v_mul_f32_e32 v132, v136, v107
	v_mul_f32_e32 v107, v137, v107
	s_waitcnt vmcnt(25) lgkmcnt(2)
	v_mul_f32_e32 v133, v138, v105
	v_fmac_f32_e32 v131, v135, v104
	v_fma_f32 v134, v134, v104, -v108
	s_waitcnt vmcnt(24)
	v_mul_f32_e32 v135, v140, v106
	v_mul_f32_e32 v104, v139, v105
	;; [unrolled: 1-line block ×3, first 2 shown]
	v_fmac_f32_e32 v132, v137, v103
	v_fma_f32 v136, v136, v103, -v107
	v_fmac_f32_e32 v133, v139, v102
	s_waitcnt vmcnt(20)
	v_fmac_f32_e32 v135, v141, v117
	v_fma_f32 v137, v138, v102, -v104
	v_fma_f32 v117, v140, v117, -v105
	ds_read_b128 v[102:105], v1 offset:576
	ds_read_b128 v[106:109], v1 offset:592
	s_waitcnt vmcnt(19) lgkmcnt(3)
	v_mul_f32_e32 v138, v2, v115
	s_waitcnt vmcnt(18)
	v_mul_f32_e32 v139, v4, v116
	v_mul_f32_e32 v115, v3, v115
	;; [unrolled: 1-line block ×3, first 2 shown]
	buffer_load_dword v140, off, s[0:3], 0 offset:268
	v_fmac_f32_e32 v138, v3, v114
	v_fmac_f32_e32 v139, v5, v113
	v_fma_f32 v114, v2, v114, -v115
	v_fma_f32 v113, v4, v113, -v116
	s_clause 0x3
	buffer_load_dword v141, off, s[0:3], 0 offset:288
	buffer_load_dword v154, off, s[0:3], 0 offset:280
	buffer_load_dword v155, off, s[0:3], 0 offset:272
	buffer_load_dword v115, off, s[0:3], 0 offset:264
	s_waitcnt vmcnt(22) lgkmcnt(2)
	v_mul_f32_e32 v116, v126, v112
	v_mul_f32_e32 v2, v127, v112
	s_waitcnt vmcnt(21)
	v_mul_f32_e32 v3, v129, v111
	v_mul_f32_e32 v112, v128, v111
	v_fmac_f32_e32 v116, v127, v110
	v_fma_f32 v110, v126, v110, -v2
	buffer_load_dword v126, off, s[0:3], 0 offset:276
	s_waitcnt vmcnt(18)
	v_fma_f32 v111, v128, v125, -v3
	s_waitcnt vmcnt(17) lgkmcnt(1)
	v_mul_f32_e32 v128, v102, v123
	v_mul_f32_e32 v2, v103, v123
	v_fmac_f32_e32 v112, v129, v125
	s_clause 0x1
	buffer_load_dword v125, off, s[0:3], 0 offset:284
	buffer_load_dword v127, off, s[0:3], 0 offset:292
	s_waitcnt vmcnt(18)
	v_mul_f32_e32 v129, v104, v124
	v_mul_f32_e32 v3, v105, v124
	v_fmac_f32_e32 v128, v103, v121
	v_fma_f32 v121, v102, v121, -v2
	s_waitcnt vmcnt(16) lgkmcnt(0)
	v_mul_f32_e32 v2, v109, v120
	v_fmac_f32_e32 v129, v105, v119
	v_fma_f32 v119, v104, v119, -v3
	v_mul_f32_e32 v158, v108, v120
	v_add_f32_e32 v3, 0, v8
	s_waitcnt vmcnt(11)
	v_fma_f32 v120, v108, v146, -v2
	v_add_f32_e32 v2, 0, v150
	v_mul_f32_e32 v123, v106, v122
	v_mul_f32_e32 v4, v107, v122
	s_clause 0x5
	buffer_load_dword v122, off, s[0:3], 0 offset:300
	buffer_load_dword v124, off, s[0:3], 0 offset:308
	;; [unrolled: 1-line block ×6, first 2 shown]
	v_fmac_f32_e32 v158, v109, v146
	s_clause 0x2
	buffer_load_dword v146, off, s[0:3], 0 offset:348
	buffer_load_dword v161, off, s[0:3], 0 offset:356
	;; [unrolled: 1-line block ×3, first 2 shown]
	v_add_f32_e32 v2, v2, v151
	v_add_f32_e32 v3, v3, v6
	s_clause 0x3
	buffer_load_dword v6, off, s[0:3], 0 offset:320
	buffer_load_dword v150, off, s[0:3], 0 offset:312
	;; [unrolled: 1-line block ×4, first 2 shown]
	v_fmac_f32_e32 v123, v107, v118
	v_fma_f32 v118, v106, v118, -v4
	v_add_f32_e32 v2, v2, v152
	v_add_f32_e32 v3, v3, v7
	v_add_f32_e32 v2, v2, v153
	v_add_f32_e32 v3, v3, v130
	s_clause 0x3
	buffer_load_dword v7, off, s[0:3], 0 offset:352
	buffer_load_dword v130, off, s[0:3], 0 offset:344
	;; [unrolled: 1-line block ×4, first 2 shown]
	v_add_f32_e32 v2, v2, v131
	buffer_load_dword v131, off, s[0:3], 0 offset:360
	v_add_f32_e32 v3, v3, v134
	buffer_load_dword v134, off, s[0:3], 0 offset:104
	v_add_f32_e32 v2, v2, v132
	v_add_f32_e32 v3, v3, v136
	;; [unrolled: 1-line block ×4, first 2 shown]
	ds_read_b128 v[2:5], v1 offset:608
	v_add_f32_e32 v102, v102, v135
	v_add_f32_e32 v103, v103, v117
	;; [unrolled: 1-line block ×4, first 2 shown]
	ds_read_b128 v[102:105], v1 offset:624
	v_add_f32_e32 v106, v106, v139
	v_add_f32_e32 v107, v107, v113
	;; [unrolled: 1-line block ×4, first 2 shown]
	s_waitcnt vmcnt(29) lgkmcnt(1)
	v_mul_f32_e32 v132, v2, v147
	v_mul_f32_e32 v108, v3, v147
	s_waitcnt vmcnt(28)
	v_mul_f32_e32 v133, v4, v148
	v_mul_f32_e32 v109, v5, v148
	v_add_f32_e32 v112, v106, v112
	v_fmac_f32_e32 v132, v3, v145
	v_fma_f32 v135, v2, v145, -v108
	v_fmac_f32_e32 v133, v5, v144
	v_fma_f32 v136, v4, v144, -v109
	ds_read_b128 v[2:5], v1 offset:640
	ds_read_b128 v[106:109], v1 offset:656
	v_add_f32_e32 v110, v110, v111
	s_waitcnt lgkmcnt(2)
	v_mul_f32_e32 v137, v102, v143
	v_add_f32_e32 v111, v112, v128
	v_mul_f32_e32 v112, v103, v143
	v_add_f32_e32 v110, v110, v121
	v_fmac_f32_e32 v137, v103, v142
	v_add_f32_e32 v103, v111, v129
	v_fma_f32 v128, v102, v142, -v112
	v_add_f32_e32 v114, v110, v119
	v_add_f32_e32 v118, v114, v118
	s_waitcnt vmcnt(26)
	v_mul_f32_e32 v138, v104, v140
	v_mul_f32_e32 v113, v105, v140
	s_waitcnt vmcnt(22)
	v_fmac_f32_e32 v138, v105, v115
	v_fma_f32 v129, v104, v115, -v113
	v_add_f32_e32 v115, v103, v123
	ds_read_b128 v[102:105], v1 offset:672
	ds_read_b128 v[110:113], v1 offset:688
	v_add_f32_e32 v121, v115, v158
	s_waitcnt vmcnt(21) lgkmcnt(3)
	v_mul_f32_e32 v123, v2, v126
	v_mul_f32_e32 v119, v3, v126
	v_add_f32_e32 v126, v118, v120
	ds_read_b128 v[114:117], v1 offset:704
	v_fmac_f32_e32 v123, v3, v155
	v_fma_f32 v2, v2, v155, -v119
	v_add_f32_e32 v3, v121, v132
	ds_read_b128 v[118:121], v1 offset:720
	v_add_f32_e32 v1, v126, v135
	s_waitcnt vmcnt(20)
	v_mul_f32_e32 v126, v4, v125
	v_mul_f32_e32 v125, v5, v125
	v_add_f32_e32 v3, v3, v133
	s_waitcnt vmcnt(19) lgkmcnt(4)
	v_mul_f32_e32 v132, v106, v127
	v_add_f32_e32 v1, v1, v136
	v_mul_f32_e32 v127, v107, v127
	v_fma_f32 v4, v4, v154, -v125
	v_add_f32_e32 v3, v3, v137
	v_fmac_f32_e32 v126, v5, v154
	v_add_f32_e32 v1, v1, v128
	s_waitcnt vmcnt(18)
	v_mul_f32_e32 v133, v108, v122
	v_mul_f32_e32 v122, v109, v122
	v_add_f32_e32 v3, v3, v138
	v_fma_f32 v106, v106, v141, -v127
	v_add_f32_e32 v1, v1, v129
	v_fmac_f32_e32 v132, v107, v141
	s_waitcnt vmcnt(6)
	v_fma_f32 v107, v108, v162, -v122
	s_waitcnt lgkmcnt(3)
	v_mul_f32_e32 v5, v102, v124
	v_fmac_f32_e32 v133, v109, v162
	v_add_f32_e32 v1, v1, v2
	v_add_f32_e32 v2, v3, v123
	v_mul_f32_e32 v125, v104, v156
	v_fmac_f32_e32 v5, v103, v151
	s_waitcnt lgkmcnt(2)
	v_mul_f32_e32 v128, v110, v157
	v_add_f32_e32 v1, v1, v4
	v_add_f32_e32 v2, v2, v126
	v_mul_f32_e32 v4, v103, v124
	v_fmac_f32_e32 v125, v105, v150
	v_mul_f32_e32 v135, v112, v159
	v_add_f32_e32 v1, v1, v106
	v_add_f32_e32 v2, v2, v132
	v_mul_f32_e32 v106, v105, v156
	v_fma_f32 v4, v102, v151, -v4
	v_mul_f32_e32 v102, v111, v157
	v_add_f32_e32 v1, v1, v107
	v_add_f32_e32 v2, v2, v133
	v_fma_f32 v103, v104, v150, -v106
	v_fmac_f32_e32 v128, v111, v6
	s_waitcnt lgkmcnt(1)
	v_mul_f32_e32 v136, v114, v160
	v_add_f32_e32 v1, v1, v4
	v_add_f32_e32 v2, v2, v5
	v_mul_f32_e32 v4, v113, v159
	v_fma_f32 v5, v110, v6, -v102
	v_mul_f32_e32 v6, v115, v160
	v_add_f32_e32 v1, v1, v103
	v_add_f32_e32 v2, v2, v125
	s_waitcnt vmcnt(2)
	v_fma_f32 v4, v112, v153, -v4
	v_fmac_f32_e32 v135, v113, v153
	v_fma_f32 v6, v114, v152, -v6
	v_add_f32_e32 v1, v1, v5
	v_add_f32_e32 v2, v2, v128
	v_mul_f32_e32 v5, v117, v146
	v_mul_f32_e32 v129, v116, v146
	v_fmac_f32_e32 v136, v115, v152
	v_add_f32_e32 v1, v1, v4
	v_add_f32_e32 v2, v2, v135
	s_waitcnt lgkmcnt(0)
	v_mul_f32_e32 v4, v119, v161
	v_fma_f32 v5, v116, v130, -v5
	v_mul_f32_e32 v137, v118, v161
	v_add_f32_e32 v1, v1, v6
	v_fmac_f32_e32 v129, v117, v130
	v_add_f32_e32 v2, v2, v136
	v_mul_f32_e32 v6, v121, v8
	v_fma_f32 v4, v118, v7, -v4
	v_add_f32_e32 v1, v1, v5
	v_mul_f32_e32 v3, v120, v8
	v_fmac_f32_e32 v137, v119, v7
	v_add_f32_e32 v2, v2, v129
	s_waitcnt vmcnt(1)
	v_fma_f32 v5, v120, v131, -v6
	v_add_f32_e32 v1, v1, v4
	v_fmac_f32_e32 v3, v121, v131
	v_add_f32_e32 v2, v2, v137
	v_add_f32_e32 v1, v1, v5
	;; [unrolled: 1-line block ×3, first 2 shown]
	s_waitcnt vmcnt(0)
	v_sub_f32_e32 v1, v134, v1
	v_sub_f32_e32 v2, v149, v2
	buffer_store_dword v1, off, s[0:3], 0 offset:104
	buffer_store_dword v2, off, s[0:3], 0 offset:108
	v_cmpx_lt_u32_e32 12, v0
	s_cbranch_execz .LBB109_265
; %bb.264:
	s_clause 0x1
	buffer_load_dword v1, off, s[0:3], 0 offset:96
	buffer_load_dword v2, off, s[0:3], 0 offset:100
	v_mov_b32_e32 v3, 0
	buffer_store_dword v3, off, s[0:3], 0 offset:96
	buffer_store_dword v3, off, s[0:3], 0 offset:100
	s_waitcnt vmcnt(0)
	ds_write_b64 v101, v[1:2]
.LBB109_265:
	s_or_b32 exec_lo, exec_lo, s4
	s_waitcnt lgkmcnt(0)
	s_waitcnt_vscnt null, 0x0
	s_barrier
	buffer_gl0_inv
	s_clause 0x23
	buffer_load_dword v103, off, s[0:3], 0 offset:108
	buffer_load_dword v105, off, s[0:3], 0 offset:116
	;; [unrolled: 1-line block ×36, first 2 shown]
	v_mov_b32_e32 v102, 0
	ds_read2_b64 v[5:8], v102 offset0:59 offset1:60
	ds_read2_b64 v[1:4], v102 offset0:61 offset1:62
	buffer_load_dword v147, off, s[0:3], 0 offset:100
	ds_read2_b64 v[139:142], v102 offset0:63 offset1:64
	ds_read2_b64 v[143:146], v102 offset0:65 offset1:66
	s_mov_b32 s4, exec_lo
	s_waitcnt vmcnt(36) lgkmcnt(3)
	v_mul_f32_e32 v148, v5, v103
	s_waitcnt vmcnt(35)
	v_mul_f32_e32 v149, v7, v105
	v_mul_f32_e32 v103, v6, v103
	;; [unrolled: 1-line block ×3, first 2 shown]
	s_waitcnt vmcnt(34) lgkmcnt(2)
	v_mul_f32_e32 v150, v1, v106
	v_mul_f32_e32 v106, v2, v106
	s_waitcnt vmcnt(30)
	v_mul_f32_e32 v151, v3, v107
	v_mul_f32_e32 v107, v4, v107
	v_fmac_f32_e32 v148, v6, v109
	v_fmac_f32_e32 v149, v8, v108
	v_fma_f32 v109, v5, v109, -v103
	v_fma_f32 v108, v7, v108, -v105
	ds_read2_b64 v[5:8], v102 offset0:67 offset1:68
	v_fmac_f32_e32 v150, v2, v104
	v_fma_f32 v152, v1, v104, -v106
	ds_read2_b64 v[103:106], v102 offset0:69 offset1:70
	s_waitcnt vmcnt(26)
	v_fmac_f32_e32 v151, v4, v118
	v_fma_f32 v107, v3, v118, -v107
	s_waitcnt vmcnt(25) lgkmcnt(3)
	v_mul_f32_e32 v118, v139, v116
	s_waitcnt vmcnt(24)
	v_mul_f32_e32 v153, v141, v117
	v_mul_f32_e32 v1, v140, v116
	;; [unrolled: 1-line block ×3, first 2 shown]
	s_clause 0x1
	buffer_load_dword v116, off, s[0:3], 0 offset:244
	buffer_load_dword v117, off, s[0:3], 0 offset:252
	v_fmac_f32_e32 v118, v140, v113
	v_fmac_f32_e32 v153, v142, v111
	v_fma_f32 v113, v139, v113, -v1
	v_fma_f32 v111, v141, v111, -v2
	ds_read2_b64 v[1:4], v102 offset0:71 offset1:72
	s_waitcnt vmcnt(25) lgkmcnt(3)
	v_mul_f32_e32 v139, v143, v114
	v_mul_f32_e32 v114, v144, v114
	s_waitcnt vmcnt(24)
	v_mul_f32_e32 v140, v145, v112
	v_mul_f32_e32 v112, v146, v112
	s_waitcnt vmcnt(23) lgkmcnt(2)
	v_mul_f32_e32 v141, v5, v115
	v_fmac_f32_e32 v139, v144, v110
	v_fma_f32 v110, v143, v110, -v114
	s_waitcnt vmcnt(22)
	v_mul_f32_e32 v114, v7, v119
	v_mul_f32_e32 v115, v6, v115
	;; [unrolled: 1-line block ×3, first 2 shown]
	s_waitcnt vmcnt(18)
	v_fma_f32 v112, v145, v126, -v112
	v_fmac_f32_e32 v141, v6, v124
	v_fmac_f32_e32 v114, v8, v123
	v_fma_f32 v115, v5, v124, -v115
	v_fma_f32 v119, v7, v123, -v119
	s_clause 0x5
	buffer_load_dword v123, off, s[0:3], 0 offset:260
	buffer_load_dword v124, off, s[0:3], 0 offset:268
	;; [unrolled: 1-line block ×6, first 2 shown]
	v_fmac_f32_e32 v140, v146, v126
	s_waitcnt vmcnt(23) lgkmcnt(1)
	v_mul_f32_e32 v126, v103, v125
	v_mul_f32_e32 v125, v104, v125
	s_waitcnt vmcnt(22)
	v_mul_f32_e32 v146, v105, v121
	v_mul_f32_e32 v121, v106, v121
	ds_read2_b64 v[5:8], v102 offset0:73 offset1:74
	v_fmac_f32_e32 v126, v104, v120
	v_fma_f32 v103, v103, v120, -v125
	s_waitcnt vmcnt(18)
	v_fmac_f32_e32 v146, v106, v137
	v_fma_f32 v104, v105, v137, -v121
	s_waitcnt vmcnt(17) lgkmcnt(1)
	v_mul_f32_e32 v105, v1, v135
	v_mul_f32_e32 v106, v2, v135
	s_clause 0x1
	buffer_load_dword v125, off, s[0:3], 0 offset:276
	buffer_load_dword v135, off, s[0:3], 0 offset:284
	v_add_f32_e32 v109, 0, v109
	s_waitcnt vmcnt(18)
	v_mul_f32_e32 v120, v3, v136
	v_mul_f32_e32 v121, v4, v136
	v_fma_f32 v106, v1, v132, -v106
	v_add_f32_e32 v1, 0, v148
	v_add_f32_e32 v108, v109, v108
	v_fmac_f32_e32 v105, v2, v132
	v_fmac_f32_e32 v120, v4, v131
	v_fma_f32 v121, v3, v131, -v121
	v_add_f32_e32 v148, v1, v149
	s_clause 0x3
	buffer_load_dword v131, off, s[0:3], 0 offset:292
	buffer_load_dword v132, off, s[0:3], 0 offset:300
	;; [unrolled: 1-line block ×4, first 2 shown]
	ds_read2_b64 v[1:4], v102 offset0:75 offset1:76
	s_waitcnt vmcnt(21) lgkmcnt(1)
	v_mul_f32_e32 v149, v5, v130
	v_mul_f32_e32 v109, v6, v130
	v_add_f32_e32 v130, v148, v150
	s_waitcnt vmcnt(20)
	v_mul_f32_e32 v148, v7, v129
	v_mul_f32_e32 v129, v8, v129
	v_fmac_f32_e32 v149, v6, v127
	v_fma_f32 v127, v5, v127, -v109
	v_add_f32_e32 v5, v130, v151
	v_add_f32_e32 v108, v108, v152
	s_clause 0x3
	buffer_load_dword v130, off, s[0:3], 0 offset:324
	buffer_load_dword v150, off, s[0:3], 0 offset:332
	;; [unrolled: 1-line block ×4, first 2 shown]
	s_waitcnt vmcnt(20)
	v_fmac_f32_e32 v148, v8, v138
	v_fma_f32 v129, v7, v138, -v129
	v_add_f32_e32 v5, v5, v118
	s_clause 0x5
	buffer_load_dword v138, off, s[0:3], 0 offset:356
	buffer_load_dword v118, off, s[0:3], 0 offset:312
	;; [unrolled: 1-line block ×6, first 2 shown]
	v_add_f32_e32 v6, v108, v107
	v_add_f32_e32 v5, v5, v153
	s_waitcnt vmcnt(25) lgkmcnt(0)
	v_mul_f32_e32 v109, v2, v134
	v_add_f32_e32 v6, v6, v113
	v_add_f32_e32 v108, v5, v139
	v_mul_f32_e32 v139, v1, v134
	v_add_f32_e32 v107, v6, v111
	ds_read2_b64 v[5:8], v102 offset0:77 offset1:78
	v_add_f32_e32 v108, v108, v140
	v_fmac_f32_e32 v139, v2, v133
	v_fma_f32 v111, v1, v133, -v109
	v_add_f32_e32 v107, v107, v110
	v_add_f32_e32 v2, v108, v141
	s_clause 0x5
	buffer_load_dword v133, off, s[0:3], 0 offset:344
	buffer_load_dword v134, off, s[0:3], 0 offset:336
	;; [unrolled: 1-line block ×6, first 2 shown]
	v_add_f32_e32 v1, v107, v112
	v_add_f32_e32 v2, v2, v114
	;; [unrolled: 1-line block ×5, first 2 shown]
	buffer_load_dword v119, off, s[0:3], 0 offset:96
	v_add_f32_e32 v107, v107, v146
	v_add_f32_e32 v103, v1, v103
	;; [unrolled: 1-line block ×6, first 2 shown]
	ds_read2_b64 v[103:106], v102 offset0:81 offset1:82
	v_add_f32_e32 v113, v113, v149
	v_add_f32_e32 v112, v109, v121
	;; [unrolled: 1-line block ×4, first 2 shown]
	s_waitcnt vmcnt(30)
	v_mul_f32_e32 v126, v3, v116
	v_mul_f32_e32 v2, v4, v116
	s_waitcnt vmcnt(29) lgkmcnt(1)
	v_mul_f32_e32 v108, v6, v117
	v_fmac_f32_e32 v126, v4, v128
	v_fma_f32 v115, v3, v128, -v2
	ds_read2_b64 v[1:4], v102 offset0:79 offset1:80
	v_mul_f32_e32 v128, v5, v117
	v_fmac_f32_e32 v128, v6, v122
	v_fma_f32 v122, v5, v122, -v108
	s_waitcnt vmcnt(28)
	v_mul_f32_e32 v117, v7, v123
	v_mul_f32_e32 v110, v8, v123
	s_waitcnt vmcnt(23)
	v_fmac_f32_e32 v117, v8, v145
	v_fma_f32 v121, v7, v145, -v110
	ds_read2_b64 v[5:8], v102 offset0:83 offset1:84
	ds_read2_b64 v[107:110], v102 offset0:85 offset1:86
	s_waitcnt lgkmcnt(2)
	v_mul_f32_e32 v114, v2, v124
	v_mul_f32_e32 v120, v1, v124
	v_fma_f32 v124, v1, v144, -v114
	v_add_f32_e32 v1, v113, v148
	s_waitcnt vmcnt(22)
	v_mul_f32_e32 v123, v3, v125
	v_mul_f32_e32 v116, v4, v125
	v_add_f32_e32 v125, v112, v111
	v_fmac_f32_e32 v120, v2, v144
	v_add_f32_e32 v129, v1, v139
	v_fmac_f32_e32 v123, v4, v143
	v_fma_f32 v127, v3, v143, -v116
	v_add_f32_e32 v125, v125, v115
	s_waitcnt vmcnt(21)
	v_mul_f32_e32 v139, v103, v135
	v_add_f32_e32 v126, v129, v126
	s_waitcnt vmcnt(20)
	v_mul_f32_e32 v129, v105, v131
	v_mul_f32_e32 v131, v106, v131
	v_add_f32_e32 v122, v125, v122
	v_mul_f32_e32 v125, v104, v135
	v_add_f32_e32 v126, v126, v128
	v_fmac_f32_e32 v139, v104, v142
	ds_read2_b64 v[111:114], v102 offset0:87 offset1:88
	ds_read2_b64 v[1:4], v102 offset0:89 offset1:90
	v_add_f32_e32 v121, v122, v121
	v_add_f32_e32 v117, v126, v117
	v_fma_f32 v103, v103, v142, -v125
	s_waitcnt vmcnt(19) lgkmcnt(3)
	v_mul_f32_e32 v128, v5, v132
	s_waitcnt vmcnt(18)
	v_mul_f32_e32 v122, v7, v136
	v_add_f32_e32 v121, v121, v124
	v_add_f32_e32 v117, v117, v120
	s_waitcnt vmcnt(17) lgkmcnt(2)
	v_mul_f32_e32 v135, v107, v137
	s_waitcnt vmcnt(9)
	v_fmac_f32_e32 v128, v6, v155
	s_waitcnt vmcnt(8)
	v_fma_f32 v105, v105, v156, -v131
	v_add_f32_e32 v121, v121, v127
	v_add_f32_e32 v117, v117, v123
	v_mul_f32_e32 v127, v6, v132
	v_fmac_f32_e32 v129, v106, v156
	v_fmac_f32_e32 v122, v8, v154
	v_add_f32_e32 v103, v121, v103
	v_add_f32_e32 v106, v117, v139
	v_mul_f32_e32 v117, v8, v136
	v_fma_f32 v5, v5, v155, -v127
	v_mul_f32_e32 v8, v110, v130
	v_add_f32_e32 v6, v103, v105
	v_add_f32_e32 v103, v106, v129
	v_mul_f32_e32 v105, v108, v137
	v_fma_f32 v7, v7, v154, -v117
	v_mul_f32_e32 v126, v109, v130
	v_add_f32_e32 v5, v6, v5
	v_add_f32_e32 v6, v103, v128
	v_fma_f32 v103, v107, v118, -v105
	v_fmac_f32_e32 v135, v108, v118
	ds_read_b64 v[115:116], v102 offset:728
	v_add_f32_e32 v5, v5, v7
	v_add_f32_e32 v6, v6, v122
	s_waitcnt lgkmcnt(2)
	v_mul_f32_e32 v7, v112, v150
	s_waitcnt vmcnt(3)
	v_fma_f32 v8, v109, v141, -v8
	v_mul_f32_e32 v124, v111, v150
	v_add_f32_e32 v5, v5, v103
	v_fmac_f32_e32 v126, v110, v141
	v_add_f32_e32 v6, v6, v135
	v_mul_f32_e32 v103, v114, v151
	v_fma_f32 v7, v111, v140, -v7
	v_add_f32_e32 v5, v5, v8
	v_mul_f32_e32 v104, v113, v151
	v_fmac_f32_e32 v124, v112, v140
	v_add_f32_e32 v6, v6, v126
	s_waitcnt lgkmcnt(1)
	v_mul_f32_e32 v120, v1, v152
	v_mul_f32_e32 v8, v2, v152
	v_fma_f32 v103, v113, v134, -v103
	v_add_f32_e32 v5, v5, v7
	v_fmac_f32_e32 v104, v114, v134
	v_add_f32_e32 v6, v6, v124
	v_mul_f32_e32 v7, v4, v138
	v_fmac_f32_e32 v120, v2, v133
	v_fma_f32 v1, v1, v133, -v8
	v_add_f32_e32 v2, v5, v103
	v_mul_f32_e32 v125, v3, v138
	v_add_f32_e32 v5, v6, v104
	s_waitcnt lgkmcnt(0)
	v_mul_f32_e32 v6, v116, v157
	s_waitcnt vmcnt(1)
	v_fma_f32 v3, v3, v158, -v7
	v_add_f32_e32 v1, v2, v1
	v_mul_f32_e32 v123, v115, v157
	v_fmac_f32_e32 v125, v4, v158
	v_add_f32_e32 v2, v5, v120
	v_fma_f32 v4, v115, v153, -v6
	v_add_f32_e32 v1, v1, v3
	v_fmac_f32_e32 v123, v116, v153
	v_add_f32_e32 v2, v2, v125
	v_add_f32_e32 v1, v1, v4
	;; [unrolled: 1-line block ×3, first 2 shown]
	s_waitcnt vmcnt(0)
	v_sub_f32_e32 v1, v119, v1
	v_sub_f32_e32 v2, v147, v2
	buffer_store_dword v1, off, s[0:3], 0 offset:96
	buffer_store_dword v2, off, s[0:3], 0 offset:100
	v_cmpx_lt_u32_e32 11, v0
	s_cbranch_execz .LBB109_267
; %bb.266:
	s_clause 0x1
	buffer_load_dword v1, off, s[0:3], 0 offset:88
	buffer_load_dword v2, off, s[0:3], 0 offset:92
	buffer_store_dword v102, off, s[0:3], 0 offset:88
	buffer_store_dword v102, off, s[0:3], 0 offset:92
	s_waitcnt vmcnt(0)
	ds_write_b64 v101, v[1:2]
.LBB109_267:
	s_or_b32 exec_lo, exec_lo, s4
	s_waitcnt lgkmcnt(0)
	s_waitcnt_vscnt null, 0x0
	s_barrier
	buffer_gl0_inv
	s_clause 0x23
	buffer_load_dword v137, off, s[0:3], 0 offset:100
	buffer_load_dword v138, off, s[0:3], 0 offset:108
	buffer_load_dword v103, off, s[0:3], 0 offset:112
	buffer_load_dword v108, off, s[0:3], 0 offset:104
	buffer_load_dword v109, off, s[0:3], 0 offset:96
	buffer_load_dword v106, off, s[0:3], 0 offset:116
	buffer_load_dword v105, off, s[0:3], 0 offset:124
	buffer_load_dword v104, off, s[0:3], 0 offset:132
	buffer_load_dword v107, off, s[0:3], 0 offset:140
	buffer_load_dword v110, off, s[0:3], 0 offset:144
	buffer_load_dword v113, off, s[0:3], 0 offset:136
	buffer_load_dword v114, off, s[0:3], 0 offset:128
	buffer_load_dword v115, off, s[0:3], 0 offset:120
	buffer_load_dword v111, off, s[0:3], 0 offset:148
	buffer_load_dword v112, off, s[0:3], 0 offset:156
	buffer_load_dword v116, off, s[0:3], 0 offset:164
	buffer_load_dword v117, off, s[0:3], 0 offset:176
	buffer_load_dword v118, off, s[0:3], 0 offset:168
	buffer_load_dword v121, off, s[0:3], 0 offset:160
	buffer_load_dword v126, off, s[0:3], 0 offset:152
	buffer_load_dword v122, off, s[0:3], 0 offset:172
	buffer_load_dword v119, off, s[0:3], 0 offset:180
	buffer_load_dword v120, off, s[0:3], 0 offset:188
	buffer_load_dword v124, off, s[0:3], 0 offset:208
	buffer_load_dword v129, off, s[0:3], 0 offset:200
	buffer_load_dword v130, off, s[0:3], 0 offset:192
	buffer_load_dword v135, off, s[0:3], 0 offset:184
	buffer_load_dword v132, off, s[0:3], 0 offset:196
	buffer_load_dword v133, off, s[0:3], 0 offset:204
	buffer_load_dword v127, off, s[0:3], 0 offset:212
	buffer_load_dword v125, off, s[0:3], 0 offset:220
	buffer_load_dword v123, off, s[0:3], 0 offset:240
	buffer_load_dword v128, off, s[0:3], 0 offset:232
	buffer_load_dword v131, off, s[0:3], 0 offset:224
	buffer_load_dword v136, off, s[0:3], 0 offset:216
	buffer_load_dword v134, off, s[0:3], 0 offset:228
	ds_read_b128 v[5:8], v102 offset:464
	ds_read_b128 v[1:4], v102 offset:480
	;; [unrolled: 1-line block ×3, first 2 shown]
	s_clause 0x1
	buffer_load_dword v147, off, s[0:3], 0 offset:236
	buffer_load_dword v148, off, s[0:3], 0 offset:244
	ds_read_b128 v[143:146], v102 offset:512
	buffer_load_dword v151, off, s[0:3], 0 offset:92
	s_mov_b32 s4, exec_lo
	s_waitcnt vmcnt(38) lgkmcnt(3)
	v_mul_f32_e32 v149, v5, v137
	s_waitcnt vmcnt(37)
	v_mul_f32_e32 v150, v7, v138
	v_mul_f32_e32 v137, v6, v137
	;; [unrolled: 1-line block ×3, first 2 shown]
	s_waitcnt vmcnt(34)
	v_fmac_f32_e32 v149, v6, v109
	v_fmac_f32_e32 v150, v8, v108
	v_fma_f32 v109, v5, v109, -v137
	v_fma_f32 v108, v7, v108, -v138
	ds_read_b128 v[5:8], v102 offset:528
	s_waitcnt vmcnt(33) lgkmcnt(3)
	v_mul_f32_e32 v137, v1, v106
	v_mul_f32_e32 v106, v2, v106
	s_waitcnt vmcnt(32)
	v_mul_f32_e32 v138, v3, v105
	v_mul_f32_e32 v105, v4, v105
	s_waitcnt vmcnt(31) lgkmcnt(2)
	v_mul_f32_e32 v152, v139, v104
	v_fmac_f32_e32 v137, v2, v103
	v_fma_f32 v153, v1, v103, -v106
	s_waitcnt vmcnt(30)
	v_mul_f32_e32 v154, v141, v107
	v_mul_f32_e32 v103, v140, v104
	;; [unrolled: 1-line block ×3, first 2 shown]
	s_waitcnt vmcnt(26)
	v_fmac_f32_e32 v138, v4, v115
	v_fma_f32 v107, v3, v115, -v105
	ds_read_b128 v[1:4], v102 offset:544
	v_fmac_f32_e32 v152, v140, v114
	v_fma_f32 v114, v139, v114, -v103
	s_waitcnt vmcnt(25) lgkmcnt(2)
	v_mul_f32_e32 v115, v143, v111
	s_waitcnt vmcnt(24)
	v_mul_f32_e32 v139, v145, v112
	v_mul_f32_e32 v111, v144, v111
	v_mul_f32_e32 v112, v146, v112
	v_fmac_f32_e32 v154, v142, v113
	v_fma_f32 v113, v141, v113, -v104
	ds_read_b128 v[103:106], v102 offset:560
	v_fmac_f32_e32 v115, v144, v110
	s_waitcnt vmcnt(19)
	v_fmac_f32_e32 v139, v146, v126
	v_fma_f32 v110, v143, v110, -v111
	v_fma_f32 v111, v145, v126, -v112
	s_clause 0x4
	buffer_load_dword v112, off, s[0:3], 0 offset:252
	buffer_load_dword v126, off, s[0:3], 0 offset:272
	;; [unrolled: 1-line block ×5, first 2 shown]
	s_waitcnt lgkmcnt(2)
	v_mul_f32_e32 v140, v5, v116
	v_mul_f32_e32 v116, v6, v116
	s_waitcnt vmcnt(23)
	v_mul_f32_e32 v144, v7, v122
	v_mul_f32_e32 v122, v8, v122
	v_fmac_f32_e32 v140, v6, v121
	v_fma_f32 v5, v5, v121, -v116
	s_waitcnt vmcnt(22) lgkmcnt(1)
	v_mul_f32_e32 v116, v1, v119
	v_fmac_f32_e32 v144, v8, v118
	v_fma_f32 v118, v7, v118, -v122
	s_waitcnt vmcnt(21)
	v_mul_f32_e32 v121, v3, v120
	v_mul_f32_e32 v6, v2, v119
	v_mul_f32_e32 v7, v4, v120
	s_clause 0x2
	buffer_load_dword v119, off, s[0:3], 0 offset:260
	buffer_load_dword v120, off, s[0:3], 0 offset:268
	;; [unrolled: 1-line block ×3, first 2 shown]
	v_fmac_f32_e32 v116, v2, v117
	s_waitcnt vmcnt(20)
	v_fmac_f32_e32 v121, v4, v135
	v_fma_f32 v117, v1, v117, -v6
	v_fma_f32 v135, v3, v135, -v7
	ds_read_b128 v[1:4], v102 offset:576
	v_add_f32_e32 v6, 0, v149
	v_add_f32_e32 v7, 0, v109
	s_waitcnt vmcnt(19) lgkmcnt(1)
	v_mul_f32_e32 v145, v103, v132
	s_waitcnt vmcnt(18)
	v_mul_f32_e32 v146, v105, v133
	v_mul_f32_e32 v8, v104, v132
	v_add_f32_e32 v6, v6, v150
	v_mul_f32_e32 v109, v106, v133
	v_add_f32_e32 v7, v7, v108
	v_fmac_f32_e32 v145, v104, v130
	v_fmac_f32_e32 v146, v106, v129
	v_add_f32_e32 v6, v6, v137
	v_fma_f32 v103, v103, v130, -v8
	v_fma_f32 v108, v105, v129, -v109
	v_add_f32_e32 v7, v7, v153
	s_clause 0x7
	buffer_load_dword v129, off, s[0:3], 0 offset:284
	buffer_load_dword v130, off, s[0:3], 0 offset:292
	;; [unrolled: 1-line block ×8, first 2 shown]
	v_add_f32_e32 v6, v6, v138
	v_add_f32_e32 v7, v7, v107
	s_waitcnt vmcnt(25) lgkmcnt(0)
	v_mul_f32_e32 v8, v2, v127
	v_mul_f32_e32 v109, v1, v127
	s_clause 0x3
	buffer_load_dword v127, off, s[0:3], 0 offset:316
	buffer_load_dword v138, off, s[0:3], 0 offset:324
	;; [unrolled: 1-line block ×4, first 2 shown]
	v_fma_f32 v107, v1, v124, -v8
	v_add_f32_e32 v1, v6, v152
	v_fmac_f32_e32 v109, v2, v124
	v_add_f32_e32 v6, v7, v114
	s_waitcnt vmcnt(28)
	v_mul_f32_e32 v114, v3, v125
	v_mul_f32_e32 v2, v4, v125
	v_add_f32_e32 v7, v1, v154
	s_clause 0x2
	buffer_load_dword v124, off, s[0:3], 0 offset:348
	buffer_load_dword v152, off, s[0:3], 0 offset:356
	;; [unrolled: 1-line block ×3, first 2 shown]
	s_waitcnt vmcnt(27)
	v_fmac_f32_e32 v114, v4, v136
	v_fma_f32 v136, v3, v136, -v2
	ds_read_b128 v[1:4], v102 offset:592
	v_add_f32_e32 v7, v7, v115
	v_add_f32_e32 v6, v6, v113
	;; [unrolled: 1-line block ×3, first 2 shown]
	s_clause 0x3
	buffer_load_dword v139, off, s[0:3], 0 offset:336
	buffer_load_dword v154, off, s[0:3], 0 offset:328
	;; [unrolled: 1-line block ×4, first 2 shown]
	v_add_f32_e32 v6, v6, v110
	v_add_f32_e32 v104, v7, v140
	;; [unrolled: 1-line block ×5, first 2 shown]
	ds_read_b128 v[5:8], v102 offset:608
	s_waitcnt vmcnt(30) lgkmcnt(1)
	v_mul_f32_e32 v111, v1, v134
	v_mul_f32_e32 v106, v2, v134
	s_waitcnt vmcnt(29)
	v_mul_f32_e32 v115, v3, v147
	v_fmac_f32_e32 v111, v2, v131
	v_fma_f32 v113, v1, v131, -v106
	s_clause 0x3
	buffer_load_dword v131, off, s[0:3], 0 offset:360
	buffer_load_dword v134, off, s[0:3], 0 offset:352
	;; [unrolled: 1-line block ×4, first 2 shown]
	v_add_f32_e32 v1, v105, v118
	v_add_f32_e32 v2, v104, v116
	v_mul_f32_e32 v104, v4, v147
	v_fmac_f32_e32 v115, v4, v128
	v_add_f32_e32 v1, v1, v117
	v_add_f32_e32 v2, v2, v121
	v_fma_f32 v116, v3, v128, -v104
	v_add_f32_e32 v105, v1, v135
	v_add_f32_e32 v110, v2, v145
	ds_read_b128 v[1:4], v102 offset:624
	s_waitcnt vmcnt(32) lgkmcnt(1)
	v_mul_f32_e32 v118, v5, v148
	v_mul_f32_e32 v121, v6, v148
	v_add_f32_e32 v117, v105, v103
	ds_read_b128 v[103:106], v102 offset:640
	v_add_f32_e32 v110, v110, v146
	v_fmac_f32_e32 v118, v6, v123
	v_fma_f32 v121, v5, v123, -v121
	v_add_f32_e32 v108, v117, v108
	v_add_f32_e32 v117, v110, v109
	;; [unrolled: 1-line block ×5, first 2 shown]
	s_waitcnt vmcnt(30)
	v_mul_f32_e32 v128, v7, v112
	v_mul_f32_e32 v112, v8, v112
	s_waitcnt vmcnt(26)
	v_fmac_f32_e32 v128, v8, v143
	v_fma_f32 v123, v7, v143, -v112
	v_add_f32_e32 v112, v108, v107
	ds_read_b128 v[5:8], v102 offset:656
	ds_read_b128 v[107:110], v102 offset:672
	v_add_f32_e32 v112, v112, v136
	s_waitcnt vmcnt(25) lgkmcnt(3)
	v_mul_f32_e32 v135, v1, v119
	v_mul_f32_e32 v117, v2, v119
	s_waitcnt vmcnt(24)
	v_mul_f32_e32 v136, v3, v120
	v_mul_f32_e32 v119, v4, v120
	s_waitcnt vmcnt(23) lgkmcnt(2)
	v_mul_f32_e32 v120, v103, v122
	v_fmac_f32_e32 v135, v2, v142
	v_fma_f32 v142, v1, v142, -v117
	v_add_f32_e32 v117, v112, v113
	v_fmac_f32_e32 v136, v4, v141
	v_fma_f32 v119, v3, v141, -v119
	v_mul_f32_e32 v122, v104, v122
	ds_read_b128 v[1:4], v102 offset:688
	ds_read_b128 v[111:114], v102 offset:704
	v_add_f32_e32 v141, v117, v116
	v_fmac_f32_e32 v120, v104, v126
	v_add_f32_e32 v104, v115, v118
	ds_read_b128 v[115:118], v102 offset:720
	v_fma_f32 v103, v103, v126, -v122
	v_add_f32_e32 v102, v141, v121
	s_waitcnt vmcnt(22)
	v_mul_f32_e32 v122, v106, v129
	v_add_f32_e32 v104, v104, v128
	v_mul_f32_e32 v121, v105, v129
	s_waitcnt vmcnt(21) lgkmcnt(4)
	v_mul_f32_e32 v126, v5, v130
	v_add_f32_e32 v102, v102, v123
	v_mul_f32_e32 v128, v6, v130
	v_add_f32_e32 v104, v104, v135
	s_waitcnt vmcnt(15)
	v_fma_f32 v105, v105, v153, -v122
	v_fmac_f32_e32 v121, v106, v153
	v_add_f32_e32 v102, v102, v142
	v_fmac_f32_e32 v126, v6, v150
	v_add_f32_e32 v104, v104, v136
	v_fma_f32 v5, v5, v150, -v128
	v_mul_f32_e32 v123, v7, v132
	v_add_f32_e32 v102, v102, v119
	v_mul_f32_e32 v119, v8, v132
	s_waitcnt lgkmcnt(3)
	v_mul_f32_e32 v106, v107, v133
	s_waitcnt vmcnt(14)
	v_mul_f32_e32 v122, v109, v127
	v_fmac_f32_e32 v123, v8, v149
	v_add_f32_e32 v102, v102, v103
	v_add_f32_e32 v103, v104, v120
	v_fma_f32 v7, v7, v149, -v119
	v_mul_f32_e32 v8, v110, v127
	v_fmac_f32_e32 v106, v108, v137
	v_add_f32_e32 v6, v102, v105
	v_add_f32_e32 v102, v103, v121
	v_mul_f32_e32 v103, v108, v133
	s_waitcnt vmcnt(13) lgkmcnt(2)
	v_mul_f32_e32 v129, v1, v138
	s_waitcnt vmcnt(12)
	v_mul_f32_e32 v130, v3, v155
	v_add_f32_e32 v5, v6, v5
	v_add_f32_e32 v6, v102, v126
	v_fma_f32 v102, v107, v137, -v103
	s_waitcnt vmcnt(4)
	v_fma_f32 v8, v109, v158, -v8
	v_fmac_f32_e32 v122, v110, v158
	v_add_f32_e32 v5, v5, v7
	v_add_f32_e32 v6, v6, v123
	v_mul_f32_e32 v7, v2, v138
	v_fmac_f32_e32 v129, v2, v157
	s_waitcnt lgkmcnt(1)
	v_mul_f32_e32 v135, v111, v156
	v_add_f32_e32 v5, v5, v102
	v_add_f32_e32 v6, v6, v106
	v_mul_f32_e32 v102, v4, v155
	v_fma_f32 v1, v1, v157, -v7
	v_fmac_f32_e32 v130, v4, v154
	v_add_f32_e32 v2, v5, v8
	v_add_f32_e32 v5, v6, v122
	v_mul_f32_e32 v6, v112, v156
	v_fma_f32 v3, v3, v154, -v102
	v_mul_f32_e32 v4, v114, v124
	v_add_f32_e32 v1, v2, v1
	v_add_f32_e32 v2, v5, v129
	v_fma_f32 v5, v111, v139, -v6
	v_mul_f32_e32 v132, v113, v124
	v_fmac_f32_e32 v135, v112, v139
	v_add_f32_e32 v1, v1, v3
	v_add_f32_e32 v2, v2, v130
	s_waitcnt lgkmcnt(0)
	v_mul_f32_e32 v3, v116, v152
	s_waitcnt vmcnt(1)
	v_fma_f32 v4, v113, v140, -v4
	v_mul_f32_e32 v136, v115, v152
	v_add_f32_e32 v1, v1, v5
	v_fmac_f32_e32 v132, v114, v140
	v_add_f32_e32 v2, v2, v135
	v_mul_f32_e32 v5, v118, v125
	v_fma_f32 v3, v115, v134, -v3
	v_add_f32_e32 v1, v1, v4
	v_mul_f32_e32 v104, v117, v125
	v_fmac_f32_e32 v136, v116, v134
	v_add_f32_e32 v2, v2, v132
	v_fma_f32 v4, v117, v131, -v5
	v_add_f32_e32 v1, v1, v3
	v_fmac_f32_e32 v104, v118, v131
	v_add_f32_e32 v2, v2, v136
	v_add_f32_e32 v1, v1, v4
	;; [unrolled: 1-line block ×3, first 2 shown]
	s_waitcnt vmcnt(0)
	v_sub_f32_e32 v1, v144, v1
	v_sub_f32_e32 v2, v151, v2
	buffer_store_dword v1, off, s[0:3], 0 offset:88
	buffer_store_dword v2, off, s[0:3], 0 offset:92
	v_cmpx_lt_u32_e32 10, v0
	s_cbranch_execz .LBB109_269
; %bb.268:
	s_clause 0x1
	buffer_load_dword v1, off, s[0:3], 0 offset:80
	buffer_load_dword v2, off, s[0:3], 0 offset:84
	v_mov_b32_e32 v3, 0
	buffer_store_dword v3, off, s[0:3], 0 offset:80
	buffer_store_dword v3, off, s[0:3], 0 offset:84
	s_waitcnt vmcnt(0)
	ds_write_b64 v101, v[1:2]
.LBB109_269:
	s_or_b32 exec_lo, exec_lo, s4
	s_waitcnt lgkmcnt(0)
	s_waitcnt_vscnt null, 0x0
	s_barrier
	buffer_gl0_inv
	s_clause 0x2a
	buffer_load_dword v7, off, s[0:3], 0 offset:92
	buffer_load_dword v8, off, s[0:3], 0 offset:100
	;; [unrolled: 1-line block ×43, first 2 shown]
	v_mov_b32_e32 v1, 0
	ds_read2_b64 v[134:137], v1 offset0:57 offset1:58
	ds_read2_b64 v[138:141], v1 offset0:59 offset1:60
	;; [unrolled: 1-line block ×3, first 2 shown]
	buffer_load_dword v152, off, s[0:3], 0 offset:84
	s_mov_b32 s4, exec_lo
	s_waitcnt vmcnt(43) lgkmcnt(2)
	v_mul_f32_e32 v150, v134, v7
	s_waitcnt vmcnt(42)
	v_mul_f32_e32 v151, v136, v8
	v_mul_f32_e32 v7, v135, v7
	;; [unrolled: 1-line block ×3, first 2 shown]
	s_waitcnt vmcnt(39)
	v_fmac_f32_e32 v150, v135, v6
	v_fmac_f32_e32 v151, v137, v5
	v_fma_f32 v153, v134, v6, -v7
	v_fma_f32 v154, v136, v5, -v8
	ds_read2_b64 v[5:8], v1 offset0:63 offset1:64
	ds_read2_b64 v[134:137], v1 offset0:65 offset1:66
	s_waitcnt vmcnt(38) lgkmcnt(3)
	v_mul_f32_e32 v155, v138, v3
	v_mul_f32_e32 v3, v139, v3
	s_waitcnt vmcnt(37)
	v_mul_f32_e32 v156, v140, v4
	v_mul_f32_e32 v4, v141, v4
	s_waitcnt vmcnt(32) lgkmcnt(2)
	v_mul_f32_e32 v158, v142, v109
	v_fmac_f32_e32 v155, v139, v2
	v_fma_f32 v157, v138, v2, -v3
	v_mul_f32_e32 v2, v143, v109
	s_waitcnt vmcnt(31)
	v_mul_f32_e32 v159, v144, v108
	v_mul_f32_e32 v3, v145, v108
	v_fmac_f32_e32 v156, v141, v110
	v_fma_f32 v110, v140, v110, -v4
	v_fmac_f32_e32 v158, v143, v105
	v_fma_f32 v142, v142, v105, -v2
	v_fmac_f32_e32 v159, v145, v103
	v_fma_f32 v144, v144, v103, -v3
	ds_read2_b64 v[138:141], v1 offset0:67 offset1:68
	s_waitcnt vmcnt(30) lgkmcnt(2)
	v_mul_f32_e32 v143, v5, v106
	v_mul_f32_e32 v2, v6, v106
	s_waitcnt vmcnt(29)
	v_mul_f32_e32 v145, v7, v104
	v_mul_f32_e32 v3, v8, v104
	s_waitcnt vmcnt(28) lgkmcnt(1)
	v_mul_f32_e32 v160, v134, v107
	v_fmac_f32_e32 v143, v6, v102
	v_fma_f32 v6, v5, v102, -v2
	s_waitcnt vmcnt(24)
	v_fmac_f32_e32 v145, v8, v117
	v_fma_f32 v7, v7, v117, -v3
	s_waitcnt vmcnt(23)
	v_mul_f32_e32 v8, v136, v116
	v_mul_f32_e32 v102, v135, v107
	;; [unrolled: 1-line block ×3, first 2 shown]
	ds_read2_b64 v[2:5], v1 offset0:69 offset1:70
	v_fmac_f32_e32 v160, v135, v115
	v_fmac_f32_e32 v8, v137, v112
	v_fma_f32 v115, v134, v115, -v102
	v_fma_f32 v112, v136, v112, -v103
	ds_read2_b64 v[102:105], v1 offset0:71 offset1:72
	s_waitcnt vmcnt(22) lgkmcnt(2)
	v_mul_f32_e32 v116, v138, v114
	v_mul_f32_e32 v106, v139, v114
	s_waitcnt vmcnt(21)
	v_mul_f32_e32 v114, v140, v113
	v_mul_f32_e32 v107, v141, v113
	buffer_load_dword v113, off, s[0:3], 0 offset:252
	v_fmac_f32_e32 v116, v139, v111
	v_fma_f32 v111, v138, v111, -v106
	s_waitcnt vmcnt(18)
	v_fmac_f32_e32 v114, v141, v125
	v_fma_f32 v117, v140, v125, -v107
	s_waitcnt vmcnt(17) lgkmcnt(1)
	v_mul_f32_e32 v125, v2, v123
	s_waitcnt vmcnt(16)
	v_mul_f32_e32 v134, v4, v124
	v_mul_f32_e32 v106, v3, v123
	;; [unrolled: 1-line block ×3, first 2 shown]
	v_fmac_f32_e32 v125, v3, v120
	v_fmac_f32_e32 v134, v5, v119
	v_fma_f32 v120, v2, v120, -v106
	v_fma_f32 v119, v4, v119, -v107
	ds_read2_b64 v[2:5], v1 offset0:73 offset1:74
	s_waitcnt vmcnt(15) lgkmcnt(1)
	v_mul_f32_e32 v123, v102, v122
	v_mul_f32_e32 v108, v103, v122
	s_waitcnt vmcnt(14)
	v_mul_f32_e32 v122, v104, v121
	v_mul_f32_e32 v121, v105, v121
	v_fmac_f32_e32 v123, v103, v118
	v_fma_f32 v118, v102, v118, -v108
	ds_read2_b64 v[106:109], v1 offset0:75 offset1:76
	s_waitcnt vmcnt(10)
	v_fmac_f32_e32 v122, v105, v133
	v_fma_f32 v121, v104, v133, -v121
	s_clause 0x1
	buffer_load_dword v124, off, s[0:3], 0 offset:260
	buffer_load_dword v133, off, s[0:3], 0 offset:268
	s_waitcnt vmcnt(11) lgkmcnt(1)
	v_mul_f32_e32 v135, v2, v132
	v_mul_f32_e32 v102, v3, v132
	s_waitcnt vmcnt(10)
	v_mul_f32_e32 v136, v4, v131
	v_mul_f32_e32 v103, v5, v131
	buffer_load_dword v132, off, s[0:3], 0 offset:276
	v_fmac_f32_e32 v135, v3, v129
	v_fma_f32 v129, v2, v129, -v102
	v_fmac_f32_e32 v136, v5, v127
	s_waitcnt vmcnt(10) lgkmcnt(0)
	v_mul_f32_e32 v131, v106, v130
	v_mul_f32_e32 v2, v107, v130
	s_waitcnt vmcnt(9)
	v_mul_f32_e32 v3, v109, v128
	s_clause 0x3
	buffer_load_dword v130, off, s[0:3], 0 offset:296
	buffer_load_dword v137, off, s[0:3], 0 offset:288
	buffer_load_dword v138, off, s[0:3], 0 offset:280
	buffer_load_dword v139, off, s[0:3], 0 offset:272
	v_mul_f32_e32 v140, v108, v128
	v_fmac_f32_e32 v131, v107, v126
	v_fma_f32 v126, v106, v126, -v2
	v_add_f32_e32 v2, 0, v150
	s_clause 0x1
	buffer_load_dword v128, off, s[0:3], 0 offset:284
	buffer_load_dword v150, off, s[0:3], 0 offset:300
	s_waitcnt vmcnt(11)
	v_fma_f32 v141, v108, v149, -v3
	v_add_f32_e32 v3, 0, v153
	v_add_f32_e32 v2, v2, v151
	v_fmac_f32_e32 v140, v109, v149
	s_clause 0x4
	buffer_load_dword v149, off, s[0:3], 0 offset:292
	buffer_load_dword v151, off, s[0:3], 0 offset:308
	;; [unrolled: 1-line block ×5, first 2 shown]
	v_add_f32_e32 v3, v3, v154
	v_add_f32_e32 v2, v2, v155
	s_clause 0x1
	buffer_load_dword v154, off, s[0:3], 0 offset:340
	buffer_load_dword v155, off, s[0:3], 0 offset:348
	v_fma_f32 v127, v4, v127, -v103
	v_add_f32_e32 v3, v3, v157
	v_add_f32_e32 v2, v2, v156
	s_clause 0x1
	buffer_load_dword v156, off, s[0:3], 0 offset:356
	buffer_load_dword v157, off, s[0:3], 0 offset:364
	v_add_f32_e32 v3, v3, v110
	v_add_f32_e32 v2, v2, v158
	;; [unrolled: 1-line block ×4, first 2 shown]
	s_clause 0x3
	buffer_load_dword v142, off, s[0:3], 0 offset:328
	buffer_load_dword v158, off, s[0:3], 0 offset:320
	;; [unrolled: 1-line block ×4, first 2 shown]
	v_add_f32_e32 v3, v3, v144
	v_add_f32_e32 v2, v2, v143
	;; [unrolled: 1-line block ×4, first 2 shown]
	s_clause 0x4
	buffer_load_dword v143, off, s[0:3], 0 offset:360
	buffer_load_dword v144, off, s[0:3], 0 offset:352
	;; [unrolled: 1-line block ×5, first 2 shown]
	ds_read2_b64 v[102:105], v1 offset0:79 offset1:80
	v_add_f32_e32 v3, v3, v7
	v_add_f32_e32 v2, v2, v160
	;; [unrolled: 1-line block ×5, first 2 shown]
	ds_read2_b64 v[2:5], v1 offset0:77 offset1:78
	v_add_f32_e32 v6, v6, v116
	v_add_f32_e32 v7, v7, v111
	;; [unrolled: 1-line block ×14, first 2 shown]
	s_waitcnt vmcnt(27) lgkmcnt(0)
	v_mul_f32_e32 v8, v2, v113
	v_mul_f32_e32 v106, v3, v113
	v_fmac_f32_e32 v8, v3, v148
	v_add_f32_e32 v3, v7, v118
	v_fma_f32 v118, v2, v148, -v106
	v_add_f32_e32 v8, v125, v8
	v_add_f32_e32 v7, v3, v121
	;; [unrolled: 1-line block ×5, first 2 shown]
	s_waitcnt vmcnt(26)
	v_mul_f32_e32 v119, v4, v124
	v_mul_f32_e32 v107, v5, v124
	v_add_f32_e32 v126, v7, v141
	s_waitcnt vmcnt(25)
	v_mul_f32_e32 v114, v103, v133
	v_mul_f32_e32 v121, v102, v133
	v_fmac_f32_e32 v119, v5, v147
	v_fma_f32 v120, v4, v147, -v107
	ds_read2_b64 v[2:5], v1 offset0:81 offset1:82
	ds_read2_b64 v[106:109], v1 offset0:83 offset1:84
	v_add_f32_e32 v118, v126, v118
	v_fma_f32 v124, v102, v146, -v114
	v_fmac_f32_e32 v121, v103, v146
	v_add_f32_e32 v8, v8, v119
	ds_read2_b64 v[110:113], v1 offset0:85 offset1:86
	ds_read2_b64 v[114:117], v1 offset0:87 offset1:88
	s_waitcnt vmcnt(24)
	v_mul_f32_e32 v123, v105, v132
	v_add_f32_e32 v118, v118, v120
	v_mul_f32_e32 v122, v104, v132
	v_add_f32_e32 v8, v8, v121
	v_add_f32_e32 v118, v118, v124
	s_waitcnt vmcnt(20)
	v_fma_f32 v123, v104, v139, -v123
	v_fmac_f32_e32 v122, v105, v139
	ds_read2_b64 v[102:105], v1 offset0:89 offset1:90
	ds_read_b64 v[6:7], v1 offset:728
	s_waitcnt vmcnt(19) lgkmcnt(5)
	v_mul_f32_e32 v126, v3, v128
	v_mul_f32_e32 v127, v2, v128
	v_add_f32_e32 v118, v118, v123
	v_add_f32_e32 v8, v8, v122
	s_waitcnt vmcnt(18) lgkmcnt(4)
	v_mul_f32_e32 v125, v106, v150
	v_fma_f32 v2, v2, v138, -v126
	s_waitcnt vmcnt(17)
	v_mul_f32_e32 v128, v5, v149
	v_mul_f32_e32 v129, v4, v149
	v_fmac_f32_e32 v127, v3, v138
	v_mul_f32_e32 v126, v107, v150
	v_add_f32_e32 v2, v118, v2
	v_fma_f32 v4, v4, v137, -v128
	v_fmac_f32_e32 v129, v5, v137
	v_add_f32_e32 v5, v8, v127
	s_waitcnt vmcnt(16)
	v_mul_f32_e32 v8, v109, v151
	v_fma_f32 v106, v106, v130, -v126
	v_add_f32_e32 v2, v2, v4
	v_mul_f32_e32 v120, v108, v151
	v_fmac_f32_e32 v125, v107, v130
	v_add_f32_e32 v4, v5, v129
	s_waitcnt vmcnt(15) lgkmcnt(3)
	v_mul_f32_e32 v5, v111, v153
	v_add_f32_e32 v2, v2, v106
	v_mul_f32_e32 v131, v110, v153
	s_waitcnt vmcnt(14)
	v_mul_f32_e32 v106, v113, v161
	v_add_f32_e32 v4, v4, v125
	s_waitcnt vmcnt(5)
	v_fma_f32 v8, v108, v163, -v8
	v_fmac_f32_e32 v120, v109, v163
	v_fma_f32 v5, v110, v159, -v5
	v_mul_f32_e32 v119, v112, v161
	v_fmac_f32_e32 v131, v111, v159
	v_add_f32_e32 v2, v2, v8
	v_add_f32_e32 v4, v4, v120
	s_waitcnt lgkmcnt(2)
	v_mul_f32_e32 v8, v115, v162
	v_fma_f32 v106, v112, v158, -v106
	v_mul_f32_e32 v124, v114, v162
	v_add_f32_e32 v2, v2, v5
	v_fmac_f32_e32 v119, v113, v158
	v_add_f32_e32 v4, v4, v131
	v_mul_f32_e32 v5, v117, v154
	v_fma_f32 v8, v114, v142, -v8
	v_add_f32_e32 v2, v2, v106
	v_mul_f32_e32 v3, v116, v154
	v_fmac_f32_e32 v124, v115, v142
	v_add_f32_e32 v4, v4, v119
	s_waitcnt lgkmcnt(1)
	v_mul_f32_e32 v106, v103, v155
	s_waitcnt vmcnt(1)
	v_fma_f32 v5, v116, v164, -v5
	v_add_f32_e32 v2, v2, v8
	v_mul_f32_e32 v121, v102, v155
	v_fmac_f32_e32 v3, v117, v164
	v_add_f32_e32 v4, v4, v124
	v_mul_f32_e32 v8, v105, v156
	v_fma_f32 v102, v102, v145, -v106
	v_add_f32_e32 v2, v2, v5
	v_mul_f32_e32 v123, v104, v156
	v_fmac_f32_e32 v121, v103, v145
	v_add_f32_e32 v3, v4, v3
	s_waitcnt lgkmcnt(0)
	v_mul_f32_e32 v4, v7, v157
	v_fma_f32 v5, v104, v144, -v8
	v_add_f32_e32 v2, v2, v102
	v_mul_f32_e32 v122, v6, v157
	v_fmac_f32_e32 v123, v105, v144
	v_add_f32_e32 v3, v3, v121
	v_fma_f32 v4, v6, v143, -v4
	v_add_f32_e32 v2, v2, v5
	v_fmac_f32_e32 v122, v7, v143
	v_add_f32_e32 v3, v3, v123
	v_add_f32_e32 v2, v2, v4
	;; [unrolled: 1-line block ×3, first 2 shown]
	s_waitcnt vmcnt(0)
	v_sub_f32_e32 v2, v165, v2
	v_sub_f32_e32 v3, v152, v3
	buffer_store_dword v2, off, s[0:3], 0 offset:80
	buffer_store_dword v3, off, s[0:3], 0 offset:84
	v_cmpx_lt_u32_e32 9, v0
	s_cbranch_execz .LBB109_271
; %bb.270:
	s_clause 0x1
	buffer_load_dword v2, off, s[0:3], 0 offset:72
	buffer_load_dword v3, off, s[0:3], 0 offset:76
	buffer_store_dword v1, off, s[0:3], 0 offset:72
	buffer_store_dword v1, off, s[0:3], 0 offset:76
	s_waitcnt vmcnt(0)
	ds_write_b64 v101, v[2:3]
.LBB109_271:
	s_or_b32 exec_lo, exec_lo, s4
	s_waitcnt lgkmcnt(0)
	s_waitcnt_vscnt null, 0x0
	s_barrier
	buffer_gl0_inv
	s_clause 0x2a
	buffer_load_dword v8, off, s[0:3], 0 offset:84
	buffer_load_dword v102, off, s[0:3], 0 offset:92
	;; [unrolled: 1-line block ×43, first 2 shown]
	ds_read_b128 v[134:137], v1 offset:448
	ds_read_b128 v[138:141], v1 offset:464
	;; [unrolled: 1-line block ×3, first 2 shown]
	buffer_load_dword v152, off, s[0:3], 0 offset:76
	s_mov_b32 s4, exec_lo
	s_waitcnt vmcnt(43) lgkmcnt(2)
	v_mul_f32_e32 v150, v134, v8
	s_waitcnt vmcnt(42)
	v_mul_f32_e32 v151, v136, v102
	v_mul_f32_e32 v8, v135, v8
	;; [unrolled: 1-line block ×3, first 2 shown]
	s_waitcnt vmcnt(39)
	v_fmac_f32_e32 v150, v135, v6
	v_fmac_f32_e32 v151, v137, v5
	v_fma_f32 v6, v134, v6, -v8
	v_fma_f32 v8, v136, v5, -v102
	ds_read_b128 v[134:137], v1 offset:496
	s_waitcnt vmcnt(38) lgkmcnt(2)
	v_mul_f32_e32 v153, v138, v3
	s_waitcnt vmcnt(37)
	v_mul_f32_e32 v154, v140, v4
	v_mul_f32_e32 v3, v139, v3
	;; [unrolled: 1-line block ×3, first 2 shown]
	s_waitcnt vmcnt(32) lgkmcnt(1)
	v_mul_f32_e32 v102, v143, v107
	v_fmac_f32_e32 v153, v139, v2
	v_fmac_f32_e32 v154, v141, v109
	v_fma_f32 v138, v138, v2, -v3
	v_fma_f32 v139, v140, v109, -v4
	ds_read_b128 v[2:5], v1 offset:512
	v_mul_f32_e32 v140, v142, v107
	s_waitcnt vmcnt(31)
	v_mul_f32_e32 v141, v144, v108
	v_mul_f32_e32 v107, v145, v108
	v_fma_f32 v142, v142, v106, -v102
	v_fmac_f32_e32 v140, v143, v106
	v_fmac_f32_e32 v141, v145, v103
	v_fma_f32 v143, v144, v103, -v107
	ds_read_b128 v[106:109], v1 offset:528
	s_waitcnt vmcnt(30) lgkmcnt(2)
	v_mul_f32_e32 v144, v134, v104
	s_waitcnt vmcnt(29)
	v_mul_f32_e32 v145, v136, v105
	v_mul_f32_e32 v102, v135, v104
	;; [unrolled: 1-line block ×3, first 2 shown]
	v_fmac_f32_e32 v144, v135, v7
	s_waitcnt vmcnt(25)
	v_fmac_f32_e32 v145, v137, v117
	v_fma_f32 v7, v134, v7, -v102
	v_fma_f32 v117, v136, v117, -v103
	ds_read_b128 v[102:105], v1 offset:544
	s_waitcnt vmcnt(24) lgkmcnt(2)
	v_mul_f32_e32 v134, v2, v115
	s_waitcnt vmcnt(23)
	v_mul_f32_e32 v135, v4, v116
	v_mul_f32_e32 v115, v3, v115
	;; [unrolled: 1-line block ×3, first 2 shown]
	v_fmac_f32_e32 v134, v3, v114
	v_fmac_f32_e32 v135, v5, v111
	v_fma_f32 v114, v2, v114, -v115
	v_fma_f32 v111, v4, v111, -v116
	ds_read_b128 v[2:5], v1 offset:560
	s_waitcnt vmcnt(22) lgkmcnt(2)
	v_mul_f32_e32 v115, v106, v112
	s_waitcnt vmcnt(21)
	v_mul_f32_e32 v116, v108, v113
	v_mul_f32_e32 v112, v107, v112
	;; [unrolled: 1-line block ×3, first 2 shown]
	v_fmac_f32_e32 v115, v107, v110
	s_waitcnt vmcnt(17)
	v_fmac_f32_e32 v116, v109, v125
	v_fma_f32 v110, v106, v110, -v112
	v_fma_f32 v112, v108, v125, -v113
	s_waitcnt vmcnt(16) lgkmcnt(1)
	v_mul_f32_e32 v113, v102, v123
	v_mul_f32_e32 v123, v103, v123
	ds_read_b128 v[106:109], v1 offset:576
	s_waitcnt vmcnt(15)
	v_mul_f32_e32 v125, v104, v124
	v_mul_f32_e32 v124, v105, v124
	v_fmac_f32_e32 v113, v103, v122
	v_fma_f32 v102, v102, v122, -v123
	s_clause 0x1
	buffer_load_dword v122, off, s[0:3], 0 offset:244
	buffer_load_dword v123, off, s[0:3], 0 offset:252
	v_fmac_f32_e32 v125, v105, v119
	v_fma_f32 v119, v104, v119, -v124
	s_waitcnt vmcnt(16) lgkmcnt(1)
	v_mul_f32_e32 v124, v2, v120
	s_waitcnt vmcnt(15)
	v_mul_f32_e32 v136, v4, v121
	v_mul_f32_e32 v103, v3, v120
	;; [unrolled: 1-line block ×3, first 2 shown]
	buffer_load_dword v121, off, s[0:3], 0 offset:260
	v_fmac_f32_e32 v124, v3, v118
	s_waitcnt vmcnt(12)
	v_fmac_f32_e32 v136, v5, v133
	v_fma_f32 v118, v2, v118, -v103
	v_fma_f32 v120, v4, v133, -v104
	ds_read_b128 v[2:5], v1 offset:592
	s_waitcnt vmcnt(11) lgkmcnt(1)
	v_mul_f32_e32 v133, v106, v131
	s_waitcnt vmcnt(10)
	v_mul_f32_e32 v137, v108, v132
	v_mul_f32_e32 v103, v107, v131
	;; [unrolled: 1-line block ×3, first 2 shown]
	s_clause 0x5
	buffer_load_dword v131, off, s[0:3], 0 offset:268
	buffer_load_dword v132, off, s[0:3], 0 offset:288
	buffer_load_dword v155, off, s[0:3], 0 offset:280
	buffer_load_dword v156, off, s[0:3], 0 offset:272
	buffer_load_dword v157, off, s[0:3], 0 offset:264
	buffer_load_dword v159, off, s[0:3], 0 offset:276
	v_fmac_f32_e32 v133, v107, v130
	v_fma_f32 v130, v106, v130, -v103
	v_fmac_f32_e32 v137, v109, v129
	v_fma_f32 v129, v108, v129, -v104
	s_waitcnt vmcnt(15) lgkmcnt(0)
	v_mul_f32_e32 v158, v2, v128
	v_mul_f32_e32 v103, v3, v128
	v_fmac_f32_e32 v158, v3, v126
	v_add_f32_e32 v3, 0, v150
	v_fma_f32 v126, v2, v126, -v103
	v_add_f32_e32 v2, 0, v6
	s_waitcnt vmcnt(14)
	v_mul_f32_e32 v6, v4, v127
	v_mul_f32_e32 v103, v5, v127
	v_add_f32_e32 v3, v3, v151
	buffer_load_dword v127, off, s[0:3], 0 offset:284
	v_add_f32_e32 v2, v2, v8
	buffer_load_dword v8, off, s[0:3], 0 offset:292
	s_waitcnt vmcnt(12)
	v_fmac_f32_e32 v6, v5, v149
	v_add_f32_e32 v3, v3, v153
	v_fma_f32 v128, v4, v149, -v103
	v_add_f32_e32 v2, v2, v138
	s_clause 0x3
	buffer_load_dword v149, off, s[0:3], 0 offset:300
	buffer_load_dword v138, off, s[0:3], 0 offset:308
	buffer_load_dword v150, off, s[0:3], 0 offset:316
	buffer_load_dword v151, off, s[0:3], 0 offset:324
	v_add_f32_e32 v3, v3, v154
	v_add_f32_e32 v2, v2, v139
	s_clause 0x3
	buffer_load_dword v139, off, s[0:3], 0 offset:332
	buffer_load_dword v153, off, s[0:3], 0 offset:340
	buffer_load_dword v154, off, s[0:3], 0 offset:348
	buffer_load_dword v160, off, s[0:3], 0 offset:356
	v_add_f32_e32 v3, v3, v140
	buffer_load_dword v140, off, s[0:3], 0 offset:364
	v_add_f32_e32 v2, v2, v142
	v_add_f32_e32 v3, v3, v141
	;; [unrolled: 1-line block ×3, first 2 shown]
	s_clause 0x3
	buffer_load_dword v141, off, s[0:3], 0 offset:320
	buffer_load_dword v142, off, s[0:3], 0 offset:312
	;; [unrolled: 1-line block ×4, first 2 shown]
	v_add_f32_e32 v3, v3, v144
	v_add_f32_e32 v2, v2, v7
	;; [unrolled: 1-line block ×3, first 2 shown]
	s_clause 0x4
	buffer_load_dword v7, off, s[0:3], 0 offset:352
	buffer_load_dword v144, off, s[0:3], 0 offset:344
	buffer_load_dword v145, off, s[0:3], 0 offset:336
	buffer_load_dword v162, off, s[0:3], 0 offset:328
	buffer_load_dword v163, off, s[0:3], 0 offset:72
	v_add_f32_e32 v2, v2, v117
	v_add_f32_e32 v3, v3, v134
	buffer_load_dword v134, off, s[0:3], 0 offset:360
	v_add_f32_e32 v2, v2, v114
	v_add_f32_e32 v3, v3, v135
	;; [unrolled: 1-line block ×5, first 2 shown]
	ds_read_b128 v[2:5], v1 offset:608
	v_add_f32_e32 v103, v103, v116
	v_add_f32_e32 v104, v104, v112
	;; [unrolled: 1-line block ×4, first 2 shown]
	ds_read_b128 v[102:105], v1 offset:624
	v_add_f32_e32 v106, v106, v125
	v_add_f32_e32 v107, v107, v119
	;; [unrolled: 1-line block ×11, first 2 shown]
	s_waitcnt vmcnt(29) lgkmcnt(1)
	v_mul_f32_e32 v125, v2, v122
	v_mul_f32_e32 v108, v3, v122
	s_waitcnt vmcnt(28)
	v_mul_f32_e32 v122, v4, v123
	v_mul_f32_e32 v109, v5, v123
	v_fmac_f32_e32 v125, v3, v148
	v_fma_f32 v123, v2, v148, -v108
	v_fmac_f32_e32 v122, v5, v147
	v_fma_f32 v124, v4, v147, -v109
	ds_read_b128 v[2:5], v1 offset:640
	ds_read_b128 v[106:109], v1 offset:656
	s_waitcnt vmcnt(27) lgkmcnt(2)
	v_mul_f32_e32 v135, v102, v121
	v_mul_f32_e32 v112, v103, v121
	v_fmac_f32_e32 v135, v103, v146
	v_add_f32_e32 v103, v111, v137
	v_fma_f32 v130, v102, v146, -v112
	s_waitcnt vmcnt(26)
	v_mul_f32_e32 v136, v104, v131
	v_mul_f32_e32 v113, v105, v131
	v_add_f32_e32 v115, v103, v158
	s_waitcnt vmcnt(22)
	v_fmac_f32_e32 v136, v105, v157
	v_fma_f32 v129, v104, v157, -v113
	v_add_f32_e32 v6, v115, v6
	ds_read_b128 v[102:105], v1 offset:672
	ds_read_b128 v[110:113], v1 offset:688
	s_waitcnt vmcnt(21) lgkmcnt(3)
	v_mul_f32_e32 v119, v3, v159
	v_mul_f32_e32 v126, v2, v159
	ds_read_b128 v[114:117], v1 offset:704
	v_fma_f32 v2, v2, v156, -v119
	ds_read_b128 v[118:121], v1 offset:720
	v_add_f32_e32 v1, v128, v123
	v_fmac_f32_e32 v126, v3, v156
	v_add_f32_e32 v3, v6, v125
	v_add_f32_e32 v1, v1, v124
	;; [unrolled: 1-line block ×3, first 2 shown]
	s_waitcnt vmcnt(20)
	v_mul_f32_e32 v123, v5, v127
	v_add_f32_e32 v1, v1, v130
	v_mul_f32_e32 v6, v4, v127
	v_add_f32_e32 v3, v3, v135
	s_waitcnt vmcnt(19) lgkmcnt(4)
	v_mul_f32_e32 v122, v106, v8
	v_mul_f32_e32 v8, v107, v8
	v_add_f32_e32 v1, v1, v129
	v_fma_f32 v4, v4, v155, -v123
	v_add_f32_e32 v3, v3, v136
	v_fmac_f32_e32 v6, v5, v155
	s_waitcnt vmcnt(18)
	v_mul_f32_e32 v129, v109, v149
	v_add_f32_e32 v1, v1, v2
	v_fma_f32 v8, v106, v132, -v8
	v_add_f32_e32 v2, v3, v126
	v_mul_f32_e32 v124, v108, v149
	v_fmac_f32_e32 v122, v107, v132
	v_add_f32_e32 v1, v1, v4
	s_waitcnt vmcnt(17) lgkmcnt(3)
	v_mul_f32_e32 v4, v103, v138
	v_add_f32_e32 v2, v2, v6
	v_mul_f32_e32 v5, v102, v138
	s_waitcnt vmcnt(16)
	v_mul_f32_e32 v123, v104, v150
	v_add_f32_e32 v1, v1, v8
	s_waitcnt vmcnt(6)
	v_fma_f32 v6, v108, v161, -v129
	v_fmac_f32_e32 v124, v109, v161
	v_add_f32_e32 v2, v2, v122
	v_mul_f32_e32 v8, v105, v150
	v_fma_f32 v4, v102, v143, -v4
	v_add_f32_e32 v1, v1, v6
	v_fmac_f32_e32 v5, v103, v143
	v_add_f32_e32 v2, v2, v124
	s_waitcnt lgkmcnt(2)
	v_mul_f32_e32 v6, v111, v151
	v_fma_f32 v8, v104, v142, -v8
	v_add_f32_e32 v1, v1, v4
	v_mul_f32_e32 v125, v110, v151
	v_fmac_f32_e32 v123, v105, v142
	v_add_f32_e32 v2, v2, v5
	v_mul_f32_e32 v4, v113, v139
	v_fma_f32 v5, v110, v141, -v6
	v_add_f32_e32 v1, v1, v8
	v_mul_f32_e32 v127, v112, v139
	v_fmac_f32_e32 v125, v111, v141
	v_add_f32_e32 v2, v2, v123
	s_waitcnt lgkmcnt(1)
	v_mul_f32_e32 v6, v115, v153
	s_waitcnt vmcnt(2)
	v_fma_f32 v4, v112, v162, -v4
	v_add_f32_e32 v1, v1, v5
	v_mul_f32_e32 v128, v114, v153
	v_fmac_f32_e32 v127, v113, v162
	v_add_f32_e32 v2, v2, v125
	v_mul_f32_e32 v5, v117, v154
	v_fma_f32 v6, v114, v145, -v6
	v_add_f32_e32 v1, v1, v4
	v_mul_f32_e32 v130, v116, v154
	v_fmac_f32_e32 v128, v115, v145
	v_add_f32_e32 v2, v2, v127
	s_waitcnt lgkmcnt(0)
	v_mul_f32_e32 v4, v119, v160
	v_fma_f32 v5, v116, v144, -v5
	v_add_f32_e32 v1, v1, v6
	v_mul_f32_e32 v131, v118, v160
	v_fmac_f32_e32 v130, v117, v144
	v_add_f32_e32 v2, v2, v128
	v_mul_f32_e32 v6, v121, v140
	v_fma_f32 v4, v118, v7, -v4
	v_add_f32_e32 v1, v1, v5
	v_mul_f32_e32 v3, v120, v140
	v_fmac_f32_e32 v131, v119, v7
	v_add_f32_e32 v2, v2, v130
	s_waitcnt vmcnt(0)
	v_fma_f32 v5, v120, v134, -v6
	v_add_f32_e32 v1, v1, v4
	v_fmac_f32_e32 v3, v121, v134
	v_add_f32_e32 v2, v2, v131
	v_add_f32_e32 v1, v1, v5
	;; [unrolled: 1-line block ×3, first 2 shown]
	v_sub_f32_e32 v1, v163, v1
	v_sub_f32_e32 v2, v152, v2
	buffer_store_dword v1, off, s[0:3], 0 offset:72
	buffer_store_dword v2, off, s[0:3], 0 offset:76
	v_cmpx_lt_u32_e32 8, v0
	s_cbranch_execz .LBB109_273
; %bb.272:
	s_clause 0x1
	buffer_load_dword v1, off, s[0:3], 0 offset:64
	buffer_load_dword v2, off, s[0:3], 0 offset:68
	v_mov_b32_e32 v3, 0
	buffer_store_dword v3, off, s[0:3], 0 offset:64
	buffer_store_dword v3, off, s[0:3], 0 offset:68
	s_waitcnt vmcnt(0)
	ds_write_b64 v101, v[1:2]
.LBB109_273:
	s_or_b32 exec_lo, exec_lo, s4
	s_waitcnt lgkmcnt(0)
	s_waitcnt_vscnt null, 0x0
	s_barrier
	buffer_gl0_inv
	s_clause 0x2b
	buffer_load_dword v133, off, s[0:3], 0 offset:76
	buffer_load_dword v2, off, s[0:3], 0 offset:88
	buffer_load_dword v5, off, s[0:3], 0 offset:80
	buffer_load_dword v103, off, s[0:3], 0 offset:72
	buffer_load_dword v102, off, s[0:3], 0 offset:84
	buffer_load_dword v7, off, s[0:3], 0 offset:92
	buffer_load_dword v4, off, s[0:3], 0 offset:100
	buffer_load_dword v3, off, s[0:3], 0 offset:120
	buffer_load_dword v6, off, s[0:3], 0 offset:112
	buffer_load_dword v104, off, s[0:3], 0 offset:104
	buffer_load_dword v107, off, s[0:3], 0 offset:96
	buffer_load_dword v106, off, s[0:3], 0 offset:108
	buffer_load_dword v105, off, s[0:3], 0 offset:116
	buffer_load_dword v8, off, s[0:3], 0 offset:124
	buffer_load_dword v108, off, s[0:3], 0 offset:132
	buffer_load_dword v109, off, s[0:3], 0 offset:152
	buffer_load_dword v110, off, s[0:3], 0 offset:144
	buffer_load_dword v112, off, s[0:3], 0 offset:136
	buffer_load_dword v116, off, s[0:3], 0 offset:128
	buffer_load_dword v115, off, s[0:3], 0 offset:140
	buffer_load_dword v113, off, s[0:3], 0 offset:148
	buffer_load_dword v111, off, s[0:3], 0 offset:156
	buffer_load_dword v114, off, s[0:3], 0 offset:164
	buffer_load_dword v117, off, s[0:3], 0 offset:184
	buffer_load_dword v118, off, s[0:3], 0 offset:176
	buffer_load_dword v121, off, s[0:3], 0 offset:168
	buffer_load_dword v125, off, s[0:3], 0 offset:160
	buffer_load_dword v124, off, s[0:3], 0 offset:172
	buffer_load_dword v123, off, s[0:3], 0 offset:180
	buffer_load_dword v119, off, s[0:3], 0 offset:188
	buffer_load_dword v122, off, s[0:3], 0 offset:196
	buffer_load_dword v120, off, s[0:3], 0 offset:216
	buffer_load_dword v127, off, s[0:3], 0 offset:208
	buffer_load_dword v130, off, s[0:3], 0 offset:200
	buffer_load_dword v132, off, s[0:3], 0 offset:192
	buffer_load_dword v131, off, s[0:3], 0 offset:204
	buffer_load_dword v129, off, s[0:3], 0 offset:212
	buffer_load_dword v126, off, s[0:3], 0 offset:220
	buffer_load_dword v128, off, s[0:3], 0 offset:228
	buffer_load_dword v146, off, s[0:3], 0 offset:248
	buffer_load_dword v147, off, s[0:3], 0 offset:240
	buffer_load_dword v148, off, s[0:3], 0 offset:232
	buffer_load_dword v149, off, s[0:3], 0 offset:224
	buffer_load_dword v150, off, s[0:3], 0 offset:236
	v_mov_b32_e32 v1, 0
	ds_read2_b64 v[134:137], v1 offset0:55 offset1:56
	ds_read2_b64 v[138:141], v1 offset0:57 offset1:58
	;; [unrolled: 1-line block ×3, first 2 shown]
	buffer_load_dword v152, off, s[0:3], 0 offset:68
	s_mov_b32 s4, exec_lo
	s_waitcnt vmcnt(44) lgkmcnt(2)
	v_mul_f32_e32 v151, v134, v133
	v_mul_f32_e32 v133, v135, v133
	s_waitcnt vmcnt(40)
	v_mul_f32_e32 v154, v136, v102
	v_mul_f32_e32 v102, v137, v102
	v_fmac_f32_e32 v151, v135, v103
	v_fma_f32 v153, v134, v103, -v133
	s_waitcnt vmcnt(39) lgkmcnt(1)
	v_mul_f32_e32 v156, v138, v7
	v_fmac_f32_e32 v154, v137, v5
	v_fma_f32 v155, v136, v5, -v102
	v_mul_f32_e32 v5, v139, v7
	ds_read2_b64 v[133:136], v1 offset0:61 offset1:62
	v_fmac_f32_e32 v156, v139, v2
	s_waitcnt vmcnt(38)
	v_mul_f32_e32 v158, v140, v4
	v_fma_f32 v157, v138, v2, -v5
	v_mul_f32_e32 v2, v141, v4
	s_waitcnt vmcnt(34)
	v_fmac_f32_e32 v158, v141, v107
	s_waitcnt vmcnt(33) lgkmcnt(1)
	v_mul_f32_e32 v141, v142, v106
	v_fma_f32 v107, v140, v107, -v2
	v_mul_f32_e32 v2, v143, v106
	ds_read2_b64 v[137:140], v1 offset0:63 offset1:64
	v_fmac_f32_e32 v141, v143, v104
	v_fma_f32 v106, v142, v104, -v2
	s_waitcnt vmcnt(32)
	v_mul_f32_e32 v142, v144, v105
	v_mul_f32_e32 v2, v145, v105
	ds_read2_b64 v[102:105], v1 offset0:67 offset1:68
	v_fmac_f32_e32 v142, v145, v6
	v_fma_f32 v143, v144, v6, -v2
	s_waitcnt vmcnt(31) lgkmcnt(2)
	v_mul_f32_e32 v2, v134, v8
	ds_read2_b64 v[4:7], v1 offset0:65 offset1:66
	v_mul_f32_e32 v144, v133, v8
	v_fma_f32 v8, v133, v3, -v2
	s_waitcnt vmcnt(30)
	v_mul_f32_e32 v2, v136, v108
	v_mul_f32_e32 v133, v135, v108
	v_fmac_f32_e32 v144, v134, v3
	s_waitcnt vmcnt(24) lgkmcnt(2)
	v_mul_f32_e32 v134, v139, v113
	v_fma_f32 v108, v135, v116, -v2
	v_mul_f32_e32 v2, v138, v115
	v_fmac_f32_e32 v133, v136, v116
	v_mul_f32_e32 v116, v137, v115
	v_fmac_f32_e32 v134, v140, v110
	v_fma_f32 v115, v137, v112, -v2
	v_mul_f32_e32 v2, v140, v113
	v_fmac_f32_e32 v116, v138, v112
	s_waitcnt vmcnt(23) lgkmcnt(0)
	v_mul_f32_e32 v136, v4, v111
	s_waitcnt vmcnt(22)
	v_mul_f32_e32 v137, v6, v114
	v_fma_f32 v135, v139, v110, -v2
	v_mul_f32_e32 v2, v5, v111
	ds_read2_b64 v[110:113], v1 offset0:69 offset1:70
	v_fmac_f32_e32 v136, v5, v109
	s_waitcnt vmcnt(18)
	v_fmac_f32_e32 v137, v7, v125
	v_fma_f32 v109, v4, v109, -v2
	v_mul_f32_e32 v2, v7, v114
	s_waitcnt vmcnt(17)
	v_mul_f32_e32 v7, v102, v124
	s_waitcnt vmcnt(16)
	v_mul_f32_e32 v114, v104, v123
	v_mul_f32_e32 v123, v105, v123
	v_fma_f32 v6, v6, v125, -v2
	v_mul_f32_e32 v2, v103, v124
	v_fmac_f32_e32 v7, v103, v121
	v_fmac_f32_e32 v114, v105, v118
	v_fma_f32 v118, v104, v118, -v123
	v_add_f32_e32 v104, 0, v151
	v_fma_f32 v121, v102, v121, -v2
	ds_read2_b64 v[2:5], v1 offset0:71 offset1:72
	s_clause 0x2
	buffer_load_dword v123, off, s[0:3], 0 offset:244
	buffer_load_dword v124, off, s[0:3], 0 offset:252
	;; [unrolled: 1-line block ×3, first 2 shown]
	s_waitcnt vmcnt(18) lgkmcnt(1)
	v_mul_f32_e32 v125, v110, v119
	v_mul_f32_e32 v102, v111, v119
	s_waitcnt vmcnt(17)
	v_mul_f32_e32 v119, v112, v122
	v_mul_f32_e32 v103, v113, v122
	v_fmac_f32_e32 v125, v111, v117
	v_fma_f32 v110, v110, v117, -v102
	s_waitcnt vmcnt(13)
	v_fmac_f32_e32 v119, v113, v132
	v_fma_f32 v111, v112, v132, -v103
	v_add_f32_e32 v113, v104, v154
	ds_read2_b64 v[102:105], v1 offset0:73 offset1:74
	v_add_f32_e32 v112, 0, v153
	v_add_f32_e32 v113, v113, v156
	;; [unrolled: 1-line block ×3, first 2 shown]
	s_waitcnt vmcnt(12) lgkmcnt(1)
	v_mul_f32_e32 v117, v2, v131
	v_mul_f32_e32 v122, v3, v131
	s_clause 0x3
	buffer_load_dword v131, off, s[0:3], 0 offset:280
	buffer_load_dword v132, off, s[0:3], 0 offset:272
	;; [unrolled: 1-line block ×4, first 2 shown]
	v_fmac_f32_e32 v117, v3, v130
	v_fma_f32 v122, v2, v130, -v122
	s_clause 0x1
	buffer_load_dword v130, off, s[0:3], 0 offset:268
	buffer_load_dword v145, off, s[0:3], 0 offset:276
	v_add_f32_e32 v2, v112, v157
	v_add_f32_e32 v3, v113, v158
	s_waitcnt vmcnt(17)
	v_mul_f32_e32 v112, v4, v129
	v_mul_f32_e32 v113, v5, v129
	buffer_load_dword v129, off, s[0:3], 0 offset:284
	v_add_f32_e32 v2, v2, v107
	v_add_f32_e32 v3, v3, v141
	v_fmac_f32_e32 v112, v5, v127
	v_fma_f32 v113, v4, v127, -v113
	s_clause 0x3
	buffer_load_dword v127, off, s[0:3], 0 offset:292
	buffer_load_dword v141, off, s[0:3], 0 offset:300
	;; [unrolled: 1-line block ×4, first 2 shown]
	v_add_f32_e32 v106, v2, v106
	v_add_f32_e32 v107, v3, v142
	ds_read2_b64 v[2:5], v1 offset0:75 offset1:76
	s_waitcnt vmcnt(21) lgkmcnt(1)
	v_mul_f32_e32 v142, v102, v126
	v_mul_f32_e32 v126, v103, v126
	v_add_f32_e32 v106, v106, v143
	v_add_f32_e32 v107, v107, v144
	s_waitcnt vmcnt(20)
	v_mul_f32_e32 v143, v104, v128
	v_fmac_f32_e32 v142, v103, v120
	v_fma_f32 v120, v102, v120, -v126
	v_add_f32_e32 v8, v106, v8
	v_add_f32_e32 v102, v107, v133
	v_mul_f32_e32 v106, v105, v128
	s_clause 0x4
	buffer_load_dword v126, off, s[0:3], 0 offset:324
	buffer_load_dword v128, off, s[0:3], 0 offset:332
	;; [unrolled: 1-line block ×5, first 2 shown]
	v_add_f32_e32 v8, v8, v108
	s_clause 0x4
	buffer_load_dword v155, off, s[0:3], 0 offset:312
	buffer_load_dword v156, off, s[0:3], 0 offset:304
	;; [unrolled: 1-line block ×5, first 2 shown]
	v_add_f32_e32 v102, v102, v116
	s_waitcnt vmcnt(26)
	v_fmac_f32_e32 v143, v105, v149
	v_fma_f32 v149, v104, v149, -v106
	v_add_f32_e32 v8, v8, v115
	v_add_f32_e32 v102, v102, v134
	s_waitcnt vmcnt(25) lgkmcnt(0)
	v_mul_f32_e32 v107, v3, v150
	v_mul_f32_e32 v134, v2, v150
	v_add_f32_e32 v8, v8, v135
	v_add_f32_e32 v106, v102, v136
	ds_read2_b64 v[102:105], v1 offset0:77 offset1:78
	v_fma_f32 v115, v2, v148, -v107
	v_add_f32_e32 v8, v8, v109
	v_fmac_f32_e32 v134, v3, v148
	v_add_f32_e32 v106, v106, v137
	v_add_f32_e32 v2, v8, v6
	s_clause 0x3
	buffer_load_dword v8, off, s[0:3], 0 offset:344
	buffer_load_dword v135, off, s[0:3], 0 offset:336
	;; [unrolled: 1-line block ×4, first 2 shown]
	v_add_f32_e32 v3, v106, v7
	v_add_f32_e32 v2, v2, v121
	s_clause 0x1
	buffer_load_dword v121, off, s[0:3], 0 offset:360
	buffer_load_dword v148, off, s[0:3], 0 offset:352
	v_add_f32_e32 v3, v3, v114
	ds_read2_b64 v[106:109], v1 offset0:81 offset1:82
	v_add_f32_e32 v2, v2, v118
	buffer_load_dword v118, off, s[0:3], 0 offset:64
	v_add_f32_e32 v6, v3, v125
	v_add_f32_e32 v7, v2, v110
	;; [unrolled: 1-line block ×11, first 2 shown]
	s_waitcnt vmcnt(30)
	v_mul_f32_e32 v125, v4, v123
	v_mul_f32_e32 v3, v5, v123
	s_waitcnt vmcnt(29) lgkmcnt(1)
	v_mul_f32_e32 v110, v103, v124
	v_mul_f32_e32 v119, v102, v124
	s_waitcnt vmcnt(28)
	v_mul_f32_e32 v111, v105, v138
	v_fmac_f32_e32 v125, v5, v147
	v_fma_f32 v123, v4, v147, -v3
	ds_read2_b64 v[2:5], v1 offset0:79 offset1:80
	v_fma_f32 v122, v102, v146, -v110
	v_mul_f32_e32 v124, v104, v138
	v_fmac_f32_e32 v119, v103, v146
	s_waitcnt vmcnt(24)
	v_fma_f32 v138, v104, v140, -v111
	v_fmac_f32_e32 v124, v105, v140
	ds_read2_b64 v[102:105], v1 offset0:83 offset1:84
	ds_read2_b64 v[110:113], v1 offset0:85 offset1:86
	s_waitcnt vmcnt(23) lgkmcnt(2)
	v_mul_f32_e32 v120, v2, v130
	v_mul_f32_e32 v114, v3, v130
	s_waitcnt vmcnt(22)
	v_mul_f32_e32 v130, v4, v145
	v_mul_f32_e32 v140, v5, v145
	v_fmac_f32_e32 v120, v3, v139
	v_fma_f32 v139, v2, v139, -v114
	v_add_f32_e32 v2, v6, v143
	v_add_f32_e32 v6, v7, v115
	v_fmac_f32_e32 v130, v5, v132
	v_fma_f32 v132, v4, v132, -v140
	s_waitcnt vmcnt(21)
	v_mul_f32_e32 v140, v106, v129
	v_add_f32_e32 v134, v2, v134
	v_add_f32_e32 v123, v6, v123
	ds_read2_b64 v[114:117], v1 offset0:87 offset1:88
	ds_read2_b64 v[2:5], v1 offset0:89 offset1:90
	v_fmac_f32_e32 v140, v107, v131
	v_add_f32_e32 v125, v134, v125
	v_add_f32_e32 v122, v123, v122
	v_mul_f32_e32 v123, v107, v129
	s_waitcnt vmcnt(20)
	v_mul_f32_e32 v134, v108, v127
	v_mul_f32_e32 v127, v109, v127
	v_add_f32_e32 v119, v125, v119
	v_add_f32_e32 v122, v122, v138
	v_fma_f32 v106, v106, v131, -v123
	s_waitcnt vmcnt(19) lgkmcnt(3)
	v_mul_f32_e32 v125, v102, v141
	v_mul_f32_e32 v131, v103, v141
	v_add_f32_e32 v119, v119, v124
	v_add_f32_e32 v122, v122, v139
	s_waitcnt vmcnt(8)
	v_fma_f32 v108, v108, v158, -v127
	v_fmac_f32_e32 v134, v109, v158
	v_fmac_f32_e32 v125, v103, v157
	v_add_f32_e32 v119, v119, v120
	v_add_f32_e32 v122, v122, v132
	v_fma_f32 v102, v102, v157, -v131
	v_mul_f32_e32 v129, v104, v151
	s_waitcnt lgkmcnt(2)
	v_mul_f32_e32 v138, v110, v153
	v_add_f32_e32 v119, v119, v130
	v_add_f32_e32 v106, v122, v106
	v_mul_f32_e32 v124, v112, v126
	v_fmac_f32_e32 v129, v105, v156
	v_fmac_f32_e32 v138, v111, v155
	v_add_f32_e32 v109, v119, v140
	v_mul_f32_e32 v119, v105, v151
	v_add_f32_e32 v103, v106, v108
	v_mul_f32_e32 v108, v111, v153
	v_mul_f32_e32 v105, v113, v126
	v_add_f32_e32 v106, v109, v134
	v_fma_f32 v104, v104, v156, -v119
	v_add_f32_e32 v102, v103, v102
	ds_read_b64 v[6:7], v1 offset:728
	s_waitcnt vmcnt(3)
	v_fma_f32 v105, v112, v137, -v105
	v_add_f32_e32 v103, v106, v125
	v_fma_f32 v106, v110, v155, -v108
	v_add_f32_e32 v102, v102, v104
	s_waitcnt lgkmcnt(2)
	v_mul_f32_e32 v104, v115, v128
	v_mul_f32_e32 v139, v114, v128
	v_add_f32_e32 v103, v103, v129
	v_fmac_f32_e32 v124, v113, v137
	v_add_f32_e32 v102, v102, v106
	v_mul_f32_e32 v106, v117, v133
	v_fma_f32 v104, v114, v136, -v104
	v_add_f32_e32 v103, v103, v138
	v_mul_f32_e32 v107, v116, v133
	v_add_f32_e32 v102, v102, v105
	v_fmac_f32_e32 v139, v115, v136
	s_waitcnt lgkmcnt(1)
	v_mul_f32_e32 v120, v2, v144
	v_add_f32_e32 v103, v103, v124
	v_mul_f32_e32 v105, v3, v144
	v_fma_f32 v106, v116, v135, -v106
	v_add_f32_e32 v102, v102, v104
	v_fmac_f32_e32 v107, v117, v135
	v_add_f32_e32 v103, v103, v139
	v_mul_f32_e32 v104, v5, v154
	v_fmac_f32_e32 v120, v3, v8
	v_fma_f32 v2, v2, v8, -v105
	v_add_f32_e32 v3, v102, v106
	v_mul_f32_e32 v123, v4, v154
	v_add_f32_e32 v8, v103, v107
	s_waitcnt lgkmcnt(0)
	v_mul_f32_e32 v102, v7, v159
	s_waitcnt vmcnt(1)
	v_fma_f32 v4, v4, v148, -v104
	v_add_f32_e32 v2, v3, v2
	v_mul_f32_e32 v130, v6, v159
	v_fmac_f32_e32 v123, v5, v148
	v_add_f32_e32 v3, v8, v120
	v_fma_f32 v5, v6, v121, -v102
	v_add_f32_e32 v2, v2, v4
	v_fmac_f32_e32 v130, v7, v121
	v_add_f32_e32 v3, v3, v123
	v_add_f32_e32 v2, v2, v5
	;; [unrolled: 1-line block ×3, first 2 shown]
	s_waitcnt vmcnt(0)
	v_sub_f32_e32 v2, v118, v2
	v_sub_f32_e32 v3, v152, v3
	buffer_store_dword v2, off, s[0:3], 0 offset:64
	buffer_store_dword v3, off, s[0:3], 0 offset:68
	v_cmpx_lt_u32_e32 7, v0
	s_cbranch_execz .LBB109_275
; %bb.274:
	s_clause 0x1
	buffer_load_dword v2, off, s[0:3], 0 offset:56
	buffer_load_dword v3, off, s[0:3], 0 offset:60
	buffer_store_dword v1, off, s[0:3], 0 offset:56
	buffer_store_dword v1, off, s[0:3], 0 offset:60
	s_waitcnt vmcnt(0)
	ds_write_b64 v101, v[2:3]
.LBB109_275:
	s_or_b32 exec_lo, exec_lo, s4
	s_waitcnt lgkmcnt(0)
	s_waitcnt_vscnt null, 0x0
	s_barrier
	buffer_gl0_inv
	s_clause 0x2b
	buffer_load_dword v133, off, s[0:3], 0 offset:68
	buffer_load_dword v2, off, s[0:3], 0 offset:80
	;; [unrolled: 1-line block ×44, first 2 shown]
	ds_read_b128 v[134:137], v1 offset:432
	ds_read_b128 v[138:141], v1 offset:448
	;; [unrolled: 1-line block ×3, first 2 shown]
	buffer_load_dword v152, off, s[0:3], 0 offset:60
	s_mov_b32 s4, exec_lo
	s_waitcnt vmcnt(44) lgkmcnt(2)
	v_mul_f32_e32 v151, v134, v133
	v_mul_f32_e32 v133, v135, v133
	s_waitcnt vmcnt(40)
	v_mul_f32_e32 v154, v136, v102
	v_mul_f32_e32 v102, v137, v102
	s_waitcnt vmcnt(39) lgkmcnt(1)
	v_mul_f32_e32 v156, v138, v7
	v_fmac_f32_e32 v151, v135, v103
	v_fma_f32 v153, v134, v103, -v133
	v_fmac_f32_e32 v154, v137, v5
	v_fma_f32 v155, v136, v5, -v102
	v_mul_f32_e32 v5, v139, v7
	ds_read_b128 v[133:136], v1 offset:480
	v_fmac_f32_e32 v156, v139, v2
	s_waitcnt vmcnt(38)
	v_mul_f32_e32 v158, v140, v4
	v_fma_f32 v157, v138, v2, -v5
	v_mul_f32_e32 v2, v141, v4
	s_waitcnt vmcnt(34)
	v_fmac_f32_e32 v158, v141, v107
	s_waitcnt vmcnt(33) lgkmcnt(1)
	v_mul_f32_e32 v141, v142, v106
	v_fma_f32 v107, v140, v107, -v2
	v_mul_f32_e32 v2, v143, v106
	ds_read_b128 v[137:140], v1 offset:496
	v_fmac_f32_e32 v141, v143, v104
	v_fma_f32 v106, v142, v104, -v2
	s_waitcnt vmcnt(32)
	v_mul_f32_e32 v142, v144, v105
	v_mul_f32_e32 v2, v145, v105
	ds_read_b128 v[102:105], v1 offset:528
	v_fmac_f32_e32 v142, v145, v6
	v_fma_f32 v143, v144, v6, -v2
	ds_read_b128 v[4:7], v1 offset:512
	s_waitcnt vmcnt(31) lgkmcnt(3)
	v_mul_f32_e32 v2, v134, v8
	v_mul_f32_e32 v144, v133, v8
	s_waitcnt vmcnt(30)
	v_mul_f32_e32 v145, v135, v108
	v_fma_f32 v8, v133, v3, -v2
	v_mul_f32_e32 v2, v136, v108
	s_waitcnt vmcnt(26)
	v_fmac_f32_e32 v145, v136, v116
	v_fmac_f32_e32 v144, v134, v3
	s_waitcnt vmcnt(24) lgkmcnt(2)
	v_mul_f32_e32 v3, v140, v114
	v_fma_f32 v108, v135, v116, -v2
	v_mul_f32_e32 v116, v137, v115
	v_mul_f32_e32 v2, v138, v115
	;; [unrolled: 1-line block ×3, first 2 shown]
	ds_read_b128 v[133:136], v1 offset:544
	v_fmac_f32_e32 v116, v138, v112
	v_fma_f32 v112, v137, v112, -v2
	s_waitcnt vmcnt(23) lgkmcnt(1)
	v_mul_f32_e32 v114, v4, v111
	v_mul_f32_e32 v2, v5, v111
	s_waitcnt vmcnt(22)
	v_mul_f32_e32 v111, v6, v113
	v_fmac_f32_e32 v115, v140, v110
	v_fma_f32 v110, v139, v110, -v3
	v_fmac_f32_e32 v114, v5, v109
	v_fma_f32 v109, v4, v109, -v2
	v_mul_f32_e32 v2, v7, v113
	s_waitcnt vmcnt(18)
	v_fmac_f32_e32 v111, v7, v126
	s_clause 0x1
	buffer_load_dword v7, off, s[0:3], 0 offset:236
	buffer_load_dword v113, off, s[0:3], 0 offset:244
	s_waitcnt vmcnt(18)
	v_mul_f32_e32 v3, v105, v123
	v_fma_f32 v6, v6, v126, -v2
	v_mul_f32_e32 v126, v102, v124
	v_mul_f32_e32 v2, v103, v124
	v_mul_f32_e32 v124, v104, v123
	s_waitcnt vmcnt(17) lgkmcnt(0)
	v_mul_f32_e32 v123, v133, v122
	v_mul_f32_e32 v122, v134, v122
	v_fmac_f32_e32 v126, v103, v120
	v_fma_f32 v120, v102, v120, -v2
	s_waitcnt vmcnt(16)
	v_mul_f32_e32 v137, v135, v127
	v_mul_f32_e32 v102, v136, v127
	v_fmac_f32_e32 v124, v105, v119
	v_fma_f32 v119, v104, v119, -v3
	ds_read_b128 v[2:5], v1 offset:560
	v_fmac_f32_e32 v123, v134, v117
	v_fma_f32 v117, v133, v117, -v122
	s_waitcnt vmcnt(12)
	v_fmac_f32_e32 v137, v136, v132
	v_fma_f32 v122, v135, v132, -v102
	s_clause 0x7
	buffer_load_dword v127, off, s[0:3], 0 offset:252
	buffer_load_dword v132, off, s[0:3], 0 offset:272
	;; [unrolled: 1-line block ×8, first 2 shown]
	v_add_f32_e32 v102, 0, v151
	v_add_f32_e32 v103, 0, v153
	;; [unrolled: 1-line block ×6, first 2 shown]
	s_waitcnt vmcnt(19) lgkmcnt(0)
	v_mul_f32_e32 v151, v2, v131
	v_mul_f32_e32 v131, v3, v131
	v_add_f32_e32 v140, v102, v158
	v_add_f32_e32 v107, v103, v107
	ds_read_b128 v[102:105], v1 offset:576
	v_fmac_f32_e32 v151, v3, v129
	v_fma_f32 v129, v2, v129, -v131
	v_add_f32_e32 v140, v140, v141
	v_add_f32_e32 v106, v107, v106
	s_waitcnt vmcnt(18)
	v_mul_f32_e32 v141, v4, v130
	v_mul_f32_e32 v107, v5, v130
	v_add_f32_e32 v3, v140, v142
	v_add_f32_e32 v106, v106, v143
	v_fmac_f32_e32 v141, v5, v128
	v_fma_f32 v128, v4, v128, -v107
	v_add_f32_e32 v2, v3, v144
	v_add_f32_e32 v3, v106, v8
	s_clause 0x7
	buffer_load_dword v8, off, s[0:3], 0 offset:284
	buffer_load_dword v130, off, s[0:3], 0 offset:292
	;; [unrolled: 1-line block ×8, first 2 shown]
	v_add_f32_e32 v2, v2, v145
	v_add_f32_e32 v3, v3, v108
	s_waitcnt vmcnt(25) lgkmcnt(0)
	v_mul_f32_e32 v154, v102, v125
	v_mul_f32_e32 v4, v103, v125
	s_clause 0x3
	buffer_load_dword v125, off, s[0:3], 0 offset:316
	buffer_load_dword v145, off, s[0:3], 0 offset:324
	;; [unrolled: 1-line block ×4, first 2 shown]
	v_add_f32_e32 v2, v2, v116
	s_clause 0x1
	buffer_load_dword v157, off, s[0:3], 0 offset:348
	buffer_load_dword v158, off, s[0:3], 0 offset:356
	v_fmac_f32_e32 v154, v103, v118
	v_fma_f32 v118, v102, v118, -v4
	v_add_f32_e32 v102, v3, v112
	s_waitcnt vmcnt(30)
	v_mul_f32_e32 v3, v105, v121
	v_mul_f32_e32 v116, v104, v121
	v_add_f32_e32 v103, v2, v115
	buffer_load_dword v159, off, s[0:3], 0 offset:364
	v_add_f32_e32 v102, v102, v110
	s_waitcnt vmcnt(27)
	v_fma_f32 v115, v104, v149, -v3
	ds_read_b128 v[2:5], v1 offset:592
	v_fmac_f32_e32 v116, v105, v149
	v_add_f32_e32 v103, v103, v114
	s_clause 0x3
	buffer_load_dword v149, off, s[0:3], 0 offset:336
	buffer_load_dword v160, off, s[0:3], 0 offset:328
	;; [unrolled: 1-line block ×4, first 2 shown]
	v_add_f32_e32 v102, v102, v109
	v_add_f32_e32 v103, v103, v111
	;; [unrolled: 1-line block ×4, first 2 shown]
	ds_read_b128 v[102:105], v1 offset:608
	v_add_f32_e32 v6, v6, v120
	v_add_f32_e32 v106, v106, v124
	s_waitcnt vmcnt(30) lgkmcnt(1)
	v_mul_f32_e32 v114, v2, v150
	v_mul_f32_e32 v107, v3, v150
	v_fmac_f32_e32 v114, v3, v148
	v_fma_f32 v120, v2, v148, -v107
	v_add_f32_e32 v2, v6, v119
	v_add_f32_e32 v3, v106, v123
	s_clause 0x3
	buffer_load_dword v6, off, s[0:3], 0 offset:360
	buffer_load_dword v123, off, s[0:3], 0 offset:352
	;; [unrolled: 1-line block ×4, first 2 shown]
	v_add_f32_e32 v2, v2, v117
	v_add_f32_e32 v3, v3, v137
	;; [unrolled: 1-line block ×6, first 2 shown]
	ds_read_b128 v[106:109], v1 offset:640
	v_add_f32_e32 v111, v111, v128
	v_add_f32_e32 v121, v110, v154
	;; [unrolled: 1-line block ×6, first 2 shown]
	s_waitcnt vmcnt(32)
	v_mul_f32_e32 v117, v4, v7
	v_mul_f32_e32 v7, v5, v7
	s_waitcnt vmcnt(31) lgkmcnt(1)
	v_mul_f32_e32 v119, v102, v113
	v_mul_f32_e32 v112, v103, v113
	v_fmac_f32_e32 v117, v5, v147
	v_fma_f32 v7, v4, v147, -v7
	ds_read_b128 v[2:5], v1 offset:624
	v_fmac_f32_e32 v119, v103, v146
	s_waitcnt vmcnt(30)
	v_mul_f32_e32 v122, v104, v127
	v_mul_f32_e32 v113, v105, v127
	v_fma_f32 v127, v102, v146, -v112
	s_waitcnt vmcnt(26)
	v_fmac_f32_e32 v122, v105, v135
	v_fma_f32 v128, v104, v135, -v113
	ds_read_b128 v[102:105], v1 offset:656
	ds_read_b128 v[110:113], v1 offset:672
	s_waitcnt vmcnt(23) lgkmcnt(3)
	v_mul_f32_e32 v137, v107, v139
	s_waitcnt lgkmcnt(2)
	v_mul_f32_e32 v129, v2, v136
	v_mul_f32_e32 v118, v3, v136
	;; [unrolled: 1-line block ×5, first 2 shown]
	v_fmac_f32_e32 v129, v3, v134
	v_fma_f32 v134, v2, v134, -v118
	v_add_f32_e32 v118, v115, v120
	v_add_f32_e32 v120, v114, v117
	v_fmac_f32_e32 v135, v5, v133
	v_fma_f32 v133, v4, v133, -v121
	ds_read_b128 v[2:5], v1 offset:688
	ds_read_b128 v[114:117], v1 offset:704
	v_add_f32_e32 v7, v118, v7
	v_fmac_f32_e32 v136, v107, v132
	v_add_f32_e32 v107, v120, v119
	ds_read_b128 v[118:121], v1 offset:720
	v_fma_f32 v106, v106, v132, -v137
	v_add_f32_e32 v1, v7, v127
	v_add_f32_e32 v107, v107, v122
	s_waitcnt vmcnt(22)
	v_mul_f32_e32 v7, v108, v8
	v_add_f32_e32 v1, v1, v128
	v_mul_f32_e32 v8, v109, v8
	v_add_f32_e32 v107, v107, v129
	s_waitcnt vmcnt(21) lgkmcnt(4)
	v_mul_f32_e32 v128, v103, v130
	v_mul_f32_e32 v122, v102, v130
	v_add_f32_e32 v1, v1, v134
	s_waitcnt vmcnt(15)
	v_fma_f32 v8, v108, v153, -v8
	v_add_f32_e32 v107, v107, v135
	v_fmac_f32_e32 v7, v109, v153
	v_mul_f32_e32 v127, v104, v131
	v_add_f32_e32 v1, v1, v133
	v_mul_f32_e32 v131, v105, v131
	v_fma_f32 v102, v102, v144, -v128
	v_fmac_f32_e32 v122, v103, v144
	s_waitcnt lgkmcnt(3)
	v_mul_f32_e32 v108, v110, v140
	v_add_f32_e32 v1, v1, v106
	v_add_f32_e32 v106, v107, v136
	v_fma_f32 v103, v104, v143, -v131
	v_fmac_f32_e32 v127, v105, v143
	s_waitcnt vmcnt(14)
	v_mul_f32_e32 v109, v112, v125
	v_add_f32_e32 v1, v1, v8
	v_add_f32_e32 v7, v106, v7
	v_mul_f32_e32 v8, v111, v140
	v_fmac_f32_e32 v108, v111, v142
	s_waitcnt vmcnt(13) lgkmcnt(2)
	v_mul_f32_e32 v129, v2, v145
	v_add_f32_e32 v1, v1, v102
	v_add_f32_e32 v7, v7, v122
	v_mul_f32_e32 v102, v113, v125
	v_fma_f32 v8, v110, v142, -v8
	s_waitcnt vmcnt(4)
	v_fmac_f32_e32 v109, v113, v162
	v_add_f32_e32 v1, v1, v103
	v_add_f32_e32 v7, v7, v127
	v_mul_f32_e32 v103, v3, v145
	v_fma_f32 v102, v112, v162, -v102
	v_mul_f32_e32 v130, v4, v155
	v_add_f32_e32 v1, v1, v8
	v_add_f32_e32 v7, v7, v108
	v_mul_f32_e32 v8, v5, v155
	v_fma_f32 v2, v2, v161, -v103
	v_fmac_f32_e32 v129, v3, v161
	v_add_f32_e32 v1, v1, v102
	v_add_f32_e32 v3, v7, v109
	s_waitcnt lgkmcnt(1)
	v_mul_f32_e32 v7, v115, v156
	v_fma_f32 v4, v4, v160, -v8
	v_mul_f32_e32 v132, v114, v156
	v_add_f32_e32 v1, v1, v2
	v_fmac_f32_e32 v130, v5, v160
	v_add_f32_e32 v2, v3, v129
	v_mul_f32_e32 v3, v117, v157
	v_fma_f32 v5, v114, v149, -v7
	v_add_f32_e32 v1, v1, v4
	v_mul_f32_e32 v133, v116, v157
	v_fmac_f32_e32 v132, v115, v149
	v_add_f32_e32 v2, v2, v130
	s_waitcnt lgkmcnt(0)
	v_mul_f32_e32 v4, v119, v158
	s_waitcnt vmcnt(1)
	v_fma_f32 v3, v116, v124, -v3
	v_add_f32_e32 v1, v1, v5
	v_mul_f32_e32 v134, v118, v158
	v_fmac_f32_e32 v133, v117, v124
	v_add_f32_e32 v2, v2, v132
	v_mul_f32_e32 v5, v121, v159
	v_fma_f32 v4, v118, v123, -v4
	v_add_f32_e32 v1, v1, v3
	v_mul_f32_e32 v107, v120, v159
	v_fmac_f32_e32 v134, v119, v123
	v_add_f32_e32 v2, v2, v133
	v_fma_f32 v3, v120, v6, -v5
	v_add_f32_e32 v1, v1, v4
	v_fmac_f32_e32 v107, v121, v6
	v_add_f32_e32 v2, v2, v134
	v_add_f32_e32 v1, v1, v3
	;; [unrolled: 1-line block ×3, first 2 shown]
	s_waitcnt vmcnt(0)
	v_sub_f32_e32 v1, v126, v1
	v_sub_f32_e32 v2, v152, v2
	buffer_store_dword v1, off, s[0:3], 0 offset:56
	buffer_store_dword v2, off, s[0:3], 0 offset:60
	v_cmpx_lt_u32_e32 6, v0
	s_cbranch_execz .LBB109_277
; %bb.276:
	s_clause 0x1
	buffer_load_dword v1, off, s[0:3], 0 offset:48
	buffer_load_dword v2, off, s[0:3], 0 offset:52
	v_mov_b32_e32 v3, 0
	buffer_store_dword v3, off, s[0:3], 0 offset:48
	buffer_store_dword v3, off, s[0:3], 0 offset:52
	s_waitcnt vmcnt(0)
	ds_write_b64 v101, v[1:2]
.LBB109_277:
	s_or_b32 exec_lo, exec_lo, s4
	s_waitcnt lgkmcnt(0)
	s_waitcnt_vscnt null, 0x0
	s_barrier
	buffer_gl0_inv
	s_clause 0x2c
	buffer_load_dword v132, off, s[0:3], 0 offset:60
	buffer_load_dword v133, off, s[0:3], 0 offset:68
	;; [unrolled: 1-line block ×45, first 2 shown]
	v_mov_b32_e32 v1, 0
	ds_read2_b64 v[134:137], v1 offset0:53 offset1:54
	ds_read2_b64 v[138:141], v1 offset0:55 offset1:56
	buffer_load_dword v150, off, s[0:3], 0 offset:52
	s_mov_b32 s4, exec_lo
	s_waitcnt vmcnt(45) lgkmcnt(1)
	v_mul_f32_e32 v148, v134, v132
	v_mul_f32_e32 v132, v135, v132
	s_waitcnt vmcnt(44)
	v_mul_f32_e32 v149, v136, v133
	v_mul_f32_e32 v133, v137, v133
	s_waitcnt vmcnt(41)
	v_fmac_f32_e32 v148, v135, v103
	v_fma_f32 v151, v134, v103, -v132
	s_waitcnt vmcnt(40) lgkmcnt(0)
	v_mul_f32_e32 v153, v138, v4
	v_fma_f32 v152, v136, v7, -v133
	ds_read2_b64 v[132:135], v1 offset0:57 offset1:58
	s_waitcnt vmcnt(39)
	v_mul_f32_e32 v154, v140, v5
	v_mul_f32_e32 v4, v139, v4
	v_fmac_f32_e32 v149, v137, v7
	v_mul_f32_e32 v5, v141, v5
	v_fmac_f32_e32 v153, v139, v2
	s_waitcnt vmcnt(35)
	v_fmac_f32_e32 v154, v141, v106
	v_fma_f32 v141, v138, v2, -v4
	ds_read2_b64 v[136:139], v1 offset0:59 offset1:60
	v_fma_f32 v106, v140, v106, -v5
	s_waitcnt vmcnt(34) lgkmcnt(1)
	v_mul_f32_e32 v140, v132, v105
	v_mul_f32_e32 v2, v133, v105
	s_waitcnt vmcnt(33)
	v_mul_f32_e32 v155, v134, v104
	v_mul_f32_e32 v4, v135, v104
	v_fmac_f32_e32 v140, v133, v102
	v_fma_f32 v132, v132, v102, -v2
	v_fmac_f32_e32 v155, v135, v6
	v_fma_f32 v133, v134, v6, -v4
	ds_read2_b64 v[4:7], v1 offset0:61 offset1:62
	s_waitcnt vmcnt(32) lgkmcnt(1)
	v_mul_f32_e32 v134, v136, v8
	v_mul_f32_e32 v2, v137, v8
	s_waitcnt vmcnt(31)
	v_mul_f32_e32 v8, v138, v107
	v_mul_f32_e32 v102, v139, v107
	v_fmac_f32_e32 v134, v137, v3
	v_fma_f32 v107, v136, v3, -v2
	s_waitcnt vmcnt(27)
	v_fmac_f32_e32 v8, v139, v115
	v_fma_f32 v115, v138, v115, -v102
	ds_read2_b64 v[102:105], v1 offset0:63 offset1:64
	buffer_load_dword v139, off, s[0:3], 0 offset:244
	s_waitcnt vmcnt(27) lgkmcnt(1)
	v_mul_f32_e32 v135, v4, v113
	v_mul_f32_e32 v2, v5, v113
	s_waitcnt vmcnt(26)
	v_mul_f32_e32 v113, v6, v112
	v_mul_f32_e32 v3, v7, v112
	v_fmac_f32_e32 v135, v5, v111
	v_fma_f32 v111, v4, v111, -v2
	v_fmac_f32_e32 v113, v7, v109
	v_fma_f32 v6, v6, v109, -v3
	ds_read2_b64 v[2:5], v1 offset0:65 offset1:66
	s_waitcnt vmcnt(25) lgkmcnt(1)
	v_mul_f32_e32 v7, v102, v110
	v_mul_f32_e32 v109, v103, v110
	s_waitcnt vmcnt(24)
	v_mul_f32_e32 v110, v104, v114
	v_mul_f32_e32 v112, v105, v114
	v_fmac_f32_e32 v7, v103, v108
	v_fma_f32 v108, v102, v108, -v109
	s_waitcnt vmcnt(20)
	v_fmac_f32_e32 v110, v105, v123
	v_fma_f32 v109, v104, v123, -v112
	ds_read2_b64 v[102:105], v1 offset0:67 offset1:68
	s_waitcnt vmcnt(19) lgkmcnt(1)
	v_mul_f32_e32 v112, v2, v121
	v_mul_f32_e32 v114, v3, v121
	s_waitcnt vmcnt(18)
	v_mul_f32_e32 v121, v4, v120
	v_mul_f32_e32 v120, v5, v120
	v_fmac_f32_e32 v112, v3, v119
	v_fma_f32 v114, v2, v119, -v114
	v_fmac_f32_e32 v121, v5, v117
	v_fma_f32 v117, v4, v117, -v120
	ds_read2_b64 v[2:5], v1 offset0:69 offset1:70
	s_waitcnt vmcnt(17) lgkmcnt(1)
	v_mul_f32_e32 v119, v102, v118
	v_mul_f32_e32 v118, v103, v118
	s_waitcnt vmcnt(16)
	v_mul_f32_e32 v120, v104, v122
	v_mul_f32_e32 v122, v105, v122
	v_fmac_f32_e32 v119, v103, v116
	v_fma_f32 v116, v102, v116, -v118
	s_waitcnt vmcnt(12)
	v_fmac_f32_e32 v120, v105, v130
	v_fma_f32 v118, v104, v130, -v122
	ds_read2_b64 v[102:105], v1 offset0:71 offset1:72
	s_waitcnt vmcnt(11) lgkmcnt(1)
	v_mul_f32_e32 v122, v2, v129
	v_mul_f32_e32 v123, v3, v129
	s_waitcnt vmcnt(10)
	v_mul_f32_e32 v129, v4, v128
	v_mul_f32_e32 v128, v5, v128
	v_fmac_f32_e32 v122, v3, v127
	v_fma_f32 v123, v2, v127, -v123
	v_fmac_f32_e32 v129, v5, v125
	v_fma_f32 v125, v4, v125, -v128
	ds_read2_b64 v[2:5], v1 offset0:73 offset1:74
	s_waitcnt vmcnt(8) lgkmcnt(1)
	v_mul_f32_e32 v128, v104, v131
	v_mul_f32_e32 v130, v105, v131
	buffer_load_dword v131, off, s[0:3], 0 offset:236
	v_mul_f32_e32 v127, v102, v126
	v_mul_f32_e32 v126, v103, v126
	s_waitcnt vmcnt(5)
	v_fmac_f32_e32 v128, v105, v145
	v_fmac_f32_e32 v127, v103, v124
	v_fma_f32 v124, v102, v124, -v126
	v_fma_f32 v126, v104, v145, -v130
	ds_read2_b64 v[102:105], v1 offset0:75 offset1:76
	s_waitcnt vmcnt(4) lgkmcnt(1)
	v_mul_f32_e32 v130, v2, v146
	v_mul_f32_e32 v136, v3, v146
	s_waitcnt vmcnt(3)
	v_mul_f32_e32 v137, v4, v147
	v_mul_f32_e32 v138, v5, v147
	v_fmac_f32_e32 v130, v3, v144
	v_fma_f32 v136, v2, v144, -v136
	v_fmac_f32_e32 v137, v5, v143
	v_fma_f32 v138, v4, v143, -v138
	s_clause 0x4
	buffer_load_dword v143, off, s[0:3], 0 offset:264
	buffer_load_dword v144, off, s[0:3], 0 offset:256
	;; [unrolled: 1-line block ×5, first 2 shown]
	s_waitcnt vmcnt(6) lgkmcnt(0)
	v_mul_f32_e32 v4, v105, v139
	s_waitcnt vmcnt(5)
	v_mul_f32_e32 v146, v102, v131
	v_mul_f32_e32 v3, v103, v131
	;; [unrolled: 1-line block ×3, first 2 shown]
	v_fmac_f32_e32 v146, v103, v142
	v_fma_f32 v139, v102, v142, -v3
	buffer_load_dword v142, off, s[0:3], 0 offset:252
	v_add_f32_e32 v3, 0, v151
	v_add_f32_e32 v3, v3, v152
	;; [unrolled: 1-line block ×4, first 2 shown]
	s_waitcnt vmcnt(2)
	v_fmac_f32_e32 v131, v105, v2
	v_fma_f32 v147, v104, v2, -v4
	v_add_f32_e32 v2, 0, v148
	buffer_load_dword v148, off, s[0:3], 0 offset:268
	v_add_f32_e32 v3, v3, v132
	v_add_f32_e32 v2, v2, v149
	buffer_load_dword v149, off, s[0:3], 0 offset:276
	v_add_f32_e32 v3, v3, v133
	v_add_f32_e32 v2, v2, v153
	s_clause 0x3
	buffer_load_dword v151, off, s[0:3], 0 offset:296
	buffer_load_dword v152, off, s[0:3], 0 offset:288
	;; [unrolled: 1-line block ×4, first 2 shown]
	v_add_f32_e32 v3, v3, v107
	v_add_f32_e32 v2, v2, v154
	s_clause 0x1
	buffer_load_dword v141, off, s[0:3], 0 offset:284
	buffer_load_dword v154, off, s[0:3], 0 offset:292
	v_add_f32_e32 v3, v3, v115
	v_add_f32_e32 v2, v2, v140
	buffer_load_dword v140, off, s[0:3], 0 offset:300
	v_add_f32_e32 v3, v3, v111
	v_add_f32_e32 v2, v2, v155
	s_clause 0x3
	buffer_load_dword v132, off, s[0:3], 0 offset:308
	buffer_load_dword v155, off, s[0:3], 0 offset:316
	;; [unrolled: 1-line block ×4, first 2 shown]
	v_add_f32_e32 v3, v3, v6
	v_add_f32_e32 v2, v2, v134
	s_clause 0x1
	buffer_load_dword v133, off, s[0:3], 0 offset:340
	buffer_load_dword v134, off, s[0:3], 0 offset:348
	v_add_f32_e32 v3, v3, v108
	v_add_f32_e32 v2, v2, v8
	s_clause 0x1
	buffer_load_dword v8, off, s[0:3], 0 offset:356
	buffer_load_dword v160, off, s[0:3], 0 offset:364
	;; [unrolled: 5-line block ×3, first 2 shown]
	buffer_load_dword v162, off, s[0:3], 0 offset:312
	buffer_load_dword v163, off, s[0:3], 0 offset:304
	buffer_load_dword v164, off, s[0:3], 0 offset:360
	buffer_load_dword v165, off, s[0:3], 0 offset:352
	buffer_load_dword v166, off, s[0:3], 0 offset:344
	buffer_load_dword v167, off, s[0:3], 0 offset:336
	buffer_load_dword v168, off, s[0:3], 0 offset:48
	v_add_f32_e32 v3, v3, v114
	v_add_f32_e32 v2, v2, v113
	ds_read2_b64 v[102:105], v1 offset0:79 offset1:80
	v_add_f32_e32 v2, v2, v7
	v_add_f32_e32 v7, v3, v117
	;; [unrolled: 1-line block ×7, first 2 shown]
	ds_read2_b64 v[2:5], v1 offset0:77 offset1:78
	v_add_f32_e32 v7, v7, v123
	v_add_f32_e32 v6, v6, v119
	;; [unrolled: 1-line block ×6, first 2 shown]
	s_waitcnt vmcnt(27) lgkmcnt(0)
	v_mul_f32_e32 v119, v4, v156
	v_mul_f32_e32 v107, v5, v156
	v_add_f32_e32 v6, v6, v127
	v_fmac_f32_e32 v119, v5, v144
	v_fma_f32 v121, v4, v144, -v107
	v_add_f32_e32 v6, v6, v128
	v_add_f32_e32 v6, v6, v130
	;; [unrolled: 1-line block ×3, first 2 shown]
	s_waitcnt vmcnt(26)
	v_mul_f32_e32 v118, v2, v142
	v_mul_f32_e32 v106, v3, v142
	v_fmac_f32_e32 v118, v3, v145
	v_add_f32_e32 v3, v7, v124
	v_fma_f32 v120, v2, v145, -v106
	v_add_f32_e32 v7, v3, v126
	ds_read2_b64 v[2:5], v1 offset0:81 offset1:82
	ds_read2_b64 v[106:109], v1 offset0:83 offset1:84
	v_add_f32_e32 v126, v6, v146
	ds_read2_b64 v[110:113], v1 offset0:85 offset1:86
	v_add_f32_e32 v7, v7, v136
	v_add_f32_e32 v126, v126, v131
	;; [unrolled: 1-line block ×3, first 2 shown]
	s_waitcnt vmcnt(25)
	v_mul_f32_e32 v114, v103, v148
	v_mul_f32_e32 v122, v102, v148
	v_add_f32_e32 v118, v126, v118
	v_add_f32_e32 v7, v7, v139
	s_waitcnt vmcnt(24)
	v_mul_f32_e32 v124, v105, v149
	v_fma_f32 v125, v102, v143, -v114
	v_mul_f32_e32 v123, v104, v149
	v_fmac_f32_e32 v122, v103, v143
	v_add_f32_e32 v127, v7, v147
	v_add_f32_e32 v118, v118, v119
	s_waitcnt vmcnt(20)
	v_fma_f32 v124, v104, v157, -v124
	v_fmac_f32_e32 v123, v105, v157
	ds_read2_b64 v[114:117], v1 offset0:87 offset1:88
	v_add_f32_e32 v120, v127, v120
	s_waitcnt vmcnt(19) lgkmcnt(3)
	v_mul_f32_e32 v127, v3, v141
	v_mul_f32_e32 v128, v2, v141
	v_add_f32_e32 v118, v118, v122
	s_waitcnt vmcnt(18)
	v_mul_f32_e32 v130, v5, v154
	v_add_f32_e32 v120, v120, v121
	v_fma_f32 v2, v2, v153, -v127
	v_mul_f32_e32 v129, v4, v154
	v_fmac_f32_e32 v128, v3, v153
	v_add_f32_e32 v118, v118, v123
	v_add_f32_e32 v120, v120, v125
	s_waitcnt vmcnt(17) lgkmcnt(2)
	v_mul_f32_e32 v127, v107, v140
	v_fma_f32 v4, v4, v152, -v130
	v_mul_f32_e32 v126, v106, v140
	v_fmac_f32_e32 v129, v5, v152
	v_add_f32_e32 v120, v120, v124
	v_add_f32_e32 v5, v118, v128
	s_waitcnt vmcnt(16)
	v_mul_f32_e32 v118, v109, v132
	v_fma_f32 v106, v106, v151, -v127
	v_mul_f32_e32 v121, v108, v132
	v_add_f32_e32 v2, v120, v2
	v_fmac_f32_e32 v126, v107, v151
	ds_read2_b64 v[102:105], v1 offset0:89 offset1:90
	ds_read_b64 v[6:7], v1 offset:728
	s_waitcnt vmcnt(15) lgkmcnt(3)
	v_mul_f32_e32 v131, v110, v155
	s_waitcnt vmcnt(14)
	v_mul_f32_e32 v119, v112, v158
	v_add_f32_e32 v2, v2, v4
	v_add_f32_e32 v4, v5, v129
	v_mul_f32_e32 v5, v111, v155
	s_waitcnt vmcnt(5)
	v_fma_f32 v107, v108, v163, -v118
	v_fmac_f32_e32 v121, v109, v163
	v_add_f32_e32 v2, v2, v106
	v_add_f32_e32 v4, v4, v126
	v_mul_f32_e32 v106, v113, v158
	v_fma_f32 v5, v110, v162, -v5
	v_fmac_f32_e32 v131, v111, v162
	v_add_f32_e32 v2, v2, v107
	v_add_f32_e32 v4, v4, v121
	s_waitcnt lgkmcnt(2)
	v_mul_f32_e32 v107, v115, v159
	v_fma_f32 v106, v112, v161, -v106
	v_mul_f32_e32 v125, v114, v159
	v_add_f32_e32 v2, v2, v5
	v_fmac_f32_e32 v119, v113, v161
	v_add_f32_e32 v4, v4, v131
	v_mul_f32_e32 v5, v117, v133
	v_fma_f32 v107, v114, v135, -v107
	v_add_f32_e32 v2, v2, v106
	v_mul_f32_e32 v3, v116, v133
	v_fmac_f32_e32 v125, v115, v135
	v_add_f32_e32 v4, v4, v119
	s_waitcnt lgkmcnt(1)
	v_mul_f32_e32 v106, v103, v134
	s_waitcnt vmcnt(1)
	v_fma_f32 v5, v116, v167, -v5
	v_add_f32_e32 v2, v2, v107
	v_mul_f32_e32 v122, v102, v134
	v_fmac_f32_e32 v3, v117, v167
	v_add_f32_e32 v4, v4, v125
	v_mul_f32_e32 v124, v104, v8
	v_mul_f32_e32 v8, v105, v8
	v_fma_f32 v102, v102, v166, -v106
	v_add_f32_e32 v2, v2, v5
	v_fmac_f32_e32 v122, v103, v166
	v_add_f32_e32 v3, v4, v3
	s_waitcnt lgkmcnt(0)
	v_mul_f32_e32 v4, v7, v160
	v_fma_f32 v5, v104, v165, -v8
	v_add_f32_e32 v2, v2, v102
	v_mul_f32_e32 v123, v6, v160
	v_fmac_f32_e32 v124, v105, v165
	v_add_f32_e32 v3, v3, v122
	v_fma_f32 v4, v6, v164, -v4
	v_add_f32_e32 v2, v2, v5
	v_fmac_f32_e32 v123, v7, v164
	v_add_f32_e32 v3, v3, v124
	v_add_f32_e32 v2, v2, v4
	;; [unrolled: 1-line block ×3, first 2 shown]
	s_waitcnt vmcnt(0)
	v_sub_f32_e32 v2, v168, v2
	v_sub_f32_e32 v3, v150, v3
	buffer_store_dword v2, off, s[0:3], 0 offset:48
	buffer_store_dword v3, off, s[0:3], 0 offset:52
	v_cmpx_lt_u32_e32 5, v0
	s_cbranch_execz .LBB109_279
; %bb.278:
	s_clause 0x1
	buffer_load_dword v2, off, s[0:3], 0 offset:40
	buffer_load_dword v3, off, s[0:3], 0 offset:44
	buffer_store_dword v1, off, s[0:3], 0 offset:40
	buffer_store_dword v1, off, s[0:3], 0 offset:44
	s_waitcnt vmcnt(0)
	ds_write_b64 v101, v[2:3]
.LBB109_279:
	s_or_b32 exec_lo, exec_lo, s4
	s_waitcnt lgkmcnt(0)
	s_waitcnt_vscnt null, 0x0
	s_barrier
	buffer_gl0_inv
	s_clause 0x2c
	buffer_load_dword v6, off, s[0:3], 0 offset:52
	buffer_load_dword v7, off, s[0:3], 0 offset:60
	;; [unrolled: 1-line block ×45, first 2 shown]
	ds_read_b128 v[2:5], v1 offset:416
	ds_read_b128 v[102:105], v1 offset:432
	s_clause 0x2
	buffer_load_dword v150, off, s[0:3], 0 offset:44
	buffer_load_dword v151, off, s[0:3], 0 offset:228
	buffer_load_dword v152, off, s[0:3], 0 offset:236
	s_mov_b32 s4, exec_lo
	s_waitcnt vmcnt(47) lgkmcnt(1)
	v_mul_f32_e32 v148, v3, v6
	v_mul_f32_e32 v6, v2, v6
	s_waitcnt vmcnt(46)
	v_mul_f32_e32 v149, v4, v7
	v_mul_f32_e32 v7, v5, v7
	s_waitcnt vmcnt(43)
	v_fma_f32 v148, v2, v107, -v148
	v_fmac_f32_e32 v6, v3, v107
	v_fmac_f32_e32 v149, v5, v106
	v_fma_f32 v7, v4, v106, -v7
	ds_read_b128 v[2:5], v1 offset:448
	s_waitcnt vmcnt(42) lgkmcnt(1)
	v_mul_f32_e32 v106, v102, v108
	v_mul_f32_e32 v107, v103, v108
	s_waitcnt vmcnt(41)
	v_mul_f32_e32 v108, v104, v109
	v_mul_f32_e32 v109, v105, v109
	v_fmac_f32_e32 v106, v103, v8
	v_fma_f32 v8, v102, v8, -v107
	s_waitcnt vmcnt(37)
	v_fmac_f32_e32 v108, v105, v113
	v_fma_f32 v107, v104, v113, -v109
	ds_read_b128 v[102:105], v1 offset:464
	s_waitcnt vmcnt(36) lgkmcnt(1)
	v_mul_f32_e32 v109, v2, v114
	v_mul_f32_e32 v113, v3, v114
	s_waitcnt vmcnt(35)
	v_mul_f32_e32 v114, v4, v115
	v_mul_f32_e32 v115, v5, v115
	v_fmac_f32_e32 v109, v3, v112
	v_fma_f32 v112, v2, v112, -v113
	v_fmac_f32_e32 v114, v5, v111
	v_fma_f32 v111, v4, v111, -v115
	ds_read_b128 v[2:5], v1 offset:480
	s_waitcnt vmcnt(34) lgkmcnt(1)
	v_mul_f32_e32 v113, v102, v116
	v_mul_f32_e32 v115, v103, v116
	s_waitcnt vmcnt(33)
	v_mul_f32_e32 v116, v104, v117
	v_mul_f32_e32 v117, v105, v117
	v_fmac_f32_e32 v113, v103, v110
	v_fma_f32 v110, v102, v110, -v115
	s_waitcnt vmcnt(29)
	v_fmac_f32_e32 v116, v105, v121
	v_fma_f32 v115, v104, v121, -v117
	ds_read_b128 v[102:105], v1 offset:496
	s_waitcnt vmcnt(28) lgkmcnt(1)
	v_mul_f32_e32 v117, v2, v122
	v_mul_f32_e32 v121, v3, v122
	s_waitcnt vmcnt(27)
	v_mul_f32_e32 v122, v4, v123
	v_mul_f32_e32 v123, v5, v123
	v_fmac_f32_e32 v117, v3, v120
	v_fma_f32 v120, v2, v120, -v121
	;; [unrolled: 23-line block ×5, first 2 shown]
	v_fmac_f32_e32 v146, v5, v143
	v_fma_f32 v143, v4, v143, -v147
	s_clause 0x5
	buffer_load_dword v145, off, s[0:3], 0 offset:256
	buffer_load_dword v147, off, s[0:3], 0 offset:248
	;; [unrolled: 1-line block ×6, first 2 shown]
	v_add_f32_e32 v4, 0, v6
	buffer_load_dword v6, off, s[0:3], 0 offset:260
	v_add_f32_e32 v3, 0, v148
	s_waitcnt vmcnt(8) lgkmcnt(0)
	v_mul_f32_e32 v5, v103, v151
	s_waitcnt vmcnt(7)
	v_mul_f32_e32 v158, v104, v152
	v_add_f32_e32 v4, v4, v149
	v_add_f32_e32 v3, v3, v7
	v_mul_f32_e32 v7, v102, v151
	v_add_f32_e32 v4, v4, v106
	v_add_f32_e32 v3, v3, v8
	s_clause 0x7
	buffer_load_dword v8, off, s[0:3], 0 offset:268
	buffer_load_dword v148, off, s[0:3], 0 offset:288
	;; [unrolled: 1-line block ×8, first 2 shown]
	v_add_f32_e32 v3, v3, v107
	v_add_f32_e32 v4, v4, v108
	v_fmac_f32_e32 v7, v103, v142
	v_fma_f32 v142, v102, v142, -v5
	v_mul_f32_e32 v5, v105, v152
	v_add_f32_e32 v3, v3, v112
	v_add_f32_e32 v4, v4, v109
	s_clause 0x7
	buffer_load_dword v152, off, s[0:3], 0 offset:284
	buffer_load_dword v161, off, s[0:3], 0 offset:308
	buffer_load_dword v162, off, s[0:3], 0 offset:316
	buffer_load_dword v163, off, s[0:3], 0 offset:324
	buffer_load_dword v164, off, s[0:3], 0 offset:332
	buffer_load_dword v165, off, s[0:3], 0 offset:340
	buffer_load_dword v166, off, s[0:3], 0 offset:348
	buffer_load_dword v167, off, s[0:3], 0 offset:356
	v_add_f32_e32 v3, v3, v111
	v_add_f32_e32 v4, v4, v114
	buffer_load_dword v168, off, s[0:3], 0 offset:364
	s_waitcnt vmcnt(20)
	v_fmac_f32_e32 v158, v105, v2
	v_fma_f32 v114, v104, v2, -v5
	v_add_f32_e32 v2, v3, v110
	v_add_f32_e32 v3, v4, v113
	v_add_f32_e32 v2, v2, v115
	v_add_f32_e32 v3, v3, v116
	v_add_f32_e32 v2, v2, v120
	v_add_f32_e32 v3, v3, v117
	v_add_f32_e32 v2, v2, v119
	v_add_f32_e32 v3, v3, v122
	s_clause 0x3
	buffer_load_dword v122, off, s[0:3], 0 offset:320
	buffer_load_dword v169, off, s[0:3], 0 offset:312
	;; [unrolled: 1-line block ×4, first 2 shown]
	v_add_f32_e32 v2, v2, v118
	v_add_f32_e32 v3, v3, v121
	;; [unrolled: 1-line block ×4, first 2 shown]
	s_clause 0x3
	buffer_load_dword v123, off, s[0:3], 0 offset:352
	buffer_load_dword v124, off, s[0:3], 0 offset:344
	;; [unrolled: 1-line block ×4, first 2 shown]
	v_add_f32_e32 v2, v2, v128
	buffer_load_dword v128, off, s[0:3], 0 offset:360
	v_add_f32_e32 v3, v3, v125
	buffer_load_dword v125, off, s[0:3], 0 offset:40
	v_add_f32_e32 v2, v2, v127
	v_add_f32_e32 v3, v3, v130
	v_add_f32_e32 v102, v2, v126
	v_add_f32_e32 v103, v3, v129
	ds_read_b128 v[2:5], v1 offset:608
	v_add_f32_e32 v102, v102, v131
	v_add_f32_e32 v103, v103, v132
	;; [unrolled: 1-line block ×4, first 2 shown]
	ds_read_b128 v[102:105], v1 offset:624
	v_add_f32_e32 v106, v106, v135
	v_add_f32_e32 v107, v107, v138
	;; [unrolled: 1-line block ×4, first 2 shown]
	s_waitcnt vmcnt(29) lgkmcnt(1)
	v_mul_f32_e32 v126, v2, v154
	v_mul_f32_e32 v108, v3, v154
	s_waitcnt vmcnt(28)
	v_mul_f32_e32 v127, v4, v155
	v_mul_f32_e32 v109, v5, v155
	v_add_f32_e32 v111, v106, v139
	v_fmac_f32_e32 v126, v3, v153
	v_fma_f32 v118, v2, v153, -v108
	v_fmac_f32_e32 v127, v5, v147
	v_fma_f32 v129, v4, v147, -v109
	ds_read_b128 v[2:5], v1 offset:640
	ds_read_b128 v[106:109], v1 offset:656
	v_add_f32_e32 v110, v110, v140
	s_waitcnt vmcnt(27) lgkmcnt(2)
	v_mul_f32_e32 v130, v102, v6
	v_add_f32_e32 v111, v111, v144
	v_mul_f32_e32 v6, v103, v6
	s_waitcnt vmcnt(26)
	v_mul_f32_e32 v131, v104, v8
	v_add_f32_e32 v110, v110, v141
	v_fmac_f32_e32 v130, v103, v145
	v_add_f32_e32 v103, v111, v143
	v_mul_f32_e32 v8, v105, v8
	v_fma_f32 v6, v102, v145, -v6
	v_add_f32_e32 v115, v110, v146
	s_waitcnt vmcnt(22)
	v_fmac_f32_e32 v131, v105, v156
	v_add_f32_e32 v116, v103, v142
	v_fma_f32 v8, v104, v156, -v8
	ds_read_b128 v[102:105], v1 offset:672
	ds_read_b128 v[110:113], v1 offset:688
	v_add_f32_e32 v7, v115, v7
	v_add_f32_e32 v120, v116, v114
	s_waitcnt vmcnt(21) lgkmcnt(3)
	v_mul_f32_e32 v132, v2, v157
	v_mul_f32_e32 v119, v3, v157
	v_add_f32_e32 v7, v7, v158
	ds_read_b128 v[114:117], v1 offset:704
	s_waitcnt vmcnt(20) lgkmcnt(3)
	v_mul_f32_e32 v133, v107, v159
	v_fmac_f32_e32 v132, v3, v151
	v_add_f32_e32 v3, v120, v118
	v_fma_f32 v2, v2, v151, -v119
	ds_read_b128 v[118:121], v1 offset:720
	v_add_f32_e32 v1, v7, v126
	s_waitcnt vmcnt(18)
	v_mul_f32_e32 v126, v5, v152
	v_add_f32_e32 v3, v3, v129
	v_mul_f32_e32 v7, v4, v152
	v_mul_f32_e32 v129, v106, v159
	v_add_f32_e32 v1, v1, v127
	v_fma_f32 v4, v4, v149, -v126
	v_add_f32_e32 v3, v3, v6
	v_fmac_f32_e32 v7, v5, v149
	v_fma_f32 v106, v106, v148, -v133
	v_add_f32_e32 v1, v1, v130
	v_mul_f32_e32 v127, v108, v160
	v_add_f32_e32 v3, v3, v8
	v_mul_f32_e32 v8, v109, v160
	v_fmac_f32_e32 v129, v107, v148
	v_add_f32_e32 v1, v1, v131
	s_waitcnt vmcnt(17) lgkmcnt(3)
	v_mul_f32_e32 v5, v102, v161
	v_add_f32_e32 v2, v3, v2
	s_waitcnt vmcnt(16)
	v_mul_f32_e32 v126, v104, v162
	s_waitcnt vmcnt(15) lgkmcnt(2)
	v_mul_f32_e32 v6, v110, v163
	v_add_f32_e32 v1, v1, v132
	s_waitcnt vmcnt(14)
	v_mul_f32_e32 v130, v112, v164
	v_add_f32_e32 v2, v2, v4
	v_mul_f32_e32 v4, v103, v161
	s_waitcnt vmcnt(13) lgkmcnt(1)
	v_mul_f32_e32 v134, v114, v165
	v_add_f32_e32 v1, v1, v7
	s_waitcnt vmcnt(12)
	v_mul_f32_e32 v131, v116, v166
	v_add_f32_e32 v2, v2, v106
	s_waitcnt vmcnt(11) lgkmcnt(0)
	v_mul_f32_e32 v135, v118, v167
	s_waitcnt vmcnt(10)
	v_mul_f32_e32 v3, v120, v168
	v_add_f32_e32 v1, v1, v129
	s_waitcnt vmcnt(9)
	v_fmac_f32_e32 v6, v111, v122
	s_waitcnt vmcnt(8)
	v_fmac_f32_e32 v126, v105, v169
	s_waitcnt vmcnt(7)
	v_fma_f32 v4, v102, v170, -v4
	s_waitcnt vmcnt(6)
	v_fma_f32 v7, v108, v171, -v8
	v_fmac_f32_e32 v127, v109, v171
	v_mul_f32_e32 v8, v105, v162
	v_fmac_f32_e32 v5, v103, v170
	v_add_f32_e32 v2, v2, v7
	v_add_f32_e32 v1, v1, v127
	v_mul_f32_e32 v7, v111, v163
	v_fma_f32 v8, v104, v169, -v8
	s_waitcnt vmcnt(3)
	v_fmac_f32_e32 v134, v115, v172
	v_add_f32_e32 v2, v2, v4
	v_add_f32_e32 v1, v1, v5
	v_mul_f32_e32 v4, v113, v164
	v_fma_f32 v5, v110, v122, -v7
	v_mul_f32_e32 v7, v115, v165
	v_add_f32_e32 v2, v2, v8
	v_add_f32_e32 v1, v1, v126
	s_waitcnt vmcnt(2)
	v_fma_f32 v4, v112, v173, -v4
	v_fmac_f32_e32 v130, v113, v173
	v_fmac_f32_e32 v131, v117, v124
	v_add_f32_e32 v2, v2, v5
	v_add_f32_e32 v1, v1, v6
	v_mul_f32_e32 v5, v117, v166
	v_fma_f32 v6, v114, v172, -v7
	v_fmac_f32_e32 v135, v119, v123
	v_add_f32_e32 v2, v2, v4
	v_add_f32_e32 v1, v1, v130
	v_mul_f32_e32 v4, v119, v167
	v_fma_f32 v5, v116, v124, -v5
	s_waitcnt vmcnt(1)
	v_fmac_f32_e32 v3, v121, v128
	v_add_f32_e32 v2, v2, v6
	v_add_f32_e32 v1, v1, v134
	v_mul_f32_e32 v6, v121, v168
	v_fma_f32 v4, v118, v123, -v4
	v_add_f32_e32 v2, v2, v5
	v_add_f32_e32 v1, v1, v131
	v_fma_f32 v5, v120, v128, -v6
	v_add_f32_e32 v2, v2, v4
	v_add_f32_e32 v1, v1, v135
	;; [unrolled: 1-line block ×4, first 2 shown]
	s_waitcnt vmcnt(0)
	v_sub_f32_e32 v2, v125, v2
	v_sub_f32_e32 v1, v150, v1
	buffer_store_dword v2, off, s[0:3], 0 offset:40
	buffer_store_dword v1, off, s[0:3], 0 offset:44
	v_cmpx_lt_u32_e32 4, v0
	s_cbranch_execz .LBB109_281
; %bb.280:
	s_clause 0x1
	buffer_load_dword v1, off, s[0:3], 0 offset:32
	buffer_load_dword v2, off, s[0:3], 0 offset:36
	v_mov_b32_e32 v3, 0
	buffer_store_dword v3, off, s[0:3], 0 offset:32
	buffer_store_dword v3, off, s[0:3], 0 offset:36
	s_waitcnt vmcnt(0)
	ds_write_b64 v101, v[1:2]
.LBB109_281:
	s_or_b32 exec_lo, exec_lo, s4
	s_waitcnt lgkmcnt(0)
	s_waitcnt_vscnt null, 0x0
	s_barrier
	buffer_gl0_inv
	s_clause 0x24
	buffer_load_dword v2, off, s[0:3], 0 offset:44
	buffer_load_dword v3, off, s[0:3], 0 offset:52
	;; [unrolled: 1-line block ×37, first 2 shown]
	v_mov_b32_e32 v1, 0
	ds_read2_b64 v[110:113], v1 offset0:51 offset1:52
	ds_read2_b64 v[114:117], v1 offset0:53 offset1:54
	;; [unrolled: 1-line block ×3, first 2 shown]
	s_clause 0x1
	buffer_load_dword v148, off, s[0:3], 0 offset:188
	buffer_load_dword v149, off, s[0:3], 0 offset:36
	ds_read2_b64 v[122:125], v1 offset0:57 offset1:58
	s_mov_b32 s4, exec_lo
	s_waitcnt vmcnt(38) lgkmcnt(3)
	v_mul_f32_e32 v150, v111, v2
	v_mul_f32_e32 v2, v110, v2
	s_waitcnt vmcnt(37)
	v_mul_f32_e32 v151, v112, v3
	v_mul_f32_e32 v3, v113, v3
	s_waitcnt vmcnt(34)
	v_fma_f32 v150, v110, v128, -v150
	v_fmac_f32_e32 v2, v111, v128
	v_fmac_f32_e32 v151, v113, v127
	v_fma_f32 v3, v112, v127, -v3
	ds_read2_b64 v[110:113], v1 offset0:59 offset1:60
	s_waitcnt vmcnt(33) lgkmcnt(3)
	v_mul_f32_e32 v127, v114, v129
	v_mul_f32_e32 v128, v115, v129
	s_waitcnt vmcnt(32)
	v_mul_f32_e32 v129, v116, v130
	v_mul_f32_e32 v130, v117, v130
	s_waitcnt vmcnt(31) lgkmcnt(2)
	v_mul_f32_e32 v152, v118, v131
	v_fmac_f32_e32 v127, v115, v126
	v_fma_f32 v126, v114, v126, -v128
	s_waitcnt vmcnt(26)
	v_fmac_f32_e32 v129, v117, v136
	v_fma_f32 v130, v116, v136, -v130
	ds_read2_b64 v[114:117], v1 offset0:61 offset1:62
	v_mul_f32_e32 v131, v119, v131
	v_mul_f32_e32 v128, v120, v132
	;; [unrolled: 1-line block ×3, first 2 shown]
	v_fmac_f32_e32 v152, v119, v135
	s_waitcnt vmcnt(24) lgkmcnt(2)
	v_mul_f32_e32 v136, v124, v138
	v_fma_f32 v131, v118, v135, -v131
	v_fmac_f32_e32 v128, v121, v134
	v_fma_f32 v132, v120, v134, -v132
	v_mul_f32_e32 v134, v122, v137
	v_mul_f32_e32 v135, v123, v137
	;; [unrolled: 1-line block ×3, first 2 shown]
	ds_read2_b64 v[118:121], v1 offset0:63 offset1:64
	s_waitcnt vmcnt(19)
	v_fmac_f32_e32 v136, v125, v141
	v_fmac_f32_e32 v134, v123, v133
	v_fma_f32 v122, v122, v133, -v135
	v_fma_f32 v123, v124, v141, -v137
	s_clause 0x4
	buffer_load_dword v124, off, s[0:3], 0 offset:196
	buffer_load_dword v125, off, s[0:3], 0 offset:216
	;; [unrolled: 1-line block ×5, first 2 shown]
	s_waitcnt lgkmcnt(2)
	v_mul_f32_e32 v138, v110, v139
	v_mul_f32_e32 v139, v111, v139
	s_waitcnt vmcnt(23)
	v_mul_f32_e32 v141, v112, v142
	v_mul_f32_e32 v142, v113, v142
	s_waitcnt vmcnt(21) lgkmcnt(1)
	v_mul_f32_e32 v153, v116, v144
	v_fmac_f32_e32 v138, v111, v140
	v_fma_f32 v139, v110, v140, -v139
	v_mul_f32_e32 v140, v114, v143
	v_mul_f32_e32 v110, v115, v143
	buffer_load_dword v143, off, s[0:3], 0 offset:204
	v_fmac_f32_e32 v141, v113, v107
	v_fma_f32 v142, v112, v107, -v142
	v_mul_f32_e32 v107, v117, v144
	v_fmac_f32_e32 v140, v115, v8
	v_fma_f32 v8, v114, v8, -v110
	ds_read2_b64 v[110:113], v1 offset0:65 offset1:66
	s_waitcnt vmcnt(18)
	v_fmac_f32_e32 v153, v117, v145
	v_fma_f32 v144, v116, v145, -v107
	ds_read2_b64 v[114:117], v1 offset0:67 offset1:68
	s_waitcnt vmcnt(17) lgkmcnt(2)
	v_mul_f32_e32 v145, v118, v146
	v_mul_f32_e32 v107, v119, v146
	s_waitcnt vmcnt(16)
	v_mul_f32_e32 v146, v120, v147
	v_mul_f32_e32 v147, v121, v147
	v_add_f32_e32 v2, 0, v2
	v_fmac_f32_e32 v145, v119, v108
	v_fma_f32 v118, v118, v108, -v107
	v_fmac_f32_e32 v146, v121, v102
	v_fma_f32 v119, v120, v102, -v147
	s_clause 0x2
	buffer_load_dword v120, off, s[0:3], 0 offset:212
	buffer_load_dword v121, off, s[0:3], 0 offset:220
	;; [unrolled: 1-line block ×3, first 2 shown]
	s_waitcnt vmcnt(18) lgkmcnt(1)
	v_mul_f32_e32 v147, v110, v104
	v_mul_f32_e32 v102, v111, v104
	s_waitcnt vmcnt(17)
	v_mul_f32_e32 v154, v112, v103
	v_mul_f32_e32 v103, v113, v103
	v_fmac_f32_e32 v147, v111, v5
	v_fma_f32 v111, v110, v5, -v102
	s_waitcnt vmcnt(13)
	v_fmac_f32_e32 v154, v113, v109
	s_waitcnt vmcnt(12) lgkmcnt(0)
	v_mul_f32_e32 v113, v114, v106
	v_mul_f32_e32 v5, v115, v106
	s_waitcnt vmcnt(11)
	v_mul_f32_e32 v106, v116, v105
	v_mul_f32_e32 v102, v117, v105
	v_fma_f32 v112, v112, v109, -v103
	ds_read2_b64 v[107:110], v1 offset0:69 offset1:70
	v_fmac_f32_e32 v113, v115, v7
	v_fma_f32 v7, v114, v7, -v5
	v_fmac_f32_e32 v106, v117, v6
	v_fma_f32 v6, v116, v6, -v102
	s_clause 0x4
	buffer_load_dword v114, off, s[0:3], 0 offset:248
	buffer_load_dword v115, off, s[0:3], 0 offset:240
	;; [unrolled: 1-line block ×5, first 2 shown]
	v_add_f32_e32 v5, 0, v150
	v_add_f32_e32 v3, v5, v3
	;; [unrolled: 1-line block ×3, first 2 shown]
	s_waitcnt vmcnt(15) lgkmcnt(0)
	v_mul_f32_e32 v150, v107, v148
	v_mul_f32_e32 v102, v108, v148
	v_add_f32_e32 v103, v103, v130
	v_fmac_f32_e32 v150, v108, v4
	buffer_load_dword v108, off, s[0:3], 0 offset:244
	v_fma_f32 v107, v107, v4, -v102
	v_add_f32_e32 v102, v2, v151
	ds_read2_b64 v[2:5], v1 offset0:71 offset1:72
	v_add_f32_e32 v103, v103, v131
	v_add_f32_e32 v102, v102, v127
	buffer_load_dword v127, off, s[0:3], 0 offset:260
	v_add_f32_e32 v102, v102, v129
	v_add_f32_e32 v129, v103, v132
	;; [unrolled: 1-line block ×3, first 2 shown]
	s_waitcnt vmcnt(15)
	v_mul_f32_e32 v126, v109, v124
	v_mul_f32_e32 v104, v110, v124
	buffer_load_dword v124, off, s[0:3], 0 offset:252
	s_waitcnt vmcnt(12)
	v_fmac_f32_e32 v126, v110, v137
	v_add_f32_e32 v110, v102, v152
	v_fma_f32 v109, v109, v137, -v104
	ds_read2_b64 v[102:105], v1 offset0:73 offset1:74
	v_add_f32_e32 v110, v110, v128
	s_clause 0x3
	buffer_load_dword v128, off, s[0:3], 0 offset:280
	buffer_load_dword v129, off, s[0:3], 0 offset:272
	;; [unrolled: 1-line block ×4, first 2 shown]
	s_waitcnt vmcnt(15) lgkmcnt(1)
	v_mul_f32_e32 v130, v2, v143
	v_mul_f32_e32 v131, v3, v143
	v_fmac_f32_e32 v130, v3, v135
	v_fma_f32 v131, v2, v135, -v131
	v_add_f32_e32 v2, v110, v134
	s_clause 0x1
	buffer_load_dword v134, off, s[0:3], 0 offset:268
	buffer_load_dword v135, off, s[0:3], 0 offset:276
	v_add_f32_e32 v3, v122, v123
	buffer_load_dword v122, off, s[0:3], 0 offset:284
	v_add_f32_e32 v2, v2, v136
	v_add_f32_e32 v3, v3, v139
	;; [unrolled: 1-line block ×3, first 2 shown]
	s_waitcnt vmcnt(17)
	v_mul_f32_e32 v110, v4, v120
	v_add_f32_e32 v142, v3, v142
	v_mul_f32_e32 v120, v5, v120
	v_add_f32_e32 v123, v123, v141
	s_waitcnt vmcnt(16) lgkmcnt(0)
	v_mul_f32_e32 v141, v102, v121
	v_add_f32_e32 v8, v142, v8
	v_mul_f32_e32 v121, v103, v121
	v_fmac_f32_e32 v110, v5, v133
	v_add_f32_e32 v123, v123, v140
	v_fma_f32 v120, v4, v133, -v120
	s_clause 0x3
	buffer_load_dword v133, off, s[0:3], 0 offset:292
	buffer_load_dword v136, off, s[0:3], 0 offset:300
	buffer_load_dword v138, off, s[0:3], 0 offset:308
	buffer_load_dword v139, off, s[0:3], 0 offset:316
	ds_read2_b64 v[2:5], v1 offset0:75 offset1:76
	v_add_f32_e32 v8, v8, v144
	s_waitcnt vmcnt(19)
	v_mul_f32_e32 v142, v104, v155
	v_mul_f32_e32 v140, v105, v155
	v_fma_f32 v121, v102, v125, -v121
	v_add_f32_e32 v102, v123, v153
	v_add_f32_e32 v8, v8, v118
	v_fmac_f32_e32 v141, v103, v125
	s_clause 0x3
	buffer_load_dword v123, off, s[0:3], 0 offset:324
	buffer_load_dword v125, off, s[0:3], 0 offset:332
	;; [unrolled: 1-line block ×4, first 2 shown]
	v_add_f32_e32 v102, v102, v145
	v_add_f32_e32 v8, v8, v119
	s_waitcnt vmcnt(19)
	v_fmac_f32_e32 v142, v105, v117
	v_fma_f32 v117, v104, v117, -v140
	s_clause 0x5
	buffer_load_dword v140, off, s[0:3], 0 offset:356
	buffer_load_dword v118, off, s[0:3], 0 offset:312
	;; [unrolled: 1-line block ×6, first 2 shown]
	v_add_f32_e32 v119, v102, v146
	v_add_f32_e32 v8, v8, v111
	ds_read2_b64 v[102:105], v1 offset0:77 offset1:78
	s_waitcnt vmcnt(24) lgkmcnt(1)
	v_mul_f32_e32 v146, v3, v156
	v_add_f32_e32 v111, v119, v147
	v_mul_f32_e32 v119, v2, v156
	v_add_f32_e32 v8, v8, v112
	v_fmac_f32_e32 v119, v3, v116
	v_fma_f32 v116, v2, v116, -v146
	v_add_f32_e32 v3, v8, v7
	s_clause 0x3
	buffer_load_dword v8, off, s[0:3], 0 offset:344
	buffer_load_dword v146, off, s[0:3], 0 offset:336
	;; [unrolled: 1-line block ×4, first 2 shown]
	v_add_f32_e32 v2, v111, v154
	s_clause 0x2
	buffer_load_dword v154, off, s[0:3], 0 offset:360
	buffer_load_dword v155, off, s[0:3], 0 offset:352
	;; [unrolled: 1-line block ×3, first 2 shown]
	v_add_f32_e32 v3, v3, v6
	s_waitcnt vmcnt(30)
	v_mul_f32_e32 v157, v4, v108
	v_add_f32_e32 v2, v2, v113
	v_add_f32_e32 v6, v3, v107
	v_mul_f32_e32 v3, v5, v108
	v_add_f32_e32 v2, v2, v106
	v_fmac_f32_e32 v157, v5, v115
	s_waitcnt vmcnt(29) lgkmcnt(0)
	v_mul_f32_e32 v112, v105, v127
	v_add_f32_e32 v6, v6, v109
	ds_read2_b64 v[106:109], v1 offset0:81 offset1:82
	v_add_f32_e32 v7, v2, v150
	v_fma_f32 v150, v4, v115, -v3
	ds_read2_b64 v[2:5], v1 offset0:79 offset1:80
	v_add_f32_e32 v6, v6, v131
	v_add_f32_e32 v7, v7, v126
	;; [unrolled: 1-line block ×9, first 2 shown]
	s_waitcnt vmcnt(28)
	v_mul_f32_e32 v126, v102, v124
	v_mul_f32_e32 v111, v103, v124
	;; [unrolled: 1-line block ×3, first 2 shown]
	v_fmac_f32_e32 v126, v103, v114
	v_fma_f32 v127, v102, v114, -v111
	s_waitcnt vmcnt(24)
	v_fma_f32 v120, v104, v137, -v112
	v_fmac_f32_e32 v124, v105, v137
	ds_read2_b64 v[102:105], v1 offset0:83 offset1:84
	ds_read2_b64 v[110:113], v1 offset0:85 offset1:86
	s_waitcnt vmcnt(23) lgkmcnt(2)
	v_mul_f32_e32 v121, v2, v134
	v_mul_f32_e32 v114, v3, v134
	s_waitcnt vmcnt(22)
	v_mul_f32_e32 v130, v4, v135
	v_mul_f32_e32 v131, v5, v135
	s_waitcnt vmcnt(21)
	v_mul_f32_e32 v134, v106, v122
	v_fmac_f32_e32 v121, v3, v132
	v_fma_f32 v132, v2, v132, -v114
	v_add_f32_e32 v2, v7, v142
	v_fmac_f32_e32 v130, v5, v129
	v_fma_f32 v129, v4, v129, -v131
	v_add_f32_e32 v131, v6, v150
	v_mul_f32_e32 v122, v107, v122
	v_add_f32_e32 v119, v2, v119
	v_fmac_f32_e32 v134, v107, v128
	ds_read2_b64 v[114:117], v1 offset0:87 offset1:88
	ds_read2_b64 v[2:5], v1 offset0:89 offset1:90
	v_add_f32_e32 v127, v131, v127
	v_add_f32_e32 v119, v119, v157
	v_fma_f32 v106, v106, v128, -v122
	s_waitcnt vmcnt(20)
	v_mul_f32_e32 v131, v109, v133
	v_mul_f32_e32 v135, v108, v133
	v_add_f32_e32 v120, v127, v120
	v_add_f32_e32 v119, v119, v126
	s_waitcnt vmcnt(19) lgkmcnt(3)
	v_mul_f32_e32 v126, v102, v136
	v_mul_f32_e32 v128, v103, v136
	s_waitcnt vmcnt(18)
	v_mul_f32_e32 v127, v104, v138
	v_add_f32_e32 v120, v120, v132
	v_add_f32_e32 v119, v119, v124
	s_waitcnt vmcnt(17) lgkmcnt(2)
	v_mul_f32_e32 v133, v110, v139
	s_waitcnt vmcnt(16)
	v_mul_f32_e32 v124, v112, v123
	ds_read_b64 v[6:7], v1 offset:728
	v_add_f32_e32 v120, v120, v129
	v_add_f32_e32 v119, v119, v121
	s_waitcnt vmcnt(15) lgkmcnt(2)
	v_mul_f32_e32 v132, v114, v125
	s_waitcnt vmcnt(11)
	v_fmac_f32_e32 v133, v111, v118
	v_add_f32_e32 v106, v120, v106
	v_add_f32_e32 v119, v119, v130
	s_waitcnt vmcnt(8)
	v_fma_f32 v108, v108, v151, -v131
	v_fmac_f32_e32 v135, v109, v151
	v_fmac_f32_e32 v126, v103, v148
	v_fma_f32 v102, v102, v148, -v128
	v_add_f32_e32 v109, v119, v134
	v_mul_f32_e32 v119, v105, v138
	v_add_f32_e32 v103, v106, v108
	v_mul_f32_e32 v108, v111, v139
	v_fmac_f32_e32 v127, v105, v145
	v_add_f32_e32 v106, v109, v135
	v_fma_f32 v104, v104, v145, -v119
	v_add_f32_e32 v102, v103, v102
	v_mul_f32_e32 v105, v113, v123
	v_mul_f32_e32 v107, v116, v143
	v_add_f32_e32 v103, v106, v126
	v_fma_f32 v106, v110, v118, -v108
	v_add_f32_e32 v102, v102, v104
	v_mul_f32_e32 v104, v115, v125
	s_waitcnt vmcnt(3)
	v_fma_f32 v105, v112, v153, -v105
	v_add_f32_e32 v103, v103, v127
	v_fmac_f32_e32 v124, v113, v153
	v_add_f32_e32 v102, v102, v106
	v_mul_f32_e32 v106, v117, v143
	v_fma_f32 v104, v114, v147, -v104
	v_add_f32_e32 v103, v103, v133
	v_fmac_f32_e32 v132, v115, v147
	v_add_f32_e32 v102, v102, v105
	s_waitcnt lgkmcnt(1)
	v_mul_f32_e32 v121, v2, v144
	v_mul_f32_e32 v105, v3, v144
	v_add_f32_e32 v103, v103, v124
	v_fma_f32 v106, v116, v146, -v106
	v_add_f32_e32 v102, v102, v104
	v_fmac_f32_e32 v107, v117, v146
	v_mul_f32_e32 v104, v5, v140
	v_add_f32_e32 v103, v103, v132
	v_fmac_f32_e32 v121, v3, v8
	v_fma_f32 v2, v2, v8, -v105
	v_add_f32_e32 v3, v102, v106
	v_mul_f32_e32 v122, v4, v140
	v_add_f32_e32 v8, v103, v107
	s_waitcnt lgkmcnt(0)
	v_mul_f32_e32 v102, v7, v152
	s_waitcnt vmcnt(1)
	v_fma_f32 v4, v4, v155, -v104
	v_add_f32_e32 v2, v3, v2
	v_mul_f32_e32 v129, v6, v152
	v_fmac_f32_e32 v122, v5, v155
	v_add_f32_e32 v3, v8, v121
	v_fma_f32 v5, v6, v154, -v102
	v_add_f32_e32 v2, v2, v4
	v_fmac_f32_e32 v129, v7, v154
	v_add_f32_e32 v3, v3, v122
	v_add_f32_e32 v2, v2, v5
	;; [unrolled: 1-line block ×3, first 2 shown]
	s_waitcnt vmcnt(0)
	v_sub_f32_e32 v2, v156, v2
	v_sub_f32_e32 v3, v149, v3
	buffer_store_dword v2, off, s[0:3], 0 offset:32
	buffer_store_dword v3, off, s[0:3], 0 offset:36
	v_cmpx_lt_u32_e32 3, v0
	s_cbranch_execz .LBB109_283
; %bb.282:
	s_clause 0x1
	buffer_load_dword v2, off, s[0:3], 0 offset:24
	buffer_load_dword v3, off, s[0:3], 0 offset:28
	buffer_store_dword v1, off, s[0:3], 0 offset:24
	buffer_store_dword v1, off, s[0:3], 0 offset:28
	s_waitcnt vmcnt(0)
	ds_write_b64 v101, v[2:3]
.LBB109_283:
	s_or_b32 exec_lo, exec_lo, s4
	s_waitcnt lgkmcnt(0)
	s_waitcnt_vscnt null, 0x0
	s_barrier
	buffer_gl0_inv
	s_clause 0x24
	buffer_load_dword v130, off, s[0:3], 0 offset:36
	buffer_load_dword v2, off, s[0:3], 0 offset:44
	;; [unrolled: 1-line block ×37, first 2 shown]
	ds_read_b128 v[114:117], v1 offset:400
	ds_read_b128 v[118:121], v1 offset:416
	;; [unrolled: 1-line block ×3, first 2 shown]
	s_clause 0x1
	buffer_load_dword v148, off, s[0:3], 0 offset:180
	buffer_load_dword v149, off, s[0:3], 0 offset:188
	ds_read_b128 v[126:129], v1 offset:448
	buffer_load_dword v151, off, s[0:3], 0 offset:28
	s_mov_b32 s4, exec_lo
	s_waitcnt vmcnt(39) lgkmcnt(3)
	v_mul_f32_e32 v150, v115, v130
	v_mul_f32_e32 v130, v114, v130
	s_waitcnt vmcnt(38)
	v_mul_f32_e32 v152, v116, v2
	v_mul_f32_e32 v2, v117, v2
	s_waitcnt vmcnt(35)
	v_fma_f32 v150, v114, v133, -v150
	v_fmac_f32_e32 v130, v115, v133
	v_fmac_f32_e32 v152, v117, v132
	v_fma_f32 v2, v116, v132, -v2
	s_waitcnt vmcnt(33) lgkmcnt(2)
	v_mul_f32_e32 v132, v120, v135
	v_mul_f32_e32 v115, v121, v135
	;; [unrolled: 1-line block ×4, first 2 shown]
	s_waitcnt vmcnt(32) lgkmcnt(1)
	v_mul_f32_e32 v134, v122, v136
	v_mul_f32_e32 v135, v123, v136
	s_waitcnt vmcnt(28)
	v_fmac_f32_e32 v132, v121, v139
	v_fma_f32 v136, v120, v139, -v115
	s_waitcnt vmcnt(27)
	v_mul_f32_e32 v139, v124, v140
	v_mul_f32_e32 v140, v125, v140
	v_fmac_f32_e32 v133, v119, v131
	v_fma_f32 v131, v118, v131, -v114
	ds_read_b128 v[114:117], v1 offset:464
	ds_read_b128 v[118:121], v1 offset:480
	v_fmac_f32_e32 v134, v123, v138
	v_fma_f32 v135, v122, v138, -v135
	s_waitcnt vmcnt(26) lgkmcnt(2)
	v_mul_f32_e32 v138, v126, v141
	v_mul_f32_e32 v122, v127, v141
	v_fmac_f32_e32 v139, v125, v137
	v_fma_f32 v137, v124, v137, -v140
	s_waitcnt vmcnt(25)
	v_mul_f32_e32 v140, v128, v142
	v_mul_f32_e32 v123, v129, v142
	s_clause 0x3
	buffer_load_dword v141, off, s[0:3], 0 offset:208
	buffer_load_dword v142, off, s[0:3], 0 offset:200
	;; [unrolled: 1-line block ×4, first 2 shown]
	v_fmac_f32_e32 v138, v127, v104
	v_fma_f32 v126, v126, v104, -v122
	s_waitcnt vmcnt(25)
	v_fmac_f32_e32 v140, v129, v143
	v_fma_f32 v127, v128, v143, -v123
	ds_read_b128 v[122:125], v1 offset:496
	s_clause 0x1
	buffer_load_dword v155, off, s[0:3], 0 offset:196
	buffer_load_dword v156, off, s[0:3], 0 offset:204
	s_waitcnt vmcnt(26) lgkmcnt(2)
	v_mul_f32_e32 v128, v114, v144
	v_mul_f32_e32 v104, v115, v144
	s_waitcnt vmcnt(25)
	v_mul_f32_e32 v129, v116, v145
	v_mul_f32_e32 v143, v117, v145
	s_waitcnt vmcnt(24) lgkmcnt(1)
	v_mul_f32_e32 v145, v118, v146
	v_fmac_f32_e32 v128, v115, v111
	v_fma_f32 v144, v114, v111, -v104
	v_fmac_f32_e32 v129, v117, v105
	v_fma_f32 v143, v116, v105, -v143
	ds_read_b128 v[114:117], v1 offset:512
	v_mul_f32_e32 v104, v119, v146
	s_waitcnt vmcnt(23)
	v_mul_f32_e32 v105, v121, v110
	v_mul_f32_e32 v146, v120, v110
	v_fmac_f32_e32 v145, v119, v6
	v_fma_f32 v6, v118, v6, -v104
	s_waitcnt vmcnt(19)
	v_fma_f32 v118, v120, v147, -v105
	s_waitcnt vmcnt(18) lgkmcnt(1)
	v_mul_f32_e32 v119, v122, v113
	v_mul_f32_e32 v104, v123, v113
	s_waitcnt vmcnt(17)
	v_mul_f32_e32 v120, v124, v112
	v_mul_f32_e32 v105, v125, v112
	ds_read_b128 v[110:113], v1 offset:528
	v_fmac_f32_e32 v146, v121, v147
	v_fmac_f32_e32 v119, v123, v106
	buffer_load_dword v121, off, s[0:3], 0 offset:212
	v_fma_f32 v106, v122, v106, -v104
	v_fmac_f32_e32 v120, v125, v8
	v_fma_f32 v8, v124, v8, -v105
	s_waitcnt vmcnt(16) lgkmcnt(1)
	v_mul_f32_e32 v123, v116, v102
	v_mul_f32_e32 v102, v117, v102
	;; [unrolled: 1-line block ×4, first 2 shown]
	s_waitcnt vmcnt(12)
	v_fmac_f32_e32 v123, v117, v109
	v_fma_f32 v109, v116, v109, -v102
	buffer_load_dword v116, off, s[0:3], 0 offset:220
	v_fmac_f32_e32 v122, v115, v4
	v_fma_f32 v114, v114, v4, -v103
	ds_read_b128 v[102:105], v1 offset:544
	s_waitcnt vmcnt(12) lgkmcnt(1)
	v_mul_f32_e32 v115, v110, v108
	v_mul_f32_e32 v4, v111, v108
	s_waitcnt vmcnt(11)
	v_mul_f32_e32 v108, v112, v107
	v_mul_f32_e32 v107, v113, v107
	v_fmac_f32_e32 v115, v111, v7
	v_fma_f32 v7, v110, v7, -v4
	v_fmac_f32_e32 v108, v113, v5
	v_fma_f32 v107, v112, v5, -v107
	s_clause 0x4
	buffer_load_dword v110, off, s[0:3], 0 offset:240
	buffer_load_dword v111, off, s[0:3], 0 offset:232
	;; [unrolled: 1-line block ×5, first 2 shown]
	v_add_f32_e32 v4, 0, v150
	v_add_f32_e32 v5, 0, v130
	s_clause 0x1
	buffer_load_dword v124, off, s[0:3], 0 offset:236
	buffer_load_dword v125, off, s[0:3], 0 offset:244
	v_add_f32_e32 v2, v4, v2
	v_add_f32_e32 v4, v5, v152
	s_waitcnt vmcnt(17) lgkmcnt(0)
	v_mul_f32_e32 v130, v102, v148
	v_mul_f32_e32 v5, v103, v148
	v_add_f32_e32 v2, v2, v131
	v_add_f32_e32 v4, v4, v133
	s_waitcnt vmcnt(16)
	v_mul_f32_e32 v133, v105, v149
	v_fmac_f32_e32 v130, v103, v3
	v_fma_f32 v147, v102, v3, -v5
	v_add_f32_e32 v102, v2, v136
	v_add_f32_e32 v103, v4, v132
	ds_read_b128 v[2:5], v1 offset:560
	v_mul_f32_e32 v131, v104, v149
	v_add_f32_e32 v102, v102, v135
	v_add_f32_e32 v103, v103, v134
	;; [unrolled: 1-line block ×10, first 2 shown]
	s_waitcnt vmcnt(11)
	v_fma_f32 v132, v104, v154, -v133
	s_clause 0x7
	buffer_load_dword v133, off, s[0:3], 0 offset:252
	buffer_load_dword v134, off, s[0:3], 0 offset:272
	;; [unrolled: 1-line block ×8, first 2 shown]
	v_fmac_f32_e32 v131, v105, v154
	ds_read_b128 v[102:105], v1 offset:576
	s_waitcnt vmcnt(18) lgkmcnt(1)
	v_mul_f32_e32 v140, v2, v155
	v_mul_f32_e32 v149, v3, v155
	s_waitcnt vmcnt(17)
	v_mul_f32_e32 v139, v4, v156
	v_mul_f32_e32 v144, v5, v156
	v_fmac_f32_e32 v140, v3, v153
	v_add_f32_e32 v3, v127, v143
	v_add_f32_e32 v127, v128, v129
	v_fma_f32 v128, v2, v153, -v149
	v_fmac_f32_e32 v139, v5, v142
	v_fma_f32 v129, v4, v142, -v144
	v_add_f32_e32 v2, v3, v6
	v_add_f32_e32 v3, v127, v145
	s_clause 0x7
	buffer_load_dword v6, off, s[0:3], 0 offset:284
	buffer_load_dword v127, off, s[0:3], 0 offset:292
	;; [unrolled: 1-line block ×8, first 2 shown]
	v_add_f32_e32 v2, v2, v118
	v_add_f32_e32 v3, v3, v146
	s_clause 0x3
	buffer_load_dword v146, off, s[0:3], 0 offset:316
	buffer_load_dword v153, off, s[0:3], 0 offset:324
	buffer_load_dword v154, off, s[0:3], 0 offset:332
	buffer_load_dword v155, off, s[0:3], 0 offset:340
	v_add_f32_e32 v2, v2, v106
	v_add_f32_e32 v8, v2, v8
	s_waitcnt vmcnt(28) lgkmcnt(0)
	v_mul_f32_e32 v4, v103, v121
	v_mul_f32_e32 v152, v102, v121
	v_add_f32_e32 v8, v8, v114
	v_fma_f32 v118, v102, v141, -v4
	v_add_f32_e32 v102, v3, v119
	v_fmac_f32_e32 v152, v103, v141
	s_clause 0x2
	buffer_load_dword v141, off, s[0:3], 0 offset:348
	buffer_load_dword v156, off, s[0:3], 0 offset:356
	;; [unrolled: 1-line block ×3, first 2 shown]
	v_add_f32_e32 v8, v8, v109
	v_add_f32_e32 v102, v102, v120
	s_waitcnt vmcnt(30)
	v_mul_f32_e32 v3, v105, v116
	v_mul_f32_e32 v119, v104, v116
	v_add_f32_e32 v7, v8, v7
	v_add_f32_e32 v102, v102, v122
	;; [unrolled: 1-line block ×4, first 2 shown]
	s_waitcnt vmcnt(26)
	v_fma_f32 v116, v104, v113, -v3
	ds_read_b128 v[2:5], v1 offset:592
	s_clause 0x3
	buffer_load_dword v122, off, s[0:3], 0 offset:336
	buffer_load_dword v158, off, s[0:3], 0 offset:328
	;; [unrolled: 1-line block ×4, first 2 shown]
	v_add_f32_e32 v8, v102, v115
	v_fmac_f32_e32 v119, v105, v113
	ds_read_b128 v[102:105], v1 offset:608
	s_waitcnt vmcnt(29) lgkmcnt(1)
	v_mul_f32_e32 v114, v2, v117
	v_mul_f32_e32 v106, v3, v117
	s_waitcnt vmcnt(28)
	v_mul_f32_e32 v120, v4, v124
	s_waitcnt vmcnt(27) lgkmcnt(0)
	v_mul_f32_e32 v113, v103, v125
	v_fmac_f32_e32 v114, v3, v112
	v_fma_f32 v115, v2, v112, -v106
	v_add_f32_e32 v2, v8, v108
	v_add_f32_e32 v3, v7, v147
	s_clause 0x2
	buffer_load_dword v7, off, s[0:3], 0 offset:360
	buffer_load_dword v8, off, s[0:3], 0 offset:352
	;; [unrolled: 1-line block ×3, first 2 shown]
	v_mul_f32_e32 v106, v5, v124
	v_fmac_f32_e32 v120, v5, v111
	v_add_f32_e32 v2, v2, v130
	buffer_load_dword v130, off, s[0:3], 0 offset:24
	v_add_f32_e32 v3, v3, v132
	v_fma_f32 v117, v4, v111, -v106
	v_mul_f32_e32 v124, v102, v125
	v_add_f32_e32 v107, v2, v131
	v_add_f32_e32 v111, v3, v128
	ds_read_b128 v[2:5], v1 offset:624
	v_fma_f32 v128, v102, v110, -v113
	v_add_f32_e32 v112, v107, v140
	ds_read_b128 v[106:109], v1 offset:640
	v_add_f32_e32 v111, v111, v129
	v_fmac_f32_e32 v124, v103, v110
	v_add_f32_e32 v112, v112, v139
	v_add_f32_e32 v118, v111, v118
	;; [unrolled: 1-line block ×4, first 2 shown]
	s_waitcnt vmcnt(30)
	v_mul_f32_e32 v121, v105, v133
	v_mul_f32_e32 v125, v104, v133
	s_waitcnt vmcnt(25) lgkmcnt(1)
	v_mul_f32_e32 v131, v2, v126
	v_mul_f32_e32 v118, v3, v126
	v_fma_f32 v129, v104, v148, -v121
	v_add_f32_e32 v121, v112, v152
	s_waitcnt vmcnt(23) lgkmcnt(0)
	v_mul_f32_e32 v132, v106, v138
	v_fmac_f32_e32 v131, v3, v136
	v_fma_f32 v136, v2, v136, -v118
	v_mul_f32_e32 v126, v4, v137
	v_add_f32_e32 v119, v121, v119
	v_mul_f32_e32 v121, v5, v137
	v_mul_f32_e32 v133, v107, v138
	v_fmac_f32_e32 v132, v107, v134
	v_fmac_f32_e32 v125, v105, v148
	v_add_f32_e32 v118, v119, v114
	v_add_f32_e32 v119, v115, v117
	ds_read_b128 v[102:105], v1 offset:656
	ds_read_b128 v[110:113], v1 offset:672
	v_fmac_f32_e32 v126, v5, v135
	v_fma_f32 v135, v4, v135, -v121
	v_add_f32_e32 v137, v118, v120
	v_add_f32_e32 v107, v119, v128
	ds_read_b128 v[2:5], v1 offset:688
	ds_read_b128 v[114:117], v1 offset:704
	;; [unrolled: 1-line block ×3, first 2 shown]
	v_fma_f32 v106, v106, v134, -v133
	v_add_f32_e32 v1, v137, v124
	v_add_f32_e32 v107, v107, v129
	s_waitcnt vmcnt(22)
	v_mul_f32_e32 v124, v108, v6
	v_mul_f32_e32 v6, v109, v6
	v_add_f32_e32 v1, v1, v125
	v_add_f32_e32 v107, v107, v136
	s_waitcnt vmcnt(15)
	v_fmac_f32_e32 v124, v109, v150
	v_fma_f32 v6, v108, v150, -v6
	v_add_f32_e32 v1, v1, v131
	v_add_f32_e32 v107, v107, v135
	s_waitcnt lgkmcnt(4)
	v_mul_f32_e32 v128, v102, v127
	v_mul_f32_e32 v127, v103, v127
	;; [unrolled: 1-line block ×3, first 2 shown]
	v_add_f32_e32 v1, v1, v126
	v_add_f32_e32 v106, v107, v106
	v_mul_f32_e32 v126, v105, v142
	v_fma_f32 v102, v102, v149, -v127
	v_fmac_f32_e32 v128, v103, v149
	v_add_f32_e32 v1, v1, v132
	v_add_f32_e32 v6, v106, v6
	s_waitcnt lgkmcnt(3)
	v_mul_f32_e32 v103, v111, v143
	v_fma_f32 v104, v104, v145, -v126
	v_mul_f32_e32 v108, v110, v143
	v_add_f32_e32 v1, v1, v124
	v_add_f32_e32 v6, v6, v102
	v_fmac_f32_e32 v125, v105, v145
	s_waitcnt vmcnt(14)
	v_mul_f32_e32 v102, v113, v146
	v_fma_f32 v103, v110, v144, -v103
	v_add_f32_e32 v1, v1, v128
	v_add_f32_e32 v6, v6, v104
	v_mul_f32_e32 v109, v112, v146
	v_fmac_f32_e32 v108, v111, v144
	s_waitcnt vmcnt(13) lgkmcnt(2)
	v_mul_f32_e32 v129, v2, v153
	v_add_f32_e32 v1, v1, v125
	v_mul_f32_e32 v104, v3, v153
	v_add_f32_e32 v6, v6, v103
	s_waitcnt vmcnt(4)
	v_fma_f32 v102, v112, v160, -v102
	v_fmac_f32_e32 v109, v113, v160
	v_add_f32_e32 v1, v1, v108
	v_mul_f32_e32 v103, v5, v154
	v_fmac_f32_e32 v129, v3, v159
	v_fma_f32 v2, v2, v159, -v104
	v_add_f32_e32 v3, v6, v102
	v_mul_f32_e32 v131, v4, v154
	v_add_f32_e32 v1, v1, v109
	s_waitcnt lgkmcnt(1)
	v_mul_f32_e32 v6, v115, v155
	v_fma_f32 v4, v4, v158, -v103
	v_add_f32_e32 v2, v3, v2
	v_mul_f32_e32 v133, v114, v155
	v_fmac_f32_e32 v131, v5, v158
	v_add_f32_e32 v1, v1, v129
	v_mul_f32_e32 v3, v117, v141
	v_fma_f32 v5, v114, v122, -v6
	v_add_f32_e32 v2, v2, v4
	v_mul_f32_e32 v134, v116, v141
	v_fmac_f32_e32 v133, v115, v122
	v_add_f32_e32 v1, v1, v131
	s_waitcnt lgkmcnt(0)
	v_mul_f32_e32 v4, v119, v156
	v_add_f32_e32 v2, v2, v5
	v_mul_f32_e32 v135, v118, v156
	v_mul_f32_e32 v5, v121, v157
	v_add_f32_e32 v1, v1, v133
	v_mul_f32_e32 v107, v120, v157
	s_waitcnt vmcnt(2)
	v_fma_f32 v4, v118, v8, -v4
	s_waitcnt vmcnt(1)
	v_fma_f32 v3, v116, v123, -v3
	v_fmac_f32_e32 v134, v117, v123
	v_fmac_f32_e32 v135, v119, v8
	;; [unrolled: 1-line block ×3, first 2 shown]
	v_add_f32_e32 v2, v2, v3
	v_add_f32_e32 v1, v1, v134
	v_fma_f32 v3, v120, v7, -v5
	v_add_f32_e32 v2, v2, v4
	v_add_f32_e32 v1, v1, v135
	;; [unrolled: 1-line block ×4, first 2 shown]
	s_waitcnt vmcnt(0)
	v_sub_f32_e32 v2, v130, v2
	v_sub_f32_e32 v1, v151, v1
	buffer_store_dword v2, off, s[0:3], 0 offset:24
	buffer_store_dword v1, off, s[0:3], 0 offset:28
	v_cmpx_lt_u32_e32 2, v0
	s_cbranch_execz .LBB109_285
; %bb.284:
	s_clause 0x1
	buffer_load_dword v1, off, s[0:3], 0 offset:16
	buffer_load_dword v2, off, s[0:3], 0 offset:20
	v_mov_b32_e32 v3, 0
	buffer_store_dword v3, off, s[0:3], 0 offset:16
	buffer_store_dword v3, off, s[0:3], 0 offset:20
	s_waitcnt vmcnt(0)
	ds_write_b64 v101, v[1:2]
.LBB109_285:
	s_or_b32 exec_lo, exec_lo, s4
	s_waitcnt lgkmcnt(0)
	s_waitcnt_vscnt null, 0x0
	s_barrier
	buffer_gl0_inv
	s_clause 0x2c
	buffer_load_dword v140, off, s[0:3], 0 offset:28
	buffer_load_dword v141, off, s[0:3], 0 offset:36
	;; [unrolled: 1-line block ×45, first 2 shown]
	v_mov_b32_e32 v1, 0
	ds_read2_b64 v[132:135], v1 offset0:49 offset1:50
	ds_read2_b64 v[136:139], v1 offset0:51 offset1:52
	buffer_load_dword v150, off, s[0:3], 0 offset:20
	s_mov_b32 s4, exec_lo
	s_waitcnt vmcnt(45) lgkmcnt(1)
	v_mul_f32_e32 v148, v133, v140
	v_mul_f32_e32 v140, v132, v140
	s_waitcnt vmcnt(44)
	v_mul_f32_e32 v149, v134, v141
	v_mul_f32_e32 v141, v135, v141
	s_waitcnt vmcnt(41)
	v_fma_f32 v148, v132, v129, -v148
	v_fmac_f32_e32 v140, v133, v129
	v_fmac_f32_e32 v149, v135, v125
	v_fma_f32 v141, v134, v125, -v141
	ds_read2_b64 v[132:135], v1 offset0:53 offset1:54
	s_waitcnt vmcnt(40) lgkmcnt(1)
	v_mul_f32_e32 v151, v136, v124
	v_mul_f32_e32 v124, v137, v124
	s_waitcnt vmcnt(39)
	v_mul_f32_e32 v152, v138, v122
	v_mul_f32_e32 v122, v139, v122
	v_fmac_f32_e32 v151, v137, v111
	v_fma_f32 v111, v136, v111, -v124
	s_waitcnt vmcnt(35)
	v_fmac_f32_e32 v152, v139, v130
	v_fma_f32 v153, v138, v130, -v122
	ds_read2_b64 v[136:139], v1 offset0:55 offset1:56
	s_waitcnt vmcnt(34) lgkmcnt(1)
	v_mul_f32_e32 v154, v132, v128
	v_mul_f32_e32 v122, v133, v128
	s_waitcnt vmcnt(33)
	v_mul_f32_e32 v155, v134, v127
	v_mul_f32_e32 v124, v135, v127
	ds_read2_b64 v[127:130], v1 offset0:57 offset1:58
	v_fmac_f32_e32 v154, v133, v119
	v_fma_f32 v119, v132, v119, -v122
	v_fmac_f32_e32 v155, v135, v114
	v_fma_f32 v156, v134, v114, -v124
	ds_read2_b64 v[132:135], v1 offset0:59 offset1:60
	s_waitcnt vmcnt(32) lgkmcnt(2)
	v_mul_f32_e32 v157, v136, v118
	v_mul_f32_e32 v114, v137, v118
	s_waitcnt vmcnt(31)
	v_mul_f32_e32 v118, v138, v116
	v_mul_f32_e32 v116, v139, v116
	v_fmac_f32_e32 v157, v137, v8
	v_fma_f32 v8, v136, v8, -v114
	s_waitcnt vmcnt(27)
	v_fmac_f32_e32 v118, v139, v126
	v_fma_f32 v136, v138, v126, -v116
	s_waitcnt vmcnt(26) lgkmcnt(1)
	v_mul_f32_e32 v137, v127, v123
	v_mul_f32_e32 v114, v128, v123
	s_waitcnt vmcnt(25)
	v_mul_f32_e32 v138, v129, v121
	v_mul_f32_e32 v116, v130, v121
	ds_read2_b64 v[121:124], v1 offset0:61 offset1:62
	v_fmac_f32_e32 v137, v128, v112
	v_fma_f32 v112, v127, v112, -v114
	ds_read2_b64 v[125:128], v1 offset0:63 offset1:64
	v_fmac_f32_e32 v138, v130, v106
	v_fma_f32 v129, v129, v106, -v116
	s_waitcnt vmcnt(24) lgkmcnt(2)
	v_mul_f32_e32 v130, v132, v110
	v_mul_f32_e32 v106, v133, v110
	s_waitcnt vmcnt(23)
	v_mul_f32_e32 v110, v134, v108
	v_mul_f32_e32 v108, v135, v108
	v_fmac_f32_e32 v130, v133, v4
	v_fma_f32 v132, v132, v4, -v106
	s_waitcnt vmcnt(19)
	v_fmac_f32_e32 v110, v135, v120
	v_fma_f32 v120, v134, v120, -v108
	s_waitcnt vmcnt(18) lgkmcnt(1)
	v_mul_f32_e32 v133, v121, v117
	v_mul_f32_e32 v4, v122, v117
	s_waitcnt vmcnt(17)
	v_mul_f32_e32 v134, v123, v115
	v_mul_f32_e32 v106, v124, v115
	ds_read2_b64 v[114:117], v1 offset0:65 offset1:66
	v_fmac_f32_e32 v133, v122, v105
	v_fma_f32 v121, v121, v105, -v4
	v_fmac_f32_e32 v134, v124, v102
	v_fma_f32 v122, v123, v102, -v106
	s_waitcnt vmcnt(15) lgkmcnt(1)
	v_mul_f32_e32 v124, v127, v103
	v_mul_f32_e32 v102, v128, v103
	;; [unrolled: 1-line block ×4, first 2 shown]
	s_waitcnt vmcnt(11)
	v_fmac_f32_e32 v124, v128, v113
	v_fma_f32 v113, v127, v113, -v102
	ds_read2_b64 v[102:105], v1 offset0:67 offset1:68
	v_fmac_f32_e32 v123, v126, v3
	v_fma_f32 v125, v125, v3, -v4
	s_waitcnt vmcnt(10) lgkmcnt(1)
	v_mul_f32_e32 v126, v114, v109
	v_mul_f32_e32 v3, v115, v109
	s_waitcnt vmcnt(9)
	v_mul_f32_e32 v127, v116, v107
	v_mul_f32_e32 v4, v117, v107
	ds_read2_b64 v[106:109], v1 offset0:69 offset1:70
	v_fmac_f32_e32 v126, v115, v7
	v_fma_f32 v7, v114, v7, -v3
	v_fmac_f32_e32 v127, v117, v5
	v_fma_f32 v114, v116, v5, -v4
	buffer_load_dword v116, off, s[0:3], 0 offset:204
	s_waitcnt vmcnt(8) lgkmcnt(1)
	v_mul_f32_e32 v4, v105, v131
	v_mul_f32_e32 v115, v102, v6
	v_mul_f32_e32 v3, v103, v6
	v_mul_f32_e32 v6, v104, v131
	s_waitcnt vmcnt(4)
	v_fma_f32 v128, v104, v145, -v4
	buffer_load_dword v104, off, s[0:3], 0 offset:212
	v_fmac_f32_e32 v115, v103, v2
	v_fma_f32 v117, v102, v2, -v3
	ds_read2_b64 v[2:5], v1 offset0:71 offset1:72
	v_fmac_f32_e32 v6, v105, v145
	s_waitcnt vmcnt(4) lgkmcnt(1)
	v_mul_f32_e32 v131, v106, v146
	v_mul_f32_e32 v102, v107, v146
	s_waitcnt vmcnt(3)
	v_mul_f32_e32 v135, v108, v147
	v_mul_f32_e32 v103, v109, v147
	v_fmac_f32_e32 v131, v107, v144
	v_fma_f32 v106, v106, v144, -v102
	v_fmac_f32_e32 v135, v109, v143
	v_fma_f32 v107, v108, v143, -v103
	s_clause 0x4
	buffer_load_dword v108, off, s[0:3], 0 offset:232
	buffer_load_dword v109, off, s[0:3], 0 offset:224
	;; [unrolled: 1-line block ×5, first 2 shown]
	s_waitcnt vmcnt(6) lgkmcnt(0)
	v_mul_f32_e32 v144, v2, v116
	v_mul_f32_e32 v103, v3, v116
	v_fmac_f32_e32 v144, v3, v142
	v_fma_f32 v116, v2, v142, -v103
	s_waitcnt vmcnt(5)
	v_mul_f32_e32 v142, v4, v104
	v_mul_f32_e32 v2, v5, v104
	s_waitcnt vmcnt(1)
	v_fmac_f32_e32 v142, v5, v102
	v_fma_f32 v145, v4, v102, -v2
	ds_read2_b64 v[2:5], v1 offset0:73 offset1:74
	ds_read2_b64 v[102:105], v1 offset0:75 offset1:76
	s_waitcnt vmcnt(0) lgkmcnt(1)
	v_mul_f32_e32 v146, v2, v143
	v_mul_f32_e32 v143, v3, v143
	v_fmac_f32_e32 v146, v3, v139
	v_fma_f32 v139, v2, v139, -v143
	buffer_load_dword v2, off, s[0:3], 0 offset:228
	s_waitcnt vmcnt(0)
	v_mul_f32_e32 v143, v4, v2
	v_mul_f32_e32 v2, v5, v2
	v_fmac_f32_e32 v143, v5, v109
	v_fma_f32 v147, v4, v109, -v2
	buffer_load_dword v2, off, s[0:3], 0 offset:236
	s_waitcnt vmcnt(0) lgkmcnt(0)
	v_mul_f32_e32 v158, v102, v2
	v_mul_f32_e32 v2, v103, v2
	v_fmac_f32_e32 v158, v103, v108
	v_fma_f32 v159, v102, v108, -v2
	s_clause 0x4
	buffer_load_dword v2, off, s[0:3], 0 offset:244
	buffer_load_dword v160, off, s[0:3], 0 offset:264
	;; [unrolled: 1-line block ×5, first 2 shown]
	s_waitcnt vmcnt(4)
	v_mul_f32_e32 v161, v104, v2
	v_mul_f32_e32 v2, v105, v2
	s_waitcnt vmcnt(0)
	v_fmac_f32_e32 v161, v105, v3
	v_fma_f32 v162, v104, v3, -v2
	v_add_f32_e32 v2, 0, v148
	v_add_f32_e32 v3, 0, v140
	buffer_load_dword v140, off, s[0:3], 0 offset:260
	v_add_f32_e32 v2, v2, v141
	v_add_f32_e32 v3, v3, v149
	buffer_load_dword v141, off, s[0:3], 0 offset:276
	v_add_f32_e32 v2, v2, v111
	buffer_load_dword v111, off, s[0:3], 0 offset:252
	v_add_f32_e32 v3, v3, v151
	v_add_f32_e32 v2, v2, v153
	v_add_f32_e32 v3, v3, v152
	v_add_f32_e32 v2, v2, v119
	buffer_load_dword v119, off, s[0:3], 0 offset:268
	v_add_f32_e32 v3, v3, v154
	v_add_f32_e32 v2, v2, v156
	;; [unrolled: 1-line block ×4, first 2 shown]
	s_clause 0x3
	buffer_load_dword v8, off, s[0:3], 0 offset:296
	buffer_load_dword v148, off, s[0:3], 0 offset:288
	;; [unrolled: 1-line block ×4, first 2 shown]
	v_add_f32_e32 v3, v3, v157
	v_add_f32_e32 v2, v2, v136
	s_clause 0x1
	buffer_load_dword v136, off, s[0:3], 0 offset:284
	buffer_load_dword v152, off, s[0:3], 0 offset:292
	v_add_f32_e32 v3, v3, v118
	buffer_load_dword v118, off, s[0:3], 0 offset:300
	v_add_f32_e32 v2, v2, v112
	v_add_f32_e32 v3, v3, v137
	;; [unrolled: 1-line block ×3, first 2 shown]
	s_clause 0x3
	buffer_load_dword v129, off, s[0:3], 0 offset:308
	buffer_load_dword v137, off, s[0:3], 0 offset:316
	;; [unrolled: 1-line block ×4, first 2 shown]
	v_add_f32_e32 v3, v3, v138
	v_add_f32_e32 v2, v2, v132
	s_clause 0x1
	buffer_load_dword v132, off, s[0:3], 0 offset:340
	buffer_load_dword v138, off, s[0:3], 0 offset:348
	v_add_f32_e32 v3, v3, v130
	v_add_f32_e32 v2, v2, v120
	s_clause 0x1
	buffer_load_dword v120, off, s[0:3], 0 offset:356
	buffer_load_dword v130, off, s[0:3], 0 offset:364
	v_add_f32_e32 v3, v3, v110
	v_add_f32_e32 v2, v2, v121
	;; [unrolled: 1-line block ×4, first 2 shown]
	s_clause 0x3
	buffer_load_dword v121, off, s[0:3], 0 offset:328
	buffer_load_dword v122, off, s[0:3], 0 offset:320
	;; [unrolled: 1-line block ×4, first 2 shown]
	v_add_f32_e32 v3, v3, v134
	v_add_f32_e32 v2, v2, v125
	;; [unrolled: 1-line block ×3, first 2 shown]
	s_clause 0x3
	buffer_load_dword v123, off, s[0:3], 0 offset:360
	buffer_load_dword v125, off, s[0:3], 0 offset:352
	;; [unrolled: 1-line block ×4, first 2 shown]
	v_add_f32_e32 v2, v2, v113
	v_add_f32_e32 v3, v3, v124
	buffer_load_dword v124, off, s[0:3], 0 offset:16
	v_add_f32_e32 v2, v2, v7
	v_add_f32_e32 v3, v3, v126
	;; [unrolled: 1-line block ×4, first 2 shown]
	ds_read2_b64 v[2:5], v1 offset0:77 offset1:78
	v_add_f32_e32 v7, v7, v117
	v_add_f32_e32 v102, v102, v115
	;; [unrolled: 1-line block ×4, first 2 shown]
	ds_read2_b64 v[102:105], v1 offset0:79 offset1:80
	v_add_f32_e32 v7, v7, v106
	v_add_f32_e32 v6, v6, v131
	;; [unrolled: 1-line block ×8, first 2 shown]
	s_waitcnt vmcnt(27) lgkmcnt(1)
	v_mul_f32_e32 v127, v4, v140
	v_mul_f32_e32 v107, v5, v140
	v_fmac_f32_e32 v127, v5, v108
	v_fma_f32 v131, v4, v108, -v107
	s_waitcnt vmcnt(25)
	v_mul_f32_e32 v126, v2, v111
	v_mul_f32_e32 v106, v3, v111
	v_fmac_f32_e32 v126, v3, v109
	v_add_f32_e32 v3, v7, v116
	v_fma_f32 v128, v2, v109, -v106
	s_waitcnt vmcnt(24) lgkmcnt(0)
	v_mul_f32_e32 v135, v102, v119
	v_add_f32_e32 v7, v3, v145
	ds_read2_b64 v[2:5], v1 offset0:81 offset1:82
	ds_read2_b64 v[106:109], v1 offset0:83 offset1:84
	v_mul_f32_e32 v114, v103, v119
	v_mul_f32_e32 v119, v104, v141
	v_fmac_f32_e32 v135, v103, v160
	v_add_f32_e32 v7, v7, v139
	v_mul_f32_e32 v139, v105, v141
	v_add_f32_e32 v141, v6, v158
	v_fma_f32 v140, v102, v160, -v114
	ds_read2_b64 v[110:113], v1 offset0:85 offset1:86
	ds_read2_b64 v[114:117], v1 offset0:87 offset1:88
	v_add_f32_e32 v7, v7, v147
	v_add_f32_e32 v141, v141, v161
	s_waitcnt vmcnt(20)
	v_fma_f32 v139, v104, v151, -v139
	v_fmac_f32_e32 v119, v105, v151
	v_add_f32_e32 v7, v7, v159
	v_add_f32_e32 v126, v141, v126
	s_waitcnt vmcnt(19) lgkmcnt(3)
	v_mul_f32_e32 v143, v2, v136
	v_add_f32_e32 v142, v7, v162
	v_add_f32_e32 v126, v126, v127
	v_mul_f32_e32 v136, v3, v136
	s_waitcnt vmcnt(18)
	v_mul_f32_e32 v144, v4, v152
	v_fmac_f32_e32 v143, v3, v149
	v_add_f32_e32 v128, v142, v128
	v_add_f32_e32 v126, v126, v135
	v_mul_f32_e32 v142, v5, v152
	v_fma_f32 v2, v2, v149, -v136
	s_waitcnt vmcnt(17) lgkmcnt(2)
	v_mul_f32_e32 v141, v106, v118
	v_add_f32_e32 v128, v128, v131
	v_add_f32_e32 v119, v126, v119
	v_mul_f32_e32 v118, v107, v118
	v_fma_f32 v4, v4, v148, -v142
	v_fmac_f32_e32 v144, v5, v148
	v_add_f32_e32 v128, v128, v140
	v_add_f32_e32 v5, v119, v143
	s_waitcnt vmcnt(16)
	v_mul_f32_e32 v119, v109, v129
	v_fmac_f32_e32 v141, v107, v8
	v_fma_f32 v8, v106, v8, -v118
	v_add_f32_e32 v128, v128, v139
	v_mul_f32_e32 v131, v108, v129
	ds_read2_b64 v[102:105], v1 offset0:89 offset1:90
	ds_read_b64 v[6:7], v1 offset:728
	s_waitcnt vmcnt(5)
	v_fma_f32 v106, v108, v155, -v119
	s_waitcnt lgkmcnt(3)
	v_mul_f32_e32 v145, v110, v137
	v_add_f32_e32 v2, v128, v2
	v_fmac_f32_e32 v131, v109, v155
	v_mul_f32_e32 v127, v112, v153
	s_waitcnt lgkmcnt(2)
	v_mul_f32_e32 v140, v114, v154
	v_fmac_f32_e32 v145, v111, v133
	v_add_f32_e32 v2, v2, v4
	v_add_f32_e32 v4, v5, v144
	v_mul_f32_e32 v5, v111, v137
	v_fmac_f32_e32 v127, v113, v122
	v_mul_f32_e32 v3, v116, v132
	v_add_f32_e32 v2, v2, v8
	v_add_f32_e32 v4, v4, v141
	v_mul_f32_e32 v8, v113, v153
	v_fma_f32 v5, v110, v133, -v5
	v_fmac_f32_e32 v140, v115, v121
	v_add_f32_e32 v2, v2, v106
	v_add_f32_e32 v4, v4, v131
	v_mul_f32_e32 v106, v115, v154
	v_fma_f32 v8, v112, v122, -v8
	s_waitcnt lgkmcnt(1)
	v_mul_f32_e32 v135, v102, v138
	v_add_f32_e32 v2, v2, v5
	v_add_f32_e32 v4, v4, v145
	v_mul_f32_e32 v5, v117, v132
	v_fma_f32 v106, v114, v121, -v106
	s_waitcnt vmcnt(1)
	v_fmac_f32_e32 v3, v117, v156
	v_add_f32_e32 v2, v2, v8
	v_add_f32_e32 v4, v4, v127
	v_mul_f32_e32 v8, v103, v138
	v_fma_f32 v5, v116, v156, -v5
	v_mul_f32_e32 v136, v104, v120
	v_add_f32_e32 v2, v2, v106
	v_add_f32_e32 v4, v4, v140
	v_mul_f32_e32 v106, v105, v120
	v_fma_f32 v8, v102, v134, -v8
	v_fmac_f32_e32 v135, v103, v134
	v_add_f32_e32 v2, v2, v5
	v_add_f32_e32 v3, v4, v3
	s_waitcnt lgkmcnt(0)
	v_mul_f32_e32 v4, v7, v130
	v_fma_f32 v5, v104, v125, -v106
	v_mul_f32_e32 v126, v6, v130
	v_add_f32_e32 v2, v2, v8
	v_fmac_f32_e32 v136, v105, v125
	v_add_f32_e32 v3, v3, v135
	v_fma_f32 v4, v6, v123, -v4
	v_fmac_f32_e32 v126, v7, v123
	v_add_f32_e32 v2, v2, v5
	v_add_f32_e32 v3, v3, v136
	;; [unrolled: 1-line block ×4, first 2 shown]
	s_waitcnt vmcnt(0)
	v_sub_f32_e32 v2, v124, v2
	v_sub_f32_e32 v3, v150, v3
	buffer_store_dword v2, off, s[0:3], 0 offset:16
	buffer_store_dword v3, off, s[0:3], 0 offset:20
	v_cmpx_lt_u32_e32 1, v0
	s_cbranch_execz .LBB109_287
; %bb.286:
	s_clause 0x1
	buffer_load_dword v2, off, s[0:3], 0 offset:8
	buffer_load_dword v3, off, s[0:3], 0 offset:12
	buffer_store_dword v1, off, s[0:3], 0 offset:8
	buffer_store_dword v1, off, s[0:3], 0 offset:12
	s_waitcnt vmcnt(0)
	ds_write_b64 v101, v[2:3]
.LBB109_287:
	s_or_b32 exec_lo, exec_lo, s4
	s_waitcnt lgkmcnt(0)
	s_waitcnt_vscnt null, 0x0
	s_barrier
	buffer_gl0_inv
	s_clause 0x2c
	buffer_load_dword v140, off, s[0:3], 0 offset:20
	buffer_load_dword v141, off, s[0:3], 0 offset:28
	;; [unrolled: 1-line block ×45, first 2 shown]
	ds_read_b128 v[132:135], v1 offset:384
	ds_read_b128 v[136:139], v1 offset:400
	buffer_load_dword v150, off, s[0:3], 0 offset:12
	s_mov_b32 s4, exec_lo
	s_waitcnt vmcnt(45) lgkmcnt(1)
	v_mul_f32_e32 v148, v133, v140
	v_mul_f32_e32 v140, v132, v140
	s_waitcnt vmcnt(44)
	v_mul_f32_e32 v149, v134, v141
	v_mul_f32_e32 v141, v135, v141
	s_waitcnt vmcnt(41)
	v_fma_f32 v148, v132, v130, -v148
	v_fmac_f32_e32 v140, v133, v130
	v_fmac_f32_e32 v149, v135, v126
	v_fma_f32 v141, v134, v126, -v141
	ds_read_b128 v[132:135], v1 offset:416
	s_waitcnt vmcnt(40) lgkmcnt(1)
	v_mul_f32_e32 v151, v136, v125
	v_mul_f32_e32 v125, v137, v125
	s_waitcnt vmcnt(39)
	v_mul_f32_e32 v152, v138, v123
	v_mul_f32_e32 v123, v139, v123
	v_fmac_f32_e32 v151, v137, v112
	v_fma_f32 v112, v136, v112, -v125
	s_waitcnt vmcnt(35)
	v_fmac_f32_e32 v152, v139, v131
	v_fma_f32 v153, v138, v131, -v123
	ds_read_b128 v[136:139], v1 offset:432
	s_waitcnt vmcnt(34) lgkmcnt(1)
	v_mul_f32_e32 v154, v132, v129
	v_mul_f32_e32 v123, v133, v129
	s_waitcnt vmcnt(33)
	v_mul_f32_e32 v155, v134, v128
	v_mul_f32_e32 v125, v135, v128
	ds_read_b128 v[128:131], v1 offset:448
	v_fmac_f32_e32 v154, v133, v120
	v_fma_f32 v120, v132, v120, -v123
	v_fmac_f32_e32 v155, v135, v115
	v_fma_f32 v156, v134, v115, -v125
	ds_read_b128 v[132:135], v1 offset:464
	s_waitcnt vmcnt(32) lgkmcnt(2)
	v_mul_f32_e32 v157, v136, v119
	v_mul_f32_e32 v115, v137, v119
	s_waitcnt vmcnt(31)
	v_mul_f32_e32 v119, v138, v117
	v_mul_f32_e32 v117, v139, v117
	v_fmac_f32_e32 v157, v137, v102
	v_fma_f32 v136, v136, v102, -v115
	s_waitcnt vmcnt(27)
	v_fmac_f32_e32 v119, v139, v127
	v_fma_f32 v137, v138, v127, -v117
	s_waitcnt vmcnt(26) lgkmcnt(1)
	v_mul_f32_e32 v138, v128, v124
	v_mul_f32_e32 v102, v129, v124
	s_waitcnt vmcnt(25)
	v_mul_f32_e32 v139, v130, v122
	v_mul_f32_e32 v115, v131, v122
	ds_read_b128 v[122:125], v1 offset:480
	v_fmac_f32_e32 v138, v129, v113
	v_fma_f32 v113, v128, v113, -v102
	ds_read_b128 v[126:129], v1 offset:496
	v_fmac_f32_e32 v139, v131, v107
	v_fma_f32 v130, v130, v107, -v115
	s_waitcnt vmcnt(24) lgkmcnt(2)
	v_mul_f32_e32 v131, v132, v111
	v_mul_f32_e32 v102, v133, v111
	s_waitcnt vmcnt(23)
	v_mul_f32_e32 v111, v134, v109
	v_mul_f32_e32 v107, v135, v109
	v_fmac_f32_e32 v131, v133, v4
	v_fma_f32 v132, v132, v4, -v102
	s_waitcnt vmcnt(19)
	v_fmac_f32_e32 v111, v135, v121
	v_fma_f32 v121, v134, v121, -v107
	s_waitcnt vmcnt(18) lgkmcnt(1)
	v_mul_f32_e32 v133, v122, v118
	v_mul_f32_e32 v4, v123, v118
	s_waitcnt vmcnt(17)
	v_mul_f32_e32 v134, v124, v116
	v_mul_f32_e32 v102, v125, v116
	ds_read_b128 v[115:118], v1 offset:512
	v_fmac_f32_e32 v133, v123, v106
	v_fma_f32 v122, v122, v106, -v4
	v_fmac_f32_e32 v134, v125, v103
	v_fma_f32 v123, v124, v103, -v102
	s_waitcnt vmcnt(15) lgkmcnt(1)
	v_mul_f32_e32 v125, v128, v104
	v_mul_f32_e32 v102, v129, v104
	;; [unrolled: 1-line block ×4, first 2 shown]
	s_waitcnt vmcnt(11)
	v_fmac_f32_e32 v125, v129, v114
	v_fma_f32 v114, v128, v114, -v102
	ds_read_b128 v[102:105], v1 offset:528
	v_fmac_f32_e32 v124, v127, v3
	v_fma_f32 v126, v126, v3, -v4
	s_waitcnt vmcnt(10) lgkmcnt(1)
	v_mul_f32_e32 v127, v115, v110
	v_mul_f32_e32 v3, v116, v110
	s_waitcnt vmcnt(9)
	v_mul_f32_e32 v110, v117, v108
	v_mul_f32_e32 v4, v118, v108
	ds_read_b128 v[106:109], v1 offset:544
	v_fmac_f32_e32 v127, v116, v8
	v_fma_f32 v8, v115, v8, -v3
	v_fmac_f32_e32 v110, v118, v5
	v_fma_f32 v115, v117, v5, -v4
	s_waitcnt vmcnt(8) lgkmcnt(1)
	v_mul_f32_e32 v116, v102, v7
	v_mul_f32_e32 v3, v103, v7
	s_waitcnt vmcnt(7)
	v_mul_f32_e32 v7, v104, v6
	v_mul_f32_e32 v4, v105, v6
	buffer_load_dword v6, off, s[0:3], 0 offset:196
	v_fmac_f32_e32 v116, v103, v2
	v_fma_f32 v117, v102, v2, -v3
	s_waitcnt vmcnt(4)
	v_fmac_f32_e32 v7, v105, v145
	v_fma_f32 v118, v104, v145, -v4
	buffer_load_dword v104, off, s[0:3], 0 offset:204
	ds_read_b128 v[2:5], v1 offset:560
	s_waitcnt vmcnt(4) lgkmcnt(1)
	v_mul_f32_e32 v128, v106, v146
	v_mul_f32_e32 v102, v107, v146
	s_waitcnt vmcnt(3)
	v_mul_f32_e32 v129, v108, v147
	v_mul_f32_e32 v103, v109, v147
	v_fmac_f32_e32 v128, v107, v144
	v_fma_f32 v106, v106, v144, -v102
	v_fmac_f32_e32 v129, v109, v143
	v_fma_f32 v107, v108, v143, -v103
	s_clause 0x4
	buffer_load_dword v108, off, s[0:3], 0 offset:224
	buffer_load_dword v109, off, s[0:3], 0 offset:216
	;; [unrolled: 1-line block ×5, first 2 shown]
	s_waitcnt vmcnt(6) lgkmcnt(0)
	v_mul_f32_e32 v144, v2, v6
	v_mul_f32_e32 v6, v3, v6
	v_fmac_f32_e32 v144, v3, v142
	v_fma_f32 v6, v2, v142, -v6
	s_waitcnt vmcnt(5)
	v_mul_f32_e32 v142, v4, v104
	v_mul_f32_e32 v2, v5, v104
	s_waitcnt vmcnt(1)
	v_fmac_f32_e32 v142, v5, v102
	v_fma_f32 v145, v4, v102, -v2
	ds_read_b128 v[2:5], v1 offset:576
	ds_read_b128 v[102:105], v1 offset:592
	s_waitcnt vmcnt(0) lgkmcnt(1)
	v_mul_f32_e32 v146, v2, v143
	v_mul_f32_e32 v143, v3, v143
	v_fmac_f32_e32 v146, v3, v135
	v_fma_f32 v135, v2, v135, -v143
	s_clause 0x1
	buffer_load_dword v2, off, s[0:3], 0 offset:220
	buffer_load_dword v3, off, s[0:3], 0 offset:228
	s_waitcnt vmcnt(1)
	v_mul_f32_e32 v143, v4, v2
	v_mul_f32_e32 v2, v5, v2
	v_fmac_f32_e32 v143, v5, v109
	v_fma_f32 v147, v4, v109, -v2
	v_add_f32_e32 v2, 0, v148
	buffer_load_dword v5, off, s[0:3], 0 offset:236
	v_add_f32_e32 v4, 0, v140
	v_add_f32_e32 v2, v2, v141
	;; [unrolled: 1-line block ×4, first 2 shown]
	s_clause 0x3
	buffer_load_dword v112, off, s[0:3], 0 offset:256
	buffer_load_dword v109, off, s[0:3], 0 offset:248
	;; [unrolled: 1-line block ×4, first 2 shown]
	v_add_f32_e32 v4, v4, v151
	s_clause 0x1
	buffer_load_dword v148, off, s[0:3], 0 offset:252
	buffer_load_dword v149, off, s[0:3], 0 offset:260
	v_add_f32_e32 v2, v2, v153
	s_waitcnt vmcnt(7) lgkmcnt(0)
	v_mul_f32_e32 v151, v102, v3
	v_add_f32_e32 v4, v4, v152
	v_mul_f32_e32 v3, v103, v3
	v_add_f32_e32 v2, v2, v120
	buffer_load_dword v120, off, s[0:3], 0 offset:244
	v_add_f32_e32 v4, v4, v154
	v_fma_f32 v152, v102, v108, -v3
	v_fmac_f32_e32 v151, v103, v108
	v_add_f32_e32 v2, v2, v156
	v_add_f32_e32 v4, v4, v155
	;; [unrolled: 1-line block ×3, first 2 shown]
	buffer_load_dword v136, off, s[0:3], 0 offset:268
	v_add_f32_e32 v4, v4, v157
	v_add_f32_e32 v2, v2, v137
	;; [unrolled: 1-line block ×3, first 2 shown]
	s_clause 0x5
	buffer_load_dword v137, off, s[0:3], 0 offset:288
	buffer_load_dword v153, off, s[0:3], 0 offset:280
	;; [unrolled: 1-line block ×6, first 2 shown]
	v_add_f32_e32 v2, v2, v113
	v_add_f32_e32 v3, v3, v138
	;; [unrolled: 1-line block ×4, first 2 shown]
	s_clause 0x1
	buffer_load_dword v130, off, s[0:3], 0 offset:284
	buffer_load_dword v139, off, s[0:3], 0 offset:292
	v_add_f32_e32 v2, v2, v132
	v_add_f32_e32 v3, v3, v131
	s_clause 0x6
	buffer_load_dword v131, off, s[0:3], 0 offset:308
	buffer_load_dword v132, off, s[0:3], 0 offset:316
	;; [unrolled: 1-line block ×7, first 2 shown]
	v_add_f32_e32 v2, v2, v121
	v_add_f32_e32 v3, v3, v111
	;; [unrolled: 1-line block ×4, first 2 shown]
	buffer_load_dword v122, off, s[0:3], 0 offset:364
	v_add_f32_e32 v2, v2, v123
	v_add_f32_e32 v3, v3, v134
	s_clause 0x3
	buffer_load_dword v123, off, s[0:3], 0 offset:320
	buffer_load_dword v133, off, s[0:3], 0 offset:312
	buffer_load_dword v134, off, s[0:3], 0 offset:304
	buffer_load_dword v162, off, s[0:3], 0 offset:296
	v_add_f32_e32 v2, v2, v126
	v_add_f32_e32 v3, v3, v124
	;; [unrolled: 1-line block ×4, first 2 shown]
	s_clause 0x3
	buffer_load_dword v124, off, s[0:3], 0 offset:352
	buffer_load_dword v125, off, s[0:3], 0 offset:344
	;; [unrolled: 1-line block ×4, first 2 shown]
	v_add_f32_e32 v2, v2, v8
	buffer_load_dword v8, off, s[0:3], 0 offset:360
	v_add_f32_e32 v3, v3, v127
	buffer_load_dword v127, off, s[0:3], 0 offset:8
	v_add_f32_e32 v2, v2, v115
	v_add_f32_e32 v3, v3, v110
	;; [unrolled: 1-line block ×20, first 2 shown]
	s_waitcnt vmcnt(34)
	v_mul_f32_e32 v138, v104, v5
	v_mul_f32_e32 v4, v105, v5
	s_waitcnt vmcnt(30)
	v_fmac_f32_e32 v138, v105, v141
	v_fma_f32 v141, v104, v141, -v4
	ds_read_b128 v[2:5], v1 offset:608
	ds_read_b128 v[102:105], v1 offset:624
	v_add_f32_e32 v7, v7, v138
	v_add_f32_e32 v6, v6, v141
	s_waitcnt vmcnt(27) lgkmcnt(1)
	v_mul_f32_e32 v128, v2, v120
	v_mul_f32_e32 v107, v3, v120
	;; [unrolled: 1-line block ×4, first 2 shown]
	s_waitcnt lgkmcnt(0)
	v_mul_f32_e32 v144, v102, v149
	v_fmac_f32_e32 v128, v3, v140
	v_fma_f32 v118, v2, v140, -v107
	v_fmac_f32_e32 v129, v5, v109
	v_fma_f32 v140, v4, v109, -v108
	ds_read_b128 v[2:5], v1 offset:640
	ds_read_b128 v[106:109], v1 offset:656
	v_mul_f32_e32 v110, v103, v149
	s_waitcnt vmcnt(26)
	v_mul_f32_e32 v135, v104, v136
	v_mul_f32_e32 v111, v105, v136
	v_fmac_f32_e32 v144, v103, v112
	v_fma_f32 v136, v102, v112, -v110
	s_waitcnt vmcnt(22)
	v_fmac_f32_e32 v135, v105, v154
	v_fma_f32 v142, v104, v154, -v111
	ds_read_b128 v[102:105], v1 offset:672
	ds_read_b128 v[110:113], v1 offset:688
	;; [unrolled: 1-line block ×3, first 2 shown]
	s_waitcnt vmcnt(21) lgkmcnt(4)
	v_mul_f32_e32 v143, v2, v155
	v_mul_f32_e32 v120, v3, v155
	v_fmac_f32_e32 v143, v3, v119
	v_add_f32_e32 v3, v6, v118
	v_fma_f32 v2, v2, v119, -v120
	ds_read_b128 v[118:121], v1 offset:720
	v_add_f32_e32 v1, v7, v128
	s_waitcnt vmcnt(19)
	v_mul_f32_e32 v7, v5, v130
	v_add_f32_e32 v3, v3, v140
	v_mul_f32_e32 v6, v4, v130
	s_waitcnt vmcnt(18) lgkmcnt(4)
	v_mul_f32_e32 v130, v107, v139
	v_add_f32_e32 v1, v1, v129
	v_fma_f32 v4, v4, v153, -v7
	v_add_f32_e32 v3, v3, v136
	v_mul_f32_e32 v128, v106, v139
	v_fmac_f32_e32 v6, v5, v153
	v_add_f32_e32 v1, v1, v144
	v_fma_f32 v106, v106, v137, -v130
	v_add_f32_e32 v3, v3, v142
	v_mul_f32_e32 v129, v108, v156
	v_fmac_f32_e32 v128, v107, v137
	v_add_f32_e32 v1, v1, v135
	v_mul_f32_e32 v135, v109, v156
	v_add_f32_e32 v2, v3, v2
	s_waitcnt vmcnt(17) lgkmcnt(3)
	v_mul_f32_e32 v5, v102, v131
	s_waitcnt vmcnt(6)
	v_fmac_f32_e32 v129, v109, v162
	v_add_f32_e32 v1, v1, v143
	v_mul_f32_e32 v7, v104, v132
	v_add_f32_e32 v2, v2, v4
	v_mul_f32_e32 v4, v103, v131
	v_fmac_f32_e32 v5, v103, v134
	v_add_f32_e32 v1, v1, v6
	v_fma_f32 v6, v108, v162, -v135
	v_add_f32_e32 v2, v2, v106
	v_mul_f32_e32 v106, v105, v132
	v_fma_f32 v4, v102, v134, -v4
	v_add_f32_e32 v1, v1, v128
	s_waitcnt lgkmcnt(2)
	v_mul_f32_e32 v136, v110, v157
	v_add_f32_e32 v2, v2, v6
	v_mul_f32_e32 v6, v111, v157
	v_fma_f32 v102, v104, v133, -v106
	v_add_f32_e32 v1, v1, v129
	v_fmac_f32_e32 v7, v105, v133
	v_add_f32_e32 v2, v2, v4
	v_mul_f32_e32 v4, v113, v158
	v_mul_f32_e32 v138, v112, v158
	v_add_f32_e32 v1, v1, v5
	v_fma_f32 v5, v110, v123, -v6
	v_add_f32_e32 v2, v2, v102
	v_fmac_f32_e32 v136, v111, v123
	s_waitcnt lgkmcnt(1)
	v_mul_f32_e32 v6, v115, v159
	v_add_f32_e32 v1, v1, v7
	s_waitcnt vmcnt(2)
	v_fma_f32 v4, v112, v163, -v4
	v_add_f32_e32 v2, v2, v5
	v_mul_f32_e32 v139, v114, v159
	v_fmac_f32_e32 v138, v113, v163
	v_add_f32_e32 v1, v1, v136
	v_mul_f32_e32 v5, v117, v160
	v_fma_f32 v6, v114, v126, -v6
	v_add_f32_e32 v2, v2, v4
	v_mul_f32_e32 v140, v116, v160
	v_fmac_f32_e32 v139, v115, v126
	v_add_f32_e32 v1, v1, v138
	s_waitcnt lgkmcnt(0)
	v_mul_f32_e32 v4, v119, v161
	v_fma_f32 v5, v116, v125, -v5
	v_add_f32_e32 v2, v2, v6
	v_mul_f32_e32 v141, v118, v161
	v_fmac_f32_e32 v140, v117, v125
	v_add_f32_e32 v1, v1, v139
	v_mul_f32_e32 v6, v121, v122
	v_fma_f32 v4, v118, v124, -v4
	v_add_f32_e32 v2, v2, v5
	v_mul_f32_e32 v3, v120, v122
	v_fmac_f32_e32 v141, v119, v124
	v_add_f32_e32 v1, v1, v140
	s_waitcnt vmcnt(1)
	v_fma_f32 v5, v120, v8, -v6
	v_add_f32_e32 v2, v2, v4
	v_fmac_f32_e32 v3, v121, v8
	v_add_f32_e32 v1, v1, v141
	v_add_f32_e32 v2, v2, v5
	v_add_f32_e32 v1, v1, v3
	s_waitcnt vmcnt(0)
	v_sub_f32_e32 v2, v127, v2
	v_sub_f32_e32 v1, v150, v1
	buffer_store_dword v2, off, s[0:3], 0 offset:8
	buffer_store_dword v1, off, s[0:3], 0 offset:12
	v_cmpx_ne_u32_e32 0, v0
	s_cbranch_execz .LBB109_289
; %bb.288:
	s_clause 0x1
	buffer_load_dword v0, off, s[0:3], 0
	buffer_load_dword v1, off, s[0:3], 0 offset:4
	v_mov_b32_e32 v2, 0
	buffer_store_dword v2, off, s[0:3], 0
	buffer_store_dword v2, off, s[0:3], 0 offset:4
	s_waitcnt vmcnt(0)
	ds_write_b64 v101, v[0:1]
.LBB109_289:
	s_or_b32 exec_lo, exec_lo, s4
	s_waitcnt lgkmcnt(0)
	s_waitcnt_vscnt null, 0x0
	s_barrier
	buffer_gl0_inv
	s_clause 0x2c
	buffer_load_dword v139, off, s[0:3], 0 offset:12
	buffer_load_dword v113, off, s[0:3], 0 offset:24
	;; [unrolled: 1-line block ×45, first 2 shown]
	v_mov_b32_e32 v0, 0
	ds_read2_b64 v[131:134], v0 offset0:47 offset1:48
	ds_read2_b64 v[135:138], v0 offset0:49 offset1:50
	buffer_load_dword v151, off, s[0:3], 0 offset:4
	s_and_b32 vcc_lo, exec_lo, s16
	s_waitcnt vmcnt(45) lgkmcnt(1)
	v_mul_f32_e32 v149, v132, v139
	v_mul_f32_e32 v150, v131, v139
	ds_read2_b64 v[139:142], v0 offset0:51 offset1:52
	s_waitcnt vmcnt(41)
	v_mul_f32_e32 v152, v133, v127
	v_mul_f32_e32 v127, v134, v127
	v_fma_f32 v149, v131, v129, -v149
	v_fmac_f32_e32 v150, v132, v129
	s_waitcnt vmcnt(40) lgkmcnt(1)
	v_mul_f32_e32 v154, v135, v125
	v_fmac_f32_e32 v152, v134, v122
	v_fma_f32 v153, v133, v122, -v127
	v_mul_f32_e32 v122, v136, v125
	ds_read2_b64 v[131:134], v0 offset0:53 offset1:54
	v_fmac_f32_e32 v154, v136, v113
	s_waitcnt vmcnt(39)
	v_mul_f32_e32 v155, v137, v118
	v_fma_f32 v125, v135, v113, -v122
	v_mul_f32_e32 v113, v138, v118
	s_waitcnt vmcnt(35)
	v_fmac_f32_e32 v155, v138, v130
	v_fma_f32 v156, v137, v130, -v113
	s_waitcnt vmcnt(34) lgkmcnt(1)
	v_mul_f32_e32 v157, v139, v128
	v_mul_f32_e32 v113, v140, v128
	ds_read2_b64 v[127:130], v0 offset0:55 offset1:56
	ds_read2_b64 v[135:138], v0 offset0:57 offset1:58
	v_fmac_f32_e32 v157, v140, v121
	v_fma_f32 v139, v139, v121, -v113
	s_waitcnt vmcnt(33)
	v_mul_f32_e32 v140, v141, v123
	v_mul_f32_e32 v113, v142, v123
	v_fmac_f32_e32 v140, v142, v114
	v_fma_f32 v141, v141, v114, -v113
	s_waitcnt vmcnt(32) lgkmcnt(2)
	v_mul_f32_e32 v142, v131, v119
	v_mul_f32_e32 v113, v132, v119
	v_fmac_f32_e32 v142, v132, v102
	v_fma_f32 v102, v131, v102, -v113
	s_waitcnt vmcnt(31)
	v_mul_f32_e32 v131, v133, v110
	v_mul_f32_e32 v110, v134, v110
	s_waitcnt vmcnt(26) lgkmcnt(1)
	v_mul_f32_e32 v132, v127, v124
	v_fmac_f32_e32 v131, v134, v126
	v_fma_f32 v126, v133, v126, -v110
	v_mul_f32_e32 v110, v128, v124
	ds_read2_b64 v[121:124], v0 offset0:59 offset1:60
	v_fmac_f32_e32 v132, v128, v115
	s_waitcnt vmcnt(25)
	v_mul_f32_e32 v128, v129, v116
	s_waitcnt vmcnt(23) lgkmcnt(1)
	v_mul_f32_e32 v134, v137, v104
	v_fma_f32 v127, v127, v115, -v110
	v_mul_f32_e32 v110, v130, v116
	ds_read2_b64 v[113:116], v0 offset0:61 offset1:62
	v_fmac_f32_e32 v128, v130, v106
	v_mul_f32_e32 v130, v135, v111
	s_waitcnt vmcnt(19)
	v_fmac_f32_e32 v134, v138, v120
	v_fma_f32 v129, v129, v106, -v110
	v_mul_f32_e32 v106, v136, v111
	v_fmac_f32_e32 v130, v136, v4
	v_fma_f32 v133, v135, v4, -v106
	v_mul_f32_e32 v4, v138, v104
	s_waitcnt vmcnt(18) lgkmcnt(1)
	v_mul_f32_e32 v136, v121, v117
	v_fma_f32 v135, v137, v120, -v4
	v_mul_f32_e32 v4, v122, v117
	ds_read2_b64 v[117:120], v0 offset0:63 offset1:64
	v_fmac_f32_e32 v136, v122, v107
	s_waitcnt vmcnt(17)
	v_mul_f32_e32 v122, v123, v108
	v_fma_f32 v121, v121, v107, -v4
	v_mul_f32_e32 v4, v124, v108
	v_fmac_f32_e32 v122, v124, v8
	s_waitcnt vmcnt(16) lgkmcnt(1)
	v_mul_f32_e32 v124, v113, v105
	v_fma_f32 v123, v123, v8, -v4
	v_mul_f32_e32 v4, v114, v105
	ds_read2_b64 v[104:107], v0 offset0:65 offset1:66
	v_fmac_f32_e32 v124, v114, v2
	s_waitcnt vmcnt(15)
	v_mul_f32_e32 v114, v115, v6
	v_fma_f32 v113, v113, v2, -v4
	v_mul_f32_e32 v2, v116, v6
	s_waitcnt vmcnt(11)
	v_fmac_f32_e32 v114, v116, v112
	s_waitcnt vmcnt(9) lgkmcnt(1)
	v_mul_f32_e32 v116, v119, v103
	v_fma_f32 v112, v115, v112, -v2
	v_mul_f32_e32 v115, v117, v109
	v_mul_f32_e32 v2, v118, v109
	ds_read2_b64 v[108:111], v0 offset0:67 offset1:68
	v_fmac_f32_e32 v116, v120, v3
	v_fmac_f32_e32 v115, v118, v101
	v_fma_f32 v101, v117, v101, -v2
	v_mul_f32_e32 v2, v120, v103
	buffer_load_dword v120, off, s[0:3], 0 offset:196
	s_waitcnt vmcnt(9) lgkmcnt(1)
	v_mul_f32_e32 v117, v104, v7
	s_waitcnt vmcnt(8)
	v_mul_f32_e32 v118, v106, v5
	v_fma_f32 v103, v119, v3, -v2
	buffer_load_dword v119, off, s[0:3], 0 offset:188
	v_mul_f32_e32 v2, v105, v7
	v_mul_f32_e32 v3, v107, v5
	v_fmac_f32_e32 v117, v105, v1
	s_waitcnt vmcnt(5)
	v_fmac_f32_e32 v118, v107, v146
	v_fma_f32 v104, v104, v1, -v2
	v_fma_f32 v105, v106, v146, -v3
	ds_read2_b64 v[1:4], v0 offset0:69 offset1:70
	s_waitcnt vmcnt(4) lgkmcnt(1)
	v_mul_f32_e32 v106, v108, v147
	v_mul_f32_e32 v5, v109, v147
	s_waitcnt vmcnt(3)
	v_mul_f32_e32 v107, v110, v148
	v_mul_f32_e32 v6, v111, v148
	v_fmac_f32_e32 v106, v109, v145
	v_fma_f32 v108, v108, v145, -v5
	v_fmac_f32_e32 v107, v111, v144
	v_fma_f32 v109, v110, v144, -v6
	s_clause 0x7
	buffer_load_dword v110, off, s[0:3], 0 offset:216
	buffer_load_dword v111, off, s[0:3], 0 offset:208
	;; [unrolled: 1-line block ×8, first 2 shown]
	v_add_f32_e32 v5, 0, v149
	v_add_f32_e32 v6, 0, v150
	;; [unrolled: 1-line block ×5, first 2 shown]
	s_clause 0x4
	buffer_load_dword v125, off, s[0:3], 0 offset:248
	buffer_load_dword v148, off, s[0:3], 0 offset:240
	;; [unrolled: 1-line block ×5, first 2 shown]
	v_add_f32_e32 v6, v6, v154
	v_add_f32_e32 v5, v5, v156
	;; [unrolled: 1-line block ×7, first 2 shown]
	buffer_load_dword v140, off, s[0:3], 0 offset:244
	v_add_f32_e32 v102, v5, v102
	ds_read2_b64 v[5:8], v0 offset0:71 offset1:72
	v_add_f32_e32 v139, v139, v142
	v_add_f32_e32 v102, v102, v126
	;; [unrolled: 1-line block ×3, first 2 shown]
	buffer_load_dword v139, off, s[0:3], 0 offset:252
	s_waitcnt vmcnt(16) lgkmcnt(1)
	v_mul_f32_e32 v126, v3, v120
	v_mul_f32_e32 v120, v4, v120
	s_waitcnt vmcnt(15)
	v_mul_f32_e32 v141, v1, v119
	v_mul_f32_e32 v119, v2, v119
	v_fmac_f32_e32 v141, v2, v143
	v_fma_f32 v119, v1, v143, -v119
	v_add_f32_e32 v1, v102, v127
	v_add_f32_e32 v102, v131, v132
	;; [unrolled: 1-line block ×4, first 2 shown]
	s_waitcnt vmcnt(11)
	v_fmac_f32_e32 v126, v4, v138
	s_waitcnt vmcnt(10) lgkmcnt(0)
	v_mul_f32_e32 v128, v5, v144
	v_mul_f32_e32 v143, v6, v144
	v_fma_f32 v120, v3, v138, -v120
	s_clause 0x4
	buffer_load_dword v127, off, s[0:3], 0 offset:260
	buffer_load_dword v131, off, s[0:3], 0 offset:280
	;; [unrolled: 1-line block ×5, first 2 shown]
	ds_read2_b64 v[1:4], v0 offset0:73 offset1:74
	v_fmac_f32_e32 v128, v6, v137
	v_fma_f32 v137, v5, v137, -v143
	v_add_f32_e32 v5, v129, v133
	s_clause 0x1
	buffer_load_dword v129, off, s[0:3], 0 offset:268
	buffer_load_dword v133, off, s[0:3], 0 offset:276
	v_add_f32_e32 v6, v102, v130
	s_waitcnt vmcnt(16)
	v_mul_f32_e32 v130, v7, v145
	v_mul_f32_e32 v102, v8, v145
	v_add_f32_e32 v5, v5, v135
	buffer_load_dword v135, off, s[0:3], 0 offset:284
	v_add_f32_e32 v6, v6, v134
	v_fmac_f32_e32 v130, v8, v111
	v_fma_f32 v111, v7, v111, -v102
	v_add_f32_e32 v102, v5, v121
	s_clause 0x3
	buffer_load_dword v121, off, s[0:3], 0 offset:292
	buffer_load_dword v134, off, s[0:3], 0 offset:300
	;; [unrolled: 1-line block ×4, first 2 shown]
	v_add_f32_e32 v136, v6, v136
	ds_read2_b64 v[5:8], v0 offset0:75 offset1:76
	v_add_f32_e32 v102, v102, v123
	s_waitcnt vmcnt(20) lgkmcnt(1)
	v_mul_f32_e32 v123, v1, v146
	v_mul_f32_e32 v145, v2, v146
	v_add_f32_e32 v122, v136, v122
	s_waitcnt vmcnt(19)
	v_mul_f32_e32 v136, v3, v147
	v_add_f32_e32 v102, v102, v113
	v_fmac_f32_e32 v123, v2, v110
	v_fma_f32 v110, v1, v110, -v145
	v_add_f32_e32 v1, v122, v124
	v_mul_f32_e32 v113, v4, v147
	v_add_f32_e32 v2, v102, v112
	s_clause 0x3
	buffer_load_dword v122, off, s[0:3], 0 offset:324
	buffer_load_dword v124, off, s[0:3], 0 offset:332
	;; [unrolled: 1-line block ×4, first 2 shown]
	s_waitcnt vmcnt(19)
	v_fmac_f32_e32 v136, v4, v150
	v_add_f32_e32 v1, v1, v114
	v_fma_f32 v112, v3, v150, -v113
	s_clause 0x5
	buffer_load_dword v147, off, s[0:3], 0 offset:356
	buffer_load_dword v150, off, s[0:3], 0 offset:312
	;; [unrolled: 1-line block ×6, first 2 shown]
	v_add_f32_e32 v2, v2, v101
	v_add_f32_e32 v1, v1, v115
	s_waitcnt vmcnt(24) lgkmcnt(0)
	v_mul_f32_e32 v113, v5, v152
	s_waitcnt vmcnt(23)
	v_mul_f32_e32 v158, v7, v140
	v_add_f32_e32 v101, v2, v103
	v_add_f32_e32 v102, v1, v116
	ds_read2_b64 v[1:4], v0 offset0:77 offset1:78
	v_mul_f32_e32 v103, v6, v152
	v_fmac_f32_e32 v113, v6, v149
	v_add_f32_e32 v101, v101, v104
	v_add_f32_e32 v102, v102, v117
	v_fmac_f32_e32 v158, v8, v148
	v_fma_f32 v114, v5, v149, -v103
	v_add_f32_e32 v5, v101, v105
	v_add_f32_e32 v6, v102, v118
	s_clause 0x6
	buffer_load_dword v115, off, s[0:3], 0 offset:344
	buffer_load_dword v116, off, s[0:3], 0 offset:336
	;; [unrolled: 1-line block ×6, first 2 shown]
	buffer_load_dword v157, off, s[0:3], 0
	v_add_f32_e32 v5, v5, v108
	v_add_f32_e32 v6, v6, v106
	;; [unrolled: 1-line block ×4, first 2 shown]
	v_mul_f32_e32 v6, v8, v140
	s_waitcnt vmcnt(29) lgkmcnt(0)
	v_mul_f32_e32 v105, v2, v139
	v_add_f32_e32 v102, v5, v119
	v_add_f32_e32 v101, v101, v141
	v_fma_f32 v119, v7, v148, -v6
	ds_read2_b64 v[5:8], v0 offset0:79 offset1:80
	v_add_f32_e32 v102, v102, v120
	v_add_f32_e32 v106, v101, v126
	v_mul_f32_e32 v120, v1, v139
	v_add_f32_e32 v107, v102, v137
	v_add_f32_e32 v109, v106, v128
	ds_read2_b64 v[101:104], v0 offset0:81 offset1:82
	v_fmac_f32_e32 v120, v2, v125
	v_fma_f32 v125, v1, v125, -v105
	v_add_f32_e32 v111, v107, v111
	v_add_f32_e32 v109, v109, v130
	;; [unrolled: 1-line block ×4, first 2 shown]
	s_waitcnt vmcnt(28)
	v_mul_f32_e32 v139, v3, v127
	v_mul_f32_e32 v108, v4, v127
	s_waitcnt vmcnt(24)
	v_fmac_f32_e32 v139, v4, v142
	v_fma_f32 v126, v3, v142, -v108
	ds_read2_b64 v[1:4], v0 offset0:83 offset1:84
	ds_read2_b64 v[105:108], v0 offset0:85 offset1:86
	s_waitcnt vmcnt(23) lgkmcnt(3)
	v_mul_f32_e32 v127, v5, v129
	v_mul_f32_e32 v128, v6, v129
	s_waitcnt vmcnt(22)
	v_mul_f32_e32 v129, v7, v133
	v_mul_f32_e32 v123, v8, v133
	v_fmac_f32_e32 v127, v6, v138
	v_add_f32_e32 v6, v110, v112
	v_fma_f32 v128, v5, v138, -v128
	v_add_f32_e32 v5, v109, v136
	v_fmac_f32_e32 v129, v8, v132
	v_fma_f32 v123, v7, v132, -v123
	v_add_f32_e32 v130, v6, v114
	s_waitcnt vmcnt(20) lgkmcnt(2)
	v_mul_f32_e32 v133, v103, v121
	v_add_f32_e32 v132, v5, v113
	v_mul_f32_e32 v121, v104, v121
	ds_read2_b64 v[109:112], v0 offset0:87 offset1:88
	v_add_f32_e32 v119, v130, v119
	v_mul_f32_e32 v130, v101, v135
	v_add_f32_e32 v132, v132, v158
	v_mul_f32_e32 v135, v102, v135
	ds_read2_b64 v[5:8], v0 offset0:89 offset1:90
	ds_read_b64 v[113:114], v0 offset:728
	v_add_f32_e32 v119, v119, v125
	v_fmac_f32_e32 v130, v102, v131
	v_add_f32_e32 v120, v132, v120
	v_fma_f32 v101, v101, v131, -v135
	s_waitcnt vmcnt(19) lgkmcnt(4)
	v_mul_f32_e32 v125, v1, v134
	v_add_f32_e32 v119, v119, v126
	v_mul_f32_e32 v131, v2, v134
	v_add_f32_e32 v120, v120, v139
	s_waitcnt vmcnt(18)
	v_mul_f32_e32 v132, v3, v143
	s_waitcnt vmcnt(9)
	v_fmac_f32_e32 v125, v2, v154
	v_add_f32_e32 v119, v119, v128
	s_waitcnt vmcnt(8)
	v_fma_f32 v103, v103, v155, -v121
	v_add_f32_e32 v120, v120, v127
	v_fmac_f32_e32 v133, v104, v155
	v_fma_f32 v1, v1, v154, -v131
	v_add_f32_e32 v119, v119, v123
	s_waitcnt lgkmcnt(3)
	v_mul_f32_e32 v126, v105, v144
	v_add_f32_e32 v120, v120, v129
	v_fmac_f32_e32 v132, v4, v153
	v_mul_f32_e32 v136, v107, v122
	v_add_f32_e32 v101, v119, v101
	v_mul_f32_e32 v119, v4, v143
	v_add_f32_e32 v104, v120, v130
	v_mul_f32_e32 v4, v108, v122
	v_fmac_f32_e32 v126, v106, v150
	v_add_f32_e32 v2, v101, v103
	v_mul_f32_e32 v103, v106, v144
	v_add_f32_e32 v101, v104, v133
	v_fma_f32 v3, v3, v153, -v119
	s_waitcnt vmcnt(3)
	v_fma_f32 v4, v107, v118, -v4
	v_add_f32_e32 v1, v2, v1
	s_waitcnt lgkmcnt(2)
	v_mul_f32_e32 v137, v109, v124
	v_add_f32_e32 v2, v101, v125
	v_fma_f32 v101, v105, v150, -v103
	v_fmac_f32_e32 v136, v108, v118
	v_add_f32_e32 v1, v1, v3
	v_mul_f32_e32 v3, v110, v124
	v_add_f32_e32 v2, v2, v132
	v_mul_f32_e32 v128, v111, v145
	v_fmac_f32_e32 v137, v110, v117
	v_add_f32_e32 v1, v1, v101
	v_mul_f32_e32 v101, v112, v145
	v_add_f32_e32 v2, v2, v126
	v_fma_f32 v3, v109, v117, -v3
	s_waitcnt lgkmcnt(1)
	v_mul_f32_e32 v127, v5, v146
	v_add_f32_e32 v1, v1, v4
	v_mul_f32_e32 v4, v6, v146
	v_add_f32_e32 v2, v2, v136
	v_fma_f32 v101, v111, v116, -v101
	v_fmac_f32_e32 v128, v112, v116
	v_add_f32_e32 v1, v1, v3
	v_mul_f32_e32 v3, v8, v147
	v_add_f32_e32 v2, v2, v137
	v_fma_f32 v4, v5, v115, -v4
	v_mul_f32_e32 v102, v7, v147
	v_add_f32_e32 v1, v1, v101
	v_fmac_f32_e32 v127, v6, v115
	v_add_f32_e32 v2, v2, v128
	s_waitcnt lgkmcnt(0)
	v_mul_f32_e32 v5, v114, v156
	s_waitcnt vmcnt(1)
	v_fma_f32 v3, v7, v152, -v3
	v_add_f32_e32 v1, v1, v4
	v_mul_f32_e32 v123, v113, v156
	v_fmac_f32_e32 v102, v8, v152
	v_add_f32_e32 v2, v2, v127
	v_fma_f32 v4, v113, v149, -v5
	v_add_f32_e32 v1, v1, v3
	v_fmac_f32_e32 v123, v114, v149
	v_add_f32_e32 v2, v2, v102
	v_add_f32_e32 v1, v1, v4
	;; [unrolled: 1-line block ×3, first 2 shown]
	s_waitcnt vmcnt(0)
	v_sub_f32_e32 v1, v157, v1
	v_sub_f32_e32 v2, v151, v2
	buffer_store_dword v1, off, s[0:3], 0
	buffer_store_dword v2, off, s[0:3], 0 offset:4
	s_cbranch_vccz .LBB109_380
; %bb.290:
	global_load_dword v0, v0, s[12:13] offset:176
	s_waitcnt vmcnt(0)
	v_add_nc_u32_e32 v0, -1, v0
	v_cmp_ne_u32_e32 vcc_lo, 44, v0
	s_cbranch_vccz .LBB109_292
; %bb.291:
	v_lshlrev_b32_e32 v0, 3, v0
	s_clause 0x3
	buffer_load_dword v1, v0, s[0:3], 0 offen
	buffer_load_dword v2, v0, s[0:3], 0 offen offset:4
	buffer_load_dword v3, off, s[0:3], 0 offset:356
	buffer_load_dword v4, off, s[0:3], 0 offset:352
	s_waitcnt vmcnt(3)
	buffer_store_dword v1, off, s[0:3], 0 offset:352
	s_waitcnt vmcnt(2)
	buffer_store_dword v2, off, s[0:3], 0 offset:356
	s_waitcnt vmcnt(1)
	buffer_store_dword v3, v0, s[0:3], 0 offen offset:4
	s_waitcnt vmcnt(0)
	buffer_store_dword v4, v0, s[0:3], 0 offen
.LBB109_292:
	v_mov_b32_e32 v0, 0
	global_load_dword v1, v0, s[12:13] offset:172
	s_waitcnt vmcnt(0)
	v_add_nc_u32_e32 v1, -1, v1
	v_cmp_eq_u32_e32 vcc_lo, 43, v1
	s_cbranch_vccnz .LBB109_294
; %bb.293:
	v_lshlrev_b32_e32 v1, 3, v1
	s_clause 0x3
	buffer_load_dword v2, v1, s[0:3], 0 offen
	buffer_load_dword v3, v1, s[0:3], 0 offen offset:4
	buffer_load_dword v4, off, s[0:3], 0 offset:344
	buffer_load_dword v5, off, s[0:3], 0 offset:348
	s_waitcnt vmcnt(3)
	buffer_store_dword v2, off, s[0:3], 0 offset:344
	s_waitcnt vmcnt(2)
	buffer_store_dword v3, off, s[0:3], 0 offset:348
	s_waitcnt vmcnt(1)
	buffer_store_dword v4, v1, s[0:3], 0 offen
	s_waitcnt vmcnt(0)
	buffer_store_dword v5, v1, s[0:3], 0 offen offset:4
.LBB109_294:
	global_load_dword v0, v0, s[12:13] offset:168
	s_waitcnt vmcnt(0)
	v_add_nc_u32_e32 v0, -1, v0
	v_cmp_eq_u32_e32 vcc_lo, 42, v0
	s_cbranch_vccnz .LBB109_296
; %bb.295:
	v_lshlrev_b32_e32 v0, 3, v0
	s_clause 0x3
	buffer_load_dword v1, v0, s[0:3], 0 offen
	buffer_load_dword v2, v0, s[0:3], 0 offen offset:4
	buffer_load_dword v3, off, s[0:3], 0 offset:340
	buffer_load_dword v4, off, s[0:3], 0 offset:336
	s_waitcnt vmcnt(3)
	buffer_store_dword v1, off, s[0:3], 0 offset:336
	s_waitcnt vmcnt(2)
	buffer_store_dword v2, off, s[0:3], 0 offset:340
	s_waitcnt vmcnt(1)
	buffer_store_dword v3, v0, s[0:3], 0 offen offset:4
	s_waitcnt vmcnt(0)
	buffer_store_dword v4, v0, s[0:3], 0 offen
.LBB109_296:
	v_mov_b32_e32 v0, 0
	global_load_dword v1, v0, s[12:13] offset:164
	s_waitcnt vmcnt(0)
	v_add_nc_u32_e32 v1, -1, v1
	v_cmp_eq_u32_e32 vcc_lo, 41, v1
	s_cbranch_vccnz .LBB109_298
; %bb.297:
	v_lshlrev_b32_e32 v1, 3, v1
	s_clause 0x3
	buffer_load_dword v2, v1, s[0:3], 0 offen
	buffer_load_dword v3, v1, s[0:3], 0 offen offset:4
	buffer_load_dword v4, off, s[0:3], 0 offset:328
	buffer_load_dword v5, off, s[0:3], 0 offset:332
	s_waitcnt vmcnt(3)
	buffer_store_dword v2, off, s[0:3], 0 offset:328
	s_waitcnt vmcnt(2)
	buffer_store_dword v3, off, s[0:3], 0 offset:332
	s_waitcnt vmcnt(1)
	buffer_store_dword v4, v1, s[0:3], 0 offen
	s_waitcnt vmcnt(0)
	buffer_store_dword v5, v1, s[0:3], 0 offen offset:4
.LBB109_298:
	global_load_dword v0, v0, s[12:13] offset:160
	s_waitcnt vmcnt(0)
	v_add_nc_u32_e32 v0, -1, v0
	v_cmp_eq_u32_e32 vcc_lo, 40, v0
	s_cbranch_vccnz .LBB109_300
; %bb.299:
	v_lshlrev_b32_e32 v0, 3, v0
	s_clause 0x3
	buffer_load_dword v1, v0, s[0:3], 0 offen
	buffer_load_dword v2, v0, s[0:3], 0 offen offset:4
	buffer_load_dword v3, off, s[0:3], 0 offset:324
	buffer_load_dword v4, off, s[0:3], 0 offset:320
	s_waitcnt vmcnt(3)
	buffer_store_dword v1, off, s[0:3], 0 offset:320
	s_waitcnt vmcnt(2)
	buffer_store_dword v2, off, s[0:3], 0 offset:324
	s_waitcnt vmcnt(1)
	buffer_store_dword v3, v0, s[0:3], 0 offen offset:4
	s_waitcnt vmcnt(0)
	buffer_store_dword v4, v0, s[0:3], 0 offen
.LBB109_300:
	;; [unrolled: 43-line block ×21, first 2 shown]
	v_mov_b32_e32 v0, 0
	global_load_dword v1, v0, s[12:13] offset:4
	s_waitcnt vmcnt(0)
	v_add_nc_u32_e32 v1, -1, v1
	v_cmp_eq_u32_e32 vcc_lo, 1, v1
	s_cbranch_vccnz .LBB109_378
; %bb.377:
	v_lshlrev_b32_e32 v1, 3, v1
	s_clause 0x3
	buffer_load_dword v2, v1, s[0:3], 0 offen
	buffer_load_dword v3, v1, s[0:3], 0 offen offset:4
	buffer_load_dword v4, off, s[0:3], 0 offset:8
	buffer_load_dword v5, off, s[0:3], 0 offset:12
	s_waitcnt vmcnt(3)
	buffer_store_dword v2, off, s[0:3], 0 offset:8
	s_waitcnt vmcnt(2)
	buffer_store_dword v3, off, s[0:3], 0 offset:12
	s_waitcnt vmcnt(1)
	buffer_store_dword v4, v1, s[0:3], 0 offen
	s_waitcnt vmcnt(0)
	buffer_store_dword v5, v1, s[0:3], 0 offen offset:4
.LBB109_378:
	global_load_dword v0, v0, s[12:13]
	s_waitcnt vmcnt(0)
	v_add_nc_u32_e32 v0, -1, v0
	v_cmp_eq_u32_e32 vcc_lo, 0, v0
	s_cbranch_vccnz .LBB109_380
; %bb.379:
	v_lshlrev_b32_e32 v0, 3, v0
	s_clause 0x3
	buffer_load_dword v1, v0, s[0:3], 0 offen
	buffer_load_dword v2, v0, s[0:3], 0 offen offset:4
	buffer_load_dword v3, off, s[0:3], 0 offset:4
	buffer_load_dword v4, off, s[0:3], 0
	s_waitcnt vmcnt(3)
	buffer_store_dword v1, off, s[0:3], 0
	s_waitcnt vmcnt(2)
	buffer_store_dword v2, off, s[0:3], 0 offset:4
	s_waitcnt vmcnt(1)
	buffer_store_dword v3, v0, s[0:3], 0 offen offset:4
	s_waitcnt vmcnt(0)
	buffer_store_dword v4, v0, s[0:3], 0 offen
.LBB109_380:
	s_clause 0x1
	buffer_load_dword v0, off, s[0:3], 0
	buffer_load_dword v1, off, s[0:3], 0 offset:4
	s_waitcnt vmcnt(0)
	flat_store_dwordx2 v[9:10], v[0:1]
	s_clause 0x1
	buffer_load_dword v0, off, s[0:3], 0 offset:8
	buffer_load_dword v1, off, s[0:3], 0 offset:12
	s_waitcnt vmcnt(0)
	flat_store_dwordx2 v[11:12], v[0:1]
	s_clause 0x1
	buffer_load_dword v0, off, s[0:3], 0 offset:16
	;; [unrolled: 5-line block ×45, first 2 shown]
	buffer_load_dword v1, off, s[0:3], 0 offset:364
	s_waitcnt vmcnt(0)
	flat_store_dwordx2 v[99:100], v[0:1]
	s_endpgm
	.section	.rodata,"a",@progbits
	.p2align	6, 0x0
	.amdhsa_kernel _ZN9rocsolver6v33100L18getri_kernel_smallILi46E19rocblas_complex_numIfEPKPS3_EEvT1_iilPiilS8_bb
		.amdhsa_group_segment_fixed_size 740
		.amdhsa_private_segment_fixed_size 384
		.amdhsa_kernarg_size 60
		.amdhsa_user_sgpr_count 6
		.amdhsa_user_sgpr_private_segment_buffer 1
		.amdhsa_user_sgpr_dispatch_ptr 0
		.amdhsa_user_sgpr_queue_ptr 0
		.amdhsa_user_sgpr_kernarg_segment_ptr 1
		.amdhsa_user_sgpr_dispatch_id 0
		.amdhsa_user_sgpr_flat_scratch_init 0
		.amdhsa_user_sgpr_private_segment_size 0
		.amdhsa_wavefront_size32 1
		.amdhsa_uses_dynamic_stack 0
		.amdhsa_system_sgpr_private_segment_wavefront_offset 1
		.amdhsa_system_sgpr_workgroup_id_x 1
		.amdhsa_system_sgpr_workgroup_id_y 0
		.amdhsa_system_sgpr_workgroup_id_z 0
		.amdhsa_system_sgpr_workgroup_info 0
		.amdhsa_system_vgpr_workitem_id 0
		.amdhsa_next_free_vgpr 252
		.amdhsa_next_free_sgpr 20
		.amdhsa_reserve_vcc 1
		.amdhsa_reserve_flat_scratch 0
		.amdhsa_float_round_mode_32 0
		.amdhsa_float_round_mode_16_64 0
		.amdhsa_float_denorm_mode_32 3
		.amdhsa_float_denorm_mode_16_64 3
		.amdhsa_dx10_clamp 1
		.amdhsa_ieee_mode 1
		.amdhsa_fp16_overflow 0
		.amdhsa_workgroup_processor_mode 1
		.amdhsa_memory_ordered 1
		.amdhsa_forward_progress 1
		.amdhsa_shared_vgpr_count 0
		.amdhsa_exception_fp_ieee_invalid_op 0
		.amdhsa_exception_fp_denorm_src 0
		.amdhsa_exception_fp_ieee_div_zero 0
		.amdhsa_exception_fp_ieee_overflow 0
		.amdhsa_exception_fp_ieee_underflow 0
		.amdhsa_exception_fp_ieee_inexact 0
		.amdhsa_exception_int_div_zero 0
	.end_amdhsa_kernel
	.section	.text._ZN9rocsolver6v33100L18getri_kernel_smallILi46E19rocblas_complex_numIfEPKPS3_EEvT1_iilPiilS8_bb,"axG",@progbits,_ZN9rocsolver6v33100L18getri_kernel_smallILi46E19rocblas_complex_numIfEPKPS3_EEvT1_iilPiilS8_bb,comdat
.Lfunc_end109:
	.size	_ZN9rocsolver6v33100L18getri_kernel_smallILi46E19rocblas_complex_numIfEPKPS3_EEvT1_iilPiilS8_bb, .Lfunc_end109-_ZN9rocsolver6v33100L18getri_kernel_smallILi46E19rocblas_complex_numIfEPKPS3_EEvT1_iilPiilS8_bb
                                        ; -- End function
	.set _ZN9rocsolver6v33100L18getri_kernel_smallILi46E19rocblas_complex_numIfEPKPS3_EEvT1_iilPiilS8_bb.num_vgpr, 252
	.set _ZN9rocsolver6v33100L18getri_kernel_smallILi46E19rocblas_complex_numIfEPKPS3_EEvT1_iilPiilS8_bb.num_agpr, 0
	.set _ZN9rocsolver6v33100L18getri_kernel_smallILi46E19rocblas_complex_numIfEPKPS3_EEvT1_iilPiilS8_bb.numbered_sgpr, 20
	.set _ZN9rocsolver6v33100L18getri_kernel_smallILi46E19rocblas_complex_numIfEPKPS3_EEvT1_iilPiilS8_bb.num_named_barrier, 0
	.set _ZN9rocsolver6v33100L18getri_kernel_smallILi46E19rocblas_complex_numIfEPKPS3_EEvT1_iilPiilS8_bb.private_seg_size, 384
	.set _ZN9rocsolver6v33100L18getri_kernel_smallILi46E19rocblas_complex_numIfEPKPS3_EEvT1_iilPiilS8_bb.uses_vcc, 1
	.set _ZN9rocsolver6v33100L18getri_kernel_smallILi46E19rocblas_complex_numIfEPKPS3_EEvT1_iilPiilS8_bb.uses_flat_scratch, 0
	.set _ZN9rocsolver6v33100L18getri_kernel_smallILi46E19rocblas_complex_numIfEPKPS3_EEvT1_iilPiilS8_bb.has_dyn_sized_stack, 0
	.set _ZN9rocsolver6v33100L18getri_kernel_smallILi46E19rocblas_complex_numIfEPKPS3_EEvT1_iilPiilS8_bb.has_recursion, 0
	.set _ZN9rocsolver6v33100L18getri_kernel_smallILi46E19rocblas_complex_numIfEPKPS3_EEvT1_iilPiilS8_bb.has_indirect_call, 0
	.section	.AMDGPU.csdata,"",@progbits
; Kernel info:
; codeLenInByte = 84676
; TotalNumSgprs: 22
; NumVgprs: 252
; ScratchSize: 384
; MemoryBound: 0
; FloatMode: 240
; IeeeMode: 1
; LDSByteSize: 740 bytes/workgroup (compile time only)
; SGPRBlocks: 0
; VGPRBlocks: 31
; NumSGPRsForWavesPerEU: 22
; NumVGPRsForWavesPerEU: 252
; Occupancy: 4
; WaveLimiterHint : 1
; COMPUTE_PGM_RSRC2:SCRATCH_EN: 1
; COMPUTE_PGM_RSRC2:USER_SGPR: 6
; COMPUTE_PGM_RSRC2:TRAP_HANDLER: 0
; COMPUTE_PGM_RSRC2:TGID_X_EN: 1
; COMPUTE_PGM_RSRC2:TGID_Y_EN: 0
; COMPUTE_PGM_RSRC2:TGID_Z_EN: 0
; COMPUTE_PGM_RSRC2:TIDIG_COMP_CNT: 0
	.section	.text._ZN9rocsolver6v33100L18getri_kernel_smallILi47E19rocblas_complex_numIfEPKPS3_EEvT1_iilPiilS8_bb,"axG",@progbits,_ZN9rocsolver6v33100L18getri_kernel_smallILi47E19rocblas_complex_numIfEPKPS3_EEvT1_iilPiilS8_bb,comdat
	.globl	_ZN9rocsolver6v33100L18getri_kernel_smallILi47E19rocblas_complex_numIfEPKPS3_EEvT1_iilPiilS8_bb ; -- Begin function _ZN9rocsolver6v33100L18getri_kernel_smallILi47E19rocblas_complex_numIfEPKPS3_EEvT1_iilPiilS8_bb
	.p2align	8
	.type	_ZN9rocsolver6v33100L18getri_kernel_smallILi47E19rocblas_complex_numIfEPKPS3_EEvT1_iilPiilS8_bb,@function
_ZN9rocsolver6v33100L18getri_kernel_smallILi47E19rocblas_complex_numIfEPKPS3_EEvT1_iilPiilS8_bb: ; @_ZN9rocsolver6v33100L18getri_kernel_smallILi47E19rocblas_complex_numIfEPKPS3_EEvT1_iilPiilS8_bb
; %bb.0:
	s_add_u32 s0, s0, s7
	s_addc_u32 s1, s1, 0
	s_mov_b32 s7, exec_lo
	v_cmpx_gt_u32_e32 47, v0
	s_cbranch_execz .LBB110_202
; %bb.1:
	s_clause 0x2
	s_load_dword s17, s[4:5], 0x38
	s_load_dwordx2 s[12:13], s[4:5], 0x0
	s_load_dwordx4 s[8:11], s[4:5], 0x28
	s_waitcnt lgkmcnt(0)
	s_bitcmp1_b32 s17, 8
	s_cselect_b32 s16, -1, 0
	s_ashr_i32 s7, s6, 31
	s_lshl_b64 s[14:15], s[6:7], 3
	s_add_u32 s12, s12, s14
	s_addc_u32 s13, s13, s15
	s_load_dwordx2 s[14:15], s[12:13], 0x0
	s_bfe_u32 s12, s17, 0x10008
	s_cmp_eq_u32 s12, 0
                                        ; implicit-def: $sgpr12_sgpr13
	s_cbranch_scc1 .LBB110_3
; %bb.2:
	s_clause 0x1
	s_load_dword s12, s[4:5], 0x20
	s_load_dwordx2 s[18:19], s[4:5], 0x18
	s_mul_i32 s13, s8, s7
	s_mul_hi_u32 s17, s8, s6
	s_mul_i32 s9, s9, s6
	s_add_i32 s13, s17, s13
	s_mul_i32 s8, s8, s6
	s_add_i32 s9, s13, s9
	s_lshl_b64 s[8:9], s[8:9], 2
	s_waitcnt lgkmcnt(0)
	s_ashr_i32 s13, s12, 31
	s_add_u32 s17, s18, s8
	s_addc_u32 s18, s19, s9
	s_lshl_b64 s[8:9], s[12:13], 2
	s_add_u32 s12, s17, s8
	s_addc_u32 s13, s18, s9
.LBB110_3:
	s_clause 0x1
	s_load_dwordx2 s[8:9], s[4:5], 0x8
	s_load_dword s17, s[4:5], 0x38
	v_lshlrev_b32_e32 v3, 3, v0
	s_waitcnt lgkmcnt(0)
	s_ashr_i32 s5, s8, 31
	s_mov_b32 s4, s8
	v_add3_u32 v4, s9, s9, v0
	s_lshl_b64 s[4:5], s[4:5], 3
	s_add_u32 s4, s14, s4
	s_addc_u32 s5, s15, s5
	v_add_co_u32 v9, s8, s4, v3
	v_add_co_ci_u32_e64 v10, null, s5, 0, s8
	s_mov_b32 s14, s9
	s_ashr_i32 s15, s9, 31
	v_ashrrev_i32_e32 v5, 31, v4
	flat_load_dwordx2 v[1:2], v[9:10]
	s_lshl_b64 s[14:15], s[14:15], 3
	s_bitcmp0_b32 s17, 0
	v_add_co_u32 v11, vcc_lo, v9, s14
	v_add_co_ci_u32_e64 v12, null, s15, v10, vcc_lo
	v_lshlrev_b64 v[5:6], 3, v[4:5]
	v_add_nc_u32_e32 v4, s9, v4
	s_waitcnt vmcnt(0) lgkmcnt(0)
	buffer_store_dword v2, off, s[0:3], 0 offset:4
	buffer_store_dword v1, off, s[0:3], 0
	flat_load_dwordx2 v[1:2], v[11:12]
	v_add_co_u32 v13, vcc_lo, s4, v5
	v_add_co_ci_u32_e64 v14, null, s5, v6, vcc_lo
	v_ashrrev_i32_e32 v5, 31, v4
	s_waitcnt vmcnt(0) lgkmcnt(0)
	buffer_store_dword v2, off, s[0:3], 0 offset:12
	buffer_store_dword v1, off, s[0:3], 0 offset:8
	flat_load_dwordx2 v[1:2], v[13:14]
	v_lshlrev_b64 v[5:6], 3, v[4:5]
	v_add_nc_u32_e32 v4, s9, v4
	s_waitcnt vmcnt(0) lgkmcnt(0)
	buffer_store_dword v2, off, s[0:3], 0 offset:20
	buffer_store_dword v1, off, s[0:3], 0 offset:16
	v_add_co_u32 v15, vcc_lo, s4, v5
	v_add_co_ci_u32_e64 v16, null, s5, v6, vcc_lo
	v_ashrrev_i32_e32 v5, 31, v4
	flat_load_dwordx2 v[1:2], v[15:16]
	s_waitcnt vmcnt(0) lgkmcnt(0)
	buffer_store_dword v2, off, s[0:3], 0 offset:28
	buffer_store_dword v1, off, s[0:3], 0 offset:24
	v_lshlrev_b64 v[5:6], 3, v[4:5]
	v_add_nc_u32_e32 v4, s9, v4
	v_add_co_u32 v17, vcc_lo, s4, v5
	v_add_co_ci_u32_e64 v18, null, s5, v6, vcc_lo
	v_ashrrev_i32_e32 v5, 31, v4
	flat_load_dwordx2 v[1:2], v[17:18]
	s_waitcnt vmcnt(0) lgkmcnt(0)
	buffer_store_dword v2, off, s[0:3], 0 offset:36
	buffer_store_dword v1, off, s[0:3], 0 offset:32
	v_lshlrev_b64 v[5:6], 3, v[4:5]
	v_add_nc_u32_e32 v4, s9, v4
	;; [unrolled: 9-line block ×42, first 2 shown]
	v_add_co_u32 v99, vcc_lo, s4, v5
	v_add_co_ci_u32_e64 v100, null, s5, v6, vcc_lo
	v_ashrrev_i32_e32 v5, 31, v4
	flat_load_dwordx2 v[1:2], v[99:100]
	s_waitcnt vmcnt(0) lgkmcnt(0)
	buffer_store_dword v2, off, s[0:3], 0 offset:364
	buffer_store_dword v1, off, s[0:3], 0 offset:360
	v_lshlrev_b64 v[4:5], 3, v[4:5]
	v_add_co_u32 v101, vcc_lo, s4, v4
	v_add_co_ci_u32_e64 v102, null, s5, v5, vcc_lo
	s_mov_b32 s5, -1
	flat_load_dwordx2 v[1:2], v[101:102]
	s_waitcnt vmcnt(0) lgkmcnt(0)
	buffer_store_dword v2, off, s[0:3], 0 offset:372
	buffer_store_dword v1, off, s[0:3], 0 offset:368
	s_cbranch_scc1 .LBB110_200
; %bb.4:
	v_cmp_eq_u32_e64 s4, 0, v0
	s_and_saveexec_b32 s5, s4
; %bb.5:
	v_mov_b32_e32 v1, 0
	ds_write_b32 v1, v1 offset:376
; %bb.6:
	s_or_b32 exec_lo, exec_lo, s5
	v_lshl_add_u32 v5, v0, 3, 0
	s_waitcnt lgkmcnt(0)
	s_waitcnt_vscnt null, 0x0
	s_barrier
	buffer_gl0_inv
	s_clause 0x1
	buffer_load_dword v1, v5, s[0:3], 0 offen
	buffer_load_dword v2, v5, s[0:3], 0 offen offset:4
	s_waitcnt vmcnt(1)
	v_cmp_eq_f32_e32 vcc_lo, 0, v1
	s_waitcnt vmcnt(0)
	v_cmp_eq_f32_e64 s5, 0, v2
	s_and_b32 s5, vcc_lo, s5
	s_and_saveexec_b32 s8, s5
	s_cbranch_execz .LBB110_10
; %bb.7:
	v_mov_b32_e32 v1, 0
	s_mov_b32 s9, 0
	ds_read_b32 v2, v1 offset:376
	s_waitcnt lgkmcnt(0)
	v_readfirstlane_b32 s5, v2
	v_add_nc_u32_e32 v2, 1, v0
	s_cmp_eq_u32 s5, 0
	v_cmp_gt_i32_e32 vcc_lo, s5, v2
	s_cselect_b32 s14, -1, 0
	s_or_b32 s14, s14, vcc_lo
	s_and_b32 exec_lo, exec_lo, s14
	s_cbranch_execz .LBB110_10
; %bb.8:
	v_mov_b32_e32 v4, s5
.LBB110_9:                              ; =>This Inner Loop Header: Depth=1
	ds_cmpst_rtn_b32 v4, v1, v4, v2 offset:376
	s_waitcnt lgkmcnt(0)
	v_cmp_ne_u32_e32 vcc_lo, 0, v4
	v_cmp_le_i32_e64 s5, v4, v2
	s_and_b32 s5, vcc_lo, s5
	s_and_b32 s5, exec_lo, s5
	s_or_b32 s9, s5, s9
	s_andn2_b32 exec_lo, exec_lo, s9
	s_cbranch_execnz .LBB110_9
.LBB110_10:
	s_or_b32 exec_lo, exec_lo, s8
	v_mov_b32_e32 v1, 0
	s_barrier
	buffer_gl0_inv
	ds_read_b32 v2, v1 offset:376
	s_and_saveexec_b32 s5, s4
	s_cbranch_execz .LBB110_12
; %bb.11:
	s_lshl_b64 s[8:9], s[6:7], 2
	s_add_u32 s8, s10, s8
	s_addc_u32 s9, s11, s9
	s_waitcnt lgkmcnt(0)
	global_store_dword v1, v2, s[8:9]
.LBB110_12:
	s_or_b32 exec_lo, exec_lo, s5
	s_waitcnt lgkmcnt(0)
	v_cmp_ne_u32_e32 vcc_lo, 0, v2
	s_mov_b32 s5, 0
	s_cbranch_vccnz .LBB110_200
; %bb.13:
	s_clause 0x1
	buffer_load_dword v2, v5, s[0:3], 0 offen
	buffer_load_dword v4, v5, s[0:3], 0 offen offset:4
                                        ; implicit-def: $vgpr7
                                        ; implicit-def: $vgpr6
                                        ; implicit-def: $vgpr1
	s_waitcnt vmcnt(0)
	v_cmp_ngt_f32_e64 s5, |v2|, |v4|
	s_and_saveexec_b32 s8, s5
	s_xor_b32 s5, exec_lo, s8
	s_cbranch_execz .LBB110_15
; %bb.14:
	v_div_scale_f32 v1, null, v4, v4, v2
	v_div_scale_f32 v8, vcc_lo, v2, v4, v2
	v_rcp_f32_e32 v6, v1
	v_fma_f32 v7, -v1, v6, 1.0
	v_fmac_f32_e32 v6, v7, v6
	v_mul_f32_e32 v7, v8, v6
	v_fma_f32 v103, -v1, v7, v8
	v_fmac_f32_e32 v7, v103, v6
	v_fma_f32 v1, -v1, v7, v8
	v_div_fmas_f32 v1, v1, v6, v7
	v_div_fixup_f32 v1, v1, v4, v2
	v_fmac_f32_e32 v4, v2, v1
	v_div_scale_f32 v2, null, v4, v4, 1.0
	v_rcp_f32_e32 v6, v2
	v_fma_f32 v7, -v2, v6, 1.0
	v_fmac_f32_e32 v6, v7, v6
	v_div_scale_f32 v7, vcc_lo, 1.0, v4, 1.0
	v_mul_f32_e32 v8, v7, v6
	v_fma_f32 v103, -v2, v8, v7
	v_fmac_f32_e32 v8, v103, v6
	v_fma_f32 v2, -v2, v8, v7
	v_div_fmas_f32 v2, v2, v6, v8
	v_div_fixup_f32 v2, v2, v4, 1.0
                                        ; implicit-def: $vgpr4
	v_mul_f32_e32 v7, v1, v2
	v_xor_b32_e32 v6, 0x80000000, v2
                                        ; implicit-def: $vgpr2
	v_xor_b32_e32 v1, 0x80000000, v7
.LBB110_15:
	s_andn2_saveexec_b32 s5, s5
	s_cbranch_execz .LBB110_17
; %bb.16:
	v_div_scale_f32 v1, null, v2, v2, v4
	v_div_scale_f32 v8, vcc_lo, v4, v2, v4
	v_rcp_f32_e32 v6, v1
	v_fma_f32 v7, -v1, v6, 1.0
	v_fmac_f32_e32 v6, v7, v6
	v_mul_f32_e32 v7, v8, v6
	v_fma_f32 v103, -v1, v7, v8
	v_fmac_f32_e32 v7, v103, v6
	v_fma_f32 v1, -v1, v7, v8
	v_div_fmas_f32 v1, v1, v6, v7
	v_div_fixup_f32 v6, v1, v2, v4
	v_fmac_f32_e32 v2, v4, v6
	v_div_scale_f32 v1, null, v2, v2, 1.0
	v_div_scale_f32 v8, vcc_lo, 1.0, v2, 1.0
	v_rcp_f32_e32 v4, v1
	v_fma_f32 v7, -v1, v4, 1.0
	v_fmac_f32_e32 v4, v7, v4
	v_mul_f32_e32 v7, v8, v4
	v_fma_f32 v103, -v1, v7, v8
	v_fmac_f32_e32 v7, v103, v4
	v_fma_f32 v1, -v1, v7, v8
	v_div_fmas_f32 v1, v1, v4, v7
	v_div_fixup_f32 v7, v1, v2, 1.0
	v_xor_b32_e32 v1, 0x80000000, v7
	v_mul_f32_e64 v6, v6, -v7
.LBB110_17:
	s_or_b32 exec_lo, exec_lo, s5
	buffer_store_dword v7, v5, s[0:3], 0 offen
	buffer_store_dword v6, v5, s[0:3], 0 offen offset:4
	s_clause 0x1
	buffer_load_dword v8, off, s[0:3], 0 offset:12
	buffer_load_dword v7, off, s[0:3], 0 offset:8
	v_xor_b32_e32 v2, 0x80000000, v6
	v_add_nc_u32_e32 v4, 0x180, v3
	s_waitcnt vmcnt(0)
	ds_write2_b64 v3, v[1:2], v[7:8] offset1:48
	s_waitcnt lgkmcnt(0)
	s_waitcnt_vscnt null, 0x0
	s_barrier
	buffer_gl0_inv
	s_and_saveexec_b32 s5, s4
	s_cbranch_execz .LBB110_19
; %bb.18:
	s_clause 0x1
	buffer_load_dword v8, v5, s[0:3], 0 offen offset:4
	buffer_load_dword v103, v5, s[0:3], 0 offen
	ds_read_b64 v[1:2], v4
	v_mov_b32_e32 v6, 0
	ds_read_b64 v[6:7], v6 offset:8
	s_waitcnt vmcnt(1) lgkmcnt(1)
	v_mul_f32_e32 v104, v1, v8
	v_mul_f32_e32 v8, v2, v8
	s_waitcnt vmcnt(0)
	v_fmac_f32_e32 v104, v2, v103
	v_fma_f32 v1, v1, v103, -v8
	v_add_f32_e32 v2, 0, v104
	v_add_f32_e32 v1, 0, v1
	s_waitcnt lgkmcnt(0)
	v_mul_f32_e32 v8, v2, v7
	v_mul_f32_e32 v7, v1, v7
	v_fma_f32 v1, v1, v6, -v8
	v_fmac_f32_e32 v7, v2, v6
	buffer_store_dword v1, off, s[0:3], 0 offset:8
	buffer_store_dword v7, off, s[0:3], 0 offset:12
.LBB110_19:
	s_or_b32 exec_lo, exec_lo, s5
	s_waitcnt_vscnt null, 0x0
	s_barrier
	buffer_gl0_inv
	s_clause 0x1
	buffer_load_dword v1, off, s[0:3], 0 offset:16
	buffer_load_dword v2, off, s[0:3], 0 offset:20
	s_mov_b32 s5, exec_lo
	s_waitcnt vmcnt(0)
	ds_write_b64 v4, v[1:2]
	s_waitcnt lgkmcnt(0)
	s_barrier
	buffer_gl0_inv
	v_cmpx_gt_u32_e32 2, v0
	s_cbranch_execz .LBB110_23
; %bb.20:
	s_clause 0x1
	buffer_load_dword v6, v5, s[0:3], 0 offen offset:4
	buffer_load_dword v5, v5, s[0:3], 0 offen
	ds_read_b64 v[1:2], v4
	s_waitcnt vmcnt(1) lgkmcnt(0)
	v_mul_f32_e32 v7, v2, v6
	v_mul_f32_e32 v6, v1, v6
	s_waitcnt vmcnt(0)
	v_fma_f32 v1, v1, v5, -v7
	v_fmac_f32_e32 v6, v2, v5
	v_add_f32_e32 v2, 0, v1
	v_add_f32_e32 v1, 0, v6
	s_and_saveexec_b32 s8, s4
	s_cbranch_execz .LBB110_22
; %bb.21:
	s_clause 0x1
	buffer_load_dword v7, off, s[0:3], 0 offset:12
	buffer_load_dword v8, off, s[0:3], 0 offset:8
	v_mov_b32_e32 v5, 0
	ds_read_b64 v[5:6], v5 offset:392
	s_waitcnt vmcnt(1) lgkmcnt(0)
	v_mul_f32_e32 v103, v5, v7
	v_mul_f32_e32 v7, v6, v7
	s_waitcnt vmcnt(0)
	v_fmac_f32_e32 v103, v6, v8
	v_fma_f32 v5, v5, v8, -v7
	v_add_f32_e32 v1, v1, v103
	v_add_f32_e32 v2, v2, v5
.LBB110_22:
	s_or_b32 exec_lo, exec_lo, s8
	v_mov_b32_e32 v5, 0
	ds_read_b64 v[5:6], v5 offset:16
	s_waitcnt lgkmcnt(0)
	v_mul_f32_e32 v7, v1, v6
	v_mul_f32_e32 v6, v2, v6
	v_fma_f32 v2, v2, v5, -v7
	v_fmac_f32_e32 v6, v1, v5
	buffer_store_dword v2, off, s[0:3], 0 offset:16
	buffer_store_dword v6, off, s[0:3], 0 offset:20
.LBB110_23:
	s_or_b32 exec_lo, exec_lo, s5
	s_waitcnt_vscnt null, 0x0
	s_barrier
	buffer_gl0_inv
	s_clause 0x1
	buffer_load_dword v5, off, s[0:3], 0 offset:24
	buffer_load_dword v6, off, s[0:3], 0 offset:28
	v_add_nc_u32_e32 v1, -1, v0
	s_mov_b32 s4, exec_lo
	s_waitcnt vmcnt(0)
	ds_write_b64 v4, v[5:6]
	s_waitcnt lgkmcnt(0)
	s_barrier
	buffer_gl0_inv
	v_cmpx_gt_u32_e32 3, v0
	s_cbranch_execz .LBB110_27
; %bb.24:
	v_add_nc_u32_e32 v5, -1, v0
	v_add_nc_u32_e32 v6, 0x180, v3
	v_mov_b32_e32 v7, v3
	v_mov_b32_e32 v2, 0
	;; [unrolled: 1-line block ×3, first 2 shown]
	s_mov_b32 s5, 0
	.p2align	6
.LBB110_25:                             ; =>This Inner Loop Header: Depth=1
	s_clause 0x1
	buffer_load_dword v105, v7, s[0:3], 0 offen offset:4
	buffer_load_dword v106, v7, s[0:3], 0 offen
	ds_read_b64 v[103:104], v6
	v_add_nc_u32_e32 v5, 1, v5
	v_add_nc_u32_e32 v6, 8, v6
	;; [unrolled: 1-line block ×3, first 2 shown]
	v_cmp_lt_u32_e32 vcc_lo, 1, v5
	s_or_b32 s5, vcc_lo, s5
	s_waitcnt vmcnt(1) lgkmcnt(0)
	v_mul_f32_e32 v107, v104, v105
	v_mul_f32_e32 v105, v103, v105
	s_waitcnt vmcnt(0)
	v_fma_f32 v103, v103, v106, -v107
	v_fmac_f32_e32 v105, v104, v106
	v_add_f32_e32 v8, v8, v103
	v_add_f32_e32 v2, v2, v105
	s_andn2_b32 exec_lo, exec_lo, s5
	s_cbranch_execnz .LBB110_25
; %bb.26:
	s_or_b32 exec_lo, exec_lo, s5
	v_mov_b32_e32 v5, 0
	ds_read_b64 v[5:6], v5 offset:24
	s_waitcnt lgkmcnt(0)
	v_mul_f32_e32 v7, v2, v6
	v_mul_f32_e32 v6, v8, v6
	v_fma_f32 v7, v8, v5, -v7
	v_fmac_f32_e32 v6, v2, v5
	buffer_store_dword v7, off, s[0:3], 0 offset:24
	buffer_store_dword v6, off, s[0:3], 0 offset:28
.LBB110_27:
	s_or_b32 exec_lo, exec_lo, s4
	s_waitcnt_vscnt null, 0x0
	s_barrier
	buffer_gl0_inv
	s_clause 0x1
	buffer_load_dword v5, off, s[0:3], 0 offset:32
	buffer_load_dword v6, off, s[0:3], 0 offset:36
	s_mov_b32 s4, exec_lo
	s_waitcnt vmcnt(0)
	ds_write_b64 v4, v[5:6]
	s_waitcnt lgkmcnt(0)
	s_barrier
	buffer_gl0_inv
	v_cmpx_gt_u32_e32 4, v0
	s_cbranch_execz .LBB110_31
; %bb.28:
	v_add_nc_u32_e32 v5, -1, v0
	v_add_nc_u32_e32 v6, 0x180, v3
	v_mov_b32_e32 v7, v3
	v_mov_b32_e32 v2, 0
	;; [unrolled: 1-line block ×3, first 2 shown]
	s_mov_b32 s5, 0
	.p2align	6
.LBB110_29:                             ; =>This Inner Loop Header: Depth=1
	s_clause 0x1
	buffer_load_dword v105, v7, s[0:3], 0 offen offset:4
	buffer_load_dword v106, v7, s[0:3], 0 offen
	ds_read_b64 v[103:104], v6
	v_add_nc_u32_e32 v5, 1, v5
	v_add_nc_u32_e32 v6, 8, v6
	;; [unrolled: 1-line block ×3, first 2 shown]
	v_cmp_lt_u32_e32 vcc_lo, 2, v5
	s_or_b32 s5, vcc_lo, s5
	s_waitcnt vmcnt(1) lgkmcnt(0)
	v_mul_f32_e32 v107, v104, v105
	v_mul_f32_e32 v105, v103, v105
	s_waitcnt vmcnt(0)
	v_fma_f32 v103, v103, v106, -v107
	v_fmac_f32_e32 v105, v104, v106
	v_add_f32_e32 v8, v8, v103
	v_add_f32_e32 v2, v2, v105
	s_andn2_b32 exec_lo, exec_lo, s5
	s_cbranch_execnz .LBB110_29
; %bb.30:
	s_or_b32 exec_lo, exec_lo, s5
	v_mov_b32_e32 v5, 0
	ds_read_b64 v[5:6], v5 offset:32
	s_waitcnt lgkmcnt(0)
	v_mul_f32_e32 v7, v2, v6
	v_mul_f32_e32 v6, v8, v6
	v_fma_f32 v7, v8, v5, -v7
	v_fmac_f32_e32 v6, v2, v5
	buffer_store_dword v7, off, s[0:3], 0 offset:32
	buffer_store_dword v6, off, s[0:3], 0 offset:36
.LBB110_31:
	s_or_b32 exec_lo, exec_lo, s4
	s_waitcnt_vscnt null, 0x0
	s_barrier
	buffer_gl0_inv
	s_clause 0x1
	buffer_load_dword v5, off, s[0:3], 0 offset:40
	buffer_load_dword v6, off, s[0:3], 0 offset:44
	s_mov_b32 s4, exec_lo
	s_waitcnt vmcnt(0)
	ds_write_b64 v4, v[5:6]
	s_waitcnt lgkmcnt(0)
	s_barrier
	buffer_gl0_inv
	v_cmpx_gt_u32_e32 5, v0
	s_cbranch_execz .LBB110_35
; %bb.32:
	v_add_nc_u32_e32 v5, -1, v0
	v_add_nc_u32_e32 v6, 0x180, v3
	v_mov_b32_e32 v7, v3
	v_mov_b32_e32 v2, 0
	v_mov_b32_e32 v8, 0
	s_mov_b32 s5, 0
	.p2align	6
.LBB110_33:                             ; =>This Inner Loop Header: Depth=1
	s_clause 0x1
	buffer_load_dword v105, v7, s[0:3], 0 offen offset:4
	buffer_load_dword v106, v7, s[0:3], 0 offen
	ds_read_b64 v[103:104], v6
	v_add_nc_u32_e32 v5, 1, v5
	v_add_nc_u32_e32 v6, 8, v6
	;; [unrolled: 1-line block ×3, first 2 shown]
	v_cmp_lt_u32_e32 vcc_lo, 3, v5
	s_or_b32 s5, vcc_lo, s5
	s_waitcnt vmcnt(1) lgkmcnt(0)
	v_mul_f32_e32 v107, v104, v105
	v_mul_f32_e32 v105, v103, v105
	s_waitcnt vmcnt(0)
	v_fma_f32 v103, v103, v106, -v107
	v_fmac_f32_e32 v105, v104, v106
	v_add_f32_e32 v8, v8, v103
	v_add_f32_e32 v2, v2, v105
	s_andn2_b32 exec_lo, exec_lo, s5
	s_cbranch_execnz .LBB110_33
; %bb.34:
	s_or_b32 exec_lo, exec_lo, s5
	v_mov_b32_e32 v5, 0
	ds_read_b64 v[5:6], v5 offset:40
	s_waitcnt lgkmcnt(0)
	v_mul_f32_e32 v7, v2, v6
	v_mul_f32_e32 v6, v8, v6
	v_fma_f32 v7, v8, v5, -v7
	v_fmac_f32_e32 v6, v2, v5
	buffer_store_dword v7, off, s[0:3], 0 offset:40
	buffer_store_dword v6, off, s[0:3], 0 offset:44
.LBB110_35:
	s_or_b32 exec_lo, exec_lo, s4
	s_waitcnt_vscnt null, 0x0
	s_barrier
	buffer_gl0_inv
	s_clause 0x1
	buffer_load_dword v5, off, s[0:3], 0 offset:48
	buffer_load_dword v6, off, s[0:3], 0 offset:52
	s_mov_b32 s4, exec_lo
	s_waitcnt vmcnt(0)
	ds_write_b64 v4, v[5:6]
	s_waitcnt lgkmcnt(0)
	s_barrier
	buffer_gl0_inv
	v_cmpx_gt_u32_e32 6, v0
	s_cbranch_execz .LBB110_39
; %bb.36:
	v_add_nc_u32_e32 v5, -1, v0
	v_add_nc_u32_e32 v6, 0x180, v3
	v_mov_b32_e32 v7, v3
	v_mov_b32_e32 v2, 0
	;; [unrolled: 1-line block ×3, first 2 shown]
	s_mov_b32 s5, 0
	.p2align	6
.LBB110_37:                             ; =>This Inner Loop Header: Depth=1
	s_clause 0x1
	buffer_load_dword v105, v7, s[0:3], 0 offen offset:4
	buffer_load_dword v106, v7, s[0:3], 0 offen
	ds_read_b64 v[103:104], v6
	v_add_nc_u32_e32 v5, 1, v5
	v_add_nc_u32_e32 v6, 8, v6
	;; [unrolled: 1-line block ×3, first 2 shown]
	v_cmp_lt_u32_e32 vcc_lo, 4, v5
	s_or_b32 s5, vcc_lo, s5
	s_waitcnt vmcnt(1) lgkmcnt(0)
	v_mul_f32_e32 v107, v104, v105
	v_mul_f32_e32 v105, v103, v105
	s_waitcnt vmcnt(0)
	v_fma_f32 v103, v103, v106, -v107
	v_fmac_f32_e32 v105, v104, v106
	v_add_f32_e32 v8, v8, v103
	v_add_f32_e32 v2, v2, v105
	s_andn2_b32 exec_lo, exec_lo, s5
	s_cbranch_execnz .LBB110_37
; %bb.38:
	s_or_b32 exec_lo, exec_lo, s5
	v_mov_b32_e32 v5, 0
	ds_read_b64 v[5:6], v5 offset:48
	s_waitcnt lgkmcnt(0)
	v_mul_f32_e32 v7, v2, v6
	v_mul_f32_e32 v6, v8, v6
	v_fma_f32 v7, v8, v5, -v7
	v_fmac_f32_e32 v6, v2, v5
	buffer_store_dword v7, off, s[0:3], 0 offset:48
	buffer_store_dword v6, off, s[0:3], 0 offset:52
.LBB110_39:
	s_or_b32 exec_lo, exec_lo, s4
	s_waitcnt_vscnt null, 0x0
	s_barrier
	buffer_gl0_inv
	s_clause 0x1
	buffer_load_dword v5, off, s[0:3], 0 offset:56
	buffer_load_dword v6, off, s[0:3], 0 offset:60
	s_mov_b32 s4, exec_lo
	s_waitcnt vmcnt(0)
	ds_write_b64 v4, v[5:6]
	s_waitcnt lgkmcnt(0)
	s_barrier
	buffer_gl0_inv
	v_cmpx_gt_u32_e32 7, v0
	s_cbranch_execz .LBB110_43
; %bb.40:
	v_add_nc_u32_e32 v5, -1, v0
	v_add_nc_u32_e32 v6, 0x180, v3
	v_mov_b32_e32 v7, v3
	v_mov_b32_e32 v2, 0
	;; [unrolled: 1-line block ×3, first 2 shown]
	s_mov_b32 s5, 0
	.p2align	6
.LBB110_41:                             ; =>This Inner Loop Header: Depth=1
	s_clause 0x1
	buffer_load_dword v105, v7, s[0:3], 0 offen offset:4
	buffer_load_dword v106, v7, s[0:3], 0 offen
	ds_read_b64 v[103:104], v6
	v_add_nc_u32_e32 v5, 1, v5
	v_add_nc_u32_e32 v6, 8, v6
	;; [unrolled: 1-line block ×3, first 2 shown]
	v_cmp_lt_u32_e32 vcc_lo, 5, v5
	s_or_b32 s5, vcc_lo, s5
	s_waitcnt vmcnt(1) lgkmcnt(0)
	v_mul_f32_e32 v107, v104, v105
	v_mul_f32_e32 v105, v103, v105
	s_waitcnt vmcnt(0)
	v_fma_f32 v103, v103, v106, -v107
	v_fmac_f32_e32 v105, v104, v106
	v_add_f32_e32 v8, v8, v103
	v_add_f32_e32 v2, v2, v105
	s_andn2_b32 exec_lo, exec_lo, s5
	s_cbranch_execnz .LBB110_41
; %bb.42:
	s_or_b32 exec_lo, exec_lo, s5
	v_mov_b32_e32 v5, 0
	ds_read_b64 v[5:6], v5 offset:56
	s_waitcnt lgkmcnt(0)
	v_mul_f32_e32 v7, v2, v6
	v_mul_f32_e32 v6, v8, v6
	v_fma_f32 v7, v8, v5, -v7
	v_fmac_f32_e32 v6, v2, v5
	buffer_store_dword v7, off, s[0:3], 0 offset:56
	buffer_store_dword v6, off, s[0:3], 0 offset:60
.LBB110_43:
	s_or_b32 exec_lo, exec_lo, s4
	s_waitcnt_vscnt null, 0x0
	s_barrier
	buffer_gl0_inv
	s_clause 0x1
	buffer_load_dword v5, off, s[0:3], 0 offset:64
	buffer_load_dword v6, off, s[0:3], 0 offset:68
	s_mov_b32 s4, exec_lo
	s_waitcnt vmcnt(0)
	ds_write_b64 v4, v[5:6]
	s_waitcnt lgkmcnt(0)
	s_barrier
	buffer_gl0_inv
	v_cmpx_gt_u32_e32 8, v0
	s_cbranch_execz .LBB110_47
; %bb.44:
	v_add_nc_u32_e32 v5, -1, v0
	v_add_nc_u32_e32 v6, 0x180, v3
	v_mov_b32_e32 v7, v3
	v_mov_b32_e32 v2, 0
	;; [unrolled: 1-line block ×3, first 2 shown]
	s_mov_b32 s5, 0
	.p2align	6
.LBB110_45:                             ; =>This Inner Loop Header: Depth=1
	s_clause 0x1
	buffer_load_dword v105, v7, s[0:3], 0 offen offset:4
	buffer_load_dword v106, v7, s[0:3], 0 offen
	ds_read_b64 v[103:104], v6
	v_add_nc_u32_e32 v5, 1, v5
	v_add_nc_u32_e32 v6, 8, v6
	;; [unrolled: 1-line block ×3, first 2 shown]
	v_cmp_lt_u32_e32 vcc_lo, 6, v5
	s_or_b32 s5, vcc_lo, s5
	s_waitcnt vmcnt(1) lgkmcnt(0)
	v_mul_f32_e32 v107, v104, v105
	v_mul_f32_e32 v105, v103, v105
	s_waitcnt vmcnt(0)
	v_fma_f32 v103, v103, v106, -v107
	v_fmac_f32_e32 v105, v104, v106
	v_add_f32_e32 v8, v8, v103
	v_add_f32_e32 v2, v2, v105
	s_andn2_b32 exec_lo, exec_lo, s5
	s_cbranch_execnz .LBB110_45
; %bb.46:
	s_or_b32 exec_lo, exec_lo, s5
	v_mov_b32_e32 v5, 0
	ds_read_b64 v[5:6], v5 offset:64
	s_waitcnt lgkmcnt(0)
	v_mul_f32_e32 v7, v2, v6
	v_mul_f32_e32 v6, v8, v6
	v_fma_f32 v7, v8, v5, -v7
	v_fmac_f32_e32 v6, v2, v5
	buffer_store_dword v7, off, s[0:3], 0 offset:64
	buffer_store_dword v6, off, s[0:3], 0 offset:68
.LBB110_47:
	s_or_b32 exec_lo, exec_lo, s4
	s_waitcnt_vscnt null, 0x0
	s_barrier
	buffer_gl0_inv
	s_clause 0x1
	buffer_load_dword v5, off, s[0:3], 0 offset:72
	buffer_load_dword v6, off, s[0:3], 0 offset:76
	s_mov_b32 s4, exec_lo
	s_waitcnt vmcnt(0)
	ds_write_b64 v4, v[5:6]
	s_waitcnt lgkmcnt(0)
	s_barrier
	buffer_gl0_inv
	v_cmpx_gt_u32_e32 9, v0
	s_cbranch_execz .LBB110_51
; %bb.48:
	v_add_nc_u32_e32 v5, -1, v0
	v_add_nc_u32_e32 v6, 0x180, v3
	v_mov_b32_e32 v7, v3
	v_mov_b32_e32 v2, 0
	;; [unrolled: 1-line block ×3, first 2 shown]
	s_mov_b32 s5, 0
	.p2align	6
.LBB110_49:                             ; =>This Inner Loop Header: Depth=1
	s_clause 0x1
	buffer_load_dword v105, v7, s[0:3], 0 offen offset:4
	buffer_load_dword v106, v7, s[0:3], 0 offen
	ds_read_b64 v[103:104], v6
	v_add_nc_u32_e32 v5, 1, v5
	v_add_nc_u32_e32 v6, 8, v6
	;; [unrolled: 1-line block ×3, first 2 shown]
	v_cmp_lt_u32_e32 vcc_lo, 7, v5
	s_or_b32 s5, vcc_lo, s5
	s_waitcnt vmcnt(1) lgkmcnt(0)
	v_mul_f32_e32 v107, v104, v105
	v_mul_f32_e32 v105, v103, v105
	s_waitcnt vmcnt(0)
	v_fma_f32 v103, v103, v106, -v107
	v_fmac_f32_e32 v105, v104, v106
	v_add_f32_e32 v8, v8, v103
	v_add_f32_e32 v2, v2, v105
	s_andn2_b32 exec_lo, exec_lo, s5
	s_cbranch_execnz .LBB110_49
; %bb.50:
	s_or_b32 exec_lo, exec_lo, s5
	v_mov_b32_e32 v5, 0
	ds_read_b64 v[5:6], v5 offset:72
	s_waitcnt lgkmcnt(0)
	v_mul_f32_e32 v7, v2, v6
	v_mul_f32_e32 v6, v8, v6
	v_fma_f32 v7, v8, v5, -v7
	v_fmac_f32_e32 v6, v2, v5
	buffer_store_dword v7, off, s[0:3], 0 offset:72
	buffer_store_dword v6, off, s[0:3], 0 offset:76
.LBB110_51:
	s_or_b32 exec_lo, exec_lo, s4
	s_waitcnt_vscnt null, 0x0
	s_barrier
	buffer_gl0_inv
	s_clause 0x1
	buffer_load_dword v5, off, s[0:3], 0 offset:80
	buffer_load_dword v6, off, s[0:3], 0 offset:84
	s_mov_b32 s4, exec_lo
	s_waitcnt vmcnt(0)
	ds_write_b64 v4, v[5:6]
	s_waitcnt lgkmcnt(0)
	s_barrier
	buffer_gl0_inv
	v_cmpx_gt_u32_e32 10, v0
	s_cbranch_execz .LBB110_55
; %bb.52:
	v_add_nc_u32_e32 v5, -1, v0
	v_add_nc_u32_e32 v6, 0x180, v3
	v_mov_b32_e32 v7, v3
	v_mov_b32_e32 v2, 0
	v_mov_b32_e32 v8, 0
	s_mov_b32 s5, 0
	.p2align	6
.LBB110_53:                             ; =>This Inner Loop Header: Depth=1
	s_clause 0x1
	buffer_load_dword v105, v7, s[0:3], 0 offen offset:4
	buffer_load_dword v106, v7, s[0:3], 0 offen
	ds_read_b64 v[103:104], v6
	v_add_nc_u32_e32 v5, 1, v5
	v_add_nc_u32_e32 v6, 8, v6
	;; [unrolled: 1-line block ×3, first 2 shown]
	v_cmp_lt_u32_e32 vcc_lo, 8, v5
	s_or_b32 s5, vcc_lo, s5
	s_waitcnt vmcnt(1) lgkmcnt(0)
	v_mul_f32_e32 v107, v104, v105
	v_mul_f32_e32 v105, v103, v105
	s_waitcnt vmcnt(0)
	v_fma_f32 v103, v103, v106, -v107
	v_fmac_f32_e32 v105, v104, v106
	v_add_f32_e32 v8, v8, v103
	v_add_f32_e32 v2, v2, v105
	s_andn2_b32 exec_lo, exec_lo, s5
	s_cbranch_execnz .LBB110_53
; %bb.54:
	s_or_b32 exec_lo, exec_lo, s5
	v_mov_b32_e32 v5, 0
	ds_read_b64 v[5:6], v5 offset:80
	s_waitcnt lgkmcnt(0)
	v_mul_f32_e32 v7, v2, v6
	v_mul_f32_e32 v6, v8, v6
	v_fma_f32 v7, v8, v5, -v7
	v_fmac_f32_e32 v6, v2, v5
	buffer_store_dword v7, off, s[0:3], 0 offset:80
	buffer_store_dword v6, off, s[0:3], 0 offset:84
.LBB110_55:
	s_or_b32 exec_lo, exec_lo, s4
	s_waitcnt_vscnt null, 0x0
	s_barrier
	buffer_gl0_inv
	s_clause 0x1
	buffer_load_dword v5, off, s[0:3], 0 offset:88
	buffer_load_dword v6, off, s[0:3], 0 offset:92
	s_mov_b32 s4, exec_lo
	s_waitcnt vmcnt(0)
	ds_write_b64 v4, v[5:6]
	s_waitcnt lgkmcnt(0)
	s_barrier
	buffer_gl0_inv
	v_cmpx_gt_u32_e32 11, v0
	s_cbranch_execz .LBB110_59
; %bb.56:
	v_add_nc_u32_e32 v5, -1, v0
	v_add_nc_u32_e32 v6, 0x180, v3
	v_mov_b32_e32 v7, v3
	v_mov_b32_e32 v2, 0
	;; [unrolled: 1-line block ×3, first 2 shown]
	s_mov_b32 s5, 0
	.p2align	6
.LBB110_57:                             ; =>This Inner Loop Header: Depth=1
	s_clause 0x1
	buffer_load_dword v105, v7, s[0:3], 0 offen offset:4
	buffer_load_dword v106, v7, s[0:3], 0 offen
	ds_read_b64 v[103:104], v6
	v_add_nc_u32_e32 v5, 1, v5
	v_add_nc_u32_e32 v6, 8, v6
	;; [unrolled: 1-line block ×3, first 2 shown]
	v_cmp_lt_u32_e32 vcc_lo, 9, v5
	s_or_b32 s5, vcc_lo, s5
	s_waitcnt vmcnt(1) lgkmcnt(0)
	v_mul_f32_e32 v107, v104, v105
	v_mul_f32_e32 v105, v103, v105
	s_waitcnt vmcnt(0)
	v_fma_f32 v103, v103, v106, -v107
	v_fmac_f32_e32 v105, v104, v106
	v_add_f32_e32 v8, v8, v103
	v_add_f32_e32 v2, v2, v105
	s_andn2_b32 exec_lo, exec_lo, s5
	s_cbranch_execnz .LBB110_57
; %bb.58:
	s_or_b32 exec_lo, exec_lo, s5
	v_mov_b32_e32 v5, 0
	ds_read_b64 v[5:6], v5 offset:88
	s_waitcnt lgkmcnt(0)
	v_mul_f32_e32 v7, v2, v6
	v_mul_f32_e32 v6, v8, v6
	v_fma_f32 v7, v8, v5, -v7
	v_fmac_f32_e32 v6, v2, v5
	buffer_store_dword v7, off, s[0:3], 0 offset:88
	buffer_store_dword v6, off, s[0:3], 0 offset:92
.LBB110_59:
	s_or_b32 exec_lo, exec_lo, s4
	s_waitcnt_vscnt null, 0x0
	s_barrier
	buffer_gl0_inv
	s_clause 0x1
	buffer_load_dword v5, off, s[0:3], 0 offset:96
	buffer_load_dword v6, off, s[0:3], 0 offset:100
	s_mov_b32 s4, exec_lo
	s_waitcnt vmcnt(0)
	ds_write_b64 v4, v[5:6]
	s_waitcnt lgkmcnt(0)
	s_barrier
	buffer_gl0_inv
	v_cmpx_gt_u32_e32 12, v0
	s_cbranch_execz .LBB110_63
; %bb.60:
	v_add_nc_u32_e32 v5, -1, v0
	v_add_nc_u32_e32 v6, 0x180, v3
	v_mov_b32_e32 v7, v3
	v_mov_b32_e32 v2, 0
	;; [unrolled: 1-line block ×3, first 2 shown]
	s_mov_b32 s5, 0
	.p2align	6
.LBB110_61:                             ; =>This Inner Loop Header: Depth=1
	s_clause 0x1
	buffer_load_dword v105, v7, s[0:3], 0 offen offset:4
	buffer_load_dword v106, v7, s[0:3], 0 offen
	ds_read_b64 v[103:104], v6
	v_add_nc_u32_e32 v5, 1, v5
	v_add_nc_u32_e32 v6, 8, v6
	;; [unrolled: 1-line block ×3, first 2 shown]
	v_cmp_lt_u32_e32 vcc_lo, 10, v5
	s_or_b32 s5, vcc_lo, s5
	s_waitcnt vmcnt(1) lgkmcnt(0)
	v_mul_f32_e32 v107, v104, v105
	v_mul_f32_e32 v105, v103, v105
	s_waitcnt vmcnt(0)
	v_fma_f32 v103, v103, v106, -v107
	v_fmac_f32_e32 v105, v104, v106
	v_add_f32_e32 v8, v8, v103
	v_add_f32_e32 v2, v2, v105
	s_andn2_b32 exec_lo, exec_lo, s5
	s_cbranch_execnz .LBB110_61
; %bb.62:
	s_or_b32 exec_lo, exec_lo, s5
	v_mov_b32_e32 v5, 0
	ds_read_b64 v[5:6], v5 offset:96
	s_waitcnt lgkmcnt(0)
	v_mul_f32_e32 v7, v2, v6
	v_mul_f32_e32 v6, v8, v6
	v_fma_f32 v7, v8, v5, -v7
	v_fmac_f32_e32 v6, v2, v5
	buffer_store_dword v7, off, s[0:3], 0 offset:96
	buffer_store_dword v6, off, s[0:3], 0 offset:100
.LBB110_63:
	s_or_b32 exec_lo, exec_lo, s4
	s_waitcnt_vscnt null, 0x0
	s_barrier
	buffer_gl0_inv
	s_clause 0x1
	buffer_load_dword v5, off, s[0:3], 0 offset:104
	buffer_load_dword v6, off, s[0:3], 0 offset:108
	s_mov_b32 s4, exec_lo
	s_waitcnt vmcnt(0)
	ds_write_b64 v4, v[5:6]
	s_waitcnt lgkmcnt(0)
	s_barrier
	buffer_gl0_inv
	v_cmpx_gt_u32_e32 13, v0
	s_cbranch_execz .LBB110_67
; %bb.64:
	v_add_nc_u32_e32 v5, -1, v0
	v_add_nc_u32_e32 v6, 0x180, v3
	v_mov_b32_e32 v7, v3
	v_mov_b32_e32 v2, 0
	;; [unrolled: 1-line block ×3, first 2 shown]
	s_mov_b32 s5, 0
	.p2align	6
.LBB110_65:                             ; =>This Inner Loop Header: Depth=1
	s_clause 0x1
	buffer_load_dword v105, v7, s[0:3], 0 offen offset:4
	buffer_load_dword v106, v7, s[0:3], 0 offen
	ds_read_b64 v[103:104], v6
	v_add_nc_u32_e32 v5, 1, v5
	v_add_nc_u32_e32 v6, 8, v6
	v_add_nc_u32_e32 v7, 8, v7
	v_cmp_lt_u32_e32 vcc_lo, 11, v5
	s_or_b32 s5, vcc_lo, s5
	s_waitcnt vmcnt(1) lgkmcnt(0)
	v_mul_f32_e32 v107, v104, v105
	v_mul_f32_e32 v105, v103, v105
	s_waitcnt vmcnt(0)
	v_fma_f32 v103, v103, v106, -v107
	v_fmac_f32_e32 v105, v104, v106
	v_add_f32_e32 v8, v8, v103
	v_add_f32_e32 v2, v2, v105
	s_andn2_b32 exec_lo, exec_lo, s5
	s_cbranch_execnz .LBB110_65
; %bb.66:
	s_or_b32 exec_lo, exec_lo, s5
	v_mov_b32_e32 v5, 0
	ds_read_b64 v[5:6], v5 offset:104
	s_waitcnt lgkmcnt(0)
	v_mul_f32_e32 v7, v2, v6
	v_mul_f32_e32 v6, v8, v6
	v_fma_f32 v7, v8, v5, -v7
	v_fmac_f32_e32 v6, v2, v5
	buffer_store_dword v7, off, s[0:3], 0 offset:104
	buffer_store_dword v6, off, s[0:3], 0 offset:108
.LBB110_67:
	s_or_b32 exec_lo, exec_lo, s4
	s_waitcnt_vscnt null, 0x0
	s_barrier
	buffer_gl0_inv
	s_clause 0x1
	buffer_load_dword v5, off, s[0:3], 0 offset:112
	buffer_load_dword v6, off, s[0:3], 0 offset:116
	s_mov_b32 s4, exec_lo
	s_waitcnt vmcnt(0)
	ds_write_b64 v4, v[5:6]
	s_waitcnt lgkmcnt(0)
	s_barrier
	buffer_gl0_inv
	v_cmpx_gt_u32_e32 14, v0
	s_cbranch_execz .LBB110_71
; %bb.68:
	v_add_nc_u32_e32 v5, -1, v0
	v_add_nc_u32_e32 v6, 0x180, v3
	v_mov_b32_e32 v7, v3
	v_mov_b32_e32 v2, 0
	;; [unrolled: 1-line block ×3, first 2 shown]
	s_mov_b32 s5, 0
	.p2align	6
.LBB110_69:                             ; =>This Inner Loop Header: Depth=1
	s_clause 0x1
	buffer_load_dword v105, v7, s[0:3], 0 offen offset:4
	buffer_load_dword v106, v7, s[0:3], 0 offen
	ds_read_b64 v[103:104], v6
	v_add_nc_u32_e32 v5, 1, v5
	v_add_nc_u32_e32 v6, 8, v6
	;; [unrolled: 1-line block ×3, first 2 shown]
	v_cmp_lt_u32_e32 vcc_lo, 12, v5
	s_or_b32 s5, vcc_lo, s5
	s_waitcnt vmcnt(1) lgkmcnt(0)
	v_mul_f32_e32 v107, v104, v105
	v_mul_f32_e32 v105, v103, v105
	s_waitcnt vmcnt(0)
	v_fma_f32 v103, v103, v106, -v107
	v_fmac_f32_e32 v105, v104, v106
	v_add_f32_e32 v8, v8, v103
	v_add_f32_e32 v2, v2, v105
	s_andn2_b32 exec_lo, exec_lo, s5
	s_cbranch_execnz .LBB110_69
; %bb.70:
	s_or_b32 exec_lo, exec_lo, s5
	v_mov_b32_e32 v5, 0
	ds_read_b64 v[5:6], v5 offset:112
	s_waitcnt lgkmcnt(0)
	v_mul_f32_e32 v7, v2, v6
	v_mul_f32_e32 v6, v8, v6
	v_fma_f32 v7, v8, v5, -v7
	v_fmac_f32_e32 v6, v2, v5
	buffer_store_dword v7, off, s[0:3], 0 offset:112
	buffer_store_dword v6, off, s[0:3], 0 offset:116
.LBB110_71:
	s_or_b32 exec_lo, exec_lo, s4
	s_waitcnt_vscnt null, 0x0
	s_barrier
	buffer_gl0_inv
	s_clause 0x1
	buffer_load_dword v5, off, s[0:3], 0 offset:120
	buffer_load_dword v6, off, s[0:3], 0 offset:124
	s_mov_b32 s4, exec_lo
	s_waitcnt vmcnt(0)
	ds_write_b64 v4, v[5:6]
	s_waitcnt lgkmcnt(0)
	s_barrier
	buffer_gl0_inv
	v_cmpx_gt_u32_e32 15, v0
	s_cbranch_execz .LBB110_75
; %bb.72:
	v_add_nc_u32_e32 v5, -1, v0
	v_add_nc_u32_e32 v6, 0x180, v3
	v_mov_b32_e32 v7, v3
	v_mov_b32_e32 v2, 0
	;; [unrolled: 1-line block ×3, first 2 shown]
	s_mov_b32 s5, 0
	.p2align	6
.LBB110_73:                             ; =>This Inner Loop Header: Depth=1
	s_clause 0x1
	buffer_load_dword v105, v7, s[0:3], 0 offen offset:4
	buffer_load_dword v106, v7, s[0:3], 0 offen
	ds_read_b64 v[103:104], v6
	v_add_nc_u32_e32 v5, 1, v5
	v_add_nc_u32_e32 v6, 8, v6
	;; [unrolled: 1-line block ×3, first 2 shown]
	v_cmp_lt_u32_e32 vcc_lo, 13, v5
	s_or_b32 s5, vcc_lo, s5
	s_waitcnt vmcnt(1) lgkmcnt(0)
	v_mul_f32_e32 v107, v104, v105
	v_mul_f32_e32 v105, v103, v105
	s_waitcnt vmcnt(0)
	v_fma_f32 v103, v103, v106, -v107
	v_fmac_f32_e32 v105, v104, v106
	v_add_f32_e32 v8, v8, v103
	v_add_f32_e32 v2, v2, v105
	s_andn2_b32 exec_lo, exec_lo, s5
	s_cbranch_execnz .LBB110_73
; %bb.74:
	s_or_b32 exec_lo, exec_lo, s5
	v_mov_b32_e32 v5, 0
	ds_read_b64 v[5:6], v5 offset:120
	s_waitcnt lgkmcnt(0)
	v_mul_f32_e32 v7, v2, v6
	v_mul_f32_e32 v6, v8, v6
	v_fma_f32 v7, v8, v5, -v7
	v_fmac_f32_e32 v6, v2, v5
	buffer_store_dword v7, off, s[0:3], 0 offset:120
	buffer_store_dword v6, off, s[0:3], 0 offset:124
.LBB110_75:
	s_or_b32 exec_lo, exec_lo, s4
	s_waitcnt_vscnt null, 0x0
	s_barrier
	buffer_gl0_inv
	s_clause 0x1
	buffer_load_dword v5, off, s[0:3], 0 offset:128
	buffer_load_dword v6, off, s[0:3], 0 offset:132
	s_mov_b32 s4, exec_lo
	s_waitcnt vmcnt(0)
	ds_write_b64 v4, v[5:6]
	s_waitcnt lgkmcnt(0)
	s_barrier
	buffer_gl0_inv
	v_cmpx_gt_u32_e32 16, v0
	s_cbranch_execz .LBB110_79
; %bb.76:
	v_add_nc_u32_e32 v5, -1, v0
	v_add_nc_u32_e32 v6, 0x180, v3
	v_mov_b32_e32 v7, v3
	v_mov_b32_e32 v2, 0
	;; [unrolled: 1-line block ×3, first 2 shown]
	s_mov_b32 s5, 0
	.p2align	6
.LBB110_77:                             ; =>This Inner Loop Header: Depth=1
	s_clause 0x1
	buffer_load_dword v105, v7, s[0:3], 0 offen offset:4
	buffer_load_dword v106, v7, s[0:3], 0 offen
	ds_read_b64 v[103:104], v6
	v_add_nc_u32_e32 v5, 1, v5
	v_add_nc_u32_e32 v6, 8, v6
	;; [unrolled: 1-line block ×3, first 2 shown]
	v_cmp_lt_u32_e32 vcc_lo, 14, v5
	s_or_b32 s5, vcc_lo, s5
	s_waitcnt vmcnt(1) lgkmcnt(0)
	v_mul_f32_e32 v107, v104, v105
	v_mul_f32_e32 v105, v103, v105
	s_waitcnt vmcnt(0)
	v_fma_f32 v103, v103, v106, -v107
	v_fmac_f32_e32 v105, v104, v106
	v_add_f32_e32 v8, v8, v103
	v_add_f32_e32 v2, v2, v105
	s_andn2_b32 exec_lo, exec_lo, s5
	s_cbranch_execnz .LBB110_77
; %bb.78:
	s_or_b32 exec_lo, exec_lo, s5
	v_mov_b32_e32 v5, 0
	ds_read_b64 v[5:6], v5 offset:128
	s_waitcnt lgkmcnt(0)
	v_mul_f32_e32 v7, v2, v6
	v_mul_f32_e32 v6, v8, v6
	v_fma_f32 v7, v8, v5, -v7
	v_fmac_f32_e32 v6, v2, v5
	buffer_store_dword v7, off, s[0:3], 0 offset:128
	buffer_store_dword v6, off, s[0:3], 0 offset:132
.LBB110_79:
	s_or_b32 exec_lo, exec_lo, s4
	s_waitcnt_vscnt null, 0x0
	s_barrier
	buffer_gl0_inv
	s_clause 0x1
	buffer_load_dword v5, off, s[0:3], 0 offset:136
	buffer_load_dword v6, off, s[0:3], 0 offset:140
	s_mov_b32 s4, exec_lo
	s_waitcnt vmcnt(0)
	ds_write_b64 v4, v[5:6]
	s_waitcnt lgkmcnt(0)
	s_barrier
	buffer_gl0_inv
	v_cmpx_gt_u32_e32 17, v0
	s_cbranch_execz .LBB110_83
; %bb.80:
	v_add_nc_u32_e32 v5, -1, v0
	v_add_nc_u32_e32 v6, 0x180, v3
	v_mov_b32_e32 v7, v3
	v_mov_b32_e32 v2, 0
	;; [unrolled: 1-line block ×3, first 2 shown]
	s_mov_b32 s5, 0
	.p2align	6
.LBB110_81:                             ; =>This Inner Loop Header: Depth=1
	s_clause 0x1
	buffer_load_dword v105, v7, s[0:3], 0 offen offset:4
	buffer_load_dword v106, v7, s[0:3], 0 offen
	ds_read_b64 v[103:104], v6
	v_add_nc_u32_e32 v5, 1, v5
	v_add_nc_u32_e32 v6, 8, v6
	;; [unrolled: 1-line block ×3, first 2 shown]
	v_cmp_lt_u32_e32 vcc_lo, 15, v5
	s_or_b32 s5, vcc_lo, s5
	s_waitcnt vmcnt(1) lgkmcnt(0)
	v_mul_f32_e32 v107, v104, v105
	v_mul_f32_e32 v105, v103, v105
	s_waitcnt vmcnt(0)
	v_fma_f32 v103, v103, v106, -v107
	v_fmac_f32_e32 v105, v104, v106
	v_add_f32_e32 v8, v8, v103
	v_add_f32_e32 v2, v2, v105
	s_andn2_b32 exec_lo, exec_lo, s5
	s_cbranch_execnz .LBB110_81
; %bb.82:
	s_or_b32 exec_lo, exec_lo, s5
	v_mov_b32_e32 v5, 0
	ds_read_b64 v[5:6], v5 offset:136
	s_waitcnt lgkmcnt(0)
	v_mul_f32_e32 v7, v2, v6
	v_mul_f32_e32 v6, v8, v6
	v_fma_f32 v7, v8, v5, -v7
	v_fmac_f32_e32 v6, v2, v5
	buffer_store_dword v7, off, s[0:3], 0 offset:136
	buffer_store_dword v6, off, s[0:3], 0 offset:140
.LBB110_83:
	s_or_b32 exec_lo, exec_lo, s4
	s_waitcnt_vscnt null, 0x0
	s_barrier
	buffer_gl0_inv
	s_clause 0x1
	buffer_load_dword v5, off, s[0:3], 0 offset:144
	buffer_load_dword v6, off, s[0:3], 0 offset:148
	s_mov_b32 s4, exec_lo
	s_waitcnt vmcnt(0)
	ds_write_b64 v4, v[5:6]
	s_waitcnt lgkmcnt(0)
	s_barrier
	buffer_gl0_inv
	v_cmpx_gt_u32_e32 18, v0
	s_cbranch_execz .LBB110_87
; %bb.84:
	v_add_nc_u32_e32 v5, -1, v0
	v_add_nc_u32_e32 v6, 0x180, v3
	v_mov_b32_e32 v7, v3
	v_mov_b32_e32 v2, 0
	;; [unrolled: 1-line block ×3, first 2 shown]
	s_mov_b32 s5, 0
	.p2align	6
.LBB110_85:                             ; =>This Inner Loop Header: Depth=1
	s_clause 0x1
	buffer_load_dword v105, v7, s[0:3], 0 offen offset:4
	buffer_load_dword v106, v7, s[0:3], 0 offen
	ds_read_b64 v[103:104], v6
	v_add_nc_u32_e32 v5, 1, v5
	v_add_nc_u32_e32 v6, 8, v6
	;; [unrolled: 1-line block ×3, first 2 shown]
	v_cmp_lt_u32_e32 vcc_lo, 16, v5
	s_or_b32 s5, vcc_lo, s5
	s_waitcnt vmcnt(1) lgkmcnt(0)
	v_mul_f32_e32 v107, v104, v105
	v_mul_f32_e32 v105, v103, v105
	s_waitcnt vmcnt(0)
	v_fma_f32 v103, v103, v106, -v107
	v_fmac_f32_e32 v105, v104, v106
	v_add_f32_e32 v8, v8, v103
	v_add_f32_e32 v2, v2, v105
	s_andn2_b32 exec_lo, exec_lo, s5
	s_cbranch_execnz .LBB110_85
; %bb.86:
	s_or_b32 exec_lo, exec_lo, s5
	v_mov_b32_e32 v5, 0
	ds_read_b64 v[5:6], v5 offset:144
	s_waitcnt lgkmcnt(0)
	v_mul_f32_e32 v7, v2, v6
	v_mul_f32_e32 v6, v8, v6
	v_fma_f32 v7, v8, v5, -v7
	v_fmac_f32_e32 v6, v2, v5
	buffer_store_dword v7, off, s[0:3], 0 offset:144
	buffer_store_dword v6, off, s[0:3], 0 offset:148
.LBB110_87:
	s_or_b32 exec_lo, exec_lo, s4
	s_waitcnt_vscnt null, 0x0
	s_barrier
	buffer_gl0_inv
	s_clause 0x1
	buffer_load_dword v5, off, s[0:3], 0 offset:152
	buffer_load_dword v6, off, s[0:3], 0 offset:156
	s_mov_b32 s4, exec_lo
	s_waitcnt vmcnt(0)
	ds_write_b64 v4, v[5:6]
	s_waitcnt lgkmcnt(0)
	s_barrier
	buffer_gl0_inv
	v_cmpx_gt_u32_e32 19, v0
	s_cbranch_execz .LBB110_91
; %bb.88:
	v_add_nc_u32_e32 v5, -1, v0
	v_add_nc_u32_e32 v6, 0x180, v3
	v_mov_b32_e32 v7, v3
	v_mov_b32_e32 v2, 0
	;; [unrolled: 1-line block ×3, first 2 shown]
	s_mov_b32 s5, 0
	.p2align	6
.LBB110_89:                             ; =>This Inner Loop Header: Depth=1
	s_clause 0x1
	buffer_load_dword v105, v7, s[0:3], 0 offen offset:4
	buffer_load_dword v106, v7, s[0:3], 0 offen
	ds_read_b64 v[103:104], v6
	v_add_nc_u32_e32 v5, 1, v5
	v_add_nc_u32_e32 v6, 8, v6
	;; [unrolled: 1-line block ×3, first 2 shown]
	v_cmp_lt_u32_e32 vcc_lo, 17, v5
	s_or_b32 s5, vcc_lo, s5
	s_waitcnt vmcnt(1) lgkmcnt(0)
	v_mul_f32_e32 v107, v104, v105
	v_mul_f32_e32 v105, v103, v105
	s_waitcnt vmcnt(0)
	v_fma_f32 v103, v103, v106, -v107
	v_fmac_f32_e32 v105, v104, v106
	v_add_f32_e32 v8, v8, v103
	v_add_f32_e32 v2, v2, v105
	s_andn2_b32 exec_lo, exec_lo, s5
	s_cbranch_execnz .LBB110_89
; %bb.90:
	s_or_b32 exec_lo, exec_lo, s5
	v_mov_b32_e32 v5, 0
	ds_read_b64 v[5:6], v5 offset:152
	s_waitcnt lgkmcnt(0)
	v_mul_f32_e32 v7, v2, v6
	v_mul_f32_e32 v6, v8, v6
	v_fma_f32 v7, v8, v5, -v7
	v_fmac_f32_e32 v6, v2, v5
	buffer_store_dword v7, off, s[0:3], 0 offset:152
	buffer_store_dword v6, off, s[0:3], 0 offset:156
.LBB110_91:
	s_or_b32 exec_lo, exec_lo, s4
	s_waitcnt_vscnt null, 0x0
	s_barrier
	buffer_gl0_inv
	s_clause 0x1
	buffer_load_dword v5, off, s[0:3], 0 offset:160
	buffer_load_dword v6, off, s[0:3], 0 offset:164
	s_mov_b32 s4, exec_lo
	s_waitcnt vmcnt(0)
	ds_write_b64 v4, v[5:6]
	s_waitcnt lgkmcnt(0)
	s_barrier
	buffer_gl0_inv
	v_cmpx_gt_u32_e32 20, v0
	s_cbranch_execz .LBB110_95
; %bb.92:
	v_add_nc_u32_e32 v5, -1, v0
	v_add_nc_u32_e32 v6, 0x180, v3
	v_mov_b32_e32 v7, v3
	v_mov_b32_e32 v2, 0
	;; [unrolled: 1-line block ×3, first 2 shown]
	s_mov_b32 s5, 0
	.p2align	6
.LBB110_93:                             ; =>This Inner Loop Header: Depth=1
	s_clause 0x1
	buffer_load_dword v105, v7, s[0:3], 0 offen offset:4
	buffer_load_dword v106, v7, s[0:3], 0 offen
	ds_read_b64 v[103:104], v6
	v_add_nc_u32_e32 v5, 1, v5
	v_add_nc_u32_e32 v6, 8, v6
	;; [unrolled: 1-line block ×3, first 2 shown]
	v_cmp_lt_u32_e32 vcc_lo, 18, v5
	s_or_b32 s5, vcc_lo, s5
	s_waitcnt vmcnt(1) lgkmcnt(0)
	v_mul_f32_e32 v107, v104, v105
	v_mul_f32_e32 v105, v103, v105
	s_waitcnt vmcnt(0)
	v_fma_f32 v103, v103, v106, -v107
	v_fmac_f32_e32 v105, v104, v106
	v_add_f32_e32 v8, v8, v103
	v_add_f32_e32 v2, v2, v105
	s_andn2_b32 exec_lo, exec_lo, s5
	s_cbranch_execnz .LBB110_93
; %bb.94:
	s_or_b32 exec_lo, exec_lo, s5
	v_mov_b32_e32 v5, 0
	ds_read_b64 v[5:6], v5 offset:160
	s_waitcnt lgkmcnt(0)
	v_mul_f32_e32 v7, v2, v6
	v_mul_f32_e32 v6, v8, v6
	v_fma_f32 v7, v8, v5, -v7
	v_fmac_f32_e32 v6, v2, v5
	buffer_store_dword v7, off, s[0:3], 0 offset:160
	buffer_store_dword v6, off, s[0:3], 0 offset:164
.LBB110_95:
	s_or_b32 exec_lo, exec_lo, s4
	s_waitcnt_vscnt null, 0x0
	s_barrier
	buffer_gl0_inv
	s_clause 0x1
	buffer_load_dword v5, off, s[0:3], 0 offset:168
	buffer_load_dword v6, off, s[0:3], 0 offset:172
	s_mov_b32 s4, exec_lo
	s_waitcnt vmcnt(0)
	ds_write_b64 v4, v[5:6]
	s_waitcnt lgkmcnt(0)
	s_barrier
	buffer_gl0_inv
	v_cmpx_gt_u32_e32 21, v0
	s_cbranch_execz .LBB110_99
; %bb.96:
	v_add_nc_u32_e32 v5, -1, v0
	v_add_nc_u32_e32 v6, 0x180, v3
	v_mov_b32_e32 v7, v3
	v_mov_b32_e32 v2, 0
	;; [unrolled: 1-line block ×3, first 2 shown]
	s_mov_b32 s5, 0
	.p2align	6
.LBB110_97:                             ; =>This Inner Loop Header: Depth=1
	s_clause 0x1
	buffer_load_dword v105, v7, s[0:3], 0 offen offset:4
	buffer_load_dword v106, v7, s[0:3], 0 offen
	ds_read_b64 v[103:104], v6
	v_add_nc_u32_e32 v5, 1, v5
	v_add_nc_u32_e32 v6, 8, v6
	;; [unrolled: 1-line block ×3, first 2 shown]
	v_cmp_lt_u32_e32 vcc_lo, 19, v5
	s_or_b32 s5, vcc_lo, s5
	s_waitcnt vmcnt(1) lgkmcnt(0)
	v_mul_f32_e32 v107, v104, v105
	v_mul_f32_e32 v105, v103, v105
	s_waitcnt vmcnt(0)
	v_fma_f32 v103, v103, v106, -v107
	v_fmac_f32_e32 v105, v104, v106
	v_add_f32_e32 v8, v8, v103
	v_add_f32_e32 v2, v2, v105
	s_andn2_b32 exec_lo, exec_lo, s5
	s_cbranch_execnz .LBB110_97
; %bb.98:
	s_or_b32 exec_lo, exec_lo, s5
	v_mov_b32_e32 v5, 0
	ds_read_b64 v[5:6], v5 offset:168
	s_waitcnt lgkmcnt(0)
	v_mul_f32_e32 v7, v2, v6
	v_mul_f32_e32 v6, v8, v6
	v_fma_f32 v7, v8, v5, -v7
	v_fmac_f32_e32 v6, v2, v5
	buffer_store_dword v7, off, s[0:3], 0 offset:168
	buffer_store_dword v6, off, s[0:3], 0 offset:172
.LBB110_99:
	s_or_b32 exec_lo, exec_lo, s4
	s_waitcnt_vscnt null, 0x0
	s_barrier
	buffer_gl0_inv
	s_clause 0x1
	buffer_load_dword v5, off, s[0:3], 0 offset:176
	buffer_load_dword v6, off, s[0:3], 0 offset:180
	s_mov_b32 s4, exec_lo
	s_waitcnt vmcnt(0)
	ds_write_b64 v4, v[5:6]
	s_waitcnt lgkmcnt(0)
	s_barrier
	buffer_gl0_inv
	v_cmpx_gt_u32_e32 22, v0
	s_cbranch_execz .LBB110_103
; %bb.100:
	v_add_nc_u32_e32 v5, -1, v0
	v_add_nc_u32_e32 v6, 0x180, v3
	v_mov_b32_e32 v7, v3
	v_mov_b32_e32 v2, 0
	v_mov_b32_e32 v8, 0
	s_mov_b32 s5, 0
	.p2align	6
.LBB110_101:                            ; =>This Inner Loop Header: Depth=1
	s_clause 0x1
	buffer_load_dword v105, v7, s[0:3], 0 offen offset:4
	buffer_load_dword v106, v7, s[0:3], 0 offen
	ds_read_b64 v[103:104], v6
	v_add_nc_u32_e32 v5, 1, v5
	v_add_nc_u32_e32 v6, 8, v6
	;; [unrolled: 1-line block ×3, first 2 shown]
	v_cmp_lt_u32_e32 vcc_lo, 20, v5
	s_or_b32 s5, vcc_lo, s5
	s_waitcnt vmcnt(1) lgkmcnt(0)
	v_mul_f32_e32 v107, v104, v105
	v_mul_f32_e32 v105, v103, v105
	s_waitcnt vmcnt(0)
	v_fma_f32 v103, v103, v106, -v107
	v_fmac_f32_e32 v105, v104, v106
	v_add_f32_e32 v8, v8, v103
	v_add_f32_e32 v2, v2, v105
	s_andn2_b32 exec_lo, exec_lo, s5
	s_cbranch_execnz .LBB110_101
; %bb.102:
	s_or_b32 exec_lo, exec_lo, s5
	v_mov_b32_e32 v5, 0
	ds_read_b64 v[5:6], v5 offset:176
	s_waitcnt lgkmcnt(0)
	v_mul_f32_e32 v7, v2, v6
	v_mul_f32_e32 v6, v8, v6
	v_fma_f32 v7, v8, v5, -v7
	v_fmac_f32_e32 v6, v2, v5
	buffer_store_dword v7, off, s[0:3], 0 offset:176
	buffer_store_dword v6, off, s[0:3], 0 offset:180
.LBB110_103:
	s_or_b32 exec_lo, exec_lo, s4
	s_waitcnt_vscnt null, 0x0
	s_barrier
	buffer_gl0_inv
	s_clause 0x1
	buffer_load_dword v5, off, s[0:3], 0 offset:184
	buffer_load_dword v6, off, s[0:3], 0 offset:188
	s_mov_b32 s4, exec_lo
	s_waitcnt vmcnt(0)
	ds_write_b64 v4, v[5:6]
	s_waitcnt lgkmcnt(0)
	s_barrier
	buffer_gl0_inv
	v_cmpx_gt_u32_e32 23, v0
	s_cbranch_execz .LBB110_107
; %bb.104:
	v_add_nc_u32_e32 v5, -1, v0
	v_add_nc_u32_e32 v6, 0x180, v3
	v_mov_b32_e32 v7, v3
	v_mov_b32_e32 v2, 0
	v_mov_b32_e32 v8, 0
	s_mov_b32 s5, 0
	.p2align	6
.LBB110_105:                            ; =>This Inner Loop Header: Depth=1
	s_clause 0x1
	buffer_load_dword v105, v7, s[0:3], 0 offen offset:4
	buffer_load_dword v106, v7, s[0:3], 0 offen
	ds_read_b64 v[103:104], v6
	v_add_nc_u32_e32 v5, 1, v5
	v_add_nc_u32_e32 v6, 8, v6
	;; [unrolled: 1-line block ×3, first 2 shown]
	v_cmp_lt_u32_e32 vcc_lo, 21, v5
	s_or_b32 s5, vcc_lo, s5
	s_waitcnt vmcnt(1) lgkmcnt(0)
	v_mul_f32_e32 v107, v104, v105
	v_mul_f32_e32 v105, v103, v105
	s_waitcnt vmcnt(0)
	v_fma_f32 v103, v103, v106, -v107
	v_fmac_f32_e32 v105, v104, v106
	v_add_f32_e32 v8, v8, v103
	v_add_f32_e32 v2, v2, v105
	s_andn2_b32 exec_lo, exec_lo, s5
	s_cbranch_execnz .LBB110_105
; %bb.106:
	s_or_b32 exec_lo, exec_lo, s5
	v_mov_b32_e32 v5, 0
	ds_read_b64 v[5:6], v5 offset:184
	s_waitcnt lgkmcnt(0)
	v_mul_f32_e32 v7, v2, v6
	v_mul_f32_e32 v6, v8, v6
	v_fma_f32 v7, v8, v5, -v7
	v_fmac_f32_e32 v6, v2, v5
	buffer_store_dword v7, off, s[0:3], 0 offset:184
	buffer_store_dword v6, off, s[0:3], 0 offset:188
.LBB110_107:
	s_or_b32 exec_lo, exec_lo, s4
	s_waitcnt_vscnt null, 0x0
	s_barrier
	buffer_gl0_inv
	s_clause 0x1
	buffer_load_dword v5, off, s[0:3], 0 offset:192
	buffer_load_dword v6, off, s[0:3], 0 offset:196
	s_mov_b32 s4, exec_lo
	s_waitcnt vmcnt(0)
	ds_write_b64 v4, v[5:6]
	s_waitcnt lgkmcnt(0)
	s_barrier
	buffer_gl0_inv
	v_cmpx_gt_u32_e32 24, v0
	s_cbranch_execz .LBB110_111
; %bb.108:
	v_add_nc_u32_e32 v5, -1, v0
	v_add_nc_u32_e32 v6, 0x180, v3
	v_mov_b32_e32 v7, v3
	v_mov_b32_e32 v2, 0
	;; [unrolled: 1-line block ×3, first 2 shown]
	s_mov_b32 s5, 0
	.p2align	6
.LBB110_109:                            ; =>This Inner Loop Header: Depth=1
	s_clause 0x1
	buffer_load_dword v105, v7, s[0:3], 0 offen offset:4
	buffer_load_dword v106, v7, s[0:3], 0 offen
	ds_read_b64 v[103:104], v6
	v_add_nc_u32_e32 v5, 1, v5
	v_add_nc_u32_e32 v6, 8, v6
	;; [unrolled: 1-line block ×3, first 2 shown]
	v_cmp_lt_u32_e32 vcc_lo, 22, v5
	s_or_b32 s5, vcc_lo, s5
	s_waitcnt vmcnt(1) lgkmcnt(0)
	v_mul_f32_e32 v107, v104, v105
	v_mul_f32_e32 v105, v103, v105
	s_waitcnt vmcnt(0)
	v_fma_f32 v103, v103, v106, -v107
	v_fmac_f32_e32 v105, v104, v106
	v_add_f32_e32 v8, v8, v103
	v_add_f32_e32 v2, v2, v105
	s_andn2_b32 exec_lo, exec_lo, s5
	s_cbranch_execnz .LBB110_109
; %bb.110:
	s_or_b32 exec_lo, exec_lo, s5
	v_mov_b32_e32 v5, 0
	ds_read_b64 v[5:6], v5 offset:192
	s_waitcnt lgkmcnt(0)
	v_mul_f32_e32 v7, v2, v6
	v_mul_f32_e32 v6, v8, v6
	v_fma_f32 v7, v8, v5, -v7
	v_fmac_f32_e32 v6, v2, v5
	buffer_store_dword v7, off, s[0:3], 0 offset:192
	buffer_store_dword v6, off, s[0:3], 0 offset:196
.LBB110_111:
	s_or_b32 exec_lo, exec_lo, s4
	s_waitcnt_vscnt null, 0x0
	s_barrier
	buffer_gl0_inv
	s_clause 0x1
	buffer_load_dword v5, off, s[0:3], 0 offset:200
	buffer_load_dword v6, off, s[0:3], 0 offset:204
	s_mov_b32 s4, exec_lo
	s_waitcnt vmcnt(0)
	ds_write_b64 v4, v[5:6]
	s_waitcnt lgkmcnt(0)
	s_barrier
	buffer_gl0_inv
	v_cmpx_gt_u32_e32 25, v0
	s_cbranch_execz .LBB110_115
; %bb.112:
	v_add_nc_u32_e32 v5, -1, v0
	v_add_nc_u32_e32 v6, 0x180, v3
	v_mov_b32_e32 v7, v3
	v_mov_b32_e32 v2, 0
	;; [unrolled: 1-line block ×3, first 2 shown]
	s_mov_b32 s5, 0
	.p2align	6
.LBB110_113:                            ; =>This Inner Loop Header: Depth=1
	s_clause 0x1
	buffer_load_dword v105, v7, s[0:3], 0 offen offset:4
	buffer_load_dword v106, v7, s[0:3], 0 offen
	ds_read_b64 v[103:104], v6
	v_add_nc_u32_e32 v5, 1, v5
	v_add_nc_u32_e32 v6, 8, v6
	;; [unrolled: 1-line block ×3, first 2 shown]
	v_cmp_lt_u32_e32 vcc_lo, 23, v5
	s_or_b32 s5, vcc_lo, s5
	s_waitcnt vmcnt(1) lgkmcnt(0)
	v_mul_f32_e32 v107, v104, v105
	v_mul_f32_e32 v105, v103, v105
	s_waitcnt vmcnt(0)
	v_fma_f32 v103, v103, v106, -v107
	v_fmac_f32_e32 v105, v104, v106
	v_add_f32_e32 v8, v8, v103
	v_add_f32_e32 v2, v2, v105
	s_andn2_b32 exec_lo, exec_lo, s5
	s_cbranch_execnz .LBB110_113
; %bb.114:
	s_or_b32 exec_lo, exec_lo, s5
	v_mov_b32_e32 v5, 0
	ds_read_b64 v[5:6], v5 offset:200
	s_waitcnt lgkmcnt(0)
	v_mul_f32_e32 v7, v2, v6
	v_mul_f32_e32 v6, v8, v6
	v_fma_f32 v7, v8, v5, -v7
	v_fmac_f32_e32 v6, v2, v5
	buffer_store_dword v7, off, s[0:3], 0 offset:200
	buffer_store_dword v6, off, s[0:3], 0 offset:204
.LBB110_115:
	s_or_b32 exec_lo, exec_lo, s4
	s_waitcnt_vscnt null, 0x0
	s_barrier
	buffer_gl0_inv
	s_clause 0x1
	buffer_load_dword v5, off, s[0:3], 0 offset:208
	buffer_load_dword v6, off, s[0:3], 0 offset:212
	s_mov_b32 s4, exec_lo
	s_waitcnt vmcnt(0)
	ds_write_b64 v4, v[5:6]
	s_waitcnt lgkmcnt(0)
	s_barrier
	buffer_gl0_inv
	v_cmpx_gt_u32_e32 26, v0
	s_cbranch_execz .LBB110_119
; %bb.116:
	v_add_nc_u32_e32 v5, -1, v0
	v_add_nc_u32_e32 v6, 0x180, v3
	v_mov_b32_e32 v7, v3
	v_mov_b32_e32 v2, 0
	;; [unrolled: 1-line block ×3, first 2 shown]
	s_mov_b32 s5, 0
	.p2align	6
.LBB110_117:                            ; =>This Inner Loop Header: Depth=1
	s_clause 0x1
	buffer_load_dword v105, v7, s[0:3], 0 offen offset:4
	buffer_load_dword v106, v7, s[0:3], 0 offen
	ds_read_b64 v[103:104], v6
	v_add_nc_u32_e32 v5, 1, v5
	v_add_nc_u32_e32 v6, 8, v6
	;; [unrolled: 1-line block ×3, first 2 shown]
	v_cmp_lt_u32_e32 vcc_lo, 24, v5
	s_or_b32 s5, vcc_lo, s5
	s_waitcnt vmcnt(1) lgkmcnt(0)
	v_mul_f32_e32 v107, v104, v105
	v_mul_f32_e32 v105, v103, v105
	s_waitcnt vmcnt(0)
	v_fma_f32 v103, v103, v106, -v107
	v_fmac_f32_e32 v105, v104, v106
	v_add_f32_e32 v8, v8, v103
	v_add_f32_e32 v2, v2, v105
	s_andn2_b32 exec_lo, exec_lo, s5
	s_cbranch_execnz .LBB110_117
; %bb.118:
	s_or_b32 exec_lo, exec_lo, s5
	v_mov_b32_e32 v5, 0
	ds_read_b64 v[5:6], v5 offset:208
	s_waitcnt lgkmcnt(0)
	v_mul_f32_e32 v7, v2, v6
	v_mul_f32_e32 v6, v8, v6
	v_fma_f32 v7, v8, v5, -v7
	v_fmac_f32_e32 v6, v2, v5
	buffer_store_dword v7, off, s[0:3], 0 offset:208
	buffer_store_dword v6, off, s[0:3], 0 offset:212
.LBB110_119:
	s_or_b32 exec_lo, exec_lo, s4
	s_waitcnt_vscnt null, 0x0
	s_barrier
	buffer_gl0_inv
	s_clause 0x1
	buffer_load_dword v5, off, s[0:3], 0 offset:216
	buffer_load_dword v6, off, s[0:3], 0 offset:220
	s_mov_b32 s4, exec_lo
	s_waitcnt vmcnt(0)
	ds_write_b64 v4, v[5:6]
	s_waitcnt lgkmcnt(0)
	s_barrier
	buffer_gl0_inv
	v_cmpx_gt_u32_e32 27, v0
	s_cbranch_execz .LBB110_123
; %bb.120:
	v_add_nc_u32_e32 v5, -1, v0
	v_add_nc_u32_e32 v6, 0x180, v3
	v_mov_b32_e32 v7, v3
	v_mov_b32_e32 v2, 0
	;; [unrolled: 1-line block ×3, first 2 shown]
	s_mov_b32 s5, 0
	.p2align	6
.LBB110_121:                            ; =>This Inner Loop Header: Depth=1
	s_clause 0x1
	buffer_load_dword v105, v7, s[0:3], 0 offen offset:4
	buffer_load_dword v106, v7, s[0:3], 0 offen
	ds_read_b64 v[103:104], v6
	v_add_nc_u32_e32 v5, 1, v5
	v_add_nc_u32_e32 v6, 8, v6
	;; [unrolled: 1-line block ×3, first 2 shown]
	v_cmp_lt_u32_e32 vcc_lo, 25, v5
	s_or_b32 s5, vcc_lo, s5
	s_waitcnt vmcnt(1) lgkmcnt(0)
	v_mul_f32_e32 v107, v104, v105
	v_mul_f32_e32 v105, v103, v105
	s_waitcnt vmcnt(0)
	v_fma_f32 v103, v103, v106, -v107
	v_fmac_f32_e32 v105, v104, v106
	v_add_f32_e32 v8, v8, v103
	v_add_f32_e32 v2, v2, v105
	s_andn2_b32 exec_lo, exec_lo, s5
	s_cbranch_execnz .LBB110_121
; %bb.122:
	s_or_b32 exec_lo, exec_lo, s5
	v_mov_b32_e32 v5, 0
	ds_read_b64 v[5:6], v5 offset:216
	s_waitcnt lgkmcnt(0)
	v_mul_f32_e32 v7, v2, v6
	v_mul_f32_e32 v6, v8, v6
	v_fma_f32 v7, v8, v5, -v7
	v_fmac_f32_e32 v6, v2, v5
	buffer_store_dword v7, off, s[0:3], 0 offset:216
	buffer_store_dword v6, off, s[0:3], 0 offset:220
.LBB110_123:
	s_or_b32 exec_lo, exec_lo, s4
	s_waitcnt_vscnt null, 0x0
	s_barrier
	buffer_gl0_inv
	s_clause 0x1
	buffer_load_dword v5, off, s[0:3], 0 offset:224
	buffer_load_dword v6, off, s[0:3], 0 offset:228
	s_mov_b32 s4, exec_lo
	s_waitcnt vmcnt(0)
	ds_write_b64 v4, v[5:6]
	s_waitcnt lgkmcnt(0)
	s_barrier
	buffer_gl0_inv
	v_cmpx_gt_u32_e32 28, v0
	s_cbranch_execz .LBB110_127
; %bb.124:
	v_add_nc_u32_e32 v5, -1, v0
	v_add_nc_u32_e32 v6, 0x180, v3
	v_mov_b32_e32 v7, v3
	v_mov_b32_e32 v2, 0
	;; [unrolled: 1-line block ×3, first 2 shown]
	s_mov_b32 s5, 0
	.p2align	6
.LBB110_125:                            ; =>This Inner Loop Header: Depth=1
	s_clause 0x1
	buffer_load_dword v105, v7, s[0:3], 0 offen offset:4
	buffer_load_dword v106, v7, s[0:3], 0 offen
	ds_read_b64 v[103:104], v6
	v_add_nc_u32_e32 v5, 1, v5
	v_add_nc_u32_e32 v6, 8, v6
	;; [unrolled: 1-line block ×3, first 2 shown]
	v_cmp_lt_u32_e32 vcc_lo, 26, v5
	s_or_b32 s5, vcc_lo, s5
	s_waitcnt vmcnt(1) lgkmcnt(0)
	v_mul_f32_e32 v107, v104, v105
	v_mul_f32_e32 v105, v103, v105
	s_waitcnt vmcnt(0)
	v_fma_f32 v103, v103, v106, -v107
	v_fmac_f32_e32 v105, v104, v106
	v_add_f32_e32 v8, v8, v103
	v_add_f32_e32 v2, v2, v105
	s_andn2_b32 exec_lo, exec_lo, s5
	s_cbranch_execnz .LBB110_125
; %bb.126:
	s_or_b32 exec_lo, exec_lo, s5
	v_mov_b32_e32 v5, 0
	ds_read_b64 v[5:6], v5 offset:224
	s_waitcnt lgkmcnt(0)
	v_mul_f32_e32 v7, v2, v6
	v_mul_f32_e32 v6, v8, v6
	v_fma_f32 v7, v8, v5, -v7
	v_fmac_f32_e32 v6, v2, v5
	buffer_store_dword v7, off, s[0:3], 0 offset:224
	buffer_store_dword v6, off, s[0:3], 0 offset:228
.LBB110_127:
	s_or_b32 exec_lo, exec_lo, s4
	s_waitcnt_vscnt null, 0x0
	s_barrier
	buffer_gl0_inv
	s_clause 0x1
	buffer_load_dword v5, off, s[0:3], 0 offset:232
	buffer_load_dword v6, off, s[0:3], 0 offset:236
	s_mov_b32 s4, exec_lo
	s_waitcnt vmcnt(0)
	ds_write_b64 v4, v[5:6]
	s_waitcnt lgkmcnt(0)
	s_barrier
	buffer_gl0_inv
	v_cmpx_gt_u32_e32 29, v0
	s_cbranch_execz .LBB110_131
; %bb.128:
	v_add_nc_u32_e32 v5, -1, v0
	v_add_nc_u32_e32 v6, 0x180, v3
	v_mov_b32_e32 v7, v3
	v_mov_b32_e32 v2, 0
	;; [unrolled: 1-line block ×3, first 2 shown]
	s_mov_b32 s5, 0
	.p2align	6
.LBB110_129:                            ; =>This Inner Loop Header: Depth=1
	s_clause 0x1
	buffer_load_dword v105, v7, s[0:3], 0 offen offset:4
	buffer_load_dword v106, v7, s[0:3], 0 offen
	ds_read_b64 v[103:104], v6
	v_add_nc_u32_e32 v5, 1, v5
	v_add_nc_u32_e32 v6, 8, v6
	;; [unrolled: 1-line block ×3, first 2 shown]
	v_cmp_lt_u32_e32 vcc_lo, 27, v5
	s_or_b32 s5, vcc_lo, s5
	s_waitcnt vmcnt(1) lgkmcnt(0)
	v_mul_f32_e32 v107, v104, v105
	v_mul_f32_e32 v105, v103, v105
	s_waitcnt vmcnt(0)
	v_fma_f32 v103, v103, v106, -v107
	v_fmac_f32_e32 v105, v104, v106
	v_add_f32_e32 v8, v8, v103
	v_add_f32_e32 v2, v2, v105
	s_andn2_b32 exec_lo, exec_lo, s5
	s_cbranch_execnz .LBB110_129
; %bb.130:
	s_or_b32 exec_lo, exec_lo, s5
	v_mov_b32_e32 v5, 0
	ds_read_b64 v[5:6], v5 offset:232
	s_waitcnt lgkmcnt(0)
	v_mul_f32_e32 v7, v2, v6
	v_mul_f32_e32 v6, v8, v6
	v_fma_f32 v7, v8, v5, -v7
	v_fmac_f32_e32 v6, v2, v5
	buffer_store_dword v7, off, s[0:3], 0 offset:232
	buffer_store_dword v6, off, s[0:3], 0 offset:236
.LBB110_131:
	s_or_b32 exec_lo, exec_lo, s4
	s_waitcnt_vscnt null, 0x0
	s_barrier
	buffer_gl0_inv
	s_clause 0x1
	buffer_load_dword v5, off, s[0:3], 0 offset:240
	buffer_load_dword v6, off, s[0:3], 0 offset:244
	s_mov_b32 s4, exec_lo
	s_waitcnt vmcnt(0)
	ds_write_b64 v4, v[5:6]
	s_waitcnt lgkmcnt(0)
	s_barrier
	buffer_gl0_inv
	v_cmpx_gt_u32_e32 30, v0
	s_cbranch_execz .LBB110_135
; %bb.132:
	v_add_nc_u32_e32 v5, -1, v0
	v_add_nc_u32_e32 v6, 0x180, v3
	v_mov_b32_e32 v7, v3
	v_mov_b32_e32 v2, 0
	;; [unrolled: 1-line block ×3, first 2 shown]
	s_mov_b32 s5, 0
	.p2align	6
.LBB110_133:                            ; =>This Inner Loop Header: Depth=1
	s_clause 0x1
	buffer_load_dword v105, v7, s[0:3], 0 offen offset:4
	buffer_load_dword v106, v7, s[0:3], 0 offen
	ds_read_b64 v[103:104], v6
	v_add_nc_u32_e32 v5, 1, v5
	v_add_nc_u32_e32 v6, 8, v6
	;; [unrolled: 1-line block ×3, first 2 shown]
	v_cmp_lt_u32_e32 vcc_lo, 28, v5
	s_or_b32 s5, vcc_lo, s5
	s_waitcnt vmcnt(1) lgkmcnt(0)
	v_mul_f32_e32 v107, v104, v105
	v_mul_f32_e32 v105, v103, v105
	s_waitcnt vmcnt(0)
	v_fma_f32 v103, v103, v106, -v107
	v_fmac_f32_e32 v105, v104, v106
	v_add_f32_e32 v8, v8, v103
	v_add_f32_e32 v2, v2, v105
	s_andn2_b32 exec_lo, exec_lo, s5
	s_cbranch_execnz .LBB110_133
; %bb.134:
	s_or_b32 exec_lo, exec_lo, s5
	v_mov_b32_e32 v5, 0
	ds_read_b64 v[5:6], v5 offset:240
	s_waitcnt lgkmcnt(0)
	v_mul_f32_e32 v7, v2, v6
	v_mul_f32_e32 v6, v8, v6
	v_fma_f32 v7, v8, v5, -v7
	v_fmac_f32_e32 v6, v2, v5
	buffer_store_dword v7, off, s[0:3], 0 offset:240
	buffer_store_dword v6, off, s[0:3], 0 offset:244
.LBB110_135:
	s_or_b32 exec_lo, exec_lo, s4
	s_waitcnt_vscnt null, 0x0
	s_barrier
	buffer_gl0_inv
	s_clause 0x1
	buffer_load_dword v5, off, s[0:3], 0 offset:248
	buffer_load_dword v6, off, s[0:3], 0 offset:252
	s_mov_b32 s4, exec_lo
	s_waitcnt vmcnt(0)
	ds_write_b64 v4, v[5:6]
	s_waitcnt lgkmcnt(0)
	s_barrier
	buffer_gl0_inv
	v_cmpx_gt_u32_e32 31, v0
	s_cbranch_execz .LBB110_139
; %bb.136:
	v_add_nc_u32_e32 v5, -1, v0
	v_add_nc_u32_e32 v6, 0x180, v3
	v_mov_b32_e32 v7, v3
	v_mov_b32_e32 v2, 0
	;; [unrolled: 1-line block ×3, first 2 shown]
	s_mov_b32 s5, 0
	.p2align	6
.LBB110_137:                            ; =>This Inner Loop Header: Depth=1
	s_clause 0x1
	buffer_load_dword v105, v7, s[0:3], 0 offen offset:4
	buffer_load_dword v106, v7, s[0:3], 0 offen
	ds_read_b64 v[103:104], v6
	v_add_nc_u32_e32 v5, 1, v5
	v_add_nc_u32_e32 v6, 8, v6
	;; [unrolled: 1-line block ×3, first 2 shown]
	v_cmp_lt_u32_e32 vcc_lo, 29, v5
	s_or_b32 s5, vcc_lo, s5
	s_waitcnt vmcnt(1) lgkmcnt(0)
	v_mul_f32_e32 v107, v104, v105
	v_mul_f32_e32 v105, v103, v105
	s_waitcnt vmcnt(0)
	v_fma_f32 v103, v103, v106, -v107
	v_fmac_f32_e32 v105, v104, v106
	v_add_f32_e32 v8, v8, v103
	v_add_f32_e32 v2, v2, v105
	s_andn2_b32 exec_lo, exec_lo, s5
	s_cbranch_execnz .LBB110_137
; %bb.138:
	s_or_b32 exec_lo, exec_lo, s5
	v_mov_b32_e32 v5, 0
	ds_read_b64 v[5:6], v5 offset:248
	s_waitcnt lgkmcnt(0)
	v_mul_f32_e32 v7, v2, v6
	v_mul_f32_e32 v6, v8, v6
	v_fma_f32 v7, v8, v5, -v7
	v_fmac_f32_e32 v6, v2, v5
	buffer_store_dword v7, off, s[0:3], 0 offset:248
	buffer_store_dword v6, off, s[0:3], 0 offset:252
.LBB110_139:
	s_or_b32 exec_lo, exec_lo, s4
	s_waitcnt_vscnt null, 0x0
	s_barrier
	buffer_gl0_inv
	s_clause 0x1
	buffer_load_dword v5, off, s[0:3], 0 offset:256
	buffer_load_dword v6, off, s[0:3], 0 offset:260
	s_mov_b32 s4, exec_lo
	s_waitcnt vmcnt(0)
	ds_write_b64 v4, v[5:6]
	s_waitcnt lgkmcnt(0)
	s_barrier
	buffer_gl0_inv
	v_cmpx_gt_u32_e32 32, v0
	s_cbranch_execz .LBB110_143
; %bb.140:
	v_add_nc_u32_e32 v5, -1, v0
	v_add_nc_u32_e32 v6, 0x180, v3
	v_mov_b32_e32 v7, v3
	v_mov_b32_e32 v2, 0
	;; [unrolled: 1-line block ×3, first 2 shown]
	s_mov_b32 s5, 0
	.p2align	6
.LBB110_141:                            ; =>This Inner Loop Header: Depth=1
	s_clause 0x1
	buffer_load_dword v105, v7, s[0:3], 0 offen offset:4
	buffer_load_dword v106, v7, s[0:3], 0 offen
	ds_read_b64 v[103:104], v6
	v_add_nc_u32_e32 v5, 1, v5
	v_add_nc_u32_e32 v6, 8, v6
	;; [unrolled: 1-line block ×3, first 2 shown]
	v_cmp_lt_u32_e32 vcc_lo, 30, v5
	s_or_b32 s5, vcc_lo, s5
	s_waitcnt vmcnt(1) lgkmcnt(0)
	v_mul_f32_e32 v107, v104, v105
	v_mul_f32_e32 v105, v103, v105
	s_waitcnt vmcnt(0)
	v_fma_f32 v103, v103, v106, -v107
	v_fmac_f32_e32 v105, v104, v106
	v_add_f32_e32 v8, v8, v103
	v_add_f32_e32 v2, v2, v105
	s_andn2_b32 exec_lo, exec_lo, s5
	s_cbranch_execnz .LBB110_141
; %bb.142:
	s_or_b32 exec_lo, exec_lo, s5
	v_mov_b32_e32 v5, 0
	ds_read_b64 v[5:6], v5 offset:256
	s_waitcnt lgkmcnt(0)
	v_mul_f32_e32 v7, v2, v6
	v_mul_f32_e32 v6, v8, v6
	v_fma_f32 v7, v8, v5, -v7
	v_fmac_f32_e32 v6, v2, v5
	buffer_store_dword v7, off, s[0:3], 0 offset:256
	buffer_store_dword v6, off, s[0:3], 0 offset:260
.LBB110_143:
	s_or_b32 exec_lo, exec_lo, s4
	s_waitcnt_vscnt null, 0x0
	s_barrier
	buffer_gl0_inv
	s_clause 0x1
	buffer_load_dword v5, off, s[0:3], 0 offset:264
	buffer_load_dword v6, off, s[0:3], 0 offset:268
	s_mov_b32 s4, exec_lo
	s_waitcnt vmcnt(0)
	ds_write_b64 v4, v[5:6]
	s_waitcnt lgkmcnt(0)
	s_barrier
	buffer_gl0_inv
	v_cmpx_gt_u32_e32 33, v0
	s_cbranch_execz .LBB110_147
; %bb.144:
	v_add_nc_u32_e32 v5, -1, v0
	v_add_nc_u32_e32 v6, 0x180, v3
	v_mov_b32_e32 v7, v3
	v_mov_b32_e32 v2, 0
	;; [unrolled: 1-line block ×3, first 2 shown]
	s_mov_b32 s5, 0
	.p2align	6
.LBB110_145:                            ; =>This Inner Loop Header: Depth=1
	s_clause 0x1
	buffer_load_dword v105, v7, s[0:3], 0 offen offset:4
	buffer_load_dword v106, v7, s[0:3], 0 offen
	ds_read_b64 v[103:104], v6
	v_add_nc_u32_e32 v5, 1, v5
	v_add_nc_u32_e32 v6, 8, v6
	;; [unrolled: 1-line block ×3, first 2 shown]
	v_cmp_lt_u32_e32 vcc_lo, 31, v5
	s_or_b32 s5, vcc_lo, s5
	s_waitcnt vmcnt(1) lgkmcnt(0)
	v_mul_f32_e32 v107, v104, v105
	v_mul_f32_e32 v105, v103, v105
	s_waitcnt vmcnt(0)
	v_fma_f32 v103, v103, v106, -v107
	v_fmac_f32_e32 v105, v104, v106
	v_add_f32_e32 v8, v8, v103
	v_add_f32_e32 v2, v2, v105
	s_andn2_b32 exec_lo, exec_lo, s5
	s_cbranch_execnz .LBB110_145
; %bb.146:
	s_or_b32 exec_lo, exec_lo, s5
	v_mov_b32_e32 v5, 0
	ds_read_b64 v[5:6], v5 offset:264
	s_waitcnt lgkmcnt(0)
	v_mul_f32_e32 v7, v2, v6
	v_mul_f32_e32 v6, v8, v6
	v_fma_f32 v7, v8, v5, -v7
	v_fmac_f32_e32 v6, v2, v5
	buffer_store_dword v7, off, s[0:3], 0 offset:264
	buffer_store_dword v6, off, s[0:3], 0 offset:268
.LBB110_147:
	s_or_b32 exec_lo, exec_lo, s4
	s_waitcnt_vscnt null, 0x0
	s_barrier
	buffer_gl0_inv
	s_clause 0x1
	buffer_load_dword v5, off, s[0:3], 0 offset:272
	buffer_load_dword v6, off, s[0:3], 0 offset:276
	s_mov_b32 s4, exec_lo
	s_waitcnt vmcnt(0)
	ds_write_b64 v4, v[5:6]
	s_waitcnt lgkmcnt(0)
	s_barrier
	buffer_gl0_inv
	v_cmpx_gt_u32_e32 34, v0
	s_cbranch_execz .LBB110_151
; %bb.148:
	v_add_nc_u32_e32 v5, -1, v0
	v_add_nc_u32_e32 v6, 0x180, v3
	v_mov_b32_e32 v7, v3
	v_mov_b32_e32 v2, 0
	;; [unrolled: 1-line block ×3, first 2 shown]
	s_mov_b32 s5, 0
	.p2align	6
.LBB110_149:                            ; =>This Inner Loop Header: Depth=1
	s_clause 0x1
	buffer_load_dword v105, v7, s[0:3], 0 offen offset:4
	buffer_load_dword v106, v7, s[0:3], 0 offen
	ds_read_b64 v[103:104], v6
	v_add_nc_u32_e32 v5, 1, v5
	v_add_nc_u32_e32 v6, 8, v6
	;; [unrolled: 1-line block ×3, first 2 shown]
	v_cmp_lt_u32_e32 vcc_lo, 32, v5
	s_or_b32 s5, vcc_lo, s5
	s_waitcnt vmcnt(1) lgkmcnt(0)
	v_mul_f32_e32 v107, v104, v105
	v_mul_f32_e32 v105, v103, v105
	s_waitcnt vmcnt(0)
	v_fma_f32 v103, v103, v106, -v107
	v_fmac_f32_e32 v105, v104, v106
	v_add_f32_e32 v8, v8, v103
	v_add_f32_e32 v2, v2, v105
	s_andn2_b32 exec_lo, exec_lo, s5
	s_cbranch_execnz .LBB110_149
; %bb.150:
	s_or_b32 exec_lo, exec_lo, s5
	v_mov_b32_e32 v5, 0
	ds_read_b64 v[5:6], v5 offset:272
	s_waitcnt lgkmcnt(0)
	v_mul_f32_e32 v7, v2, v6
	v_mul_f32_e32 v6, v8, v6
	v_fma_f32 v7, v8, v5, -v7
	v_fmac_f32_e32 v6, v2, v5
	buffer_store_dword v7, off, s[0:3], 0 offset:272
	buffer_store_dword v6, off, s[0:3], 0 offset:276
.LBB110_151:
	s_or_b32 exec_lo, exec_lo, s4
	s_waitcnt_vscnt null, 0x0
	s_barrier
	buffer_gl0_inv
	s_clause 0x1
	buffer_load_dword v5, off, s[0:3], 0 offset:280
	buffer_load_dword v6, off, s[0:3], 0 offset:284
	s_mov_b32 s4, exec_lo
	s_waitcnt vmcnt(0)
	ds_write_b64 v4, v[5:6]
	s_waitcnt lgkmcnt(0)
	s_barrier
	buffer_gl0_inv
	v_cmpx_gt_u32_e32 35, v0
	s_cbranch_execz .LBB110_155
; %bb.152:
	v_add_nc_u32_e32 v5, -1, v0
	v_add_nc_u32_e32 v6, 0x180, v3
	v_mov_b32_e32 v7, v3
	v_mov_b32_e32 v2, 0
	;; [unrolled: 1-line block ×3, first 2 shown]
	s_mov_b32 s5, 0
	.p2align	6
.LBB110_153:                            ; =>This Inner Loop Header: Depth=1
	s_clause 0x1
	buffer_load_dword v105, v7, s[0:3], 0 offen offset:4
	buffer_load_dword v106, v7, s[0:3], 0 offen
	ds_read_b64 v[103:104], v6
	v_add_nc_u32_e32 v5, 1, v5
	v_add_nc_u32_e32 v6, 8, v6
	;; [unrolled: 1-line block ×3, first 2 shown]
	v_cmp_lt_u32_e32 vcc_lo, 33, v5
	s_or_b32 s5, vcc_lo, s5
	s_waitcnt vmcnt(1) lgkmcnt(0)
	v_mul_f32_e32 v107, v104, v105
	v_mul_f32_e32 v105, v103, v105
	s_waitcnt vmcnt(0)
	v_fma_f32 v103, v103, v106, -v107
	v_fmac_f32_e32 v105, v104, v106
	v_add_f32_e32 v8, v8, v103
	v_add_f32_e32 v2, v2, v105
	s_andn2_b32 exec_lo, exec_lo, s5
	s_cbranch_execnz .LBB110_153
; %bb.154:
	s_or_b32 exec_lo, exec_lo, s5
	v_mov_b32_e32 v5, 0
	ds_read_b64 v[5:6], v5 offset:280
	s_waitcnt lgkmcnt(0)
	v_mul_f32_e32 v7, v2, v6
	v_mul_f32_e32 v6, v8, v6
	v_fma_f32 v7, v8, v5, -v7
	v_fmac_f32_e32 v6, v2, v5
	buffer_store_dword v7, off, s[0:3], 0 offset:280
	buffer_store_dword v6, off, s[0:3], 0 offset:284
.LBB110_155:
	s_or_b32 exec_lo, exec_lo, s4
	s_waitcnt_vscnt null, 0x0
	s_barrier
	buffer_gl0_inv
	s_clause 0x1
	buffer_load_dword v5, off, s[0:3], 0 offset:288
	buffer_load_dword v6, off, s[0:3], 0 offset:292
	s_mov_b32 s4, exec_lo
	s_waitcnt vmcnt(0)
	ds_write_b64 v4, v[5:6]
	s_waitcnt lgkmcnt(0)
	s_barrier
	buffer_gl0_inv
	v_cmpx_gt_u32_e32 36, v0
	s_cbranch_execz .LBB110_159
; %bb.156:
	v_add_nc_u32_e32 v5, -1, v0
	v_add_nc_u32_e32 v6, 0x180, v3
	v_mov_b32_e32 v7, v3
	v_mov_b32_e32 v2, 0
	;; [unrolled: 1-line block ×3, first 2 shown]
	s_mov_b32 s5, 0
	.p2align	6
.LBB110_157:                            ; =>This Inner Loop Header: Depth=1
	s_clause 0x1
	buffer_load_dword v105, v7, s[0:3], 0 offen offset:4
	buffer_load_dword v106, v7, s[0:3], 0 offen
	ds_read_b64 v[103:104], v6
	v_add_nc_u32_e32 v5, 1, v5
	v_add_nc_u32_e32 v6, 8, v6
	;; [unrolled: 1-line block ×3, first 2 shown]
	v_cmp_lt_u32_e32 vcc_lo, 34, v5
	s_or_b32 s5, vcc_lo, s5
	s_waitcnt vmcnt(1) lgkmcnt(0)
	v_mul_f32_e32 v107, v104, v105
	v_mul_f32_e32 v105, v103, v105
	s_waitcnt vmcnt(0)
	v_fma_f32 v103, v103, v106, -v107
	v_fmac_f32_e32 v105, v104, v106
	v_add_f32_e32 v8, v8, v103
	v_add_f32_e32 v2, v2, v105
	s_andn2_b32 exec_lo, exec_lo, s5
	s_cbranch_execnz .LBB110_157
; %bb.158:
	s_or_b32 exec_lo, exec_lo, s5
	v_mov_b32_e32 v5, 0
	ds_read_b64 v[5:6], v5 offset:288
	s_waitcnt lgkmcnt(0)
	v_mul_f32_e32 v7, v2, v6
	v_mul_f32_e32 v6, v8, v6
	v_fma_f32 v7, v8, v5, -v7
	v_fmac_f32_e32 v6, v2, v5
	buffer_store_dword v7, off, s[0:3], 0 offset:288
	buffer_store_dword v6, off, s[0:3], 0 offset:292
.LBB110_159:
	s_or_b32 exec_lo, exec_lo, s4
	s_waitcnt_vscnt null, 0x0
	s_barrier
	buffer_gl0_inv
	s_clause 0x1
	buffer_load_dword v5, off, s[0:3], 0 offset:296
	buffer_load_dword v6, off, s[0:3], 0 offset:300
	s_mov_b32 s4, exec_lo
	s_waitcnt vmcnt(0)
	ds_write_b64 v4, v[5:6]
	s_waitcnt lgkmcnt(0)
	s_barrier
	buffer_gl0_inv
	v_cmpx_gt_u32_e32 37, v0
	s_cbranch_execz .LBB110_163
; %bb.160:
	v_add_nc_u32_e32 v5, -1, v0
	v_add_nc_u32_e32 v6, 0x180, v3
	v_mov_b32_e32 v7, v3
	v_mov_b32_e32 v2, 0
	;; [unrolled: 1-line block ×3, first 2 shown]
	s_mov_b32 s5, 0
	.p2align	6
.LBB110_161:                            ; =>This Inner Loop Header: Depth=1
	s_clause 0x1
	buffer_load_dword v105, v7, s[0:3], 0 offen offset:4
	buffer_load_dword v106, v7, s[0:3], 0 offen
	ds_read_b64 v[103:104], v6
	v_add_nc_u32_e32 v5, 1, v5
	v_add_nc_u32_e32 v6, 8, v6
	;; [unrolled: 1-line block ×3, first 2 shown]
	v_cmp_lt_u32_e32 vcc_lo, 35, v5
	s_or_b32 s5, vcc_lo, s5
	s_waitcnt vmcnt(1) lgkmcnt(0)
	v_mul_f32_e32 v107, v104, v105
	v_mul_f32_e32 v105, v103, v105
	s_waitcnt vmcnt(0)
	v_fma_f32 v103, v103, v106, -v107
	v_fmac_f32_e32 v105, v104, v106
	v_add_f32_e32 v8, v8, v103
	v_add_f32_e32 v2, v2, v105
	s_andn2_b32 exec_lo, exec_lo, s5
	s_cbranch_execnz .LBB110_161
; %bb.162:
	s_or_b32 exec_lo, exec_lo, s5
	v_mov_b32_e32 v5, 0
	ds_read_b64 v[5:6], v5 offset:296
	s_waitcnt lgkmcnt(0)
	v_mul_f32_e32 v7, v2, v6
	v_mul_f32_e32 v6, v8, v6
	v_fma_f32 v7, v8, v5, -v7
	v_fmac_f32_e32 v6, v2, v5
	buffer_store_dword v7, off, s[0:3], 0 offset:296
	buffer_store_dword v6, off, s[0:3], 0 offset:300
.LBB110_163:
	s_or_b32 exec_lo, exec_lo, s4
	s_waitcnt_vscnt null, 0x0
	s_barrier
	buffer_gl0_inv
	s_clause 0x1
	buffer_load_dword v5, off, s[0:3], 0 offset:304
	buffer_load_dword v6, off, s[0:3], 0 offset:308
	s_mov_b32 s4, exec_lo
	s_waitcnt vmcnt(0)
	ds_write_b64 v4, v[5:6]
	s_waitcnt lgkmcnt(0)
	s_barrier
	buffer_gl0_inv
	v_cmpx_gt_u32_e32 38, v0
	s_cbranch_execz .LBB110_167
; %bb.164:
	v_add_nc_u32_e32 v5, -1, v0
	v_add_nc_u32_e32 v6, 0x180, v3
	v_mov_b32_e32 v7, v3
	v_mov_b32_e32 v2, 0
	v_mov_b32_e32 v8, 0
	s_mov_b32 s5, 0
	.p2align	6
.LBB110_165:                            ; =>This Inner Loop Header: Depth=1
	s_clause 0x1
	buffer_load_dword v105, v7, s[0:3], 0 offen offset:4
	buffer_load_dword v106, v7, s[0:3], 0 offen
	ds_read_b64 v[103:104], v6
	v_add_nc_u32_e32 v5, 1, v5
	v_add_nc_u32_e32 v6, 8, v6
	;; [unrolled: 1-line block ×3, first 2 shown]
	v_cmp_lt_u32_e32 vcc_lo, 36, v5
	s_or_b32 s5, vcc_lo, s5
	s_waitcnt vmcnt(1) lgkmcnt(0)
	v_mul_f32_e32 v107, v104, v105
	v_mul_f32_e32 v105, v103, v105
	s_waitcnt vmcnt(0)
	v_fma_f32 v103, v103, v106, -v107
	v_fmac_f32_e32 v105, v104, v106
	v_add_f32_e32 v8, v8, v103
	v_add_f32_e32 v2, v2, v105
	s_andn2_b32 exec_lo, exec_lo, s5
	s_cbranch_execnz .LBB110_165
; %bb.166:
	s_or_b32 exec_lo, exec_lo, s5
	v_mov_b32_e32 v5, 0
	ds_read_b64 v[5:6], v5 offset:304
	s_waitcnt lgkmcnt(0)
	v_mul_f32_e32 v7, v2, v6
	v_mul_f32_e32 v6, v8, v6
	v_fma_f32 v7, v8, v5, -v7
	v_fmac_f32_e32 v6, v2, v5
	buffer_store_dword v7, off, s[0:3], 0 offset:304
	buffer_store_dword v6, off, s[0:3], 0 offset:308
.LBB110_167:
	s_or_b32 exec_lo, exec_lo, s4
	s_waitcnt_vscnt null, 0x0
	s_barrier
	buffer_gl0_inv
	s_clause 0x1
	buffer_load_dword v5, off, s[0:3], 0 offset:312
	buffer_load_dword v6, off, s[0:3], 0 offset:316
	s_mov_b32 s4, exec_lo
	s_waitcnt vmcnt(0)
	ds_write_b64 v4, v[5:6]
	s_waitcnt lgkmcnt(0)
	s_barrier
	buffer_gl0_inv
	v_cmpx_gt_u32_e32 39, v0
	s_cbranch_execz .LBB110_171
; %bb.168:
	v_add_nc_u32_e32 v5, -1, v0
	v_add_nc_u32_e32 v6, 0x180, v3
	v_mov_b32_e32 v7, v3
	v_mov_b32_e32 v2, 0
	;; [unrolled: 1-line block ×3, first 2 shown]
	s_mov_b32 s5, 0
	.p2align	6
.LBB110_169:                            ; =>This Inner Loop Header: Depth=1
	s_clause 0x1
	buffer_load_dword v105, v7, s[0:3], 0 offen offset:4
	buffer_load_dword v106, v7, s[0:3], 0 offen
	ds_read_b64 v[103:104], v6
	v_add_nc_u32_e32 v5, 1, v5
	v_add_nc_u32_e32 v6, 8, v6
	;; [unrolled: 1-line block ×3, first 2 shown]
	v_cmp_lt_u32_e32 vcc_lo, 37, v5
	s_or_b32 s5, vcc_lo, s5
	s_waitcnt vmcnt(1) lgkmcnt(0)
	v_mul_f32_e32 v107, v104, v105
	v_mul_f32_e32 v105, v103, v105
	s_waitcnt vmcnt(0)
	v_fma_f32 v103, v103, v106, -v107
	v_fmac_f32_e32 v105, v104, v106
	v_add_f32_e32 v8, v8, v103
	v_add_f32_e32 v2, v2, v105
	s_andn2_b32 exec_lo, exec_lo, s5
	s_cbranch_execnz .LBB110_169
; %bb.170:
	s_or_b32 exec_lo, exec_lo, s5
	v_mov_b32_e32 v5, 0
	ds_read_b64 v[5:6], v5 offset:312
	s_waitcnt lgkmcnt(0)
	v_mul_f32_e32 v7, v2, v6
	v_mul_f32_e32 v6, v8, v6
	v_fma_f32 v7, v8, v5, -v7
	v_fmac_f32_e32 v6, v2, v5
	buffer_store_dword v7, off, s[0:3], 0 offset:312
	buffer_store_dword v6, off, s[0:3], 0 offset:316
.LBB110_171:
	s_or_b32 exec_lo, exec_lo, s4
	s_waitcnt_vscnt null, 0x0
	s_barrier
	buffer_gl0_inv
	s_clause 0x1
	buffer_load_dword v5, off, s[0:3], 0 offset:320
	buffer_load_dword v6, off, s[0:3], 0 offset:324
	s_mov_b32 s4, exec_lo
	s_waitcnt vmcnt(0)
	ds_write_b64 v4, v[5:6]
	s_waitcnt lgkmcnt(0)
	s_barrier
	buffer_gl0_inv
	v_cmpx_gt_u32_e32 40, v0
	s_cbranch_execz .LBB110_175
; %bb.172:
	v_add_nc_u32_e32 v5, -1, v0
	v_add_nc_u32_e32 v6, 0x180, v3
	v_mov_b32_e32 v7, v3
	v_mov_b32_e32 v2, 0
	;; [unrolled: 1-line block ×3, first 2 shown]
	s_mov_b32 s5, 0
	.p2align	6
.LBB110_173:                            ; =>This Inner Loop Header: Depth=1
	s_clause 0x1
	buffer_load_dword v105, v7, s[0:3], 0 offen offset:4
	buffer_load_dword v106, v7, s[0:3], 0 offen
	ds_read_b64 v[103:104], v6
	v_add_nc_u32_e32 v5, 1, v5
	v_add_nc_u32_e32 v6, 8, v6
	;; [unrolled: 1-line block ×3, first 2 shown]
	v_cmp_lt_u32_e32 vcc_lo, 38, v5
	s_or_b32 s5, vcc_lo, s5
	s_waitcnt vmcnt(1) lgkmcnt(0)
	v_mul_f32_e32 v107, v104, v105
	v_mul_f32_e32 v105, v103, v105
	s_waitcnt vmcnt(0)
	v_fma_f32 v103, v103, v106, -v107
	v_fmac_f32_e32 v105, v104, v106
	v_add_f32_e32 v8, v8, v103
	v_add_f32_e32 v2, v2, v105
	s_andn2_b32 exec_lo, exec_lo, s5
	s_cbranch_execnz .LBB110_173
; %bb.174:
	s_or_b32 exec_lo, exec_lo, s5
	v_mov_b32_e32 v5, 0
	ds_read_b64 v[5:6], v5 offset:320
	s_waitcnt lgkmcnt(0)
	v_mul_f32_e32 v7, v2, v6
	v_mul_f32_e32 v6, v8, v6
	v_fma_f32 v7, v8, v5, -v7
	v_fmac_f32_e32 v6, v2, v5
	buffer_store_dword v7, off, s[0:3], 0 offset:320
	buffer_store_dword v6, off, s[0:3], 0 offset:324
.LBB110_175:
	s_or_b32 exec_lo, exec_lo, s4
	s_waitcnt_vscnt null, 0x0
	s_barrier
	buffer_gl0_inv
	s_clause 0x1
	buffer_load_dword v5, off, s[0:3], 0 offset:328
	buffer_load_dword v6, off, s[0:3], 0 offset:332
	s_mov_b32 s4, exec_lo
	s_waitcnt vmcnt(0)
	ds_write_b64 v4, v[5:6]
	s_waitcnt lgkmcnt(0)
	s_barrier
	buffer_gl0_inv
	v_cmpx_gt_u32_e32 41, v0
	s_cbranch_execz .LBB110_179
; %bb.176:
	v_add_nc_u32_e32 v5, -1, v0
	v_add_nc_u32_e32 v6, 0x180, v3
	v_mov_b32_e32 v7, v3
	v_mov_b32_e32 v2, 0
	;; [unrolled: 1-line block ×3, first 2 shown]
	s_mov_b32 s5, 0
	.p2align	6
.LBB110_177:                            ; =>This Inner Loop Header: Depth=1
	s_clause 0x1
	buffer_load_dword v105, v7, s[0:3], 0 offen offset:4
	buffer_load_dword v106, v7, s[0:3], 0 offen
	ds_read_b64 v[103:104], v6
	v_add_nc_u32_e32 v5, 1, v5
	v_add_nc_u32_e32 v6, 8, v6
	v_add_nc_u32_e32 v7, 8, v7
	v_cmp_lt_u32_e32 vcc_lo, 39, v5
	s_or_b32 s5, vcc_lo, s5
	s_waitcnt vmcnt(1) lgkmcnt(0)
	v_mul_f32_e32 v107, v104, v105
	v_mul_f32_e32 v105, v103, v105
	s_waitcnt vmcnt(0)
	v_fma_f32 v103, v103, v106, -v107
	v_fmac_f32_e32 v105, v104, v106
	v_add_f32_e32 v8, v8, v103
	v_add_f32_e32 v2, v2, v105
	s_andn2_b32 exec_lo, exec_lo, s5
	s_cbranch_execnz .LBB110_177
; %bb.178:
	s_or_b32 exec_lo, exec_lo, s5
	v_mov_b32_e32 v5, 0
	ds_read_b64 v[5:6], v5 offset:328
	s_waitcnt lgkmcnt(0)
	v_mul_f32_e32 v7, v2, v6
	v_mul_f32_e32 v6, v8, v6
	v_fma_f32 v7, v8, v5, -v7
	v_fmac_f32_e32 v6, v2, v5
	buffer_store_dword v7, off, s[0:3], 0 offset:328
	buffer_store_dword v6, off, s[0:3], 0 offset:332
.LBB110_179:
	s_or_b32 exec_lo, exec_lo, s4
	s_waitcnt_vscnt null, 0x0
	s_barrier
	buffer_gl0_inv
	s_clause 0x1
	buffer_load_dword v5, off, s[0:3], 0 offset:336
	buffer_load_dword v6, off, s[0:3], 0 offset:340
	s_mov_b32 s4, exec_lo
	s_waitcnt vmcnt(0)
	ds_write_b64 v4, v[5:6]
	s_waitcnt lgkmcnt(0)
	s_barrier
	buffer_gl0_inv
	v_cmpx_gt_u32_e32 42, v0
	s_cbranch_execz .LBB110_183
; %bb.180:
	v_add_nc_u32_e32 v5, -1, v0
	v_add_nc_u32_e32 v6, 0x180, v3
	v_mov_b32_e32 v7, v3
	v_mov_b32_e32 v2, 0
	;; [unrolled: 1-line block ×3, first 2 shown]
	s_mov_b32 s5, 0
	.p2align	6
.LBB110_181:                            ; =>This Inner Loop Header: Depth=1
	s_clause 0x1
	buffer_load_dword v105, v7, s[0:3], 0 offen offset:4
	buffer_load_dword v106, v7, s[0:3], 0 offen
	ds_read_b64 v[103:104], v6
	v_add_nc_u32_e32 v5, 1, v5
	v_add_nc_u32_e32 v6, 8, v6
	;; [unrolled: 1-line block ×3, first 2 shown]
	v_cmp_lt_u32_e32 vcc_lo, 40, v5
	s_or_b32 s5, vcc_lo, s5
	s_waitcnt vmcnt(1) lgkmcnt(0)
	v_mul_f32_e32 v107, v104, v105
	v_mul_f32_e32 v105, v103, v105
	s_waitcnt vmcnt(0)
	v_fma_f32 v103, v103, v106, -v107
	v_fmac_f32_e32 v105, v104, v106
	v_add_f32_e32 v8, v8, v103
	v_add_f32_e32 v2, v2, v105
	s_andn2_b32 exec_lo, exec_lo, s5
	s_cbranch_execnz .LBB110_181
; %bb.182:
	s_or_b32 exec_lo, exec_lo, s5
	v_mov_b32_e32 v5, 0
	ds_read_b64 v[5:6], v5 offset:336
	s_waitcnt lgkmcnt(0)
	v_mul_f32_e32 v7, v2, v6
	v_mul_f32_e32 v6, v8, v6
	v_fma_f32 v7, v8, v5, -v7
	v_fmac_f32_e32 v6, v2, v5
	buffer_store_dword v7, off, s[0:3], 0 offset:336
	buffer_store_dword v6, off, s[0:3], 0 offset:340
.LBB110_183:
	s_or_b32 exec_lo, exec_lo, s4
	s_waitcnt_vscnt null, 0x0
	s_barrier
	buffer_gl0_inv
	s_clause 0x1
	buffer_load_dword v5, off, s[0:3], 0 offset:344
	buffer_load_dword v6, off, s[0:3], 0 offset:348
	s_mov_b32 s4, exec_lo
	s_waitcnt vmcnt(0)
	ds_write_b64 v4, v[5:6]
	s_waitcnt lgkmcnt(0)
	s_barrier
	buffer_gl0_inv
	v_cmpx_gt_u32_e32 43, v0
	s_cbranch_execz .LBB110_187
; %bb.184:
	v_add_nc_u32_e32 v5, -1, v0
	v_add_nc_u32_e32 v6, 0x180, v3
	v_mov_b32_e32 v7, v3
	v_mov_b32_e32 v2, 0
	;; [unrolled: 1-line block ×3, first 2 shown]
	s_mov_b32 s5, 0
	.p2align	6
.LBB110_185:                            ; =>This Inner Loop Header: Depth=1
	s_clause 0x1
	buffer_load_dword v105, v7, s[0:3], 0 offen offset:4
	buffer_load_dword v106, v7, s[0:3], 0 offen
	ds_read_b64 v[103:104], v6
	v_add_nc_u32_e32 v5, 1, v5
	v_add_nc_u32_e32 v6, 8, v6
	;; [unrolled: 1-line block ×3, first 2 shown]
	v_cmp_lt_u32_e32 vcc_lo, 41, v5
	s_or_b32 s5, vcc_lo, s5
	s_waitcnt vmcnt(1) lgkmcnt(0)
	v_mul_f32_e32 v107, v104, v105
	v_mul_f32_e32 v105, v103, v105
	s_waitcnt vmcnt(0)
	v_fma_f32 v103, v103, v106, -v107
	v_fmac_f32_e32 v105, v104, v106
	v_add_f32_e32 v8, v8, v103
	v_add_f32_e32 v2, v2, v105
	s_andn2_b32 exec_lo, exec_lo, s5
	s_cbranch_execnz .LBB110_185
; %bb.186:
	s_or_b32 exec_lo, exec_lo, s5
	v_mov_b32_e32 v5, 0
	ds_read_b64 v[5:6], v5 offset:344
	s_waitcnt lgkmcnt(0)
	v_mul_f32_e32 v7, v2, v6
	v_mul_f32_e32 v6, v8, v6
	v_fma_f32 v7, v8, v5, -v7
	v_fmac_f32_e32 v6, v2, v5
	buffer_store_dword v7, off, s[0:3], 0 offset:344
	buffer_store_dword v6, off, s[0:3], 0 offset:348
.LBB110_187:
	s_or_b32 exec_lo, exec_lo, s4
	s_waitcnt_vscnt null, 0x0
	s_barrier
	buffer_gl0_inv
	s_clause 0x1
	buffer_load_dword v5, off, s[0:3], 0 offset:352
	buffer_load_dword v6, off, s[0:3], 0 offset:356
	s_mov_b32 s4, exec_lo
	s_waitcnt vmcnt(0)
	ds_write_b64 v4, v[5:6]
	s_waitcnt lgkmcnt(0)
	s_barrier
	buffer_gl0_inv
	v_cmpx_gt_u32_e32 44, v0
	s_cbranch_execz .LBB110_191
; %bb.188:
	v_add_nc_u32_e32 v5, -1, v0
	v_add_nc_u32_e32 v6, 0x180, v3
	v_mov_b32_e32 v7, v3
	v_mov_b32_e32 v2, 0
	;; [unrolled: 1-line block ×3, first 2 shown]
	s_mov_b32 s5, 0
	.p2align	6
.LBB110_189:                            ; =>This Inner Loop Header: Depth=1
	s_clause 0x1
	buffer_load_dword v105, v7, s[0:3], 0 offen offset:4
	buffer_load_dword v106, v7, s[0:3], 0 offen
	ds_read_b64 v[103:104], v6
	v_add_nc_u32_e32 v5, 1, v5
	v_add_nc_u32_e32 v6, 8, v6
	;; [unrolled: 1-line block ×3, first 2 shown]
	v_cmp_lt_u32_e32 vcc_lo, 42, v5
	s_or_b32 s5, vcc_lo, s5
	s_waitcnt vmcnt(1) lgkmcnt(0)
	v_mul_f32_e32 v107, v104, v105
	v_mul_f32_e32 v105, v103, v105
	s_waitcnt vmcnt(0)
	v_fma_f32 v103, v103, v106, -v107
	v_fmac_f32_e32 v105, v104, v106
	v_add_f32_e32 v8, v8, v103
	v_add_f32_e32 v2, v2, v105
	s_andn2_b32 exec_lo, exec_lo, s5
	s_cbranch_execnz .LBB110_189
; %bb.190:
	s_or_b32 exec_lo, exec_lo, s5
	v_mov_b32_e32 v5, 0
	ds_read_b64 v[5:6], v5 offset:352
	s_waitcnt lgkmcnt(0)
	v_mul_f32_e32 v7, v2, v6
	v_mul_f32_e32 v6, v8, v6
	v_fma_f32 v7, v8, v5, -v7
	v_fmac_f32_e32 v6, v2, v5
	buffer_store_dword v7, off, s[0:3], 0 offset:352
	buffer_store_dword v6, off, s[0:3], 0 offset:356
.LBB110_191:
	s_or_b32 exec_lo, exec_lo, s4
	s_waitcnt_vscnt null, 0x0
	s_barrier
	buffer_gl0_inv
	s_clause 0x1
	buffer_load_dword v5, off, s[0:3], 0 offset:360
	buffer_load_dword v6, off, s[0:3], 0 offset:364
	s_mov_b32 s4, exec_lo
	s_waitcnt vmcnt(0)
	ds_write_b64 v4, v[5:6]
	s_waitcnt lgkmcnt(0)
	s_barrier
	buffer_gl0_inv
	v_cmpx_gt_u32_e32 45, v0
	s_cbranch_execz .LBB110_195
; %bb.192:
	v_add_nc_u32_e32 v5, -1, v0
	v_add_nc_u32_e32 v6, 0x180, v3
	v_mov_b32_e32 v7, v3
	v_mov_b32_e32 v2, 0
	;; [unrolled: 1-line block ×3, first 2 shown]
	s_mov_b32 s5, 0
	.p2align	6
.LBB110_193:                            ; =>This Inner Loop Header: Depth=1
	s_clause 0x1
	buffer_load_dword v105, v7, s[0:3], 0 offen offset:4
	buffer_load_dword v106, v7, s[0:3], 0 offen
	ds_read_b64 v[103:104], v6
	v_add_nc_u32_e32 v5, 1, v5
	v_add_nc_u32_e32 v6, 8, v6
	;; [unrolled: 1-line block ×3, first 2 shown]
	v_cmp_lt_u32_e32 vcc_lo, 43, v5
	s_or_b32 s5, vcc_lo, s5
	s_waitcnt vmcnt(1) lgkmcnt(0)
	v_mul_f32_e32 v107, v104, v105
	v_mul_f32_e32 v105, v103, v105
	s_waitcnt vmcnt(0)
	v_fma_f32 v103, v103, v106, -v107
	v_fmac_f32_e32 v105, v104, v106
	v_add_f32_e32 v8, v8, v103
	v_add_f32_e32 v2, v2, v105
	s_andn2_b32 exec_lo, exec_lo, s5
	s_cbranch_execnz .LBB110_193
; %bb.194:
	s_or_b32 exec_lo, exec_lo, s5
	v_mov_b32_e32 v5, 0
	ds_read_b64 v[5:6], v5 offset:360
	s_waitcnt lgkmcnt(0)
	v_mul_f32_e32 v7, v2, v6
	v_mul_f32_e32 v6, v8, v6
	v_fma_f32 v7, v8, v5, -v7
	v_fmac_f32_e32 v6, v2, v5
	buffer_store_dword v7, off, s[0:3], 0 offset:360
	buffer_store_dword v6, off, s[0:3], 0 offset:364
.LBB110_195:
	s_or_b32 exec_lo, exec_lo, s4
	s_waitcnt_vscnt null, 0x0
	s_barrier
	buffer_gl0_inv
	s_clause 0x1
	buffer_load_dword v5, off, s[0:3], 0 offset:368
	buffer_load_dword v6, off, s[0:3], 0 offset:372
	s_mov_b32 s4, exec_lo
	s_waitcnt vmcnt(0)
	ds_write_b64 v4, v[5:6]
	s_waitcnt lgkmcnt(0)
	s_barrier
	buffer_gl0_inv
	v_cmpx_ne_u32_e32 46, v0
	s_cbranch_execz .LBB110_199
; %bb.196:
	v_mov_b32_e32 v2, 0
	v_mov_b32_e32 v5, 0
	s_mov_b32 s5, 0
	.p2align	6
.LBB110_197:                            ; =>This Inner Loop Header: Depth=1
	s_clause 0x1
	buffer_load_dword v8, v3, s[0:3], 0 offen offset:4
	buffer_load_dword v103, v3, s[0:3], 0 offen
	ds_read_b64 v[6:7], v4
	v_add_nc_u32_e32 v1, 1, v1
	v_add_nc_u32_e32 v4, 8, v4
	;; [unrolled: 1-line block ×3, first 2 shown]
	v_cmp_lt_u32_e32 vcc_lo, 44, v1
	s_or_b32 s5, vcc_lo, s5
	s_waitcnt vmcnt(1) lgkmcnt(0)
	v_mul_f32_e32 v104, v7, v8
	v_mul_f32_e32 v8, v6, v8
	s_waitcnt vmcnt(0)
	v_fma_f32 v6, v6, v103, -v104
	v_fmac_f32_e32 v8, v7, v103
	v_add_f32_e32 v5, v5, v6
	v_add_f32_e32 v2, v2, v8
	s_andn2_b32 exec_lo, exec_lo, s5
	s_cbranch_execnz .LBB110_197
; %bb.198:
	s_or_b32 exec_lo, exec_lo, s5
	v_mov_b32_e32 v1, 0
	ds_read_b64 v[3:4], v1 offset:368
	s_waitcnt lgkmcnt(0)
	v_mul_f32_e32 v1, v2, v4
	v_mul_f32_e32 v4, v5, v4
	v_fma_f32 v1, v5, v3, -v1
	v_fmac_f32_e32 v4, v2, v3
	buffer_store_dword v1, off, s[0:3], 0 offset:368
	buffer_store_dword v4, off, s[0:3], 0 offset:372
.LBB110_199:
	s_or_b32 exec_lo, exec_lo, s4
	s_mov_b32 s5, -1
	s_waitcnt_vscnt null, 0x0
	s_barrier
	buffer_gl0_inv
.LBB110_200:
	s_and_b32 vcc_lo, exec_lo, s5
	s_cbranch_vccz .LBB110_202
; %bb.201:
	s_lshl_b64 s[4:5], s[6:7], 2
	v_mov_b32_e32 v1, 0
	s_add_u32 s4, s10, s4
	s_addc_u32 s5, s11, s5
	global_load_dword v1, v1, s[4:5]
	s_waitcnt vmcnt(0)
	v_cmp_ne_u32_e32 vcc_lo, 0, v1
	s_cbranch_vccz .LBB110_203
.LBB110_202:
	s_endpgm
.LBB110_203:
	v_lshl_add_u32 v103, v0, 3, 0x180
	s_mov_b32 s4, exec_lo
	v_cmpx_eq_u32_e32 46, v0
	s_cbranch_execz .LBB110_205
; %bb.204:
	s_clause 0x1
	buffer_load_dword v1, off, s[0:3], 0 offset:360
	buffer_load_dword v2, off, s[0:3], 0 offset:364
	v_mov_b32_e32 v3, 0
	buffer_store_dword v3, off, s[0:3], 0 offset:360
	buffer_store_dword v3, off, s[0:3], 0 offset:364
	s_waitcnt vmcnt(0)
	ds_write_b64 v103, v[1:2]
.LBB110_205:
	s_or_b32 exec_lo, exec_lo, s4
	s_waitcnt lgkmcnt(0)
	s_waitcnt_vscnt null, 0x0
	s_barrier
	buffer_gl0_inv
	s_clause 0x3
	buffer_load_dword v4, off, s[0:3], 0 offset:372
	buffer_load_dword v5, off, s[0:3], 0 offset:368
	;; [unrolled: 1-line block ×4, first 2 shown]
	v_mov_b32_e32 v1, 0
	s_mov_b32 s4, exec_lo
	ds_read_b64 v[2:3], v1 offset:752
	s_waitcnt vmcnt(3) lgkmcnt(0)
	v_mul_f32_e32 v8, v3, v4
	v_mul_f32_e32 v4, v2, v4
	s_waitcnt vmcnt(2)
	v_fma_f32 v2, v2, v5, -v8
	v_fmac_f32_e32 v4, v3, v5
	v_add_f32_e32 v2, 0, v2
	v_add_f32_e32 v3, 0, v4
	s_waitcnt vmcnt(1)
	v_sub_f32_e32 v2, v6, v2
	s_waitcnt vmcnt(0)
	v_sub_f32_e32 v3, v7, v3
	buffer_store_dword v2, off, s[0:3], 0 offset:360
	buffer_store_dword v3, off, s[0:3], 0 offset:364
	v_cmpx_lt_u32_e32 44, v0
	s_cbranch_execz .LBB110_207
; %bb.206:
	s_clause 0x1
	buffer_load_dword v2, off, s[0:3], 0 offset:352
	buffer_load_dword v3, off, s[0:3], 0 offset:356
	buffer_store_dword v1, off, s[0:3], 0 offset:352
	buffer_store_dword v1, off, s[0:3], 0 offset:356
	s_waitcnt vmcnt(0)
	ds_write_b64 v103, v[2:3]
.LBB110_207:
	s_or_b32 exec_lo, exec_lo, s4
	s_waitcnt lgkmcnt(0)
	s_waitcnt_vscnt null, 0x0
	s_barrier
	buffer_gl0_inv
	s_clause 0x5
	buffer_load_dword v5, off, s[0:3], 0 offset:364
	buffer_load_dword v6, off, s[0:3], 0 offset:372
	;; [unrolled: 1-line block ×6, first 2 shown]
	ds_read2_b64 v[1:4], v1 offset0:93 offset1:94
	s_mov_b32 s4, exec_lo
	s_waitcnt vmcnt(5) lgkmcnt(0)
	v_mul_f32_e32 v106, v2, v5
	v_mul_f32_e32 v5, v1, v5
	s_waitcnt vmcnt(4)
	v_mul_f32_e32 v107, v3, v6
	v_mul_f32_e32 v6, v4, v6
	s_waitcnt vmcnt(3)
	v_fma_f32 v1, v1, v7, -v106
	v_fmac_f32_e32 v5, v2, v7
	s_waitcnt vmcnt(2)
	v_fmac_f32_e32 v107, v4, v8
	v_fma_f32 v2, v3, v8, -v6
	v_add_f32_e32 v1, 0, v1
	v_add_f32_e32 v3, 0, v5
	;; [unrolled: 1-line block ×4, first 2 shown]
	s_waitcnt vmcnt(1)
	v_sub_f32_e32 v1, v104, v1
	s_waitcnt vmcnt(0)
	v_sub_f32_e32 v2, v105, v2
	buffer_store_dword v1, off, s[0:3], 0 offset:352
	buffer_store_dword v2, off, s[0:3], 0 offset:356
	v_cmpx_lt_u32_e32 43, v0
	s_cbranch_execz .LBB110_209
; %bb.208:
	s_clause 0x1
	buffer_load_dword v1, off, s[0:3], 0 offset:344
	buffer_load_dword v2, off, s[0:3], 0 offset:348
	v_mov_b32_e32 v3, 0
	buffer_store_dword v3, off, s[0:3], 0 offset:344
	buffer_store_dword v3, off, s[0:3], 0 offset:348
	s_waitcnt vmcnt(0)
	ds_write_b64 v103, v[1:2]
.LBB110_209:
	s_or_b32 exec_lo, exec_lo, s4
	s_waitcnt lgkmcnt(0)
	s_waitcnt_vscnt null, 0x0
	s_barrier
	buffer_gl0_inv
	s_clause 0x7
	buffer_load_dword v8, off, s[0:3], 0 offset:356
	buffer_load_dword v104, off, s[0:3], 0 offset:364
	;; [unrolled: 1-line block ×8, first 2 shown]
	v_mov_b32_e32 v1, 0
	ds_read_b128 v[2:5], v1 offset:736
	ds_read_b64 v[6:7], v1 offset:752
	s_mov_b32 s4, exec_lo
	s_waitcnt vmcnt(7) lgkmcnt(1)
	v_mul_f32_e32 v111, v3, v8
	v_mul_f32_e32 v8, v2, v8
	s_waitcnt vmcnt(6)
	v_mul_f32_e32 v112, v4, v104
	v_mul_f32_e32 v104, v5, v104
	s_waitcnt vmcnt(5) lgkmcnt(0)
	v_mul_f32_e32 v113, v6, v105
	s_waitcnt vmcnt(4)
	v_fma_f32 v2, v2, v106, -v111
	v_fmac_f32_e32 v8, v3, v106
	v_mul_f32_e32 v3, v7, v105
	s_waitcnt vmcnt(3)
	v_fma_f32 v4, v4, v107, -v104
	v_fmac_f32_e32 v112, v5, v107
	v_add_f32_e32 v2, 0, v2
	v_add_f32_e32 v5, 0, v8
	s_waitcnt vmcnt(2)
	v_fma_f32 v3, v6, v108, -v3
	v_fmac_f32_e32 v113, v7, v108
	v_add_f32_e32 v2, v2, v4
	v_add_f32_e32 v4, v5, v112
	;; [unrolled: 1-line block ×4, first 2 shown]
	s_waitcnt vmcnt(1)
	v_sub_f32_e32 v2, v109, v2
	s_waitcnt vmcnt(0)
	v_sub_f32_e32 v3, v110, v3
	buffer_store_dword v2, off, s[0:3], 0 offset:344
	buffer_store_dword v3, off, s[0:3], 0 offset:348
	v_cmpx_lt_u32_e32 42, v0
	s_cbranch_execz .LBB110_211
; %bb.210:
	s_clause 0x1
	buffer_load_dword v2, off, s[0:3], 0 offset:336
	buffer_load_dword v3, off, s[0:3], 0 offset:340
	buffer_store_dword v1, off, s[0:3], 0 offset:336
	buffer_store_dword v1, off, s[0:3], 0 offset:340
	s_waitcnt vmcnt(0)
	ds_write_b64 v103, v[2:3]
.LBB110_211:
	s_or_b32 exec_lo, exec_lo, s4
	s_waitcnt lgkmcnt(0)
	s_waitcnt_vscnt null, 0x0
	s_barrier
	buffer_gl0_inv
	s_clause 0x9
	buffer_load_dword v6, off, s[0:3], 0 offset:348
	buffer_load_dword v7, off, s[0:3], 0 offset:356
	;; [unrolled: 1-line block ×10, first 2 shown]
	ds_read2_b64 v[2:5], v1 offset0:91 offset1:92
	ds_read2_b64 v[104:107], v1 offset0:93 offset1:94
	s_mov_b32 s4, exec_lo
	s_waitcnt vmcnt(9) lgkmcnt(1)
	v_mul_f32_e32 v1, v2, v6
	v_mul_f32_e32 v6, v3, v6
	s_waitcnt vmcnt(8)
	v_mul_f32_e32 v115, v4, v7
	v_mul_f32_e32 v7, v5, v7
	s_waitcnt vmcnt(7) lgkmcnt(0)
	v_mul_f32_e32 v116, v104, v8
	s_waitcnt vmcnt(5)
	v_fmac_f32_e32 v1, v3, v109
	v_fma_f32 v2, v2, v109, -v6
	v_mul_f32_e32 v3, v105, v8
	s_waitcnt vmcnt(4)
	v_fma_f32 v4, v4, v110, -v7
	v_fmac_f32_e32 v115, v5, v110
	v_add_f32_e32 v1, 0, v1
	v_add_f32_e32 v2, 0, v2
	v_mul_f32_e32 v5, v107, v108
	s_waitcnt vmcnt(3)
	v_fma_f32 v3, v104, v111, -v3
	v_mul_f32_e32 v117, v106, v108
	v_fmac_f32_e32 v116, v105, v111
	v_add_f32_e32 v2, v2, v4
	v_add_f32_e32 v1, v1, v115
	s_waitcnt vmcnt(2)
	v_fma_f32 v4, v106, v112, -v5
	v_fmac_f32_e32 v117, v107, v112
	v_add_f32_e32 v2, v2, v3
	v_add_f32_e32 v1, v1, v116
	;; [unrolled: 1-line block ×4, first 2 shown]
	s_waitcnt vmcnt(1)
	v_sub_f32_e32 v2, v113, v2
	s_waitcnt vmcnt(0)
	v_sub_f32_e32 v1, v114, v1
	buffer_store_dword v2, off, s[0:3], 0 offset:336
	buffer_store_dword v1, off, s[0:3], 0 offset:340
	v_cmpx_lt_u32_e32 41, v0
	s_cbranch_execz .LBB110_213
; %bb.212:
	s_clause 0x1
	buffer_load_dword v1, off, s[0:3], 0 offset:328
	buffer_load_dword v2, off, s[0:3], 0 offset:332
	v_mov_b32_e32 v3, 0
	buffer_store_dword v3, off, s[0:3], 0 offset:328
	buffer_store_dword v3, off, s[0:3], 0 offset:332
	s_waitcnt vmcnt(0)
	ds_write_b64 v103, v[1:2]
.LBB110_213:
	s_or_b32 exec_lo, exec_lo, s4
	s_waitcnt lgkmcnt(0)
	s_waitcnt_vscnt null, 0x0
	s_barrier
	buffer_gl0_inv
	s_clause 0xb
	buffer_load_dword v8, off, s[0:3], 0 offset:340
	buffer_load_dword v108, off, s[0:3], 0 offset:348
	;; [unrolled: 1-line block ×12, first 2 shown]
	v_mov_b32_e32 v1, 0
	ds_read_b128 v[2:5], v1 offset:720
	ds_read_b128 v[104:107], v1 offset:736
	ds_read_b64 v[6:7], v1 offset:752
	s_mov_b32 s4, exec_lo
	s_waitcnt vmcnt(11) lgkmcnt(2)
	v_mul_f32_e32 v119, v2, v8
	v_mul_f32_e32 v8, v3, v8
	s_waitcnt vmcnt(10)
	v_mul_f32_e32 v120, v4, v108
	v_mul_f32_e32 v108, v5, v108
	s_waitcnt vmcnt(9) lgkmcnt(1)
	v_mul_f32_e32 v121, v104, v109
	s_waitcnt vmcnt(6)
	v_fmac_f32_e32 v119, v3, v112
	v_fma_f32 v2, v2, v112, -v8
	v_mul_f32_e32 v3, v105, v109
	s_waitcnt vmcnt(5)
	v_fma_f32 v4, v4, v113, -v108
	v_fmac_f32_e32 v120, v5, v113
	v_add_f32_e32 v5, 0, v119
	v_add_f32_e32 v2, 0, v2
	v_mul_f32_e32 v8, v107, v110
	s_waitcnt vmcnt(4)
	v_fma_f32 v3, v104, v114, -v3
	v_mul_f32_e32 v122, v106, v110
	v_fmac_f32_e32 v121, v105, v114
	v_add_f32_e32 v2, v2, v4
	v_add_f32_e32 v4, v5, v120
	s_waitcnt lgkmcnt(0)
	v_mul_f32_e32 v5, v7, v111
	s_waitcnt vmcnt(3)
	v_fma_f32 v8, v106, v115, -v8
	v_mul_f32_e32 v123, v6, v111
	v_add_f32_e32 v2, v2, v3
	v_fmac_f32_e32 v122, v107, v115
	v_add_f32_e32 v3, v4, v121
	s_waitcnt vmcnt(2)
	v_fma_f32 v4, v6, v116, -v5
	v_fmac_f32_e32 v123, v7, v116
	v_add_f32_e32 v2, v2, v8
	v_add_f32_e32 v3, v3, v122
	;; [unrolled: 1-line block ×4, first 2 shown]
	s_waitcnt vmcnt(1)
	v_sub_f32_e32 v2, v117, v2
	s_waitcnt vmcnt(0)
	v_sub_f32_e32 v3, v118, v3
	buffer_store_dword v2, off, s[0:3], 0 offset:328
	buffer_store_dword v3, off, s[0:3], 0 offset:332
	v_cmpx_lt_u32_e32 40, v0
	s_cbranch_execz .LBB110_215
; %bb.214:
	s_clause 0x1
	buffer_load_dword v2, off, s[0:3], 0 offset:320
	buffer_load_dword v3, off, s[0:3], 0 offset:324
	buffer_store_dword v1, off, s[0:3], 0 offset:320
	buffer_store_dword v1, off, s[0:3], 0 offset:324
	s_waitcnt vmcnt(0)
	ds_write_b64 v103, v[2:3]
.LBB110_215:
	s_or_b32 exec_lo, exec_lo, s4
	s_waitcnt lgkmcnt(0)
	s_waitcnt_vscnt null, 0x0
	s_barrier
	buffer_gl0_inv
	s_clause 0xd
	buffer_load_dword v6, off, s[0:3], 0 offset:332
	buffer_load_dword v7, off, s[0:3], 0 offset:340
	;; [unrolled: 1-line block ×14, first 2 shown]
	ds_read2_b64 v[2:5], v1 offset0:89 offset1:90
	ds_read2_b64 v[104:107], v1 offset0:91 offset1:92
	;; [unrolled: 1-line block ×3, first 2 shown]
	s_mov_b32 s4, exec_lo
	s_waitcnt vmcnt(13) lgkmcnt(2)
	v_mul_f32_e32 v1, v2, v6
	v_mul_f32_e32 v6, v3, v6
	s_waitcnt vmcnt(12)
	v_mul_f32_e32 v123, v4, v7
	v_mul_f32_e32 v7, v5, v7
	s_waitcnt vmcnt(11) lgkmcnt(1)
	v_mul_f32_e32 v124, v104, v8
	s_waitcnt vmcnt(10)
	v_mul_f32_e32 v125, v106, v112
	s_waitcnt vmcnt(7)
	v_fma_f32 v2, v2, v115, -v6
	v_fmac_f32_e32 v1, v3, v115
	v_mul_f32_e32 v3, v105, v8
	s_waitcnt vmcnt(6)
	v_fma_f32 v4, v4, v116, -v7
	v_fmac_f32_e32 v123, v5, v116
	v_add_f32_e32 v2, 0, v2
	v_add_f32_e32 v1, 0, v1
	v_mul_f32_e32 v5, v107, v112
	s_waitcnt vmcnt(5)
	v_fma_f32 v3, v104, v117, -v3
	v_fmac_f32_e32 v124, v105, v117
	v_add_f32_e32 v2, v2, v4
	v_add_f32_e32 v1, v1, v123
	s_waitcnt lgkmcnt(0)
	v_mul_f32_e32 v4, v109, v113
	s_waitcnt vmcnt(4)
	v_fma_f32 v5, v106, v118, -v5
	v_mul_f32_e32 v126, v108, v113
	v_add_f32_e32 v2, v2, v3
	v_fmac_f32_e32 v125, v107, v118
	v_add_f32_e32 v1, v1, v124
	v_mul_f32_e32 v3, v111, v114
	s_waitcnt vmcnt(3)
	v_fma_f32 v4, v108, v119, -v4
	v_add_f32_e32 v2, v2, v5
	v_mul_f32_e32 v127, v110, v114
	v_fmac_f32_e32 v126, v109, v119
	v_add_f32_e32 v1, v1, v125
	s_waitcnt vmcnt(2)
	v_fma_f32 v3, v110, v120, -v3
	v_add_f32_e32 v2, v2, v4
	v_fmac_f32_e32 v127, v111, v120
	v_add_f32_e32 v1, v1, v126
	v_add_f32_e32 v2, v2, v3
	v_add_f32_e32 v1, v1, v127
	s_waitcnt vmcnt(1)
	v_sub_f32_e32 v2, v121, v2
	s_waitcnt vmcnt(0)
	v_sub_f32_e32 v1, v122, v1
	buffer_store_dword v2, off, s[0:3], 0 offset:320
	buffer_store_dword v1, off, s[0:3], 0 offset:324
	v_cmpx_lt_u32_e32 39, v0
	s_cbranch_execz .LBB110_217
; %bb.216:
	s_clause 0x1
	buffer_load_dword v1, off, s[0:3], 0 offset:312
	buffer_load_dword v2, off, s[0:3], 0 offset:316
	v_mov_b32_e32 v3, 0
	buffer_store_dword v3, off, s[0:3], 0 offset:312
	buffer_store_dword v3, off, s[0:3], 0 offset:316
	s_waitcnt vmcnt(0)
	ds_write_b64 v103, v[1:2]
.LBB110_217:
	s_or_b32 exec_lo, exec_lo, s4
	s_waitcnt lgkmcnt(0)
	s_waitcnt_vscnt null, 0x0
	s_barrier
	buffer_gl0_inv
	s_clause 0xf
	buffer_load_dword v8, off, s[0:3], 0 offset:324
	buffer_load_dword v112, off, s[0:3], 0 offset:332
	;; [unrolled: 1-line block ×16, first 2 shown]
	v_mov_b32_e32 v1, 0
	ds_read_b128 v[2:5], v1 offset:704
	ds_read_b128 v[104:107], v1 offset:720
	;; [unrolled: 1-line block ×3, first 2 shown]
	ds_read_b64 v[6:7], v1 offset:752
	s_mov_b32 s4, exec_lo
	s_waitcnt vmcnt(15) lgkmcnt(3)
	v_mul_f32_e32 v127, v2, v8
	v_mul_f32_e32 v8, v3, v8
	s_waitcnt vmcnt(14)
	v_mul_f32_e32 v128, v4, v112
	v_mul_f32_e32 v112, v5, v112
	s_waitcnt vmcnt(13) lgkmcnt(2)
	v_mul_f32_e32 v129, v104, v113
	s_waitcnt vmcnt(12)
	v_mul_f32_e32 v130, v106, v114
	s_waitcnt vmcnt(11) lgkmcnt(1)
	v_mul_f32_e32 v131, v108, v115
	s_waitcnt vmcnt(8)
	v_fma_f32 v2, v2, v118, -v8
	v_fmac_f32_e32 v127, v3, v118
	v_mul_f32_e32 v3, v105, v113
	s_waitcnt vmcnt(7)
	v_fma_f32 v4, v4, v119, -v112
	v_fmac_f32_e32 v128, v5, v119
	v_add_f32_e32 v2, 0, v2
	v_add_f32_e32 v5, 0, v127
	v_mul_f32_e32 v8, v107, v114
	s_waitcnt vmcnt(6)
	v_fma_f32 v3, v104, v120, -v3
	v_fmac_f32_e32 v129, v105, v120
	v_add_f32_e32 v2, v2, v4
	v_add_f32_e32 v4, v5, v128
	;; [unrolled: 6-line block ×3, first 2 shown]
	v_mul_f32_e32 v4, v111, v116
	s_waitcnt vmcnt(4)
	v_fma_f32 v5, v108, v122, -v5
	v_mul_f32_e32 v132, v110, v116
	v_add_f32_e32 v2, v2, v8
	v_fmac_f32_e32 v131, v109, v122
	v_add_f32_e32 v3, v3, v130
	s_waitcnt lgkmcnt(0)
	v_mul_f32_e32 v8, v7, v117
	s_waitcnt vmcnt(3)
	v_fma_f32 v4, v110, v123, -v4
	v_add_f32_e32 v2, v2, v5
	v_mul_f32_e32 v133, v6, v117
	v_fmac_f32_e32 v132, v111, v123
	v_add_f32_e32 v3, v3, v131
	s_waitcnt vmcnt(2)
	v_fma_f32 v5, v6, v124, -v8
	v_add_f32_e32 v2, v2, v4
	v_fmac_f32_e32 v133, v7, v124
	v_add_f32_e32 v3, v3, v132
	v_add_f32_e32 v2, v2, v5
	;; [unrolled: 1-line block ×3, first 2 shown]
	s_waitcnt vmcnt(1)
	v_sub_f32_e32 v2, v125, v2
	s_waitcnt vmcnt(0)
	v_sub_f32_e32 v3, v126, v3
	buffer_store_dword v2, off, s[0:3], 0 offset:312
	buffer_store_dword v3, off, s[0:3], 0 offset:316
	v_cmpx_lt_u32_e32 38, v0
	s_cbranch_execz .LBB110_219
; %bb.218:
	s_clause 0x1
	buffer_load_dword v2, off, s[0:3], 0 offset:304
	buffer_load_dword v3, off, s[0:3], 0 offset:308
	buffer_store_dword v1, off, s[0:3], 0 offset:304
	buffer_store_dword v1, off, s[0:3], 0 offset:308
	s_waitcnt vmcnt(0)
	ds_write_b64 v103, v[2:3]
.LBB110_219:
	s_or_b32 exec_lo, exec_lo, s4
	s_waitcnt lgkmcnt(0)
	s_waitcnt_vscnt null, 0x0
	s_barrier
	buffer_gl0_inv
	s_clause 0x11
	buffer_load_dword v6, off, s[0:3], 0 offset:316
	buffer_load_dword v7, off, s[0:3], 0 offset:324
	;; [unrolled: 1-line block ×18, first 2 shown]
	ds_read2_b64 v[2:5], v1 offset0:87 offset1:88
	ds_read2_b64 v[104:107], v1 offset0:89 offset1:90
	;; [unrolled: 1-line block ×4, first 2 shown]
	s_mov_b32 s4, exec_lo
	s_waitcnt vmcnt(17) lgkmcnt(3)
	v_mul_f32_e32 v1, v2, v6
	v_mul_f32_e32 v6, v3, v6
	s_waitcnt vmcnt(16)
	v_mul_f32_e32 v131, v4, v7
	v_mul_f32_e32 v7, v5, v7
	s_waitcnt vmcnt(15) lgkmcnt(2)
	v_mul_f32_e32 v132, v104, v8
	s_waitcnt vmcnt(14)
	v_mul_f32_e32 v133, v106, v116
	s_waitcnt vmcnt(13) lgkmcnt(1)
	v_mul_f32_e32 v134, v108, v117
	s_waitcnt vmcnt(12)
	v_mul_f32_e32 v135, v110, v118
	s_waitcnt vmcnt(9)
	v_fma_f32 v2, v2, v121, -v6
	v_fmac_f32_e32 v1, v3, v121
	v_mul_f32_e32 v3, v105, v8
	s_waitcnt vmcnt(8)
	v_fma_f32 v4, v4, v122, -v7
	v_fmac_f32_e32 v131, v5, v122
	v_add_f32_e32 v2, 0, v2
	v_add_f32_e32 v1, 0, v1
	v_mul_f32_e32 v5, v107, v116
	s_waitcnt vmcnt(7)
	v_fma_f32 v3, v104, v123, -v3
	v_fmac_f32_e32 v132, v105, v123
	v_add_f32_e32 v2, v2, v4
	v_add_f32_e32 v1, v1, v131
	;; [unrolled: 6-line block ×4, first 2 shown]
	s_waitcnt lgkmcnt(0)
	v_mul_f32_e32 v5, v113, v119
	s_waitcnt vmcnt(4)
	v_fma_f32 v3, v110, v126, -v3
	v_mul_f32_e32 v136, v112, v119
	v_add_f32_e32 v2, v2, v4
	v_fmac_f32_e32 v135, v111, v126
	v_add_f32_e32 v1, v1, v134
	v_mul_f32_e32 v4, v115, v120
	s_waitcnt vmcnt(3)
	v_fma_f32 v5, v112, v127, -v5
	v_add_f32_e32 v2, v2, v3
	v_mul_f32_e32 v137, v114, v120
	v_fmac_f32_e32 v136, v113, v127
	v_add_f32_e32 v1, v1, v135
	s_waitcnt vmcnt(2)
	v_fma_f32 v3, v114, v128, -v4
	v_add_f32_e32 v2, v2, v5
	v_fmac_f32_e32 v137, v115, v128
	v_add_f32_e32 v1, v1, v136
	v_add_f32_e32 v2, v2, v3
	;; [unrolled: 1-line block ×3, first 2 shown]
	s_waitcnt vmcnt(1)
	v_sub_f32_e32 v2, v129, v2
	s_waitcnt vmcnt(0)
	v_sub_f32_e32 v1, v130, v1
	buffer_store_dword v2, off, s[0:3], 0 offset:304
	buffer_store_dword v1, off, s[0:3], 0 offset:308
	v_cmpx_lt_u32_e32 37, v0
	s_cbranch_execz .LBB110_221
; %bb.220:
	s_clause 0x1
	buffer_load_dword v1, off, s[0:3], 0 offset:296
	buffer_load_dword v2, off, s[0:3], 0 offset:300
	v_mov_b32_e32 v3, 0
	buffer_store_dword v3, off, s[0:3], 0 offset:296
	buffer_store_dword v3, off, s[0:3], 0 offset:300
	s_waitcnt vmcnt(0)
	ds_write_b64 v103, v[1:2]
.LBB110_221:
	s_or_b32 exec_lo, exec_lo, s4
	s_waitcnt lgkmcnt(0)
	s_waitcnt_vscnt null, 0x0
	s_barrier
	buffer_gl0_inv
	s_clause 0x13
	buffer_load_dword v8, off, s[0:3], 0 offset:308
	buffer_load_dword v116, off, s[0:3], 0 offset:316
	buffer_load_dword v117, off, s[0:3], 0 offset:324
	buffer_load_dword v118, off, s[0:3], 0 offset:332
	buffer_load_dword v119, off, s[0:3], 0 offset:340
	buffer_load_dword v120, off, s[0:3], 0 offset:348
	buffer_load_dword v121, off, s[0:3], 0 offset:356
	buffer_load_dword v122, off, s[0:3], 0 offset:364
	buffer_load_dword v123, off, s[0:3], 0 offset:372
	buffer_load_dword v124, off, s[0:3], 0 offset:304
	buffer_load_dword v125, off, s[0:3], 0 offset:312
	buffer_load_dword v126, off, s[0:3], 0 offset:320
	buffer_load_dword v127, off, s[0:3], 0 offset:328
	buffer_load_dword v128, off, s[0:3], 0 offset:336
	buffer_load_dword v129, off, s[0:3], 0 offset:344
	buffer_load_dword v130, off, s[0:3], 0 offset:352
	buffer_load_dword v131, off, s[0:3], 0 offset:360
	buffer_load_dword v132, off, s[0:3], 0 offset:368
	buffer_load_dword v133, off, s[0:3], 0 offset:296
	buffer_load_dword v134, off, s[0:3], 0 offset:300
	v_mov_b32_e32 v1, 0
	ds_read_b128 v[2:5], v1 offset:688
	ds_read_b128 v[104:107], v1 offset:704
	;; [unrolled: 1-line block ×4, first 2 shown]
	ds_read_b64 v[6:7], v1 offset:752
	s_mov_b32 s4, exec_lo
	s_waitcnt vmcnt(19) lgkmcnt(4)
	v_mul_f32_e32 v135, v2, v8
	v_mul_f32_e32 v8, v3, v8
	s_waitcnt vmcnt(18)
	v_mul_f32_e32 v136, v4, v116
	v_mul_f32_e32 v116, v5, v116
	s_waitcnt vmcnt(17) lgkmcnt(3)
	v_mul_f32_e32 v137, v104, v117
	s_waitcnt vmcnt(16)
	v_mul_f32_e32 v138, v106, v118
	s_waitcnt vmcnt(15) lgkmcnt(2)
	v_mul_f32_e32 v139, v108, v119
	s_waitcnt vmcnt(14)
	;; [unrolled: 4-line block ×3, first 2 shown]
	v_fma_f32 v2, v2, v124, -v8
	v_fmac_f32_e32 v135, v3, v124
	v_mul_f32_e32 v3, v105, v117
	s_waitcnt vmcnt(9)
	v_fma_f32 v4, v4, v125, -v116
	v_fmac_f32_e32 v136, v5, v125
	v_add_f32_e32 v2, 0, v2
	v_add_f32_e32 v5, 0, v135
	v_mul_f32_e32 v8, v107, v118
	s_waitcnt vmcnt(8)
	v_fma_f32 v3, v104, v126, -v3
	v_fmac_f32_e32 v137, v105, v126
	v_add_f32_e32 v2, v2, v4
	v_add_f32_e32 v4, v5, v136
	;; [unrolled: 6-line block ×5, first 2 shown]
	v_mul_f32_e32 v5, v115, v122
	s_waitcnt vmcnt(4)
	v_fma_f32 v8, v112, v130, -v8
	v_mul_f32_e32 v142, v114, v122
	v_add_f32_e32 v2, v2, v4
	v_fmac_f32_e32 v141, v113, v130
	v_add_f32_e32 v3, v3, v140
	s_waitcnt lgkmcnt(0)
	v_mul_f32_e32 v4, v7, v123
	s_waitcnt vmcnt(3)
	v_fma_f32 v5, v114, v131, -v5
	v_add_f32_e32 v2, v2, v8
	v_mul_f32_e32 v143, v6, v123
	v_fmac_f32_e32 v142, v115, v131
	v_add_f32_e32 v3, v3, v141
	s_waitcnt vmcnt(2)
	v_fma_f32 v4, v6, v132, -v4
	v_add_f32_e32 v2, v2, v5
	v_fmac_f32_e32 v143, v7, v132
	v_add_f32_e32 v3, v3, v142
	v_add_f32_e32 v2, v2, v4
	;; [unrolled: 1-line block ×3, first 2 shown]
	s_waitcnt vmcnt(1)
	v_sub_f32_e32 v2, v133, v2
	s_waitcnt vmcnt(0)
	v_sub_f32_e32 v3, v134, v3
	buffer_store_dword v2, off, s[0:3], 0 offset:296
	buffer_store_dword v3, off, s[0:3], 0 offset:300
	v_cmpx_lt_u32_e32 36, v0
	s_cbranch_execz .LBB110_223
; %bb.222:
	s_clause 0x1
	buffer_load_dword v2, off, s[0:3], 0 offset:288
	buffer_load_dword v3, off, s[0:3], 0 offset:292
	buffer_store_dword v1, off, s[0:3], 0 offset:288
	buffer_store_dword v1, off, s[0:3], 0 offset:292
	s_waitcnt vmcnt(0)
	ds_write_b64 v103, v[2:3]
.LBB110_223:
	s_or_b32 exec_lo, exec_lo, s4
	s_waitcnt lgkmcnt(0)
	s_waitcnt_vscnt null, 0x0
	s_barrier
	buffer_gl0_inv
	s_clause 0x15
	buffer_load_dword v6, off, s[0:3], 0 offset:300
	buffer_load_dword v7, off, s[0:3], 0 offset:308
	;; [unrolled: 1-line block ×22, first 2 shown]
	ds_read2_b64 v[2:5], v1 offset0:85 offset1:86
	ds_read2_b64 v[104:107], v1 offset0:87 offset1:88
	;; [unrolled: 1-line block ×5, first 2 shown]
	s_mov_b32 s4, exec_lo
	s_waitcnt vmcnt(21) lgkmcnt(4)
	v_mul_f32_e32 v1, v2, v6
	v_mul_f32_e32 v6, v3, v6
	s_waitcnt vmcnt(20)
	v_mul_f32_e32 v139, v4, v7
	v_mul_f32_e32 v7, v5, v7
	s_waitcnt vmcnt(19) lgkmcnt(3)
	v_mul_f32_e32 v140, v104, v8
	s_waitcnt vmcnt(18)
	v_mul_f32_e32 v141, v106, v120
	s_waitcnt vmcnt(17) lgkmcnt(2)
	v_mul_f32_e32 v142, v108, v121
	s_waitcnt vmcnt(16)
	;; [unrolled: 4-line block ×3, first 2 shown]
	v_mul_f32_e32 v145, v114, v124
	s_waitcnt vmcnt(11)
	v_fma_f32 v2, v2, v127, -v6
	v_fmac_f32_e32 v1, v3, v127
	v_mul_f32_e32 v3, v105, v8
	s_waitcnt vmcnt(10)
	v_fma_f32 v4, v4, v128, -v7
	v_fmac_f32_e32 v139, v5, v128
	v_add_f32_e32 v2, 0, v2
	v_add_f32_e32 v1, 0, v1
	v_mul_f32_e32 v5, v107, v120
	s_waitcnt vmcnt(9)
	v_fma_f32 v3, v104, v129, -v3
	v_fmac_f32_e32 v140, v105, v129
	v_add_f32_e32 v2, v2, v4
	v_add_f32_e32 v1, v1, v139
	v_mul_f32_e32 v4, v109, v121
	s_waitcnt vmcnt(8)
	v_fma_f32 v5, v106, v130, -v5
	v_fmac_f32_e32 v141, v107, v130
	v_add_f32_e32 v2, v2, v3
	v_add_f32_e32 v1, v1, v140
	v_mul_f32_e32 v3, v111, v122
	s_waitcnt vmcnt(7)
	v_fma_f32 v4, v108, v131, -v4
	v_fmac_f32_e32 v142, v109, v131
	v_add_f32_e32 v2, v2, v5
	v_add_f32_e32 v1, v1, v141
	v_mul_f32_e32 v5, v113, v123
	s_waitcnt vmcnt(6)
	v_fma_f32 v3, v110, v132, -v3
	v_fmac_f32_e32 v143, v111, v132
	v_add_f32_e32 v2, v2, v4
	v_add_f32_e32 v1, v1, v142
	v_mul_f32_e32 v4, v115, v124
	s_waitcnt vmcnt(5)
	v_fma_f32 v5, v112, v133, -v5
	v_fmac_f32_e32 v144, v113, v133
	v_add_f32_e32 v2, v2, v3
	v_add_f32_e32 v1, v1, v143
	s_waitcnt lgkmcnt(0)
	v_mul_f32_e32 v3, v117, v125
	s_waitcnt vmcnt(4)
	v_fma_f32 v4, v114, v134, -v4
	v_mul_f32_e32 v146, v116, v125
	v_add_f32_e32 v2, v2, v5
	v_fmac_f32_e32 v145, v115, v134
	v_add_f32_e32 v1, v1, v144
	v_mul_f32_e32 v5, v119, v126
	s_waitcnt vmcnt(3)
	v_fma_f32 v3, v116, v135, -v3
	v_add_f32_e32 v2, v2, v4
	v_mul_f32_e32 v147, v118, v126
	v_fmac_f32_e32 v146, v117, v135
	v_add_f32_e32 v1, v1, v145
	s_waitcnt vmcnt(2)
	v_fma_f32 v4, v118, v136, -v5
	v_add_f32_e32 v2, v2, v3
	v_fmac_f32_e32 v147, v119, v136
	v_add_f32_e32 v1, v1, v146
	v_add_f32_e32 v2, v2, v4
	;; [unrolled: 1-line block ×3, first 2 shown]
	s_waitcnt vmcnt(1)
	v_sub_f32_e32 v2, v137, v2
	s_waitcnt vmcnt(0)
	v_sub_f32_e32 v1, v138, v1
	buffer_store_dword v2, off, s[0:3], 0 offset:288
	buffer_store_dword v1, off, s[0:3], 0 offset:292
	v_cmpx_lt_u32_e32 35, v0
	s_cbranch_execz .LBB110_225
; %bb.224:
	s_clause 0x1
	buffer_load_dword v1, off, s[0:3], 0 offset:280
	buffer_load_dword v2, off, s[0:3], 0 offset:284
	v_mov_b32_e32 v3, 0
	buffer_store_dword v3, off, s[0:3], 0 offset:280
	buffer_store_dword v3, off, s[0:3], 0 offset:284
	s_waitcnt vmcnt(0)
	ds_write_b64 v103, v[1:2]
.LBB110_225:
	s_or_b32 exec_lo, exec_lo, s4
	s_waitcnt lgkmcnt(0)
	s_waitcnt_vscnt null, 0x0
	s_barrier
	buffer_gl0_inv
	s_clause 0x17
	buffer_load_dword v8, off, s[0:3], 0 offset:292
	buffer_load_dword v120, off, s[0:3], 0 offset:300
	;; [unrolled: 1-line block ×24, first 2 shown]
	v_mov_b32_e32 v1, 0
	ds_read_b128 v[2:5], v1 offset:672
	ds_read_b128 v[104:107], v1 offset:688
	;; [unrolled: 1-line block ×5, first 2 shown]
	ds_read_b64 v[6:7], v1 offset:752
	s_mov_b32 s4, exec_lo
	s_waitcnt vmcnt(23) lgkmcnt(5)
	v_mul_f32_e32 v143, v2, v8
	v_mul_f32_e32 v8, v3, v8
	s_waitcnt vmcnt(22)
	v_mul_f32_e32 v144, v4, v120
	v_mul_f32_e32 v120, v5, v120
	s_waitcnt vmcnt(21) lgkmcnt(4)
	v_mul_f32_e32 v145, v104, v121
	s_waitcnt vmcnt(20)
	v_mul_f32_e32 v146, v106, v122
	s_waitcnt vmcnt(19) lgkmcnt(3)
	v_mul_f32_e32 v147, v108, v123
	s_waitcnt vmcnt(18)
	v_mul_f32_e32 v148, v110, v124
	s_waitcnt vmcnt(17) lgkmcnt(2)
	v_mul_f32_e32 v149, v112, v125
	s_waitcnt vmcnt(16)
	v_mul_f32_e32 v150, v114, v126
	s_waitcnt vmcnt(15) lgkmcnt(1)
	v_mul_f32_e32 v151, v116, v127
	s_waitcnt vmcnt(12)
	v_fma_f32 v2, v2, v130, -v8
	v_fmac_f32_e32 v143, v3, v130
	v_mul_f32_e32 v3, v105, v121
	s_waitcnt vmcnt(11)
	v_fma_f32 v4, v4, v131, -v120
	v_fmac_f32_e32 v144, v5, v131
	v_add_f32_e32 v2, 0, v2
	v_add_f32_e32 v5, 0, v143
	v_mul_f32_e32 v8, v107, v122
	s_waitcnt vmcnt(10)
	v_fma_f32 v3, v104, v132, -v3
	v_fmac_f32_e32 v145, v105, v132
	v_add_f32_e32 v2, v2, v4
	v_add_f32_e32 v4, v5, v144
	;; [unrolled: 6-line block ×7, first 2 shown]
	v_mul_f32_e32 v8, v119, v128
	s_waitcnt vmcnt(4)
	v_fma_f32 v4, v116, v138, -v4
	v_mul_f32_e32 v152, v118, v128
	v_add_f32_e32 v2, v2, v5
	v_fmac_f32_e32 v151, v117, v138
	v_add_f32_e32 v3, v3, v150
	s_waitcnt lgkmcnt(0)
	v_mul_f32_e32 v5, v7, v129
	s_waitcnt vmcnt(3)
	v_fma_f32 v8, v118, v139, -v8
	v_add_f32_e32 v2, v2, v4
	v_mul_f32_e32 v153, v6, v129
	v_fmac_f32_e32 v152, v119, v139
	v_add_f32_e32 v3, v3, v151
	s_waitcnt vmcnt(2)
	v_fma_f32 v4, v6, v140, -v5
	v_add_f32_e32 v2, v2, v8
	v_fmac_f32_e32 v153, v7, v140
	v_add_f32_e32 v3, v3, v152
	v_add_f32_e32 v2, v2, v4
	;; [unrolled: 1-line block ×3, first 2 shown]
	s_waitcnt vmcnt(1)
	v_sub_f32_e32 v2, v141, v2
	s_waitcnt vmcnt(0)
	v_sub_f32_e32 v3, v142, v3
	buffer_store_dword v2, off, s[0:3], 0 offset:280
	buffer_store_dword v3, off, s[0:3], 0 offset:284
	v_cmpx_lt_u32_e32 34, v0
	s_cbranch_execz .LBB110_227
; %bb.226:
	s_clause 0x1
	buffer_load_dword v2, off, s[0:3], 0 offset:272
	buffer_load_dword v3, off, s[0:3], 0 offset:276
	buffer_store_dword v1, off, s[0:3], 0 offset:272
	buffer_store_dword v1, off, s[0:3], 0 offset:276
	s_waitcnt vmcnt(0)
	ds_write_b64 v103, v[2:3]
.LBB110_227:
	s_or_b32 exec_lo, exec_lo, s4
	s_waitcnt lgkmcnt(0)
	s_waitcnt_vscnt null, 0x0
	s_barrier
	buffer_gl0_inv
	s_clause 0x19
	buffer_load_dword v6, off, s[0:3], 0 offset:284
	buffer_load_dword v7, off, s[0:3], 0 offset:292
	;; [unrolled: 1-line block ×26, first 2 shown]
	ds_read2_b64 v[2:5], v1 offset0:83 offset1:84
	ds_read2_b64 v[104:107], v1 offset0:85 offset1:86
	;; [unrolled: 1-line block ×6, first 2 shown]
	s_mov_b32 s4, exec_lo
	s_waitcnt vmcnt(25) lgkmcnt(5)
	v_mul_f32_e32 v1, v2, v6
	v_mul_f32_e32 v6, v3, v6
	s_waitcnt vmcnt(24)
	v_mul_f32_e32 v147, v4, v7
	v_mul_f32_e32 v7, v5, v7
	s_waitcnt vmcnt(23) lgkmcnt(4)
	v_mul_f32_e32 v148, v104, v8
	s_waitcnt vmcnt(22)
	v_mul_f32_e32 v149, v106, v124
	s_waitcnt vmcnt(21) lgkmcnt(3)
	v_mul_f32_e32 v150, v108, v125
	s_waitcnt vmcnt(20)
	;; [unrolled: 4-line block ×4, first 2 shown]
	v_mul_f32_e32 v155, v118, v130
	s_waitcnt vmcnt(13)
	v_fma_f32 v2, v2, v133, -v6
	v_fmac_f32_e32 v1, v3, v133
	v_mul_f32_e32 v3, v105, v8
	s_waitcnt vmcnt(12)
	v_fma_f32 v4, v4, v134, -v7
	v_fmac_f32_e32 v147, v5, v134
	v_add_f32_e32 v2, 0, v2
	v_add_f32_e32 v1, 0, v1
	v_mul_f32_e32 v5, v107, v124
	s_waitcnt vmcnt(11)
	v_fma_f32 v3, v104, v135, -v3
	v_fmac_f32_e32 v148, v105, v135
	v_add_f32_e32 v2, v2, v4
	v_add_f32_e32 v1, v1, v147
	;; [unrolled: 6-line block ×8, first 2 shown]
	s_waitcnt lgkmcnt(0)
	v_mul_f32_e32 v4, v121, v131
	s_waitcnt vmcnt(4)
	v_fma_f32 v5, v118, v142, -v5
	v_mul_f32_e32 v156, v120, v131
	v_add_f32_e32 v2, v2, v3
	v_fmac_f32_e32 v155, v119, v142
	v_add_f32_e32 v1, v1, v154
	v_mul_f32_e32 v3, v123, v132
	s_waitcnt vmcnt(3)
	v_fma_f32 v4, v120, v143, -v4
	v_add_f32_e32 v2, v2, v5
	v_mul_f32_e32 v157, v122, v132
	v_fmac_f32_e32 v156, v121, v143
	v_add_f32_e32 v1, v1, v155
	s_waitcnt vmcnt(2)
	v_fma_f32 v3, v122, v144, -v3
	v_add_f32_e32 v2, v2, v4
	v_fmac_f32_e32 v157, v123, v144
	v_add_f32_e32 v1, v1, v156
	v_add_f32_e32 v2, v2, v3
	;; [unrolled: 1-line block ×3, first 2 shown]
	s_waitcnt vmcnt(1)
	v_sub_f32_e32 v2, v145, v2
	s_waitcnt vmcnt(0)
	v_sub_f32_e32 v1, v146, v1
	buffer_store_dword v2, off, s[0:3], 0 offset:272
	buffer_store_dword v1, off, s[0:3], 0 offset:276
	v_cmpx_lt_u32_e32 33, v0
	s_cbranch_execz .LBB110_229
; %bb.228:
	s_clause 0x1
	buffer_load_dword v1, off, s[0:3], 0 offset:264
	buffer_load_dword v2, off, s[0:3], 0 offset:268
	v_mov_b32_e32 v3, 0
	buffer_store_dword v3, off, s[0:3], 0 offset:264
	buffer_store_dword v3, off, s[0:3], 0 offset:268
	s_waitcnt vmcnt(0)
	ds_write_b64 v103, v[1:2]
.LBB110_229:
	s_or_b32 exec_lo, exec_lo, s4
	s_waitcnt lgkmcnt(0)
	s_waitcnt_vscnt null, 0x0
	s_barrier
	buffer_gl0_inv
	s_clause 0x1b
	buffer_load_dword v8, off, s[0:3], 0 offset:276
	buffer_load_dword v124, off, s[0:3], 0 offset:284
	buffer_load_dword v125, off, s[0:3], 0 offset:292
	buffer_load_dword v126, off, s[0:3], 0 offset:300
	buffer_load_dword v127, off, s[0:3], 0 offset:308
	buffer_load_dword v128, off, s[0:3], 0 offset:316
	buffer_load_dword v129, off, s[0:3], 0 offset:324
	buffer_load_dword v130, off, s[0:3], 0 offset:332
	buffer_load_dword v131, off, s[0:3], 0 offset:340
	buffer_load_dword v132, off, s[0:3], 0 offset:348
	buffer_load_dword v133, off, s[0:3], 0 offset:356
	buffer_load_dword v134, off, s[0:3], 0 offset:364
	buffer_load_dword v135, off, s[0:3], 0 offset:372
	buffer_load_dword v136, off, s[0:3], 0 offset:272
	buffer_load_dword v137, off, s[0:3], 0 offset:280
	buffer_load_dword v138, off, s[0:3], 0 offset:288
	buffer_load_dword v139, off, s[0:3], 0 offset:296
	buffer_load_dword v140, off, s[0:3], 0 offset:304
	buffer_load_dword v141, off, s[0:3], 0 offset:312
	buffer_load_dword v142, off, s[0:3], 0 offset:320
	buffer_load_dword v143, off, s[0:3], 0 offset:328
	buffer_load_dword v144, off, s[0:3], 0 offset:336
	buffer_load_dword v145, off, s[0:3], 0 offset:344
	buffer_load_dword v146, off, s[0:3], 0 offset:352
	buffer_load_dword v147, off, s[0:3], 0 offset:360
	buffer_load_dword v148, off, s[0:3], 0 offset:368
	buffer_load_dword v149, off, s[0:3], 0 offset:264
	buffer_load_dword v150, off, s[0:3], 0 offset:268
	v_mov_b32_e32 v1, 0
	ds_read_b128 v[2:5], v1 offset:656
	ds_read_b128 v[104:107], v1 offset:672
	;; [unrolled: 1-line block ×6, first 2 shown]
	ds_read_b64 v[6:7], v1 offset:752
	s_mov_b32 s4, exec_lo
	s_waitcnt vmcnt(27) lgkmcnt(6)
	v_mul_f32_e32 v151, v2, v8
	v_mul_f32_e32 v8, v3, v8
	s_waitcnt vmcnt(26)
	v_mul_f32_e32 v152, v4, v124
	v_mul_f32_e32 v124, v5, v124
	s_waitcnt vmcnt(25) lgkmcnt(5)
	v_mul_f32_e32 v153, v104, v125
	s_waitcnt vmcnt(24)
	v_mul_f32_e32 v154, v106, v126
	s_waitcnt vmcnt(23) lgkmcnt(4)
	v_mul_f32_e32 v155, v108, v127
	s_waitcnt vmcnt(22)
	;; [unrolled: 4-line block ×5, first 2 shown]
	v_fma_f32 v2, v2, v136, -v8
	v_fmac_f32_e32 v151, v3, v136
	v_mul_f32_e32 v3, v105, v125
	s_waitcnt vmcnt(13)
	v_fma_f32 v4, v4, v137, -v124
	v_fmac_f32_e32 v152, v5, v137
	v_add_f32_e32 v2, 0, v2
	v_add_f32_e32 v5, 0, v151
	v_mul_f32_e32 v8, v107, v126
	s_waitcnt vmcnt(12)
	v_fma_f32 v3, v104, v138, -v3
	v_fmac_f32_e32 v153, v105, v138
	v_add_f32_e32 v2, v2, v4
	v_add_f32_e32 v4, v5, v152
	;; [unrolled: 6-line block ×9, first 2 shown]
	v_mul_f32_e32 v4, v123, v134
	s_waitcnt vmcnt(4)
	v_fma_f32 v5, v120, v146, -v5
	v_mul_f32_e32 v162, v122, v134
	v_add_f32_e32 v2, v2, v8
	v_fmac_f32_e32 v161, v121, v146
	v_add_f32_e32 v3, v3, v160
	s_waitcnt lgkmcnt(0)
	v_mul_f32_e32 v8, v7, v135
	s_waitcnt vmcnt(3)
	v_fma_f32 v4, v122, v147, -v4
	v_add_f32_e32 v2, v2, v5
	v_mul_f32_e32 v163, v6, v135
	v_fmac_f32_e32 v162, v123, v147
	v_add_f32_e32 v3, v3, v161
	s_waitcnt vmcnt(2)
	v_fma_f32 v5, v6, v148, -v8
	v_add_f32_e32 v2, v2, v4
	v_fmac_f32_e32 v163, v7, v148
	v_add_f32_e32 v3, v3, v162
	v_add_f32_e32 v2, v2, v5
	;; [unrolled: 1-line block ×3, first 2 shown]
	s_waitcnt vmcnt(1)
	v_sub_f32_e32 v2, v149, v2
	s_waitcnt vmcnt(0)
	v_sub_f32_e32 v3, v150, v3
	buffer_store_dword v2, off, s[0:3], 0 offset:264
	buffer_store_dword v3, off, s[0:3], 0 offset:268
	v_cmpx_lt_u32_e32 32, v0
	s_cbranch_execz .LBB110_231
; %bb.230:
	s_clause 0x1
	buffer_load_dword v2, off, s[0:3], 0 offset:256
	buffer_load_dword v3, off, s[0:3], 0 offset:260
	buffer_store_dword v1, off, s[0:3], 0 offset:256
	buffer_store_dword v1, off, s[0:3], 0 offset:260
	s_waitcnt vmcnt(0)
	ds_write_b64 v103, v[2:3]
.LBB110_231:
	s_or_b32 exec_lo, exec_lo, s4
	s_waitcnt lgkmcnt(0)
	s_waitcnt_vscnt null, 0x0
	s_barrier
	buffer_gl0_inv
	s_clause 0x1d
	buffer_load_dword v6, off, s[0:3], 0 offset:268
	buffer_load_dword v7, off, s[0:3], 0 offset:276
	;; [unrolled: 1-line block ×30, first 2 shown]
	ds_read2_b64 v[2:5], v1 offset0:81 offset1:82
	ds_read2_b64 v[104:107], v1 offset0:83 offset1:84
	;; [unrolled: 1-line block ×7, first 2 shown]
	s_mov_b32 s4, exec_lo
	s_waitcnt vmcnt(29) lgkmcnt(6)
	v_mul_f32_e32 v1, v2, v6
	v_mul_f32_e32 v6, v3, v6
	s_waitcnt vmcnt(28)
	v_mul_f32_e32 v155, v4, v7
	v_mul_f32_e32 v7, v5, v7
	s_waitcnt vmcnt(27) lgkmcnt(5)
	v_mul_f32_e32 v156, v104, v8
	s_waitcnt vmcnt(26)
	v_mul_f32_e32 v157, v106, v128
	s_waitcnt vmcnt(25) lgkmcnt(4)
	v_mul_f32_e32 v158, v108, v129
	s_waitcnt vmcnt(24)
	;; [unrolled: 4-line block ×5, first 2 shown]
	v_mul_f32_e32 v165, v122, v136
	s_waitcnt vmcnt(15)
	v_fma_f32 v2, v2, v139, -v6
	v_fmac_f32_e32 v1, v3, v139
	v_mul_f32_e32 v3, v105, v8
	s_waitcnt vmcnt(14)
	v_fma_f32 v4, v4, v140, -v7
	v_fmac_f32_e32 v155, v5, v140
	v_add_f32_e32 v2, 0, v2
	v_add_f32_e32 v1, 0, v1
	v_mul_f32_e32 v5, v107, v128
	s_waitcnt vmcnt(13)
	v_fma_f32 v3, v104, v141, -v3
	v_fmac_f32_e32 v156, v105, v141
	v_add_f32_e32 v2, v2, v4
	v_add_f32_e32 v1, v1, v155
	;; [unrolled: 6-line block ×10, first 2 shown]
	s_waitcnt lgkmcnt(0)
	v_mul_f32_e32 v5, v125, v137
	s_waitcnt vmcnt(4)
	v_fma_f32 v3, v122, v150, -v3
	v_mul_f32_e32 v166, v124, v137
	v_add_f32_e32 v2, v2, v4
	v_fmac_f32_e32 v165, v123, v150
	v_add_f32_e32 v1, v1, v164
	v_mul_f32_e32 v4, v127, v138
	s_waitcnt vmcnt(3)
	v_fma_f32 v5, v124, v151, -v5
	v_add_f32_e32 v2, v2, v3
	v_mul_f32_e32 v167, v126, v138
	v_fmac_f32_e32 v166, v125, v151
	v_add_f32_e32 v1, v1, v165
	s_waitcnt vmcnt(2)
	v_fma_f32 v3, v126, v152, -v4
	v_add_f32_e32 v2, v2, v5
	v_fmac_f32_e32 v167, v127, v152
	v_add_f32_e32 v1, v1, v166
	v_add_f32_e32 v2, v2, v3
	;; [unrolled: 1-line block ×3, first 2 shown]
	s_waitcnt vmcnt(1)
	v_sub_f32_e32 v2, v153, v2
	s_waitcnt vmcnt(0)
	v_sub_f32_e32 v1, v154, v1
	buffer_store_dword v2, off, s[0:3], 0 offset:256
	buffer_store_dword v1, off, s[0:3], 0 offset:260
	v_cmpx_lt_u32_e32 31, v0
	s_cbranch_execz .LBB110_233
; %bb.232:
	s_clause 0x1
	buffer_load_dword v1, off, s[0:3], 0 offset:248
	buffer_load_dword v2, off, s[0:3], 0 offset:252
	v_mov_b32_e32 v3, 0
	buffer_store_dword v3, off, s[0:3], 0 offset:248
	buffer_store_dword v3, off, s[0:3], 0 offset:252
	s_waitcnt vmcnt(0)
	ds_write_b64 v103, v[1:2]
.LBB110_233:
	s_or_b32 exec_lo, exec_lo, s4
	s_waitcnt lgkmcnt(0)
	s_waitcnt_vscnt null, 0x0
	s_barrier
	buffer_gl0_inv
	s_clause 0x1f
	buffer_load_dword v8, off, s[0:3], 0 offset:260
	buffer_load_dword v128, off, s[0:3], 0 offset:268
	;; [unrolled: 1-line block ×32, first 2 shown]
	v_mov_b32_e32 v1, 0
	ds_read_b128 v[2:5], v1 offset:640
	ds_read_b128 v[104:107], v1 offset:656
	;; [unrolled: 1-line block ×7, first 2 shown]
	ds_read_b64 v[6:7], v1 offset:752
	s_mov_b32 s4, exec_lo
	s_waitcnt vmcnt(31) lgkmcnt(7)
	v_mul_f32_e32 v159, v2, v8
	v_mul_f32_e32 v8, v3, v8
	s_waitcnt vmcnt(30)
	v_mul_f32_e32 v160, v4, v128
	v_mul_f32_e32 v128, v5, v128
	s_waitcnt vmcnt(29) lgkmcnt(6)
	v_mul_f32_e32 v161, v104, v129
	s_waitcnt vmcnt(28)
	v_mul_f32_e32 v162, v106, v130
	s_waitcnt vmcnt(27) lgkmcnt(5)
	v_mul_f32_e32 v163, v108, v131
	s_waitcnt vmcnt(26)
	;; [unrolled: 4-line block ×6, first 2 shown]
	v_fma_f32 v2, v2, v142, -v8
	v_fmac_f32_e32 v159, v3, v142
	v_mul_f32_e32 v3, v105, v129
	s_waitcnt vmcnt(15)
	v_fma_f32 v4, v4, v143, -v128
	v_fmac_f32_e32 v160, v5, v143
	v_add_f32_e32 v2, 0, v2
	v_add_f32_e32 v5, 0, v159
	v_mul_f32_e32 v8, v107, v130
	s_waitcnt vmcnt(14)
	v_fma_f32 v3, v104, v144, -v3
	v_fmac_f32_e32 v161, v105, v144
	v_add_f32_e32 v2, v2, v4
	v_add_f32_e32 v4, v5, v160
	;; [unrolled: 6-line block ×11, first 2 shown]
	v_mul_f32_e32 v5, v127, v140
	s_waitcnt vmcnt(4)
	v_fma_f32 v8, v124, v154, -v8
	v_mul_f32_e32 v172, v126, v140
	v_add_f32_e32 v2, v2, v4
	v_fmac_f32_e32 v171, v125, v154
	v_add_f32_e32 v3, v3, v170
	s_waitcnt lgkmcnt(0)
	v_mul_f32_e32 v4, v7, v141
	s_waitcnt vmcnt(3)
	v_fma_f32 v5, v126, v155, -v5
	v_add_f32_e32 v2, v2, v8
	v_mul_f32_e32 v173, v6, v141
	v_fmac_f32_e32 v172, v127, v155
	v_add_f32_e32 v3, v3, v171
	s_waitcnt vmcnt(2)
	v_fma_f32 v4, v6, v156, -v4
	v_add_f32_e32 v2, v2, v5
	v_fmac_f32_e32 v173, v7, v156
	v_add_f32_e32 v3, v3, v172
	v_add_f32_e32 v2, v2, v4
	;; [unrolled: 1-line block ×3, first 2 shown]
	s_waitcnt vmcnt(1)
	v_sub_f32_e32 v2, v157, v2
	s_waitcnt vmcnt(0)
	v_sub_f32_e32 v3, v158, v3
	buffer_store_dword v2, off, s[0:3], 0 offset:248
	buffer_store_dword v3, off, s[0:3], 0 offset:252
	v_cmpx_lt_u32_e32 30, v0
	s_cbranch_execz .LBB110_235
; %bb.234:
	s_clause 0x1
	buffer_load_dword v2, off, s[0:3], 0 offset:240
	buffer_load_dword v3, off, s[0:3], 0 offset:244
	buffer_store_dword v1, off, s[0:3], 0 offset:240
	buffer_store_dword v1, off, s[0:3], 0 offset:244
	s_waitcnt vmcnt(0)
	ds_write_b64 v103, v[2:3]
.LBB110_235:
	s_or_b32 exec_lo, exec_lo, s4
	s_waitcnt lgkmcnt(0)
	s_waitcnt_vscnt null, 0x0
	s_barrier
	buffer_gl0_inv
	s_clause 0x21
	buffer_load_dword v6, off, s[0:3], 0 offset:252
	buffer_load_dword v7, off, s[0:3], 0 offset:260
	;; [unrolled: 1-line block ×34, first 2 shown]
	ds_read2_b64 v[2:5], v1 offset0:79 offset1:80
	ds_read2_b64 v[104:107], v1 offset0:81 offset1:82
	;; [unrolled: 1-line block ×8, first 2 shown]
	s_mov_b32 s4, exec_lo
	s_waitcnt vmcnt(33) lgkmcnt(7)
	v_mul_f32_e32 v1, v2, v6
	v_mul_f32_e32 v6, v3, v6
	s_waitcnt vmcnt(32)
	v_mul_f32_e32 v163, v4, v7
	v_mul_f32_e32 v7, v5, v7
	s_waitcnt vmcnt(31) lgkmcnt(6)
	v_mul_f32_e32 v164, v104, v8
	s_waitcnt vmcnt(30)
	v_mul_f32_e32 v165, v106, v132
	s_waitcnt vmcnt(29) lgkmcnt(5)
	v_mul_f32_e32 v166, v108, v133
	s_waitcnt vmcnt(28)
	;; [unrolled: 4-line block ×6, first 2 shown]
	v_mul_f32_e32 v175, v126, v142
	s_waitcnt vmcnt(17)
	v_fma_f32 v2, v2, v145, -v6
	v_fmac_f32_e32 v1, v3, v145
	v_mul_f32_e32 v3, v105, v8
	s_waitcnt vmcnt(16)
	v_fma_f32 v4, v4, v146, -v7
	v_fmac_f32_e32 v163, v5, v146
	v_add_f32_e32 v2, 0, v2
	v_add_f32_e32 v1, 0, v1
	v_mul_f32_e32 v5, v107, v132
	s_waitcnt vmcnt(15)
	v_fma_f32 v3, v104, v147, -v3
	v_fmac_f32_e32 v164, v105, v147
	v_add_f32_e32 v2, v2, v4
	v_add_f32_e32 v1, v1, v163
	;; [unrolled: 6-line block ×12, first 2 shown]
	s_waitcnt lgkmcnt(0)
	v_mul_f32_e32 v3, v129, v143
	s_waitcnt vmcnt(4)
	v_fma_f32 v4, v126, v158, -v4
	v_mul_f32_e32 v176, v128, v143
	v_add_f32_e32 v2, v2, v5
	v_fmac_f32_e32 v175, v127, v158
	v_add_f32_e32 v1, v1, v174
	v_mul_f32_e32 v5, v131, v144
	s_waitcnt vmcnt(3)
	v_fma_f32 v3, v128, v159, -v3
	v_add_f32_e32 v2, v2, v4
	v_mul_f32_e32 v177, v130, v144
	v_fmac_f32_e32 v176, v129, v159
	v_add_f32_e32 v1, v1, v175
	s_waitcnt vmcnt(2)
	v_fma_f32 v4, v130, v160, -v5
	v_add_f32_e32 v2, v2, v3
	v_fmac_f32_e32 v177, v131, v160
	v_add_f32_e32 v1, v1, v176
	v_add_f32_e32 v2, v2, v4
	;; [unrolled: 1-line block ×3, first 2 shown]
	s_waitcnt vmcnt(1)
	v_sub_f32_e32 v2, v161, v2
	s_waitcnt vmcnt(0)
	v_sub_f32_e32 v1, v162, v1
	buffer_store_dword v2, off, s[0:3], 0 offset:240
	buffer_store_dword v1, off, s[0:3], 0 offset:244
	v_cmpx_lt_u32_e32 29, v0
	s_cbranch_execz .LBB110_237
; %bb.236:
	s_clause 0x1
	buffer_load_dword v1, off, s[0:3], 0 offset:232
	buffer_load_dword v2, off, s[0:3], 0 offset:236
	v_mov_b32_e32 v3, 0
	buffer_store_dword v3, off, s[0:3], 0 offset:232
	buffer_store_dword v3, off, s[0:3], 0 offset:236
	s_waitcnt vmcnt(0)
	ds_write_b64 v103, v[1:2]
.LBB110_237:
	s_or_b32 exec_lo, exec_lo, s4
	s_waitcnt lgkmcnt(0)
	s_waitcnt_vscnt null, 0x0
	s_barrier
	buffer_gl0_inv
	s_clause 0x23
	buffer_load_dword v8, off, s[0:3], 0 offset:244
	buffer_load_dword v132, off, s[0:3], 0 offset:252
	;; [unrolled: 1-line block ×36, first 2 shown]
	v_mov_b32_e32 v1, 0
	ds_read_b128 v[2:5], v1 offset:624
	ds_read_b128 v[104:107], v1 offset:640
	;; [unrolled: 1-line block ×8, first 2 shown]
	ds_read_b64 v[6:7], v1 offset:752
	s_mov_b32 s4, exec_lo
	s_waitcnt vmcnt(35) lgkmcnt(8)
	v_mul_f32_e32 v167, v2, v8
	v_mul_f32_e32 v8, v3, v8
	s_waitcnt vmcnt(34)
	v_mul_f32_e32 v168, v4, v132
	v_mul_f32_e32 v132, v5, v132
	s_waitcnt vmcnt(33) lgkmcnt(7)
	v_mul_f32_e32 v169, v104, v133
	s_waitcnt vmcnt(32)
	v_mul_f32_e32 v170, v106, v134
	s_waitcnt vmcnt(31) lgkmcnt(6)
	v_mul_f32_e32 v171, v108, v135
	s_waitcnt vmcnt(30)
	;; [unrolled: 4-line block ×7, first 2 shown]
	v_fma_f32 v2, v2, v148, -v8
	v_fmac_f32_e32 v167, v3, v148
	v_mul_f32_e32 v3, v105, v133
	s_waitcnt vmcnt(17)
	v_fma_f32 v4, v4, v149, -v132
	v_fmac_f32_e32 v168, v5, v149
	v_add_f32_e32 v2, 0, v2
	v_add_f32_e32 v5, 0, v167
	v_mul_f32_e32 v8, v107, v134
	s_waitcnt vmcnt(16)
	v_fma_f32 v3, v104, v150, -v3
	v_fmac_f32_e32 v169, v105, v150
	v_add_f32_e32 v2, v2, v4
	v_add_f32_e32 v4, v5, v168
	;; [unrolled: 6-line block ×13, first 2 shown]
	v_mul_f32_e32 v8, v131, v146
	s_waitcnt vmcnt(4)
	v_fma_f32 v4, v128, v162, -v4
	v_mul_f32_e32 v182, v130, v146
	v_add_f32_e32 v2, v2, v5
	v_fmac_f32_e32 v181, v129, v162
	v_add_f32_e32 v3, v3, v180
	s_waitcnt lgkmcnt(0)
	v_mul_f32_e32 v5, v7, v147
	s_waitcnt vmcnt(3)
	v_fma_f32 v8, v130, v163, -v8
	v_add_f32_e32 v2, v2, v4
	v_mul_f32_e32 v183, v6, v147
	v_fmac_f32_e32 v182, v131, v163
	v_add_f32_e32 v3, v3, v181
	s_waitcnt vmcnt(2)
	v_fma_f32 v4, v6, v164, -v5
	v_add_f32_e32 v2, v2, v8
	v_fmac_f32_e32 v183, v7, v164
	v_add_f32_e32 v3, v3, v182
	v_add_f32_e32 v2, v2, v4
	;; [unrolled: 1-line block ×3, first 2 shown]
	s_waitcnt vmcnt(1)
	v_sub_f32_e32 v2, v165, v2
	s_waitcnt vmcnt(0)
	v_sub_f32_e32 v3, v166, v3
	buffer_store_dword v2, off, s[0:3], 0 offset:232
	buffer_store_dword v3, off, s[0:3], 0 offset:236
	v_cmpx_lt_u32_e32 28, v0
	s_cbranch_execz .LBB110_239
; %bb.238:
	s_clause 0x1
	buffer_load_dword v2, off, s[0:3], 0 offset:224
	buffer_load_dword v3, off, s[0:3], 0 offset:228
	buffer_store_dword v1, off, s[0:3], 0 offset:224
	buffer_store_dword v1, off, s[0:3], 0 offset:228
	s_waitcnt vmcnt(0)
	ds_write_b64 v103, v[2:3]
.LBB110_239:
	s_or_b32 exec_lo, exec_lo, s4
	s_waitcnt lgkmcnt(0)
	s_waitcnt_vscnt null, 0x0
	s_barrier
	buffer_gl0_inv
	s_clause 0x25
	buffer_load_dword v6, off, s[0:3], 0 offset:236
	buffer_load_dword v7, off, s[0:3], 0 offset:244
	;; [unrolled: 1-line block ×38, first 2 shown]
	ds_read2_b64 v[2:5], v1 offset0:77 offset1:78
	ds_read2_b64 v[104:107], v1 offset0:79 offset1:80
	;; [unrolled: 1-line block ×9, first 2 shown]
	s_mov_b32 s4, exec_lo
	s_waitcnt vmcnt(37) lgkmcnt(8)
	v_mul_f32_e32 v1, v2, v6
	v_mul_f32_e32 v6, v3, v6
	s_waitcnt vmcnt(36)
	v_mul_f32_e32 v171, v4, v7
	v_mul_f32_e32 v7, v5, v7
	s_waitcnt vmcnt(35) lgkmcnt(7)
	v_mul_f32_e32 v172, v104, v8
	s_waitcnt vmcnt(34)
	v_mul_f32_e32 v173, v106, v136
	s_waitcnt vmcnt(33) lgkmcnt(6)
	v_mul_f32_e32 v174, v108, v137
	s_waitcnt vmcnt(32)
	;; [unrolled: 4-line block ×7, first 2 shown]
	v_mul_f32_e32 v185, v130, v148
	s_waitcnt vmcnt(19)
	v_fma_f32 v2, v2, v151, -v6
	v_fmac_f32_e32 v1, v3, v151
	v_mul_f32_e32 v3, v105, v8
	s_waitcnt vmcnt(18)
	v_fma_f32 v4, v4, v152, -v7
	v_fmac_f32_e32 v171, v5, v152
	v_add_f32_e32 v2, 0, v2
	v_add_f32_e32 v1, 0, v1
	v_mul_f32_e32 v5, v107, v136
	s_waitcnt vmcnt(17)
	v_fma_f32 v3, v104, v153, -v3
	v_fmac_f32_e32 v172, v105, v153
	v_add_f32_e32 v2, v2, v4
	v_add_f32_e32 v1, v1, v171
	;; [unrolled: 6-line block ×14, first 2 shown]
	s_waitcnt lgkmcnt(0)
	v_mul_f32_e32 v4, v133, v149
	s_waitcnt vmcnt(4)
	v_fma_f32 v5, v130, v166, -v5
	v_mul_f32_e32 v186, v132, v149
	v_add_f32_e32 v2, v2, v3
	v_fmac_f32_e32 v185, v131, v166
	v_add_f32_e32 v1, v1, v184
	v_mul_f32_e32 v3, v135, v150
	s_waitcnt vmcnt(3)
	v_fma_f32 v4, v132, v167, -v4
	v_add_f32_e32 v2, v2, v5
	v_mul_f32_e32 v187, v134, v150
	v_fmac_f32_e32 v186, v133, v167
	v_add_f32_e32 v1, v1, v185
	s_waitcnt vmcnt(2)
	v_fma_f32 v3, v134, v168, -v3
	v_add_f32_e32 v2, v2, v4
	v_fmac_f32_e32 v187, v135, v168
	v_add_f32_e32 v1, v1, v186
	v_add_f32_e32 v2, v2, v3
	;; [unrolled: 1-line block ×3, first 2 shown]
	s_waitcnt vmcnt(1)
	v_sub_f32_e32 v2, v169, v2
	s_waitcnt vmcnt(0)
	v_sub_f32_e32 v1, v170, v1
	buffer_store_dword v2, off, s[0:3], 0 offset:224
	buffer_store_dword v1, off, s[0:3], 0 offset:228
	v_cmpx_lt_u32_e32 27, v0
	s_cbranch_execz .LBB110_241
; %bb.240:
	s_clause 0x1
	buffer_load_dword v1, off, s[0:3], 0 offset:216
	buffer_load_dword v2, off, s[0:3], 0 offset:220
	v_mov_b32_e32 v3, 0
	buffer_store_dword v3, off, s[0:3], 0 offset:216
	buffer_store_dword v3, off, s[0:3], 0 offset:220
	s_waitcnt vmcnt(0)
	ds_write_b64 v103, v[1:2]
.LBB110_241:
	s_or_b32 exec_lo, exec_lo, s4
	s_waitcnt lgkmcnt(0)
	s_waitcnt_vscnt null, 0x0
	s_barrier
	buffer_gl0_inv
	s_clause 0x27
	buffer_load_dword v8, off, s[0:3], 0 offset:228
	buffer_load_dword v136, off, s[0:3], 0 offset:236
	;; [unrolled: 1-line block ×40, first 2 shown]
	v_mov_b32_e32 v1, 0
	ds_read_b128 v[2:5], v1 offset:608
	ds_read_b128 v[104:107], v1 offset:624
	;; [unrolled: 1-line block ×9, first 2 shown]
	ds_read_b64 v[6:7], v1 offset:752
	s_mov_b32 s4, exec_lo
	s_waitcnt vmcnt(39) lgkmcnt(9)
	v_mul_f32_e32 v175, v2, v8
	v_mul_f32_e32 v8, v3, v8
	s_waitcnt vmcnt(38)
	v_mul_f32_e32 v176, v4, v136
	v_mul_f32_e32 v136, v5, v136
	s_waitcnt vmcnt(37) lgkmcnt(8)
	v_mul_f32_e32 v177, v104, v137
	s_waitcnt vmcnt(36)
	v_mul_f32_e32 v178, v106, v138
	s_waitcnt vmcnt(35) lgkmcnt(7)
	v_mul_f32_e32 v179, v108, v139
	s_waitcnt vmcnt(34)
	;; [unrolled: 4-line block ×8, first 2 shown]
	v_fma_f32 v2, v2, v154, -v8
	v_fmac_f32_e32 v175, v3, v154
	v_mul_f32_e32 v3, v105, v137
	s_waitcnt vmcnt(19)
	v_fma_f32 v4, v4, v155, -v136
	v_fmac_f32_e32 v176, v5, v155
	v_add_f32_e32 v2, 0, v2
	v_add_f32_e32 v5, 0, v175
	v_mul_f32_e32 v8, v107, v138
	s_waitcnt vmcnt(18)
	v_fma_f32 v3, v104, v156, -v3
	v_fmac_f32_e32 v177, v105, v156
	v_add_f32_e32 v2, v2, v4
	v_add_f32_e32 v4, v5, v176
	;; [unrolled: 6-line block ×15, first 2 shown]
	v_mul_f32_e32 v4, v135, v152
	s_waitcnt vmcnt(4)
	v_fma_f32 v5, v132, v170, -v5
	v_mul_f32_e32 v192, v134, v152
	v_add_f32_e32 v2, v2, v8
	v_fmac_f32_e32 v191, v133, v170
	v_add_f32_e32 v3, v3, v190
	s_waitcnt lgkmcnt(0)
	v_mul_f32_e32 v8, v7, v153
	s_waitcnt vmcnt(3)
	v_fma_f32 v4, v134, v171, -v4
	v_add_f32_e32 v2, v2, v5
	v_mul_f32_e32 v193, v6, v153
	v_fmac_f32_e32 v192, v135, v171
	v_add_f32_e32 v3, v3, v191
	s_waitcnt vmcnt(2)
	v_fma_f32 v5, v6, v172, -v8
	v_add_f32_e32 v2, v2, v4
	v_fmac_f32_e32 v193, v7, v172
	v_add_f32_e32 v3, v3, v192
	v_add_f32_e32 v2, v2, v5
	;; [unrolled: 1-line block ×3, first 2 shown]
	s_waitcnt vmcnt(1)
	v_sub_f32_e32 v2, v173, v2
	s_waitcnt vmcnt(0)
	v_sub_f32_e32 v3, v174, v3
	buffer_store_dword v2, off, s[0:3], 0 offset:216
	buffer_store_dword v3, off, s[0:3], 0 offset:220
	v_cmpx_lt_u32_e32 26, v0
	s_cbranch_execz .LBB110_243
; %bb.242:
	s_clause 0x1
	buffer_load_dword v2, off, s[0:3], 0 offset:208
	buffer_load_dword v3, off, s[0:3], 0 offset:212
	buffer_store_dword v1, off, s[0:3], 0 offset:208
	buffer_store_dword v1, off, s[0:3], 0 offset:212
	s_waitcnt vmcnt(0)
	ds_write_b64 v103, v[2:3]
.LBB110_243:
	s_or_b32 exec_lo, exec_lo, s4
	s_waitcnt lgkmcnt(0)
	s_waitcnt_vscnt null, 0x0
	s_barrier
	buffer_gl0_inv
	s_clause 0x29
	buffer_load_dword v6, off, s[0:3], 0 offset:220
	buffer_load_dword v7, off, s[0:3], 0 offset:228
	;; [unrolled: 1-line block ×42, first 2 shown]
	ds_read2_b64 v[2:5], v1 offset0:75 offset1:76
	ds_read2_b64 v[104:107], v1 offset0:77 offset1:78
	;; [unrolled: 1-line block ×10, first 2 shown]
	s_mov_b32 s4, exec_lo
	s_waitcnt vmcnt(41) lgkmcnt(9)
	v_mul_f32_e32 v1, v2, v6
	v_mul_f32_e32 v6, v3, v6
	s_waitcnt vmcnt(40)
	v_mul_f32_e32 v179, v4, v7
	v_mul_f32_e32 v7, v5, v7
	s_waitcnt vmcnt(39) lgkmcnt(8)
	v_mul_f32_e32 v180, v104, v8
	s_waitcnt vmcnt(38)
	v_mul_f32_e32 v181, v106, v140
	s_waitcnt vmcnt(37) lgkmcnt(7)
	v_mul_f32_e32 v182, v108, v141
	s_waitcnt vmcnt(36)
	;; [unrolled: 4-line block ×8, first 2 shown]
	v_mul_f32_e32 v195, v134, v154
	s_waitcnt vmcnt(21)
	v_fma_f32 v2, v2, v157, -v6
	v_fmac_f32_e32 v1, v3, v157
	v_mul_f32_e32 v3, v105, v8
	s_waitcnt vmcnt(20)
	v_fma_f32 v4, v4, v158, -v7
	v_fmac_f32_e32 v179, v5, v158
	v_add_f32_e32 v2, 0, v2
	v_add_f32_e32 v1, 0, v1
	v_mul_f32_e32 v5, v107, v140
	s_waitcnt vmcnt(19)
	v_fma_f32 v3, v104, v159, -v3
	v_fmac_f32_e32 v180, v105, v159
	v_add_f32_e32 v2, v2, v4
	v_add_f32_e32 v1, v1, v179
	v_mul_f32_e32 v4, v109, v141
	s_waitcnt vmcnt(18)
	v_fma_f32 v5, v106, v160, -v5
	v_fmac_f32_e32 v181, v107, v160
	v_add_f32_e32 v2, v2, v3
	v_add_f32_e32 v1, v1, v180
	v_mul_f32_e32 v3, v111, v142
	s_waitcnt vmcnt(17)
	v_fma_f32 v4, v108, v161, -v4
	v_fmac_f32_e32 v182, v109, v161
	v_add_f32_e32 v2, v2, v5
	v_add_f32_e32 v1, v1, v181
	v_mul_f32_e32 v5, v113, v143
	s_waitcnt vmcnt(16)
	v_fma_f32 v3, v110, v162, -v3
	v_fmac_f32_e32 v183, v111, v162
	v_add_f32_e32 v2, v2, v4
	v_add_f32_e32 v1, v1, v182
	v_mul_f32_e32 v4, v115, v144
	s_waitcnt vmcnt(15)
	v_fma_f32 v5, v112, v163, -v5
	v_fmac_f32_e32 v184, v113, v163
	v_add_f32_e32 v2, v2, v3
	v_add_f32_e32 v1, v1, v183
	v_mul_f32_e32 v3, v117, v145
	s_waitcnt vmcnt(14)
	v_fma_f32 v4, v114, v164, -v4
	v_fmac_f32_e32 v185, v115, v164
	v_add_f32_e32 v2, v2, v5
	v_add_f32_e32 v1, v1, v184
	v_mul_f32_e32 v5, v119, v146
	s_waitcnt vmcnt(13)
	v_fma_f32 v3, v116, v165, -v3
	v_fmac_f32_e32 v186, v117, v165
	v_add_f32_e32 v2, v2, v4
	v_add_f32_e32 v1, v1, v185
	v_mul_f32_e32 v4, v121, v147
	s_waitcnt vmcnt(12)
	v_fma_f32 v5, v118, v166, -v5
	v_fmac_f32_e32 v187, v119, v166
	v_add_f32_e32 v2, v2, v3
	v_add_f32_e32 v1, v1, v186
	v_mul_f32_e32 v3, v123, v148
	s_waitcnt vmcnt(11)
	v_fma_f32 v4, v120, v167, -v4
	v_fmac_f32_e32 v188, v121, v167
	v_add_f32_e32 v2, v2, v5
	v_add_f32_e32 v1, v1, v187
	v_mul_f32_e32 v5, v125, v149
	s_waitcnt vmcnt(10)
	v_fma_f32 v3, v122, v168, -v3
	v_fmac_f32_e32 v189, v123, v168
	v_add_f32_e32 v2, v2, v4
	v_add_f32_e32 v1, v1, v188
	v_mul_f32_e32 v4, v127, v150
	s_waitcnt vmcnt(9)
	v_fma_f32 v5, v124, v169, -v5
	v_fmac_f32_e32 v190, v125, v169
	v_add_f32_e32 v2, v2, v3
	v_add_f32_e32 v1, v1, v189
	v_mul_f32_e32 v3, v129, v151
	s_waitcnt vmcnt(8)
	v_fma_f32 v4, v126, v170, -v4
	v_fmac_f32_e32 v191, v127, v170
	v_add_f32_e32 v2, v2, v5
	v_add_f32_e32 v1, v1, v190
	v_mul_f32_e32 v5, v131, v152
	s_waitcnt vmcnt(7)
	v_fma_f32 v3, v128, v171, -v3
	v_fmac_f32_e32 v192, v129, v171
	v_add_f32_e32 v2, v2, v4
	v_add_f32_e32 v1, v1, v191
	v_mul_f32_e32 v4, v133, v153
	s_waitcnt vmcnt(6)
	v_fma_f32 v5, v130, v172, -v5
	v_fmac_f32_e32 v193, v131, v172
	v_add_f32_e32 v2, v2, v3
	v_add_f32_e32 v1, v1, v192
	v_mul_f32_e32 v3, v135, v154
	s_waitcnt vmcnt(5)
	v_fma_f32 v4, v132, v173, -v4
	v_fmac_f32_e32 v194, v133, v173
	v_add_f32_e32 v2, v2, v5
	v_add_f32_e32 v1, v1, v193
	s_waitcnt lgkmcnt(0)
	v_mul_f32_e32 v5, v137, v155
	s_waitcnt vmcnt(4)
	v_fma_f32 v3, v134, v174, -v3
	v_mul_f32_e32 v196, v136, v155
	v_add_f32_e32 v2, v2, v4
	v_fmac_f32_e32 v195, v135, v174
	v_add_f32_e32 v1, v1, v194
	v_mul_f32_e32 v4, v139, v156
	s_waitcnt vmcnt(3)
	v_fma_f32 v5, v136, v175, -v5
	v_add_f32_e32 v2, v2, v3
	v_mul_f32_e32 v197, v138, v156
	v_fmac_f32_e32 v196, v137, v175
	v_add_f32_e32 v1, v1, v195
	s_waitcnt vmcnt(2)
	v_fma_f32 v3, v138, v176, -v4
	v_add_f32_e32 v2, v2, v5
	v_fmac_f32_e32 v197, v139, v176
	v_add_f32_e32 v1, v1, v196
	v_add_f32_e32 v2, v2, v3
	;; [unrolled: 1-line block ×3, first 2 shown]
	s_waitcnt vmcnt(1)
	v_sub_f32_e32 v2, v177, v2
	s_waitcnt vmcnt(0)
	v_sub_f32_e32 v1, v178, v1
	buffer_store_dword v2, off, s[0:3], 0 offset:208
	buffer_store_dword v1, off, s[0:3], 0 offset:212
	v_cmpx_lt_u32_e32 25, v0
	s_cbranch_execz .LBB110_245
; %bb.244:
	s_clause 0x1
	buffer_load_dword v1, off, s[0:3], 0 offset:200
	buffer_load_dword v2, off, s[0:3], 0 offset:204
	v_mov_b32_e32 v3, 0
	buffer_store_dword v3, off, s[0:3], 0 offset:200
	buffer_store_dword v3, off, s[0:3], 0 offset:204
	s_waitcnt vmcnt(0)
	ds_write_b64 v103, v[1:2]
.LBB110_245:
	s_or_b32 exec_lo, exec_lo, s4
	s_waitcnt lgkmcnt(0)
	s_waitcnt_vscnt null, 0x0
	s_barrier
	buffer_gl0_inv
	s_clause 0x2b
	buffer_load_dword v8, off, s[0:3], 0 offset:212
	buffer_load_dword v140, off, s[0:3], 0 offset:220
	;; [unrolled: 1-line block ×44, first 2 shown]
	v_mov_b32_e32 v1, 0
	ds_read_b128 v[2:5], v1 offset:592
	ds_read_b128 v[104:107], v1 offset:608
	ds_read_b128 v[108:111], v1 offset:624
	ds_read_b128 v[112:115], v1 offset:640
	ds_read_b128 v[116:119], v1 offset:656
	ds_read_b128 v[120:123], v1 offset:672
	ds_read_b128 v[124:127], v1 offset:688
	ds_read_b128 v[128:131], v1 offset:704
	ds_read_b128 v[132:135], v1 offset:720
	ds_read_b128 v[136:139], v1 offset:736
	ds_read_b64 v[6:7], v1 offset:752
	s_mov_b32 s4, exec_lo
	s_waitcnt vmcnt(43) lgkmcnt(10)
	v_mul_f32_e32 v183, v2, v8
	v_mul_f32_e32 v8, v3, v8
	s_waitcnt vmcnt(42)
	v_mul_f32_e32 v184, v4, v140
	v_mul_f32_e32 v140, v5, v140
	s_waitcnt vmcnt(41) lgkmcnt(9)
	v_mul_f32_e32 v185, v104, v141
	s_waitcnt vmcnt(40)
	v_mul_f32_e32 v186, v106, v142
	s_waitcnt vmcnt(39) lgkmcnt(8)
	v_mul_f32_e32 v187, v108, v143
	s_waitcnt vmcnt(38)
	;; [unrolled: 4-line block ×9, first 2 shown]
	v_fma_f32 v2, v2, v160, -v8
	v_fmac_f32_e32 v183, v3, v160
	v_mul_f32_e32 v3, v105, v141
	s_waitcnt vmcnt(21)
	v_fma_f32 v4, v4, v161, -v140
	v_fmac_f32_e32 v184, v5, v161
	v_add_f32_e32 v2, 0, v2
	v_add_f32_e32 v5, 0, v183
	v_mul_f32_e32 v8, v107, v142
	s_waitcnt vmcnt(20)
	v_fma_f32 v3, v104, v162, -v3
	v_fmac_f32_e32 v185, v105, v162
	v_add_f32_e32 v2, v2, v4
	v_add_f32_e32 v4, v5, v184
	v_mul_f32_e32 v5, v109, v143
	s_waitcnt vmcnt(19)
	v_fma_f32 v8, v106, v163, -v8
	v_fmac_f32_e32 v186, v107, v163
	v_add_f32_e32 v2, v2, v3
	v_add_f32_e32 v3, v4, v185
	v_mul_f32_e32 v4, v111, v144
	s_waitcnt vmcnt(18)
	v_fma_f32 v5, v108, v164, -v5
	v_fmac_f32_e32 v187, v109, v164
	v_add_f32_e32 v2, v2, v8
	v_add_f32_e32 v3, v3, v186
	v_mul_f32_e32 v8, v113, v145
	s_waitcnt vmcnt(17)
	v_fma_f32 v4, v110, v165, -v4
	v_fmac_f32_e32 v188, v111, v165
	v_add_f32_e32 v2, v2, v5
	v_add_f32_e32 v3, v3, v187
	v_mul_f32_e32 v5, v115, v146
	s_waitcnt vmcnt(16)
	v_fma_f32 v8, v112, v166, -v8
	v_fmac_f32_e32 v189, v113, v166
	v_add_f32_e32 v2, v2, v4
	v_add_f32_e32 v3, v3, v188
	v_mul_f32_e32 v4, v117, v147
	s_waitcnt vmcnt(15)
	v_fma_f32 v5, v114, v167, -v5
	v_fmac_f32_e32 v190, v115, v167
	v_add_f32_e32 v2, v2, v8
	v_add_f32_e32 v3, v3, v189
	v_mul_f32_e32 v8, v119, v148
	s_waitcnt vmcnt(14)
	v_fma_f32 v4, v116, v168, -v4
	v_fmac_f32_e32 v191, v117, v168
	v_add_f32_e32 v2, v2, v5
	v_add_f32_e32 v3, v3, v190
	v_mul_f32_e32 v5, v121, v149
	s_waitcnt vmcnt(13)
	v_fma_f32 v8, v118, v169, -v8
	v_fmac_f32_e32 v192, v119, v169
	v_add_f32_e32 v2, v2, v4
	v_add_f32_e32 v3, v3, v191
	v_mul_f32_e32 v4, v123, v150
	s_waitcnt vmcnt(12)
	v_fma_f32 v5, v120, v170, -v5
	v_fmac_f32_e32 v193, v121, v170
	v_add_f32_e32 v2, v2, v8
	v_add_f32_e32 v3, v3, v192
	v_mul_f32_e32 v8, v125, v151
	s_waitcnt vmcnt(11)
	v_fma_f32 v4, v122, v171, -v4
	v_fmac_f32_e32 v194, v123, v171
	v_add_f32_e32 v2, v2, v5
	v_add_f32_e32 v3, v3, v193
	v_mul_f32_e32 v5, v127, v152
	s_waitcnt vmcnt(10)
	v_fma_f32 v8, v124, v172, -v8
	v_fmac_f32_e32 v195, v125, v172
	v_add_f32_e32 v2, v2, v4
	v_add_f32_e32 v3, v3, v194
	v_mul_f32_e32 v4, v129, v153
	s_waitcnt vmcnt(9)
	v_fma_f32 v5, v126, v173, -v5
	v_fmac_f32_e32 v196, v127, v173
	v_add_f32_e32 v2, v2, v8
	v_add_f32_e32 v3, v3, v195
	v_mul_f32_e32 v8, v131, v154
	s_waitcnt vmcnt(8)
	v_fma_f32 v4, v128, v174, -v4
	v_fmac_f32_e32 v197, v129, v174
	v_add_f32_e32 v2, v2, v5
	v_add_f32_e32 v3, v3, v196
	v_mul_f32_e32 v5, v133, v155
	s_waitcnt vmcnt(7)
	v_fma_f32 v8, v130, v175, -v8
	v_fmac_f32_e32 v198, v131, v175
	v_add_f32_e32 v2, v2, v4
	v_add_f32_e32 v3, v3, v197
	v_mul_f32_e32 v4, v135, v156
	s_waitcnt vmcnt(6)
	v_fma_f32 v5, v132, v176, -v5
	v_fmac_f32_e32 v199, v133, v176
	v_add_f32_e32 v2, v2, v8
	v_add_f32_e32 v3, v3, v198
	v_mul_f32_e32 v8, v137, v157
	s_waitcnt vmcnt(5)
	v_fma_f32 v4, v134, v177, -v4
	v_fmac_f32_e32 v200, v135, v177
	v_add_f32_e32 v2, v2, v5
	v_add_f32_e32 v3, v3, v199
	v_mul_f32_e32 v5, v139, v158
	s_waitcnt vmcnt(4)
	v_fma_f32 v8, v136, v178, -v8
	v_mul_f32_e32 v202, v138, v158
	v_add_f32_e32 v2, v2, v4
	v_fmac_f32_e32 v201, v137, v178
	v_add_f32_e32 v3, v3, v200
	s_waitcnt lgkmcnt(0)
	v_mul_f32_e32 v4, v7, v159
	s_waitcnt vmcnt(3)
	v_fma_f32 v5, v138, v179, -v5
	v_add_f32_e32 v2, v2, v8
	v_mul_f32_e32 v203, v6, v159
	v_fmac_f32_e32 v202, v139, v179
	v_add_f32_e32 v3, v3, v201
	s_waitcnt vmcnt(2)
	v_fma_f32 v4, v6, v180, -v4
	v_add_f32_e32 v2, v2, v5
	v_fmac_f32_e32 v203, v7, v180
	v_add_f32_e32 v3, v3, v202
	v_add_f32_e32 v2, v2, v4
	;; [unrolled: 1-line block ×3, first 2 shown]
	s_waitcnt vmcnt(1)
	v_sub_f32_e32 v2, v181, v2
	s_waitcnt vmcnt(0)
	v_sub_f32_e32 v3, v182, v3
	buffer_store_dword v2, off, s[0:3], 0 offset:200
	buffer_store_dword v3, off, s[0:3], 0 offset:204
	v_cmpx_lt_u32_e32 24, v0
	s_cbranch_execz .LBB110_247
; %bb.246:
	s_clause 0x1
	buffer_load_dword v2, off, s[0:3], 0 offset:192
	buffer_load_dword v3, off, s[0:3], 0 offset:196
	buffer_store_dword v1, off, s[0:3], 0 offset:192
	buffer_store_dword v1, off, s[0:3], 0 offset:196
	s_waitcnt vmcnt(0)
	ds_write_b64 v103, v[2:3]
.LBB110_247:
	s_or_b32 exec_lo, exec_lo, s4
	s_waitcnt lgkmcnt(0)
	s_waitcnt_vscnt null, 0x0
	s_barrier
	buffer_gl0_inv
	s_clause 0x2d
	buffer_load_dword v6, off, s[0:3], 0 offset:204
	buffer_load_dword v7, off, s[0:3], 0 offset:212
	;; [unrolled: 1-line block ×46, first 2 shown]
	ds_read2_b64 v[2:5], v1 offset0:73 offset1:74
	ds_read2_b64 v[104:107], v1 offset0:75 offset1:76
	;; [unrolled: 1-line block ×11, first 2 shown]
	s_mov_b32 s4, exec_lo
	s_waitcnt vmcnt(45) lgkmcnt(10)
	v_mul_f32_e32 v1, v2, v6
	v_mul_f32_e32 v6, v3, v6
	s_waitcnt vmcnt(44)
	v_mul_f32_e32 v187, v4, v7
	v_mul_f32_e32 v7, v5, v7
	s_waitcnt vmcnt(43) lgkmcnt(9)
	v_mul_f32_e32 v188, v104, v8
	s_waitcnt vmcnt(42)
	v_mul_f32_e32 v189, v106, v144
	s_waitcnt vmcnt(41) lgkmcnt(8)
	v_mul_f32_e32 v190, v108, v145
	s_waitcnt vmcnt(40)
	;; [unrolled: 4-line block ×9, first 2 shown]
	v_mul_f32_e32 v205, v138, v160
	s_waitcnt vmcnt(23)
	v_fma_f32 v2, v2, v163, -v6
	v_fmac_f32_e32 v1, v3, v163
	v_mul_f32_e32 v3, v105, v8
	s_waitcnt vmcnt(22)
	v_fma_f32 v4, v4, v164, -v7
	v_fmac_f32_e32 v187, v5, v164
	v_add_f32_e32 v2, 0, v2
	v_add_f32_e32 v1, 0, v1
	v_mul_f32_e32 v5, v107, v144
	s_waitcnt vmcnt(21)
	v_fma_f32 v3, v104, v165, -v3
	v_fmac_f32_e32 v188, v105, v165
	v_add_f32_e32 v2, v2, v4
	v_add_f32_e32 v1, v1, v187
	;; [unrolled: 6-line block ×18, first 2 shown]
	s_waitcnt lgkmcnt(0)
	v_mul_f32_e32 v3, v141, v161
	s_waitcnt vmcnt(4)
	v_fma_f32 v4, v138, v182, -v4
	v_mul_f32_e32 v206, v140, v161
	v_add_f32_e32 v2, v2, v5
	v_fmac_f32_e32 v205, v139, v182
	v_add_f32_e32 v1, v1, v204
	v_mul_f32_e32 v5, v143, v162
	s_waitcnt vmcnt(3)
	v_fma_f32 v3, v140, v183, -v3
	v_add_f32_e32 v2, v2, v4
	v_mul_f32_e32 v207, v142, v162
	v_fmac_f32_e32 v206, v141, v183
	v_add_f32_e32 v1, v1, v205
	s_waitcnt vmcnt(2)
	v_fma_f32 v4, v142, v184, -v5
	v_add_f32_e32 v2, v2, v3
	v_fmac_f32_e32 v207, v143, v184
	v_add_f32_e32 v1, v1, v206
	v_add_f32_e32 v2, v2, v4
	;; [unrolled: 1-line block ×3, first 2 shown]
	s_waitcnt vmcnt(1)
	v_sub_f32_e32 v2, v185, v2
	s_waitcnt vmcnt(0)
	v_sub_f32_e32 v1, v186, v1
	buffer_store_dword v2, off, s[0:3], 0 offset:192
	buffer_store_dword v1, off, s[0:3], 0 offset:196
	v_cmpx_lt_u32_e32 23, v0
	s_cbranch_execz .LBB110_249
; %bb.248:
	s_clause 0x1
	buffer_load_dword v1, off, s[0:3], 0 offset:184
	buffer_load_dword v2, off, s[0:3], 0 offset:188
	v_mov_b32_e32 v3, 0
	buffer_store_dword v3, off, s[0:3], 0 offset:184
	buffer_store_dword v3, off, s[0:3], 0 offset:188
	s_waitcnt vmcnt(0)
	ds_write_b64 v103, v[1:2]
.LBB110_249:
	s_or_b32 exec_lo, exec_lo, s4
	s_waitcnt lgkmcnt(0)
	s_waitcnt_vscnt null, 0x0
	s_barrier
	buffer_gl0_inv
	s_clause 0x2f
	buffer_load_dword v8, off, s[0:3], 0 offset:196
	buffer_load_dword v144, off, s[0:3], 0 offset:204
	;; [unrolled: 1-line block ×48, first 2 shown]
	v_mov_b32_e32 v1, 0
	ds_read_b128 v[2:5], v1 offset:576
	ds_read_b128 v[104:107], v1 offset:592
	;; [unrolled: 1-line block ×11, first 2 shown]
	ds_read_b64 v[6:7], v1 offset:752
	s_mov_b32 s4, exec_lo
	s_waitcnt vmcnt(47) lgkmcnt(11)
	v_mul_f32_e32 v191, v2, v8
	v_mul_f32_e32 v8, v3, v8
	s_waitcnt vmcnt(46)
	v_mul_f32_e32 v192, v4, v144
	v_mul_f32_e32 v144, v5, v144
	s_waitcnt vmcnt(45) lgkmcnt(10)
	v_mul_f32_e32 v193, v104, v145
	s_waitcnt vmcnt(44)
	v_mul_f32_e32 v194, v106, v146
	s_waitcnt vmcnt(43) lgkmcnt(9)
	v_mul_f32_e32 v195, v108, v147
	s_waitcnt vmcnt(42)
	;; [unrolled: 4-line block ×10, first 2 shown]
	v_fma_f32 v2, v2, v166, -v8
	v_fmac_f32_e32 v191, v3, v166
	v_mul_f32_e32 v3, v105, v145
	s_waitcnt vmcnt(23)
	v_fma_f32 v4, v4, v167, -v144
	v_fmac_f32_e32 v192, v5, v167
	v_add_f32_e32 v2, 0, v2
	v_add_f32_e32 v5, 0, v191
	v_mul_f32_e32 v8, v107, v146
	s_waitcnt vmcnt(22)
	v_fma_f32 v3, v104, v168, -v3
	v_fmac_f32_e32 v193, v105, v168
	v_add_f32_e32 v2, v2, v4
	v_add_f32_e32 v4, v5, v192
	;; [unrolled: 6-line block ×19, first 2 shown]
	v_mul_f32_e32 v8, v143, v164
	s_waitcnt vmcnt(4)
	v_fma_f32 v4, v140, v186, -v4
	v_mul_f32_e32 v212, v142, v164
	v_add_f32_e32 v2, v2, v5
	v_fmac_f32_e32 v211, v141, v186
	v_add_f32_e32 v3, v3, v210
	s_waitcnt lgkmcnt(0)
	v_mul_f32_e32 v5, v7, v165
	s_waitcnt vmcnt(3)
	v_fma_f32 v8, v142, v187, -v8
	v_add_f32_e32 v2, v2, v4
	v_mul_f32_e32 v213, v6, v165
	v_fmac_f32_e32 v212, v143, v187
	v_add_f32_e32 v3, v3, v211
	s_waitcnt vmcnt(2)
	v_fma_f32 v4, v6, v188, -v5
	v_add_f32_e32 v2, v2, v8
	v_fmac_f32_e32 v213, v7, v188
	v_add_f32_e32 v3, v3, v212
	v_add_f32_e32 v2, v2, v4
	;; [unrolled: 1-line block ×3, first 2 shown]
	s_waitcnt vmcnt(1)
	v_sub_f32_e32 v2, v189, v2
	s_waitcnt vmcnt(0)
	v_sub_f32_e32 v3, v190, v3
	buffer_store_dword v2, off, s[0:3], 0 offset:184
	buffer_store_dword v3, off, s[0:3], 0 offset:188
	v_cmpx_lt_u32_e32 22, v0
	s_cbranch_execz .LBB110_251
; %bb.250:
	s_clause 0x1
	buffer_load_dword v2, off, s[0:3], 0 offset:176
	buffer_load_dword v3, off, s[0:3], 0 offset:180
	buffer_store_dword v1, off, s[0:3], 0 offset:176
	buffer_store_dword v1, off, s[0:3], 0 offset:180
	s_waitcnt vmcnt(0)
	ds_write_b64 v103, v[2:3]
.LBB110_251:
	s_or_b32 exec_lo, exec_lo, s4
	s_waitcnt lgkmcnt(0)
	s_waitcnt_vscnt null, 0x0
	s_barrier
	buffer_gl0_inv
	s_clause 0x31
	buffer_load_dword v6, off, s[0:3], 0 offset:188
	buffer_load_dword v7, off, s[0:3], 0 offset:196
	;; [unrolled: 1-line block ×50, first 2 shown]
	ds_read2_b64 v[2:5], v1 offset0:71 offset1:72
	ds_read2_b64 v[104:107], v1 offset0:73 offset1:74
	;; [unrolled: 1-line block ×12, first 2 shown]
	s_mov_b32 s4, exec_lo
	s_waitcnt vmcnt(49) lgkmcnt(11)
	v_mul_f32_e32 v1, v2, v6
	v_mul_f32_e32 v6, v3, v6
	s_waitcnt vmcnt(48)
	v_mul_f32_e32 v195, v4, v7
	v_mul_f32_e32 v7, v5, v7
	s_waitcnt vmcnt(47) lgkmcnt(10)
	v_mul_f32_e32 v196, v104, v8
	s_waitcnt vmcnt(46)
	v_mul_f32_e32 v197, v106, v148
	s_waitcnt vmcnt(45) lgkmcnt(9)
	v_mul_f32_e32 v198, v108, v149
	s_waitcnt vmcnt(44)
	;; [unrolled: 4-line block ×10, first 2 shown]
	v_mul_f32_e32 v215, v142, v166
	s_waitcnt vmcnt(25)
	v_fma_f32 v2, v2, v169, -v6
	v_fmac_f32_e32 v1, v3, v169
	v_mul_f32_e32 v3, v105, v8
	s_waitcnt vmcnt(24)
	v_fma_f32 v4, v4, v170, -v7
	v_fmac_f32_e32 v195, v5, v170
	v_add_f32_e32 v2, 0, v2
	v_add_f32_e32 v1, 0, v1
	v_mul_f32_e32 v5, v107, v148
	s_waitcnt vmcnt(23)
	v_fma_f32 v3, v104, v171, -v3
	v_fmac_f32_e32 v196, v105, v171
	v_add_f32_e32 v2, v2, v4
	v_add_f32_e32 v1, v1, v195
	;; [unrolled: 6-line block ×20, first 2 shown]
	s_waitcnt lgkmcnt(0)
	v_mul_f32_e32 v4, v145, v167
	s_waitcnt vmcnt(4)
	v_fma_f32 v5, v142, v190, -v5
	v_mul_f32_e32 v216, v144, v167
	v_add_f32_e32 v2, v2, v3
	v_fmac_f32_e32 v215, v143, v190
	v_add_f32_e32 v1, v1, v214
	v_mul_f32_e32 v3, v147, v168
	s_waitcnt vmcnt(3)
	v_fma_f32 v4, v144, v191, -v4
	v_add_f32_e32 v2, v2, v5
	v_mul_f32_e32 v217, v146, v168
	v_fmac_f32_e32 v216, v145, v191
	v_add_f32_e32 v1, v1, v215
	s_waitcnt vmcnt(2)
	v_fma_f32 v3, v146, v192, -v3
	v_add_f32_e32 v2, v2, v4
	v_fmac_f32_e32 v217, v147, v192
	v_add_f32_e32 v1, v1, v216
	v_add_f32_e32 v2, v2, v3
	;; [unrolled: 1-line block ×3, first 2 shown]
	s_waitcnt vmcnt(1)
	v_sub_f32_e32 v2, v193, v2
	s_waitcnt vmcnt(0)
	v_sub_f32_e32 v1, v194, v1
	buffer_store_dword v2, off, s[0:3], 0 offset:176
	buffer_store_dword v1, off, s[0:3], 0 offset:180
	v_cmpx_lt_u32_e32 21, v0
	s_cbranch_execz .LBB110_253
; %bb.252:
	s_clause 0x1
	buffer_load_dword v1, off, s[0:3], 0 offset:168
	buffer_load_dword v2, off, s[0:3], 0 offset:172
	v_mov_b32_e32 v3, 0
	buffer_store_dword v3, off, s[0:3], 0 offset:168
	buffer_store_dword v3, off, s[0:3], 0 offset:172
	s_waitcnt vmcnt(0)
	ds_write_b64 v103, v[1:2]
.LBB110_253:
	s_or_b32 exec_lo, exec_lo, s4
	s_waitcnt lgkmcnt(0)
	s_waitcnt_vscnt null, 0x0
	s_barrier
	buffer_gl0_inv
	s_clause 0x33
	buffer_load_dword v8, off, s[0:3], 0 offset:180
	buffer_load_dword v148, off, s[0:3], 0 offset:188
	;; [unrolled: 1-line block ×52, first 2 shown]
	v_mov_b32_e32 v1, 0
	ds_read_b128 v[2:5], v1 offset:560
	ds_read_b128 v[104:107], v1 offset:576
	;; [unrolled: 1-line block ×12, first 2 shown]
	ds_read_b64 v[6:7], v1 offset:752
	s_mov_b32 s4, exec_lo
	s_waitcnt vmcnt(51) lgkmcnt(12)
	v_mul_f32_e32 v199, v2, v8
	v_mul_f32_e32 v8, v3, v8
	s_waitcnt vmcnt(50)
	v_mul_f32_e32 v200, v4, v148
	v_mul_f32_e32 v148, v5, v148
	s_waitcnt vmcnt(49) lgkmcnt(11)
	v_mul_f32_e32 v201, v104, v149
	s_waitcnt vmcnt(48)
	v_mul_f32_e32 v202, v106, v150
	s_waitcnt vmcnt(47) lgkmcnt(10)
	v_mul_f32_e32 v203, v108, v151
	s_waitcnt vmcnt(46)
	;; [unrolled: 4-line block ×11, first 2 shown]
	v_fma_f32 v2, v2, v172, -v8
	v_fmac_f32_e32 v199, v3, v172
	v_mul_f32_e32 v3, v105, v149
	s_waitcnt vmcnt(25)
	v_fma_f32 v4, v4, v173, -v148
	v_fmac_f32_e32 v200, v5, v173
	v_add_f32_e32 v2, 0, v2
	v_add_f32_e32 v5, 0, v199
	v_mul_f32_e32 v8, v107, v150
	s_waitcnt vmcnt(24)
	v_fma_f32 v3, v104, v174, -v3
	v_fmac_f32_e32 v201, v105, v174
	v_add_f32_e32 v2, v2, v4
	v_add_f32_e32 v4, v5, v200
	;; [unrolled: 6-line block ×21, first 2 shown]
	v_mul_f32_e32 v4, v147, v170
	s_waitcnt vmcnt(4)
	v_fma_f32 v5, v144, v194, -v5
	v_mul_f32_e32 v222, v146, v170
	v_add_f32_e32 v2, v2, v8
	v_fmac_f32_e32 v221, v145, v194
	v_add_f32_e32 v3, v3, v220
	s_waitcnt lgkmcnt(0)
	v_mul_f32_e32 v8, v7, v171
	s_waitcnt vmcnt(3)
	v_fma_f32 v4, v146, v195, -v4
	v_add_f32_e32 v2, v2, v5
	v_mul_f32_e32 v223, v6, v171
	v_fmac_f32_e32 v222, v147, v195
	v_add_f32_e32 v3, v3, v221
	s_waitcnt vmcnt(2)
	v_fma_f32 v5, v6, v196, -v8
	v_add_f32_e32 v2, v2, v4
	v_fmac_f32_e32 v223, v7, v196
	v_add_f32_e32 v3, v3, v222
	v_add_f32_e32 v2, v2, v5
	;; [unrolled: 1-line block ×3, first 2 shown]
	s_waitcnt vmcnt(1)
	v_sub_f32_e32 v2, v197, v2
	s_waitcnt vmcnt(0)
	v_sub_f32_e32 v3, v198, v3
	buffer_store_dword v2, off, s[0:3], 0 offset:168
	buffer_store_dword v3, off, s[0:3], 0 offset:172
	v_cmpx_lt_u32_e32 20, v0
	s_cbranch_execz .LBB110_255
; %bb.254:
	s_clause 0x1
	buffer_load_dword v2, off, s[0:3], 0 offset:160
	buffer_load_dword v3, off, s[0:3], 0 offset:164
	buffer_store_dword v1, off, s[0:3], 0 offset:160
	buffer_store_dword v1, off, s[0:3], 0 offset:164
	s_waitcnt vmcnt(0)
	ds_write_b64 v103, v[2:3]
.LBB110_255:
	s_or_b32 exec_lo, exec_lo, s4
	s_waitcnt lgkmcnt(0)
	s_waitcnt_vscnt null, 0x0
	s_barrier
	buffer_gl0_inv
	s_clause 0x35
	buffer_load_dword v6, off, s[0:3], 0 offset:172
	buffer_load_dword v7, off, s[0:3], 0 offset:180
	;; [unrolled: 1-line block ×54, first 2 shown]
	ds_read2_b64 v[2:5], v1 offset0:69 offset1:70
	ds_read2_b64 v[104:107], v1 offset0:71 offset1:72
	;; [unrolled: 1-line block ×13, first 2 shown]
	s_mov_b32 s4, exec_lo
	s_waitcnt vmcnt(53) lgkmcnt(12)
	v_mul_f32_e32 v1, v2, v6
	v_mul_f32_e32 v6, v3, v6
	s_waitcnt vmcnt(52)
	v_mul_f32_e32 v203, v4, v7
	v_mul_f32_e32 v7, v5, v7
	s_waitcnt vmcnt(51) lgkmcnt(11)
	v_mul_f32_e32 v204, v104, v8
	s_waitcnt vmcnt(50)
	v_mul_f32_e32 v205, v106, v152
	s_waitcnt vmcnt(49) lgkmcnt(10)
	v_mul_f32_e32 v206, v108, v153
	s_waitcnt vmcnt(48)
	v_mul_f32_e32 v207, v110, v154
	s_waitcnt vmcnt(47) lgkmcnt(9)
	v_mul_f32_e32 v208, v112, v155
	s_waitcnt vmcnt(46)
	v_mul_f32_e32 v209, v114, v156
	s_waitcnt vmcnt(45) lgkmcnt(8)
	v_mul_f32_e32 v210, v116, v157
	s_waitcnt vmcnt(44)
	v_mul_f32_e32 v211, v118, v158
	s_waitcnt vmcnt(43) lgkmcnt(7)
	v_mul_f32_e32 v212, v120, v159
	s_waitcnt vmcnt(42)
	v_mul_f32_e32 v213, v122, v160
	s_waitcnt vmcnt(41) lgkmcnt(6)
	v_mul_f32_e32 v214, v124, v161
	s_waitcnt vmcnt(40)
	v_mul_f32_e32 v215, v126, v162
	s_waitcnt vmcnt(39) lgkmcnt(5)
	v_mul_f32_e32 v216, v128, v163
	s_waitcnt vmcnt(38)
	v_mul_f32_e32 v217, v130, v164
	s_waitcnt vmcnt(37) lgkmcnt(4)
	v_mul_f32_e32 v218, v132, v165
	s_waitcnt vmcnt(36)
	v_mul_f32_e32 v219, v134, v166
	s_waitcnt vmcnt(35) lgkmcnt(3)
	v_mul_f32_e32 v220, v136, v167
	s_waitcnt vmcnt(34)
	v_mul_f32_e32 v221, v138, v168
	s_waitcnt vmcnt(33) lgkmcnt(2)
	v_mul_f32_e32 v222, v140, v169
	s_waitcnt vmcnt(32)
	v_mul_f32_e32 v223, v142, v170
	s_waitcnt vmcnt(31) lgkmcnt(1)
	v_mul_f32_e32 v224, v144, v171
	s_waitcnt vmcnt(30)
	v_mul_f32_e32 v225, v146, v172
	s_waitcnt vmcnt(27)
	v_fma_f32 v2, v2, v175, -v6
	v_fmac_f32_e32 v1, v3, v175
	v_mul_f32_e32 v3, v105, v8
	s_waitcnt vmcnt(26)
	v_fma_f32 v4, v4, v176, -v7
	v_fmac_f32_e32 v203, v5, v176
	v_add_f32_e32 v2, 0, v2
	v_add_f32_e32 v1, 0, v1
	v_mul_f32_e32 v5, v107, v152
	s_waitcnt vmcnt(25)
	v_fma_f32 v3, v104, v177, -v3
	v_fmac_f32_e32 v204, v105, v177
	v_add_f32_e32 v2, v2, v4
	v_add_f32_e32 v1, v1, v203
	;; [unrolled: 6-line block ×22, first 2 shown]
	s_waitcnt lgkmcnt(0)
	v_mul_f32_e32 v5, v149, v173
	s_waitcnt vmcnt(4)
	v_fma_f32 v3, v146, v198, -v3
	v_mul_f32_e32 v226, v148, v173
	v_add_f32_e32 v2, v2, v4
	v_fmac_f32_e32 v225, v147, v198
	v_add_f32_e32 v1, v1, v224
	v_mul_f32_e32 v4, v151, v174
	s_waitcnt vmcnt(3)
	v_fma_f32 v5, v148, v199, -v5
	v_add_f32_e32 v2, v2, v3
	v_mul_f32_e32 v227, v150, v174
	v_fmac_f32_e32 v226, v149, v199
	v_add_f32_e32 v1, v1, v225
	s_waitcnt vmcnt(2)
	v_fma_f32 v3, v150, v200, -v4
	v_add_f32_e32 v2, v2, v5
	v_fmac_f32_e32 v227, v151, v200
	v_add_f32_e32 v1, v1, v226
	v_add_f32_e32 v2, v2, v3
	;; [unrolled: 1-line block ×3, first 2 shown]
	s_waitcnt vmcnt(1)
	v_sub_f32_e32 v2, v201, v2
	s_waitcnt vmcnt(0)
	v_sub_f32_e32 v1, v202, v1
	buffer_store_dword v2, off, s[0:3], 0 offset:160
	buffer_store_dword v1, off, s[0:3], 0 offset:164
	v_cmpx_lt_u32_e32 19, v0
	s_cbranch_execz .LBB110_257
; %bb.256:
	s_clause 0x1
	buffer_load_dword v1, off, s[0:3], 0 offset:152
	buffer_load_dword v2, off, s[0:3], 0 offset:156
	v_mov_b32_e32 v3, 0
	buffer_store_dword v3, off, s[0:3], 0 offset:152
	buffer_store_dword v3, off, s[0:3], 0 offset:156
	s_waitcnt vmcnt(0)
	ds_write_b64 v103, v[1:2]
.LBB110_257:
	s_or_b32 exec_lo, exec_lo, s4
	s_waitcnt lgkmcnt(0)
	s_waitcnt_vscnt null, 0x0
	s_barrier
	buffer_gl0_inv
	s_clause 0x37
	buffer_load_dword v8, off, s[0:3], 0 offset:164
	buffer_load_dword v152, off, s[0:3], 0 offset:172
	buffer_load_dword v153, off, s[0:3], 0 offset:180
	buffer_load_dword v154, off, s[0:3], 0 offset:188
	buffer_load_dword v155, off, s[0:3], 0 offset:196
	buffer_load_dword v156, off, s[0:3], 0 offset:204
	buffer_load_dword v157, off, s[0:3], 0 offset:212
	buffer_load_dword v158, off, s[0:3], 0 offset:220
	buffer_load_dword v159, off, s[0:3], 0 offset:228
	buffer_load_dword v160, off, s[0:3], 0 offset:236
	buffer_load_dword v161, off, s[0:3], 0 offset:244
	buffer_load_dword v162, off, s[0:3], 0 offset:252
	buffer_load_dword v163, off, s[0:3], 0 offset:260
	buffer_load_dword v164, off, s[0:3], 0 offset:268
	buffer_load_dword v165, off, s[0:3], 0 offset:276
	buffer_load_dword v166, off, s[0:3], 0 offset:284
	buffer_load_dword v167, off, s[0:3], 0 offset:292
	buffer_load_dword v168, off, s[0:3], 0 offset:300
	buffer_load_dword v169, off, s[0:3], 0 offset:308
	buffer_load_dword v170, off, s[0:3], 0 offset:316
	buffer_load_dword v171, off, s[0:3], 0 offset:324
	buffer_load_dword v172, off, s[0:3], 0 offset:332
	buffer_load_dword v173, off, s[0:3], 0 offset:340
	buffer_load_dword v174, off, s[0:3], 0 offset:348
	buffer_load_dword v175, off, s[0:3], 0 offset:356
	buffer_load_dword v176, off, s[0:3], 0 offset:364
	buffer_load_dword v177, off, s[0:3], 0 offset:372
	buffer_load_dword v178, off, s[0:3], 0 offset:160
	buffer_load_dword v179, off, s[0:3], 0 offset:168
	buffer_load_dword v180, off, s[0:3], 0 offset:176
	buffer_load_dword v181, off, s[0:3], 0 offset:184
	buffer_load_dword v182, off, s[0:3], 0 offset:192
	buffer_load_dword v183, off, s[0:3], 0 offset:200
	buffer_load_dword v184, off, s[0:3], 0 offset:208
	buffer_load_dword v185, off, s[0:3], 0 offset:216
	buffer_load_dword v186, off, s[0:3], 0 offset:224
	buffer_load_dword v187, off, s[0:3], 0 offset:232
	buffer_load_dword v188, off, s[0:3], 0 offset:240
	buffer_load_dword v189, off, s[0:3], 0 offset:248
	buffer_load_dword v190, off, s[0:3], 0 offset:256
	buffer_load_dword v191, off, s[0:3], 0 offset:264
	buffer_load_dword v192, off, s[0:3], 0 offset:272
	buffer_load_dword v193, off, s[0:3], 0 offset:280
	buffer_load_dword v194, off, s[0:3], 0 offset:288
	buffer_load_dword v195, off, s[0:3], 0 offset:296
	buffer_load_dword v196, off, s[0:3], 0 offset:304
	buffer_load_dword v197, off, s[0:3], 0 offset:312
	buffer_load_dword v198, off, s[0:3], 0 offset:320
	buffer_load_dword v199, off, s[0:3], 0 offset:328
	buffer_load_dword v200, off, s[0:3], 0 offset:336
	buffer_load_dword v201, off, s[0:3], 0 offset:344
	buffer_load_dword v202, off, s[0:3], 0 offset:352
	buffer_load_dword v203, off, s[0:3], 0 offset:360
	buffer_load_dword v204, off, s[0:3], 0 offset:368
	buffer_load_dword v205, off, s[0:3], 0 offset:152
	buffer_load_dword v206, off, s[0:3], 0 offset:156
	v_mov_b32_e32 v1, 0
	ds_read_b128 v[2:5], v1 offset:544
	ds_read_b128 v[104:107], v1 offset:560
	ds_read_b128 v[108:111], v1 offset:576
	ds_read_b128 v[112:115], v1 offset:592
	ds_read_b128 v[116:119], v1 offset:608
	ds_read_b128 v[120:123], v1 offset:624
	ds_read_b128 v[124:127], v1 offset:640
	ds_read_b128 v[128:131], v1 offset:656
	ds_read_b128 v[132:135], v1 offset:672
	ds_read_b128 v[136:139], v1 offset:688
	ds_read_b128 v[140:143], v1 offset:704
	ds_read_b128 v[144:147], v1 offset:720
	ds_read_b128 v[148:151], v1 offset:736
	ds_read_b64 v[6:7], v1 offset:752
	s_mov_b32 s4, exec_lo
	s_waitcnt vmcnt(55) lgkmcnt(13)
	v_mul_f32_e32 v207, v2, v8
	v_mul_f32_e32 v8, v3, v8
	s_waitcnt vmcnt(54)
	v_mul_f32_e32 v208, v4, v152
	v_mul_f32_e32 v152, v5, v152
	s_waitcnt vmcnt(53) lgkmcnt(12)
	v_mul_f32_e32 v209, v104, v153
	s_waitcnt vmcnt(52)
	v_mul_f32_e32 v210, v106, v154
	s_waitcnt vmcnt(51) lgkmcnt(11)
	v_mul_f32_e32 v211, v108, v155
	s_waitcnt vmcnt(50)
	;; [unrolled: 4-line block ×12, first 2 shown]
	v_fma_f32 v2, v2, v178, -v8
	v_fmac_f32_e32 v207, v3, v178
	v_mul_f32_e32 v3, v105, v153
	s_waitcnt vmcnt(27)
	v_fma_f32 v4, v4, v179, -v152
	v_fmac_f32_e32 v208, v5, v179
	v_add_f32_e32 v2, 0, v2
	v_add_f32_e32 v5, 0, v207
	v_mul_f32_e32 v8, v107, v154
	s_waitcnt vmcnt(26)
	v_fma_f32 v3, v104, v180, -v3
	v_fmac_f32_e32 v209, v105, v180
	v_add_f32_e32 v2, v2, v4
	v_add_f32_e32 v4, v5, v208
	v_mul_f32_e32 v5, v109, v155
	s_waitcnt vmcnt(25)
	v_fma_f32 v8, v106, v181, -v8
	v_fmac_f32_e32 v210, v107, v181
	v_add_f32_e32 v2, v2, v3
	v_add_f32_e32 v3, v4, v209
	v_mul_f32_e32 v4, v111, v156
	s_waitcnt vmcnt(24)
	v_fma_f32 v5, v108, v182, -v5
	v_fmac_f32_e32 v211, v109, v182
	v_add_f32_e32 v2, v2, v8
	v_add_f32_e32 v3, v3, v210
	v_mul_f32_e32 v8, v113, v157
	s_waitcnt vmcnt(23)
	v_fma_f32 v4, v110, v183, -v4
	v_fmac_f32_e32 v212, v111, v183
	v_add_f32_e32 v2, v2, v5
	v_add_f32_e32 v3, v3, v211
	v_mul_f32_e32 v5, v115, v158
	s_waitcnt vmcnt(22)
	v_fma_f32 v8, v112, v184, -v8
	v_fmac_f32_e32 v213, v113, v184
	v_add_f32_e32 v2, v2, v4
	v_add_f32_e32 v3, v3, v212
	v_mul_f32_e32 v4, v117, v159
	s_waitcnt vmcnt(21)
	v_fma_f32 v5, v114, v185, -v5
	v_fmac_f32_e32 v214, v115, v185
	v_add_f32_e32 v2, v2, v8
	v_add_f32_e32 v3, v3, v213
	v_mul_f32_e32 v8, v119, v160
	s_waitcnt vmcnt(20)
	v_fma_f32 v4, v116, v186, -v4
	v_fmac_f32_e32 v215, v117, v186
	v_add_f32_e32 v2, v2, v5
	v_add_f32_e32 v3, v3, v214
	v_mul_f32_e32 v5, v121, v161
	s_waitcnt vmcnt(19)
	v_fma_f32 v8, v118, v187, -v8
	v_fmac_f32_e32 v216, v119, v187
	v_add_f32_e32 v2, v2, v4
	v_add_f32_e32 v3, v3, v215
	v_mul_f32_e32 v4, v123, v162
	s_waitcnt vmcnt(18)
	v_fma_f32 v5, v120, v188, -v5
	v_fmac_f32_e32 v217, v121, v188
	v_add_f32_e32 v2, v2, v8
	v_add_f32_e32 v3, v3, v216
	v_mul_f32_e32 v8, v125, v163
	s_waitcnt vmcnt(17)
	v_fma_f32 v4, v122, v189, -v4
	v_fmac_f32_e32 v218, v123, v189
	v_add_f32_e32 v2, v2, v5
	v_add_f32_e32 v3, v3, v217
	v_mul_f32_e32 v5, v127, v164
	s_waitcnt vmcnt(16)
	v_fma_f32 v8, v124, v190, -v8
	v_fmac_f32_e32 v219, v125, v190
	v_add_f32_e32 v2, v2, v4
	v_add_f32_e32 v3, v3, v218
	v_mul_f32_e32 v4, v129, v165
	s_waitcnt vmcnt(15)
	v_fma_f32 v5, v126, v191, -v5
	v_fmac_f32_e32 v220, v127, v191
	v_add_f32_e32 v2, v2, v8
	v_add_f32_e32 v3, v3, v219
	v_mul_f32_e32 v8, v131, v166
	s_waitcnt vmcnt(14)
	v_fma_f32 v4, v128, v192, -v4
	v_fmac_f32_e32 v221, v129, v192
	v_add_f32_e32 v2, v2, v5
	v_add_f32_e32 v3, v3, v220
	v_mul_f32_e32 v5, v133, v167
	s_waitcnt vmcnt(13)
	v_fma_f32 v8, v130, v193, -v8
	v_fmac_f32_e32 v222, v131, v193
	v_add_f32_e32 v2, v2, v4
	v_add_f32_e32 v3, v3, v221
	v_mul_f32_e32 v4, v135, v168
	s_waitcnt vmcnt(12)
	v_fma_f32 v5, v132, v194, -v5
	v_fmac_f32_e32 v223, v133, v194
	v_add_f32_e32 v2, v2, v8
	v_add_f32_e32 v3, v3, v222
	v_mul_f32_e32 v8, v137, v169
	s_waitcnt vmcnt(11)
	v_fma_f32 v4, v134, v195, -v4
	v_fmac_f32_e32 v224, v135, v195
	v_add_f32_e32 v2, v2, v5
	v_add_f32_e32 v3, v3, v223
	v_mul_f32_e32 v5, v139, v170
	s_waitcnt vmcnt(10)
	v_fma_f32 v8, v136, v196, -v8
	v_fmac_f32_e32 v225, v137, v196
	v_add_f32_e32 v2, v2, v4
	v_add_f32_e32 v3, v3, v224
	v_mul_f32_e32 v4, v141, v171
	s_waitcnt vmcnt(9)
	v_fma_f32 v5, v138, v197, -v5
	v_fmac_f32_e32 v226, v139, v197
	v_add_f32_e32 v2, v2, v8
	v_add_f32_e32 v3, v3, v225
	v_mul_f32_e32 v8, v143, v172
	s_waitcnt vmcnt(8)
	v_fma_f32 v4, v140, v198, -v4
	v_fmac_f32_e32 v227, v141, v198
	v_add_f32_e32 v2, v2, v5
	v_add_f32_e32 v3, v3, v226
	v_mul_f32_e32 v5, v145, v173
	s_waitcnt vmcnt(7)
	v_fma_f32 v8, v142, v199, -v8
	v_fmac_f32_e32 v228, v143, v199
	v_add_f32_e32 v2, v2, v4
	v_add_f32_e32 v3, v3, v227
	v_mul_f32_e32 v4, v147, v174
	s_waitcnt vmcnt(6)
	v_fma_f32 v5, v144, v200, -v5
	v_fmac_f32_e32 v229, v145, v200
	v_add_f32_e32 v2, v2, v8
	v_add_f32_e32 v3, v3, v228
	v_mul_f32_e32 v8, v149, v175
	s_waitcnt vmcnt(5)
	v_fma_f32 v4, v146, v201, -v4
	v_fmac_f32_e32 v230, v147, v201
	v_add_f32_e32 v2, v2, v5
	v_add_f32_e32 v3, v3, v229
	v_mul_f32_e32 v5, v151, v176
	s_waitcnt vmcnt(4)
	v_fma_f32 v8, v148, v202, -v8
	v_mul_f32_e32 v232, v150, v176
	v_add_f32_e32 v2, v2, v4
	v_fmac_f32_e32 v231, v149, v202
	v_add_f32_e32 v3, v3, v230
	s_waitcnt lgkmcnt(0)
	v_mul_f32_e32 v4, v7, v177
	s_waitcnt vmcnt(3)
	v_fma_f32 v5, v150, v203, -v5
	v_add_f32_e32 v2, v2, v8
	v_mul_f32_e32 v233, v6, v177
	v_fmac_f32_e32 v232, v151, v203
	v_add_f32_e32 v3, v3, v231
	s_waitcnt vmcnt(2)
	v_fma_f32 v4, v6, v204, -v4
	v_add_f32_e32 v2, v2, v5
	v_fmac_f32_e32 v233, v7, v204
	v_add_f32_e32 v3, v3, v232
	v_add_f32_e32 v2, v2, v4
	;; [unrolled: 1-line block ×3, first 2 shown]
	s_waitcnt vmcnt(1)
	v_sub_f32_e32 v2, v205, v2
	s_waitcnt vmcnt(0)
	v_sub_f32_e32 v3, v206, v3
	buffer_store_dword v2, off, s[0:3], 0 offset:152
	buffer_store_dword v3, off, s[0:3], 0 offset:156
	v_cmpx_lt_u32_e32 18, v0
	s_cbranch_execz .LBB110_259
; %bb.258:
	s_clause 0x1
	buffer_load_dword v2, off, s[0:3], 0 offset:144
	buffer_load_dword v3, off, s[0:3], 0 offset:148
	buffer_store_dword v1, off, s[0:3], 0 offset:144
	buffer_store_dword v1, off, s[0:3], 0 offset:148
	s_waitcnt vmcnt(0)
	ds_write_b64 v103, v[2:3]
.LBB110_259:
	s_or_b32 exec_lo, exec_lo, s4
	s_waitcnt lgkmcnt(0)
	s_waitcnt_vscnt null, 0x0
	s_barrier
	buffer_gl0_inv
	s_clause 0x39
	buffer_load_dword v6, off, s[0:3], 0 offset:156
	buffer_load_dword v7, off, s[0:3], 0 offset:164
	;; [unrolled: 1-line block ×58, first 2 shown]
	ds_read2_b64 v[2:5], v1 offset0:67 offset1:68
	ds_read2_b64 v[104:107], v1 offset0:69 offset1:70
	;; [unrolled: 1-line block ×14, first 2 shown]
	s_mov_b32 s4, exec_lo
	s_waitcnt vmcnt(57) lgkmcnt(13)
	v_mul_f32_e32 v1, v2, v6
	v_mul_f32_e32 v6, v3, v6
	s_waitcnt vmcnt(56)
	v_mul_f32_e32 v211, v4, v7
	v_mul_f32_e32 v7, v5, v7
	s_waitcnt vmcnt(55) lgkmcnt(12)
	v_mul_f32_e32 v212, v104, v8
	s_waitcnt vmcnt(54)
	v_mul_f32_e32 v213, v106, v156
	s_waitcnt vmcnt(53) lgkmcnt(11)
	v_mul_f32_e32 v214, v108, v157
	s_waitcnt vmcnt(52)
	;; [unrolled: 4-line block ×12, first 2 shown]
	v_mul_f32_e32 v235, v150, v178
	s_waitcnt vmcnt(29)
	v_fma_f32 v2, v2, v181, -v6
	v_fmac_f32_e32 v1, v3, v181
	v_mul_f32_e32 v3, v105, v8
	s_waitcnt vmcnt(28)
	v_fma_f32 v4, v4, v182, -v7
	v_fmac_f32_e32 v211, v5, v182
	v_add_f32_e32 v2, 0, v2
	v_add_f32_e32 v1, 0, v1
	v_mul_f32_e32 v5, v107, v156
	s_waitcnt vmcnt(27)
	v_fma_f32 v3, v104, v183, -v3
	v_fmac_f32_e32 v212, v105, v183
	v_add_f32_e32 v2, v2, v4
	v_add_f32_e32 v1, v1, v211
	;; [unrolled: 6-line block ×24, first 2 shown]
	s_waitcnt lgkmcnt(0)
	v_mul_f32_e32 v3, v153, v179
	s_waitcnt vmcnt(4)
	v_fma_f32 v4, v150, v206, -v4
	v_mul_f32_e32 v236, v152, v179
	v_add_f32_e32 v2, v2, v5
	v_fmac_f32_e32 v235, v151, v206
	v_add_f32_e32 v1, v1, v234
	v_mul_f32_e32 v5, v155, v180
	s_waitcnt vmcnt(3)
	v_fma_f32 v3, v152, v207, -v3
	v_add_f32_e32 v2, v2, v4
	v_mul_f32_e32 v237, v154, v180
	v_fmac_f32_e32 v236, v153, v207
	v_add_f32_e32 v1, v1, v235
	s_waitcnt vmcnt(2)
	v_fma_f32 v4, v154, v208, -v5
	v_add_f32_e32 v2, v2, v3
	v_fmac_f32_e32 v237, v155, v208
	v_add_f32_e32 v1, v1, v236
	v_add_f32_e32 v2, v2, v4
	;; [unrolled: 1-line block ×3, first 2 shown]
	s_waitcnt vmcnt(1)
	v_sub_f32_e32 v2, v209, v2
	s_waitcnt vmcnt(0)
	v_sub_f32_e32 v1, v210, v1
	buffer_store_dword v2, off, s[0:3], 0 offset:144
	buffer_store_dword v1, off, s[0:3], 0 offset:148
	v_cmpx_lt_u32_e32 17, v0
	s_cbranch_execz .LBB110_261
; %bb.260:
	s_clause 0x1
	buffer_load_dword v1, off, s[0:3], 0 offset:136
	buffer_load_dword v2, off, s[0:3], 0 offset:140
	v_mov_b32_e32 v3, 0
	buffer_store_dword v3, off, s[0:3], 0 offset:136
	buffer_store_dword v3, off, s[0:3], 0 offset:140
	s_waitcnt vmcnt(0)
	ds_write_b64 v103, v[1:2]
.LBB110_261:
	s_or_b32 exec_lo, exec_lo, s4
	s_waitcnt lgkmcnt(0)
	s_waitcnt_vscnt null, 0x0
	s_barrier
	buffer_gl0_inv
	s_clause 0x3b
	buffer_load_dword v8, off, s[0:3], 0 offset:148
	buffer_load_dword v156, off, s[0:3], 0 offset:156
	;; [unrolled: 1-line block ×60, first 2 shown]
	v_mov_b32_e32 v1, 0
	ds_read_b128 v[2:5], v1 offset:528
	ds_read_b128 v[104:107], v1 offset:544
	;; [unrolled: 1-line block ×14, first 2 shown]
	ds_read_b64 v[6:7], v1 offset:752
	s_mov_b32 s4, exec_lo
	s_waitcnt vmcnt(59) lgkmcnt(14)
	v_mul_f32_e32 v215, v2, v8
	v_mul_f32_e32 v8, v3, v8
	s_waitcnt vmcnt(58)
	v_mul_f32_e32 v216, v4, v156
	v_mul_f32_e32 v156, v5, v156
	s_waitcnt vmcnt(57) lgkmcnt(13)
	v_mul_f32_e32 v217, v104, v157
	s_waitcnt vmcnt(56)
	v_mul_f32_e32 v218, v106, v158
	s_waitcnt vmcnt(55) lgkmcnt(12)
	v_mul_f32_e32 v219, v108, v159
	s_waitcnt vmcnt(54)
	v_mul_f32_e32 v220, v110, v160
	s_waitcnt vmcnt(53) lgkmcnt(11)
	v_mul_f32_e32 v221, v112, v161
	s_waitcnt vmcnt(52)
	v_mul_f32_e32 v222, v114, v162
	s_waitcnt vmcnt(51) lgkmcnt(10)
	v_mul_f32_e32 v223, v116, v163
	s_waitcnt vmcnt(50)
	v_mul_f32_e32 v224, v118, v164
	s_waitcnt vmcnt(49) lgkmcnt(9)
	v_mul_f32_e32 v225, v120, v165
	s_waitcnt vmcnt(48)
	v_mul_f32_e32 v226, v122, v166
	s_waitcnt vmcnt(47) lgkmcnt(8)
	v_mul_f32_e32 v227, v124, v167
	s_waitcnt vmcnt(46)
	v_mul_f32_e32 v228, v126, v168
	s_waitcnt vmcnt(45) lgkmcnt(7)
	v_mul_f32_e32 v229, v128, v169
	s_waitcnt vmcnt(44)
	v_mul_f32_e32 v230, v130, v170
	s_waitcnt vmcnt(43) lgkmcnt(6)
	v_mul_f32_e32 v231, v132, v171
	s_waitcnt vmcnt(42)
	v_mul_f32_e32 v232, v134, v172
	s_waitcnt vmcnt(41) lgkmcnt(5)
	v_mul_f32_e32 v233, v136, v173
	s_waitcnt vmcnt(40)
	v_mul_f32_e32 v234, v138, v174
	s_waitcnt vmcnt(39) lgkmcnt(4)
	v_mul_f32_e32 v235, v140, v175
	s_waitcnt vmcnt(38)
	v_mul_f32_e32 v236, v142, v176
	s_waitcnt vmcnt(37) lgkmcnt(3)
	v_mul_f32_e32 v237, v144, v177
	s_waitcnt vmcnt(36)
	v_mul_f32_e32 v238, v146, v178
	s_waitcnt vmcnt(35) lgkmcnt(2)
	v_mul_f32_e32 v239, v148, v179
	s_waitcnt vmcnt(34)
	v_mul_f32_e32 v240, v150, v180
	s_waitcnt vmcnt(33) lgkmcnt(1)
	v_mul_f32_e32 v241, v152, v181
	s_waitcnt vmcnt(30)
	v_fma_f32 v2, v2, v184, -v8
	v_fmac_f32_e32 v215, v3, v184
	v_mul_f32_e32 v3, v105, v157
	s_waitcnt vmcnt(29)
	v_fma_f32 v4, v4, v185, -v156
	v_fmac_f32_e32 v216, v5, v185
	v_add_f32_e32 v2, 0, v2
	v_add_f32_e32 v5, 0, v215
	v_mul_f32_e32 v8, v107, v158
	s_waitcnt vmcnt(28)
	v_fma_f32 v3, v104, v186, -v3
	v_fmac_f32_e32 v217, v105, v186
	v_add_f32_e32 v2, v2, v4
	v_add_f32_e32 v4, v5, v216
	;; [unrolled: 6-line block ×25, first 2 shown]
	v_mul_f32_e32 v8, v155, v182
	s_waitcnt vmcnt(4)
	v_fma_f32 v4, v152, v210, -v4
	v_mul_f32_e32 v242, v154, v182
	v_add_f32_e32 v2, v2, v5
	v_fmac_f32_e32 v241, v153, v210
	v_add_f32_e32 v3, v3, v240
	s_waitcnt lgkmcnt(0)
	v_mul_f32_e32 v5, v7, v183
	s_waitcnt vmcnt(3)
	v_fma_f32 v8, v154, v211, -v8
	v_add_f32_e32 v2, v2, v4
	v_mul_f32_e32 v243, v6, v183
	v_fmac_f32_e32 v242, v155, v211
	v_add_f32_e32 v3, v3, v241
	s_waitcnt vmcnt(2)
	v_fma_f32 v4, v6, v212, -v5
	v_add_f32_e32 v2, v2, v8
	v_fmac_f32_e32 v243, v7, v212
	v_add_f32_e32 v3, v3, v242
	v_add_f32_e32 v2, v2, v4
	v_add_f32_e32 v3, v3, v243
	s_waitcnt vmcnt(1)
	v_sub_f32_e32 v2, v213, v2
	s_waitcnt vmcnt(0)
	v_sub_f32_e32 v3, v214, v3
	buffer_store_dword v2, off, s[0:3], 0 offset:136
	buffer_store_dword v3, off, s[0:3], 0 offset:140
	v_cmpx_lt_u32_e32 16, v0
	s_cbranch_execz .LBB110_263
; %bb.262:
	s_clause 0x1
	buffer_load_dword v2, off, s[0:3], 0 offset:128
	buffer_load_dword v3, off, s[0:3], 0 offset:132
	buffer_store_dword v1, off, s[0:3], 0 offset:128
	buffer_store_dword v1, off, s[0:3], 0 offset:132
	s_waitcnt vmcnt(0)
	ds_write_b64 v103, v[2:3]
.LBB110_263:
	s_or_b32 exec_lo, exec_lo, s4
	s_waitcnt lgkmcnt(0)
	s_waitcnt_vscnt null, 0x0
	s_barrier
	buffer_gl0_inv
	s_clause 0x3d
	buffer_load_dword v6, off, s[0:3], 0 offset:140
	buffer_load_dword v7, off, s[0:3], 0 offset:148
	;; [unrolled: 1-line block ×62, first 2 shown]
	ds_read2_b64 v[2:5], v1 offset0:65 offset1:66
	ds_read2_b64 v[104:107], v1 offset0:67 offset1:68
	;; [unrolled: 1-line block ×15, first 2 shown]
	s_mov_b32 s4, exec_lo
	s_waitcnt vmcnt(61) lgkmcnt(14)
	v_mul_f32_e32 v1, v2, v6
	v_mul_f32_e32 v6, v3, v6
	s_waitcnt vmcnt(60)
	v_mul_f32_e32 v219, v4, v7
	v_mul_f32_e32 v7, v5, v7
	s_waitcnt vmcnt(59) lgkmcnt(13)
	v_mul_f32_e32 v220, v104, v8
	s_waitcnt vmcnt(58)
	v_mul_f32_e32 v221, v106, v160
	s_waitcnt vmcnt(57) lgkmcnt(12)
	v_mul_f32_e32 v222, v108, v161
	s_waitcnt vmcnt(56)
	;; [unrolled: 4-line block ×13, first 2 shown]
	v_mul_f32_e32 v245, v154, v184
	s_waitcnt vmcnt(31)
	v_fma_f32 v2, v2, v187, -v6
	v_fmac_f32_e32 v1, v3, v187
	v_mul_f32_e32 v3, v105, v8
	s_waitcnt vmcnt(30)
	v_fma_f32 v4, v4, v188, -v7
	v_fmac_f32_e32 v219, v5, v188
	v_add_f32_e32 v2, 0, v2
	v_add_f32_e32 v1, 0, v1
	v_mul_f32_e32 v5, v107, v160
	s_waitcnt vmcnt(29)
	v_fma_f32 v3, v104, v189, -v3
	v_fmac_f32_e32 v220, v105, v189
	v_add_f32_e32 v2, v2, v4
	v_add_f32_e32 v1, v1, v219
	v_mul_f32_e32 v4, v109, v161
	s_waitcnt vmcnt(28)
	v_fma_f32 v5, v106, v190, -v5
	v_fmac_f32_e32 v221, v107, v190
	v_add_f32_e32 v2, v2, v3
	v_add_f32_e32 v1, v1, v220
	v_mul_f32_e32 v3, v111, v162
	s_waitcnt vmcnt(27)
	v_fma_f32 v4, v108, v191, -v4
	v_fmac_f32_e32 v222, v109, v191
	v_add_f32_e32 v2, v2, v5
	v_add_f32_e32 v1, v1, v221
	v_mul_f32_e32 v5, v113, v163
	s_waitcnt vmcnt(26)
	v_fma_f32 v3, v110, v192, -v3
	v_fmac_f32_e32 v223, v111, v192
	v_add_f32_e32 v2, v2, v4
	v_add_f32_e32 v1, v1, v222
	v_mul_f32_e32 v4, v115, v164
	s_waitcnt vmcnt(25)
	v_fma_f32 v5, v112, v193, -v5
	v_fmac_f32_e32 v224, v113, v193
	v_add_f32_e32 v2, v2, v3
	v_add_f32_e32 v1, v1, v223
	v_mul_f32_e32 v3, v117, v165
	s_waitcnt vmcnt(24)
	v_fma_f32 v4, v114, v194, -v4
	v_fmac_f32_e32 v225, v115, v194
	v_add_f32_e32 v2, v2, v5
	v_add_f32_e32 v1, v1, v224
	v_mul_f32_e32 v5, v119, v166
	s_waitcnt vmcnt(23)
	v_fma_f32 v3, v116, v195, -v3
	v_fmac_f32_e32 v226, v117, v195
	v_add_f32_e32 v2, v2, v4
	v_add_f32_e32 v1, v1, v225
	v_mul_f32_e32 v4, v121, v167
	s_waitcnt vmcnt(22)
	v_fma_f32 v5, v118, v196, -v5
	v_fmac_f32_e32 v227, v119, v196
	v_add_f32_e32 v2, v2, v3
	v_add_f32_e32 v1, v1, v226
	v_mul_f32_e32 v3, v123, v168
	s_waitcnt vmcnt(21)
	v_fma_f32 v4, v120, v197, -v4
	v_fmac_f32_e32 v228, v121, v197
	v_add_f32_e32 v2, v2, v5
	v_add_f32_e32 v1, v1, v227
	v_mul_f32_e32 v5, v125, v169
	s_waitcnt vmcnt(20)
	v_fma_f32 v3, v122, v198, -v3
	v_fmac_f32_e32 v229, v123, v198
	v_add_f32_e32 v2, v2, v4
	v_add_f32_e32 v1, v1, v228
	v_mul_f32_e32 v4, v127, v170
	s_waitcnt vmcnt(19)
	v_fma_f32 v5, v124, v199, -v5
	v_fmac_f32_e32 v230, v125, v199
	v_add_f32_e32 v2, v2, v3
	v_add_f32_e32 v1, v1, v229
	v_mul_f32_e32 v3, v129, v171
	s_waitcnt vmcnt(18)
	v_fma_f32 v4, v126, v200, -v4
	v_fmac_f32_e32 v231, v127, v200
	v_add_f32_e32 v2, v2, v5
	v_add_f32_e32 v1, v1, v230
	v_mul_f32_e32 v5, v131, v172
	s_waitcnt vmcnt(17)
	v_fma_f32 v3, v128, v201, -v3
	v_fmac_f32_e32 v232, v129, v201
	v_add_f32_e32 v2, v2, v4
	v_add_f32_e32 v1, v1, v231
	v_mul_f32_e32 v4, v133, v173
	s_waitcnt vmcnt(16)
	v_fma_f32 v5, v130, v202, -v5
	v_fmac_f32_e32 v233, v131, v202
	v_add_f32_e32 v2, v2, v3
	v_add_f32_e32 v1, v1, v232
	v_mul_f32_e32 v3, v135, v174
	s_waitcnt vmcnt(15)
	v_fma_f32 v4, v132, v203, -v4
	v_fmac_f32_e32 v234, v133, v203
	v_add_f32_e32 v2, v2, v5
	v_add_f32_e32 v1, v1, v233
	v_mul_f32_e32 v5, v137, v175
	s_waitcnt vmcnt(14)
	v_fma_f32 v3, v134, v204, -v3
	v_fmac_f32_e32 v235, v135, v204
	v_add_f32_e32 v2, v2, v4
	v_add_f32_e32 v1, v1, v234
	v_mul_f32_e32 v4, v139, v176
	s_waitcnt vmcnt(13)
	v_fma_f32 v5, v136, v205, -v5
	v_fmac_f32_e32 v236, v137, v205
	v_add_f32_e32 v2, v2, v3
	v_add_f32_e32 v1, v1, v235
	v_mul_f32_e32 v3, v141, v177
	s_waitcnt vmcnt(12)
	v_fma_f32 v4, v138, v206, -v4
	v_fmac_f32_e32 v237, v139, v206
	v_add_f32_e32 v2, v2, v5
	v_add_f32_e32 v1, v1, v236
	v_mul_f32_e32 v5, v143, v178
	s_waitcnt vmcnt(11)
	v_fma_f32 v3, v140, v207, -v3
	v_fmac_f32_e32 v238, v141, v207
	v_add_f32_e32 v2, v2, v4
	v_add_f32_e32 v1, v1, v237
	v_mul_f32_e32 v4, v145, v179
	s_waitcnt vmcnt(10)
	v_fma_f32 v5, v142, v208, -v5
	v_fmac_f32_e32 v239, v143, v208
	v_add_f32_e32 v2, v2, v3
	v_add_f32_e32 v1, v1, v238
	v_mul_f32_e32 v3, v147, v180
	s_waitcnt vmcnt(9)
	v_fma_f32 v4, v144, v209, -v4
	v_fmac_f32_e32 v240, v145, v209
	v_add_f32_e32 v2, v2, v5
	v_add_f32_e32 v1, v1, v239
	v_mul_f32_e32 v5, v149, v181
	s_waitcnt vmcnt(8)
	v_fma_f32 v3, v146, v210, -v3
	v_fmac_f32_e32 v241, v147, v210
	v_add_f32_e32 v2, v2, v4
	v_add_f32_e32 v1, v1, v240
	v_mul_f32_e32 v4, v151, v182
	s_waitcnt vmcnt(7)
	v_fma_f32 v5, v148, v211, -v5
	v_fmac_f32_e32 v242, v149, v211
	v_add_f32_e32 v2, v2, v3
	v_add_f32_e32 v1, v1, v241
	v_mul_f32_e32 v3, v153, v183
	s_waitcnt vmcnt(6)
	v_fma_f32 v4, v150, v212, -v4
	v_fmac_f32_e32 v243, v151, v212
	v_add_f32_e32 v2, v2, v5
	v_add_f32_e32 v1, v1, v242
	v_mul_f32_e32 v5, v155, v184
	s_waitcnt vmcnt(5)
	v_fma_f32 v3, v152, v213, -v3
	v_fmac_f32_e32 v244, v153, v213
	v_add_f32_e32 v2, v2, v4
	v_add_f32_e32 v1, v1, v243
	s_waitcnt lgkmcnt(0)
	v_mul_f32_e32 v4, v157, v185
	s_waitcnt vmcnt(4)
	v_fma_f32 v5, v154, v214, -v5
	v_mul_f32_e32 v246, v156, v185
	v_add_f32_e32 v2, v2, v3
	v_fmac_f32_e32 v245, v155, v214
	v_add_f32_e32 v1, v1, v244
	v_mul_f32_e32 v3, v159, v186
	s_waitcnt vmcnt(3)
	v_fma_f32 v4, v156, v215, -v4
	v_add_f32_e32 v2, v2, v5
	v_mul_f32_e32 v247, v158, v186
	v_fmac_f32_e32 v246, v157, v215
	v_add_f32_e32 v1, v1, v245
	s_waitcnt vmcnt(2)
	v_fma_f32 v3, v158, v216, -v3
	v_add_f32_e32 v2, v2, v4
	v_fmac_f32_e32 v247, v159, v216
	v_add_f32_e32 v1, v1, v246
	v_add_f32_e32 v2, v2, v3
	;; [unrolled: 1-line block ×3, first 2 shown]
	s_waitcnt vmcnt(1)
	v_sub_f32_e32 v2, v217, v2
	s_waitcnt vmcnt(0)
	v_sub_f32_e32 v1, v218, v1
	buffer_store_dword v2, off, s[0:3], 0 offset:128
	buffer_store_dword v1, off, s[0:3], 0 offset:132
	v_cmpx_lt_u32_e32 15, v0
	s_cbranch_execz .LBB110_265
; %bb.264:
	s_clause 0x1
	buffer_load_dword v1, off, s[0:3], 0 offset:120
	buffer_load_dword v2, off, s[0:3], 0 offset:124
	v_mov_b32_e32 v3, 0
	buffer_store_dword v3, off, s[0:3], 0 offset:120
	buffer_store_dword v3, off, s[0:3], 0 offset:124
	s_waitcnt vmcnt(0)
	ds_write_b64 v103, v[1:2]
.LBB110_265:
	s_or_b32 exec_lo, exec_lo, s4
	s_waitcnt lgkmcnt(0)
	s_waitcnt_vscnt null, 0x0
	s_barrier
	buffer_gl0_inv
	s_clause 0x3e
	buffer_load_dword v8, off, s[0:3], 0 offset:132
	buffer_load_dword v160, off, s[0:3], 0 offset:140
	;; [unrolled: 1-line block ×64, first 2 shown]
	v_mov_b32_e32 v1, 0
	ds_read_b128 v[2:5], v1 offset:512
	ds_read_b128 v[104:107], v1 offset:528
	;; [unrolled: 1-line block ×15, first 2 shown]
	ds_read_b64 v[6:7], v1 offset:752
	s_mov_b32 s4, exec_lo
	s_waitcnt vmcnt(62) lgkmcnt(15)
	v_mul_f32_e32 v223, v2, v8
	v_mul_f32_e32 v8, v3, v8
	;; [unrolled: 1-line block ×4, first 2 shown]
	s_waitcnt vmcnt(61) lgkmcnt(14)
	v_mul_f32_e32 v225, v104, v161
	s_waitcnt vmcnt(60)
	v_mul_f32_e32 v226, v106, v162
	s_waitcnt vmcnt(59) lgkmcnt(13)
	v_mul_f32_e32 v227, v108, v163
	s_waitcnt vmcnt(58)
	v_mul_f32_e32 v228, v110, v164
	;; [unrolled: 4-line block ×13, first 2 shown]
	s_waitcnt vmcnt(35) lgkmcnt(1)
	v_mul_f32_e32 v251, v156, v187
	s_waitcnt vmcnt(32)
	v_fma_f32 v2, v2, v190, -v8
	v_fmac_f32_e32 v223, v3, v190
	v_mul_f32_e32 v3, v105, v161
	s_waitcnt vmcnt(31)
	v_fma_f32 v4, v4, v191, -v160
	v_fmac_f32_e32 v224, v5, v191
	v_add_f32_e32 v2, 0, v2
	v_add_f32_e32 v5, 0, v223
	v_mul_f32_e32 v8, v107, v162
	s_waitcnt vmcnt(30)
	v_fma_f32 v3, v104, v192, -v3
	v_fmac_f32_e32 v225, v105, v192
	v_add_f32_e32 v2, v2, v4
	v_add_f32_e32 v4, v5, v224
	;; [unrolled: 6-line block ×27, first 2 shown]
	v_mul_f32_e32 v4, v159, v188
	s_waitcnt vmcnt(4)
	v_fma_f32 v5, v156, v218, -v5
	v_mul_f32_e32 v252, v158, v188
	v_add_f32_e32 v2, v2, v8
	v_fmac_f32_e32 v251, v157, v218
	v_add_f32_e32 v3, v3, v250
	s_waitcnt lgkmcnt(0)
	v_mul_f32_e32 v8, v7, v189
	s_waitcnt vmcnt(3)
	v_fma_f32 v4, v158, v219, -v4
	v_add_f32_e32 v2, v2, v5
	v_mul_f32_e32 v253, v6, v189
	v_fmac_f32_e32 v252, v159, v219
	v_add_f32_e32 v3, v3, v251
	s_waitcnt vmcnt(2)
	v_fma_f32 v5, v6, v220, -v8
	v_add_f32_e32 v2, v2, v4
	v_fmac_f32_e32 v253, v7, v220
	v_add_f32_e32 v3, v3, v252
	v_add_f32_e32 v2, v2, v5
	;; [unrolled: 1-line block ×3, first 2 shown]
	s_waitcnt vmcnt(1)
	v_sub_f32_e32 v2, v221, v2
	s_waitcnt vmcnt(0)
	v_sub_f32_e32 v3, v222, v3
	buffer_store_dword v2, off, s[0:3], 0 offset:120
	buffer_store_dword v3, off, s[0:3], 0 offset:124
	v_cmpx_lt_u32_e32 14, v0
	s_cbranch_execz .LBB110_267
; %bb.266:
	s_clause 0x1
	buffer_load_dword v2, off, s[0:3], 0 offset:112
	buffer_load_dword v3, off, s[0:3], 0 offset:116
	buffer_store_dword v1, off, s[0:3], 0 offset:112
	buffer_store_dword v1, off, s[0:3], 0 offset:116
	s_waitcnt vmcnt(0)
	ds_write_b64 v103, v[2:3]
.LBB110_267:
	s_or_b32 exec_lo, exec_lo, s4
	s_waitcnt lgkmcnt(0)
	s_waitcnt_vscnt null, 0x0
	s_barrier
	buffer_gl0_inv
	s_clause 0x23
	buffer_load_dword v3, off, s[0:3], 0 offset:124
	buffer_load_dword v4, off, s[0:3], 0 offset:132
	;; [unrolled: 1-line block ×36, first 2 shown]
	ds_read2_b64 v[128:131], v1 offset0:63 offset1:64
	ds_read2_b64 v[132:135], v1 offset0:65 offset1:66
	s_clause 0x1
	buffer_load_dword v149, off, s[0:3], 0 offset:252
	buffer_load_dword v150, off, s[0:3], 0 offset:260
	ds_read2_b64 v[136:139], v1 offset0:67 offset1:68
	ds_read2_b64 v[140:143], v1 offset0:69 offset1:70
	buffer_load_dword v151, off, s[0:3], 0 offset:116
	s_mov_b32 s4, exec_lo
	s_waitcnt vmcnt(38) lgkmcnt(3)
	v_mul_f32_e32 v152, v128, v3
	v_mul_f32_e32 v3, v129, v3
	s_waitcnt vmcnt(37)
	v_mul_f32_e32 v153, v130, v4
	v_mul_f32_e32 v4, v131, v4
	s_waitcnt vmcnt(36) lgkmcnt(2)
	v_mul_f32_e32 v154, v132, v5
	s_waitcnt vmcnt(33)
	v_fmac_f32_e32 v152, v129, v8
	v_fma_f32 v8, v128, v8, -v3
	v_mul_f32_e32 v3, v133, v5
	s_waitcnt vmcnt(32)
	v_mul_f32_e32 v5, v135, v7
	v_mul_f32_e32 v155, v134, v7
	v_fmac_f32_e32 v153, v131, v6
	v_fma_f32 v6, v130, v6, -v4
	v_fmac_f32_e32 v154, v133, v2
	v_fma_f32 v7, v132, v2, -v3
	s_waitcnt vmcnt(28)
	v_fma_f32 v132, v134, v111, -v5
	ds_read2_b64 v[2:5], v1 offset0:71 offset1:72
	ds_read2_b64 v[128:131], v1 offset0:73 offset1:74
	s_waitcnt vmcnt(27) lgkmcnt(3)
	v_mul_f32_e32 v133, v136, v110
	v_mul_f32_e32 v110, v137, v110
	v_fmac_f32_e32 v155, v135, v111
	s_waitcnt vmcnt(26)
	v_mul_f32_e32 v134, v138, v109
	v_mul_f32_e32 v109, v139, v109
	s_waitcnt vmcnt(25) lgkmcnt(2)
	v_mul_f32_e32 v135, v140, v107
	v_fmac_f32_e32 v133, v137, v106
	v_fma_f32 v136, v136, v106, -v110
	s_waitcnt vmcnt(24)
	v_mul_f32_e32 v137, v142, v108
	v_mul_f32_e32 v106, v141, v107
	v_mul_f32_e32 v107, v143, v108
	v_fmac_f32_e32 v134, v139, v105
	v_fma_f32 v138, v138, v105, -v109
	v_fmac_f32_e32 v135, v141, v104
	s_waitcnt vmcnt(20)
	v_fmac_f32_e32 v137, v143, v119
	v_fma_f32 v139, v140, v104, -v106
	v_fma_f32 v119, v142, v119, -v107
	ds_read2_b64 v[104:107], v1 offset0:75 offset1:76
	ds_read2_b64 v[108:111], v1 offset0:77 offset1:78
	s_waitcnt vmcnt(19) lgkmcnt(3)
	v_mul_f32_e32 v140, v2, v117
	s_waitcnt vmcnt(18)
	v_mul_f32_e32 v141, v4, v118
	v_mul_f32_e32 v117, v3, v117
	;; [unrolled: 1-line block ×3, first 2 shown]
	buffer_load_dword v142, off, s[0:3], 0 offset:276
	v_fmac_f32_e32 v140, v3, v116
	v_fmac_f32_e32 v141, v5, v115
	v_fma_f32 v116, v2, v116, -v117
	v_fma_f32 v115, v4, v115, -v118
	s_clause 0x3
	buffer_load_dword v143, off, s[0:3], 0 offset:296
	buffer_load_dword v156, off, s[0:3], 0 offset:288
	;; [unrolled: 1-line block ×4, first 2 shown]
	s_waitcnt vmcnt(22) lgkmcnt(2)
	v_mul_f32_e32 v118, v128, v114
	v_mul_f32_e32 v2, v129, v114
	s_waitcnt vmcnt(21)
	v_mul_f32_e32 v3, v131, v113
	v_mul_f32_e32 v114, v130, v113
	v_fmac_f32_e32 v118, v129, v112
	v_fma_f32 v112, v128, v112, -v2
	buffer_load_dword v128, off, s[0:3], 0 offset:284
	s_waitcnt vmcnt(18)
	v_fma_f32 v113, v130, v127, -v3
	s_waitcnt vmcnt(17) lgkmcnt(1)
	v_mul_f32_e32 v130, v104, v125
	v_mul_f32_e32 v2, v105, v125
	v_fmac_f32_e32 v114, v131, v127
	s_clause 0x1
	buffer_load_dword v127, off, s[0:3], 0 offset:292
	buffer_load_dword v129, off, s[0:3], 0 offset:300
	s_waitcnt vmcnt(18)
	v_mul_f32_e32 v131, v106, v126
	v_mul_f32_e32 v3, v107, v126
	v_fmac_f32_e32 v130, v105, v123
	v_fma_f32 v123, v104, v123, -v2
	s_waitcnt vmcnt(16) lgkmcnt(0)
	v_mul_f32_e32 v2, v111, v122
	v_fmac_f32_e32 v131, v107, v121
	v_fma_f32 v121, v106, v121, -v3
	v_mul_f32_e32 v160, v110, v122
	v_add_f32_e32 v3, 0, v8
	s_waitcnt vmcnt(11)
	v_fma_f32 v122, v110, v148, -v2
	v_add_f32_e32 v2, 0, v152
	v_mul_f32_e32 v125, v108, v124
	v_mul_f32_e32 v4, v109, v124
	s_clause 0x5
	buffer_load_dword v124, off, s[0:3], 0 offset:308
	buffer_load_dword v126, off, s[0:3], 0 offset:316
	;; [unrolled: 1-line block ×6, first 2 shown]
	v_fmac_f32_e32 v160, v111, v148
	s_clause 0x2
	buffer_load_dword v148, off, s[0:3], 0 offset:356
	buffer_load_dword v163, off, s[0:3], 0 offset:364
	;; [unrolled: 1-line block ×3, first 2 shown]
	v_add_f32_e32 v2, v2, v153
	v_add_f32_e32 v3, v3, v6
	s_clause 0x3
	buffer_load_dword v6, off, s[0:3], 0 offset:328
	buffer_load_dword v152, off, s[0:3], 0 offset:320
	;; [unrolled: 1-line block ×4, first 2 shown]
	v_fmac_f32_e32 v125, v109, v120
	v_fma_f32 v120, v108, v120, -v4
	v_add_f32_e32 v2, v2, v154
	v_add_f32_e32 v3, v3, v7
	;; [unrolled: 1-line block ×4, first 2 shown]
	s_clause 0x3
	buffer_load_dword v7, off, s[0:3], 0 offset:360
	buffer_load_dword v132, off, s[0:3], 0 offset:352
	;; [unrolled: 1-line block ×4, first 2 shown]
	v_add_f32_e32 v2, v2, v133
	buffer_load_dword v133, off, s[0:3], 0 offset:368
	v_add_f32_e32 v3, v3, v136
	buffer_load_dword v136, off, s[0:3], 0 offset:112
	v_add_f32_e32 v2, v2, v134
	v_add_f32_e32 v3, v3, v138
	;; [unrolled: 1-line block ×4, first 2 shown]
	ds_read2_b64 v[2:5], v1 offset0:79 offset1:80
	v_add_f32_e32 v104, v104, v137
	v_add_f32_e32 v105, v105, v119
	v_add_f32_e32 v108, v104, v140
	v_add_f32_e32 v109, v105, v116
	ds_read2_b64 v[104:107], v1 offset0:81 offset1:82
	v_add_f32_e32 v108, v108, v141
	v_add_f32_e32 v109, v109, v115
	;; [unrolled: 1-line block ×4, first 2 shown]
	s_waitcnt vmcnt(29) lgkmcnt(1)
	v_mul_f32_e32 v134, v2, v149
	v_mul_f32_e32 v110, v3, v149
	s_waitcnt vmcnt(28)
	v_mul_f32_e32 v135, v4, v150
	v_mul_f32_e32 v111, v5, v150
	v_add_f32_e32 v114, v108, v114
	v_fmac_f32_e32 v134, v3, v147
	v_fma_f32 v137, v2, v147, -v110
	v_fmac_f32_e32 v135, v5, v146
	v_fma_f32 v138, v4, v146, -v111
	ds_read2_b64 v[2:5], v1 offset0:83 offset1:84
	ds_read2_b64 v[108:111], v1 offset0:85 offset1:86
	v_add_f32_e32 v112, v112, v113
	s_waitcnt lgkmcnt(2)
	v_mul_f32_e32 v139, v104, v145
	v_add_f32_e32 v113, v114, v130
	v_mul_f32_e32 v114, v105, v145
	v_add_f32_e32 v112, v112, v123
	v_fmac_f32_e32 v139, v105, v144
	v_add_f32_e32 v105, v113, v131
	v_fma_f32 v130, v104, v144, -v114
	v_add_f32_e32 v116, v112, v121
	v_add_f32_e32 v120, v116, v120
	s_waitcnt vmcnt(26)
	v_mul_f32_e32 v140, v106, v142
	v_mul_f32_e32 v115, v107, v142
	s_waitcnt vmcnt(22)
	v_fmac_f32_e32 v140, v107, v117
	v_fma_f32 v131, v106, v117, -v115
	v_add_f32_e32 v117, v105, v125
	ds_read2_b64 v[104:107], v1 offset0:87 offset1:88
	ds_read2_b64 v[112:115], v1 offset0:89 offset1:90
	v_add_f32_e32 v123, v117, v160
	s_waitcnt vmcnt(21) lgkmcnt(3)
	v_mul_f32_e32 v125, v2, v128
	v_mul_f32_e32 v121, v3, v128
	v_add_f32_e32 v128, v120, v122
	ds_read2_b64 v[116:119], v1 offset0:91 offset1:92
	v_fmac_f32_e32 v125, v3, v157
	v_fma_f32 v2, v2, v157, -v121
	v_add_f32_e32 v3, v123, v134
	ds_read2_b64 v[120:123], v1 offset0:93 offset1:94
	v_add_f32_e32 v1, v128, v137
	s_waitcnt vmcnt(20)
	v_mul_f32_e32 v128, v4, v127
	v_mul_f32_e32 v127, v5, v127
	v_add_f32_e32 v3, v3, v135
	s_waitcnt vmcnt(19) lgkmcnt(4)
	v_mul_f32_e32 v134, v108, v129
	v_add_f32_e32 v1, v1, v138
	v_mul_f32_e32 v129, v109, v129
	v_fma_f32 v4, v4, v156, -v127
	v_add_f32_e32 v3, v3, v139
	v_fmac_f32_e32 v128, v5, v156
	v_add_f32_e32 v1, v1, v130
	s_waitcnt vmcnt(18)
	v_mul_f32_e32 v135, v110, v124
	v_mul_f32_e32 v124, v111, v124
	v_add_f32_e32 v3, v3, v140
	v_fma_f32 v108, v108, v143, -v129
	v_add_f32_e32 v1, v1, v131
	v_fmac_f32_e32 v134, v109, v143
	s_waitcnt vmcnt(6)
	v_fma_f32 v109, v110, v164, -v124
	s_waitcnt lgkmcnt(3)
	v_mul_f32_e32 v5, v104, v126
	v_fmac_f32_e32 v135, v111, v164
	v_add_f32_e32 v1, v1, v2
	v_add_f32_e32 v2, v3, v125
	v_mul_f32_e32 v127, v106, v158
	v_fmac_f32_e32 v5, v105, v153
	s_waitcnt lgkmcnt(2)
	v_mul_f32_e32 v130, v112, v159
	v_add_f32_e32 v1, v1, v4
	v_add_f32_e32 v2, v2, v128
	v_mul_f32_e32 v4, v105, v126
	v_fmac_f32_e32 v127, v107, v152
	v_mul_f32_e32 v137, v114, v161
	v_add_f32_e32 v1, v1, v108
	v_add_f32_e32 v2, v2, v134
	v_mul_f32_e32 v108, v107, v158
	v_fma_f32 v4, v104, v153, -v4
	v_mul_f32_e32 v104, v113, v159
	v_add_f32_e32 v1, v1, v109
	v_add_f32_e32 v2, v2, v135
	v_fma_f32 v105, v106, v152, -v108
	v_fmac_f32_e32 v130, v113, v6
	s_waitcnt lgkmcnt(1)
	v_mul_f32_e32 v138, v116, v162
	v_add_f32_e32 v1, v1, v4
	v_add_f32_e32 v2, v2, v5
	v_mul_f32_e32 v4, v115, v161
	v_fma_f32 v5, v112, v6, -v104
	v_mul_f32_e32 v6, v117, v162
	v_add_f32_e32 v1, v1, v105
	v_add_f32_e32 v2, v2, v127
	s_waitcnt vmcnt(2)
	v_fma_f32 v4, v114, v155, -v4
	v_fmac_f32_e32 v137, v115, v155
	v_fma_f32 v6, v116, v154, -v6
	v_add_f32_e32 v1, v1, v5
	v_add_f32_e32 v2, v2, v130
	v_mul_f32_e32 v5, v119, v148
	v_mul_f32_e32 v131, v118, v148
	v_fmac_f32_e32 v138, v117, v154
	v_add_f32_e32 v1, v1, v4
	v_add_f32_e32 v2, v2, v137
	s_waitcnt lgkmcnt(0)
	v_mul_f32_e32 v4, v121, v163
	v_fma_f32 v5, v118, v132, -v5
	v_mul_f32_e32 v139, v120, v163
	v_add_f32_e32 v1, v1, v6
	v_fmac_f32_e32 v131, v119, v132
	v_add_f32_e32 v2, v2, v138
	v_mul_f32_e32 v6, v123, v8
	v_fma_f32 v4, v120, v7, -v4
	v_add_f32_e32 v1, v1, v5
	v_mul_f32_e32 v3, v122, v8
	v_fmac_f32_e32 v139, v121, v7
	v_add_f32_e32 v2, v2, v131
	s_waitcnt vmcnt(1)
	v_fma_f32 v5, v122, v133, -v6
	v_add_f32_e32 v1, v1, v4
	v_fmac_f32_e32 v3, v123, v133
	v_add_f32_e32 v2, v2, v139
	v_add_f32_e32 v1, v1, v5
	;; [unrolled: 1-line block ×3, first 2 shown]
	s_waitcnt vmcnt(0)
	v_sub_f32_e32 v1, v136, v1
	v_sub_f32_e32 v2, v151, v2
	buffer_store_dword v1, off, s[0:3], 0 offset:112
	buffer_store_dword v2, off, s[0:3], 0 offset:116
	v_cmpx_lt_u32_e32 13, v0
	s_cbranch_execz .LBB110_269
; %bb.268:
	s_clause 0x1
	buffer_load_dword v1, off, s[0:3], 0 offset:104
	buffer_load_dword v2, off, s[0:3], 0 offset:108
	v_mov_b32_e32 v3, 0
	buffer_store_dword v3, off, s[0:3], 0 offset:104
	buffer_store_dword v3, off, s[0:3], 0 offset:108
	s_waitcnt vmcnt(0)
	ds_write_b64 v103, v[1:2]
.LBB110_269:
	s_or_b32 exec_lo, exec_lo, s4
	s_waitcnt lgkmcnt(0)
	s_waitcnt_vscnt null, 0x0
	s_barrier
	buffer_gl0_inv
	s_clause 0x23
	buffer_load_dword v105, off, s[0:3], 0 offset:116
	buffer_load_dword v107, off, s[0:3], 0 offset:124
	;; [unrolled: 1-line block ×36, first 2 shown]
	v_mov_b32_e32 v104, 0
	ds_read_b128 v[5:8], v104 offset:496
	ds_read_b128 v[1:4], v104 offset:512
	buffer_load_dword v149, off, s[0:3], 0 offset:108
	ds_read_b128 v[141:144], v104 offset:528
	ds_read_b128 v[145:148], v104 offset:544
	s_mov_b32 s4, exec_lo
	s_waitcnt vmcnt(36) lgkmcnt(3)
	v_mul_f32_e32 v150, v5, v105
	s_waitcnt vmcnt(35)
	v_mul_f32_e32 v151, v7, v107
	v_mul_f32_e32 v105, v6, v105
	;; [unrolled: 1-line block ×3, first 2 shown]
	s_waitcnt vmcnt(34) lgkmcnt(2)
	v_mul_f32_e32 v152, v1, v108
	v_mul_f32_e32 v108, v2, v108
	s_waitcnt vmcnt(30)
	v_mul_f32_e32 v153, v3, v109
	v_mul_f32_e32 v109, v4, v109
	v_fmac_f32_e32 v150, v6, v111
	v_fmac_f32_e32 v151, v8, v110
	v_fma_f32 v111, v5, v111, -v105
	v_fma_f32 v110, v7, v110, -v107
	ds_read_b128 v[5:8], v104 offset:560
	v_fmac_f32_e32 v152, v2, v106
	v_fma_f32 v154, v1, v106, -v108
	ds_read_b128 v[105:108], v104 offset:576
	s_waitcnt vmcnt(26)
	v_fmac_f32_e32 v153, v4, v120
	v_fma_f32 v109, v3, v120, -v109
	s_waitcnt vmcnt(25) lgkmcnt(3)
	v_mul_f32_e32 v120, v141, v118
	s_waitcnt vmcnt(24)
	v_mul_f32_e32 v155, v143, v119
	v_mul_f32_e32 v1, v142, v118
	;; [unrolled: 1-line block ×3, first 2 shown]
	s_clause 0x1
	buffer_load_dword v118, off, s[0:3], 0 offset:252
	buffer_load_dword v119, off, s[0:3], 0 offset:260
	v_fmac_f32_e32 v120, v142, v115
	v_fmac_f32_e32 v155, v144, v113
	v_fma_f32 v115, v141, v115, -v1
	v_fma_f32 v113, v143, v113, -v2
	ds_read_b128 v[1:4], v104 offset:592
	s_waitcnt vmcnt(25) lgkmcnt(3)
	v_mul_f32_e32 v141, v145, v116
	v_mul_f32_e32 v116, v146, v116
	s_waitcnt vmcnt(24)
	v_mul_f32_e32 v142, v147, v114
	v_mul_f32_e32 v114, v148, v114
	s_waitcnt vmcnt(23) lgkmcnt(2)
	v_mul_f32_e32 v143, v5, v117
	v_fmac_f32_e32 v141, v146, v112
	v_fma_f32 v112, v145, v112, -v116
	s_waitcnt vmcnt(22)
	v_mul_f32_e32 v116, v7, v121
	v_mul_f32_e32 v117, v6, v117
	v_mul_f32_e32 v121, v8, v121
	s_waitcnt vmcnt(18)
	v_fma_f32 v114, v147, v128, -v114
	v_fmac_f32_e32 v143, v6, v126
	v_fmac_f32_e32 v116, v8, v125
	v_fma_f32 v117, v5, v126, -v117
	v_fma_f32 v121, v7, v125, -v121
	s_clause 0x5
	buffer_load_dword v125, off, s[0:3], 0 offset:268
	buffer_load_dword v126, off, s[0:3], 0 offset:276
	;; [unrolled: 1-line block ×6, first 2 shown]
	v_fmac_f32_e32 v142, v148, v128
	s_waitcnt vmcnt(23) lgkmcnt(1)
	v_mul_f32_e32 v128, v105, v127
	v_mul_f32_e32 v127, v106, v127
	s_waitcnt vmcnt(22)
	v_mul_f32_e32 v148, v107, v123
	v_mul_f32_e32 v123, v108, v123
	ds_read_b128 v[5:8], v104 offset:608
	v_fmac_f32_e32 v128, v106, v122
	v_fma_f32 v105, v105, v122, -v127
	s_waitcnt vmcnt(18)
	v_fmac_f32_e32 v148, v108, v139
	v_fma_f32 v106, v107, v139, -v123
	s_waitcnt vmcnt(17) lgkmcnt(1)
	v_mul_f32_e32 v107, v1, v137
	v_mul_f32_e32 v108, v2, v137
	s_clause 0x1
	buffer_load_dword v127, off, s[0:3], 0 offset:284
	buffer_load_dword v137, off, s[0:3], 0 offset:292
	v_add_f32_e32 v111, 0, v111
	s_waitcnt vmcnt(18)
	v_mul_f32_e32 v122, v3, v138
	v_mul_f32_e32 v123, v4, v138
	v_fma_f32 v108, v1, v134, -v108
	v_add_f32_e32 v1, 0, v150
	v_add_f32_e32 v110, v111, v110
	v_fmac_f32_e32 v107, v2, v134
	v_fmac_f32_e32 v122, v4, v133
	v_fma_f32 v123, v3, v133, -v123
	v_add_f32_e32 v150, v1, v151
	s_clause 0x3
	buffer_load_dword v133, off, s[0:3], 0 offset:300
	buffer_load_dword v134, off, s[0:3], 0 offset:308
	;; [unrolled: 1-line block ×4, first 2 shown]
	ds_read_b128 v[1:4], v104 offset:624
	s_waitcnt vmcnt(21) lgkmcnt(1)
	v_mul_f32_e32 v151, v5, v132
	v_mul_f32_e32 v111, v6, v132
	v_add_f32_e32 v132, v150, v152
	s_waitcnt vmcnt(20)
	v_mul_f32_e32 v150, v7, v131
	v_mul_f32_e32 v131, v8, v131
	v_fmac_f32_e32 v151, v6, v129
	v_fma_f32 v129, v5, v129, -v111
	v_add_f32_e32 v5, v132, v153
	v_add_f32_e32 v110, v110, v154
	s_clause 0x3
	buffer_load_dword v132, off, s[0:3], 0 offset:332
	buffer_load_dword v152, off, s[0:3], 0 offset:340
	;; [unrolled: 1-line block ×4, first 2 shown]
	s_waitcnt vmcnt(20)
	v_fmac_f32_e32 v150, v8, v140
	v_fma_f32 v131, v7, v140, -v131
	v_add_f32_e32 v5, v5, v120
	s_clause 0x5
	buffer_load_dword v140, off, s[0:3], 0 offset:364
	buffer_load_dword v120, off, s[0:3], 0 offset:320
	;; [unrolled: 1-line block ×6, first 2 shown]
	v_add_f32_e32 v6, v110, v109
	v_add_f32_e32 v5, v5, v155
	s_waitcnt vmcnt(25) lgkmcnt(0)
	v_mul_f32_e32 v111, v2, v136
	v_add_f32_e32 v6, v6, v115
	v_add_f32_e32 v110, v5, v141
	v_mul_f32_e32 v141, v1, v136
	v_add_f32_e32 v109, v6, v113
	ds_read_b128 v[5:8], v104 offset:640
	v_add_f32_e32 v110, v110, v142
	v_fmac_f32_e32 v141, v2, v135
	v_fma_f32 v113, v1, v135, -v111
	v_add_f32_e32 v109, v109, v112
	v_add_f32_e32 v2, v110, v143
	s_clause 0x5
	buffer_load_dword v135, off, s[0:3], 0 offset:352
	buffer_load_dword v136, off, s[0:3], 0 offset:344
	;; [unrolled: 1-line block ×6, first 2 shown]
	v_add_f32_e32 v1, v109, v114
	v_add_f32_e32 v2, v2, v116
	;; [unrolled: 1-line block ×5, first 2 shown]
	buffer_load_dword v121, off, s[0:3], 0 offset:104
	v_add_f32_e32 v109, v109, v148
	v_add_f32_e32 v105, v1, v105
	v_add_f32_e32 v109, v109, v107
	v_add_f32_e32 v105, v105, v106
	v_add_f32_e32 v115, v109, v122
	v_add_f32_e32 v111, v105, v108
	ds_read_b128 v[105:108], v104 offset:672
	v_add_f32_e32 v115, v115, v151
	v_add_f32_e32 v114, v111, v123
	;; [unrolled: 1-line block ×4, first 2 shown]
	s_waitcnt vmcnt(30)
	v_mul_f32_e32 v128, v3, v118
	v_mul_f32_e32 v2, v4, v118
	s_waitcnt vmcnt(29) lgkmcnt(1)
	v_mul_f32_e32 v110, v6, v119
	v_fmac_f32_e32 v128, v4, v130
	v_fma_f32 v117, v3, v130, -v2
	ds_read_b128 v[1:4], v104 offset:656
	v_mul_f32_e32 v130, v5, v119
	v_fmac_f32_e32 v130, v6, v124
	v_fma_f32 v124, v5, v124, -v110
	s_waitcnt vmcnt(28)
	v_mul_f32_e32 v119, v7, v125
	v_mul_f32_e32 v112, v8, v125
	s_waitcnt vmcnt(23)
	v_fmac_f32_e32 v119, v8, v147
	v_fma_f32 v123, v7, v147, -v112
	ds_read_b128 v[5:8], v104 offset:688
	ds_read_b128 v[109:112], v104 offset:704
	s_waitcnt lgkmcnt(2)
	v_mul_f32_e32 v116, v2, v126
	v_mul_f32_e32 v122, v1, v126
	v_fma_f32 v126, v1, v146, -v116
	v_add_f32_e32 v1, v115, v150
	s_waitcnt vmcnt(22)
	v_mul_f32_e32 v125, v3, v127
	v_mul_f32_e32 v118, v4, v127
	v_add_f32_e32 v127, v114, v113
	v_fmac_f32_e32 v122, v2, v146
	v_add_f32_e32 v131, v1, v141
	v_fmac_f32_e32 v125, v4, v145
	v_fma_f32 v129, v3, v145, -v118
	v_add_f32_e32 v127, v127, v117
	s_waitcnt vmcnt(21)
	v_mul_f32_e32 v141, v105, v137
	v_add_f32_e32 v128, v131, v128
	s_waitcnt vmcnt(20)
	v_mul_f32_e32 v131, v107, v133
	v_mul_f32_e32 v133, v108, v133
	v_add_f32_e32 v124, v127, v124
	v_mul_f32_e32 v127, v106, v137
	v_add_f32_e32 v128, v128, v130
	v_fmac_f32_e32 v141, v106, v144
	ds_read_b128 v[113:116], v104 offset:720
	ds_read_b128 v[1:4], v104 offset:736
	v_add_f32_e32 v123, v124, v123
	v_add_f32_e32 v119, v128, v119
	v_fma_f32 v105, v105, v144, -v127
	s_waitcnt vmcnt(19) lgkmcnt(3)
	v_mul_f32_e32 v130, v5, v134
	s_waitcnt vmcnt(18)
	v_mul_f32_e32 v124, v7, v138
	v_add_f32_e32 v123, v123, v126
	v_add_f32_e32 v119, v119, v122
	s_waitcnt vmcnt(17) lgkmcnt(2)
	v_mul_f32_e32 v137, v109, v139
	s_waitcnt vmcnt(9)
	v_fmac_f32_e32 v130, v6, v157
	s_waitcnt vmcnt(8)
	v_fma_f32 v107, v107, v158, -v133
	v_add_f32_e32 v123, v123, v129
	v_add_f32_e32 v119, v119, v125
	v_mul_f32_e32 v129, v6, v134
	v_fmac_f32_e32 v131, v108, v158
	v_fmac_f32_e32 v124, v8, v156
	v_add_f32_e32 v105, v123, v105
	v_add_f32_e32 v108, v119, v141
	v_mul_f32_e32 v119, v8, v138
	v_fma_f32 v5, v5, v157, -v129
	v_mul_f32_e32 v8, v112, v132
	v_add_f32_e32 v6, v105, v107
	v_add_f32_e32 v105, v108, v131
	v_mul_f32_e32 v107, v110, v139
	v_fma_f32 v7, v7, v156, -v119
	v_mul_f32_e32 v128, v111, v132
	v_add_f32_e32 v5, v6, v5
	v_add_f32_e32 v6, v105, v130
	v_fma_f32 v105, v109, v120, -v107
	v_fmac_f32_e32 v137, v110, v120
	ds_read_b64 v[117:118], v104 offset:752
	v_add_f32_e32 v5, v5, v7
	v_add_f32_e32 v6, v6, v124
	s_waitcnt lgkmcnt(2)
	v_mul_f32_e32 v7, v114, v152
	s_waitcnt vmcnt(3)
	v_fma_f32 v8, v111, v143, -v8
	v_mul_f32_e32 v126, v113, v152
	v_add_f32_e32 v5, v5, v105
	v_fmac_f32_e32 v128, v112, v143
	v_add_f32_e32 v6, v6, v137
	v_mul_f32_e32 v105, v116, v153
	v_fma_f32 v7, v113, v142, -v7
	v_add_f32_e32 v5, v5, v8
	v_mul_f32_e32 v106, v115, v153
	v_fmac_f32_e32 v126, v114, v142
	v_add_f32_e32 v6, v6, v128
	s_waitcnt lgkmcnt(1)
	v_mul_f32_e32 v122, v1, v154
	v_mul_f32_e32 v8, v2, v154
	v_fma_f32 v105, v115, v136, -v105
	v_add_f32_e32 v5, v5, v7
	v_fmac_f32_e32 v106, v116, v136
	v_add_f32_e32 v6, v6, v126
	v_mul_f32_e32 v7, v4, v140
	v_fmac_f32_e32 v122, v2, v135
	v_fma_f32 v1, v1, v135, -v8
	v_add_f32_e32 v2, v5, v105
	v_mul_f32_e32 v127, v3, v140
	v_add_f32_e32 v5, v6, v106
	s_waitcnt lgkmcnt(0)
	v_mul_f32_e32 v6, v118, v159
	s_waitcnt vmcnt(1)
	v_fma_f32 v3, v3, v160, -v7
	v_add_f32_e32 v1, v2, v1
	v_mul_f32_e32 v125, v117, v159
	v_fmac_f32_e32 v127, v4, v160
	v_add_f32_e32 v2, v5, v122
	v_fma_f32 v4, v117, v155, -v6
	v_add_f32_e32 v1, v1, v3
	v_fmac_f32_e32 v125, v118, v155
	v_add_f32_e32 v2, v2, v127
	v_add_f32_e32 v1, v1, v4
	;; [unrolled: 1-line block ×3, first 2 shown]
	s_waitcnt vmcnt(0)
	v_sub_f32_e32 v1, v121, v1
	v_sub_f32_e32 v2, v149, v2
	buffer_store_dword v1, off, s[0:3], 0 offset:104
	buffer_store_dword v2, off, s[0:3], 0 offset:108
	v_cmpx_lt_u32_e32 12, v0
	s_cbranch_execz .LBB110_271
; %bb.270:
	s_clause 0x1
	buffer_load_dword v1, off, s[0:3], 0 offset:96
	buffer_load_dword v2, off, s[0:3], 0 offset:100
	buffer_store_dword v104, off, s[0:3], 0 offset:96
	buffer_store_dword v104, off, s[0:3], 0 offset:100
	s_waitcnt vmcnt(0)
	ds_write_b64 v103, v[1:2]
.LBB110_271:
	s_or_b32 exec_lo, exec_lo, s4
	s_waitcnt lgkmcnt(0)
	s_waitcnt_vscnt null, 0x0
	s_barrier
	buffer_gl0_inv
	s_clause 0x23
	buffer_load_dword v139, off, s[0:3], 0 offset:108
	buffer_load_dword v140, off, s[0:3], 0 offset:116
	;; [unrolled: 1-line block ×36, first 2 shown]
	ds_read2_b64 v[5:8], v104 offset0:61 offset1:62
	ds_read2_b64 v[1:4], v104 offset0:63 offset1:64
	;; [unrolled: 1-line block ×3, first 2 shown]
	s_clause 0x1
	buffer_load_dword v149, off, s[0:3], 0 offset:244
	buffer_load_dword v150, off, s[0:3], 0 offset:252
	ds_read2_b64 v[145:148], v104 offset0:67 offset1:68
	buffer_load_dword v153, off, s[0:3], 0 offset:100
	s_mov_b32 s4, exec_lo
	s_waitcnt vmcnt(38) lgkmcnt(3)
	v_mul_f32_e32 v151, v5, v139
	s_waitcnt vmcnt(37)
	v_mul_f32_e32 v152, v7, v140
	v_mul_f32_e32 v139, v6, v139
	;; [unrolled: 1-line block ×3, first 2 shown]
	s_waitcnt vmcnt(34)
	v_fmac_f32_e32 v151, v6, v111
	v_fmac_f32_e32 v152, v8, v110
	v_fma_f32 v111, v5, v111, -v139
	v_fma_f32 v110, v7, v110, -v140
	ds_read2_b64 v[5:8], v104 offset0:69 offset1:70
	s_waitcnt vmcnt(33) lgkmcnt(3)
	v_mul_f32_e32 v139, v1, v108
	v_mul_f32_e32 v108, v2, v108
	s_waitcnt vmcnt(32)
	v_mul_f32_e32 v140, v3, v107
	v_mul_f32_e32 v107, v4, v107
	s_waitcnt vmcnt(31) lgkmcnt(2)
	v_mul_f32_e32 v154, v141, v106
	v_fmac_f32_e32 v139, v2, v105
	v_fma_f32 v155, v1, v105, -v108
	s_waitcnt vmcnt(30)
	v_mul_f32_e32 v156, v143, v109
	v_mul_f32_e32 v105, v142, v106
	;; [unrolled: 1-line block ×3, first 2 shown]
	s_waitcnt vmcnt(26)
	v_fmac_f32_e32 v140, v4, v117
	v_fma_f32 v109, v3, v117, -v107
	ds_read2_b64 v[1:4], v104 offset0:71 offset1:72
	v_fmac_f32_e32 v154, v142, v116
	v_fma_f32 v116, v141, v116, -v105
	s_waitcnt vmcnt(25) lgkmcnt(2)
	v_mul_f32_e32 v117, v145, v113
	s_waitcnt vmcnt(24)
	v_mul_f32_e32 v141, v147, v114
	v_mul_f32_e32 v113, v146, v113
	;; [unrolled: 1-line block ×3, first 2 shown]
	v_fmac_f32_e32 v156, v144, v115
	v_fma_f32 v115, v143, v115, -v106
	ds_read2_b64 v[105:108], v104 offset0:73 offset1:74
	v_fmac_f32_e32 v117, v146, v112
	s_waitcnt vmcnt(19)
	v_fmac_f32_e32 v141, v148, v128
	v_fma_f32 v112, v145, v112, -v113
	v_fma_f32 v113, v147, v128, -v114
	s_clause 0x4
	buffer_load_dword v114, off, s[0:3], 0 offset:260
	buffer_load_dword v128, off, s[0:3], 0 offset:280
	;; [unrolled: 1-line block ×5, first 2 shown]
	s_waitcnt lgkmcnt(2)
	v_mul_f32_e32 v142, v5, v118
	v_mul_f32_e32 v118, v6, v118
	s_waitcnt vmcnt(23)
	v_mul_f32_e32 v146, v7, v124
	v_mul_f32_e32 v124, v8, v124
	v_fmac_f32_e32 v142, v6, v123
	v_fma_f32 v5, v5, v123, -v118
	s_waitcnt vmcnt(22) lgkmcnt(1)
	v_mul_f32_e32 v118, v1, v121
	v_fmac_f32_e32 v146, v8, v120
	v_fma_f32 v120, v7, v120, -v124
	s_waitcnt vmcnt(21)
	v_mul_f32_e32 v123, v3, v122
	v_mul_f32_e32 v6, v2, v121
	;; [unrolled: 1-line block ×3, first 2 shown]
	s_clause 0x2
	buffer_load_dword v121, off, s[0:3], 0 offset:268
	buffer_load_dword v122, off, s[0:3], 0 offset:276
	buffer_load_dword v124, off, s[0:3], 0 offset:284
	v_fmac_f32_e32 v118, v2, v119
	s_waitcnt vmcnt(20)
	v_fmac_f32_e32 v123, v4, v137
	v_fma_f32 v119, v1, v119, -v6
	v_fma_f32 v137, v3, v137, -v7
	ds_read2_b64 v[1:4], v104 offset0:75 offset1:76
	v_add_f32_e32 v6, 0, v151
	v_add_f32_e32 v7, 0, v111
	s_waitcnt vmcnt(19) lgkmcnt(1)
	v_mul_f32_e32 v147, v105, v134
	s_waitcnt vmcnt(18)
	v_mul_f32_e32 v148, v107, v135
	v_mul_f32_e32 v8, v106, v134
	v_add_f32_e32 v6, v6, v152
	v_mul_f32_e32 v111, v108, v135
	v_add_f32_e32 v7, v7, v110
	v_fmac_f32_e32 v147, v106, v132
	v_fmac_f32_e32 v148, v108, v131
	v_add_f32_e32 v6, v6, v139
	v_fma_f32 v105, v105, v132, -v8
	v_fma_f32 v110, v107, v131, -v111
	v_add_f32_e32 v7, v7, v155
	s_clause 0x7
	buffer_load_dword v131, off, s[0:3], 0 offset:292
	buffer_load_dword v132, off, s[0:3], 0 offset:300
	;; [unrolled: 1-line block ×8, first 2 shown]
	v_add_f32_e32 v6, v6, v140
	v_add_f32_e32 v7, v7, v109
	s_waitcnt vmcnt(25) lgkmcnt(0)
	v_mul_f32_e32 v8, v2, v129
	v_mul_f32_e32 v111, v1, v129
	s_clause 0x3
	buffer_load_dword v129, off, s[0:3], 0 offset:324
	buffer_load_dword v140, off, s[0:3], 0 offset:332
	buffer_load_dword v157, off, s[0:3], 0 offset:340
	buffer_load_dword v158, off, s[0:3], 0 offset:348
	v_fma_f32 v109, v1, v126, -v8
	v_add_f32_e32 v1, v6, v154
	v_fmac_f32_e32 v111, v2, v126
	v_add_f32_e32 v6, v7, v116
	s_waitcnt vmcnt(28)
	v_mul_f32_e32 v116, v3, v127
	v_mul_f32_e32 v2, v4, v127
	v_add_f32_e32 v7, v1, v156
	s_clause 0x2
	buffer_load_dword v126, off, s[0:3], 0 offset:356
	buffer_load_dword v154, off, s[0:3], 0 offset:364
	;; [unrolled: 1-line block ×3, first 2 shown]
	s_waitcnt vmcnt(27)
	v_fmac_f32_e32 v116, v4, v138
	v_fma_f32 v138, v3, v138, -v2
	ds_read2_b64 v[1:4], v104 offset0:77 offset1:78
	v_add_f32_e32 v7, v7, v117
	v_add_f32_e32 v6, v6, v115
	;; [unrolled: 1-line block ×3, first 2 shown]
	s_clause 0x3
	buffer_load_dword v141, off, s[0:3], 0 offset:344
	buffer_load_dword v156, off, s[0:3], 0 offset:336
	;; [unrolled: 1-line block ×4, first 2 shown]
	v_add_f32_e32 v6, v6, v112
	v_add_f32_e32 v106, v7, v142
	v_add_f32_e32 v6, v6, v113
	v_add_f32_e32 v106, v106, v146
	v_add_f32_e32 v107, v6, v5
	ds_read2_b64 v[5:8], v104 offset0:79 offset1:80
	s_waitcnt vmcnt(30) lgkmcnt(1)
	v_mul_f32_e32 v113, v1, v136
	v_mul_f32_e32 v108, v2, v136
	s_waitcnt vmcnt(29)
	v_mul_f32_e32 v117, v3, v149
	v_fmac_f32_e32 v113, v2, v133
	v_fma_f32 v115, v1, v133, -v108
	s_clause 0x3
	buffer_load_dword v133, off, s[0:3], 0 offset:368
	buffer_load_dword v136, off, s[0:3], 0 offset:360
	;; [unrolled: 1-line block ×4, first 2 shown]
	v_add_f32_e32 v1, v107, v120
	v_add_f32_e32 v2, v106, v118
	v_mul_f32_e32 v106, v4, v149
	v_fmac_f32_e32 v117, v4, v130
	v_add_f32_e32 v1, v1, v119
	v_add_f32_e32 v2, v2, v123
	v_fma_f32 v118, v3, v130, -v106
	v_add_f32_e32 v107, v1, v137
	v_add_f32_e32 v112, v2, v147
	ds_read2_b64 v[1:4], v104 offset0:81 offset1:82
	s_waitcnt vmcnt(32) lgkmcnt(1)
	v_mul_f32_e32 v120, v5, v150
	v_mul_f32_e32 v123, v6, v150
	v_add_f32_e32 v119, v107, v105
	ds_read2_b64 v[105:108], v104 offset0:83 offset1:84
	v_add_f32_e32 v112, v112, v148
	v_fmac_f32_e32 v120, v6, v125
	v_fma_f32 v123, v5, v125, -v123
	v_add_f32_e32 v110, v119, v110
	v_add_f32_e32 v119, v112, v111
	;; [unrolled: 1-line block ×5, first 2 shown]
	s_waitcnt vmcnt(30)
	v_mul_f32_e32 v130, v7, v114
	v_mul_f32_e32 v114, v8, v114
	s_waitcnt vmcnt(26)
	v_fmac_f32_e32 v130, v8, v145
	v_fma_f32 v125, v7, v145, -v114
	v_add_f32_e32 v114, v110, v109
	ds_read2_b64 v[5:8], v104 offset0:85 offset1:86
	ds_read2_b64 v[109:112], v104 offset0:87 offset1:88
	v_add_f32_e32 v114, v114, v138
	s_waitcnt vmcnt(25) lgkmcnt(3)
	v_mul_f32_e32 v137, v1, v121
	v_mul_f32_e32 v119, v2, v121
	s_waitcnt vmcnt(24)
	v_mul_f32_e32 v138, v3, v122
	v_mul_f32_e32 v121, v4, v122
	s_waitcnt vmcnt(23) lgkmcnt(2)
	v_mul_f32_e32 v122, v105, v124
	v_fmac_f32_e32 v137, v2, v144
	v_fma_f32 v144, v1, v144, -v119
	v_add_f32_e32 v119, v114, v115
	v_fmac_f32_e32 v138, v4, v143
	v_fma_f32 v121, v3, v143, -v121
	v_mul_f32_e32 v124, v106, v124
	ds_read2_b64 v[1:4], v104 offset0:89 offset1:90
	ds_read2_b64 v[113:116], v104 offset0:91 offset1:92
	v_add_f32_e32 v143, v119, v118
	v_fmac_f32_e32 v122, v106, v128
	v_add_f32_e32 v106, v117, v120
	ds_read2_b64 v[117:120], v104 offset0:93 offset1:94
	v_fma_f32 v105, v105, v128, -v124
	v_add_f32_e32 v104, v143, v123
	s_waitcnt vmcnt(22)
	v_mul_f32_e32 v124, v108, v131
	v_add_f32_e32 v106, v106, v130
	v_mul_f32_e32 v123, v107, v131
	s_waitcnt vmcnt(21) lgkmcnt(4)
	v_mul_f32_e32 v128, v5, v132
	v_add_f32_e32 v104, v104, v125
	v_mul_f32_e32 v130, v6, v132
	v_add_f32_e32 v106, v106, v137
	s_waitcnt vmcnt(15)
	v_fma_f32 v107, v107, v155, -v124
	v_fmac_f32_e32 v123, v108, v155
	v_add_f32_e32 v104, v104, v144
	v_fmac_f32_e32 v128, v6, v152
	v_add_f32_e32 v106, v106, v138
	v_fma_f32 v5, v5, v152, -v130
	v_mul_f32_e32 v125, v7, v134
	v_add_f32_e32 v104, v104, v121
	v_mul_f32_e32 v121, v8, v134
	s_waitcnt lgkmcnt(3)
	v_mul_f32_e32 v108, v109, v135
	s_waitcnt vmcnt(14)
	v_mul_f32_e32 v124, v111, v129
	v_fmac_f32_e32 v125, v8, v151
	v_add_f32_e32 v104, v104, v105
	v_add_f32_e32 v105, v106, v122
	v_fma_f32 v7, v7, v151, -v121
	v_mul_f32_e32 v8, v112, v129
	v_fmac_f32_e32 v108, v110, v139
	v_add_f32_e32 v6, v104, v107
	v_add_f32_e32 v104, v105, v123
	v_mul_f32_e32 v105, v110, v135
	s_waitcnt vmcnt(13) lgkmcnt(2)
	v_mul_f32_e32 v131, v1, v140
	s_waitcnt vmcnt(12)
	v_mul_f32_e32 v132, v3, v157
	v_add_f32_e32 v5, v6, v5
	v_add_f32_e32 v6, v104, v128
	v_fma_f32 v104, v109, v139, -v105
	s_waitcnt vmcnt(4)
	v_fma_f32 v8, v111, v160, -v8
	v_fmac_f32_e32 v124, v112, v160
	v_add_f32_e32 v5, v5, v7
	v_add_f32_e32 v6, v6, v125
	v_mul_f32_e32 v7, v2, v140
	v_fmac_f32_e32 v131, v2, v159
	s_waitcnt lgkmcnt(1)
	v_mul_f32_e32 v137, v113, v158
	v_add_f32_e32 v5, v5, v104
	v_add_f32_e32 v6, v6, v108
	v_mul_f32_e32 v104, v4, v157
	v_fma_f32 v1, v1, v159, -v7
	v_fmac_f32_e32 v132, v4, v156
	v_add_f32_e32 v2, v5, v8
	v_add_f32_e32 v5, v6, v124
	v_mul_f32_e32 v6, v114, v158
	v_fma_f32 v3, v3, v156, -v104
	v_mul_f32_e32 v4, v116, v126
	v_add_f32_e32 v1, v2, v1
	v_add_f32_e32 v2, v5, v131
	v_fma_f32 v5, v113, v141, -v6
	v_mul_f32_e32 v134, v115, v126
	v_fmac_f32_e32 v137, v114, v141
	v_add_f32_e32 v1, v1, v3
	v_add_f32_e32 v2, v2, v132
	s_waitcnt lgkmcnt(0)
	v_mul_f32_e32 v3, v118, v154
	s_waitcnt vmcnt(1)
	v_fma_f32 v4, v115, v142, -v4
	v_mul_f32_e32 v138, v117, v154
	v_add_f32_e32 v1, v1, v5
	v_fmac_f32_e32 v134, v116, v142
	v_add_f32_e32 v2, v2, v137
	v_mul_f32_e32 v5, v120, v127
	v_fma_f32 v3, v117, v136, -v3
	v_add_f32_e32 v1, v1, v4
	v_mul_f32_e32 v106, v119, v127
	v_fmac_f32_e32 v138, v118, v136
	v_add_f32_e32 v2, v2, v134
	v_fma_f32 v4, v119, v133, -v5
	v_add_f32_e32 v1, v1, v3
	v_fmac_f32_e32 v106, v120, v133
	v_add_f32_e32 v2, v2, v138
	v_add_f32_e32 v1, v1, v4
	;; [unrolled: 1-line block ×3, first 2 shown]
	s_waitcnt vmcnt(0)
	v_sub_f32_e32 v1, v146, v1
	v_sub_f32_e32 v2, v153, v2
	buffer_store_dword v1, off, s[0:3], 0 offset:96
	buffer_store_dword v2, off, s[0:3], 0 offset:100
	v_cmpx_lt_u32_e32 11, v0
	s_cbranch_execz .LBB110_273
; %bb.272:
	s_clause 0x1
	buffer_load_dword v1, off, s[0:3], 0 offset:88
	buffer_load_dword v2, off, s[0:3], 0 offset:92
	v_mov_b32_e32 v3, 0
	buffer_store_dword v3, off, s[0:3], 0 offset:88
	buffer_store_dword v3, off, s[0:3], 0 offset:92
	s_waitcnt vmcnt(0)
	ds_write_b64 v103, v[1:2]
.LBB110_273:
	s_or_b32 exec_lo, exec_lo, s4
	s_waitcnt lgkmcnt(0)
	s_waitcnt_vscnt null, 0x0
	s_barrier
	buffer_gl0_inv
	s_clause 0x2a
	buffer_load_dword v7, off, s[0:3], 0 offset:100
	buffer_load_dword v8, off, s[0:3], 0 offset:108
	;; [unrolled: 1-line block ×43, first 2 shown]
	v_mov_b32_e32 v1, 0
	ds_read_b128 v[136:139], v1 offset:480
	ds_read_b128 v[140:143], v1 offset:496
	;; [unrolled: 1-line block ×3, first 2 shown]
	buffer_load_dword v154, off, s[0:3], 0 offset:92
	s_mov_b32 s4, exec_lo
	s_waitcnt vmcnt(43) lgkmcnt(2)
	v_mul_f32_e32 v152, v136, v7
	s_waitcnt vmcnt(42)
	v_mul_f32_e32 v153, v138, v8
	v_mul_f32_e32 v7, v137, v7
	;; [unrolled: 1-line block ×3, first 2 shown]
	s_waitcnt vmcnt(39)
	v_fmac_f32_e32 v152, v137, v6
	v_fmac_f32_e32 v153, v139, v5
	v_fma_f32 v155, v136, v6, -v7
	v_fma_f32 v156, v138, v5, -v8
	ds_read_b128 v[5:8], v1 offset:528
	ds_read_b128 v[136:139], v1 offset:544
	s_waitcnt vmcnt(38) lgkmcnt(3)
	v_mul_f32_e32 v157, v140, v3
	v_mul_f32_e32 v3, v141, v3
	s_waitcnt vmcnt(37)
	v_mul_f32_e32 v158, v142, v4
	v_mul_f32_e32 v4, v143, v4
	s_waitcnt vmcnt(32) lgkmcnt(2)
	v_mul_f32_e32 v160, v144, v111
	v_fmac_f32_e32 v157, v141, v2
	v_fma_f32 v159, v140, v2, -v3
	v_mul_f32_e32 v2, v145, v111
	s_waitcnt vmcnt(31)
	v_mul_f32_e32 v161, v146, v110
	v_mul_f32_e32 v3, v147, v110
	v_fmac_f32_e32 v158, v143, v112
	v_fma_f32 v112, v142, v112, -v4
	v_fmac_f32_e32 v160, v145, v107
	v_fma_f32 v144, v144, v107, -v2
	;; [unrolled: 2-line block ×3, first 2 shown]
	ds_read_b128 v[140:143], v1 offset:560
	s_waitcnt vmcnt(30) lgkmcnt(2)
	v_mul_f32_e32 v145, v5, v108
	v_mul_f32_e32 v2, v6, v108
	s_waitcnt vmcnt(29)
	v_mul_f32_e32 v147, v7, v106
	v_mul_f32_e32 v3, v8, v106
	s_waitcnt vmcnt(28) lgkmcnt(1)
	v_mul_f32_e32 v162, v136, v109
	v_fmac_f32_e32 v145, v6, v104
	v_fma_f32 v6, v5, v104, -v2
	s_waitcnt vmcnt(24)
	v_fmac_f32_e32 v147, v8, v119
	v_fma_f32 v7, v7, v119, -v3
	s_waitcnt vmcnt(23)
	v_mul_f32_e32 v8, v138, v118
	v_mul_f32_e32 v104, v137, v109
	;; [unrolled: 1-line block ×3, first 2 shown]
	ds_read_b128 v[2:5], v1 offset:576
	v_fmac_f32_e32 v162, v137, v117
	v_fmac_f32_e32 v8, v139, v114
	v_fma_f32 v117, v136, v117, -v104
	v_fma_f32 v114, v138, v114, -v105
	ds_read_b128 v[104:107], v1 offset:592
	s_waitcnt vmcnt(22) lgkmcnt(2)
	v_mul_f32_e32 v118, v140, v116
	v_mul_f32_e32 v108, v141, v116
	s_waitcnt vmcnt(21)
	v_mul_f32_e32 v116, v142, v115
	v_mul_f32_e32 v109, v143, v115
	buffer_load_dword v115, off, s[0:3], 0 offset:260
	v_fmac_f32_e32 v118, v141, v113
	v_fma_f32 v113, v140, v113, -v108
	s_waitcnt vmcnt(18)
	v_fmac_f32_e32 v116, v143, v127
	v_fma_f32 v119, v142, v127, -v109
	s_waitcnt vmcnt(17) lgkmcnt(1)
	v_mul_f32_e32 v127, v2, v125
	s_waitcnt vmcnt(16)
	v_mul_f32_e32 v136, v4, v126
	v_mul_f32_e32 v108, v3, v125
	;; [unrolled: 1-line block ×3, first 2 shown]
	v_fmac_f32_e32 v127, v3, v122
	v_fmac_f32_e32 v136, v5, v121
	v_fma_f32 v122, v2, v122, -v108
	v_fma_f32 v121, v4, v121, -v109
	ds_read_b128 v[2:5], v1 offset:608
	s_waitcnt vmcnt(15) lgkmcnt(1)
	v_mul_f32_e32 v125, v104, v124
	v_mul_f32_e32 v110, v105, v124
	s_waitcnt vmcnt(14)
	v_mul_f32_e32 v124, v106, v123
	v_mul_f32_e32 v123, v107, v123
	v_fmac_f32_e32 v125, v105, v120
	v_fma_f32 v120, v104, v120, -v110
	ds_read_b128 v[108:111], v1 offset:624
	s_waitcnt vmcnt(10)
	v_fmac_f32_e32 v124, v107, v135
	v_fma_f32 v123, v106, v135, -v123
	s_clause 0x1
	buffer_load_dword v126, off, s[0:3], 0 offset:268
	buffer_load_dword v135, off, s[0:3], 0 offset:276
	s_waitcnt vmcnt(11) lgkmcnt(1)
	v_mul_f32_e32 v137, v2, v134
	v_mul_f32_e32 v104, v3, v134
	s_waitcnt vmcnt(10)
	v_mul_f32_e32 v138, v4, v133
	v_mul_f32_e32 v105, v5, v133
	buffer_load_dword v134, off, s[0:3], 0 offset:284
	v_fmac_f32_e32 v137, v3, v131
	v_fma_f32 v131, v2, v131, -v104
	v_fmac_f32_e32 v138, v5, v129
	s_waitcnt vmcnt(10) lgkmcnt(0)
	v_mul_f32_e32 v133, v108, v132
	v_mul_f32_e32 v2, v109, v132
	s_waitcnt vmcnt(9)
	v_mul_f32_e32 v3, v111, v130
	s_clause 0x3
	buffer_load_dword v132, off, s[0:3], 0 offset:304
	buffer_load_dword v139, off, s[0:3], 0 offset:296
	;; [unrolled: 1-line block ×4, first 2 shown]
	v_mul_f32_e32 v142, v110, v130
	v_fmac_f32_e32 v133, v109, v128
	v_fma_f32 v128, v108, v128, -v2
	v_add_f32_e32 v2, 0, v152
	s_clause 0x1
	buffer_load_dword v130, off, s[0:3], 0 offset:292
	buffer_load_dword v152, off, s[0:3], 0 offset:308
	s_waitcnt vmcnt(11)
	v_fma_f32 v143, v110, v151, -v3
	v_add_f32_e32 v3, 0, v155
	v_add_f32_e32 v2, v2, v153
	v_fmac_f32_e32 v142, v111, v151
	s_clause 0x4
	buffer_load_dword v151, off, s[0:3], 0 offset:300
	buffer_load_dword v153, off, s[0:3], 0 offset:316
	;; [unrolled: 1-line block ×5, first 2 shown]
	v_add_f32_e32 v3, v3, v156
	v_add_f32_e32 v2, v2, v157
	s_clause 0x1
	buffer_load_dword v156, off, s[0:3], 0 offset:348
	buffer_load_dword v157, off, s[0:3], 0 offset:356
	v_fma_f32 v129, v4, v129, -v105
	v_add_f32_e32 v3, v3, v159
	v_add_f32_e32 v2, v2, v158
	s_clause 0x1
	buffer_load_dword v158, off, s[0:3], 0 offset:364
	buffer_load_dword v159, off, s[0:3], 0 offset:372
	v_add_f32_e32 v3, v3, v112
	v_add_f32_e32 v2, v2, v160
	;; [unrolled: 1-line block ×4, first 2 shown]
	s_clause 0x3
	buffer_load_dword v144, off, s[0:3], 0 offset:336
	buffer_load_dword v160, off, s[0:3], 0 offset:328
	;; [unrolled: 1-line block ×4, first 2 shown]
	v_add_f32_e32 v3, v3, v146
	v_add_f32_e32 v2, v2, v145
	v_add_f32_e32 v3, v3, v6
	v_add_f32_e32 v2, v2, v147
	s_clause 0x4
	buffer_load_dword v145, off, s[0:3], 0 offset:368
	buffer_load_dword v146, off, s[0:3], 0 offset:360
	;; [unrolled: 1-line block ×5, first 2 shown]
	ds_read_b128 v[104:107], v1 offset:656
	v_add_f32_e32 v3, v3, v7
	v_add_f32_e32 v2, v2, v162
	;; [unrolled: 1-line block ×5, first 2 shown]
	ds_read_b128 v[2:5], v1 offset:640
	v_add_f32_e32 v6, v6, v118
	v_add_f32_e32 v7, v7, v113
	;; [unrolled: 1-line block ×14, first 2 shown]
	s_waitcnt vmcnt(27) lgkmcnt(0)
	v_mul_f32_e32 v8, v2, v115
	v_mul_f32_e32 v108, v3, v115
	v_fmac_f32_e32 v8, v3, v150
	v_add_f32_e32 v3, v7, v120
	v_fma_f32 v120, v2, v150, -v108
	v_add_f32_e32 v8, v127, v8
	v_add_f32_e32 v7, v3, v123
	;; [unrolled: 1-line block ×5, first 2 shown]
	s_waitcnt vmcnt(26)
	v_mul_f32_e32 v121, v4, v126
	v_mul_f32_e32 v109, v5, v126
	v_add_f32_e32 v128, v7, v143
	s_waitcnt vmcnt(25)
	v_mul_f32_e32 v116, v105, v135
	v_mul_f32_e32 v123, v104, v135
	v_fmac_f32_e32 v121, v5, v149
	v_fma_f32 v122, v4, v149, -v109
	ds_read_b128 v[2:5], v1 offset:672
	ds_read_b128 v[108:111], v1 offset:688
	v_add_f32_e32 v120, v128, v120
	v_fma_f32 v126, v104, v148, -v116
	v_fmac_f32_e32 v123, v105, v148
	v_add_f32_e32 v8, v8, v121
	ds_read_b128 v[112:115], v1 offset:704
	ds_read_b128 v[116:119], v1 offset:720
	s_waitcnt vmcnt(24)
	v_mul_f32_e32 v125, v107, v134
	v_add_f32_e32 v120, v120, v122
	v_mul_f32_e32 v124, v106, v134
	v_add_f32_e32 v8, v8, v123
	v_add_f32_e32 v120, v120, v126
	s_waitcnt vmcnt(20)
	v_fma_f32 v125, v106, v141, -v125
	v_fmac_f32_e32 v124, v107, v141
	ds_read_b128 v[104:107], v1 offset:736
	ds_read_b64 v[6:7], v1 offset:752
	s_waitcnt vmcnt(19) lgkmcnt(5)
	v_mul_f32_e32 v128, v3, v130
	v_mul_f32_e32 v129, v2, v130
	v_add_f32_e32 v120, v120, v125
	v_add_f32_e32 v8, v8, v124
	s_waitcnt vmcnt(18) lgkmcnt(4)
	v_mul_f32_e32 v127, v108, v152
	v_fma_f32 v2, v2, v140, -v128
	s_waitcnt vmcnt(17)
	v_mul_f32_e32 v130, v5, v151
	v_mul_f32_e32 v131, v4, v151
	v_fmac_f32_e32 v129, v3, v140
	v_mul_f32_e32 v128, v109, v152
	v_add_f32_e32 v2, v120, v2
	v_fma_f32 v4, v4, v139, -v130
	v_fmac_f32_e32 v131, v5, v139
	v_add_f32_e32 v5, v8, v129
	s_waitcnt vmcnt(16)
	v_mul_f32_e32 v8, v111, v153
	v_fma_f32 v108, v108, v132, -v128
	v_add_f32_e32 v2, v2, v4
	v_mul_f32_e32 v122, v110, v153
	v_fmac_f32_e32 v127, v109, v132
	v_add_f32_e32 v4, v5, v131
	s_waitcnt vmcnt(15) lgkmcnt(3)
	v_mul_f32_e32 v5, v113, v155
	v_add_f32_e32 v2, v2, v108
	v_mul_f32_e32 v133, v112, v155
	s_waitcnt vmcnt(14)
	v_mul_f32_e32 v108, v115, v163
	v_add_f32_e32 v4, v4, v127
	s_waitcnt vmcnt(5)
	v_fma_f32 v8, v110, v165, -v8
	v_fmac_f32_e32 v122, v111, v165
	v_fma_f32 v5, v112, v161, -v5
	v_mul_f32_e32 v121, v114, v163
	v_fmac_f32_e32 v133, v113, v161
	v_add_f32_e32 v2, v2, v8
	v_add_f32_e32 v4, v4, v122
	s_waitcnt lgkmcnt(2)
	v_mul_f32_e32 v8, v117, v164
	v_fma_f32 v108, v114, v160, -v108
	v_mul_f32_e32 v126, v116, v164
	v_add_f32_e32 v2, v2, v5
	v_fmac_f32_e32 v121, v115, v160
	v_add_f32_e32 v4, v4, v133
	v_mul_f32_e32 v5, v119, v156
	v_fma_f32 v8, v116, v144, -v8
	v_add_f32_e32 v2, v2, v108
	v_mul_f32_e32 v3, v118, v156
	v_fmac_f32_e32 v126, v117, v144
	v_add_f32_e32 v4, v4, v121
	s_waitcnt lgkmcnt(1)
	v_mul_f32_e32 v108, v105, v157
	s_waitcnt vmcnt(1)
	v_fma_f32 v5, v118, v166, -v5
	v_add_f32_e32 v2, v2, v8
	v_mul_f32_e32 v123, v104, v157
	v_fmac_f32_e32 v3, v119, v166
	v_add_f32_e32 v4, v4, v126
	v_mul_f32_e32 v8, v107, v158
	v_fma_f32 v104, v104, v147, -v108
	v_add_f32_e32 v2, v2, v5
	v_mul_f32_e32 v125, v106, v158
	v_fmac_f32_e32 v123, v105, v147
	v_add_f32_e32 v3, v4, v3
	s_waitcnt lgkmcnt(0)
	v_mul_f32_e32 v4, v7, v159
	v_fma_f32 v5, v106, v146, -v8
	v_add_f32_e32 v2, v2, v104
	v_mul_f32_e32 v124, v6, v159
	v_fmac_f32_e32 v125, v107, v146
	v_add_f32_e32 v3, v3, v123
	v_fma_f32 v4, v6, v145, -v4
	v_add_f32_e32 v2, v2, v5
	v_fmac_f32_e32 v124, v7, v145
	v_add_f32_e32 v3, v3, v125
	v_add_f32_e32 v2, v2, v4
	;; [unrolled: 1-line block ×3, first 2 shown]
	s_waitcnt vmcnt(0)
	v_sub_f32_e32 v2, v167, v2
	v_sub_f32_e32 v3, v154, v3
	buffer_store_dword v2, off, s[0:3], 0 offset:88
	buffer_store_dword v3, off, s[0:3], 0 offset:92
	v_cmpx_lt_u32_e32 10, v0
	s_cbranch_execz .LBB110_275
; %bb.274:
	s_clause 0x1
	buffer_load_dword v2, off, s[0:3], 0 offset:80
	buffer_load_dword v3, off, s[0:3], 0 offset:84
	buffer_store_dword v1, off, s[0:3], 0 offset:80
	buffer_store_dword v1, off, s[0:3], 0 offset:84
	s_waitcnt vmcnt(0)
	ds_write_b64 v103, v[2:3]
.LBB110_275:
	s_or_b32 exec_lo, exec_lo, s4
	s_waitcnt lgkmcnt(0)
	s_waitcnt_vscnt null, 0x0
	s_barrier
	buffer_gl0_inv
	s_clause 0x2a
	buffer_load_dword v7, off, s[0:3], 0 offset:92
	buffer_load_dword v8, off, s[0:3], 0 offset:100
	;; [unrolled: 1-line block ×43, first 2 shown]
	ds_read2_b64 v[136:139], v1 offset0:59 offset1:60
	ds_read2_b64 v[140:143], v1 offset0:61 offset1:62
	;; [unrolled: 1-line block ×3, first 2 shown]
	buffer_load_dword v154, off, s[0:3], 0 offset:84
	s_mov_b32 s4, exec_lo
	s_waitcnt vmcnt(43) lgkmcnt(2)
	v_mul_f32_e32 v152, v136, v7
	s_waitcnt vmcnt(42)
	v_mul_f32_e32 v153, v138, v8
	v_mul_f32_e32 v7, v137, v7
	v_mul_f32_e32 v8, v139, v8
	s_waitcnt vmcnt(39)
	v_fmac_f32_e32 v152, v137, v6
	v_fmac_f32_e32 v153, v139, v5
	v_fma_f32 v155, v136, v6, -v7
	v_fma_f32 v156, v138, v5, -v8
	ds_read2_b64 v[5:8], v1 offset0:65 offset1:66
	ds_read2_b64 v[136:139], v1 offset0:67 offset1:68
	s_waitcnt vmcnt(38) lgkmcnt(3)
	v_mul_f32_e32 v157, v140, v3
	s_waitcnt vmcnt(37)
	v_mul_f32_e32 v158, v142, v4
	v_mul_f32_e32 v3, v141, v3
	;; [unrolled: 1-line block ×3, first 2 shown]
	v_fmac_f32_e32 v157, v141, v2
	s_waitcnt vmcnt(33)
	v_fmac_f32_e32 v158, v143, v111
	v_fma_f32 v140, v140, v2, -v3
	v_fma_f32 v141, v142, v111, -v4
	s_waitcnt vmcnt(32) lgkmcnt(2)
	v_mul_f32_e32 v142, v144, v109
	v_mul_f32_e32 v2, v145, v109
	s_waitcnt vmcnt(31)
	v_mul_f32_e32 v3, v147, v110
	v_mul_f32_e32 v143, v146, v110
	v_fmac_f32_e32 v142, v145, v108
	v_fma_f32 v144, v144, v108, -v2
	v_fma_f32 v145, v146, v105, -v3
	ds_read2_b64 v[108:111], v1 offset0:69 offset1:70
	s_waitcnt vmcnt(30) lgkmcnt(2)
	v_mul_f32_e32 v146, v5, v106
	v_mul_f32_e32 v2, v6, v106
	s_waitcnt vmcnt(29)
	v_mul_f32_e32 v3, v8, v107
	v_fmac_f32_e32 v143, v147, v105
	v_mul_f32_e32 v147, v7, v107
	v_fmac_f32_e32 v146, v6, v104
	v_fma_f32 v6, v5, v104, -v2
	s_waitcnt vmcnt(25)
	v_fma_f32 v7, v7, v119, -v3
	ds_read2_b64 v[2:5], v1 offset0:71 offset1:72
	v_fmac_f32_e32 v147, v8, v119
	s_waitcnt vmcnt(24) lgkmcnt(2)
	v_mul_f32_e32 v8, v136, v117
	s_waitcnt vmcnt(23)
	v_mul_f32_e32 v119, v138, v118
	v_mul_f32_e32 v104, v137, v117
	;; [unrolled: 1-line block ×3, first 2 shown]
	v_fmac_f32_e32 v8, v137, v116
	v_fmac_f32_e32 v119, v139, v113
	v_fma_f32 v116, v136, v116, -v104
	v_fma_f32 v113, v138, v113, -v105
	ds_read2_b64 v[104:107], v1 offset0:73 offset1:74
	s_waitcnt vmcnt(22) lgkmcnt(2)
	v_mul_f32_e32 v117, v108, v114
	s_waitcnt vmcnt(21)
	v_mul_f32_e32 v118, v110, v115
	v_mul_f32_e32 v114, v109, v114
	;; [unrolled: 1-line block ×3, first 2 shown]
	v_fmac_f32_e32 v117, v109, v112
	s_waitcnt vmcnt(17)
	v_fmac_f32_e32 v118, v111, v127
	v_fma_f32 v112, v108, v112, -v114
	v_fma_f32 v114, v110, v127, -v115
	s_waitcnt vmcnt(16) lgkmcnt(1)
	v_mul_f32_e32 v115, v2, v125
	s_waitcnt vmcnt(15)
	v_mul_f32_e32 v127, v4, v126
	v_mul_f32_e32 v125, v3, v125
	v_mul_f32_e32 v126, v5, v126
	ds_read2_b64 v[108:111], v1 offset0:75 offset1:76
	v_fmac_f32_e32 v115, v3, v124
	v_fmac_f32_e32 v127, v5, v121
	v_fma_f32 v124, v2, v124, -v125
	v_fma_f32 v121, v4, v121, -v126
	s_clause 0x1
	buffer_load_dword v125, off, s[0:3], 0 offset:252
	buffer_load_dword v126, off, s[0:3], 0 offset:260
	s_waitcnt vmcnt(16) lgkmcnt(1)
	v_mul_f32_e32 v136, v104, v122
	v_mul_f32_e32 v2, v105, v122
	s_waitcnt vmcnt(15)
	v_mul_f32_e32 v3, v107, v123
	v_mul_f32_e32 v137, v106, v123
	buffer_load_dword v123, off, s[0:3], 0 offset:268
	v_fmac_f32_e32 v136, v105, v120
	v_fma_f32 v120, v104, v120, -v2
	s_waitcnt vmcnt(12)
	v_fma_f32 v122, v106, v135, -v3
	ds_read2_b64 v[2:5], v1 offset0:77 offset1:78
	v_fmac_f32_e32 v137, v107, v135
	s_waitcnt vmcnt(11) lgkmcnt(1)
	v_mul_f32_e32 v135, v108, v133
	s_waitcnt vmcnt(10)
	v_mul_f32_e32 v138, v110, v134
	v_mul_f32_e32 v104, v109, v133
	v_mul_f32_e32 v105, v111, v134
	s_clause 0x5
	buffer_load_dword v133, off, s[0:3], 0 offset:276
	buffer_load_dword v134, off, s[0:3], 0 offset:296
	;; [unrolled: 1-line block ×6, first 2 shown]
	v_fmac_f32_e32 v135, v109, v132
	v_fma_f32 v132, v108, v132, -v104
	v_fmac_f32_e32 v138, v111, v131
	v_fma_f32 v131, v110, v131, -v105
	s_waitcnt vmcnt(15) lgkmcnt(0)
	v_mul_f32_e32 v161, v2, v130
	v_mul_f32_e32 v104, v3, v130
	s_waitcnt vmcnt(14)
	v_mul_f32_e32 v130, v4, v129
	v_fmac_f32_e32 v161, v3, v128
	v_add_f32_e32 v3, 0, v152
	v_fma_f32 v128, v2, v128, -v104
	v_add_f32_e32 v2, 0, v155
	v_mul_f32_e32 v104, v5, v129
	s_clause 0x1
	buffer_load_dword v129, off, s[0:3], 0 offset:292
	buffer_load_dword v152, off, s[0:3], 0 offset:300
	v_add_f32_e32 v3, v3, v153
	v_add_f32_e32 v2, v2, v156
	buffer_load_dword v153, off, s[0:3], 0 offset:308
	s_waitcnt vmcnt(13)
	v_fmac_f32_e32 v130, v5, v151
	v_fma_f32 v151, v4, v151, -v104
	v_add_f32_e32 v3, v3, v157
	v_add_f32_e32 v2, v2, v140
	s_clause 0x2
	buffer_load_dword v140, off, s[0:3], 0 offset:316
	buffer_load_dword v155, off, s[0:3], 0 offset:324
	;; [unrolled: 1-line block ×3, first 2 shown]
	v_add_f32_e32 v3, v3, v158
	v_add_f32_e32 v2, v2, v141
	s_clause 0x3
	buffer_load_dword v141, off, s[0:3], 0 offset:340
	buffer_load_dword v157, off, s[0:3], 0 offset:348
	;; [unrolled: 1-line block ×4, first 2 shown]
	v_add_f32_e32 v3, v3, v142
	v_add_f32_e32 v2, v2, v144
	buffer_load_dword v142, off, s[0:3], 0 offset:372
	v_add_f32_e32 v3, v3, v143
	v_add_f32_e32 v2, v2, v145
	s_clause 0x3
	buffer_load_dword v143, off, s[0:3], 0 offset:328
	buffer_load_dword v144, off, s[0:3], 0 offset:320
	;; [unrolled: 1-line block ×4, first 2 shown]
	v_add_f32_e32 v3, v3, v146
	v_add_f32_e32 v2, v2, v6
	;; [unrolled: 1-line block ×4, first 2 shown]
	s_clause 0x4
	buffer_load_dword v6, off, s[0:3], 0 offset:360
	buffer_load_dword v7, off, s[0:3], 0 offset:352
	buffer_load_dword v146, off, s[0:3], 0 offset:344
	buffer_load_dword v147, off, s[0:3], 0 offset:336
	buffer_load_dword v165, off, s[0:3], 0 offset:80
	v_add_f32_e32 v3, v3, v8
	buffer_load_dword v8, off, s[0:3], 0 offset:368
	v_add_f32_e32 v2, v2, v116
	v_add_f32_e32 v3, v3, v119
	;; [unrolled: 1-line block ×5, first 2 shown]
	ds_read2_b64 v[2:5], v1 offset0:79 offset1:80
	v_add_f32_e32 v104, v104, v118
	v_add_f32_e32 v105, v105, v114
	;; [unrolled: 1-line block ×4, first 2 shown]
	ds_read2_b64 v[104:107], v1 offset0:81 offset1:82
	v_add_f32_e32 v108, v108, v127
	v_add_f32_e32 v109, v109, v121
	;; [unrolled: 1-line block ×10, first 2 shown]
	s_waitcnt vmcnt(29) lgkmcnt(1)
	v_mul_f32_e32 v124, v2, v125
	v_mul_f32_e32 v110, v3, v125
	s_waitcnt vmcnt(28)
	v_mul_f32_e32 v125, v4, v126
	v_mul_f32_e32 v111, v5, v126
	v_fmac_f32_e32 v124, v3, v150
	v_fma_f32 v126, v2, v150, -v110
	v_fmac_f32_e32 v125, v5, v149
	v_fma_f32 v127, v4, v149, -v111
	ds_read2_b64 v[2:5], v1 offset0:83 offset1:84
	ds_read2_b64 v[108:111], v1 offset0:85 offset1:86
	s_waitcnt vmcnt(27) lgkmcnt(2)
	v_mul_f32_e32 v136, v104, v123
	v_mul_f32_e32 v114, v105, v123
	v_fmac_f32_e32 v136, v105, v148
	v_add_f32_e32 v105, v113, v138
	v_fma_f32 v132, v104, v148, -v114
	s_waitcnt vmcnt(26)
	v_mul_f32_e32 v137, v106, v133
	v_mul_f32_e32 v115, v107, v133
	v_add_f32_e32 v117, v105, v161
	s_waitcnt vmcnt(22)
	v_fmac_f32_e32 v137, v107, v160
	v_fma_f32 v131, v106, v160, -v115
	v_add_f32_e32 v122, v117, v130
	v_add_f32_e32 v130, v120, v151
	s_waitcnt vmcnt(21) lgkmcnt(1)
	v_mul_f32_e32 v128, v2, v162
	v_mul_f32_e32 v121, v3, v162
	ds_read2_b64 v[104:107], v1 offset0:87 offset1:88
	ds_read2_b64 v[112:115], v1 offset0:89 offset1:90
	;; [unrolled: 1-line block ×3, first 2 shown]
	v_fmac_f32_e32 v128, v3, v159
	v_fma_f32 v2, v2, v159, -v121
	v_add_f32_e32 v3, v122, v124
	ds_read2_b64 v[120:123], v1 offset0:93 offset1:94
	v_add_f32_e32 v1, v130, v126
	s_waitcnt vmcnt(20)
	v_mul_f32_e32 v126, v5, v129
	v_add_f32_e32 v3, v3, v125
	v_mul_f32_e32 v124, v4, v129
	v_add_f32_e32 v1, v1, v127
	s_waitcnt vmcnt(19) lgkmcnt(4)
	v_mul_f32_e32 v129, v109, v152
	v_fma_f32 v4, v4, v139, -v126
	v_add_f32_e32 v3, v3, v136
	v_mul_f32_e32 v125, v108, v152
	v_add_f32_e32 v1, v1, v132
	v_fmac_f32_e32 v124, v5, v139
	v_fma_f32 v108, v108, v134, -v129
	v_add_f32_e32 v3, v3, v137
	s_waitcnt vmcnt(18)
	v_mul_f32_e32 v127, v110, v153
	v_add_f32_e32 v1, v1, v131
	v_mul_f32_e32 v131, v111, v153
	v_fmac_f32_e32 v125, v109, v134
	s_waitcnt vmcnt(17) lgkmcnt(3)
	v_mul_f32_e32 v5, v104, v140
	s_waitcnt vmcnt(16)
	v_mul_f32_e32 v126, v106, v155
	v_add_f32_e32 v1, v1, v2
	v_add_f32_e32 v2, v3, v128
	s_waitcnt vmcnt(15) lgkmcnt(2)
	v_mul_f32_e32 v130, v112, v156
	s_waitcnt vmcnt(14)
	v_mul_f32_e32 v132, v114, v141
	s_waitcnt vmcnt(8)
	v_fmac_f32_e32 v126, v107, v144
	v_add_f32_e32 v1, v1, v4
	v_add_f32_e32 v2, v2, v124
	v_mul_f32_e32 v4, v105, v140
	s_waitcnt vmcnt(6)
	v_fma_f32 v109, v110, v164, -v131
	v_fmac_f32_e32 v127, v111, v164
	v_add_f32_e32 v1, v1, v108
	v_add_f32_e32 v2, v2, v125
	v_mul_f32_e32 v108, v107, v155
	v_fma_f32 v4, v104, v145, -v4
	v_fmac_f32_e32 v5, v105, v145
	v_add_f32_e32 v1, v1, v109
	v_add_f32_e32 v2, v2, v127
	v_mul_f32_e32 v104, v113, v156
	;; [unrolled: 5-line block ×3, first 2 shown]
	v_fma_f32 v5, v112, v143, -v104
	s_waitcnt lgkmcnt(1)
	v_mul_f32_e32 v104, v117, v157
	v_add_f32_e32 v1, v1, v105
	v_add_f32_e32 v2, v2, v126
	s_waitcnt vmcnt(2)
	v_fma_f32 v4, v114, v147, -v4
	v_mul_f32_e32 v133, v116, v157
	v_fmac_f32_e32 v132, v115, v147
	v_add_f32_e32 v1, v1, v5
	v_add_f32_e32 v2, v2, v130
	v_mul_f32_e32 v5, v119, v158
	v_fma_f32 v104, v116, v146, -v104
	v_mul_f32_e32 v135, v118, v158
	v_add_f32_e32 v1, v1, v4
	v_fmac_f32_e32 v133, v117, v146
	v_add_f32_e32 v2, v2, v132
	s_waitcnt lgkmcnt(0)
	v_mul_f32_e32 v4, v121, v163
	v_fma_f32 v5, v118, v7, -v5
	v_add_f32_e32 v1, v1, v104
	v_mul_f32_e32 v136, v120, v163
	v_fmac_f32_e32 v135, v119, v7
	v_add_f32_e32 v2, v2, v133
	v_mul_f32_e32 v7, v123, v142
	v_fma_f32 v4, v120, v6, -v4
	v_add_f32_e32 v1, v1, v5
	v_mul_f32_e32 v3, v122, v142
	v_fmac_f32_e32 v136, v121, v6
	v_add_f32_e32 v2, v2, v135
	s_waitcnt vmcnt(0)
	v_fma_f32 v5, v122, v8, -v7
	v_add_f32_e32 v1, v1, v4
	v_fmac_f32_e32 v3, v123, v8
	v_add_f32_e32 v2, v2, v136
	v_add_f32_e32 v1, v1, v5
	;; [unrolled: 1-line block ×3, first 2 shown]
	v_sub_f32_e32 v1, v165, v1
	v_sub_f32_e32 v2, v154, v2
	buffer_store_dword v1, off, s[0:3], 0 offset:80
	buffer_store_dword v2, off, s[0:3], 0 offset:84
	v_cmpx_lt_u32_e32 9, v0
	s_cbranch_execz .LBB110_277
; %bb.276:
	s_clause 0x1
	buffer_load_dword v1, off, s[0:3], 0 offset:72
	buffer_load_dword v2, off, s[0:3], 0 offset:76
	v_mov_b32_e32 v3, 0
	buffer_store_dword v3, off, s[0:3], 0 offset:72
	buffer_store_dword v3, off, s[0:3], 0 offset:76
	s_waitcnt vmcnt(0)
	ds_write_b64 v103, v[1:2]
.LBB110_277:
	s_or_b32 exec_lo, exec_lo, s4
	s_waitcnt lgkmcnt(0)
	s_waitcnt_vscnt null, 0x0
	s_barrier
	buffer_gl0_inv
	s_clause 0x2b
	buffer_load_dword v135, off, s[0:3], 0 offset:84
	buffer_load_dword v2, off, s[0:3], 0 offset:96
	;; [unrolled: 1-line block ×44, first 2 shown]
	v_mov_b32_e32 v1, 0
	ds_read_b128 v[136:139], v1 offset:464
	ds_read_b128 v[140:143], v1 offset:480
	;; [unrolled: 1-line block ×3, first 2 shown]
	buffer_load_dword v154, off, s[0:3], 0 offset:76
	s_mov_b32 s4, exec_lo
	s_waitcnt vmcnt(44) lgkmcnt(2)
	v_mul_f32_e32 v153, v136, v135
	v_mul_f32_e32 v135, v137, v135
	s_waitcnt vmcnt(40)
	v_mul_f32_e32 v156, v138, v104
	v_mul_f32_e32 v104, v139, v104
	v_fmac_f32_e32 v153, v137, v105
	v_fma_f32 v155, v136, v105, -v135
	s_waitcnt vmcnt(39) lgkmcnt(1)
	v_mul_f32_e32 v158, v140, v7
	v_fmac_f32_e32 v156, v139, v5
	v_fma_f32 v157, v138, v5, -v104
	v_mul_f32_e32 v5, v141, v7
	ds_read_b128 v[135:138], v1 offset:512
	v_fmac_f32_e32 v158, v141, v2
	s_waitcnt vmcnt(38)
	v_mul_f32_e32 v160, v142, v4
	v_fma_f32 v159, v140, v2, -v5
	v_mul_f32_e32 v2, v143, v4
	s_waitcnt vmcnt(34)
	v_fmac_f32_e32 v160, v143, v109
	s_waitcnt vmcnt(33) lgkmcnt(1)
	v_mul_f32_e32 v143, v144, v108
	v_fma_f32 v109, v142, v109, -v2
	v_mul_f32_e32 v2, v145, v108
	ds_read_b128 v[139:142], v1 offset:528
	v_fmac_f32_e32 v143, v145, v106
	v_fma_f32 v108, v144, v106, -v2
	s_waitcnt vmcnt(32)
	v_mul_f32_e32 v144, v146, v107
	v_mul_f32_e32 v2, v147, v107
	ds_read_b128 v[104:107], v1 offset:560
	v_fmac_f32_e32 v144, v147, v6
	v_fma_f32 v145, v146, v6, -v2
	s_waitcnt vmcnt(31) lgkmcnt(2)
	v_mul_f32_e32 v2, v136, v8
	ds_read_b128 v[4:7], v1 offset:544
	v_mul_f32_e32 v146, v135, v8
	v_fma_f32 v8, v135, v3, -v2
	s_waitcnt vmcnt(30)
	v_mul_f32_e32 v2, v138, v110
	v_mul_f32_e32 v135, v137, v110
	v_fmac_f32_e32 v146, v136, v3
	s_waitcnt vmcnt(24) lgkmcnt(2)
	v_mul_f32_e32 v136, v141, v115
	v_fma_f32 v110, v137, v118, -v2
	v_mul_f32_e32 v2, v140, v117
	v_fmac_f32_e32 v135, v138, v118
	v_mul_f32_e32 v118, v139, v117
	v_fmac_f32_e32 v136, v142, v112
	v_fma_f32 v117, v139, v114, -v2
	v_mul_f32_e32 v2, v142, v115
	v_fmac_f32_e32 v118, v140, v114
	s_waitcnt vmcnt(23) lgkmcnt(0)
	v_mul_f32_e32 v138, v4, v113
	s_waitcnt vmcnt(22)
	v_mul_f32_e32 v139, v6, v116
	v_fma_f32 v137, v141, v112, -v2
	v_mul_f32_e32 v2, v5, v113
	ds_read_b128 v[112:115], v1 offset:576
	v_fmac_f32_e32 v138, v5, v111
	s_waitcnt vmcnt(18)
	v_fmac_f32_e32 v139, v7, v127
	v_fma_f32 v111, v4, v111, -v2
	v_mul_f32_e32 v2, v7, v116
	s_waitcnt vmcnt(17)
	v_mul_f32_e32 v7, v104, v126
	s_waitcnt vmcnt(16)
	v_mul_f32_e32 v116, v106, v125
	v_mul_f32_e32 v125, v107, v125
	v_fma_f32 v6, v6, v127, -v2
	v_mul_f32_e32 v2, v105, v126
	v_fmac_f32_e32 v7, v105, v123
	v_fmac_f32_e32 v116, v107, v120
	v_fma_f32 v120, v106, v120, -v125
	v_add_f32_e32 v106, 0, v153
	v_fma_f32 v123, v104, v123, -v2
	ds_read_b128 v[2:5], v1 offset:592
	s_clause 0x2
	buffer_load_dword v125, off, s[0:3], 0 offset:252
	buffer_load_dword v126, off, s[0:3], 0 offset:260
	buffer_load_dword v140, off, s[0:3], 0 offset:268
	s_waitcnt vmcnt(18) lgkmcnt(1)
	v_mul_f32_e32 v127, v112, v121
	v_mul_f32_e32 v104, v113, v121
	s_waitcnt vmcnt(17)
	v_mul_f32_e32 v121, v114, v124
	v_mul_f32_e32 v105, v115, v124
	v_fmac_f32_e32 v127, v113, v119
	v_fma_f32 v112, v112, v119, -v104
	s_waitcnt vmcnt(13)
	v_fmac_f32_e32 v121, v115, v134
	v_fma_f32 v113, v114, v134, -v105
	v_add_f32_e32 v115, v106, v156
	ds_read_b128 v[104:107], v1 offset:608
	v_add_f32_e32 v114, 0, v155
	v_add_f32_e32 v115, v115, v158
	;; [unrolled: 1-line block ×3, first 2 shown]
	s_waitcnt vmcnt(12) lgkmcnt(1)
	v_mul_f32_e32 v119, v2, v133
	v_mul_f32_e32 v124, v3, v133
	s_clause 0x3
	buffer_load_dword v133, off, s[0:3], 0 offset:288
	buffer_load_dword v134, off, s[0:3], 0 offset:280
	;; [unrolled: 1-line block ×4, first 2 shown]
	v_fmac_f32_e32 v119, v3, v132
	v_fma_f32 v124, v2, v132, -v124
	s_clause 0x1
	buffer_load_dword v132, off, s[0:3], 0 offset:276
	buffer_load_dword v147, off, s[0:3], 0 offset:284
	v_add_f32_e32 v2, v114, v159
	v_add_f32_e32 v3, v115, v160
	s_waitcnt vmcnt(17)
	v_mul_f32_e32 v114, v4, v131
	v_mul_f32_e32 v115, v5, v131
	buffer_load_dword v131, off, s[0:3], 0 offset:292
	v_add_f32_e32 v2, v2, v109
	v_add_f32_e32 v3, v3, v143
	v_fmac_f32_e32 v114, v5, v129
	v_fma_f32 v115, v4, v129, -v115
	s_clause 0x3
	buffer_load_dword v129, off, s[0:3], 0 offset:300
	buffer_load_dword v143, off, s[0:3], 0 offset:308
	;; [unrolled: 1-line block ×4, first 2 shown]
	v_add_f32_e32 v108, v2, v108
	v_add_f32_e32 v109, v3, v144
	ds_read_b128 v[2:5], v1 offset:624
	s_waitcnt vmcnt(21) lgkmcnt(1)
	v_mul_f32_e32 v144, v104, v128
	v_mul_f32_e32 v128, v105, v128
	v_add_f32_e32 v108, v108, v145
	v_add_f32_e32 v109, v109, v146
	s_waitcnt vmcnt(20)
	v_mul_f32_e32 v145, v106, v130
	v_fmac_f32_e32 v144, v105, v122
	v_fma_f32 v122, v104, v122, -v128
	v_add_f32_e32 v8, v108, v8
	v_add_f32_e32 v104, v109, v135
	v_mul_f32_e32 v108, v107, v130
	s_clause 0x4
	buffer_load_dword v128, off, s[0:3], 0 offset:332
	buffer_load_dword v130, off, s[0:3], 0 offset:340
	;; [unrolled: 1-line block ×5, first 2 shown]
	v_add_f32_e32 v8, v8, v110
	s_clause 0x4
	buffer_load_dword v157, off, s[0:3], 0 offset:320
	buffer_load_dword v158, off, s[0:3], 0 offset:312
	;; [unrolled: 1-line block ×5, first 2 shown]
	v_add_f32_e32 v104, v104, v118
	s_waitcnt vmcnt(26)
	v_fmac_f32_e32 v145, v107, v151
	v_fma_f32 v151, v106, v151, -v108
	v_add_f32_e32 v8, v8, v117
	v_add_f32_e32 v104, v104, v136
	s_waitcnt vmcnt(25) lgkmcnt(0)
	v_mul_f32_e32 v109, v3, v152
	v_mul_f32_e32 v136, v2, v152
	v_add_f32_e32 v8, v8, v137
	v_add_f32_e32 v108, v104, v138
	ds_read_b128 v[104:107], v1 offset:640
	v_fma_f32 v117, v2, v150, -v109
	v_add_f32_e32 v8, v8, v111
	v_fmac_f32_e32 v136, v3, v150
	v_add_f32_e32 v108, v108, v139
	v_add_f32_e32 v2, v8, v6
	s_clause 0x3
	buffer_load_dword v8, off, s[0:3], 0 offset:352
	buffer_load_dword v137, off, s[0:3], 0 offset:344
	;; [unrolled: 1-line block ×4, first 2 shown]
	v_add_f32_e32 v3, v108, v7
	v_add_f32_e32 v2, v2, v123
	s_clause 0x1
	buffer_load_dword v123, off, s[0:3], 0 offset:368
	buffer_load_dword v150, off, s[0:3], 0 offset:360
	v_add_f32_e32 v3, v3, v116
	ds_read_b128 v[108:111], v1 offset:672
	v_add_f32_e32 v2, v2, v120
	buffer_load_dword v120, off, s[0:3], 0 offset:72
	v_add_f32_e32 v6, v3, v127
	v_add_f32_e32 v7, v2, v112
	;; [unrolled: 1-line block ×11, first 2 shown]
	s_waitcnt vmcnt(30)
	v_mul_f32_e32 v127, v4, v125
	v_mul_f32_e32 v3, v5, v125
	s_waitcnt vmcnt(29) lgkmcnt(1)
	v_mul_f32_e32 v112, v105, v126
	v_mul_f32_e32 v121, v104, v126
	s_waitcnt vmcnt(28)
	v_mul_f32_e32 v113, v107, v140
	v_fmac_f32_e32 v127, v5, v149
	v_fma_f32 v125, v4, v149, -v3
	ds_read_b128 v[2:5], v1 offset:656
	v_fma_f32 v124, v104, v148, -v112
	v_mul_f32_e32 v126, v106, v140
	v_fmac_f32_e32 v121, v105, v148
	s_waitcnt vmcnt(24)
	v_fma_f32 v140, v106, v142, -v113
	v_fmac_f32_e32 v126, v107, v142
	ds_read_b128 v[104:107], v1 offset:688
	ds_read_b128 v[112:115], v1 offset:704
	s_waitcnt vmcnt(23) lgkmcnt(2)
	v_mul_f32_e32 v122, v2, v132
	v_mul_f32_e32 v116, v3, v132
	s_waitcnt vmcnt(22)
	v_mul_f32_e32 v132, v4, v147
	v_mul_f32_e32 v142, v5, v147
	v_fmac_f32_e32 v122, v3, v141
	v_fma_f32 v141, v2, v141, -v116
	v_add_f32_e32 v2, v6, v145
	v_add_f32_e32 v6, v7, v117
	v_fmac_f32_e32 v132, v5, v134
	v_fma_f32 v134, v4, v134, -v142
	s_waitcnt vmcnt(21)
	v_mul_f32_e32 v142, v108, v131
	v_add_f32_e32 v136, v2, v136
	v_add_f32_e32 v125, v6, v125
	ds_read_b128 v[116:119], v1 offset:720
	ds_read_b128 v[2:5], v1 offset:736
	v_fmac_f32_e32 v142, v109, v133
	v_add_f32_e32 v127, v136, v127
	v_add_f32_e32 v124, v125, v124
	v_mul_f32_e32 v125, v109, v131
	s_waitcnt vmcnt(20)
	v_mul_f32_e32 v136, v110, v129
	v_mul_f32_e32 v129, v111, v129
	v_add_f32_e32 v121, v127, v121
	v_add_f32_e32 v124, v124, v140
	v_fma_f32 v108, v108, v133, -v125
	s_waitcnt vmcnt(19) lgkmcnt(3)
	v_mul_f32_e32 v127, v104, v143
	v_mul_f32_e32 v133, v105, v143
	v_add_f32_e32 v121, v121, v126
	v_add_f32_e32 v124, v124, v141
	s_waitcnt vmcnt(8)
	v_fma_f32 v110, v110, v160, -v129
	v_fmac_f32_e32 v136, v111, v160
	v_fmac_f32_e32 v127, v105, v159
	v_add_f32_e32 v121, v121, v122
	v_add_f32_e32 v124, v124, v134
	v_fma_f32 v104, v104, v159, -v133
	v_mul_f32_e32 v131, v106, v153
	s_waitcnt lgkmcnt(2)
	v_mul_f32_e32 v140, v112, v155
	v_add_f32_e32 v121, v121, v132
	v_add_f32_e32 v108, v124, v108
	v_mul_f32_e32 v126, v114, v128
	v_fmac_f32_e32 v131, v107, v158
	v_fmac_f32_e32 v140, v113, v157
	v_add_f32_e32 v111, v121, v142
	v_mul_f32_e32 v121, v107, v153
	v_add_f32_e32 v105, v108, v110
	v_mul_f32_e32 v110, v113, v155
	v_mul_f32_e32 v107, v115, v128
	v_add_f32_e32 v108, v111, v136
	v_fma_f32 v106, v106, v158, -v121
	v_add_f32_e32 v104, v105, v104
	ds_read_b64 v[6:7], v1 offset:752
	s_waitcnt vmcnt(3)
	v_fma_f32 v107, v114, v139, -v107
	v_add_f32_e32 v105, v108, v127
	v_fma_f32 v108, v112, v157, -v110
	v_add_f32_e32 v104, v104, v106
	s_waitcnt lgkmcnt(2)
	v_mul_f32_e32 v106, v117, v130
	v_mul_f32_e32 v141, v116, v130
	v_add_f32_e32 v105, v105, v131
	v_fmac_f32_e32 v126, v115, v139
	v_add_f32_e32 v104, v104, v108
	v_mul_f32_e32 v108, v119, v135
	v_fma_f32 v106, v116, v138, -v106
	v_add_f32_e32 v105, v105, v140
	v_mul_f32_e32 v109, v118, v135
	v_add_f32_e32 v104, v104, v107
	v_fmac_f32_e32 v141, v117, v138
	s_waitcnt lgkmcnt(1)
	v_mul_f32_e32 v122, v2, v146
	v_add_f32_e32 v105, v105, v126
	v_mul_f32_e32 v107, v3, v146
	v_fma_f32 v108, v118, v137, -v108
	v_add_f32_e32 v104, v104, v106
	v_fmac_f32_e32 v109, v119, v137
	v_add_f32_e32 v105, v105, v141
	v_mul_f32_e32 v106, v5, v156
	v_fmac_f32_e32 v122, v3, v8
	v_fma_f32 v2, v2, v8, -v107
	v_add_f32_e32 v3, v104, v108
	v_mul_f32_e32 v125, v4, v156
	v_add_f32_e32 v8, v105, v109
	s_waitcnt lgkmcnt(0)
	v_mul_f32_e32 v104, v7, v161
	s_waitcnt vmcnt(1)
	v_fma_f32 v4, v4, v150, -v106
	v_add_f32_e32 v2, v3, v2
	v_mul_f32_e32 v132, v6, v161
	v_fmac_f32_e32 v125, v5, v150
	v_add_f32_e32 v3, v8, v122
	v_fma_f32 v5, v6, v123, -v104
	v_add_f32_e32 v2, v2, v4
	v_fmac_f32_e32 v132, v7, v123
	v_add_f32_e32 v3, v3, v125
	v_add_f32_e32 v2, v2, v5
	;; [unrolled: 1-line block ×3, first 2 shown]
	s_waitcnt vmcnt(0)
	v_sub_f32_e32 v2, v120, v2
	v_sub_f32_e32 v3, v154, v3
	buffer_store_dword v2, off, s[0:3], 0 offset:72
	buffer_store_dword v3, off, s[0:3], 0 offset:76
	v_cmpx_lt_u32_e32 8, v0
	s_cbranch_execz .LBB110_279
; %bb.278:
	s_clause 0x1
	buffer_load_dword v2, off, s[0:3], 0 offset:64
	buffer_load_dword v3, off, s[0:3], 0 offset:68
	buffer_store_dword v1, off, s[0:3], 0 offset:64
	buffer_store_dword v1, off, s[0:3], 0 offset:68
	s_waitcnt vmcnt(0)
	ds_write_b64 v103, v[2:3]
.LBB110_279:
	s_or_b32 exec_lo, exec_lo, s4
	s_waitcnt lgkmcnt(0)
	s_waitcnt_vscnt null, 0x0
	s_barrier
	buffer_gl0_inv
	s_clause 0x2b
	buffer_load_dword v135, off, s[0:3], 0 offset:76
	buffer_load_dword v2, off, s[0:3], 0 offset:88
	;; [unrolled: 1-line block ×44, first 2 shown]
	ds_read2_b64 v[136:139], v1 offset0:57 offset1:58
	ds_read2_b64 v[140:143], v1 offset0:59 offset1:60
	;; [unrolled: 1-line block ×3, first 2 shown]
	buffer_load_dword v154, off, s[0:3], 0 offset:68
	s_mov_b32 s4, exec_lo
	s_waitcnt vmcnt(44) lgkmcnt(2)
	v_mul_f32_e32 v153, v136, v135
	v_mul_f32_e32 v135, v137, v135
	s_waitcnt vmcnt(40)
	v_mul_f32_e32 v156, v138, v104
	v_mul_f32_e32 v104, v139, v104
	s_waitcnt vmcnt(39) lgkmcnt(1)
	v_mul_f32_e32 v158, v140, v7
	v_fmac_f32_e32 v153, v137, v105
	v_fma_f32 v155, v136, v105, -v135
	v_fmac_f32_e32 v156, v139, v5
	v_fma_f32 v157, v138, v5, -v104
	v_mul_f32_e32 v5, v141, v7
	ds_read2_b64 v[135:138], v1 offset0:63 offset1:64
	v_fmac_f32_e32 v158, v141, v2
	s_waitcnt vmcnt(38)
	v_mul_f32_e32 v160, v142, v4
	v_fma_f32 v159, v140, v2, -v5
	v_mul_f32_e32 v2, v143, v4
	s_waitcnt vmcnt(34)
	v_fmac_f32_e32 v160, v143, v109
	s_waitcnt vmcnt(33) lgkmcnt(1)
	v_mul_f32_e32 v143, v144, v108
	v_fma_f32 v109, v142, v109, -v2
	v_mul_f32_e32 v2, v145, v108
	ds_read2_b64 v[139:142], v1 offset0:65 offset1:66
	v_fmac_f32_e32 v143, v145, v106
	v_fma_f32 v108, v144, v106, -v2
	s_waitcnt vmcnt(32)
	v_mul_f32_e32 v144, v146, v107
	v_mul_f32_e32 v2, v147, v107
	ds_read2_b64 v[104:107], v1 offset0:69 offset1:70
	v_fmac_f32_e32 v144, v147, v6
	v_fma_f32 v145, v146, v6, -v2
	ds_read2_b64 v[4:7], v1 offset0:67 offset1:68
	s_waitcnt vmcnt(31) lgkmcnt(3)
	v_mul_f32_e32 v2, v136, v8
	v_mul_f32_e32 v146, v135, v8
	s_waitcnt vmcnt(30)
	v_mul_f32_e32 v147, v137, v110
	v_fma_f32 v8, v135, v3, -v2
	v_mul_f32_e32 v2, v138, v110
	s_waitcnt vmcnt(26)
	v_fmac_f32_e32 v147, v138, v118
	v_fmac_f32_e32 v146, v136, v3
	s_waitcnt vmcnt(24) lgkmcnt(2)
	v_mul_f32_e32 v3, v142, v116
	v_fma_f32 v110, v137, v118, -v2
	v_mul_f32_e32 v118, v139, v117
	v_mul_f32_e32 v2, v140, v117
	v_mul_f32_e32 v117, v141, v116
	ds_read2_b64 v[135:138], v1 offset0:71 offset1:72
	v_fmac_f32_e32 v118, v140, v114
	v_fma_f32 v114, v139, v114, -v2
	s_waitcnt vmcnt(23) lgkmcnt(1)
	v_mul_f32_e32 v116, v4, v113
	v_mul_f32_e32 v2, v5, v113
	s_waitcnt vmcnt(22)
	v_mul_f32_e32 v113, v6, v115
	v_fmac_f32_e32 v117, v142, v112
	v_fma_f32 v112, v141, v112, -v3
	v_fmac_f32_e32 v116, v5, v111
	v_fma_f32 v111, v4, v111, -v2
	v_mul_f32_e32 v2, v7, v115
	s_waitcnt vmcnt(18)
	v_fmac_f32_e32 v113, v7, v128
	s_clause 0x1
	buffer_load_dword v7, off, s[0:3], 0 offset:244
	buffer_load_dword v115, off, s[0:3], 0 offset:252
	s_waitcnt vmcnt(18)
	v_mul_f32_e32 v3, v107, v125
	v_fma_f32 v6, v6, v128, -v2
	v_mul_f32_e32 v128, v104, v126
	v_mul_f32_e32 v2, v105, v126
	;; [unrolled: 1-line block ×3, first 2 shown]
	s_waitcnt vmcnt(17) lgkmcnt(0)
	v_mul_f32_e32 v125, v135, v124
	v_mul_f32_e32 v124, v136, v124
	v_fmac_f32_e32 v128, v105, v122
	v_fma_f32 v122, v104, v122, -v2
	s_waitcnt vmcnt(16)
	v_mul_f32_e32 v139, v137, v129
	v_mul_f32_e32 v104, v138, v129
	v_fmac_f32_e32 v126, v107, v121
	v_fma_f32 v121, v106, v121, -v3
	ds_read2_b64 v[2:5], v1 offset0:73 offset1:74
	v_fmac_f32_e32 v125, v136, v119
	v_fma_f32 v119, v135, v119, -v124
	s_waitcnt vmcnt(12)
	v_fmac_f32_e32 v139, v138, v134
	v_fma_f32 v124, v137, v134, -v104
	s_clause 0x7
	buffer_load_dword v129, off, s[0:3], 0 offset:260
	buffer_load_dword v134, off, s[0:3], 0 offset:280
	;; [unrolled: 1-line block ×8, first 2 shown]
	v_add_f32_e32 v104, 0, v153
	v_add_f32_e32 v105, 0, v155
	;; [unrolled: 1-line block ×6, first 2 shown]
	s_waitcnt vmcnt(19) lgkmcnt(0)
	v_mul_f32_e32 v153, v2, v133
	v_mul_f32_e32 v133, v3, v133
	v_add_f32_e32 v142, v104, v160
	v_add_f32_e32 v109, v105, v109
	ds_read2_b64 v[104:107], v1 offset0:75 offset1:76
	v_fmac_f32_e32 v153, v3, v131
	v_fma_f32 v131, v2, v131, -v133
	v_add_f32_e32 v142, v142, v143
	v_add_f32_e32 v108, v109, v108
	s_waitcnt vmcnt(18)
	v_mul_f32_e32 v143, v4, v132
	v_mul_f32_e32 v109, v5, v132
	v_add_f32_e32 v3, v142, v144
	v_add_f32_e32 v108, v108, v145
	v_fmac_f32_e32 v143, v5, v130
	v_fma_f32 v130, v4, v130, -v109
	v_add_f32_e32 v2, v3, v146
	v_add_f32_e32 v3, v108, v8
	s_clause 0x7
	buffer_load_dword v8, off, s[0:3], 0 offset:292
	buffer_load_dword v132, off, s[0:3], 0 offset:300
	;; [unrolled: 1-line block ×8, first 2 shown]
	v_add_f32_e32 v2, v2, v147
	v_add_f32_e32 v3, v3, v110
	s_waitcnt vmcnt(25) lgkmcnt(0)
	v_mul_f32_e32 v156, v104, v127
	v_mul_f32_e32 v4, v105, v127
	s_clause 0x3
	buffer_load_dword v127, off, s[0:3], 0 offset:324
	buffer_load_dword v147, off, s[0:3], 0 offset:332
	;; [unrolled: 1-line block ×4, first 2 shown]
	v_add_f32_e32 v2, v2, v118
	s_clause 0x1
	buffer_load_dword v159, off, s[0:3], 0 offset:356
	buffer_load_dword v160, off, s[0:3], 0 offset:364
	v_fmac_f32_e32 v156, v105, v120
	v_fma_f32 v120, v104, v120, -v4
	v_add_f32_e32 v104, v3, v114
	s_waitcnt vmcnt(30)
	v_mul_f32_e32 v3, v107, v123
	v_mul_f32_e32 v118, v106, v123
	v_add_f32_e32 v105, v2, v117
	buffer_load_dword v161, off, s[0:3], 0 offset:372
	v_add_f32_e32 v104, v104, v112
	s_waitcnt vmcnt(27)
	v_fma_f32 v117, v106, v151, -v3
	ds_read2_b64 v[2:5], v1 offset0:77 offset1:78
	v_fmac_f32_e32 v118, v107, v151
	v_add_f32_e32 v105, v105, v116
	s_clause 0x3
	buffer_load_dword v151, off, s[0:3], 0 offset:344
	buffer_load_dword v162, off, s[0:3], 0 offset:336
	;; [unrolled: 1-line block ×4, first 2 shown]
	v_add_f32_e32 v104, v104, v111
	v_add_f32_e32 v105, v105, v113
	;; [unrolled: 1-line block ×4, first 2 shown]
	ds_read2_b64 v[104:107], v1 offset0:79 offset1:80
	v_add_f32_e32 v6, v6, v122
	v_add_f32_e32 v108, v108, v126
	s_waitcnt vmcnt(30) lgkmcnt(1)
	v_mul_f32_e32 v116, v2, v152
	v_mul_f32_e32 v109, v3, v152
	v_fmac_f32_e32 v116, v3, v150
	v_fma_f32 v122, v2, v150, -v109
	v_add_f32_e32 v2, v6, v121
	v_add_f32_e32 v3, v108, v125
	s_clause 0x3
	buffer_load_dword v6, off, s[0:3], 0 offset:368
	buffer_load_dword v125, off, s[0:3], 0 offset:360
	buffer_load_dword v126, off, s[0:3], 0 offset:352
	buffer_load_dword v128, off, s[0:3], 0 offset:64
	v_add_f32_e32 v2, v2, v119
	v_add_f32_e32 v3, v3, v139
	;; [unrolled: 1-line block ×6, first 2 shown]
	ds_read2_b64 v[108:111], v1 offset0:83 offset1:84
	v_add_f32_e32 v113, v113, v130
	v_add_f32_e32 v123, v112, v156
	;; [unrolled: 1-line block ×6, first 2 shown]
	s_waitcnt vmcnt(32)
	v_mul_f32_e32 v119, v4, v7
	v_mul_f32_e32 v7, v5, v7
	s_waitcnt vmcnt(31) lgkmcnt(1)
	v_mul_f32_e32 v121, v104, v115
	v_mul_f32_e32 v114, v105, v115
	v_fmac_f32_e32 v119, v5, v149
	v_fma_f32 v7, v4, v149, -v7
	ds_read2_b64 v[2:5], v1 offset0:81 offset1:82
	v_fmac_f32_e32 v121, v105, v148
	s_waitcnt vmcnt(30)
	v_mul_f32_e32 v124, v106, v129
	v_mul_f32_e32 v115, v107, v129
	v_fma_f32 v129, v104, v148, -v114
	s_waitcnt vmcnt(26)
	v_fmac_f32_e32 v124, v107, v137
	v_fma_f32 v130, v106, v137, -v115
	ds_read2_b64 v[104:107], v1 offset0:85 offset1:86
	ds_read2_b64 v[112:115], v1 offset0:87 offset1:88
	s_waitcnt vmcnt(23) lgkmcnt(3)
	v_mul_f32_e32 v139, v109, v141
	s_waitcnt lgkmcnt(2)
	v_mul_f32_e32 v131, v2, v138
	v_mul_f32_e32 v120, v3, v138
	;; [unrolled: 1-line block ×5, first 2 shown]
	v_fmac_f32_e32 v131, v3, v136
	v_fma_f32 v136, v2, v136, -v120
	v_add_f32_e32 v120, v117, v122
	v_add_f32_e32 v122, v116, v119
	v_fmac_f32_e32 v137, v5, v135
	v_fma_f32 v135, v4, v135, -v123
	ds_read2_b64 v[2:5], v1 offset0:89 offset1:90
	ds_read2_b64 v[116:119], v1 offset0:91 offset1:92
	v_add_f32_e32 v7, v120, v7
	v_fmac_f32_e32 v138, v109, v134
	v_add_f32_e32 v109, v122, v121
	ds_read2_b64 v[120:123], v1 offset0:93 offset1:94
	v_fma_f32 v108, v108, v134, -v139
	v_add_f32_e32 v1, v7, v129
	v_add_f32_e32 v109, v109, v124
	s_waitcnt vmcnt(22)
	v_mul_f32_e32 v7, v110, v8
	v_add_f32_e32 v1, v1, v130
	v_mul_f32_e32 v8, v111, v8
	v_add_f32_e32 v109, v109, v131
	s_waitcnt vmcnt(21) lgkmcnt(4)
	v_mul_f32_e32 v130, v105, v132
	v_mul_f32_e32 v124, v104, v132
	v_add_f32_e32 v1, v1, v136
	s_waitcnt vmcnt(15)
	v_fma_f32 v8, v110, v155, -v8
	v_add_f32_e32 v109, v109, v137
	v_fmac_f32_e32 v7, v111, v155
	v_mul_f32_e32 v129, v106, v133
	v_add_f32_e32 v1, v1, v135
	v_mul_f32_e32 v133, v107, v133
	v_fma_f32 v104, v104, v146, -v130
	v_fmac_f32_e32 v124, v105, v146
	s_waitcnt lgkmcnt(3)
	v_mul_f32_e32 v110, v112, v142
	v_add_f32_e32 v1, v1, v108
	v_add_f32_e32 v108, v109, v138
	v_fma_f32 v105, v106, v145, -v133
	v_fmac_f32_e32 v129, v107, v145
	s_waitcnt vmcnt(14)
	v_mul_f32_e32 v111, v114, v127
	v_add_f32_e32 v1, v1, v8
	v_add_f32_e32 v7, v108, v7
	v_mul_f32_e32 v8, v113, v142
	v_fmac_f32_e32 v110, v113, v144
	s_waitcnt vmcnt(13) lgkmcnt(2)
	v_mul_f32_e32 v131, v2, v147
	v_add_f32_e32 v1, v1, v104
	v_add_f32_e32 v7, v7, v124
	v_mul_f32_e32 v104, v115, v127
	v_fma_f32 v8, v112, v144, -v8
	s_waitcnt vmcnt(4)
	v_fmac_f32_e32 v111, v115, v164
	v_add_f32_e32 v1, v1, v105
	v_add_f32_e32 v7, v7, v129
	v_mul_f32_e32 v105, v3, v147
	v_fma_f32 v104, v114, v164, -v104
	v_mul_f32_e32 v132, v4, v157
	v_add_f32_e32 v1, v1, v8
	v_add_f32_e32 v7, v7, v110
	v_mul_f32_e32 v8, v5, v157
	v_fma_f32 v2, v2, v163, -v105
	v_fmac_f32_e32 v131, v3, v163
	v_add_f32_e32 v1, v1, v104
	v_add_f32_e32 v3, v7, v111
	s_waitcnt lgkmcnt(1)
	v_mul_f32_e32 v7, v117, v158
	v_fma_f32 v4, v4, v162, -v8
	v_mul_f32_e32 v134, v116, v158
	v_add_f32_e32 v1, v1, v2
	v_fmac_f32_e32 v132, v5, v162
	v_add_f32_e32 v2, v3, v131
	v_mul_f32_e32 v3, v119, v159
	v_fma_f32 v5, v116, v151, -v7
	v_add_f32_e32 v1, v1, v4
	v_mul_f32_e32 v135, v118, v159
	v_fmac_f32_e32 v134, v117, v151
	v_add_f32_e32 v2, v2, v132
	s_waitcnt lgkmcnt(0)
	v_mul_f32_e32 v4, v121, v160
	s_waitcnt vmcnt(1)
	v_fma_f32 v3, v118, v126, -v3
	v_add_f32_e32 v1, v1, v5
	v_mul_f32_e32 v136, v120, v160
	v_fmac_f32_e32 v135, v119, v126
	v_add_f32_e32 v2, v2, v134
	v_mul_f32_e32 v5, v123, v161
	v_fma_f32 v4, v120, v125, -v4
	v_add_f32_e32 v1, v1, v3
	v_mul_f32_e32 v109, v122, v161
	v_fmac_f32_e32 v136, v121, v125
	v_add_f32_e32 v2, v2, v135
	v_fma_f32 v3, v122, v6, -v5
	v_add_f32_e32 v1, v1, v4
	v_fmac_f32_e32 v109, v123, v6
	v_add_f32_e32 v2, v2, v136
	v_add_f32_e32 v1, v1, v3
	;; [unrolled: 1-line block ×3, first 2 shown]
	s_waitcnt vmcnt(0)
	v_sub_f32_e32 v1, v128, v1
	v_sub_f32_e32 v2, v154, v2
	buffer_store_dword v1, off, s[0:3], 0 offset:64
	buffer_store_dword v2, off, s[0:3], 0 offset:68
	v_cmpx_lt_u32_e32 7, v0
	s_cbranch_execz .LBB110_281
; %bb.280:
	s_clause 0x1
	buffer_load_dword v1, off, s[0:3], 0 offset:56
	buffer_load_dword v2, off, s[0:3], 0 offset:60
	v_mov_b32_e32 v3, 0
	buffer_store_dword v3, off, s[0:3], 0 offset:56
	buffer_store_dword v3, off, s[0:3], 0 offset:60
	s_waitcnt vmcnt(0)
	ds_write_b64 v103, v[1:2]
.LBB110_281:
	s_or_b32 exec_lo, exec_lo, s4
	s_waitcnt lgkmcnt(0)
	s_waitcnt_vscnt null, 0x0
	s_barrier
	buffer_gl0_inv
	s_clause 0x2c
	buffer_load_dword v6, off, s[0:3], 0 offset:68
	buffer_load_dword v7, off, s[0:3], 0 offset:76
	;; [unrolled: 1-line block ×45, first 2 shown]
	v_mov_b32_e32 v1, 0
	ds_read_b128 v[2:5], v1 offset:448
	ds_read_b128 v[104:107], v1 offset:464
	s_clause 0x2
	buffer_load_dword v152, off, s[0:3], 0 offset:60
	buffer_load_dword v153, off, s[0:3], 0 offset:244
	;; [unrolled: 1-line block ×3, first 2 shown]
	s_mov_b32 s4, exec_lo
	s_waitcnt vmcnt(47) lgkmcnt(1)
	v_mul_f32_e32 v150, v3, v6
	v_mul_f32_e32 v6, v2, v6
	s_waitcnt vmcnt(46)
	v_mul_f32_e32 v151, v4, v7
	v_mul_f32_e32 v7, v5, v7
	s_waitcnt vmcnt(43)
	v_fma_f32 v150, v2, v109, -v150
	v_fmac_f32_e32 v6, v3, v109
	v_fmac_f32_e32 v151, v5, v108
	v_fma_f32 v7, v4, v108, -v7
	ds_read_b128 v[2:5], v1 offset:480
	s_waitcnt vmcnt(42) lgkmcnt(1)
	v_mul_f32_e32 v108, v104, v110
	v_mul_f32_e32 v109, v105, v110
	s_waitcnt vmcnt(41)
	v_mul_f32_e32 v110, v106, v111
	v_mul_f32_e32 v111, v107, v111
	v_fmac_f32_e32 v108, v105, v8
	v_fma_f32 v8, v104, v8, -v109
	s_waitcnt vmcnt(37)
	v_fmac_f32_e32 v110, v107, v115
	v_fma_f32 v109, v106, v115, -v111
	ds_read_b128 v[104:107], v1 offset:496
	s_waitcnt vmcnt(36) lgkmcnt(1)
	v_mul_f32_e32 v111, v2, v116
	v_mul_f32_e32 v115, v3, v116
	s_waitcnt vmcnt(35)
	v_mul_f32_e32 v116, v4, v117
	v_mul_f32_e32 v117, v5, v117
	v_fmac_f32_e32 v111, v3, v114
	v_fma_f32 v114, v2, v114, -v115
	v_fmac_f32_e32 v116, v5, v113
	v_fma_f32 v113, v4, v113, -v117
	ds_read_b128 v[2:5], v1 offset:512
	s_waitcnt vmcnt(34) lgkmcnt(1)
	v_mul_f32_e32 v115, v104, v118
	v_mul_f32_e32 v117, v105, v118
	s_waitcnt vmcnt(33)
	v_mul_f32_e32 v118, v106, v119
	v_mul_f32_e32 v119, v107, v119
	v_fmac_f32_e32 v115, v105, v112
	v_fma_f32 v112, v104, v112, -v117
	s_waitcnt vmcnt(29)
	v_fmac_f32_e32 v118, v107, v123
	v_fma_f32 v117, v106, v123, -v119
	ds_read_b128 v[104:107], v1 offset:528
	s_waitcnt vmcnt(28) lgkmcnt(1)
	v_mul_f32_e32 v119, v2, v124
	v_mul_f32_e32 v123, v3, v124
	s_waitcnt vmcnt(27)
	v_mul_f32_e32 v124, v4, v125
	v_mul_f32_e32 v125, v5, v125
	v_fmac_f32_e32 v119, v3, v122
	v_fma_f32 v122, v2, v122, -v123
	v_fmac_f32_e32 v124, v5, v121
	v_fma_f32 v121, v4, v121, -v125
	ds_read_b128 v[2:5], v1 offset:544
	s_waitcnt vmcnt(26) lgkmcnt(1)
	v_mul_f32_e32 v123, v104, v126
	v_mul_f32_e32 v125, v105, v126
	s_waitcnt vmcnt(25)
	v_mul_f32_e32 v126, v106, v127
	v_mul_f32_e32 v127, v107, v127
	v_fmac_f32_e32 v123, v105, v120
	v_fma_f32 v120, v104, v120, -v125
	s_waitcnt vmcnt(21)
	v_fmac_f32_e32 v126, v107, v131
	v_fma_f32 v125, v106, v131, -v127
	ds_read_b128 v[104:107], v1 offset:560
	s_waitcnt vmcnt(20) lgkmcnt(1)
	v_mul_f32_e32 v127, v2, v132
	v_mul_f32_e32 v131, v3, v132
	s_waitcnt vmcnt(19)
	v_mul_f32_e32 v132, v4, v133
	v_mul_f32_e32 v133, v5, v133
	v_fmac_f32_e32 v127, v3, v130
	v_fma_f32 v130, v2, v130, -v131
	v_fmac_f32_e32 v132, v5, v129
	v_fma_f32 v129, v4, v129, -v133
	ds_read_b128 v[2:5], v1 offset:576
	s_waitcnt vmcnt(18) lgkmcnt(1)
	v_mul_f32_e32 v131, v104, v134
	v_mul_f32_e32 v133, v105, v134
	s_waitcnt vmcnt(17)
	v_mul_f32_e32 v134, v106, v135
	v_mul_f32_e32 v135, v107, v135
	v_fmac_f32_e32 v131, v105, v128
	v_fma_f32 v128, v104, v128, -v133
	s_waitcnt vmcnt(13)
	v_fmac_f32_e32 v134, v107, v139
	v_fma_f32 v133, v106, v139, -v135
	ds_read_b128 v[104:107], v1 offset:592
	s_waitcnt vmcnt(12) lgkmcnt(1)
	v_mul_f32_e32 v135, v2, v140
	v_mul_f32_e32 v139, v3, v140
	s_waitcnt vmcnt(11)
	v_mul_f32_e32 v140, v4, v141
	v_mul_f32_e32 v141, v5, v141
	v_fmac_f32_e32 v135, v3, v138
	v_fma_f32 v138, v2, v138, -v139
	v_fmac_f32_e32 v140, v5, v137
	v_fma_f32 v137, v4, v137, -v141
	ds_read_b128 v[2:5], v1 offset:608
	s_waitcnt vmcnt(10) lgkmcnt(1)
	v_mul_f32_e32 v139, v104, v142
	v_mul_f32_e32 v141, v105, v142
	s_waitcnt vmcnt(9)
	v_mul_f32_e32 v142, v106, v143
	v_mul_f32_e32 v143, v107, v143
	v_fmac_f32_e32 v139, v105, v136
	v_fma_f32 v136, v104, v136, -v141
	s_waitcnt vmcnt(5)
	v_fmac_f32_e32 v142, v107, v147
	v_fma_f32 v141, v106, v147, -v143
	ds_read_b128 v[104:107], v1 offset:624
	s_waitcnt vmcnt(4) lgkmcnt(1)
	v_mul_f32_e32 v143, v2, v148
	v_mul_f32_e32 v147, v3, v148
	s_waitcnt vmcnt(3)
	v_mul_f32_e32 v148, v4, v149
	v_mul_f32_e32 v149, v5, v149
	v_fmac_f32_e32 v143, v3, v146
	v_fma_f32 v146, v2, v146, -v147
	v_fmac_f32_e32 v148, v5, v145
	v_fma_f32 v145, v4, v145, -v149
	s_clause 0x3
	buffer_load_dword v147, off, s[0:3], 0 offset:272
	buffer_load_dword v149, off, s[0:3], 0 offset:264
	;; [unrolled: 1-line block ×4, first 2 shown]
	s_waitcnt vmcnt(5) lgkmcnt(0)
	v_mul_f32_e32 v156, v104, v153
	v_mul_f32_e32 v3, v105, v153
	s_waitcnt vmcnt(4)
	v_mul_f32_e32 v153, v106, v154
	v_mul_f32_e32 v4, v107, v154
	s_clause 0x1
	buffer_load_dword v154, off, s[0:3], 0 offset:260
	buffer_load_dword v158, off, s[0:3], 0 offset:268
	v_fmac_f32_e32 v156, v105, v144
	v_fma_f32 v144, v104, v144, -v3
	v_add_f32_e32 v3, 0, v6
	buffer_load_dword v6, off, s[0:3], 0 offset:284
	v_add_f32_e32 v3, v3, v151
	v_add_f32_e32 v3, v3, v108
	;; [unrolled: 1-line block ×17, first 2 shown]
	s_waitcnt vmcnt(3)
	v_fmac_f32_e32 v153, v107, v2
	v_fma_f32 v157, v106, v2, -v4
	v_add_f32_e32 v2, 0, v150
	buffer_load_dword v150, off, s[0:3], 0 offset:276
	v_add_f32_e32 v2, v2, v7
	v_add_f32_e32 v2, v2, v8
	s_clause 0xa
	buffer_load_dword v8, off, s[0:3], 0 offset:304
	buffer_load_dword v151, off, s[0:3], 0 offset:296
	;; [unrolled: 1-line block ×11, first 2 shown]
	v_add_f32_e32 v2, v2, v109
	s_clause 0x3
	buffer_load_dword v167, off, s[0:3], 0 offset:348
	buffer_load_dword v168, off, s[0:3], 0 offset:356
	;; [unrolled: 1-line block ×4, first 2 shown]
	v_add_f32_e32 v2, v2, v114
	v_add_f32_e32 v2, v2, v113
	;; [unrolled: 1-line block ×9, first 2 shown]
	s_clause 0x3
	buffer_load_dword v121, off, s[0:3], 0 offset:336
	buffer_load_dword v122, off, s[0:3], 0 offset:328
	;; [unrolled: 1-line block ×4, first 2 shown]
	v_add_f32_e32 v2, v2, v120
	v_add_f32_e32 v2, v2, v125
	s_clause 0x4
	buffer_load_dword v120, off, s[0:3], 0 offset:368
	buffer_load_dword v123, off, s[0:3], 0 offset:360
	;; [unrolled: 1-line block ×5, first 2 shown]
	v_add_f32_e32 v2, v2, v130
	v_add_f32_e32 v104, v2, v129
	ds_read_b128 v[2:5], v1 offset:640
	v_add_f32_e32 v104, v104, v128
	v_add_f32_e32 v104, v104, v133
	v_add_f32_e32 v109, v104, v138
	ds_read_b128 v[104:107], v1 offset:656
	v_add_f32_e32 v109, v109, v137
	s_waitcnt vmcnt(27) lgkmcnt(1)
	v_mul_f32_e32 v127, v2, v154
	v_mul_f32_e32 v110, v3, v154
	s_waitcnt vmcnt(26)
	v_mul_f32_e32 v128, v4, v158
	v_mul_f32_e32 v111, v5, v158
	v_fmac_f32_e32 v127, v3, v155
	v_add_f32_e32 v3, v109, v136
	v_fma_f32 v129, v2, v155, -v110
	v_fmac_f32_e32 v128, v5, v149
	v_fma_f32 v130, v4, v149, -v111
	v_add_f32_e32 v116, v3, v141
	ds_read_b128 v[2:5], v1 offset:672
	ds_read_b128 v[108:111], v1 offset:688
	;; [unrolled: 1-line block ×3, first 2 shown]
	s_waitcnt vmcnt(25) lgkmcnt(3)
	v_mul_f32_e32 v132, v106, v6
	v_add_f32_e32 v116, v116, v146
	v_mul_f32_e32 v6, v107, v6
	v_add_f32_e32 v116, v116, v145
	s_waitcnt vmcnt(24)
	v_mul_f32_e32 v118, v105, v150
	v_mul_f32_e32 v131, v104, v150
	v_fma_f32 v133, v104, v147, -v118
	v_add_f32_e32 v104, v117, v148
	v_fmac_f32_e32 v131, v105, v147
	v_add_f32_e32 v105, v116, v144
	ds_read_b128 v[116:119], v1 offset:720
	s_waitcnt vmcnt(20)
	v_fma_f32 v134, v106, v7, -v6
	v_add_f32_e32 v135, v104, v156
	v_fmac_f32_e32 v132, v107, v7
	v_add_f32_e32 v136, v105, v157
	s_waitcnt vmcnt(19) lgkmcnt(3)
	v_mul_f32_e32 v137, v2, v160
	s_waitcnt vmcnt(18)
	v_mul_f32_e32 v139, v5, v161
	v_add_f32_e32 v135, v135, v153
	v_mul_f32_e32 v138, v4, v161
	v_add_f32_e32 v129, v136, v129
	v_mul_f32_e32 v136, v3, v160
	v_fmac_f32_e32 v137, v3, v159
	v_add_f32_e32 v127, v135, v127
	s_waitcnt vmcnt(17) lgkmcnt(2)
	v_mul_f32_e32 v135, v108, v162
	v_add_f32_e32 v129, v129, v130
	v_fma_f32 v2, v2, v159, -v136
	v_mul_f32_e32 v136, v109, v162
	v_add_f32_e32 v127, v127, v128
	v_fma_f32 v4, v4, v151, -v139
	v_add_f32_e32 v129, v129, v133
	v_fmac_f32_e32 v138, v5, v151
	v_fmac_f32_e32 v135, v109, v8
	v_add_f32_e32 v127, v127, v131
	v_fma_f32 v8, v108, v8, -v136
	v_add_f32_e32 v129, v129, v134
	s_waitcnt vmcnt(16)
	v_mul_f32_e32 v130, v110, v163
	ds_read_b128 v[104:107], v1 offset:736
	ds_read_b64 v[6:7], v1 offset:752
	v_add_f32_e32 v127, v127, v132
	s_waitcnt vmcnt(15) lgkmcnt(3)
	v_mul_f32_e32 v140, v112, v164
	v_add_f32_e32 v2, v129, v2
	s_waitcnt vmcnt(14)
	v_mul_f32_e32 v128, v114, v165
	s_waitcnt vmcnt(13) lgkmcnt(2)
	v_mul_f32_e32 v133, v116, v166
	v_add_f32_e32 v5, v127, v137
	v_mul_f32_e32 v127, v111, v163
	v_add_f32_e32 v2, v2, v4
	s_waitcnt vmcnt(6)
	v_fmac_f32_e32 v140, v113, v171
	s_waitcnt vmcnt(5)
	v_fmac_f32_e32 v130, v111, v172
	v_add_f32_e32 v4, v5, v138
	v_mul_f32_e32 v5, v113, v164
	v_fma_f32 v108, v110, v172, -v127
	v_add_f32_e32 v2, v2, v8
	v_mul_f32_e32 v8, v115, v165
	v_add_f32_e32 v4, v4, v135
	v_fma_f32 v5, v112, v171, -v5
	v_fmac_f32_e32 v128, v115, v122
	v_add_f32_e32 v2, v2, v108
	v_mul_f32_e32 v108, v117, v166
	v_add_f32_e32 v4, v4, v130
	v_fma_f32 v8, v114, v122, -v8
	v_mul_f32_e32 v3, v118, v167
	v_add_f32_e32 v2, v2, v5
	v_mul_f32_e32 v5, v119, v167
	v_add_f32_e32 v4, v4, v140
	v_fma_f32 v108, v116, v121, -v108
	v_fmac_f32_e32 v133, v117, v121
	v_add_f32_e32 v2, v2, v8
	s_waitcnt lgkmcnt(1)
	v_mul_f32_e32 v8, v105, v168
	v_add_f32_e32 v4, v4, v128
	s_waitcnt vmcnt(1)
	v_fma_f32 v5, v118, v125, -v5
	v_mul_f32_e32 v131, v104, v168
	v_add_f32_e32 v2, v2, v108
	v_fmac_f32_e32 v3, v119, v125
	v_add_f32_e32 v4, v4, v133
	v_mul_f32_e32 v108, v107, v169
	v_fma_f32 v8, v104, v124, -v8
	v_add_f32_e32 v2, v2, v5
	v_mul_f32_e32 v134, v106, v169
	v_fmac_f32_e32 v131, v105, v124
	v_add_f32_e32 v3, v4, v3
	s_waitcnt lgkmcnt(0)
	v_mul_f32_e32 v4, v7, v170
	v_fma_f32 v5, v106, v123, -v108
	v_add_f32_e32 v2, v2, v8
	v_mul_f32_e32 v132, v6, v170
	v_fmac_f32_e32 v134, v107, v123
	v_add_f32_e32 v3, v3, v131
	v_fma_f32 v4, v6, v120, -v4
	v_add_f32_e32 v2, v2, v5
	v_fmac_f32_e32 v132, v7, v120
	v_add_f32_e32 v3, v3, v134
	v_add_f32_e32 v2, v2, v4
	;; [unrolled: 1-line block ×3, first 2 shown]
	s_waitcnt vmcnt(0)
	v_sub_f32_e32 v2, v126, v2
	v_sub_f32_e32 v3, v152, v3
	buffer_store_dword v2, off, s[0:3], 0 offset:56
	buffer_store_dword v3, off, s[0:3], 0 offset:60
	v_cmpx_lt_u32_e32 6, v0
	s_cbranch_execz .LBB110_283
; %bb.282:
	s_clause 0x1
	buffer_load_dword v2, off, s[0:3], 0 offset:48
	buffer_load_dword v3, off, s[0:3], 0 offset:52
	buffer_store_dword v1, off, s[0:3], 0 offset:48
	buffer_store_dword v1, off, s[0:3], 0 offset:52
	s_waitcnt vmcnt(0)
	ds_write_b64 v103, v[2:3]
.LBB110_283:
	s_or_b32 exec_lo, exec_lo, s4
	s_waitcnt lgkmcnt(0)
	s_waitcnt_vscnt null, 0x0
	s_barrier
	buffer_gl0_inv
	s_clause 0x2c
	buffer_load_dword v6, off, s[0:3], 0 offset:60
	buffer_load_dword v7, off, s[0:3], 0 offset:68
	;; [unrolled: 1-line block ×45, first 2 shown]
	ds_read2_b64 v[2:5], v1 offset0:55 offset1:56
	ds_read2_b64 v[104:107], v1 offset0:57 offset1:58
	s_clause 0x2
	buffer_load_dword v152, off, s[0:3], 0 offset:52
	buffer_load_dword v153, off, s[0:3], 0 offset:236
	;; [unrolled: 1-line block ×3, first 2 shown]
	s_mov_b32 s4, exec_lo
	s_waitcnt vmcnt(47) lgkmcnt(1)
	v_mul_f32_e32 v150, v3, v6
	v_mul_f32_e32 v6, v2, v6
	s_waitcnt vmcnt(46)
	v_mul_f32_e32 v151, v4, v7
	v_mul_f32_e32 v7, v5, v7
	s_waitcnt vmcnt(43)
	v_fma_f32 v150, v2, v109, -v150
	v_fmac_f32_e32 v6, v3, v109
	v_fmac_f32_e32 v151, v5, v108
	v_fma_f32 v7, v4, v108, -v7
	ds_read2_b64 v[2:5], v1 offset0:59 offset1:60
	s_waitcnt vmcnt(42) lgkmcnt(1)
	v_mul_f32_e32 v108, v104, v110
	v_mul_f32_e32 v109, v105, v110
	s_waitcnt vmcnt(41)
	v_mul_f32_e32 v110, v106, v111
	v_mul_f32_e32 v111, v107, v111
	v_fmac_f32_e32 v108, v105, v8
	v_fma_f32 v8, v104, v8, -v109
	s_waitcnt vmcnt(37)
	v_fmac_f32_e32 v110, v107, v115
	v_fma_f32 v109, v106, v115, -v111
	ds_read2_b64 v[104:107], v1 offset0:61 offset1:62
	s_waitcnt vmcnt(36) lgkmcnt(1)
	v_mul_f32_e32 v111, v2, v116
	v_mul_f32_e32 v115, v3, v116
	s_waitcnt vmcnt(35)
	v_mul_f32_e32 v116, v4, v117
	v_mul_f32_e32 v117, v5, v117
	v_fmac_f32_e32 v111, v3, v114
	v_fma_f32 v114, v2, v114, -v115
	v_fmac_f32_e32 v116, v5, v113
	v_fma_f32 v113, v4, v113, -v117
	ds_read2_b64 v[2:5], v1 offset0:63 offset1:64
	s_waitcnt vmcnt(34) lgkmcnt(1)
	v_mul_f32_e32 v115, v104, v118
	v_mul_f32_e32 v117, v105, v118
	s_waitcnt vmcnt(33)
	v_mul_f32_e32 v118, v106, v119
	v_mul_f32_e32 v119, v107, v119
	v_fmac_f32_e32 v115, v105, v112
	v_fma_f32 v112, v104, v112, -v117
	s_waitcnt vmcnt(29)
	v_fmac_f32_e32 v118, v107, v123
	v_fma_f32 v117, v106, v123, -v119
	ds_read2_b64 v[104:107], v1 offset0:65 offset1:66
	s_waitcnt vmcnt(28) lgkmcnt(1)
	v_mul_f32_e32 v119, v2, v124
	v_mul_f32_e32 v123, v3, v124
	s_waitcnt vmcnt(27)
	v_mul_f32_e32 v124, v4, v125
	v_mul_f32_e32 v125, v5, v125
	v_fmac_f32_e32 v119, v3, v122
	v_fma_f32 v122, v2, v122, -v123
	;; [unrolled: 23-line block ×5, first 2 shown]
	v_fmac_f32_e32 v148, v5, v145
	v_fma_f32 v145, v4, v145, -v149
	s_clause 0x5
	buffer_load_dword v147, off, s[0:3], 0 offset:264
	buffer_load_dword v149, off, s[0:3], 0 offset:256
	;; [unrolled: 1-line block ×6, first 2 shown]
	v_add_f32_e32 v4, 0, v6
	buffer_load_dword v6, off, s[0:3], 0 offset:268
	v_add_f32_e32 v3, 0, v150
	s_waitcnt vmcnt(8) lgkmcnt(0)
	v_mul_f32_e32 v5, v105, v153
	s_waitcnt vmcnt(7)
	v_mul_f32_e32 v160, v106, v154
	v_add_f32_e32 v4, v4, v151
	v_add_f32_e32 v3, v3, v7
	v_mul_f32_e32 v7, v104, v153
	v_add_f32_e32 v4, v4, v108
	v_add_f32_e32 v3, v3, v8
	s_clause 0x7
	buffer_load_dword v8, off, s[0:3], 0 offset:276
	buffer_load_dword v150, off, s[0:3], 0 offset:296
	;; [unrolled: 1-line block ×8, first 2 shown]
	v_add_f32_e32 v3, v3, v109
	v_add_f32_e32 v4, v4, v110
	v_fmac_f32_e32 v7, v105, v144
	v_fma_f32 v144, v104, v144, -v5
	v_mul_f32_e32 v5, v107, v154
	v_add_f32_e32 v3, v3, v114
	v_add_f32_e32 v4, v4, v111
	s_clause 0x7
	buffer_load_dword v154, off, s[0:3], 0 offset:292
	buffer_load_dword v163, off, s[0:3], 0 offset:316
	;; [unrolled: 1-line block ×8, first 2 shown]
	v_add_f32_e32 v3, v3, v113
	v_add_f32_e32 v4, v4, v116
	buffer_load_dword v170, off, s[0:3], 0 offset:372
	s_waitcnt vmcnt(20)
	v_fmac_f32_e32 v160, v107, v2
	v_fma_f32 v116, v106, v2, -v5
	v_add_f32_e32 v2, v3, v112
	v_add_f32_e32 v3, v4, v115
	;; [unrolled: 1-line block ×8, first 2 shown]
	s_clause 0x3
	buffer_load_dword v124, off, s[0:3], 0 offset:328
	buffer_load_dword v171, off, s[0:3], 0 offset:320
	;; [unrolled: 1-line block ×4, first 2 shown]
	v_add_f32_e32 v2, v2, v120
	v_add_f32_e32 v3, v3, v123
	v_add_f32_e32 v2, v2, v125
	v_add_f32_e32 v3, v3, v126
	s_clause 0x3
	buffer_load_dword v125, off, s[0:3], 0 offset:360
	buffer_load_dword v126, off, s[0:3], 0 offset:352
	;; [unrolled: 1-line block ×4, first 2 shown]
	v_add_f32_e32 v2, v2, v130
	buffer_load_dword v130, off, s[0:3], 0 offset:368
	v_add_f32_e32 v3, v3, v127
	buffer_load_dword v127, off, s[0:3], 0 offset:48
	v_add_f32_e32 v2, v2, v129
	v_add_f32_e32 v3, v3, v132
	;; [unrolled: 1-line block ×4, first 2 shown]
	ds_read2_b64 v[2:5], v1 offset0:79 offset1:80
	v_add_f32_e32 v104, v104, v133
	v_add_f32_e32 v105, v105, v134
	;; [unrolled: 1-line block ×4, first 2 shown]
	ds_read2_b64 v[104:107], v1 offset0:81 offset1:82
	v_add_f32_e32 v108, v108, v137
	v_add_f32_e32 v109, v109, v140
	;; [unrolled: 1-line block ×4, first 2 shown]
	s_waitcnt vmcnt(29) lgkmcnt(1)
	v_mul_f32_e32 v128, v2, v156
	v_mul_f32_e32 v110, v3, v156
	s_waitcnt vmcnt(28)
	v_mul_f32_e32 v129, v4, v157
	v_mul_f32_e32 v111, v5, v157
	v_add_f32_e32 v113, v108, v141
	v_fmac_f32_e32 v128, v3, v155
	v_fma_f32 v120, v2, v155, -v110
	v_fmac_f32_e32 v129, v5, v149
	v_fma_f32 v131, v4, v149, -v111
	ds_read2_b64 v[2:5], v1 offset0:83 offset1:84
	ds_read2_b64 v[108:111], v1 offset0:85 offset1:86
	v_add_f32_e32 v112, v112, v142
	s_waitcnt vmcnt(27) lgkmcnt(2)
	v_mul_f32_e32 v132, v104, v6
	v_add_f32_e32 v113, v113, v146
	v_mul_f32_e32 v6, v105, v6
	s_waitcnt vmcnt(26)
	v_mul_f32_e32 v133, v106, v8
	v_add_f32_e32 v112, v112, v143
	v_fmac_f32_e32 v132, v105, v147
	v_add_f32_e32 v105, v113, v145
	v_mul_f32_e32 v8, v107, v8
	v_fma_f32 v6, v104, v147, -v6
	v_add_f32_e32 v117, v112, v148
	s_waitcnt vmcnt(22)
	v_fmac_f32_e32 v133, v107, v158
	v_add_f32_e32 v118, v105, v144
	v_fma_f32 v8, v106, v158, -v8
	ds_read2_b64 v[104:107], v1 offset0:87 offset1:88
	ds_read2_b64 v[112:115], v1 offset0:89 offset1:90
	v_add_f32_e32 v7, v117, v7
	v_add_f32_e32 v122, v118, v116
	s_waitcnt vmcnt(21) lgkmcnt(3)
	v_mul_f32_e32 v134, v2, v159
	v_mul_f32_e32 v121, v3, v159
	v_add_f32_e32 v7, v7, v160
	ds_read2_b64 v[116:119], v1 offset0:91 offset1:92
	s_waitcnt vmcnt(20) lgkmcnt(3)
	v_mul_f32_e32 v135, v109, v161
	v_fmac_f32_e32 v134, v3, v153
	v_add_f32_e32 v3, v122, v120
	v_fma_f32 v2, v2, v153, -v121
	ds_read2_b64 v[120:123], v1 offset0:93 offset1:94
	v_add_f32_e32 v1, v7, v128
	s_waitcnt vmcnt(18)
	v_mul_f32_e32 v128, v5, v154
	v_add_f32_e32 v3, v3, v131
	v_mul_f32_e32 v7, v4, v154
	v_mul_f32_e32 v131, v108, v161
	v_add_f32_e32 v1, v1, v129
	v_fma_f32 v4, v4, v151, -v128
	v_add_f32_e32 v3, v3, v6
	v_fmac_f32_e32 v7, v5, v151
	v_fma_f32 v108, v108, v150, -v135
	v_add_f32_e32 v1, v1, v132
	v_mul_f32_e32 v129, v110, v162
	v_add_f32_e32 v3, v3, v8
	v_mul_f32_e32 v8, v111, v162
	v_fmac_f32_e32 v131, v109, v150
	v_add_f32_e32 v1, v1, v133
	s_waitcnt vmcnt(17) lgkmcnt(3)
	v_mul_f32_e32 v5, v104, v163
	v_add_f32_e32 v2, v3, v2
	s_waitcnt vmcnt(16)
	v_mul_f32_e32 v128, v106, v164
	s_waitcnt vmcnt(15) lgkmcnt(2)
	v_mul_f32_e32 v6, v112, v165
	v_add_f32_e32 v1, v1, v134
	s_waitcnt vmcnt(14)
	v_mul_f32_e32 v132, v114, v166
	v_add_f32_e32 v2, v2, v4
	v_mul_f32_e32 v4, v105, v163
	s_waitcnt vmcnt(13) lgkmcnt(1)
	v_mul_f32_e32 v136, v116, v167
	v_add_f32_e32 v1, v1, v7
	s_waitcnt vmcnt(12)
	v_mul_f32_e32 v133, v118, v168
	v_add_f32_e32 v2, v2, v108
	s_waitcnt vmcnt(11) lgkmcnt(0)
	v_mul_f32_e32 v137, v120, v169
	s_waitcnt vmcnt(10)
	v_mul_f32_e32 v3, v122, v170
	v_add_f32_e32 v1, v1, v131
	s_waitcnt vmcnt(9)
	v_fmac_f32_e32 v6, v113, v124
	s_waitcnt vmcnt(8)
	v_fmac_f32_e32 v128, v107, v171
	s_waitcnt vmcnt(7)
	v_fma_f32 v4, v104, v172, -v4
	s_waitcnt vmcnt(6)
	v_fma_f32 v7, v110, v173, -v8
	v_fmac_f32_e32 v129, v111, v173
	v_mul_f32_e32 v8, v107, v164
	v_fmac_f32_e32 v5, v105, v172
	v_add_f32_e32 v2, v2, v7
	v_add_f32_e32 v1, v1, v129
	v_mul_f32_e32 v7, v113, v165
	v_fma_f32 v8, v106, v171, -v8
	s_waitcnt vmcnt(3)
	v_fmac_f32_e32 v136, v117, v174
	v_add_f32_e32 v2, v2, v4
	v_add_f32_e32 v1, v1, v5
	v_mul_f32_e32 v4, v115, v166
	v_fma_f32 v5, v112, v124, -v7
	v_mul_f32_e32 v7, v117, v167
	v_add_f32_e32 v2, v2, v8
	v_add_f32_e32 v1, v1, v128
	s_waitcnt vmcnt(2)
	v_fma_f32 v4, v114, v175, -v4
	v_fmac_f32_e32 v132, v115, v175
	v_fmac_f32_e32 v133, v119, v126
	v_add_f32_e32 v2, v2, v5
	v_add_f32_e32 v1, v1, v6
	v_mul_f32_e32 v5, v119, v168
	v_fma_f32 v6, v116, v174, -v7
	v_fmac_f32_e32 v137, v121, v125
	v_add_f32_e32 v2, v2, v4
	v_add_f32_e32 v1, v1, v132
	v_mul_f32_e32 v4, v121, v169
	v_fma_f32 v5, v118, v126, -v5
	s_waitcnt vmcnt(1)
	v_fmac_f32_e32 v3, v123, v130
	v_add_f32_e32 v2, v2, v6
	v_add_f32_e32 v1, v1, v136
	v_mul_f32_e32 v6, v123, v170
	v_fma_f32 v4, v120, v125, -v4
	v_add_f32_e32 v2, v2, v5
	v_add_f32_e32 v1, v1, v133
	v_fma_f32 v5, v122, v130, -v6
	v_add_f32_e32 v2, v2, v4
	v_add_f32_e32 v1, v1, v137
	;; [unrolled: 1-line block ×4, first 2 shown]
	s_waitcnt vmcnt(0)
	v_sub_f32_e32 v2, v127, v2
	v_sub_f32_e32 v1, v152, v1
	buffer_store_dword v2, off, s[0:3], 0 offset:48
	buffer_store_dword v1, off, s[0:3], 0 offset:52
	v_cmpx_lt_u32_e32 5, v0
	s_cbranch_execz .LBB110_285
; %bb.284:
	s_clause 0x1
	buffer_load_dword v1, off, s[0:3], 0 offset:40
	buffer_load_dword v2, off, s[0:3], 0 offset:44
	v_mov_b32_e32 v3, 0
	buffer_store_dword v3, off, s[0:3], 0 offset:40
	buffer_store_dword v3, off, s[0:3], 0 offset:44
	s_waitcnt vmcnt(0)
	ds_write_b64 v103, v[1:2]
.LBB110_285:
	s_or_b32 exec_lo, exec_lo, s4
	s_waitcnt lgkmcnt(0)
	s_waitcnt_vscnt null, 0x0
	s_barrier
	buffer_gl0_inv
	s_clause 0x24
	buffer_load_dword v2, off, s[0:3], 0 offset:52
	buffer_load_dword v3, off, s[0:3], 0 offset:60
	;; [unrolled: 1-line block ×37, first 2 shown]
	v_mov_b32_e32 v1, 0
	ds_read_b128 v[112:115], v1 offset:432
	ds_read_b128 v[116:119], v1 offset:448
	;; [unrolled: 1-line block ×3, first 2 shown]
	s_clause 0x1
	buffer_load_dword v150, off, s[0:3], 0 offset:196
	buffer_load_dword v151, off, s[0:3], 0 offset:44
	ds_read_b128 v[124:127], v1 offset:480
	s_mov_b32 s4, exec_lo
	s_waitcnt vmcnt(38) lgkmcnt(3)
	v_mul_f32_e32 v152, v113, v2
	v_mul_f32_e32 v2, v112, v2
	s_waitcnt vmcnt(37)
	v_mul_f32_e32 v153, v114, v3
	v_mul_f32_e32 v3, v115, v3
	s_waitcnt vmcnt(34)
	v_fma_f32 v152, v112, v130, -v152
	v_fmac_f32_e32 v2, v113, v130
	v_fmac_f32_e32 v153, v115, v129
	v_fma_f32 v3, v114, v129, -v3
	ds_read_b128 v[112:115], v1 offset:496
	s_waitcnt vmcnt(33) lgkmcnt(3)
	v_mul_f32_e32 v129, v116, v131
	v_mul_f32_e32 v130, v117, v131
	s_waitcnt vmcnt(32)
	v_mul_f32_e32 v131, v118, v132
	v_mul_f32_e32 v132, v119, v132
	s_waitcnt vmcnt(31) lgkmcnt(2)
	v_mul_f32_e32 v154, v120, v133
	v_fmac_f32_e32 v129, v117, v128
	v_fma_f32 v128, v116, v128, -v130
	s_waitcnt vmcnt(26)
	v_fmac_f32_e32 v131, v119, v138
	v_fma_f32 v132, v118, v138, -v132
	ds_read_b128 v[116:119], v1 offset:512
	v_mul_f32_e32 v133, v121, v133
	v_mul_f32_e32 v130, v122, v134
	;; [unrolled: 1-line block ×3, first 2 shown]
	v_fmac_f32_e32 v154, v121, v137
	s_waitcnt vmcnt(24) lgkmcnt(2)
	v_mul_f32_e32 v138, v126, v140
	v_fma_f32 v133, v120, v137, -v133
	v_fmac_f32_e32 v130, v123, v136
	v_fma_f32 v134, v122, v136, -v134
	v_mul_f32_e32 v136, v124, v139
	v_mul_f32_e32 v137, v125, v139
	;; [unrolled: 1-line block ×3, first 2 shown]
	ds_read_b128 v[120:123], v1 offset:528
	s_waitcnt vmcnt(19)
	v_fmac_f32_e32 v138, v127, v143
	v_fmac_f32_e32 v136, v125, v135
	v_fma_f32 v124, v124, v135, -v137
	v_fma_f32 v125, v126, v143, -v139
	s_clause 0x4
	buffer_load_dword v126, off, s[0:3], 0 offset:204
	buffer_load_dword v127, off, s[0:3], 0 offset:224
	;; [unrolled: 1-line block ×5, first 2 shown]
	s_waitcnt lgkmcnt(2)
	v_mul_f32_e32 v140, v112, v141
	v_mul_f32_e32 v141, v113, v141
	s_waitcnt vmcnt(23)
	v_mul_f32_e32 v143, v114, v144
	v_mul_f32_e32 v144, v115, v144
	s_waitcnt vmcnt(21) lgkmcnt(1)
	v_mul_f32_e32 v155, v118, v146
	v_fmac_f32_e32 v140, v113, v142
	v_fma_f32 v141, v112, v142, -v141
	v_mul_f32_e32 v142, v116, v145
	v_mul_f32_e32 v112, v117, v145
	buffer_load_dword v145, off, s[0:3], 0 offset:212
	v_fmac_f32_e32 v143, v115, v109
	v_fma_f32 v144, v114, v109, -v144
	v_mul_f32_e32 v109, v119, v146
	v_fmac_f32_e32 v142, v117, v8
	v_fma_f32 v8, v116, v8, -v112
	ds_read_b128 v[112:115], v1 offset:544
	s_waitcnt vmcnt(18)
	v_fmac_f32_e32 v155, v119, v147
	v_fma_f32 v146, v118, v147, -v109
	ds_read_b128 v[116:119], v1 offset:560
	s_waitcnt vmcnt(17) lgkmcnt(2)
	v_mul_f32_e32 v147, v120, v148
	v_mul_f32_e32 v109, v121, v148
	s_waitcnt vmcnt(16)
	v_mul_f32_e32 v148, v122, v149
	v_mul_f32_e32 v149, v123, v149
	v_add_f32_e32 v2, 0, v2
	v_fmac_f32_e32 v147, v121, v110
	v_fma_f32 v120, v120, v110, -v109
	v_fmac_f32_e32 v148, v123, v104
	v_fma_f32 v121, v122, v104, -v149
	s_clause 0x2
	buffer_load_dword v122, off, s[0:3], 0 offset:220
	buffer_load_dword v123, off, s[0:3], 0 offset:228
	;; [unrolled: 1-line block ×3, first 2 shown]
	s_waitcnt vmcnt(18) lgkmcnt(1)
	v_mul_f32_e32 v149, v112, v106
	v_mul_f32_e32 v104, v113, v106
	s_waitcnt vmcnt(17)
	v_mul_f32_e32 v156, v114, v105
	v_mul_f32_e32 v105, v115, v105
	v_fmac_f32_e32 v149, v113, v5
	v_fma_f32 v113, v112, v5, -v104
	s_waitcnt vmcnt(13)
	v_fmac_f32_e32 v156, v115, v111
	s_waitcnt vmcnt(12) lgkmcnt(0)
	v_mul_f32_e32 v115, v116, v108
	v_mul_f32_e32 v5, v117, v108
	s_waitcnt vmcnt(11)
	v_mul_f32_e32 v108, v118, v107
	v_mul_f32_e32 v104, v119, v107
	v_fma_f32 v114, v114, v111, -v105
	ds_read_b128 v[109:112], v1 offset:576
	v_fmac_f32_e32 v115, v117, v7
	v_fma_f32 v7, v116, v7, -v5
	v_fmac_f32_e32 v108, v119, v6
	v_fma_f32 v6, v118, v6, -v104
	s_clause 0x4
	buffer_load_dword v116, off, s[0:3], 0 offset:256
	buffer_load_dword v117, off, s[0:3], 0 offset:248
	;; [unrolled: 1-line block ×5, first 2 shown]
	v_add_f32_e32 v5, 0, v152
	v_add_f32_e32 v3, v5, v3
	;; [unrolled: 1-line block ×3, first 2 shown]
	s_waitcnt vmcnt(15) lgkmcnt(0)
	v_mul_f32_e32 v152, v109, v150
	v_mul_f32_e32 v104, v110, v150
	v_add_f32_e32 v105, v105, v132
	v_fmac_f32_e32 v152, v110, v4
	buffer_load_dword v110, off, s[0:3], 0 offset:252
	v_fma_f32 v109, v109, v4, -v104
	v_add_f32_e32 v104, v2, v153
	ds_read_b128 v[2:5], v1 offset:592
	v_add_f32_e32 v105, v105, v133
	v_add_f32_e32 v104, v104, v129
	buffer_load_dword v129, off, s[0:3], 0 offset:268
	v_add_f32_e32 v104, v104, v131
	v_add_f32_e32 v131, v105, v134
	;; [unrolled: 1-line block ×3, first 2 shown]
	s_waitcnt vmcnt(15)
	v_mul_f32_e32 v128, v111, v126
	v_mul_f32_e32 v106, v112, v126
	buffer_load_dword v126, off, s[0:3], 0 offset:260
	s_waitcnt vmcnt(12)
	v_fmac_f32_e32 v128, v112, v139
	v_add_f32_e32 v112, v104, v154
	v_fma_f32 v111, v111, v139, -v106
	ds_read_b128 v[104:107], v1 offset:608
	v_add_f32_e32 v112, v112, v130
	s_clause 0x3
	buffer_load_dword v130, off, s[0:3], 0 offset:288
	buffer_load_dword v131, off, s[0:3], 0 offset:280
	;; [unrolled: 1-line block ×4, first 2 shown]
	s_waitcnt vmcnt(15) lgkmcnt(1)
	v_mul_f32_e32 v132, v2, v145
	v_mul_f32_e32 v133, v3, v145
	v_fmac_f32_e32 v132, v3, v137
	v_fma_f32 v133, v2, v137, -v133
	v_add_f32_e32 v2, v112, v136
	s_clause 0x1
	buffer_load_dword v136, off, s[0:3], 0 offset:276
	buffer_load_dword v137, off, s[0:3], 0 offset:284
	v_add_f32_e32 v3, v124, v125
	buffer_load_dword v124, off, s[0:3], 0 offset:292
	v_add_f32_e32 v2, v2, v138
	v_add_f32_e32 v3, v3, v141
	;; [unrolled: 1-line block ×3, first 2 shown]
	s_waitcnt vmcnt(17)
	v_mul_f32_e32 v112, v4, v122
	v_add_f32_e32 v144, v3, v144
	v_mul_f32_e32 v122, v5, v122
	v_add_f32_e32 v125, v125, v143
	s_waitcnt vmcnt(16) lgkmcnt(0)
	v_mul_f32_e32 v143, v104, v123
	v_add_f32_e32 v8, v144, v8
	v_mul_f32_e32 v123, v105, v123
	v_fmac_f32_e32 v112, v5, v135
	v_add_f32_e32 v125, v125, v142
	v_fma_f32 v122, v4, v135, -v122
	s_clause 0x3
	buffer_load_dword v135, off, s[0:3], 0 offset:300
	buffer_load_dword v138, off, s[0:3], 0 offset:308
	buffer_load_dword v140, off, s[0:3], 0 offset:316
	buffer_load_dword v141, off, s[0:3], 0 offset:324
	ds_read_b128 v[2:5], v1 offset:624
	v_add_f32_e32 v8, v8, v146
	s_waitcnt vmcnt(19)
	v_mul_f32_e32 v144, v106, v157
	v_mul_f32_e32 v142, v107, v157
	v_fma_f32 v123, v104, v127, -v123
	v_add_f32_e32 v104, v125, v155
	v_add_f32_e32 v8, v8, v120
	v_fmac_f32_e32 v143, v105, v127
	s_clause 0x3
	buffer_load_dword v125, off, s[0:3], 0 offset:332
	buffer_load_dword v127, off, s[0:3], 0 offset:340
	;; [unrolled: 1-line block ×4, first 2 shown]
	v_add_f32_e32 v104, v104, v147
	v_add_f32_e32 v8, v8, v121
	s_waitcnt vmcnt(19)
	v_fmac_f32_e32 v144, v107, v119
	v_fma_f32 v119, v106, v119, -v142
	s_clause 0x5
	buffer_load_dword v142, off, s[0:3], 0 offset:364
	buffer_load_dword v120, off, s[0:3], 0 offset:320
	;; [unrolled: 1-line block ×6, first 2 shown]
	v_add_f32_e32 v121, v104, v148
	v_add_f32_e32 v8, v8, v113
	ds_read_b128 v[104:107], v1 offset:640
	s_waitcnt vmcnt(24) lgkmcnt(1)
	v_mul_f32_e32 v148, v3, v158
	v_add_f32_e32 v113, v121, v149
	v_mul_f32_e32 v121, v2, v158
	v_add_f32_e32 v8, v8, v114
	v_fmac_f32_e32 v121, v3, v118
	v_fma_f32 v118, v2, v118, -v148
	v_add_f32_e32 v3, v8, v7
	s_clause 0x3
	buffer_load_dword v8, off, s[0:3], 0 offset:352
	buffer_load_dword v148, off, s[0:3], 0 offset:344
	;; [unrolled: 1-line block ×4, first 2 shown]
	v_add_f32_e32 v2, v113, v156
	s_clause 0x2
	buffer_load_dword v156, off, s[0:3], 0 offset:368
	buffer_load_dword v157, off, s[0:3], 0 offset:360
	;; [unrolled: 1-line block ×3, first 2 shown]
	v_add_f32_e32 v3, v3, v6
	s_waitcnt vmcnt(30)
	v_mul_f32_e32 v159, v4, v110
	v_add_f32_e32 v2, v2, v115
	v_add_f32_e32 v6, v3, v109
	v_mul_f32_e32 v3, v5, v110
	v_add_f32_e32 v2, v2, v108
	v_fmac_f32_e32 v159, v5, v117
	s_waitcnt vmcnt(29) lgkmcnt(0)
	v_mul_f32_e32 v114, v107, v129
	v_add_f32_e32 v6, v6, v111
	ds_read_b128 v[108:111], v1 offset:672
	v_add_f32_e32 v7, v2, v152
	v_fma_f32 v152, v4, v117, -v3
	ds_read_b128 v[2:5], v1 offset:656
	v_add_f32_e32 v6, v6, v133
	v_add_f32_e32 v7, v7, v128
	;; [unrolled: 1-line block ×9, first 2 shown]
	s_waitcnt vmcnt(28)
	v_mul_f32_e32 v128, v104, v126
	v_mul_f32_e32 v113, v105, v126
	;; [unrolled: 1-line block ×3, first 2 shown]
	v_fmac_f32_e32 v128, v105, v116
	v_fma_f32 v129, v104, v116, -v113
	s_waitcnt vmcnt(24)
	v_fma_f32 v122, v106, v139, -v114
	v_fmac_f32_e32 v126, v107, v139
	ds_read_b128 v[104:107], v1 offset:688
	ds_read_b128 v[112:115], v1 offset:704
	s_waitcnt vmcnt(23) lgkmcnt(2)
	v_mul_f32_e32 v123, v2, v136
	v_mul_f32_e32 v116, v3, v136
	s_waitcnt vmcnt(22)
	v_mul_f32_e32 v132, v4, v137
	v_mul_f32_e32 v133, v5, v137
	s_waitcnt vmcnt(21)
	v_mul_f32_e32 v136, v108, v124
	v_fmac_f32_e32 v123, v3, v134
	v_fma_f32 v134, v2, v134, -v116
	v_add_f32_e32 v2, v7, v144
	v_fmac_f32_e32 v132, v5, v131
	v_fma_f32 v131, v4, v131, -v133
	v_add_f32_e32 v133, v6, v152
	v_mul_f32_e32 v124, v109, v124
	v_add_f32_e32 v121, v2, v121
	v_fmac_f32_e32 v136, v109, v130
	ds_read_b128 v[116:119], v1 offset:720
	ds_read_b128 v[2:5], v1 offset:736
	v_add_f32_e32 v129, v133, v129
	v_add_f32_e32 v121, v121, v159
	v_fma_f32 v108, v108, v130, -v124
	s_waitcnt vmcnt(20)
	v_mul_f32_e32 v133, v111, v135
	v_mul_f32_e32 v137, v110, v135
	v_add_f32_e32 v122, v129, v122
	v_add_f32_e32 v121, v121, v128
	s_waitcnt vmcnt(19) lgkmcnt(3)
	v_mul_f32_e32 v128, v104, v138
	v_mul_f32_e32 v130, v105, v138
	s_waitcnt vmcnt(18)
	v_mul_f32_e32 v129, v106, v140
	v_add_f32_e32 v122, v122, v134
	v_add_f32_e32 v121, v121, v126
	s_waitcnt vmcnt(17) lgkmcnt(2)
	v_mul_f32_e32 v135, v112, v141
	s_waitcnt vmcnt(16)
	v_mul_f32_e32 v126, v114, v125
	ds_read_b64 v[6:7], v1 offset:752
	v_add_f32_e32 v122, v122, v131
	v_add_f32_e32 v121, v121, v123
	s_waitcnt vmcnt(15) lgkmcnt(2)
	v_mul_f32_e32 v134, v116, v127
	s_waitcnt vmcnt(11)
	v_fmac_f32_e32 v135, v113, v120
	v_add_f32_e32 v108, v122, v108
	v_add_f32_e32 v121, v121, v132
	s_waitcnt vmcnt(8)
	v_fma_f32 v110, v110, v153, -v133
	v_fmac_f32_e32 v137, v111, v153
	v_fmac_f32_e32 v128, v105, v150
	v_fma_f32 v104, v104, v150, -v130
	v_add_f32_e32 v111, v121, v136
	v_mul_f32_e32 v121, v107, v140
	v_add_f32_e32 v105, v108, v110
	v_mul_f32_e32 v110, v113, v141
	v_fmac_f32_e32 v129, v107, v147
	v_add_f32_e32 v108, v111, v137
	v_fma_f32 v106, v106, v147, -v121
	v_add_f32_e32 v104, v105, v104
	v_mul_f32_e32 v107, v115, v125
	v_mul_f32_e32 v109, v118, v145
	v_add_f32_e32 v105, v108, v128
	v_fma_f32 v108, v112, v120, -v110
	v_add_f32_e32 v104, v104, v106
	v_mul_f32_e32 v106, v117, v127
	s_waitcnt vmcnt(3)
	v_fma_f32 v107, v114, v155, -v107
	v_add_f32_e32 v105, v105, v129
	v_fmac_f32_e32 v126, v115, v155
	v_add_f32_e32 v104, v104, v108
	v_mul_f32_e32 v108, v119, v145
	v_fma_f32 v106, v116, v149, -v106
	v_add_f32_e32 v105, v105, v135
	v_fmac_f32_e32 v134, v117, v149
	v_add_f32_e32 v104, v104, v107
	s_waitcnt lgkmcnt(1)
	v_mul_f32_e32 v123, v2, v146
	v_mul_f32_e32 v107, v3, v146
	v_add_f32_e32 v105, v105, v126
	v_fma_f32 v108, v118, v148, -v108
	v_add_f32_e32 v104, v104, v106
	v_fmac_f32_e32 v109, v119, v148
	v_mul_f32_e32 v106, v5, v142
	v_add_f32_e32 v105, v105, v134
	v_fmac_f32_e32 v123, v3, v8
	v_fma_f32 v2, v2, v8, -v107
	v_add_f32_e32 v3, v104, v108
	v_mul_f32_e32 v124, v4, v142
	v_add_f32_e32 v8, v105, v109
	s_waitcnt lgkmcnt(0)
	v_mul_f32_e32 v104, v7, v154
	s_waitcnt vmcnt(1)
	v_fma_f32 v4, v4, v157, -v106
	v_add_f32_e32 v2, v3, v2
	v_mul_f32_e32 v131, v6, v154
	v_fmac_f32_e32 v124, v5, v157
	v_add_f32_e32 v3, v8, v123
	v_fma_f32 v5, v6, v156, -v104
	v_add_f32_e32 v2, v2, v4
	v_fmac_f32_e32 v131, v7, v156
	v_add_f32_e32 v3, v3, v124
	v_add_f32_e32 v2, v2, v5
	;; [unrolled: 1-line block ×3, first 2 shown]
	s_waitcnt vmcnt(0)
	v_sub_f32_e32 v2, v158, v2
	v_sub_f32_e32 v3, v151, v3
	buffer_store_dword v2, off, s[0:3], 0 offset:40
	buffer_store_dword v3, off, s[0:3], 0 offset:44
	v_cmpx_lt_u32_e32 4, v0
	s_cbranch_execz .LBB110_287
; %bb.286:
	s_clause 0x1
	buffer_load_dword v2, off, s[0:3], 0 offset:32
	buffer_load_dword v3, off, s[0:3], 0 offset:36
	buffer_store_dword v1, off, s[0:3], 0 offset:32
	buffer_store_dword v1, off, s[0:3], 0 offset:36
	s_waitcnt vmcnt(0)
	ds_write_b64 v103, v[2:3]
.LBB110_287:
	s_or_b32 exec_lo, exec_lo, s4
	s_waitcnt lgkmcnt(0)
	s_waitcnt_vscnt null, 0x0
	s_barrier
	buffer_gl0_inv
	s_clause 0x24
	buffer_load_dword v132, off, s[0:3], 0 offset:44
	buffer_load_dword v2, off, s[0:3], 0 offset:52
	;; [unrolled: 1-line block ×37, first 2 shown]
	ds_read2_b64 v[116:119], v1 offset0:53 offset1:54
	ds_read2_b64 v[120:123], v1 offset0:55 offset1:56
	;; [unrolled: 1-line block ×3, first 2 shown]
	s_clause 0x1
	buffer_load_dword v150, off, s[0:3], 0 offset:188
	buffer_load_dword v151, off, s[0:3], 0 offset:196
	ds_read2_b64 v[128:131], v1 offset0:59 offset1:60
	buffer_load_dword v153, off, s[0:3], 0 offset:36
	s_mov_b32 s4, exec_lo
	s_waitcnt vmcnt(39) lgkmcnt(3)
	v_mul_f32_e32 v152, v117, v132
	v_mul_f32_e32 v132, v116, v132
	s_waitcnt vmcnt(38)
	v_mul_f32_e32 v154, v118, v2
	v_mul_f32_e32 v2, v119, v2
	s_waitcnt vmcnt(35)
	v_fma_f32 v152, v116, v135, -v152
	v_fmac_f32_e32 v132, v117, v135
	v_fmac_f32_e32 v154, v119, v134
	v_fma_f32 v2, v118, v134, -v2
	s_waitcnt vmcnt(33) lgkmcnt(2)
	v_mul_f32_e32 v134, v122, v137
	v_mul_f32_e32 v117, v123, v137
	;; [unrolled: 1-line block ×4, first 2 shown]
	s_waitcnt vmcnt(32) lgkmcnt(1)
	v_mul_f32_e32 v136, v124, v138
	v_mul_f32_e32 v137, v125, v138
	s_waitcnt vmcnt(28)
	v_fmac_f32_e32 v134, v123, v141
	v_fma_f32 v138, v122, v141, -v117
	s_waitcnt vmcnt(27)
	v_mul_f32_e32 v141, v126, v142
	v_mul_f32_e32 v142, v127, v142
	v_fmac_f32_e32 v135, v121, v133
	v_fma_f32 v133, v120, v133, -v116
	ds_read2_b64 v[116:119], v1 offset0:61 offset1:62
	ds_read2_b64 v[120:123], v1 offset0:63 offset1:64
	v_fmac_f32_e32 v136, v125, v140
	v_fma_f32 v137, v124, v140, -v137
	s_waitcnt vmcnt(26) lgkmcnt(2)
	v_mul_f32_e32 v140, v128, v143
	v_mul_f32_e32 v124, v129, v143
	v_fmac_f32_e32 v141, v127, v139
	v_fma_f32 v139, v126, v139, -v142
	s_waitcnt vmcnt(25)
	v_mul_f32_e32 v142, v130, v144
	v_mul_f32_e32 v125, v131, v144
	s_clause 0x3
	buffer_load_dword v143, off, s[0:3], 0 offset:216
	buffer_load_dword v144, off, s[0:3], 0 offset:208
	;; [unrolled: 1-line block ×4, first 2 shown]
	v_fmac_f32_e32 v140, v129, v106
	v_fma_f32 v128, v128, v106, -v124
	s_waitcnt vmcnt(25)
	v_fmac_f32_e32 v142, v131, v145
	v_fma_f32 v129, v130, v145, -v125
	ds_read2_b64 v[124:127], v1 offset0:65 offset1:66
	s_clause 0x1
	buffer_load_dword v157, off, s[0:3], 0 offset:204
	buffer_load_dword v158, off, s[0:3], 0 offset:212
	s_waitcnt vmcnt(26) lgkmcnt(2)
	v_mul_f32_e32 v130, v116, v146
	v_mul_f32_e32 v106, v117, v146
	s_waitcnt vmcnt(25)
	v_mul_f32_e32 v131, v118, v147
	v_mul_f32_e32 v145, v119, v147
	s_waitcnt vmcnt(24) lgkmcnt(1)
	v_mul_f32_e32 v147, v120, v148
	v_fmac_f32_e32 v130, v117, v113
	v_fma_f32 v146, v116, v113, -v106
	v_fmac_f32_e32 v131, v119, v107
	v_fma_f32 v145, v118, v107, -v145
	ds_read2_b64 v[116:119], v1 offset0:67 offset1:68
	v_mul_f32_e32 v106, v121, v148
	s_waitcnt vmcnt(23)
	v_mul_f32_e32 v107, v123, v112
	v_mul_f32_e32 v148, v122, v112
	v_fmac_f32_e32 v147, v121, v6
	v_fma_f32 v6, v120, v6, -v106
	s_waitcnt vmcnt(19)
	v_fma_f32 v120, v122, v149, -v107
	s_waitcnt vmcnt(18) lgkmcnt(1)
	v_mul_f32_e32 v121, v124, v115
	v_mul_f32_e32 v106, v125, v115
	s_waitcnt vmcnt(17)
	v_mul_f32_e32 v122, v126, v114
	v_mul_f32_e32 v107, v127, v114
	ds_read2_b64 v[112:115], v1 offset0:69 offset1:70
	v_fmac_f32_e32 v148, v123, v149
	v_fmac_f32_e32 v121, v125, v108
	buffer_load_dword v123, off, s[0:3], 0 offset:220
	v_fma_f32 v108, v124, v108, -v106
	v_fmac_f32_e32 v122, v127, v8
	v_fma_f32 v8, v126, v8, -v107
	s_waitcnt vmcnt(16) lgkmcnt(1)
	v_mul_f32_e32 v125, v118, v104
	v_mul_f32_e32 v104, v119, v104
	;; [unrolled: 1-line block ×4, first 2 shown]
	s_waitcnt vmcnt(12)
	v_fmac_f32_e32 v125, v119, v111
	v_fma_f32 v111, v118, v111, -v104
	buffer_load_dword v118, off, s[0:3], 0 offset:228
	v_fmac_f32_e32 v124, v117, v4
	v_fma_f32 v116, v116, v4, -v105
	ds_read2_b64 v[104:107], v1 offset0:71 offset1:72
	s_waitcnt vmcnt(12) lgkmcnt(1)
	v_mul_f32_e32 v117, v112, v110
	v_mul_f32_e32 v4, v113, v110
	s_waitcnt vmcnt(11)
	v_mul_f32_e32 v110, v114, v109
	v_mul_f32_e32 v109, v115, v109
	v_fmac_f32_e32 v117, v113, v7
	v_fma_f32 v7, v112, v7, -v4
	v_fmac_f32_e32 v110, v115, v5
	v_fma_f32 v109, v114, v5, -v109
	s_clause 0x4
	buffer_load_dword v112, off, s[0:3], 0 offset:248
	buffer_load_dword v113, off, s[0:3], 0 offset:240
	;; [unrolled: 1-line block ×5, first 2 shown]
	v_add_f32_e32 v4, 0, v152
	v_add_f32_e32 v5, 0, v132
	s_clause 0x1
	buffer_load_dword v126, off, s[0:3], 0 offset:244
	buffer_load_dword v127, off, s[0:3], 0 offset:252
	v_add_f32_e32 v2, v4, v2
	v_add_f32_e32 v4, v5, v154
	s_waitcnt vmcnt(17) lgkmcnt(0)
	v_mul_f32_e32 v132, v104, v150
	v_mul_f32_e32 v5, v105, v150
	v_add_f32_e32 v2, v2, v133
	v_add_f32_e32 v4, v4, v135
	s_waitcnt vmcnt(16)
	v_mul_f32_e32 v135, v107, v151
	v_fmac_f32_e32 v132, v105, v3
	v_fma_f32 v149, v104, v3, -v5
	v_add_f32_e32 v104, v2, v138
	v_add_f32_e32 v105, v4, v134
	ds_read2_b64 v[2:5], v1 offset0:73 offset1:74
	v_mul_f32_e32 v133, v106, v151
	v_add_f32_e32 v104, v104, v137
	v_add_f32_e32 v105, v105, v136
	;; [unrolled: 1-line block ×10, first 2 shown]
	s_waitcnt vmcnt(11)
	v_fma_f32 v134, v106, v156, -v135
	s_clause 0x7
	buffer_load_dword v135, off, s[0:3], 0 offset:260
	buffer_load_dword v136, off, s[0:3], 0 offset:280
	;; [unrolled: 1-line block ×8, first 2 shown]
	v_fmac_f32_e32 v133, v107, v156
	ds_read2_b64 v[104:107], v1 offset0:75 offset1:76
	s_waitcnt vmcnt(18) lgkmcnt(1)
	v_mul_f32_e32 v142, v2, v157
	v_mul_f32_e32 v151, v3, v157
	s_waitcnt vmcnt(17)
	v_mul_f32_e32 v141, v4, v158
	v_mul_f32_e32 v146, v5, v158
	v_fmac_f32_e32 v142, v3, v155
	v_add_f32_e32 v3, v129, v145
	v_add_f32_e32 v129, v130, v131
	v_fma_f32 v130, v2, v155, -v151
	v_fmac_f32_e32 v141, v5, v144
	v_fma_f32 v131, v4, v144, -v146
	v_add_f32_e32 v2, v3, v6
	v_add_f32_e32 v3, v129, v147
	s_clause 0x7
	buffer_load_dword v6, off, s[0:3], 0 offset:292
	buffer_load_dword v129, off, s[0:3], 0 offset:300
	;; [unrolled: 1-line block ×8, first 2 shown]
	v_add_f32_e32 v2, v2, v120
	v_add_f32_e32 v3, v3, v148
	s_clause 0x3
	buffer_load_dword v148, off, s[0:3], 0 offset:324
	buffer_load_dword v155, off, s[0:3], 0 offset:332
	;; [unrolled: 1-line block ×4, first 2 shown]
	v_add_f32_e32 v2, v2, v108
	v_add_f32_e32 v8, v2, v8
	s_waitcnt vmcnt(28) lgkmcnt(0)
	v_mul_f32_e32 v4, v105, v123
	v_mul_f32_e32 v154, v104, v123
	v_add_f32_e32 v8, v8, v116
	v_fma_f32 v120, v104, v143, -v4
	v_add_f32_e32 v104, v3, v121
	v_fmac_f32_e32 v154, v105, v143
	s_clause 0x2
	buffer_load_dword v143, off, s[0:3], 0 offset:356
	buffer_load_dword v158, off, s[0:3], 0 offset:364
	;; [unrolled: 1-line block ×3, first 2 shown]
	v_add_f32_e32 v8, v8, v111
	v_add_f32_e32 v104, v104, v122
	s_waitcnt vmcnt(30)
	v_mul_f32_e32 v3, v107, v118
	v_mul_f32_e32 v121, v106, v118
	v_add_f32_e32 v7, v8, v7
	v_add_f32_e32 v104, v104, v124
	;; [unrolled: 1-line block ×4, first 2 shown]
	s_waitcnt vmcnt(26)
	v_fma_f32 v118, v106, v115, -v3
	ds_read2_b64 v[2:5], v1 offset0:77 offset1:78
	s_clause 0x3
	buffer_load_dword v124, off, s[0:3], 0 offset:344
	buffer_load_dword v160, off, s[0:3], 0 offset:336
	;; [unrolled: 1-line block ×4, first 2 shown]
	v_add_f32_e32 v8, v104, v117
	v_fmac_f32_e32 v121, v107, v115
	ds_read2_b64 v[104:107], v1 offset0:79 offset1:80
	s_waitcnt vmcnt(29) lgkmcnt(1)
	v_mul_f32_e32 v116, v2, v119
	v_mul_f32_e32 v108, v3, v119
	s_waitcnt vmcnt(28)
	v_mul_f32_e32 v122, v4, v126
	s_waitcnt vmcnt(27) lgkmcnt(0)
	v_mul_f32_e32 v115, v105, v127
	v_fmac_f32_e32 v116, v3, v114
	v_fma_f32 v117, v2, v114, -v108
	v_add_f32_e32 v2, v8, v110
	v_add_f32_e32 v3, v7, v149
	s_clause 0x2
	buffer_load_dword v7, off, s[0:3], 0 offset:368
	buffer_load_dword v8, off, s[0:3], 0 offset:360
	;; [unrolled: 1-line block ×3, first 2 shown]
	v_mul_f32_e32 v108, v5, v126
	v_fmac_f32_e32 v122, v5, v113
	v_add_f32_e32 v2, v2, v132
	buffer_load_dword v132, off, s[0:3], 0 offset:32
	v_add_f32_e32 v3, v3, v134
	v_fma_f32 v119, v4, v113, -v108
	v_mul_f32_e32 v126, v104, v127
	v_add_f32_e32 v109, v2, v133
	v_add_f32_e32 v113, v3, v130
	ds_read2_b64 v[2:5], v1 offset0:81 offset1:82
	v_fma_f32 v130, v104, v112, -v115
	v_add_f32_e32 v114, v109, v142
	ds_read2_b64 v[108:111], v1 offset0:83 offset1:84
	v_add_f32_e32 v113, v113, v131
	v_fmac_f32_e32 v126, v105, v112
	v_add_f32_e32 v114, v114, v141
	v_add_f32_e32 v120, v113, v120
	;; [unrolled: 1-line block ×4, first 2 shown]
	s_waitcnt vmcnt(30)
	v_mul_f32_e32 v123, v107, v135
	v_mul_f32_e32 v127, v106, v135
	s_waitcnt vmcnt(25) lgkmcnt(1)
	v_mul_f32_e32 v133, v2, v128
	v_mul_f32_e32 v120, v3, v128
	v_fma_f32 v131, v106, v150, -v123
	v_add_f32_e32 v123, v114, v154
	s_waitcnt vmcnt(23) lgkmcnt(0)
	v_mul_f32_e32 v134, v108, v140
	v_fmac_f32_e32 v133, v3, v138
	v_fma_f32 v138, v2, v138, -v120
	v_mul_f32_e32 v128, v4, v139
	v_add_f32_e32 v121, v123, v121
	v_mul_f32_e32 v123, v5, v139
	v_mul_f32_e32 v135, v109, v140
	v_fmac_f32_e32 v134, v109, v136
	v_fmac_f32_e32 v127, v107, v150
	v_add_f32_e32 v120, v121, v116
	v_add_f32_e32 v121, v117, v119
	ds_read2_b64 v[104:107], v1 offset0:85 offset1:86
	ds_read2_b64 v[112:115], v1 offset0:87 offset1:88
	v_fmac_f32_e32 v128, v5, v137
	v_fma_f32 v137, v4, v137, -v123
	v_add_f32_e32 v139, v120, v122
	v_add_f32_e32 v109, v121, v130
	ds_read2_b64 v[2:5], v1 offset0:89 offset1:90
	ds_read2_b64 v[116:119], v1 offset0:91 offset1:92
	;; [unrolled: 1-line block ×3, first 2 shown]
	v_fma_f32 v108, v108, v136, -v135
	v_add_f32_e32 v1, v139, v126
	v_add_f32_e32 v109, v109, v131
	s_waitcnt vmcnt(22)
	v_mul_f32_e32 v126, v110, v6
	v_mul_f32_e32 v6, v111, v6
	v_add_f32_e32 v1, v1, v127
	v_add_f32_e32 v109, v109, v138
	s_waitcnt vmcnt(15)
	v_fmac_f32_e32 v126, v111, v152
	v_fma_f32 v6, v110, v152, -v6
	v_add_f32_e32 v1, v1, v133
	v_add_f32_e32 v109, v109, v137
	s_waitcnt lgkmcnt(4)
	v_mul_f32_e32 v130, v104, v129
	v_mul_f32_e32 v129, v105, v129
	;; [unrolled: 1-line block ×3, first 2 shown]
	v_add_f32_e32 v1, v1, v128
	v_add_f32_e32 v108, v109, v108
	v_mul_f32_e32 v128, v107, v144
	v_fma_f32 v104, v104, v151, -v129
	v_fmac_f32_e32 v130, v105, v151
	v_add_f32_e32 v1, v1, v134
	v_add_f32_e32 v6, v108, v6
	s_waitcnt lgkmcnt(3)
	v_mul_f32_e32 v105, v113, v145
	v_fma_f32 v106, v106, v147, -v128
	v_mul_f32_e32 v110, v112, v145
	v_add_f32_e32 v1, v1, v126
	v_add_f32_e32 v6, v6, v104
	v_fmac_f32_e32 v127, v107, v147
	s_waitcnt vmcnt(14)
	v_mul_f32_e32 v104, v115, v148
	v_fma_f32 v105, v112, v146, -v105
	v_add_f32_e32 v1, v1, v130
	v_add_f32_e32 v6, v6, v106
	v_mul_f32_e32 v111, v114, v148
	v_fmac_f32_e32 v110, v113, v146
	s_waitcnt vmcnt(13) lgkmcnt(2)
	v_mul_f32_e32 v131, v2, v155
	v_add_f32_e32 v1, v1, v127
	v_mul_f32_e32 v106, v3, v155
	v_add_f32_e32 v6, v6, v105
	s_waitcnt vmcnt(4)
	v_fma_f32 v104, v114, v162, -v104
	v_fmac_f32_e32 v111, v115, v162
	v_add_f32_e32 v1, v1, v110
	v_mul_f32_e32 v105, v5, v156
	v_fmac_f32_e32 v131, v3, v161
	v_fma_f32 v2, v2, v161, -v106
	v_add_f32_e32 v3, v6, v104
	v_mul_f32_e32 v133, v4, v156
	v_add_f32_e32 v1, v1, v111
	s_waitcnt lgkmcnt(1)
	v_mul_f32_e32 v6, v117, v157
	v_fma_f32 v4, v4, v160, -v105
	v_add_f32_e32 v2, v3, v2
	v_mul_f32_e32 v135, v116, v157
	v_fmac_f32_e32 v133, v5, v160
	v_add_f32_e32 v1, v1, v131
	v_mul_f32_e32 v3, v119, v143
	v_fma_f32 v5, v116, v124, -v6
	v_add_f32_e32 v2, v2, v4
	v_mul_f32_e32 v136, v118, v143
	v_fmac_f32_e32 v135, v117, v124
	v_add_f32_e32 v1, v1, v133
	s_waitcnt lgkmcnt(0)
	v_mul_f32_e32 v4, v121, v158
	v_add_f32_e32 v2, v2, v5
	v_mul_f32_e32 v137, v120, v158
	v_mul_f32_e32 v5, v123, v159
	v_add_f32_e32 v1, v1, v135
	v_mul_f32_e32 v109, v122, v159
	s_waitcnt vmcnt(2)
	v_fma_f32 v4, v120, v8, -v4
	s_waitcnt vmcnt(1)
	v_fma_f32 v3, v118, v125, -v3
	v_fmac_f32_e32 v136, v119, v125
	v_fmac_f32_e32 v137, v121, v8
	;; [unrolled: 1-line block ×3, first 2 shown]
	v_add_f32_e32 v2, v2, v3
	v_add_f32_e32 v1, v1, v136
	v_fma_f32 v3, v122, v7, -v5
	v_add_f32_e32 v2, v2, v4
	v_add_f32_e32 v1, v1, v137
	;; [unrolled: 1-line block ×4, first 2 shown]
	s_waitcnt vmcnt(0)
	v_sub_f32_e32 v2, v132, v2
	v_sub_f32_e32 v1, v153, v1
	buffer_store_dword v2, off, s[0:3], 0 offset:32
	buffer_store_dword v1, off, s[0:3], 0 offset:36
	v_cmpx_lt_u32_e32 3, v0
	s_cbranch_execz .LBB110_289
; %bb.288:
	s_clause 0x1
	buffer_load_dword v1, off, s[0:3], 0 offset:24
	buffer_load_dword v2, off, s[0:3], 0 offset:28
	v_mov_b32_e32 v3, 0
	buffer_store_dword v3, off, s[0:3], 0 offset:24
	buffer_store_dword v3, off, s[0:3], 0 offset:28
	s_waitcnt vmcnt(0)
	ds_write_b64 v103, v[1:2]
.LBB110_289:
	s_or_b32 exec_lo, exec_lo, s4
	s_waitcnt lgkmcnt(0)
	s_waitcnt_vscnt null, 0x0
	s_barrier
	buffer_gl0_inv
	s_clause 0x2c
	buffer_load_dword v142, off, s[0:3], 0 offset:36
	buffer_load_dword v143, off, s[0:3], 0 offset:44
	buffer_load_dword v113, off, s[0:3], 0 offset:48
	buffer_load_dword v127, off, s[0:3], 0 offset:40
	buffer_load_dword v131, off, s[0:3], 0 offset:32
	buffer_load_dword v126, off, s[0:3], 0 offset:52
	buffer_load_dword v124, off, s[0:3], 0 offset:60
	buffer_load_dword v8, off, s[0:3], 0 offset:80
	buffer_load_dword v116, off, s[0:3], 0 offset:72
	buffer_load_dword v121, off, s[0:3], 0 offset:64
	buffer_load_dword v132, off, s[0:3], 0 offset:56
	buffer_load_dword v130, off, s[0:3], 0 offset:68
	buffer_load_dword v129, off, s[0:3], 0 offset:76
	buffer_load_dword v120, off, s[0:3], 0 offset:84
	buffer_load_dword v118, off, s[0:3], 0 offset:92
	buffer_load_dword v4, off, s[0:3], 0 offset:112
	buffer_load_dword v108, off, s[0:3], 0 offset:104
	buffer_load_dword v114, off, s[0:3], 0 offset:96
	buffer_load_dword v128, off, s[0:3], 0 offset:88
	buffer_load_dword v125, off, s[0:3], 0 offset:100
	buffer_load_dword v123, off, s[0:3], 0 offset:108
	buffer_load_dword v112, off, s[0:3], 0 offset:116
	buffer_load_dword v110, off, s[0:3], 0 offset:124
	buffer_load_dword v3, off, s[0:3], 0 offset:144
	buffer_load_dword v104, off, s[0:3], 0 offset:136
	buffer_load_dword v107, off, s[0:3], 0 offset:128
	buffer_load_dword v122, off, s[0:3], 0 offset:120
	buffer_load_dword v119, off, s[0:3], 0 offset:132
	buffer_load_dword v117, off, s[0:3], 0 offset:140
	buffer_load_dword v106, off, s[0:3], 0 offset:148
	buffer_load_dword v105, off, s[0:3], 0 offset:156
	buffer_load_dword v2, off, s[0:3], 0 offset:176
	buffer_load_dword v5, off, s[0:3], 0 offset:168
	buffer_load_dword v7, off, s[0:3], 0 offset:160
	buffer_load_dword v115, off, s[0:3], 0 offset:152
	buffer_load_dword v111, off, s[0:3], 0 offset:164
	buffer_load_dword v109, off, s[0:3], 0 offset:172
	buffer_load_dword v6, off, s[0:3], 0 offset:180
	buffer_load_dword v133, off, s[0:3], 0 offset:188
	buffer_load_dword v144, off, s[0:3], 0 offset:208
	buffer_load_dword v145, off, s[0:3], 0 offset:200
	buffer_load_dword v146, off, s[0:3], 0 offset:192
	buffer_load_dword v147, off, s[0:3], 0 offset:184
	buffer_load_dword v148, off, s[0:3], 0 offset:196
	buffer_load_dword v149, off, s[0:3], 0 offset:204
	v_mov_b32_e32 v1, 0
	ds_read_b128 v[134:137], v1 offset:416
	ds_read_b128 v[138:141], v1 offset:432
	buffer_load_dword v152, off, s[0:3], 0 offset:28
	s_mov_b32 s4, exec_lo
	s_waitcnt vmcnt(45) lgkmcnt(1)
	v_mul_f32_e32 v150, v135, v142
	v_mul_f32_e32 v142, v134, v142
	s_waitcnt vmcnt(44)
	v_mul_f32_e32 v151, v136, v143
	v_mul_f32_e32 v143, v137, v143
	s_waitcnt vmcnt(41)
	v_fma_f32 v150, v134, v131, -v150
	v_fmac_f32_e32 v142, v135, v131
	v_fmac_f32_e32 v151, v137, v127
	v_fma_f32 v143, v136, v127, -v143
	ds_read_b128 v[134:137], v1 offset:448
	s_waitcnt vmcnt(40) lgkmcnt(1)
	v_mul_f32_e32 v153, v138, v126
	v_mul_f32_e32 v126, v139, v126
	s_waitcnt vmcnt(39)
	v_mul_f32_e32 v154, v140, v124
	v_mul_f32_e32 v124, v141, v124
	v_fmac_f32_e32 v153, v139, v113
	v_fma_f32 v113, v138, v113, -v126
	s_waitcnt vmcnt(35)
	v_fmac_f32_e32 v154, v141, v132
	v_fma_f32 v155, v140, v132, -v124
	ds_read_b128 v[138:141], v1 offset:464
	s_waitcnt vmcnt(34) lgkmcnt(1)
	v_mul_f32_e32 v156, v134, v130
	v_mul_f32_e32 v124, v135, v130
	s_waitcnt vmcnt(33)
	v_mul_f32_e32 v157, v136, v129
	v_mul_f32_e32 v126, v137, v129
	ds_read_b128 v[129:132], v1 offset:480
	v_fmac_f32_e32 v156, v135, v121
	v_fma_f32 v121, v134, v121, -v124
	v_fmac_f32_e32 v157, v137, v116
	v_fma_f32 v158, v136, v116, -v126
	ds_read_b128 v[134:137], v1 offset:496
	s_waitcnt vmcnt(32) lgkmcnt(2)
	v_mul_f32_e32 v159, v138, v120
	v_mul_f32_e32 v116, v139, v120
	s_waitcnt vmcnt(31)
	v_mul_f32_e32 v120, v140, v118
	v_mul_f32_e32 v118, v141, v118
	v_fmac_f32_e32 v159, v139, v8
	v_fma_f32 v8, v138, v8, -v116
	s_waitcnt vmcnt(27)
	v_fmac_f32_e32 v120, v141, v128
	v_fma_f32 v138, v140, v128, -v118
	s_waitcnt vmcnt(26) lgkmcnt(1)
	v_mul_f32_e32 v139, v129, v125
	v_mul_f32_e32 v116, v130, v125
	s_waitcnt vmcnt(25)
	v_mul_f32_e32 v140, v131, v123
	v_mul_f32_e32 v118, v132, v123
	ds_read_b128 v[123:126], v1 offset:512
	v_fmac_f32_e32 v139, v130, v114
	v_fma_f32 v114, v129, v114, -v116
	ds_read_b128 v[127:130], v1 offset:528
	v_fmac_f32_e32 v140, v132, v108
	v_fma_f32 v131, v131, v108, -v118
	s_waitcnt vmcnt(24) lgkmcnt(2)
	v_mul_f32_e32 v132, v134, v112
	v_mul_f32_e32 v108, v135, v112
	s_waitcnt vmcnt(23)
	v_mul_f32_e32 v112, v136, v110
	v_mul_f32_e32 v110, v137, v110
	v_fmac_f32_e32 v132, v135, v4
	v_fma_f32 v134, v134, v4, -v108
	s_waitcnt vmcnt(19)
	v_fmac_f32_e32 v112, v137, v122
	v_fma_f32 v122, v136, v122, -v110
	s_waitcnt vmcnt(18) lgkmcnt(1)
	v_mul_f32_e32 v135, v123, v119
	v_mul_f32_e32 v4, v124, v119
	s_waitcnt vmcnt(17)
	v_mul_f32_e32 v136, v125, v117
	v_mul_f32_e32 v108, v126, v117
	ds_read_b128 v[116:119], v1 offset:544
	v_fmac_f32_e32 v135, v124, v107
	v_fma_f32 v123, v123, v107, -v4
	v_fmac_f32_e32 v136, v126, v104
	v_fma_f32 v124, v125, v104, -v108
	s_waitcnt vmcnt(15) lgkmcnt(1)
	v_mul_f32_e32 v126, v129, v105
	v_mul_f32_e32 v104, v130, v105
	;; [unrolled: 1-line block ×4, first 2 shown]
	s_waitcnt vmcnt(11)
	v_fmac_f32_e32 v126, v130, v115
	v_fma_f32 v115, v129, v115, -v104
	ds_read_b128 v[104:107], v1 offset:560
	v_fmac_f32_e32 v125, v128, v3
	v_fma_f32 v127, v127, v3, -v4
	s_waitcnt vmcnt(10) lgkmcnt(1)
	v_mul_f32_e32 v128, v116, v111
	v_mul_f32_e32 v3, v117, v111
	s_waitcnt vmcnt(9)
	v_mul_f32_e32 v129, v118, v109
	v_mul_f32_e32 v4, v119, v109
	ds_read_b128 v[108:111], v1 offset:576
	v_fmac_f32_e32 v128, v117, v7
	v_fma_f32 v7, v116, v7, -v3
	v_fmac_f32_e32 v129, v119, v5
	v_fma_f32 v116, v118, v5, -v4
	buffer_load_dword v118, off, s[0:3], 0 offset:212
	s_waitcnt vmcnt(8) lgkmcnt(1)
	v_mul_f32_e32 v4, v107, v133
	v_mul_f32_e32 v117, v104, v6
	;; [unrolled: 1-line block ×4, first 2 shown]
	s_waitcnt vmcnt(4)
	v_fma_f32 v130, v106, v147, -v4
	buffer_load_dword v106, off, s[0:3], 0 offset:220
	v_fmac_f32_e32 v117, v105, v2
	v_fma_f32 v119, v104, v2, -v3
	ds_read_b128 v[2:5], v1 offset:592
	v_fmac_f32_e32 v6, v107, v147
	s_waitcnt vmcnt(4) lgkmcnt(1)
	v_mul_f32_e32 v133, v108, v148
	v_mul_f32_e32 v104, v109, v148
	s_waitcnt vmcnt(3)
	v_mul_f32_e32 v137, v110, v149
	v_mul_f32_e32 v105, v111, v149
	v_fmac_f32_e32 v133, v109, v146
	v_fma_f32 v108, v108, v146, -v104
	v_fmac_f32_e32 v137, v111, v145
	v_fma_f32 v109, v110, v145, -v105
	s_clause 0x4
	buffer_load_dword v110, off, s[0:3], 0 offset:240
	buffer_load_dword v111, off, s[0:3], 0 offset:232
	;; [unrolled: 1-line block ×5, first 2 shown]
	s_waitcnt vmcnt(6) lgkmcnt(0)
	v_mul_f32_e32 v146, v2, v118
	v_mul_f32_e32 v105, v3, v118
	v_fmac_f32_e32 v146, v3, v144
	v_fma_f32 v118, v2, v144, -v105
	s_waitcnt vmcnt(5)
	v_mul_f32_e32 v144, v4, v106
	v_mul_f32_e32 v2, v5, v106
	s_waitcnt vmcnt(1)
	v_fmac_f32_e32 v144, v5, v104
	v_fma_f32 v147, v4, v104, -v2
	ds_read_b128 v[2:5], v1 offset:608
	ds_read_b128 v[104:107], v1 offset:624
	s_waitcnt vmcnt(0) lgkmcnt(1)
	v_mul_f32_e32 v148, v2, v145
	v_mul_f32_e32 v145, v3, v145
	v_fmac_f32_e32 v148, v3, v141
	v_fma_f32 v141, v2, v141, -v145
	buffer_load_dword v2, off, s[0:3], 0 offset:236
	s_waitcnt vmcnt(0)
	v_mul_f32_e32 v145, v4, v2
	v_mul_f32_e32 v2, v5, v2
	v_fmac_f32_e32 v145, v5, v111
	v_fma_f32 v149, v4, v111, -v2
	buffer_load_dword v2, off, s[0:3], 0 offset:244
	s_waitcnt vmcnt(0) lgkmcnt(0)
	v_mul_f32_e32 v160, v104, v2
	v_mul_f32_e32 v2, v105, v2
	v_fmac_f32_e32 v160, v105, v110
	v_fma_f32 v161, v104, v110, -v2
	s_clause 0x4
	buffer_load_dword v2, off, s[0:3], 0 offset:252
	buffer_load_dword v162, off, s[0:3], 0 offset:272
	;; [unrolled: 1-line block ×5, first 2 shown]
	s_waitcnt vmcnt(4)
	v_mul_f32_e32 v163, v106, v2
	v_mul_f32_e32 v2, v107, v2
	s_waitcnt vmcnt(0)
	v_fmac_f32_e32 v163, v107, v3
	v_fma_f32 v164, v106, v3, -v2
	v_add_f32_e32 v2, 0, v150
	v_add_f32_e32 v3, 0, v142
	buffer_load_dword v142, off, s[0:3], 0 offset:268
	v_add_f32_e32 v2, v2, v143
	v_add_f32_e32 v3, v3, v151
	buffer_load_dword v143, off, s[0:3], 0 offset:284
	v_add_f32_e32 v2, v2, v113
	buffer_load_dword v113, off, s[0:3], 0 offset:260
	v_add_f32_e32 v3, v3, v153
	v_add_f32_e32 v2, v2, v155
	;; [unrolled: 1-line block ×4, first 2 shown]
	buffer_load_dword v121, off, s[0:3], 0 offset:276
	v_add_f32_e32 v3, v3, v156
	v_add_f32_e32 v2, v2, v158
	;; [unrolled: 1-line block ×4, first 2 shown]
	s_clause 0x3
	buffer_load_dword v8, off, s[0:3], 0 offset:304
	buffer_load_dword v150, off, s[0:3], 0 offset:296
	;; [unrolled: 1-line block ×4, first 2 shown]
	v_add_f32_e32 v3, v3, v159
	v_add_f32_e32 v2, v2, v138
	s_clause 0x1
	buffer_load_dword v138, off, s[0:3], 0 offset:292
	buffer_load_dword v154, off, s[0:3], 0 offset:300
	v_add_f32_e32 v3, v3, v120
	buffer_load_dword v120, off, s[0:3], 0 offset:308
	v_add_f32_e32 v2, v2, v114
	v_add_f32_e32 v3, v3, v139
	;; [unrolled: 1-line block ×3, first 2 shown]
	s_clause 0x3
	buffer_load_dword v131, off, s[0:3], 0 offset:316
	buffer_load_dword v139, off, s[0:3], 0 offset:324
	;; [unrolled: 1-line block ×4, first 2 shown]
	v_add_f32_e32 v3, v3, v140
	v_add_f32_e32 v2, v2, v134
	s_clause 0x1
	buffer_load_dword v134, off, s[0:3], 0 offset:348
	buffer_load_dword v140, off, s[0:3], 0 offset:356
	v_add_f32_e32 v3, v3, v132
	v_add_f32_e32 v2, v2, v122
	s_clause 0x1
	buffer_load_dword v122, off, s[0:3], 0 offset:364
	buffer_load_dword v132, off, s[0:3], 0 offset:372
	v_add_f32_e32 v3, v3, v112
	v_add_f32_e32 v2, v2, v123
	;; [unrolled: 1-line block ×4, first 2 shown]
	s_clause 0x3
	buffer_load_dword v123, off, s[0:3], 0 offset:336
	buffer_load_dword v124, off, s[0:3], 0 offset:328
	;; [unrolled: 1-line block ×4, first 2 shown]
	v_add_f32_e32 v3, v3, v136
	v_add_f32_e32 v2, v2, v127
	;; [unrolled: 1-line block ×3, first 2 shown]
	s_clause 0x3
	buffer_load_dword v125, off, s[0:3], 0 offset:368
	buffer_load_dword v127, off, s[0:3], 0 offset:360
	;; [unrolled: 1-line block ×4, first 2 shown]
	v_add_f32_e32 v2, v2, v115
	v_add_f32_e32 v3, v3, v126
	buffer_load_dword v126, off, s[0:3], 0 offset:24
	v_add_f32_e32 v2, v2, v7
	v_add_f32_e32 v3, v3, v128
	;; [unrolled: 1-line block ×4, first 2 shown]
	ds_read_b128 v[2:5], v1 offset:640
	v_add_f32_e32 v7, v7, v119
	v_add_f32_e32 v104, v104, v117
	;; [unrolled: 1-line block ×4, first 2 shown]
	ds_read_b128 v[104:107], v1 offset:656
	v_add_f32_e32 v7, v7, v108
	v_add_f32_e32 v6, v6, v133
	;; [unrolled: 1-line block ×8, first 2 shown]
	s_waitcnt vmcnt(27) lgkmcnt(1)
	v_mul_f32_e32 v129, v4, v142
	v_mul_f32_e32 v109, v5, v142
	v_fmac_f32_e32 v129, v5, v110
	v_fma_f32 v133, v4, v110, -v109
	s_waitcnt vmcnt(25)
	v_mul_f32_e32 v128, v2, v113
	v_mul_f32_e32 v108, v3, v113
	v_fmac_f32_e32 v128, v3, v111
	v_add_f32_e32 v3, v7, v118
	v_fma_f32 v130, v2, v111, -v108
	s_waitcnt vmcnt(24) lgkmcnt(0)
	v_mul_f32_e32 v137, v104, v121
	v_add_f32_e32 v7, v3, v147
	ds_read_b128 v[2:5], v1 offset:672
	ds_read_b128 v[108:111], v1 offset:688
	v_mul_f32_e32 v116, v105, v121
	v_mul_f32_e32 v121, v106, v143
	v_fmac_f32_e32 v137, v105, v162
	v_add_f32_e32 v7, v7, v141
	v_mul_f32_e32 v141, v107, v143
	v_add_f32_e32 v143, v6, v160
	v_fma_f32 v142, v104, v162, -v116
	ds_read_b128 v[112:115], v1 offset:704
	ds_read_b128 v[116:119], v1 offset:720
	v_add_f32_e32 v7, v7, v149
	v_add_f32_e32 v143, v143, v163
	s_waitcnt vmcnt(20)
	v_fma_f32 v141, v106, v153, -v141
	v_fmac_f32_e32 v121, v107, v153
	v_add_f32_e32 v7, v7, v161
	v_add_f32_e32 v128, v143, v128
	s_waitcnt vmcnt(19) lgkmcnt(3)
	v_mul_f32_e32 v145, v2, v138
	v_add_f32_e32 v144, v7, v164
	v_add_f32_e32 v128, v128, v129
	v_mul_f32_e32 v138, v3, v138
	s_waitcnt vmcnt(18)
	v_mul_f32_e32 v146, v4, v154
	v_fmac_f32_e32 v145, v3, v151
	v_add_f32_e32 v130, v144, v130
	v_add_f32_e32 v128, v128, v137
	v_mul_f32_e32 v144, v5, v154
	v_fma_f32 v2, v2, v151, -v138
	s_waitcnt vmcnt(17) lgkmcnt(2)
	v_mul_f32_e32 v143, v108, v120
	v_add_f32_e32 v130, v130, v133
	v_add_f32_e32 v121, v128, v121
	v_mul_f32_e32 v120, v109, v120
	v_fma_f32 v4, v4, v150, -v144
	v_fmac_f32_e32 v146, v5, v150
	v_add_f32_e32 v130, v130, v142
	v_add_f32_e32 v5, v121, v145
	s_waitcnt vmcnt(16)
	v_mul_f32_e32 v121, v111, v131
	v_fmac_f32_e32 v143, v109, v8
	v_fma_f32 v8, v108, v8, -v120
	v_add_f32_e32 v130, v130, v141
	v_mul_f32_e32 v133, v110, v131
	ds_read_b128 v[104:107], v1 offset:736
	ds_read_b64 v[6:7], v1 offset:752
	s_waitcnt vmcnt(5)
	v_fma_f32 v108, v110, v157, -v121
	s_waitcnt lgkmcnt(3)
	v_mul_f32_e32 v147, v112, v139
	v_add_f32_e32 v2, v130, v2
	v_fmac_f32_e32 v133, v111, v157
	v_mul_f32_e32 v129, v114, v155
	s_waitcnt lgkmcnt(2)
	v_mul_f32_e32 v142, v116, v156
	v_fmac_f32_e32 v147, v113, v135
	v_add_f32_e32 v2, v2, v4
	v_add_f32_e32 v4, v5, v146
	v_mul_f32_e32 v5, v113, v139
	v_fmac_f32_e32 v129, v115, v124
	v_mul_f32_e32 v3, v118, v134
	v_add_f32_e32 v2, v2, v8
	v_add_f32_e32 v4, v4, v143
	v_mul_f32_e32 v8, v115, v155
	v_fma_f32 v5, v112, v135, -v5
	v_fmac_f32_e32 v142, v117, v123
	v_add_f32_e32 v2, v2, v108
	v_add_f32_e32 v4, v4, v133
	v_mul_f32_e32 v108, v117, v156
	v_fma_f32 v8, v114, v124, -v8
	s_waitcnt lgkmcnt(1)
	v_mul_f32_e32 v137, v104, v140
	v_add_f32_e32 v2, v2, v5
	v_add_f32_e32 v4, v4, v147
	v_mul_f32_e32 v5, v119, v134
	v_fma_f32 v108, v116, v123, -v108
	s_waitcnt vmcnt(1)
	v_fmac_f32_e32 v3, v119, v158
	v_add_f32_e32 v2, v2, v8
	v_add_f32_e32 v4, v4, v129
	v_mul_f32_e32 v8, v105, v140
	v_fma_f32 v5, v118, v158, -v5
	v_mul_f32_e32 v138, v106, v122
	v_add_f32_e32 v2, v2, v108
	v_add_f32_e32 v4, v4, v142
	v_mul_f32_e32 v108, v107, v122
	v_fma_f32 v8, v104, v136, -v8
	v_fmac_f32_e32 v137, v105, v136
	v_add_f32_e32 v2, v2, v5
	v_add_f32_e32 v3, v4, v3
	s_waitcnt lgkmcnt(0)
	v_mul_f32_e32 v4, v7, v132
	v_fma_f32 v5, v106, v127, -v108
	v_mul_f32_e32 v128, v6, v132
	v_add_f32_e32 v2, v2, v8
	v_fmac_f32_e32 v138, v107, v127
	v_add_f32_e32 v3, v3, v137
	v_fma_f32 v4, v6, v125, -v4
	v_fmac_f32_e32 v128, v7, v125
	v_add_f32_e32 v2, v2, v5
	v_add_f32_e32 v3, v3, v138
	;; [unrolled: 1-line block ×4, first 2 shown]
	s_waitcnt vmcnt(0)
	v_sub_f32_e32 v2, v126, v2
	v_sub_f32_e32 v3, v152, v3
	buffer_store_dword v2, off, s[0:3], 0 offset:24
	buffer_store_dword v3, off, s[0:3], 0 offset:28
	v_cmpx_lt_u32_e32 2, v0
	s_cbranch_execz .LBB110_291
; %bb.290:
	s_clause 0x1
	buffer_load_dword v2, off, s[0:3], 0 offset:16
	buffer_load_dword v3, off, s[0:3], 0 offset:20
	buffer_store_dword v1, off, s[0:3], 0 offset:16
	buffer_store_dword v1, off, s[0:3], 0 offset:20
	s_waitcnt vmcnt(0)
	ds_write_b64 v103, v[2:3]
.LBB110_291:
	s_or_b32 exec_lo, exec_lo, s4
	s_waitcnt lgkmcnt(0)
	s_waitcnt_vscnt null, 0x0
	s_barrier
	buffer_gl0_inv
	s_clause 0x2c
	buffer_load_dword v142, off, s[0:3], 0 offset:28
	buffer_load_dword v143, off, s[0:3], 0 offset:36
	;; [unrolled: 1-line block ×45, first 2 shown]
	ds_read2_b64 v[134:137], v1 offset0:51 offset1:52
	ds_read2_b64 v[138:141], v1 offset0:53 offset1:54
	buffer_load_dword v152, off, s[0:3], 0 offset:20
	s_mov_b32 s4, exec_lo
	s_waitcnt vmcnt(45) lgkmcnt(1)
	v_mul_f32_e32 v150, v135, v142
	v_mul_f32_e32 v142, v134, v142
	s_waitcnt vmcnt(44)
	v_mul_f32_e32 v151, v136, v143
	v_mul_f32_e32 v143, v137, v143
	s_waitcnt vmcnt(41)
	v_fma_f32 v150, v134, v132, -v150
	v_fmac_f32_e32 v142, v135, v132
	v_fmac_f32_e32 v151, v137, v128
	v_fma_f32 v143, v136, v128, -v143
	ds_read2_b64 v[134:137], v1 offset0:55 offset1:56
	s_waitcnt vmcnt(40) lgkmcnt(1)
	v_mul_f32_e32 v153, v138, v127
	v_mul_f32_e32 v127, v139, v127
	s_waitcnt vmcnt(39)
	v_mul_f32_e32 v154, v140, v125
	v_mul_f32_e32 v125, v141, v125
	v_fmac_f32_e32 v153, v139, v114
	v_fma_f32 v114, v138, v114, -v127
	s_waitcnt vmcnt(35)
	v_fmac_f32_e32 v154, v141, v133
	v_fma_f32 v155, v140, v133, -v125
	ds_read2_b64 v[138:141], v1 offset0:57 offset1:58
	s_waitcnt vmcnt(34) lgkmcnt(1)
	v_mul_f32_e32 v156, v134, v131
	v_mul_f32_e32 v125, v135, v131
	s_waitcnt vmcnt(33)
	v_mul_f32_e32 v157, v136, v130
	v_mul_f32_e32 v127, v137, v130
	ds_read2_b64 v[130:133], v1 offset0:59 offset1:60
	v_fmac_f32_e32 v156, v135, v122
	v_fma_f32 v122, v134, v122, -v125
	v_fmac_f32_e32 v157, v137, v117
	v_fma_f32 v158, v136, v117, -v127
	ds_read2_b64 v[134:137], v1 offset0:61 offset1:62
	s_waitcnt vmcnt(32) lgkmcnt(2)
	v_mul_f32_e32 v159, v138, v121
	v_mul_f32_e32 v117, v139, v121
	s_waitcnt vmcnt(31)
	v_mul_f32_e32 v121, v140, v119
	v_mul_f32_e32 v119, v141, v119
	v_fmac_f32_e32 v159, v139, v104
	v_fma_f32 v138, v138, v104, -v117
	s_waitcnt vmcnt(27)
	v_fmac_f32_e32 v121, v141, v129
	v_fma_f32 v139, v140, v129, -v119
	s_waitcnt vmcnt(26) lgkmcnt(1)
	v_mul_f32_e32 v140, v130, v126
	v_mul_f32_e32 v104, v131, v126
	s_waitcnt vmcnt(25)
	v_mul_f32_e32 v141, v132, v124
	v_mul_f32_e32 v117, v133, v124
	ds_read2_b64 v[124:127], v1 offset0:63 offset1:64
	v_fmac_f32_e32 v140, v131, v115
	v_fma_f32 v115, v130, v115, -v104
	ds_read2_b64 v[128:131], v1 offset0:65 offset1:66
	v_fmac_f32_e32 v141, v133, v109
	v_fma_f32 v132, v132, v109, -v117
	s_waitcnt vmcnt(24) lgkmcnt(2)
	v_mul_f32_e32 v133, v134, v113
	v_mul_f32_e32 v104, v135, v113
	s_waitcnt vmcnt(23)
	v_mul_f32_e32 v113, v136, v111
	v_mul_f32_e32 v109, v137, v111
	v_fmac_f32_e32 v133, v135, v4
	v_fma_f32 v134, v134, v4, -v104
	s_waitcnt vmcnt(19)
	v_fmac_f32_e32 v113, v137, v123
	v_fma_f32 v123, v136, v123, -v109
	s_waitcnt vmcnt(18) lgkmcnt(1)
	v_mul_f32_e32 v135, v124, v120
	v_mul_f32_e32 v4, v125, v120
	s_waitcnt vmcnt(17)
	v_mul_f32_e32 v136, v126, v118
	v_mul_f32_e32 v104, v127, v118
	ds_read2_b64 v[117:120], v1 offset0:67 offset1:68
	v_fmac_f32_e32 v135, v125, v108
	v_fma_f32 v124, v124, v108, -v4
	v_fmac_f32_e32 v136, v127, v105
	v_fma_f32 v125, v126, v105, -v104
	s_waitcnt vmcnt(15) lgkmcnt(1)
	v_mul_f32_e32 v127, v130, v106
	v_mul_f32_e32 v104, v131, v106
	;; [unrolled: 1-line block ×4, first 2 shown]
	s_waitcnt vmcnt(11)
	v_fmac_f32_e32 v127, v131, v116
	v_fma_f32 v116, v130, v116, -v104
	ds_read2_b64 v[104:107], v1 offset0:69 offset1:70
	v_fmac_f32_e32 v126, v129, v3
	v_fma_f32 v128, v128, v3, -v4
	s_waitcnt vmcnt(10) lgkmcnt(1)
	v_mul_f32_e32 v129, v117, v112
	v_mul_f32_e32 v3, v118, v112
	s_waitcnt vmcnt(9)
	v_mul_f32_e32 v112, v119, v110
	v_mul_f32_e32 v4, v120, v110
	ds_read2_b64 v[108:111], v1 offset0:71 offset1:72
	v_fmac_f32_e32 v129, v118, v8
	v_fma_f32 v8, v117, v8, -v3
	v_fmac_f32_e32 v112, v120, v5
	v_fma_f32 v117, v119, v5, -v4
	s_waitcnt vmcnt(8) lgkmcnt(1)
	v_mul_f32_e32 v118, v104, v7
	v_mul_f32_e32 v3, v105, v7
	s_waitcnt vmcnt(7)
	v_mul_f32_e32 v7, v106, v6
	v_mul_f32_e32 v4, v107, v6
	buffer_load_dword v6, off, s[0:3], 0 offset:204
	v_fmac_f32_e32 v118, v105, v2
	v_fma_f32 v119, v104, v2, -v3
	s_waitcnt vmcnt(4)
	v_fmac_f32_e32 v7, v107, v147
	v_fma_f32 v120, v106, v147, -v4
	buffer_load_dword v106, off, s[0:3], 0 offset:212
	ds_read2_b64 v[2:5], v1 offset0:73 offset1:74
	s_waitcnt vmcnt(4) lgkmcnt(1)
	v_mul_f32_e32 v130, v108, v148
	v_mul_f32_e32 v104, v109, v148
	s_waitcnt vmcnt(3)
	v_mul_f32_e32 v131, v110, v149
	v_mul_f32_e32 v105, v111, v149
	v_fmac_f32_e32 v130, v109, v146
	v_fma_f32 v108, v108, v146, -v104
	v_fmac_f32_e32 v131, v111, v145
	v_fma_f32 v109, v110, v145, -v105
	s_clause 0x4
	buffer_load_dword v110, off, s[0:3], 0 offset:232
	buffer_load_dword v111, off, s[0:3], 0 offset:224
	;; [unrolled: 1-line block ×5, first 2 shown]
	s_waitcnt vmcnt(6) lgkmcnt(0)
	v_mul_f32_e32 v146, v2, v6
	v_mul_f32_e32 v6, v3, v6
	v_fmac_f32_e32 v146, v3, v144
	v_fma_f32 v6, v2, v144, -v6
	s_waitcnt vmcnt(5)
	v_mul_f32_e32 v144, v4, v106
	v_mul_f32_e32 v2, v5, v106
	s_waitcnt vmcnt(1)
	v_fmac_f32_e32 v144, v5, v104
	v_fma_f32 v147, v4, v104, -v2
	ds_read2_b64 v[2:5], v1 offset0:75 offset1:76
	ds_read2_b64 v[104:107], v1 offset0:77 offset1:78
	s_waitcnt vmcnt(0) lgkmcnt(1)
	v_mul_f32_e32 v148, v2, v145
	v_mul_f32_e32 v145, v3, v145
	v_fmac_f32_e32 v148, v3, v137
	v_fma_f32 v137, v2, v137, -v145
	s_clause 0x1
	buffer_load_dword v2, off, s[0:3], 0 offset:228
	buffer_load_dword v3, off, s[0:3], 0 offset:236
	s_waitcnt vmcnt(1)
	v_mul_f32_e32 v145, v4, v2
	v_mul_f32_e32 v2, v5, v2
	v_fmac_f32_e32 v145, v5, v111
	v_fma_f32 v149, v4, v111, -v2
	v_add_f32_e32 v2, 0, v150
	buffer_load_dword v5, off, s[0:3], 0 offset:244
	v_add_f32_e32 v4, 0, v142
	v_add_f32_e32 v2, v2, v143
	;; [unrolled: 1-line block ×4, first 2 shown]
	s_clause 0x3
	buffer_load_dword v114, off, s[0:3], 0 offset:264
	buffer_load_dword v111, off, s[0:3], 0 offset:256
	;; [unrolled: 1-line block ×4, first 2 shown]
	v_add_f32_e32 v4, v4, v153
	s_clause 0x1
	buffer_load_dword v150, off, s[0:3], 0 offset:260
	buffer_load_dword v151, off, s[0:3], 0 offset:268
	v_add_f32_e32 v2, v2, v155
	s_waitcnt vmcnt(7) lgkmcnt(0)
	v_mul_f32_e32 v153, v104, v3
	v_add_f32_e32 v4, v4, v154
	v_mul_f32_e32 v3, v105, v3
	v_add_f32_e32 v2, v2, v122
	buffer_load_dword v122, off, s[0:3], 0 offset:252
	v_add_f32_e32 v4, v4, v156
	v_fma_f32 v154, v104, v110, -v3
	v_fmac_f32_e32 v153, v105, v110
	v_add_f32_e32 v2, v2, v158
	v_add_f32_e32 v4, v4, v157
	;; [unrolled: 1-line block ×3, first 2 shown]
	buffer_load_dword v138, off, s[0:3], 0 offset:276
	v_add_f32_e32 v4, v4, v159
	v_add_f32_e32 v2, v2, v139
	;; [unrolled: 1-line block ×3, first 2 shown]
	s_clause 0x5
	buffer_load_dword v139, off, s[0:3], 0 offset:296
	buffer_load_dword v155, off, s[0:3], 0 offset:288
	;; [unrolled: 1-line block ×6, first 2 shown]
	v_add_f32_e32 v2, v2, v115
	v_add_f32_e32 v3, v3, v140
	;; [unrolled: 1-line block ×4, first 2 shown]
	s_clause 0x1
	buffer_load_dword v132, off, s[0:3], 0 offset:292
	buffer_load_dword v141, off, s[0:3], 0 offset:300
	v_add_f32_e32 v2, v2, v134
	v_add_f32_e32 v3, v3, v133
	s_clause 0x6
	buffer_load_dword v133, off, s[0:3], 0 offset:316
	buffer_load_dword v134, off, s[0:3], 0 offset:324
	buffer_load_dword v159, off, s[0:3], 0 offset:332
	buffer_load_dword v160, off, s[0:3], 0 offset:340
	buffer_load_dword v161, off, s[0:3], 0 offset:348
	buffer_load_dword v162, off, s[0:3], 0 offset:356
	buffer_load_dword v163, off, s[0:3], 0 offset:364
	v_add_f32_e32 v2, v2, v123
	v_add_f32_e32 v3, v3, v113
	;; [unrolled: 1-line block ×4, first 2 shown]
	buffer_load_dword v124, off, s[0:3], 0 offset:372
	v_add_f32_e32 v2, v2, v125
	v_add_f32_e32 v3, v3, v136
	s_clause 0x3
	buffer_load_dword v125, off, s[0:3], 0 offset:328
	buffer_load_dword v135, off, s[0:3], 0 offset:320
	;; [unrolled: 1-line block ×4, first 2 shown]
	v_add_f32_e32 v2, v2, v128
	v_add_f32_e32 v3, v3, v126
	;; [unrolled: 1-line block ×4, first 2 shown]
	s_clause 0x3
	buffer_load_dword v126, off, s[0:3], 0 offset:360
	buffer_load_dword v127, off, s[0:3], 0 offset:352
	;; [unrolled: 1-line block ×4, first 2 shown]
	v_add_f32_e32 v2, v2, v8
	buffer_load_dword v8, off, s[0:3], 0 offset:368
	v_add_f32_e32 v3, v3, v129
	buffer_load_dword v129, off, s[0:3], 0 offset:16
	v_add_f32_e32 v2, v2, v117
	v_add_f32_e32 v3, v3, v112
	;; [unrolled: 1-line block ×20, first 2 shown]
	s_waitcnt vmcnt(34)
	v_mul_f32_e32 v140, v106, v5
	v_mul_f32_e32 v4, v107, v5
	s_waitcnt vmcnt(30)
	v_fmac_f32_e32 v140, v107, v143
	v_fma_f32 v143, v106, v143, -v4
	ds_read2_b64 v[2:5], v1 offset0:79 offset1:80
	ds_read2_b64 v[104:107], v1 offset0:81 offset1:82
	v_add_f32_e32 v7, v7, v140
	v_add_f32_e32 v6, v6, v143
	s_waitcnt vmcnt(27) lgkmcnt(1)
	v_mul_f32_e32 v130, v2, v122
	v_mul_f32_e32 v109, v3, v122
	;; [unrolled: 1-line block ×4, first 2 shown]
	s_waitcnt lgkmcnt(0)
	v_mul_f32_e32 v146, v104, v151
	v_fmac_f32_e32 v130, v3, v142
	v_fma_f32 v120, v2, v142, -v109
	v_fmac_f32_e32 v131, v5, v111
	v_fma_f32 v142, v4, v111, -v110
	ds_read2_b64 v[2:5], v1 offset0:83 offset1:84
	ds_read2_b64 v[108:111], v1 offset0:85 offset1:86
	v_mul_f32_e32 v112, v105, v151
	s_waitcnt vmcnt(26)
	v_mul_f32_e32 v137, v106, v138
	v_mul_f32_e32 v113, v107, v138
	v_fmac_f32_e32 v146, v105, v114
	v_fma_f32 v138, v104, v114, -v112
	s_waitcnt vmcnt(22)
	v_fmac_f32_e32 v137, v107, v156
	v_fma_f32 v144, v106, v156, -v113
	ds_read2_b64 v[104:107], v1 offset0:87 offset1:88
	ds_read2_b64 v[112:115], v1 offset0:89 offset1:90
	;; [unrolled: 1-line block ×3, first 2 shown]
	s_waitcnt vmcnt(21) lgkmcnt(4)
	v_mul_f32_e32 v145, v2, v157
	v_mul_f32_e32 v122, v3, v157
	v_fmac_f32_e32 v145, v3, v121
	v_add_f32_e32 v3, v6, v120
	v_fma_f32 v2, v2, v121, -v122
	ds_read2_b64 v[120:123], v1 offset0:93 offset1:94
	v_add_f32_e32 v1, v7, v130
	s_waitcnt vmcnt(19)
	v_mul_f32_e32 v7, v5, v132
	v_add_f32_e32 v3, v3, v142
	v_mul_f32_e32 v6, v4, v132
	s_waitcnt vmcnt(18) lgkmcnt(4)
	v_mul_f32_e32 v132, v109, v141
	v_add_f32_e32 v1, v1, v131
	v_fma_f32 v4, v4, v155, -v7
	v_add_f32_e32 v3, v3, v138
	v_mul_f32_e32 v130, v108, v141
	v_fmac_f32_e32 v6, v5, v155
	v_add_f32_e32 v1, v1, v146
	v_fma_f32 v108, v108, v139, -v132
	v_add_f32_e32 v3, v3, v144
	v_mul_f32_e32 v131, v110, v158
	v_fmac_f32_e32 v130, v109, v139
	v_add_f32_e32 v1, v1, v137
	v_mul_f32_e32 v137, v111, v158
	v_add_f32_e32 v2, v3, v2
	s_waitcnt vmcnt(17) lgkmcnt(3)
	v_mul_f32_e32 v5, v104, v133
	s_waitcnt vmcnt(6)
	v_fmac_f32_e32 v131, v111, v164
	v_add_f32_e32 v1, v1, v145
	v_mul_f32_e32 v7, v106, v134
	v_add_f32_e32 v2, v2, v4
	v_mul_f32_e32 v4, v105, v133
	v_fmac_f32_e32 v5, v105, v136
	v_add_f32_e32 v1, v1, v6
	v_fma_f32 v6, v110, v164, -v137
	v_add_f32_e32 v2, v2, v108
	v_mul_f32_e32 v108, v107, v134
	v_fma_f32 v4, v104, v136, -v4
	v_add_f32_e32 v1, v1, v130
	s_waitcnt lgkmcnt(2)
	v_mul_f32_e32 v138, v112, v159
	v_add_f32_e32 v2, v2, v6
	v_mul_f32_e32 v6, v113, v159
	v_fma_f32 v104, v106, v135, -v108
	v_add_f32_e32 v1, v1, v131
	v_fmac_f32_e32 v7, v107, v135
	v_add_f32_e32 v2, v2, v4
	v_mul_f32_e32 v4, v115, v160
	v_mul_f32_e32 v140, v114, v160
	v_add_f32_e32 v1, v1, v5
	v_fma_f32 v5, v112, v125, -v6
	v_add_f32_e32 v2, v2, v104
	v_fmac_f32_e32 v138, v113, v125
	s_waitcnt lgkmcnt(1)
	v_mul_f32_e32 v6, v117, v161
	v_add_f32_e32 v1, v1, v7
	s_waitcnt vmcnt(2)
	v_fma_f32 v4, v114, v165, -v4
	v_add_f32_e32 v2, v2, v5
	v_mul_f32_e32 v141, v116, v161
	v_fmac_f32_e32 v140, v115, v165
	v_add_f32_e32 v1, v1, v138
	v_mul_f32_e32 v5, v119, v162
	v_fma_f32 v6, v116, v128, -v6
	v_add_f32_e32 v2, v2, v4
	v_mul_f32_e32 v142, v118, v162
	v_fmac_f32_e32 v141, v117, v128
	v_add_f32_e32 v1, v1, v140
	s_waitcnt lgkmcnt(0)
	v_mul_f32_e32 v4, v121, v163
	v_fma_f32 v5, v118, v127, -v5
	v_add_f32_e32 v2, v2, v6
	v_mul_f32_e32 v143, v120, v163
	v_fmac_f32_e32 v142, v119, v127
	v_add_f32_e32 v1, v1, v141
	v_mul_f32_e32 v6, v123, v124
	v_fma_f32 v4, v120, v126, -v4
	v_add_f32_e32 v2, v2, v5
	v_mul_f32_e32 v3, v122, v124
	v_fmac_f32_e32 v143, v121, v126
	v_add_f32_e32 v1, v1, v142
	s_waitcnt vmcnt(1)
	v_fma_f32 v5, v122, v8, -v6
	v_add_f32_e32 v2, v2, v4
	v_fmac_f32_e32 v3, v123, v8
	v_add_f32_e32 v1, v1, v143
	v_add_f32_e32 v2, v2, v5
	;; [unrolled: 1-line block ×3, first 2 shown]
	s_waitcnt vmcnt(0)
	v_sub_f32_e32 v2, v129, v2
	v_sub_f32_e32 v1, v152, v1
	buffer_store_dword v2, off, s[0:3], 0 offset:16
	buffer_store_dword v1, off, s[0:3], 0 offset:20
	v_cmpx_lt_u32_e32 1, v0
	s_cbranch_execz .LBB110_293
; %bb.292:
	s_clause 0x1
	buffer_load_dword v1, off, s[0:3], 0 offset:8
	buffer_load_dword v2, off, s[0:3], 0 offset:12
	v_mov_b32_e32 v3, 0
	buffer_store_dword v3, off, s[0:3], 0 offset:8
	buffer_store_dword v3, off, s[0:3], 0 offset:12
	s_waitcnt vmcnt(0)
	ds_write_b64 v103, v[1:2]
.LBB110_293:
	s_or_b32 exec_lo, exec_lo, s4
	s_waitcnt lgkmcnt(0)
	s_waitcnt_vscnt null, 0x0
	s_barrier
	buffer_gl0_inv
	s_clause 0x2c
	buffer_load_dword v142, off, s[0:3], 0 offset:20
	buffer_load_dword v143, off, s[0:3], 0 offset:28
	;; [unrolled: 1-line block ×45, first 2 shown]
	v_mov_b32_e32 v1, 0
	ds_read_b128 v[134:137], v1 offset:400
	ds_read_b128 v[138:141], v1 offset:416
	buffer_load_dword v152, off, s[0:3], 0 offset:12
	s_mov_b32 s4, exec_lo
	s_waitcnt vmcnt(45) lgkmcnt(1)
	v_mul_f32_e32 v150, v135, v142
	v_mul_f32_e32 v142, v134, v142
	s_waitcnt vmcnt(44)
	v_mul_f32_e32 v151, v136, v143
	v_mul_f32_e32 v143, v137, v143
	s_waitcnt vmcnt(41)
	v_fma_f32 v150, v134, v131, -v150
	v_fmac_f32_e32 v142, v135, v131
	v_fmac_f32_e32 v151, v137, v127
	v_fma_f32 v143, v136, v127, -v143
	ds_read_b128 v[134:137], v1 offset:432
	s_waitcnt vmcnt(40) lgkmcnt(1)
	v_mul_f32_e32 v153, v138, v126
	v_mul_f32_e32 v126, v139, v126
	s_waitcnt vmcnt(39)
	v_mul_f32_e32 v154, v140, v124
	v_mul_f32_e32 v124, v141, v124
	v_fmac_f32_e32 v153, v139, v113
	v_fma_f32 v113, v138, v113, -v126
	s_waitcnt vmcnt(35)
	v_fmac_f32_e32 v154, v141, v132
	v_fma_f32 v155, v140, v132, -v124
	ds_read_b128 v[138:141], v1 offset:448
	s_waitcnt vmcnt(34) lgkmcnt(1)
	v_mul_f32_e32 v156, v134, v130
	v_mul_f32_e32 v124, v135, v130
	s_waitcnt vmcnt(33)
	v_mul_f32_e32 v157, v136, v129
	v_mul_f32_e32 v126, v137, v129
	ds_read_b128 v[129:132], v1 offset:464
	v_fmac_f32_e32 v156, v135, v121
	v_fma_f32 v121, v134, v121, -v124
	v_fmac_f32_e32 v157, v137, v116
	v_fma_f32 v158, v136, v116, -v126
	ds_read_b128 v[134:137], v1 offset:480
	s_waitcnt vmcnt(32) lgkmcnt(2)
	v_mul_f32_e32 v159, v138, v120
	v_mul_f32_e32 v116, v139, v120
	s_waitcnt vmcnt(31)
	v_mul_f32_e32 v120, v140, v118
	v_mul_f32_e32 v118, v141, v118
	v_fmac_f32_e32 v159, v139, v8
	v_fma_f32 v8, v138, v8, -v116
	s_waitcnt vmcnt(27)
	v_fmac_f32_e32 v120, v141, v128
	v_fma_f32 v138, v140, v128, -v118
	buffer_load_dword v141, off, s[0:3], 0 offset:204
	s_waitcnt vmcnt(27) lgkmcnt(1)
	v_mul_f32_e32 v139, v129, v125
	v_mul_f32_e32 v116, v130, v125
	s_waitcnt vmcnt(26)
	v_mul_f32_e32 v140, v131, v123
	v_mul_f32_e32 v118, v132, v123
	ds_read_b128 v[123:126], v1 offset:496
	v_fmac_f32_e32 v139, v130, v114
	v_fma_f32 v114, v129, v114, -v116
	v_fmac_f32_e32 v140, v132, v108
	v_fma_f32 v131, v131, v108, -v118
	s_waitcnt vmcnt(25) lgkmcnt(1)
	v_mul_f32_e32 v132, v134, v112
	v_mul_f32_e32 v108, v135, v112
	s_waitcnt vmcnt(24)
	v_mul_f32_e32 v112, v136, v110
	v_mul_f32_e32 v110, v137, v110
	ds_read_b128 v[127:130], v1 offset:512
	v_fmac_f32_e32 v132, v135, v4
	v_fma_f32 v134, v134, v4, -v108
	s_waitcnt vmcnt(20)
	v_fmac_f32_e32 v112, v137, v122
	v_fma_f32 v122, v136, v122, -v110
	s_waitcnt vmcnt(19) lgkmcnt(1)
	v_mul_f32_e32 v135, v123, v119
	v_mul_f32_e32 v4, v124, v119
	s_waitcnt vmcnt(18)
	v_mul_f32_e32 v136, v125, v117
	v_mul_f32_e32 v108, v126, v117
	ds_read_b128 v[116:119], v1 offset:528
	v_fmac_f32_e32 v135, v124, v107
	v_fma_f32 v123, v123, v107, -v4
	v_fmac_f32_e32 v136, v126, v104
	v_fma_f32 v124, v125, v104, -v108
	s_waitcnt vmcnt(17) lgkmcnt(1)
	v_mul_f32_e32 v125, v127, v106
	s_waitcnt vmcnt(16)
	v_mul_f32_e32 v126, v129, v105
	v_mul_f32_e32 v104, v130, v105
	;; [unrolled: 1-line block ×3, first 2 shown]
	v_fmac_f32_e32 v125, v128, v3
	s_waitcnt vmcnt(12)
	v_fmac_f32_e32 v126, v130, v115
	v_fma_f32 v115, v129, v115, -v104
	ds_read_b128 v[104:107], v1 offset:544
	v_fma_f32 v127, v127, v3, -v4
	s_waitcnt vmcnt(11) lgkmcnt(1)
	v_mul_f32_e32 v128, v116, v111
	v_mul_f32_e32 v3, v117, v111
	s_waitcnt vmcnt(10)
	v_mul_f32_e32 v129, v118, v109
	v_mul_f32_e32 v4, v119, v109
	ds_read_b128 v[108:111], v1 offset:560
	v_fmac_f32_e32 v128, v117, v7
	buffer_load_dword v117, off, s[0:3], 0 offset:196
	v_fma_f32 v7, v116, v7, -v3
	v_fma_f32 v116, v118, v5, -v4
	v_fmac_f32_e32 v129, v119, v5
	s_waitcnt vmcnt(10) lgkmcnt(1)
	v_mul_f32_e32 v118, v104, v6
	v_mul_f32_e32 v3, v105, v6
	s_waitcnt vmcnt(9)
	v_mul_f32_e32 v4, v107, v133
	v_mul_f32_e32 v6, v106, v133
	v_fmac_f32_e32 v118, v105, v2
	v_fma_f32 v119, v104, v2, -v3
	s_waitcnt vmcnt(5)
	v_fma_f32 v130, v106, v147, -v4
	ds_read_b128 v[2:5], v1 offset:576
	v_fmac_f32_e32 v6, v107, v147
	s_waitcnt vmcnt(4) lgkmcnt(1)
	v_mul_f32_e32 v133, v108, v148
	v_mul_f32_e32 v104, v109, v148
	s_waitcnt vmcnt(3)
	v_mul_f32_e32 v137, v110, v149
	v_mul_f32_e32 v105, v111, v149
	v_fmac_f32_e32 v133, v109, v146
	v_fma_f32 v108, v108, v146, -v104
	v_fmac_f32_e32 v137, v111, v145
	v_fma_f32 v109, v110, v145, -v105
	s_clause 0x5
	buffer_load_dword v110, off, s[0:3], 0 offset:224
	buffer_load_dword v111, off, s[0:3], 0 offset:216
	;; [unrolled: 1-line block ×6, first 2 shown]
	v_add_f32_e32 v104, 0, v150
	v_add_f32_e32 v105, 0, v142
	buffer_load_dword v142, off, s[0:3], 0 offset:228
	v_add_f32_e32 v104, v104, v143
	buffer_load_dword v143, off, s[0:3], 0 offset:236
	v_add_f32_e32 v105, v105, v151
	v_add_f32_e32 v104, v104, v113
	s_clause 0x3
	buffer_load_dword v113, off, s[0:3], 0 offset:256
	buffer_load_dword v149, off, s[0:3], 0 offset:248
	;; [unrolled: 1-line block ×4, first 2 shown]
	v_add_f32_e32 v105, v105, v153
	v_add_f32_e32 v104, v104, v155
	;; [unrolled: 1-line block ×4, first 2 shown]
	buffer_load_dword v121, off, s[0:3], 0 offset:244
	v_add_f32_e32 v105, v105, v156
	v_add_f32_e32 v104, v104, v158
	s_waitcnt vmcnt(13) lgkmcnt(0)
	v_mul_f32_e32 v153, v2, v117
	v_mul_f32_e32 v106, v3, v117
	v_fmac_f32_e32 v153, v3, v144
	v_fma_f32 v117, v2, v144, -v106
	v_add_f32_e32 v2, v105, v157
	v_add_f32_e32 v3, v104, v8
	ds_read_b128 v[104:107], v1 offset:592
	buffer_load_dword v8, off, s[0:3], 0 offset:252
	v_add_f32_e32 v2, v2, v159
	v_add_f32_e32 v3, v3, v138
	v_mul_f32_e32 v138, v4, v141
	v_mul_f32_e32 v141, v5, v141
	v_add_f32_e32 v2, v2, v120
	v_add_f32_e32 v3, v3, v114
	s_clause 0x1
	buffer_load_dword v120, off, s[0:3], 0 offset:260
	buffer_load_dword v114, off, s[0:3], 0 offset:268
	v_add_f32_e32 v139, v2, v139
	v_add_f32_e32 v131, v3, v131
	s_waitcnt vmcnt(12)
	v_fmac_f32_e32 v138, v5, v146
	v_fma_f32 v141, v4, v146, -v141
	ds_read_b128 v[2:5], v1 offset:608
	v_add_f32_e32 v139, v139, v140
	s_waitcnt vmcnt(11) lgkmcnt(1)
	v_mul_f32_e32 v144, v104, v147
	v_mul_f32_e32 v146, v105, v147
	v_add_f32_e32 v131, v131, v134
	s_clause 0x3
	buffer_load_dword v134, off, s[0:3], 0 offset:288
	buffer_load_dword v140, off, s[0:3], 0 offset:280
	;; [unrolled: 1-line block ×4, first 2 shown]
	v_fmac_f32_e32 v144, v105, v145
	v_fma_f32 v145, v104, v145, -v146
	v_add_f32_e32 v104, v139, v132
	v_add_f32_e32 v105, v131, v122
	s_waitcnt vmcnt(14)
	v_mul_f32_e32 v122, v106, v148
	v_mul_f32_e32 v131, v107, v148
	s_clause 0x1
	buffer_load_dword v132, off, s[0:3], 0 offset:276
	buffer_load_dword v139, off, s[0:3], 0 offset:284
	v_add_f32_e32 v104, v104, v112
	v_add_f32_e32 v105, v105, v123
	v_fmac_f32_e32 v122, v107, v111
	v_fma_f32 v112, v106, v111, -v131
	buffer_load_dword v146, off, s[0:3], 0 offset:292
	v_add_f32_e32 v111, v104, v135
	v_add_f32_e32 v124, v105, v124
	s_clause 0x3
	buffer_load_dword v123, off, s[0:3], 0 offset:300
	buffer_load_dword v131, off, s[0:3], 0 offset:308
	;; [unrolled: 1-line block ×4, first 2 shown]
	ds_read_b128 v[104:107], v1 offset:624
	v_add_f32_e32 v111, v111, v136
	s_waitcnt vmcnt(20) lgkmcnt(1)
	v_mul_f32_e32 v136, v2, v142
	v_mul_f32_e32 v142, v3, v142
	v_add_f32_e32 v124, v124, v127
	s_waitcnt vmcnt(19)
	v_mul_f32_e32 v127, v4, v143
	v_add_f32_e32 v111, v111, v125
	v_mul_f32_e32 v125, v5, v143
	v_fmac_f32_e32 v136, v3, v110
	v_fma_f32 v142, v2, v110, -v142
	v_add_f32_e32 v2, v124, v115
	v_add_f32_e32 v3, v111, v126
	s_clause 0x3
	buffer_load_dword v124, off, s[0:3], 0 offset:332
	buffer_load_dword v126, off, s[0:3], 0 offset:340
	;; [unrolled: 1-line block ×4, first 2 shown]
	s_waitcnt vmcnt(19)
	v_fmac_f32_e32 v127, v5, v151
	v_fma_f32 v125, v4, v151, -v125
	buffer_load_dword v151, off, s[0:3], 0 offset:364
	v_add_f32_e32 v3, v3, v128
	s_clause 0x4
	buffer_load_dword v128, off, s[0:3], 0 offset:320
	buffer_load_dword v156, off, s[0:3], 0 offset:312
	;; [unrolled: 1-line block ×5, first 2 shown]
	v_add_f32_e32 v2, v2, v7
	s_waitcnt vmcnt(24) lgkmcnt(0)
	v_mul_f32_e32 v111, v105, v121
	v_add_f32_e32 v7, v3, v129
	v_mul_f32_e32 v129, v104, v121
	v_add_f32_e32 v2, v2, v116
	v_fma_f32 v116, v104, v150, -v111
	v_add_f32_e32 v7, v7, v118
	v_fmac_f32_e32 v129, v105, v150
	v_add_f32_e32 v110, v2, v119
	ds_read_b128 v[2:5], v1 offset:640
	v_add_f32_e32 v6, v7, v6
	v_add_f32_e32 v110, v110, v130
	s_clause 0x3
	buffer_load_dword v121, off, s[0:3], 0 offset:352
	buffer_load_dword v130, off, s[0:3], 0 offset:344
	;; [unrolled: 1-line block ×4, first 2 shown]
	v_add_f32_e32 v6, v6, v133
	s_clause 0x1
	buffer_load_dword v133, off, s[0:3], 0 offset:368
	buffer_load_dword v161, off, s[0:3], 0 offset:360
	v_add_f32_e32 v7, v110, v108
	v_add_f32_e32 v6, v6, v137
	buffer_load_dword v137, off, s[0:3], 0 offset:8
	v_add_f32_e32 v7, v7, v109
	ds_read_b128 v[108:111], v1 offset:672
	v_add_f32_e32 v6, v6, v153
	v_add_f32_e32 v7, v7, v117
	;; [unrolled: 1-line block ×14, first 2 shown]
	s_waitcnt vmcnt(30)
	v_mul_f32_e32 v162, v106, v8
	v_mul_f32_e32 v8, v107, v8
	v_fmac_f32_e32 v162, v107, v149
	v_fma_f32 v8, v106, v149, -v8
	ds_read_b128 v[104:107], v1 offset:656
	s_waitcnt vmcnt(29) lgkmcnt(2)
	v_mul_f32_e32 v115, v3, v120
	v_mul_f32_e32 v138, v2, v120
	s_waitcnt vmcnt(28)
	v_mul_f32_e32 v120, v4, v114
	v_mul_f32_e32 v114, v5, v114
	v_add_f32_e32 v8, v7, v8
	v_fma_f32 v141, v2, v113, -v115
	v_fmac_f32_e32 v138, v3, v113
	v_add_f32_e32 v127, v127, v162
	v_add_f32_e32 v8, v8, v141
	;; [unrolled: 1-line block ×3, first 2 shown]
	s_waitcnt vmcnt(24)
	v_fma_f32 v144, v4, v154, -v114
	v_fmac_f32_e32 v120, v5, v154
	ds_read_b128 v[2:5], v1 offset:688
	ds_read_b128 v[112:115], v1 offset:704
	ds_read_b64 v[6:7], v1 offset:752
	v_add_f32_e32 v8, v8, v144
	v_add_f32_e32 v120, v127, v120
	s_waitcnt vmcnt(23) lgkmcnt(3)
	v_mul_f32_e32 v117, v105, v132
	v_mul_f32_e32 v122, v104, v132
	s_waitcnt vmcnt(22)
	v_mul_f32_e32 v132, v106, v139
	v_mul_f32_e32 v125, v107, v139
	v_fma_f32 v136, v104, v147, -v117
	v_fmac_f32_e32 v122, v105, v147
	v_fmac_f32_e32 v132, v107, v140
	v_fma_f32 v125, v106, v140, -v125
	s_waitcnt vmcnt(21)
	v_mul_f32_e32 v140, v109, v146
	v_add_f32_e32 v8, v8, v136
	v_mul_f32_e32 v129, v108, v146
	v_add_f32_e32 v120, v120, v122
	s_waitcnt vmcnt(20)
	v_mul_f32_e32 v139, v110, v123
	v_mul_f32_e32 v123, v111, v123
	v_fma_f32 v108, v108, v134, -v140
	v_add_f32_e32 v8, v8, v125
	v_fmac_f32_e32 v129, v109, v134
	v_add_f32_e32 v120, v120, v132
	ds_read_b128 v[116:119], v1 offset:720
	ds_read_b128 v[104:107], v1 offset:736
	s_waitcnt vmcnt(19) lgkmcnt(4)
	v_mul_f32_e32 v138, v2, v131
	v_mul_f32_e32 v131, v3, v131
	v_add_f32_e32 v8, v8, v108
	v_add_f32_e32 v108, v120, v129
	s_waitcnt vmcnt(18)
	v_mul_f32_e32 v141, v4, v135
	s_waitcnt vmcnt(9)
	v_fmac_f32_e32 v138, v3, v157
	s_waitcnt vmcnt(8)
	v_fma_f32 v110, v110, v158, -v123
	v_fmac_f32_e32 v139, v111, v158
	v_mul_f32_e32 v111, v5, v135
	v_fma_f32 v2, v2, v157, -v131
	s_waitcnt lgkmcnt(3)
	v_mul_f32_e32 v142, v112, v148
	v_add_f32_e32 v3, v8, v110
	v_add_f32_e32 v8, v108, v139
	v_mul_f32_e32 v108, v113, v148
	v_fma_f32 v4, v4, v156, -v111
	v_fmac_f32_e32 v141, v5, v156
	v_add_f32_e32 v2, v3, v2
	v_add_f32_e32 v3, v8, v138
	v_mul_f32_e32 v5, v115, v124
	v_fma_f32 v8, v112, v128, -v108
	v_mul_f32_e32 v127, v114, v124
	v_add_f32_e32 v2, v2, v4
	v_fmac_f32_e32 v142, v113, v128
	v_add_f32_e32 v3, v3, v141
	s_waitcnt lgkmcnt(1)
	v_mul_f32_e32 v4, v117, v126
	s_waitcnt vmcnt(3)
	v_fma_f32 v5, v114, v160, -v5
	v_add_f32_e32 v2, v2, v8
	v_mul_f32_e32 v136, v116, v126
	v_fmac_f32_e32 v127, v115, v160
	v_add_f32_e32 v3, v3, v142
	v_mul_f32_e32 v8, v119, v143
	v_fma_f32 v4, v116, v150, -v4
	v_add_f32_e32 v2, v2, v5
	v_mul_f32_e32 v109, v118, v143
	v_fmac_f32_e32 v136, v117, v150
	v_add_f32_e32 v3, v3, v127
	s_waitcnt lgkmcnt(0)
	v_mul_f32_e32 v5, v105, v155
	v_fma_f32 v8, v118, v130, -v8
	v_add_f32_e32 v2, v2, v4
	v_mul_f32_e32 v122, v104, v155
	v_fmac_f32_e32 v109, v119, v130
	v_add_f32_e32 v3, v3, v136
	v_mul_f32_e32 v4, v107, v151
	v_fma_f32 v5, v104, v121, -v5
	v_add_f32_e32 v2, v2, v8
	v_mul_f32_e32 v125, v106, v151
	v_fmac_f32_e32 v122, v105, v121
	v_add_f32_e32 v3, v3, v109
	v_mul_f32_e32 v8, v7, v159
	s_waitcnt vmcnt(1)
	v_fma_f32 v4, v106, v161, -v4
	v_add_f32_e32 v2, v2, v5
	v_mul_f32_e32 v132, v6, v159
	v_fmac_f32_e32 v125, v107, v161
	v_add_f32_e32 v3, v3, v122
	v_fma_f32 v5, v6, v133, -v8
	v_add_f32_e32 v2, v2, v4
	v_fmac_f32_e32 v132, v7, v133
	v_add_f32_e32 v3, v3, v125
	v_add_f32_e32 v2, v2, v5
	;; [unrolled: 1-line block ×3, first 2 shown]
	s_waitcnt vmcnt(0)
	v_sub_f32_e32 v2, v137, v2
	v_sub_f32_e32 v3, v152, v3
	buffer_store_dword v2, off, s[0:3], 0 offset:8
	buffer_store_dword v3, off, s[0:3], 0 offset:12
	v_cmpx_ne_u32_e32 0, v0
	s_cbranch_execz .LBB110_295
; %bb.294:
	s_clause 0x1
	buffer_load_dword v2, off, s[0:3], 0
	buffer_load_dword v3, off, s[0:3], 0 offset:4
	buffer_store_dword v1, off, s[0:3], 0
	buffer_store_dword v1, off, s[0:3], 0 offset:4
	s_waitcnt vmcnt(0)
	ds_write_b64 v103, v[2:3]
.LBB110_295:
	s_or_b32 exec_lo, exec_lo, s4
	s_waitcnt lgkmcnt(0)
	s_waitcnt_vscnt null, 0x0
	s_barrier
	buffer_gl0_inv
	s_clause 0x2c
	buffer_load_dword v141, off, s[0:3], 0 offset:12
	buffer_load_dword v115, off, s[0:3], 0 offset:24
	;; [unrolled: 1-line block ×45, first 2 shown]
	ds_read2_b64 v[133:136], v1 offset0:49 offset1:50
	ds_read2_b64 v[137:140], v1 offset0:51 offset1:52
	buffer_load_dword v153, off, s[0:3], 0 offset:4
	s_and_b32 vcc_lo, exec_lo, s16
	s_waitcnt vmcnt(45) lgkmcnt(1)
	v_mul_f32_e32 v151, v134, v141
	v_mul_f32_e32 v152, v133, v141
	ds_read2_b64 v[141:144], v1 offset0:53 offset1:54
	s_waitcnt vmcnt(41)
	v_mul_f32_e32 v154, v135, v129
	v_mul_f32_e32 v129, v136, v129
	v_fma_f32 v151, v133, v131, -v151
	v_fmac_f32_e32 v152, v134, v131
	s_waitcnt vmcnt(40) lgkmcnt(1)
	v_mul_f32_e32 v156, v137, v127
	v_fmac_f32_e32 v154, v136, v124
	v_fma_f32 v155, v135, v124, -v129
	v_mul_f32_e32 v124, v138, v127
	ds_read2_b64 v[133:136], v1 offset0:55 offset1:56
	v_fmac_f32_e32 v156, v138, v115
	s_waitcnt vmcnt(39)
	v_mul_f32_e32 v157, v139, v120
	v_fma_f32 v127, v137, v115, -v124
	v_mul_f32_e32 v115, v140, v120
	s_waitcnt vmcnt(35)
	v_fmac_f32_e32 v157, v140, v132
	v_fma_f32 v158, v139, v132, -v115
	s_waitcnt vmcnt(34) lgkmcnt(1)
	v_mul_f32_e32 v159, v141, v130
	v_mul_f32_e32 v115, v142, v130
	ds_read2_b64 v[129:132], v1 offset0:57 offset1:58
	ds_read2_b64 v[137:140], v1 offset0:59 offset1:60
	v_fmac_f32_e32 v159, v142, v123
	v_fma_f32 v141, v141, v123, -v115
	s_waitcnt vmcnt(33)
	v_mul_f32_e32 v142, v143, v125
	v_mul_f32_e32 v115, v144, v125
	v_fmac_f32_e32 v142, v144, v116
	v_fma_f32 v143, v143, v116, -v115
	s_waitcnt vmcnt(32) lgkmcnt(2)
	v_mul_f32_e32 v144, v133, v121
	v_mul_f32_e32 v115, v134, v121
	v_fmac_f32_e32 v144, v134, v104
	v_fma_f32 v104, v133, v104, -v115
	s_waitcnt vmcnt(31)
	v_mul_f32_e32 v133, v135, v112
	v_mul_f32_e32 v112, v136, v112
	s_waitcnt vmcnt(26) lgkmcnt(1)
	v_mul_f32_e32 v134, v129, v126
	v_fmac_f32_e32 v133, v136, v128
	v_fma_f32 v128, v135, v128, -v112
	v_mul_f32_e32 v112, v130, v126
	ds_read2_b64 v[123:126], v1 offset0:61 offset1:62
	v_fmac_f32_e32 v134, v130, v117
	s_waitcnt vmcnt(25)
	v_mul_f32_e32 v130, v131, v118
	s_waitcnt vmcnt(23) lgkmcnt(1)
	v_mul_f32_e32 v136, v139, v106
	v_fma_f32 v129, v129, v117, -v112
	v_mul_f32_e32 v112, v132, v118
	ds_read2_b64 v[115:118], v1 offset0:63 offset1:64
	v_fmac_f32_e32 v130, v132, v108
	v_mul_f32_e32 v132, v137, v113
	s_waitcnt vmcnt(19)
	v_fmac_f32_e32 v136, v140, v122
	v_fma_f32 v131, v131, v108, -v112
	v_mul_f32_e32 v108, v138, v113
	v_fmac_f32_e32 v132, v138, v4
	v_fma_f32 v135, v137, v4, -v108
	v_mul_f32_e32 v4, v140, v106
	s_waitcnt vmcnt(18) lgkmcnt(1)
	v_mul_f32_e32 v138, v123, v119
	v_fma_f32 v137, v139, v122, -v4
	v_mul_f32_e32 v4, v124, v119
	ds_read2_b64 v[119:122], v1 offset0:65 offset1:66
	v_fmac_f32_e32 v138, v124, v109
	s_waitcnt vmcnt(17)
	v_mul_f32_e32 v124, v125, v110
	v_fma_f32 v123, v123, v109, -v4
	v_mul_f32_e32 v4, v126, v110
	v_fmac_f32_e32 v124, v126, v8
	v_fma_f32 v8, v125, v8, -v4
	s_waitcnt vmcnt(16) lgkmcnt(1)
	v_mul_f32_e32 v125, v115, v107
	v_mul_f32_e32 v4, v116, v107
	ds_read2_b64 v[106:109], v1 offset0:67 offset1:68
	v_fmac_f32_e32 v125, v116, v2
	v_fma_f32 v115, v115, v2, -v4
	s_waitcnt vmcnt(15)
	v_mul_f32_e32 v116, v117, v6
	v_mul_f32_e32 v2, v118, v6
	s_waitcnt vmcnt(11)
	v_fmac_f32_e32 v116, v118, v114
	v_fma_f32 v6, v117, v114, -v2
	s_waitcnt vmcnt(10) lgkmcnt(1)
	v_mul_f32_e32 v114, v119, v111
	v_mul_f32_e32 v2, v120, v111
	ds_read2_b64 v[110:113], v1 offset0:69 offset1:70
	s_waitcnt vmcnt(9)
	v_mul_f32_e32 v118, v121, v105
	v_fmac_f32_e32 v114, v120, v103
	v_fma_f32 v117, v119, v103, -v2
	v_mul_f32_e32 v2, v122, v105
	buffer_load_dword v103, off, s[0:3], 0 offset:188
	v_fmac_f32_e32 v118, v122, v3
	s_waitcnt vmcnt(9) lgkmcnt(1)
	v_mul_f32_e32 v120, v106, v7
	v_fma_f32 v119, v121, v3, -v2
	buffer_load_dword v121, off, s[0:3], 0 offset:196
	v_mul_f32_e32 v2, v107, v7
	s_waitcnt vmcnt(9)
	v_mul_f32_e32 v7, v108, v5
	v_mul_f32_e32 v3, v109, v5
	v_fmac_f32_e32 v120, v107, v0
	v_fma_f32 v0, v106, v0, -v2
	s_waitcnt vmcnt(5)
	v_fmac_f32_e32 v7, v109, v148
	v_fma_f32 v107, v108, v148, -v3
	ds_read2_b64 v[2:5], v1 offset0:71 offset1:72
	s_waitcnt vmcnt(4) lgkmcnt(1)
	v_mul_f32_e32 v108, v110, v149
	v_mul_f32_e32 v105, v111, v149
	s_waitcnt vmcnt(3)
	v_mul_f32_e32 v109, v112, v150
	v_mul_f32_e32 v106, v113, v150
	v_fmac_f32_e32 v108, v111, v147
	v_fma_f32 v110, v110, v147, -v105
	v_fmac_f32_e32 v109, v113, v146
	v_fma_f32 v111, v112, v146, -v106
	s_clause 0x6
	buffer_load_dword v112, off, s[0:3], 0 offset:216
	buffer_load_dword v113, off, s[0:3], 0 offset:208
	;; [unrolled: 1-line block ×7, first 2 shown]
	v_add_f32_e32 v106, 0, v151
	v_add_f32_e32 v146, 0, v152
	;; [unrolled: 1-line block ×5, first 2 shown]
	s_clause 0x5
	buffer_load_dword v127, off, s[0:3], 0 offset:228
	buffer_load_dword v147, off, s[0:3], 0 offset:248
	;; [unrolled: 1-line block ×6, first 2 shown]
	v_add_f32_e32 v146, v146, v156
	v_add_f32_e32 v106, v106, v158
	;; [unrolled: 1-line block ×5, first 2 shown]
	s_clause 0x1
	buffer_load_dword v146, off, s[0:3], 0 offset:244
	buffer_load_dword v152, off, s[0:3], 0 offset:252
	v_add_f32_e32 v106, v106, v143
	buffer_load_dword v143, off, s[0:3], 0 offset:260
	v_add_f32_e32 v141, v141, v142
	v_add_f32_e32 v104, v106, v104
	;; [unrolled: 1-line block ×7, first 2 shown]
	s_waitcnt vmcnt(17) lgkmcnt(0)
	v_mul_f32_e32 v142, v2, v103
	v_mul_f32_e32 v103, v3, v103
	s_waitcnt vmcnt(16)
	v_mul_f32_e32 v154, v4, v121
	v_mul_f32_e32 v106, v5, v121
	v_fma_f32 v121, v2, v145, -v103
	v_add_f32_e32 v103, v141, v144
	v_fmac_f32_e32 v142, v3, v145
	v_add_f32_e32 v103, v103, v133
	v_add_f32_e32 v103, v103, v134
	s_waitcnt vmcnt(12)
	v_fmac_f32_e32 v154, v5, v105
	v_fma_f32 v128, v4, v105, -v106
	ds_read2_b64 v[2:5], v1 offset0:73 offset1:74
	s_clause 0x3
	buffer_load_dword v129, off, s[0:3], 0 offset:280
	buffer_load_dword v133, off, s[0:3], 0 offset:272
	;; [unrolled: 1-line block ×4, first 2 shown]
	v_add_f32_e32 v103, v103, v130
	s_clause 0x2
	buffer_load_dword v130, off, s[0:3], 0 offset:268
	buffer_load_dword v134, off, s[0:3], 0 offset:276
	;; [unrolled: 1-line block ×3, first 2 shown]
	v_add_f32_e32 v132, v103, v132
	ds_read2_b64 v[103:106], v1 offset0:75 offset1:76
	v_add_f32_e32 v132, v132, v136
	s_waitcnt vmcnt(18) lgkmcnt(1)
	v_mul_f32_e32 v137, v2, v126
	v_mul_f32_e32 v126, v3, v126
	s_waitcnt vmcnt(17)
	v_mul_f32_e32 v136, v4, v139
	v_mul_f32_e32 v139, v5, v139
	v_fmac_f32_e32 v137, v3, v122
	v_add_f32_e32 v3, v131, v123
	v_fma_f32 v122, v2, v122, -v126
	v_add_f32_e32 v2, v132, v138
	v_fmac_f32_e32 v136, v5, v113
	v_fma_f32 v113, v4, v113, -v139
	v_add_f32_e32 v3, v3, v8
	s_clause 0x7
	buffer_load_dword v8, off, s[0:3], 0 offset:292
	buffer_load_dword v123, off, s[0:3], 0 offset:300
	;; [unrolled: 1-line block ×8, first 2 shown]
	v_add_f32_e32 v2, v2, v124
	s_waitcnt vmcnt(24) lgkmcnt(0)
	v_mul_f32_e32 v4, v104, v140
	buffer_load_dword v124, off, s[0:3], 0 offset:324
	v_add_f32_e32 v3, v3, v115
	v_mul_f32_e32 v115, v103, v140
	v_add_f32_e32 v2, v2, v125
	v_add_f32_e32 v3, v3, v6
	v_fmac_f32_e32 v115, v104, v112
	v_fma_f32 v112, v103, v112, -v4
	v_add_f32_e32 v2, v2, v116
	s_clause 0x2
	buffer_load_dword v6, off, s[0:3], 0 offset:332
	buffer_load_dword v125, off, s[0:3], 0 offset:340
	;; [unrolled: 1-line block ×3, first 2 shown]
	v_add_f32_e32 v103, v3, v117
	s_waitcnt vmcnt(27)
	v_mul_f32_e32 v3, v106, v127
	s_clause 0x1
	buffer_load_dword v155, off, s[0:3], 0 offset:356
	buffer_load_dword v156, off, s[0:3], 0 offset:364
	v_mul_f32_e32 v116, v105, v127
	v_add_f32_e32 v104, v2, v114
	buffer_load_dword v127, off, s[0:3], 0 offset:372
	s_waitcnt vmcnt(26)
	v_fma_f32 v117, v105, v150, -v3
	ds_read2_b64 v[2:5], v1 offset0:77 offset1:78
	v_fmac_f32_e32 v116, v106, v150
	v_add_f32_e32 v103, v103, v119
	v_add_f32_e32 v104, v104, v118
	s_clause 0x3
	buffer_load_dword v150, off, s[0:3], 0 offset:344
	buffer_load_dword v157, off, s[0:3], 0 offset:336
	;; [unrolled: 1-line block ×4, first 2 shown]
	v_add_f32_e32 v0, v103, v0
	v_add_f32_e32 v103, v104, v120
	;; [unrolled: 1-line block ×4, first 2 shown]
	ds_read2_b64 v[103:106], v1 offset0:79 offset1:80
	v_add_f32_e32 v0, v0, v110
	v_add_f32_e32 v7, v7, v108
	s_waitcnt vmcnt(29) lgkmcnt(1)
	v_mul_f32_e32 v118, v2, v151
	v_mul_f32_e32 v107, v3, v151
	v_add_f32_e32 v0, v0, v111
	s_waitcnt vmcnt(28)
	v_mul_f32_e32 v120, v4, v146
	v_fmac_f32_e32 v118, v3, v149
	v_fma_f32 v119, v2, v149, -v107
	v_add_f32_e32 v2, v7, v109
	s_clause 0x3
	buffer_load_dword v7, off, s[0:3], 0 offset:368
	buffer_load_dword v149, off, s[0:3], 0 offset:360
	;; [unrolled: 1-line block ×3, first 2 shown]
	buffer_load_dword v160, off, s[0:3], 0
	v_add_f32_e32 v0, v0, v121
	v_fmac_f32_e32 v120, v5, v148
	v_add_f32_e32 v107, v2, v142
	v_mul_f32_e32 v2, v5, v146
	s_waitcnt vmcnt(31) lgkmcnt(0)
	v_mul_f32_e32 v111, v104, v152
	v_add_f32_e32 v0, v0, v128
	v_mul_f32_e32 v128, v103, v152
	v_add_f32_e32 v107, v107, v154
	v_fma_f32 v121, v4, v148, -v2
	ds_read2_b64 v[2:5], v1 offset0:81 offset1:82
	v_add_f32_e32 v0, v0, v122
	s_waitcnt vmcnt(30)
	v_mul_f32_e32 v142, v105, v143
	v_add_f32_e32 v114, v107, v137
	ds_read2_b64 v[107:110], v1 offset0:83 offset1:84
	v_fma_f32 v137, v103, v147, -v111
	v_add_f32_e32 v0, v0, v113
	v_mul_f32_e32 v113, v106, v143
	v_add_f32_e32 v122, v114, v136
	v_fmac_f32_e32 v128, v104, v147
	v_add_f32_e32 v0, v0, v112
	v_add_f32_e32 v115, v122, v115
	;; [unrolled: 1-line block ×8, first 2 shown]
	s_waitcnt vmcnt(26)
	v_fma_f32 v136, v105, v144, -v113
	v_fmac_f32_e32 v142, v106, v144
	s_waitcnt vmcnt(25) lgkmcnt(1)
	v_mul_f32_e32 v143, v2, v130
	v_mul_f32_e32 v122, v3, v130
	s_waitcnt vmcnt(24)
	v_mul_f32_e32 v130, v4, v134
	v_mul_f32_e32 v117, v5, v134
	ds_read2_b64 v[103:106], v1 offset0:85 offset1:86
	ds_read2_b64 v[111:114], v1 offset0:87 offset1:88
	v_fmac_f32_e32 v143, v3, v141
	v_fma_f32 v134, v2, v141, -v122
	v_add_f32_e32 v141, v119, v120
	v_add_f32_e32 v0, v0, v136
	v_fmac_f32_e32 v130, v5, v133
	v_fma_f32 v133, v4, v133, -v117
	ds_read2_b64 v[2:5], v1 offset0:89 offset1:90
	ds_read2_b64 v[115:118], v1 offset0:91 offset1:92
	v_add_f32_e32 v128, v141, v128
	ds_read2_b64 v[119:122], v1 offset0:93 offset1:94
	s_waitcnt vmcnt(23) lgkmcnt(5)
	v_mul_f32_e32 v1, v107, v135
	v_mul_f32_e32 v135, v108, v135
	v_add_f32_e32 v0, v0, v134
	v_add_f32_e32 v128, v128, v142
	v_fmac_f32_e32 v1, v108, v129
	v_fma_f32 v107, v107, v129, -v135
	v_add_f32_e32 v0, v0, v133
	v_add_f32_e32 v128, v128, v143
	s_waitcnt vmcnt(22)
	v_mul_f32_e32 v137, v109, v8
	v_mul_f32_e32 v8, v110, v8
	s_waitcnt vmcnt(21) lgkmcnt(4)
	v_mul_f32_e32 v136, v103, v123
	v_mul_f32_e32 v123, v104, v123
	v_add_f32_e32 v128, v128, v130
	v_add_f32_e32 v0, v0, v107
	s_waitcnt vmcnt(15)
	v_fma_f32 v8, v109, v145, -v8
	v_fmac_f32_e32 v137, v110, v145
	v_mul_f32_e32 v108, v105, v126
	v_add_f32_e32 v1, v128, v1
	v_mul_f32_e32 v126, v106, v126
	v_fma_f32 v103, v103, v139, -v123
	v_add_f32_e32 v0, v0, v8
	v_fmac_f32_e32 v136, v104, v139
	v_add_f32_e32 v1, v1, v137
	s_waitcnt lgkmcnt(3)
	v_mul_f32_e32 v8, v112, v131
	v_fma_f32 v104, v105, v138, -v126
	v_add_f32_e32 v0, v0, v103
	v_mul_f32_e32 v129, v111, v131
	v_fmac_f32_e32 v108, v106, v138
	v_add_f32_e32 v1, v1, v136
	s_waitcnt vmcnt(14)
	v_mul_f32_e32 v103, v114, v124
	v_fma_f32 v8, v111, v132, -v8
	v_add_f32_e32 v0, v0, v104
	v_mul_f32_e32 v134, v113, v124
	v_fmac_f32_e32 v129, v112, v132
	v_add_f32_e32 v1, v1, v108
	s_waitcnt vmcnt(13) lgkmcnt(2)
	v_mul_f32_e32 v135, v2, v6
	v_mul_f32_e32 v6, v3, v6
	v_add_f32_e32 v0, v0, v8
	s_waitcnt vmcnt(12)
	v_mul_f32_e32 v8, v5, v125
	s_waitcnt vmcnt(4)
	v_fma_f32 v103, v113, v159, -v103
	v_fmac_f32_e32 v134, v114, v159
	v_add_f32_e32 v1, v1, v129
	v_fma_f32 v2, v2, v158, -v6
	v_mul_f32_e32 v109, v4, v125
	v_add_f32_e32 v0, v0, v103
	v_fmac_f32_e32 v135, v3, v158
	v_add_f32_e32 v1, v1, v134
	s_waitcnt lgkmcnt(1)
	v_mul_f32_e32 v3, v116, v140
	v_fma_f32 v4, v4, v157, -v8
	v_add_f32_e32 v0, v0, v2
	v_mul_f32_e32 v110, v115, v140
	v_fmac_f32_e32 v109, v5, v157
	v_add_f32_e32 v1, v1, v135
	v_mul_f32_e32 v2, v118, v155
	v_fma_f32 v3, v115, v150, -v3
	v_add_f32_e32 v0, v0, v4
	v_mul_f32_e32 v130, v117, v155
	v_fmac_f32_e32 v110, v116, v150
	v_add_f32_e32 v1, v1, v109
	s_waitcnt lgkmcnt(0)
	v_mul_f32_e32 v4, v120, v156
	v_add_f32_e32 v0, v0, v3
	v_mul_f32_e32 v133, v119, v156
	v_mul_f32_e32 v3, v122, v127
	s_waitcnt vmcnt(1)
	v_fma_f32 v2, v117, v151, -v2
	v_fmac_f32_e32 v130, v118, v151
	v_add_f32_e32 v1, v1, v110
	v_fma_f32 v4, v119, v149, -v4
	v_mul_f32_e32 v107, v121, v127
	v_add_f32_e32 v0, v0, v2
	v_fmac_f32_e32 v133, v120, v149
	v_add_f32_e32 v1, v1, v130
	v_fma_f32 v2, v121, v7, -v3
	v_fmac_f32_e32 v107, v122, v7
	v_add_f32_e32 v0, v0, v4
	v_add_f32_e32 v1, v1, v133
	;; [unrolled: 1-line block ×4, first 2 shown]
	s_waitcnt vmcnt(0)
	v_sub_f32_e32 v0, v160, v0
	v_sub_f32_e32 v1, v153, v1
	buffer_store_dword v0, off, s[0:3], 0
	buffer_store_dword v1, off, s[0:3], 0 offset:4
	s_cbranch_vccz .LBB110_388
; %bb.296:
	v_mov_b32_e32 v0, 0
	global_load_dword v1, v0, s[12:13] offset:180
	s_waitcnt vmcnt(0)
	v_add_nc_u32_e32 v1, -1, v1
	v_cmp_ne_u32_e32 vcc_lo, 45, v1
	s_cbranch_vccz .LBB110_298
; %bb.297:
	v_lshlrev_b32_e32 v1, 3, v1
	s_clause 0x3
	buffer_load_dword v2, v1, s[0:3], 0 offen
	buffer_load_dword v3, v1, s[0:3], 0 offen offset:4
	buffer_load_dword v4, off, s[0:3], 0 offset:360
	buffer_load_dword v5, off, s[0:3], 0 offset:364
	s_waitcnt vmcnt(3)
	buffer_store_dword v2, off, s[0:3], 0 offset:360
	s_waitcnt vmcnt(2)
	buffer_store_dword v3, off, s[0:3], 0 offset:364
	s_waitcnt vmcnt(1)
	buffer_store_dword v4, v1, s[0:3], 0 offen
	s_waitcnt vmcnt(0)
	buffer_store_dword v5, v1, s[0:3], 0 offen offset:4
.LBB110_298:
	global_load_dword v0, v0, s[12:13] offset:176
	s_waitcnt vmcnt(0)
	v_add_nc_u32_e32 v0, -1, v0
	v_cmp_eq_u32_e32 vcc_lo, 44, v0
	s_cbranch_vccnz .LBB110_300
; %bb.299:
	v_lshlrev_b32_e32 v0, 3, v0
	s_clause 0x3
	buffer_load_dword v1, v0, s[0:3], 0 offen
	buffer_load_dword v2, v0, s[0:3], 0 offen offset:4
	buffer_load_dword v3, off, s[0:3], 0 offset:356
	buffer_load_dword v4, off, s[0:3], 0 offset:352
	s_waitcnt vmcnt(3)
	buffer_store_dword v1, off, s[0:3], 0 offset:352
	s_waitcnt vmcnt(2)
	buffer_store_dword v2, off, s[0:3], 0 offset:356
	s_waitcnt vmcnt(1)
	buffer_store_dword v3, v0, s[0:3], 0 offen offset:4
	s_waitcnt vmcnt(0)
	buffer_store_dword v4, v0, s[0:3], 0 offen
.LBB110_300:
	v_mov_b32_e32 v0, 0
	global_load_dword v1, v0, s[12:13] offset:172
	s_waitcnt vmcnt(0)
	v_add_nc_u32_e32 v1, -1, v1
	v_cmp_eq_u32_e32 vcc_lo, 43, v1
	s_cbranch_vccnz .LBB110_302
; %bb.301:
	v_lshlrev_b32_e32 v1, 3, v1
	s_clause 0x3
	buffer_load_dword v2, v1, s[0:3], 0 offen
	buffer_load_dword v3, v1, s[0:3], 0 offen offset:4
	buffer_load_dword v4, off, s[0:3], 0 offset:344
	buffer_load_dword v5, off, s[0:3], 0 offset:348
	s_waitcnt vmcnt(3)
	buffer_store_dword v2, off, s[0:3], 0 offset:344
	s_waitcnt vmcnt(2)
	buffer_store_dword v3, off, s[0:3], 0 offset:348
	s_waitcnt vmcnt(1)
	buffer_store_dword v4, v1, s[0:3], 0 offen
	s_waitcnt vmcnt(0)
	buffer_store_dword v5, v1, s[0:3], 0 offen offset:4
.LBB110_302:
	global_load_dword v0, v0, s[12:13] offset:168
	s_waitcnt vmcnt(0)
	v_add_nc_u32_e32 v0, -1, v0
	v_cmp_eq_u32_e32 vcc_lo, 42, v0
	s_cbranch_vccnz .LBB110_304
; %bb.303:
	v_lshlrev_b32_e32 v0, 3, v0
	s_clause 0x3
	buffer_load_dword v1, v0, s[0:3], 0 offen
	buffer_load_dword v2, v0, s[0:3], 0 offen offset:4
	buffer_load_dword v3, off, s[0:3], 0 offset:340
	buffer_load_dword v4, off, s[0:3], 0 offset:336
	s_waitcnt vmcnt(3)
	buffer_store_dword v1, off, s[0:3], 0 offset:336
	s_waitcnt vmcnt(2)
	buffer_store_dword v2, off, s[0:3], 0 offset:340
	s_waitcnt vmcnt(1)
	buffer_store_dword v3, v0, s[0:3], 0 offen offset:4
	s_waitcnt vmcnt(0)
	buffer_store_dword v4, v0, s[0:3], 0 offen
.LBB110_304:
	v_mov_b32_e32 v0, 0
	global_load_dword v1, v0, s[12:13] offset:164
	s_waitcnt vmcnt(0)
	v_add_nc_u32_e32 v1, -1, v1
	v_cmp_eq_u32_e32 vcc_lo, 41, v1
	s_cbranch_vccnz .LBB110_306
; %bb.305:
	v_lshlrev_b32_e32 v1, 3, v1
	s_clause 0x3
	buffer_load_dword v2, v1, s[0:3], 0 offen
	buffer_load_dword v3, v1, s[0:3], 0 offen offset:4
	buffer_load_dword v4, off, s[0:3], 0 offset:328
	buffer_load_dword v5, off, s[0:3], 0 offset:332
	s_waitcnt vmcnt(3)
	buffer_store_dword v2, off, s[0:3], 0 offset:328
	s_waitcnt vmcnt(2)
	buffer_store_dword v3, off, s[0:3], 0 offset:332
	s_waitcnt vmcnt(1)
	buffer_store_dword v4, v1, s[0:3], 0 offen
	s_waitcnt vmcnt(0)
	buffer_store_dword v5, v1, s[0:3], 0 offen offset:4
.LBB110_306:
	;; [unrolled: 43-line block ×22, first 2 shown]
	global_load_dword v0, v0, s[12:13]
	s_waitcnt vmcnt(0)
	v_add_nc_u32_e32 v0, -1, v0
	v_cmp_eq_u32_e32 vcc_lo, 0, v0
	s_cbranch_vccnz .LBB110_388
; %bb.387:
	v_lshlrev_b32_e32 v0, 3, v0
	s_clause 0x3
	buffer_load_dword v1, v0, s[0:3], 0 offen
	buffer_load_dword v2, v0, s[0:3], 0 offen offset:4
	buffer_load_dword v3, off, s[0:3], 0 offset:4
	buffer_load_dword v4, off, s[0:3], 0
	s_waitcnt vmcnt(3)
	buffer_store_dword v1, off, s[0:3], 0
	s_waitcnt vmcnt(2)
	buffer_store_dword v2, off, s[0:3], 0 offset:4
	s_waitcnt vmcnt(1)
	buffer_store_dword v3, v0, s[0:3], 0 offen offset:4
	s_waitcnt vmcnt(0)
	buffer_store_dword v4, v0, s[0:3], 0 offen
.LBB110_388:
	s_clause 0x1
	buffer_load_dword v0, off, s[0:3], 0
	buffer_load_dword v1, off, s[0:3], 0 offset:4
	s_waitcnt vmcnt(0)
	flat_store_dwordx2 v[9:10], v[0:1]
	s_clause 0x1
	buffer_load_dword v0, off, s[0:3], 0 offset:8
	buffer_load_dword v1, off, s[0:3], 0 offset:12
	s_waitcnt vmcnt(0)
	flat_store_dwordx2 v[11:12], v[0:1]
	s_clause 0x1
	buffer_load_dword v0, off, s[0:3], 0 offset:16
	;; [unrolled: 5-line block ×46, first 2 shown]
	buffer_load_dword v1, off, s[0:3], 0 offset:372
	s_waitcnt vmcnt(0)
	flat_store_dwordx2 v[101:102], v[0:1]
	s_endpgm
	.section	.rodata,"a",@progbits
	.p2align	6, 0x0
	.amdhsa_kernel _ZN9rocsolver6v33100L18getri_kernel_smallILi47E19rocblas_complex_numIfEPKPS3_EEvT1_iilPiilS8_bb
		.amdhsa_group_segment_fixed_size 760
		.amdhsa_private_segment_fixed_size 384
		.amdhsa_kernarg_size 60
		.amdhsa_user_sgpr_count 6
		.amdhsa_user_sgpr_private_segment_buffer 1
		.amdhsa_user_sgpr_dispatch_ptr 0
		.amdhsa_user_sgpr_queue_ptr 0
		.amdhsa_user_sgpr_kernarg_segment_ptr 1
		.amdhsa_user_sgpr_dispatch_id 0
		.amdhsa_user_sgpr_flat_scratch_init 0
		.amdhsa_user_sgpr_private_segment_size 0
		.amdhsa_wavefront_size32 1
		.amdhsa_uses_dynamic_stack 0
		.amdhsa_system_sgpr_private_segment_wavefront_offset 1
		.amdhsa_system_sgpr_workgroup_id_x 1
		.amdhsa_system_sgpr_workgroup_id_y 0
		.amdhsa_system_sgpr_workgroup_id_z 0
		.amdhsa_system_sgpr_workgroup_info 0
		.amdhsa_system_vgpr_workitem_id 0
		.amdhsa_next_free_vgpr 254
		.amdhsa_next_free_sgpr 20
		.amdhsa_reserve_vcc 1
		.amdhsa_reserve_flat_scratch 0
		.amdhsa_float_round_mode_32 0
		.amdhsa_float_round_mode_16_64 0
		.amdhsa_float_denorm_mode_32 3
		.amdhsa_float_denorm_mode_16_64 3
		.amdhsa_dx10_clamp 1
		.amdhsa_ieee_mode 1
		.amdhsa_fp16_overflow 0
		.amdhsa_workgroup_processor_mode 1
		.amdhsa_memory_ordered 1
		.amdhsa_forward_progress 1
		.amdhsa_shared_vgpr_count 0
		.amdhsa_exception_fp_ieee_invalid_op 0
		.amdhsa_exception_fp_denorm_src 0
		.amdhsa_exception_fp_ieee_div_zero 0
		.amdhsa_exception_fp_ieee_overflow 0
		.amdhsa_exception_fp_ieee_underflow 0
		.amdhsa_exception_fp_ieee_inexact 0
		.amdhsa_exception_int_div_zero 0
	.end_amdhsa_kernel
	.section	.text._ZN9rocsolver6v33100L18getri_kernel_smallILi47E19rocblas_complex_numIfEPKPS3_EEvT1_iilPiilS8_bb,"axG",@progbits,_ZN9rocsolver6v33100L18getri_kernel_smallILi47E19rocblas_complex_numIfEPKPS3_EEvT1_iilPiilS8_bb,comdat
.Lfunc_end110:
	.size	_ZN9rocsolver6v33100L18getri_kernel_smallILi47E19rocblas_complex_numIfEPKPS3_EEvT1_iilPiilS8_bb, .Lfunc_end110-_ZN9rocsolver6v33100L18getri_kernel_smallILi47E19rocblas_complex_numIfEPKPS3_EEvT1_iilPiilS8_bb
                                        ; -- End function
	.set _ZN9rocsolver6v33100L18getri_kernel_smallILi47E19rocblas_complex_numIfEPKPS3_EEvT1_iilPiilS8_bb.num_vgpr, 254
	.set _ZN9rocsolver6v33100L18getri_kernel_smallILi47E19rocblas_complex_numIfEPKPS3_EEvT1_iilPiilS8_bb.num_agpr, 0
	.set _ZN9rocsolver6v33100L18getri_kernel_smallILi47E19rocblas_complex_numIfEPKPS3_EEvT1_iilPiilS8_bb.numbered_sgpr, 20
	.set _ZN9rocsolver6v33100L18getri_kernel_smallILi47E19rocblas_complex_numIfEPKPS3_EEvT1_iilPiilS8_bb.num_named_barrier, 0
	.set _ZN9rocsolver6v33100L18getri_kernel_smallILi47E19rocblas_complex_numIfEPKPS3_EEvT1_iilPiilS8_bb.private_seg_size, 384
	.set _ZN9rocsolver6v33100L18getri_kernel_smallILi47E19rocblas_complex_numIfEPKPS3_EEvT1_iilPiilS8_bb.uses_vcc, 1
	.set _ZN9rocsolver6v33100L18getri_kernel_smallILi47E19rocblas_complex_numIfEPKPS3_EEvT1_iilPiilS8_bb.uses_flat_scratch, 0
	.set _ZN9rocsolver6v33100L18getri_kernel_smallILi47E19rocblas_complex_numIfEPKPS3_EEvT1_iilPiilS8_bb.has_dyn_sized_stack, 0
	.set _ZN9rocsolver6v33100L18getri_kernel_smallILi47E19rocblas_complex_numIfEPKPS3_EEvT1_iilPiilS8_bb.has_recursion, 0
	.set _ZN9rocsolver6v33100L18getri_kernel_smallILi47E19rocblas_complex_numIfEPKPS3_EEvT1_iilPiilS8_bb.has_indirect_call, 0
	.section	.AMDGPU.csdata,"",@progbits
; Kernel info:
; codeLenInByte = 87776
; TotalNumSgprs: 22
; NumVgprs: 254
; ScratchSize: 384
; MemoryBound: 0
; FloatMode: 240
; IeeeMode: 1
; LDSByteSize: 760 bytes/workgroup (compile time only)
; SGPRBlocks: 0
; VGPRBlocks: 31
; NumSGPRsForWavesPerEU: 22
; NumVGPRsForWavesPerEU: 254
; Occupancy: 4
; WaveLimiterHint : 1
; COMPUTE_PGM_RSRC2:SCRATCH_EN: 1
; COMPUTE_PGM_RSRC2:USER_SGPR: 6
; COMPUTE_PGM_RSRC2:TRAP_HANDLER: 0
; COMPUTE_PGM_RSRC2:TGID_X_EN: 1
; COMPUTE_PGM_RSRC2:TGID_Y_EN: 0
; COMPUTE_PGM_RSRC2:TGID_Z_EN: 0
; COMPUTE_PGM_RSRC2:TIDIG_COMP_CNT: 0
	.section	.text._ZN9rocsolver6v33100L18getri_kernel_smallILi48E19rocblas_complex_numIfEPKPS3_EEvT1_iilPiilS8_bb,"axG",@progbits,_ZN9rocsolver6v33100L18getri_kernel_smallILi48E19rocblas_complex_numIfEPKPS3_EEvT1_iilPiilS8_bb,comdat
	.globl	_ZN9rocsolver6v33100L18getri_kernel_smallILi48E19rocblas_complex_numIfEPKPS3_EEvT1_iilPiilS8_bb ; -- Begin function _ZN9rocsolver6v33100L18getri_kernel_smallILi48E19rocblas_complex_numIfEPKPS3_EEvT1_iilPiilS8_bb
	.p2align	8
	.type	_ZN9rocsolver6v33100L18getri_kernel_smallILi48E19rocblas_complex_numIfEPKPS3_EEvT1_iilPiilS8_bb,@function
_ZN9rocsolver6v33100L18getri_kernel_smallILi48E19rocblas_complex_numIfEPKPS3_EEvT1_iilPiilS8_bb: ; @_ZN9rocsolver6v33100L18getri_kernel_smallILi48E19rocblas_complex_numIfEPKPS3_EEvT1_iilPiilS8_bb
; %bb.0:
	s_add_u32 s0, s0, s7
	s_addc_u32 s1, s1, 0
	s_mov_b32 s7, exec_lo
	v_cmpx_gt_u32_e32 48, v0
	s_cbranch_execz .LBB111_206
; %bb.1:
	s_clause 0x2
	s_load_dword s17, s[4:5], 0x38
	s_load_dwordx2 s[12:13], s[4:5], 0x0
	s_load_dwordx4 s[8:11], s[4:5], 0x28
	s_waitcnt lgkmcnt(0)
	s_bitcmp1_b32 s17, 8
	s_cselect_b32 s16, -1, 0
	s_ashr_i32 s7, s6, 31
	s_lshl_b64 s[14:15], s[6:7], 3
	s_add_u32 s12, s12, s14
	s_addc_u32 s13, s13, s15
	s_load_dwordx2 s[14:15], s[12:13], 0x0
	s_bfe_u32 s12, s17, 0x10008
	s_cmp_eq_u32 s12, 0
                                        ; implicit-def: $sgpr12_sgpr13
	s_cbranch_scc1 .LBB111_3
; %bb.2:
	s_clause 0x1
	s_load_dword s12, s[4:5], 0x20
	s_load_dwordx2 s[18:19], s[4:5], 0x18
	s_mul_i32 s13, s8, s7
	s_mul_hi_u32 s17, s8, s6
	s_mul_i32 s9, s9, s6
	s_add_i32 s13, s17, s13
	s_mul_i32 s8, s8, s6
	s_add_i32 s9, s13, s9
	s_lshl_b64 s[8:9], s[8:9], 2
	s_waitcnt lgkmcnt(0)
	s_ashr_i32 s13, s12, 31
	s_add_u32 s17, s18, s8
	s_addc_u32 s18, s19, s9
	s_lshl_b64 s[8:9], s[12:13], 2
	s_add_u32 s12, s17, s8
	s_addc_u32 s13, s18, s9
.LBB111_3:
	s_clause 0x1
	s_load_dwordx2 s[8:9], s[4:5], 0x8
	s_load_dword s17, s[4:5], 0x38
	v_lshlrev_b32_e32 v3, 3, v0
	s_waitcnt lgkmcnt(0)
	s_ashr_i32 s5, s8, 31
	s_mov_b32 s4, s8
	v_add3_u32 v4, s9, s9, v0
	s_lshl_b64 s[4:5], s[4:5], 3
	s_add_u32 s4, s14, s4
	s_addc_u32 s5, s15, s5
	v_add_co_u32 v9, s8, s4, v3
	v_add_co_ci_u32_e64 v10, null, s5, 0, s8
	s_mov_b32 s14, s9
	s_ashr_i32 s15, s9, 31
	v_ashrrev_i32_e32 v5, 31, v4
	flat_load_dwordx2 v[1:2], v[9:10]
	s_lshl_b64 s[14:15], s[14:15], 3
	s_bitcmp0_b32 s17, 0
	v_add_co_u32 v11, vcc_lo, v9, s14
	v_add_co_ci_u32_e64 v12, null, s15, v10, vcc_lo
	v_lshlrev_b64 v[5:6], 3, v[4:5]
	v_add_nc_u32_e32 v4, s9, v4
	s_waitcnt vmcnt(0) lgkmcnt(0)
	buffer_store_dword v2, off, s[0:3], 0 offset:4
	buffer_store_dword v1, off, s[0:3], 0
	flat_load_dwordx2 v[1:2], v[11:12]
	v_add_co_u32 v13, vcc_lo, s4, v5
	v_add_co_ci_u32_e64 v14, null, s5, v6, vcc_lo
	v_ashrrev_i32_e32 v5, 31, v4
	s_waitcnt vmcnt(0) lgkmcnt(0)
	buffer_store_dword v2, off, s[0:3], 0 offset:12
	buffer_store_dword v1, off, s[0:3], 0 offset:8
	flat_load_dwordx2 v[1:2], v[13:14]
	v_lshlrev_b64 v[5:6], 3, v[4:5]
	v_add_nc_u32_e32 v4, s9, v4
	s_waitcnt vmcnt(0) lgkmcnt(0)
	buffer_store_dword v2, off, s[0:3], 0 offset:20
	buffer_store_dword v1, off, s[0:3], 0 offset:16
	v_add_co_u32 v15, vcc_lo, s4, v5
	v_add_co_ci_u32_e64 v16, null, s5, v6, vcc_lo
	v_ashrrev_i32_e32 v5, 31, v4
	flat_load_dwordx2 v[1:2], v[15:16]
	s_waitcnt vmcnt(0) lgkmcnt(0)
	buffer_store_dword v2, off, s[0:3], 0 offset:28
	buffer_store_dword v1, off, s[0:3], 0 offset:24
	v_lshlrev_b64 v[5:6], 3, v[4:5]
	v_add_nc_u32_e32 v4, s9, v4
	v_add_co_u32 v17, vcc_lo, s4, v5
	v_add_co_ci_u32_e64 v18, null, s5, v6, vcc_lo
	v_ashrrev_i32_e32 v5, 31, v4
	flat_load_dwordx2 v[1:2], v[17:18]
	s_waitcnt vmcnt(0) lgkmcnt(0)
	buffer_store_dword v2, off, s[0:3], 0 offset:36
	buffer_store_dword v1, off, s[0:3], 0 offset:32
	v_lshlrev_b64 v[5:6], 3, v[4:5]
	v_add_nc_u32_e32 v4, s9, v4
	;; [unrolled: 9-line block ×43, first 2 shown]
	v_add_co_u32 v101, vcc_lo, s4, v5
	v_add_co_ci_u32_e64 v102, null, s5, v6, vcc_lo
	v_ashrrev_i32_e32 v5, 31, v4
	flat_load_dwordx2 v[1:2], v[101:102]
	s_waitcnt vmcnt(0) lgkmcnt(0)
	buffer_store_dword v2, off, s[0:3], 0 offset:372
	buffer_store_dword v1, off, s[0:3], 0 offset:368
	v_lshlrev_b64 v[4:5], 3, v[4:5]
	v_add_co_u32 v103, vcc_lo, s4, v4
	v_add_co_ci_u32_e64 v104, null, s5, v5, vcc_lo
	s_mov_b32 s5, -1
	flat_load_dwordx2 v[1:2], v[103:104]
	s_waitcnt vmcnt(0) lgkmcnt(0)
	buffer_store_dword v2, off, s[0:3], 0 offset:380
	buffer_store_dword v1, off, s[0:3], 0 offset:376
	s_cbranch_scc1 .LBB111_204
; %bb.4:
	v_cmp_eq_u32_e64 s4, 0, v0
	s_and_saveexec_b32 s5, s4
; %bb.5:
	v_mov_b32_e32 v1, 0
	ds_write_b32 v1, v1 offset:768
; %bb.6:
	s_or_b32 exec_lo, exec_lo, s5
	v_lshl_add_u32 v5, v0, 3, 0
	s_waitcnt lgkmcnt(0)
	s_waitcnt_vscnt null, 0x0
	s_barrier
	buffer_gl0_inv
	s_clause 0x1
	buffer_load_dword v1, v5, s[0:3], 0 offen
	buffer_load_dword v2, v5, s[0:3], 0 offen offset:4
	s_waitcnt vmcnt(1)
	v_cmp_eq_f32_e32 vcc_lo, 0, v1
	s_waitcnt vmcnt(0)
	v_cmp_eq_f32_e64 s5, 0, v2
	s_and_b32 s5, vcc_lo, s5
	s_and_saveexec_b32 s8, s5
	s_cbranch_execz .LBB111_10
; %bb.7:
	v_mov_b32_e32 v1, 0
	s_mov_b32 s9, 0
	ds_read_b32 v2, v1 offset:768
	s_waitcnt lgkmcnt(0)
	v_readfirstlane_b32 s5, v2
	v_add_nc_u32_e32 v2, 1, v0
	s_cmp_eq_u32 s5, 0
	v_cmp_gt_i32_e32 vcc_lo, s5, v2
	s_cselect_b32 s14, -1, 0
	s_or_b32 s14, s14, vcc_lo
	s_and_b32 exec_lo, exec_lo, s14
	s_cbranch_execz .LBB111_10
; %bb.8:
	v_mov_b32_e32 v4, s5
.LBB111_9:                              ; =>This Inner Loop Header: Depth=1
	ds_cmpst_rtn_b32 v4, v1, v4, v2 offset:768
	s_waitcnt lgkmcnt(0)
	v_cmp_ne_u32_e32 vcc_lo, 0, v4
	v_cmp_le_i32_e64 s5, v4, v2
	s_and_b32 s5, vcc_lo, s5
	s_and_b32 s5, exec_lo, s5
	s_or_b32 s9, s5, s9
	s_andn2_b32 exec_lo, exec_lo, s9
	s_cbranch_execnz .LBB111_9
.LBB111_10:
	s_or_b32 exec_lo, exec_lo, s8
	v_mov_b32_e32 v1, 0
	s_barrier
	buffer_gl0_inv
	ds_read_b32 v2, v1 offset:768
	s_and_saveexec_b32 s5, s4
	s_cbranch_execz .LBB111_12
; %bb.11:
	s_lshl_b64 s[8:9], s[6:7], 2
	s_add_u32 s8, s10, s8
	s_addc_u32 s9, s11, s9
	s_waitcnt lgkmcnt(0)
	global_store_dword v1, v2, s[8:9]
.LBB111_12:
	s_or_b32 exec_lo, exec_lo, s5
	s_waitcnt lgkmcnt(0)
	v_cmp_ne_u32_e32 vcc_lo, 0, v2
	s_mov_b32 s5, 0
	s_cbranch_vccnz .LBB111_204
; %bb.13:
	s_clause 0x1
	buffer_load_dword v2, v5, s[0:3], 0 offen
	buffer_load_dword v4, v5, s[0:3], 0 offen offset:4
                                        ; implicit-def: $vgpr7
                                        ; implicit-def: $vgpr6
                                        ; implicit-def: $vgpr1
	s_waitcnt vmcnt(0)
	v_cmp_ngt_f32_e64 s5, |v2|, |v4|
	s_and_saveexec_b32 s8, s5
	s_xor_b32 s5, exec_lo, s8
	s_cbranch_execz .LBB111_15
; %bb.14:
	v_div_scale_f32 v1, null, v4, v4, v2
	v_div_scale_f32 v8, vcc_lo, v2, v4, v2
	v_rcp_f32_e32 v6, v1
	v_fma_f32 v7, -v1, v6, 1.0
	v_fmac_f32_e32 v6, v7, v6
	v_mul_f32_e32 v7, v8, v6
	v_fma_f32 v105, -v1, v7, v8
	v_fmac_f32_e32 v7, v105, v6
	v_fma_f32 v1, -v1, v7, v8
	v_div_fmas_f32 v1, v1, v6, v7
	v_div_fixup_f32 v1, v1, v4, v2
	v_fmac_f32_e32 v4, v2, v1
	v_div_scale_f32 v2, null, v4, v4, 1.0
	v_rcp_f32_e32 v6, v2
	v_fma_f32 v7, -v2, v6, 1.0
	v_fmac_f32_e32 v6, v7, v6
	v_div_scale_f32 v7, vcc_lo, 1.0, v4, 1.0
	v_mul_f32_e32 v8, v7, v6
	v_fma_f32 v105, -v2, v8, v7
	v_fmac_f32_e32 v8, v105, v6
	v_fma_f32 v2, -v2, v8, v7
	v_div_fmas_f32 v2, v2, v6, v8
	v_div_fixup_f32 v2, v2, v4, 1.0
                                        ; implicit-def: $vgpr4
	v_mul_f32_e32 v7, v1, v2
	v_xor_b32_e32 v6, 0x80000000, v2
                                        ; implicit-def: $vgpr2
	v_xor_b32_e32 v1, 0x80000000, v7
.LBB111_15:
	s_andn2_saveexec_b32 s5, s5
	s_cbranch_execz .LBB111_17
; %bb.16:
	v_div_scale_f32 v1, null, v2, v2, v4
	v_div_scale_f32 v8, vcc_lo, v4, v2, v4
	v_rcp_f32_e32 v6, v1
	v_fma_f32 v7, -v1, v6, 1.0
	v_fmac_f32_e32 v6, v7, v6
	v_mul_f32_e32 v7, v8, v6
	v_fma_f32 v105, -v1, v7, v8
	v_fmac_f32_e32 v7, v105, v6
	v_fma_f32 v1, -v1, v7, v8
	v_div_fmas_f32 v1, v1, v6, v7
	v_div_fixup_f32 v6, v1, v2, v4
	v_fmac_f32_e32 v2, v4, v6
	v_div_scale_f32 v1, null, v2, v2, 1.0
	v_div_scale_f32 v8, vcc_lo, 1.0, v2, 1.0
	v_rcp_f32_e32 v4, v1
	v_fma_f32 v7, -v1, v4, 1.0
	v_fmac_f32_e32 v4, v7, v4
	v_mul_f32_e32 v7, v8, v4
	v_fma_f32 v105, -v1, v7, v8
	v_fmac_f32_e32 v7, v105, v4
	v_fma_f32 v1, -v1, v7, v8
	v_div_fmas_f32 v1, v1, v4, v7
	v_div_fixup_f32 v7, v1, v2, 1.0
	v_xor_b32_e32 v1, 0x80000000, v7
	v_mul_f32_e64 v6, v6, -v7
.LBB111_17:
	s_or_b32 exec_lo, exec_lo, s5
	buffer_store_dword v7, v5, s[0:3], 0 offen
	buffer_store_dword v6, v5, s[0:3], 0 offen offset:4
	s_clause 0x1
	buffer_load_dword v8, off, s[0:3], 0 offset:12
	buffer_load_dword v7, off, s[0:3], 0 offset:8
	v_xor_b32_e32 v2, 0x80000000, v6
	v_add_nc_u32_e32 v4, 0x180, v3
	s_waitcnt vmcnt(0)
	ds_write2_b64 v3, v[1:2], v[7:8] offset1:48
	s_waitcnt lgkmcnt(0)
	s_waitcnt_vscnt null, 0x0
	s_barrier
	buffer_gl0_inv
	s_and_saveexec_b32 s5, s4
	s_cbranch_execz .LBB111_19
; %bb.18:
	s_clause 0x1
	buffer_load_dword v8, v5, s[0:3], 0 offen offset:4
	buffer_load_dword v105, v5, s[0:3], 0 offen
	ds_read_b64 v[1:2], v4
	v_mov_b32_e32 v6, 0
	ds_read_b64 v[6:7], v6 offset:8
	s_waitcnt vmcnt(1) lgkmcnt(1)
	v_mul_f32_e32 v106, v1, v8
	v_mul_f32_e32 v8, v2, v8
	s_waitcnt vmcnt(0)
	v_fmac_f32_e32 v106, v2, v105
	v_fma_f32 v1, v1, v105, -v8
	v_add_f32_e32 v2, 0, v106
	v_add_f32_e32 v1, 0, v1
	s_waitcnt lgkmcnt(0)
	v_mul_f32_e32 v8, v2, v7
	v_mul_f32_e32 v7, v1, v7
	v_fma_f32 v1, v1, v6, -v8
	v_fmac_f32_e32 v7, v2, v6
	buffer_store_dword v1, off, s[0:3], 0 offset:8
	buffer_store_dword v7, off, s[0:3], 0 offset:12
.LBB111_19:
	s_or_b32 exec_lo, exec_lo, s5
	s_waitcnt_vscnt null, 0x0
	s_barrier
	buffer_gl0_inv
	s_clause 0x1
	buffer_load_dword v1, off, s[0:3], 0 offset:16
	buffer_load_dword v2, off, s[0:3], 0 offset:20
	s_mov_b32 s5, exec_lo
	s_waitcnt vmcnt(0)
	ds_write_b64 v4, v[1:2]
	s_waitcnt lgkmcnt(0)
	s_barrier
	buffer_gl0_inv
	v_cmpx_gt_u32_e32 2, v0
	s_cbranch_execz .LBB111_23
; %bb.20:
	s_clause 0x1
	buffer_load_dword v6, v5, s[0:3], 0 offen offset:4
	buffer_load_dword v5, v5, s[0:3], 0 offen
	ds_read_b64 v[1:2], v4
	s_waitcnt vmcnt(1) lgkmcnt(0)
	v_mul_f32_e32 v7, v2, v6
	v_mul_f32_e32 v6, v1, v6
	s_waitcnt vmcnt(0)
	v_fma_f32 v1, v1, v5, -v7
	v_fmac_f32_e32 v6, v2, v5
	v_add_f32_e32 v2, 0, v1
	v_add_f32_e32 v1, 0, v6
	s_and_saveexec_b32 s8, s4
	s_cbranch_execz .LBB111_22
; %bb.21:
	s_clause 0x1
	buffer_load_dword v7, off, s[0:3], 0 offset:12
	buffer_load_dword v8, off, s[0:3], 0 offset:8
	v_mov_b32_e32 v5, 0
	ds_read_b64 v[5:6], v5 offset:392
	s_waitcnt vmcnt(1) lgkmcnt(0)
	v_mul_f32_e32 v105, v5, v7
	v_mul_f32_e32 v7, v6, v7
	s_waitcnt vmcnt(0)
	v_fmac_f32_e32 v105, v6, v8
	v_fma_f32 v5, v5, v8, -v7
	v_add_f32_e32 v1, v1, v105
	v_add_f32_e32 v2, v2, v5
.LBB111_22:
	s_or_b32 exec_lo, exec_lo, s8
	v_mov_b32_e32 v5, 0
	ds_read_b64 v[5:6], v5 offset:16
	s_waitcnt lgkmcnt(0)
	v_mul_f32_e32 v7, v1, v6
	v_mul_f32_e32 v6, v2, v6
	v_fma_f32 v2, v2, v5, -v7
	v_fmac_f32_e32 v6, v1, v5
	buffer_store_dword v2, off, s[0:3], 0 offset:16
	buffer_store_dword v6, off, s[0:3], 0 offset:20
.LBB111_23:
	s_or_b32 exec_lo, exec_lo, s5
	s_waitcnt_vscnt null, 0x0
	s_barrier
	buffer_gl0_inv
	s_clause 0x1
	buffer_load_dword v5, off, s[0:3], 0 offset:24
	buffer_load_dword v6, off, s[0:3], 0 offset:28
	v_add_nc_u32_e32 v1, -1, v0
	s_mov_b32 s4, exec_lo
	s_waitcnt vmcnt(0)
	ds_write_b64 v4, v[5:6]
	s_waitcnt lgkmcnt(0)
	s_barrier
	buffer_gl0_inv
	v_cmpx_gt_u32_e32 3, v0
	s_cbranch_execz .LBB111_27
; %bb.24:
	v_add_nc_u32_e32 v5, -1, v0
	v_add_nc_u32_e32 v6, 0x180, v3
	v_mov_b32_e32 v7, v3
	v_mov_b32_e32 v2, 0
	;; [unrolled: 1-line block ×3, first 2 shown]
	s_mov_b32 s5, 0
	.p2align	6
.LBB111_25:                             ; =>This Inner Loop Header: Depth=1
	s_clause 0x1
	buffer_load_dword v107, v7, s[0:3], 0 offen offset:4
	buffer_load_dword v108, v7, s[0:3], 0 offen
	ds_read_b64 v[105:106], v6
	v_add_nc_u32_e32 v5, 1, v5
	v_add_nc_u32_e32 v6, 8, v6
	;; [unrolled: 1-line block ×3, first 2 shown]
	v_cmp_lt_u32_e32 vcc_lo, 1, v5
	s_or_b32 s5, vcc_lo, s5
	s_waitcnt vmcnt(1) lgkmcnt(0)
	v_mul_f32_e32 v109, v106, v107
	v_mul_f32_e32 v107, v105, v107
	s_waitcnt vmcnt(0)
	v_fma_f32 v105, v105, v108, -v109
	v_fmac_f32_e32 v107, v106, v108
	v_add_f32_e32 v8, v8, v105
	v_add_f32_e32 v2, v2, v107
	s_andn2_b32 exec_lo, exec_lo, s5
	s_cbranch_execnz .LBB111_25
; %bb.26:
	s_or_b32 exec_lo, exec_lo, s5
	v_mov_b32_e32 v5, 0
	ds_read_b64 v[5:6], v5 offset:24
	s_waitcnt lgkmcnt(0)
	v_mul_f32_e32 v7, v2, v6
	v_mul_f32_e32 v6, v8, v6
	v_fma_f32 v7, v8, v5, -v7
	v_fmac_f32_e32 v6, v2, v5
	buffer_store_dword v7, off, s[0:3], 0 offset:24
	buffer_store_dword v6, off, s[0:3], 0 offset:28
.LBB111_27:
	s_or_b32 exec_lo, exec_lo, s4
	s_waitcnt_vscnt null, 0x0
	s_barrier
	buffer_gl0_inv
	s_clause 0x1
	buffer_load_dword v5, off, s[0:3], 0 offset:32
	buffer_load_dword v6, off, s[0:3], 0 offset:36
	s_mov_b32 s4, exec_lo
	s_waitcnt vmcnt(0)
	ds_write_b64 v4, v[5:6]
	s_waitcnt lgkmcnt(0)
	s_barrier
	buffer_gl0_inv
	v_cmpx_gt_u32_e32 4, v0
	s_cbranch_execz .LBB111_31
; %bb.28:
	v_add_nc_u32_e32 v5, -1, v0
	v_add_nc_u32_e32 v6, 0x180, v3
	v_mov_b32_e32 v7, v3
	v_mov_b32_e32 v2, 0
	;; [unrolled: 1-line block ×3, first 2 shown]
	s_mov_b32 s5, 0
	.p2align	6
.LBB111_29:                             ; =>This Inner Loop Header: Depth=1
	s_clause 0x1
	buffer_load_dword v107, v7, s[0:3], 0 offen offset:4
	buffer_load_dword v108, v7, s[0:3], 0 offen
	ds_read_b64 v[105:106], v6
	v_add_nc_u32_e32 v5, 1, v5
	v_add_nc_u32_e32 v6, 8, v6
	;; [unrolled: 1-line block ×3, first 2 shown]
	v_cmp_lt_u32_e32 vcc_lo, 2, v5
	s_or_b32 s5, vcc_lo, s5
	s_waitcnt vmcnt(1) lgkmcnt(0)
	v_mul_f32_e32 v109, v106, v107
	v_mul_f32_e32 v107, v105, v107
	s_waitcnt vmcnt(0)
	v_fma_f32 v105, v105, v108, -v109
	v_fmac_f32_e32 v107, v106, v108
	v_add_f32_e32 v8, v8, v105
	v_add_f32_e32 v2, v2, v107
	s_andn2_b32 exec_lo, exec_lo, s5
	s_cbranch_execnz .LBB111_29
; %bb.30:
	s_or_b32 exec_lo, exec_lo, s5
	v_mov_b32_e32 v5, 0
	ds_read_b64 v[5:6], v5 offset:32
	s_waitcnt lgkmcnt(0)
	v_mul_f32_e32 v7, v2, v6
	v_mul_f32_e32 v6, v8, v6
	v_fma_f32 v7, v8, v5, -v7
	v_fmac_f32_e32 v6, v2, v5
	buffer_store_dword v7, off, s[0:3], 0 offset:32
	buffer_store_dword v6, off, s[0:3], 0 offset:36
.LBB111_31:
	s_or_b32 exec_lo, exec_lo, s4
	s_waitcnt_vscnt null, 0x0
	s_barrier
	buffer_gl0_inv
	s_clause 0x1
	buffer_load_dword v5, off, s[0:3], 0 offset:40
	buffer_load_dword v6, off, s[0:3], 0 offset:44
	s_mov_b32 s4, exec_lo
	s_waitcnt vmcnt(0)
	ds_write_b64 v4, v[5:6]
	s_waitcnt lgkmcnt(0)
	s_barrier
	buffer_gl0_inv
	v_cmpx_gt_u32_e32 5, v0
	s_cbranch_execz .LBB111_35
; %bb.32:
	v_add_nc_u32_e32 v5, -1, v0
	v_add_nc_u32_e32 v6, 0x180, v3
	v_mov_b32_e32 v7, v3
	v_mov_b32_e32 v2, 0
	;; [unrolled: 1-line block ×3, first 2 shown]
	s_mov_b32 s5, 0
	.p2align	6
.LBB111_33:                             ; =>This Inner Loop Header: Depth=1
	s_clause 0x1
	buffer_load_dword v107, v7, s[0:3], 0 offen offset:4
	buffer_load_dword v108, v7, s[0:3], 0 offen
	ds_read_b64 v[105:106], v6
	v_add_nc_u32_e32 v5, 1, v5
	v_add_nc_u32_e32 v6, 8, v6
	v_add_nc_u32_e32 v7, 8, v7
	v_cmp_lt_u32_e32 vcc_lo, 3, v5
	s_or_b32 s5, vcc_lo, s5
	s_waitcnt vmcnt(1) lgkmcnt(0)
	v_mul_f32_e32 v109, v106, v107
	v_mul_f32_e32 v107, v105, v107
	s_waitcnt vmcnt(0)
	v_fma_f32 v105, v105, v108, -v109
	v_fmac_f32_e32 v107, v106, v108
	v_add_f32_e32 v8, v8, v105
	v_add_f32_e32 v2, v2, v107
	s_andn2_b32 exec_lo, exec_lo, s5
	s_cbranch_execnz .LBB111_33
; %bb.34:
	s_or_b32 exec_lo, exec_lo, s5
	v_mov_b32_e32 v5, 0
	ds_read_b64 v[5:6], v5 offset:40
	s_waitcnt lgkmcnt(0)
	v_mul_f32_e32 v7, v2, v6
	v_mul_f32_e32 v6, v8, v6
	v_fma_f32 v7, v8, v5, -v7
	v_fmac_f32_e32 v6, v2, v5
	buffer_store_dword v7, off, s[0:3], 0 offset:40
	buffer_store_dword v6, off, s[0:3], 0 offset:44
.LBB111_35:
	s_or_b32 exec_lo, exec_lo, s4
	s_waitcnt_vscnt null, 0x0
	s_barrier
	buffer_gl0_inv
	s_clause 0x1
	buffer_load_dword v5, off, s[0:3], 0 offset:48
	buffer_load_dword v6, off, s[0:3], 0 offset:52
	s_mov_b32 s4, exec_lo
	s_waitcnt vmcnt(0)
	ds_write_b64 v4, v[5:6]
	s_waitcnt lgkmcnt(0)
	s_barrier
	buffer_gl0_inv
	v_cmpx_gt_u32_e32 6, v0
	s_cbranch_execz .LBB111_39
; %bb.36:
	v_add_nc_u32_e32 v5, -1, v0
	v_add_nc_u32_e32 v6, 0x180, v3
	v_mov_b32_e32 v7, v3
	v_mov_b32_e32 v2, 0
	;; [unrolled: 1-line block ×3, first 2 shown]
	s_mov_b32 s5, 0
	.p2align	6
.LBB111_37:                             ; =>This Inner Loop Header: Depth=1
	s_clause 0x1
	buffer_load_dword v107, v7, s[0:3], 0 offen offset:4
	buffer_load_dword v108, v7, s[0:3], 0 offen
	ds_read_b64 v[105:106], v6
	v_add_nc_u32_e32 v5, 1, v5
	v_add_nc_u32_e32 v6, 8, v6
	;; [unrolled: 1-line block ×3, first 2 shown]
	v_cmp_lt_u32_e32 vcc_lo, 4, v5
	s_or_b32 s5, vcc_lo, s5
	s_waitcnt vmcnt(1) lgkmcnt(0)
	v_mul_f32_e32 v109, v106, v107
	v_mul_f32_e32 v107, v105, v107
	s_waitcnt vmcnt(0)
	v_fma_f32 v105, v105, v108, -v109
	v_fmac_f32_e32 v107, v106, v108
	v_add_f32_e32 v8, v8, v105
	v_add_f32_e32 v2, v2, v107
	s_andn2_b32 exec_lo, exec_lo, s5
	s_cbranch_execnz .LBB111_37
; %bb.38:
	s_or_b32 exec_lo, exec_lo, s5
	v_mov_b32_e32 v5, 0
	ds_read_b64 v[5:6], v5 offset:48
	s_waitcnt lgkmcnt(0)
	v_mul_f32_e32 v7, v2, v6
	v_mul_f32_e32 v6, v8, v6
	v_fma_f32 v7, v8, v5, -v7
	v_fmac_f32_e32 v6, v2, v5
	buffer_store_dword v7, off, s[0:3], 0 offset:48
	buffer_store_dword v6, off, s[0:3], 0 offset:52
.LBB111_39:
	s_or_b32 exec_lo, exec_lo, s4
	s_waitcnt_vscnt null, 0x0
	s_barrier
	buffer_gl0_inv
	s_clause 0x1
	buffer_load_dword v5, off, s[0:3], 0 offset:56
	buffer_load_dword v6, off, s[0:3], 0 offset:60
	s_mov_b32 s4, exec_lo
	s_waitcnt vmcnt(0)
	ds_write_b64 v4, v[5:6]
	s_waitcnt lgkmcnt(0)
	s_barrier
	buffer_gl0_inv
	v_cmpx_gt_u32_e32 7, v0
	s_cbranch_execz .LBB111_43
; %bb.40:
	v_add_nc_u32_e32 v5, -1, v0
	v_add_nc_u32_e32 v6, 0x180, v3
	v_mov_b32_e32 v7, v3
	v_mov_b32_e32 v2, 0
	;; [unrolled: 1-line block ×3, first 2 shown]
	s_mov_b32 s5, 0
	.p2align	6
.LBB111_41:                             ; =>This Inner Loop Header: Depth=1
	s_clause 0x1
	buffer_load_dword v107, v7, s[0:3], 0 offen offset:4
	buffer_load_dword v108, v7, s[0:3], 0 offen
	ds_read_b64 v[105:106], v6
	v_add_nc_u32_e32 v5, 1, v5
	v_add_nc_u32_e32 v6, 8, v6
	;; [unrolled: 1-line block ×3, first 2 shown]
	v_cmp_lt_u32_e32 vcc_lo, 5, v5
	s_or_b32 s5, vcc_lo, s5
	s_waitcnt vmcnt(1) lgkmcnt(0)
	v_mul_f32_e32 v109, v106, v107
	v_mul_f32_e32 v107, v105, v107
	s_waitcnt vmcnt(0)
	v_fma_f32 v105, v105, v108, -v109
	v_fmac_f32_e32 v107, v106, v108
	v_add_f32_e32 v8, v8, v105
	v_add_f32_e32 v2, v2, v107
	s_andn2_b32 exec_lo, exec_lo, s5
	s_cbranch_execnz .LBB111_41
; %bb.42:
	s_or_b32 exec_lo, exec_lo, s5
	v_mov_b32_e32 v5, 0
	ds_read_b64 v[5:6], v5 offset:56
	s_waitcnt lgkmcnt(0)
	v_mul_f32_e32 v7, v2, v6
	v_mul_f32_e32 v6, v8, v6
	v_fma_f32 v7, v8, v5, -v7
	v_fmac_f32_e32 v6, v2, v5
	buffer_store_dword v7, off, s[0:3], 0 offset:56
	buffer_store_dword v6, off, s[0:3], 0 offset:60
.LBB111_43:
	s_or_b32 exec_lo, exec_lo, s4
	s_waitcnt_vscnt null, 0x0
	s_barrier
	buffer_gl0_inv
	s_clause 0x1
	buffer_load_dword v5, off, s[0:3], 0 offset:64
	buffer_load_dword v6, off, s[0:3], 0 offset:68
	s_mov_b32 s4, exec_lo
	s_waitcnt vmcnt(0)
	ds_write_b64 v4, v[5:6]
	s_waitcnt lgkmcnt(0)
	s_barrier
	buffer_gl0_inv
	v_cmpx_gt_u32_e32 8, v0
	s_cbranch_execz .LBB111_47
; %bb.44:
	v_add_nc_u32_e32 v5, -1, v0
	v_add_nc_u32_e32 v6, 0x180, v3
	v_mov_b32_e32 v7, v3
	v_mov_b32_e32 v2, 0
	;; [unrolled: 1-line block ×3, first 2 shown]
	s_mov_b32 s5, 0
	.p2align	6
.LBB111_45:                             ; =>This Inner Loop Header: Depth=1
	s_clause 0x1
	buffer_load_dword v107, v7, s[0:3], 0 offen offset:4
	buffer_load_dword v108, v7, s[0:3], 0 offen
	ds_read_b64 v[105:106], v6
	v_add_nc_u32_e32 v5, 1, v5
	v_add_nc_u32_e32 v6, 8, v6
	;; [unrolled: 1-line block ×3, first 2 shown]
	v_cmp_lt_u32_e32 vcc_lo, 6, v5
	s_or_b32 s5, vcc_lo, s5
	s_waitcnt vmcnt(1) lgkmcnt(0)
	v_mul_f32_e32 v109, v106, v107
	v_mul_f32_e32 v107, v105, v107
	s_waitcnt vmcnt(0)
	v_fma_f32 v105, v105, v108, -v109
	v_fmac_f32_e32 v107, v106, v108
	v_add_f32_e32 v8, v8, v105
	v_add_f32_e32 v2, v2, v107
	s_andn2_b32 exec_lo, exec_lo, s5
	s_cbranch_execnz .LBB111_45
; %bb.46:
	s_or_b32 exec_lo, exec_lo, s5
	v_mov_b32_e32 v5, 0
	ds_read_b64 v[5:6], v5 offset:64
	s_waitcnt lgkmcnt(0)
	v_mul_f32_e32 v7, v2, v6
	v_mul_f32_e32 v6, v8, v6
	v_fma_f32 v7, v8, v5, -v7
	v_fmac_f32_e32 v6, v2, v5
	buffer_store_dword v7, off, s[0:3], 0 offset:64
	buffer_store_dword v6, off, s[0:3], 0 offset:68
.LBB111_47:
	s_or_b32 exec_lo, exec_lo, s4
	s_waitcnt_vscnt null, 0x0
	s_barrier
	buffer_gl0_inv
	s_clause 0x1
	buffer_load_dword v5, off, s[0:3], 0 offset:72
	buffer_load_dword v6, off, s[0:3], 0 offset:76
	s_mov_b32 s4, exec_lo
	s_waitcnt vmcnt(0)
	ds_write_b64 v4, v[5:6]
	s_waitcnt lgkmcnt(0)
	s_barrier
	buffer_gl0_inv
	v_cmpx_gt_u32_e32 9, v0
	s_cbranch_execz .LBB111_51
; %bb.48:
	v_add_nc_u32_e32 v5, -1, v0
	v_add_nc_u32_e32 v6, 0x180, v3
	v_mov_b32_e32 v7, v3
	v_mov_b32_e32 v2, 0
	v_mov_b32_e32 v8, 0
	s_mov_b32 s5, 0
	.p2align	6
.LBB111_49:                             ; =>This Inner Loop Header: Depth=1
	s_clause 0x1
	buffer_load_dword v107, v7, s[0:3], 0 offen offset:4
	buffer_load_dword v108, v7, s[0:3], 0 offen
	ds_read_b64 v[105:106], v6
	v_add_nc_u32_e32 v5, 1, v5
	v_add_nc_u32_e32 v6, 8, v6
	;; [unrolled: 1-line block ×3, first 2 shown]
	v_cmp_lt_u32_e32 vcc_lo, 7, v5
	s_or_b32 s5, vcc_lo, s5
	s_waitcnt vmcnt(1) lgkmcnt(0)
	v_mul_f32_e32 v109, v106, v107
	v_mul_f32_e32 v107, v105, v107
	s_waitcnt vmcnt(0)
	v_fma_f32 v105, v105, v108, -v109
	v_fmac_f32_e32 v107, v106, v108
	v_add_f32_e32 v8, v8, v105
	v_add_f32_e32 v2, v2, v107
	s_andn2_b32 exec_lo, exec_lo, s5
	s_cbranch_execnz .LBB111_49
; %bb.50:
	s_or_b32 exec_lo, exec_lo, s5
	v_mov_b32_e32 v5, 0
	ds_read_b64 v[5:6], v5 offset:72
	s_waitcnt lgkmcnt(0)
	v_mul_f32_e32 v7, v2, v6
	v_mul_f32_e32 v6, v8, v6
	v_fma_f32 v7, v8, v5, -v7
	v_fmac_f32_e32 v6, v2, v5
	buffer_store_dword v7, off, s[0:3], 0 offset:72
	buffer_store_dword v6, off, s[0:3], 0 offset:76
.LBB111_51:
	s_or_b32 exec_lo, exec_lo, s4
	s_waitcnt_vscnt null, 0x0
	s_barrier
	buffer_gl0_inv
	s_clause 0x1
	buffer_load_dword v5, off, s[0:3], 0 offset:80
	buffer_load_dword v6, off, s[0:3], 0 offset:84
	s_mov_b32 s4, exec_lo
	s_waitcnt vmcnt(0)
	ds_write_b64 v4, v[5:6]
	s_waitcnt lgkmcnt(0)
	s_barrier
	buffer_gl0_inv
	v_cmpx_gt_u32_e32 10, v0
	s_cbranch_execz .LBB111_55
; %bb.52:
	v_add_nc_u32_e32 v5, -1, v0
	v_add_nc_u32_e32 v6, 0x180, v3
	v_mov_b32_e32 v7, v3
	v_mov_b32_e32 v2, 0
	;; [unrolled: 1-line block ×3, first 2 shown]
	s_mov_b32 s5, 0
	.p2align	6
.LBB111_53:                             ; =>This Inner Loop Header: Depth=1
	s_clause 0x1
	buffer_load_dword v107, v7, s[0:3], 0 offen offset:4
	buffer_load_dword v108, v7, s[0:3], 0 offen
	ds_read_b64 v[105:106], v6
	v_add_nc_u32_e32 v5, 1, v5
	v_add_nc_u32_e32 v6, 8, v6
	;; [unrolled: 1-line block ×3, first 2 shown]
	v_cmp_lt_u32_e32 vcc_lo, 8, v5
	s_or_b32 s5, vcc_lo, s5
	s_waitcnt vmcnt(1) lgkmcnt(0)
	v_mul_f32_e32 v109, v106, v107
	v_mul_f32_e32 v107, v105, v107
	s_waitcnt vmcnt(0)
	v_fma_f32 v105, v105, v108, -v109
	v_fmac_f32_e32 v107, v106, v108
	v_add_f32_e32 v8, v8, v105
	v_add_f32_e32 v2, v2, v107
	s_andn2_b32 exec_lo, exec_lo, s5
	s_cbranch_execnz .LBB111_53
; %bb.54:
	s_or_b32 exec_lo, exec_lo, s5
	v_mov_b32_e32 v5, 0
	ds_read_b64 v[5:6], v5 offset:80
	s_waitcnt lgkmcnt(0)
	v_mul_f32_e32 v7, v2, v6
	v_mul_f32_e32 v6, v8, v6
	v_fma_f32 v7, v8, v5, -v7
	v_fmac_f32_e32 v6, v2, v5
	buffer_store_dword v7, off, s[0:3], 0 offset:80
	buffer_store_dword v6, off, s[0:3], 0 offset:84
.LBB111_55:
	s_or_b32 exec_lo, exec_lo, s4
	s_waitcnt_vscnt null, 0x0
	s_barrier
	buffer_gl0_inv
	s_clause 0x1
	buffer_load_dword v5, off, s[0:3], 0 offset:88
	buffer_load_dword v6, off, s[0:3], 0 offset:92
	s_mov_b32 s4, exec_lo
	s_waitcnt vmcnt(0)
	ds_write_b64 v4, v[5:6]
	s_waitcnt lgkmcnt(0)
	s_barrier
	buffer_gl0_inv
	v_cmpx_gt_u32_e32 11, v0
	s_cbranch_execz .LBB111_59
; %bb.56:
	v_add_nc_u32_e32 v5, -1, v0
	v_add_nc_u32_e32 v6, 0x180, v3
	v_mov_b32_e32 v7, v3
	v_mov_b32_e32 v2, 0
	;; [unrolled: 1-line block ×3, first 2 shown]
	s_mov_b32 s5, 0
	.p2align	6
.LBB111_57:                             ; =>This Inner Loop Header: Depth=1
	s_clause 0x1
	buffer_load_dword v107, v7, s[0:3], 0 offen offset:4
	buffer_load_dword v108, v7, s[0:3], 0 offen
	ds_read_b64 v[105:106], v6
	v_add_nc_u32_e32 v5, 1, v5
	v_add_nc_u32_e32 v6, 8, v6
	;; [unrolled: 1-line block ×3, first 2 shown]
	v_cmp_lt_u32_e32 vcc_lo, 9, v5
	s_or_b32 s5, vcc_lo, s5
	s_waitcnt vmcnt(1) lgkmcnt(0)
	v_mul_f32_e32 v109, v106, v107
	v_mul_f32_e32 v107, v105, v107
	s_waitcnt vmcnt(0)
	v_fma_f32 v105, v105, v108, -v109
	v_fmac_f32_e32 v107, v106, v108
	v_add_f32_e32 v8, v8, v105
	v_add_f32_e32 v2, v2, v107
	s_andn2_b32 exec_lo, exec_lo, s5
	s_cbranch_execnz .LBB111_57
; %bb.58:
	s_or_b32 exec_lo, exec_lo, s5
	v_mov_b32_e32 v5, 0
	ds_read_b64 v[5:6], v5 offset:88
	s_waitcnt lgkmcnt(0)
	v_mul_f32_e32 v7, v2, v6
	v_mul_f32_e32 v6, v8, v6
	v_fma_f32 v7, v8, v5, -v7
	v_fmac_f32_e32 v6, v2, v5
	buffer_store_dword v7, off, s[0:3], 0 offset:88
	buffer_store_dword v6, off, s[0:3], 0 offset:92
.LBB111_59:
	s_or_b32 exec_lo, exec_lo, s4
	s_waitcnt_vscnt null, 0x0
	s_barrier
	buffer_gl0_inv
	s_clause 0x1
	buffer_load_dword v5, off, s[0:3], 0 offset:96
	buffer_load_dword v6, off, s[0:3], 0 offset:100
	s_mov_b32 s4, exec_lo
	s_waitcnt vmcnt(0)
	ds_write_b64 v4, v[5:6]
	s_waitcnt lgkmcnt(0)
	s_barrier
	buffer_gl0_inv
	v_cmpx_gt_u32_e32 12, v0
	s_cbranch_execz .LBB111_63
; %bb.60:
	v_add_nc_u32_e32 v5, -1, v0
	v_add_nc_u32_e32 v6, 0x180, v3
	v_mov_b32_e32 v7, v3
	v_mov_b32_e32 v2, 0
	;; [unrolled: 1-line block ×3, first 2 shown]
	s_mov_b32 s5, 0
	.p2align	6
.LBB111_61:                             ; =>This Inner Loop Header: Depth=1
	s_clause 0x1
	buffer_load_dword v107, v7, s[0:3], 0 offen offset:4
	buffer_load_dword v108, v7, s[0:3], 0 offen
	ds_read_b64 v[105:106], v6
	v_add_nc_u32_e32 v5, 1, v5
	v_add_nc_u32_e32 v6, 8, v6
	;; [unrolled: 1-line block ×3, first 2 shown]
	v_cmp_lt_u32_e32 vcc_lo, 10, v5
	s_or_b32 s5, vcc_lo, s5
	s_waitcnt vmcnt(1) lgkmcnt(0)
	v_mul_f32_e32 v109, v106, v107
	v_mul_f32_e32 v107, v105, v107
	s_waitcnt vmcnt(0)
	v_fma_f32 v105, v105, v108, -v109
	v_fmac_f32_e32 v107, v106, v108
	v_add_f32_e32 v8, v8, v105
	v_add_f32_e32 v2, v2, v107
	s_andn2_b32 exec_lo, exec_lo, s5
	s_cbranch_execnz .LBB111_61
; %bb.62:
	s_or_b32 exec_lo, exec_lo, s5
	v_mov_b32_e32 v5, 0
	ds_read_b64 v[5:6], v5 offset:96
	s_waitcnt lgkmcnt(0)
	v_mul_f32_e32 v7, v2, v6
	v_mul_f32_e32 v6, v8, v6
	v_fma_f32 v7, v8, v5, -v7
	v_fmac_f32_e32 v6, v2, v5
	buffer_store_dword v7, off, s[0:3], 0 offset:96
	buffer_store_dword v6, off, s[0:3], 0 offset:100
.LBB111_63:
	s_or_b32 exec_lo, exec_lo, s4
	s_waitcnt_vscnt null, 0x0
	s_barrier
	buffer_gl0_inv
	s_clause 0x1
	buffer_load_dword v5, off, s[0:3], 0 offset:104
	buffer_load_dword v6, off, s[0:3], 0 offset:108
	s_mov_b32 s4, exec_lo
	s_waitcnt vmcnt(0)
	ds_write_b64 v4, v[5:6]
	s_waitcnt lgkmcnt(0)
	s_barrier
	buffer_gl0_inv
	v_cmpx_gt_u32_e32 13, v0
	s_cbranch_execz .LBB111_67
; %bb.64:
	v_add_nc_u32_e32 v5, -1, v0
	v_add_nc_u32_e32 v6, 0x180, v3
	v_mov_b32_e32 v7, v3
	v_mov_b32_e32 v2, 0
	;; [unrolled: 1-line block ×3, first 2 shown]
	s_mov_b32 s5, 0
	.p2align	6
.LBB111_65:                             ; =>This Inner Loop Header: Depth=1
	s_clause 0x1
	buffer_load_dword v107, v7, s[0:3], 0 offen offset:4
	buffer_load_dword v108, v7, s[0:3], 0 offen
	ds_read_b64 v[105:106], v6
	v_add_nc_u32_e32 v5, 1, v5
	v_add_nc_u32_e32 v6, 8, v6
	;; [unrolled: 1-line block ×3, first 2 shown]
	v_cmp_lt_u32_e32 vcc_lo, 11, v5
	s_or_b32 s5, vcc_lo, s5
	s_waitcnt vmcnt(1) lgkmcnt(0)
	v_mul_f32_e32 v109, v106, v107
	v_mul_f32_e32 v107, v105, v107
	s_waitcnt vmcnt(0)
	v_fma_f32 v105, v105, v108, -v109
	v_fmac_f32_e32 v107, v106, v108
	v_add_f32_e32 v8, v8, v105
	v_add_f32_e32 v2, v2, v107
	s_andn2_b32 exec_lo, exec_lo, s5
	s_cbranch_execnz .LBB111_65
; %bb.66:
	s_or_b32 exec_lo, exec_lo, s5
	v_mov_b32_e32 v5, 0
	ds_read_b64 v[5:6], v5 offset:104
	s_waitcnt lgkmcnt(0)
	v_mul_f32_e32 v7, v2, v6
	v_mul_f32_e32 v6, v8, v6
	v_fma_f32 v7, v8, v5, -v7
	v_fmac_f32_e32 v6, v2, v5
	buffer_store_dword v7, off, s[0:3], 0 offset:104
	buffer_store_dword v6, off, s[0:3], 0 offset:108
.LBB111_67:
	s_or_b32 exec_lo, exec_lo, s4
	s_waitcnt_vscnt null, 0x0
	s_barrier
	buffer_gl0_inv
	s_clause 0x1
	buffer_load_dword v5, off, s[0:3], 0 offset:112
	buffer_load_dword v6, off, s[0:3], 0 offset:116
	s_mov_b32 s4, exec_lo
	s_waitcnt vmcnt(0)
	ds_write_b64 v4, v[5:6]
	s_waitcnt lgkmcnt(0)
	s_barrier
	buffer_gl0_inv
	v_cmpx_gt_u32_e32 14, v0
	s_cbranch_execz .LBB111_71
; %bb.68:
	v_add_nc_u32_e32 v5, -1, v0
	v_add_nc_u32_e32 v6, 0x180, v3
	v_mov_b32_e32 v7, v3
	v_mov_b32_e32 v2, 0
	;; [unrolled: 1-line block ×3, first 2 shown]
	s_mov_b32 s5, 0
	.p2align	6
.LBB111_69:                             ; =>This Inner Loop Header: Depth=1
	s_clause 0x1
	buffer_load_dword v107, v7, s[0:3], 0 offen offset:4
	buffer_load_dword v108, v7, s[0:3], 0 offen
	ds_read_b64 v[105:106], v6
	v_add_nc_u32_e32 v5, 1, v5
	v_add_nc_u32_e32 v6, 8, v6
	;; [unrolled: 1-line block ×3, first 2 shown]
	v_cmp_lt_u32_e32 vcc_lo, 12, v5
	s_or_b32 s5, vcc_lo, s5
	s_waitcnt vmcnt(1) lgkmcnt(0)
	v_mul_f32_e32 v109, v106, v107
	v_mul_f32_e32 v107, v105, v107
	s_waitcnt vmcnt(0)
	v_fma_f32 v105, v105, v108, -v109
	v_fmac_f32_e32 v107, v106, v108
	v_add_f32_e32 v8, v8, v105
	v_add_f32_e32 v2, v2, v107
	s_andn2_b32 exec_lo, exec_lo, s5
	s_cbranch_execnz .LBB111_69
; %bb.70:
	s_or_b32 exec_lo, exec_lo, s5
	v_mov_b32_e32 v5, 0
	ds_read_b64 v[5:6], v5 offset:112
	s_waitcnt lgkmcnt(0)
	v_mul_f32_e32 v7, v2, v6
	v_mul_f32_e32 v6, v8, v6
	v_fma_f32 v7, v8, v5, -v7
	v_fmac_f32_e32 v6, v2, v5
	buffer_store_dword v7, off, s[0:3], 0 offset:112
	buffer_store_dword v6, off, s[0:3], 0 offset:116
.LBB111_71:
	s_or_b32 exec_lo, exec_lo, s4
	s_waitcnt_vscnt null, 0x0
	s_barrier
	buffer_gl0_inv
	s_clause 0x1
	buffer_load_dword v5, off, s[0:3], 0 offset:120
	buffer_load_dword v6, off, s[0:3], 0 offset:124
	s_mov_b32 s4, exec_lo
	s_waitcnt vmcnt(0)
	ds_write_b64 v4, v[5:6]
	s_waitcnt lgkmcnt(0)
	s_barrier
	buffer_gl0_inv
	v_cmpx_gt_u32_e32 15, v0
	s_cbranch_execz .LBB111_75
; %bb.72:
	v_add_nc_u32_e32 v5, -1, v0
	v_add_nc_u32_e32 v6, 0x180, v3
	v_mov_b32_e32 v7, v3
	v_mov_b32_e32 v2, 0
	v_mov_b32_e32 v8, 0
	s_mov_b32 s5, 0
	.p2align	6
.LBB111_73:                             ; =>This Inner Loop Header: Depth=1
	s_clause 0x1
	buffer_load_dword v107, v7, s[0:3], 0 offen offset:4
	buffer_load_dword v108, v7, s[0:3], 0 offen
	ds_read_b64 v[105:106], v6
	v_add_nc_u32_e32 v5, 1, v5
	v_add_nc_u32_e32 v6, 8, v6
	;; [unrolled: 1-line block ×3, first 2 shown]
	v_cmp_lt_u32_e32 vcc_lo, 13, v5
	s_or_b32 s5, vcc_lo, s5
	s_waitcnt vmcnt(1) lgkmcnt(0)
	v_mul_f32_e32 v109, v106, v107
	v_mul_f32_e32 v107, v105, v107
	s_waitcnt vmcnt(0)
	v_fma_f32 v105, v105, v108, -v109
	v_fmac_f32_e32 v107, v106, v108
	v_add_f32_e32 v8, v8, v105
	v_add_f32_e32 v2, v2, v107
	s_andn2_b32 exec_lo, exec_lo, s5
	s_cbranch_execnz .LBB111_73
; %bb.74:
	s_or_b32 exec_lo, exec_lo, s5
	v_mov_b32_e32 v5, 0
	ds_read_b64 v[5:6], v5 offset:120
	s_waitcnt lgkmcnt(0)
	v_mul_f32_e32 v7, v2, v6
	v_mul_f32_e32 v6, v8, v6
	v_fma_f32 v7, v8, v5, -v7
	v_fmac_f32_e32 v6, v2, v5
	buffer_store_dword v7, off, s[0:3], 0 offset:120
	buffer_store_dword v6, off, s[0:3], 0 offset:124
.LBB111_75:
	s_or_b32 exec_lo, exec_lo, s4
	s_waitcnt_vscnt null, 0x0
	s_barrier
	buffer_gl0_inv
	s_clause 0x1
	buffer_load_dword v5, off, s[0:3], 0 offset:128
	buffer_load_dword v6, off, s[0:3], 0 offset:132
	s_mov_b32 s4, exec_lo
	s_waitcnt vmcnt(0)
	ds_write_b64 v4, v[5:6]
	s_waitcnt lgkmcnt(0)
	s_barrier
	buffer_gl0_inv
	v_cmpx_gt_u32_e32 16, v0
	s_cbranch_execz .LBB111_79
; %bb.76:
	v_add_nc_u32_e32 v5, -1, v0
	v_add_nc_u32_e32 v6, 0x180, v3
	v_mov_b32_e32 v7, v3
	v_mov_b32_e32 v2, 0
	;; [unrolled: 1-line block ×3, first 2 shown]
	s_mov_b32 s5, 0
	.p2align	6
.LBB111_77:                             ; =>This Inner Loop Header: Depth=1
	s_clause 0x1
	buffer_load_dword v107, v7, s[0:3], 0 offen offset:4
	buffer_load_dword v108, v7, s[0:3], 0 offen
	ds_read_b64 v[105:106], v6
	v_add_nc_u32_e32 v5, 1, v5
	v_add_nc_u32_e32 v6, 8, v6
	v_add_nc_u32_e32 v7, 8, v7
	v_cmp_lt_u32_e32 vcc_lo, 14, v5
	s_or_b32 s5, vcc_lo, s5
	s_waitcnt vmcnt(1) lgkmcnt(0)
	v_mul_f32_e32 v109, v106, v107
	v_mul_f32_e32 v107, v105, v107
	s_waitcnt vmcnt(0)
	v_fma_f32 v105, v105, v108, -v109
	v_fmac_f32_e32 v107, v106, v108
	v_add_f32_e32 v8, v8, v105
	v_add_f32_e32 v2, v2, v107
	s_andn2_b32 exec_lo, exec_lo, s5
	s_cbranch_execnz .LBB111_77
; %bb.78:
	s_or_b32 exec_lo, exec_lo, s5
	v_mov_b32_e32 v5, 0
	ds_read_b64 v[5:6], v5 offset:128
	s_waitcnt lgkmcnt(0)
	v_mul_f32_e32 v7, v2, v6
	v_mul_f32_e32 v6, v8, v6
	v_fma_f32 v7, v8, v5, -v7
	v_fmac_f32_e32 v6, v2, v5
	buffer_store_dword v7, off, s[0:3], 0 offset:128
	buffer_store_dword v6, off, s[0:3], 0 offset:132
.LBB111_79:
	s_or_b32 exec_lo, exec_lo, s4
	s_waitcnt_vscnt null, 0x0
	s_barrier
	buffer_gl0_inv
	s_clause 0x1
	buffer_load_dword v5, off, s[0:3], 0 offset:136
	buffer_load_dword v6, off, s[0:3], 0 offset:140
	s_mov_b32 s4, exec_lo
	s_waitcnt vmcnt(0)
	ds_write_b64 v4, v[5:6]
	s_waitcnt lgkmcnt(0)
	s_barrier
	buffer_gl0_inv
	v_cmpx_gt_u32_e32 17, v0
	s_cbranch_execz .LBB111_83
; %bb.80:
	v_add_nc_u32_e32 v5, -1, v0
	v_add_nc_u32_e32 v6, 0x180, v3
	v_mov_b32_e32 v7, v3
	v_mov_b32_e32 v2, 0
	;; [unrolled: 1-line block ×3, first 2 shown]
	s_mov_b32 s5, 0
	.p2align	6
.LBB111_81:                             ; =>This Inner Loop Header: Depth=1
	s_clause 0x1
	buffer_load_dword v107, v7, s[0:3], 0 offen offset:4
	buffer_load_dword v108, v7, s[0:3], 0 offen
	ds_read_b64 v[105:106], v6
	v_add_nc_u32_e32 v5, 1, v5
	v_add_nc_u32_e32 v6, 8, v6
	;; [unrolled: 1-line block ×3, first 2 shown]
	v_cmp_lt_u32_e32 vcc_lo, 15, v5
	s_or_b32 s5, vcc_lo, s5
	s_waitcnt vmcnt(1) lgkmcnt(0)
	v_mul_f32_e32 v109, v106, v107
	v_mul_f32_e32 v107, v105, v107
	s_waitcnt vmcnt(0)
	v_fma_f32 v105, v105, v108, -v109
	v_fmac_f32_e32 v107, v106, v108
	v_add_f32_e32 v8, v8, v105
	v_add_f32_e32 v2, v2, v107
	s_andn2_b32 exec_lo, exec_lo, s5
	s_cbranch_execnz .LBB111_81
; %bb.82:
	s_or_b32 exec_lo, exec_lo, s5
	v_mov_b32_e32 v5, 0
	ds_read_b64 v[5:6], v5 offset:136
	s_waitcnt lgkmcnt(0)
	v_mul_f32_e32 v7, v2, v6
	v_mul_f32_e32 v6, v8, v6
	v_fma_f32 v7, v8, v5, -v7
	v_fmac_f32_e32 v6, v2, v5
	buffer_store_dword v7, off, s[0:3], 0 offset:136
	buffer_store_dword v6, off, s[0:3], 0 offset:140
.LBB111_83:
	s_or_b32 exec_lo, exec_lo, s4
	s_waitcnt_vscnt null, 0x0
	s_barrier
	buffer_gl0_inv
	s_clause 0x1
	buffer_load_dword v5, off, s[0:3], 0 offset:144
	buffer_load_dword v6, off, s[0:3], 0 offset:148
	s_mov_b32 s4, exec_lo
	s_waitcnt vmcnt(0)
	ds_write_b64 v4, v[5:6]
	s_waitcnt lgkmcnt(0)
	s_barrier
	buffer_gl0_inv
	v_cmpx_gt_u32_e32 18, v0
	s_cbranch_execz .LBB111_87
; %bb.84:
	v_add_nc_u32_e32 v5, -1, v0
	v_add_nc_u32_e32 v6, 0x180, v3
	v_mov_b32_e32 v7, v3
	v_mov_b32_e32 v2, 0
	v_mov_b32_e32 v8, 0
	s_mov_b32 s5, 0
	.p2align	6
.LBB111_85:                             ; =>This Inner Loop Header: Depth=1
	s_clause 0x1
	buffer_load_dword v107, v7, s[0:3], 0 offen offset:4
	buffer_load_dword v108, v7, s[0:3], 0 offen
	ds_read_b64 v[105:106], v6
	v_add_nc_u32_e32 v5, 1, v5
	v_add_nc_u32_e32 v6, 8, v6
	;; [unrolled: 1-line block ×3, first 2 shown]
	v_cmp_lt_u32_e32 vcc_lo, 16, v5
	s_or_b32 s5, vcc_lo, s5
	s_waitcnt vmcnt(1) lgkmcnt(0)
	v_mul_f32_e32 v109, v106, v107
	v_mul_f32_e32 v107, v105, v107
	s_waitcnt vmcnt(0)
	v_fma_f32 v105, v105, v108, -v109
	v_fmac_f32_e32 v107, v106, v108
	v_add_f32_e32 v8, v8, v105
	v_add_f32_e32 v2, v2, v107
	s_andn2_b32 exec_lo, exec_lo, s5
	s_cbranch_execnz .LBB111_85
; %bb.86:
	s_or_b32 exec_lo, exec_lo, s5
	v_mov_b32_e32 v5, 0
	ds_read_b64 v[5:6], v5 offset:144
	s_waitcnt lgkmcnt(0)
	v_mul_f32_e32 v7, v2, v6
	v_mul_f32_e32 v6, v8, v6
	v_fma_f32 v7, v8, v5, -v7
	v_fmac_f32_e32 v6, v2, v5
	buffer_store_dword v7, off, s[0:3], 0 offset:144
	buffer_store_dword v6, off, s[0:3], 0 offset:148
.LBB111_87:
	s_or_b32 exec_lo, exec_lo, s4
	s_waitcnt_vscnt null, 0x0
	s_barrier
	buffer_gl0_inv
	s_clause 0x1
	buffer_load_dword v5, off, s[0:3], 0 offset:152
	buffer_load_dword v6, off, s[0:3], 0 offset:156
	s_mov_b32 s4, exec_lo
	s_waitcnt vmcnt(0)
	ds_write_b64 v4, v[5:6]
	s_waitcnt lgkmcnt(0)
	s_barrier
	buffer_gl0_inv
	v_cmpx_gt_u32_e32 19, v0
	s_cbranch_execz .LBB111_91
; %bb.88:
	v_add_nc_u32_e32 v5, -1, v0
	v_add_nc_u32_e32 v6, 0x180, v3
	v_mov_b32_e32 v7, v3
	v_mov_b32_e32 v2, 0
	v_mov_b32_e32 v8, 0
	s_mov_b32 s5, 0
	.p2align	6
.LBB111_89:                             ; =>This Inner Loop Header: Depth=1
	s_clause 0x1
	buffer_load_dword v107, v7, s[0:3], 0 offen offset:4
	buffer_load_dword v108, v7, s[0:3], 0 offen
	ds_read_b64 v[105:106], v6
	v_add_nc_u32_e32 v5, 1, v5
	v_add_nc_u32_e32 v6, 8, v6
	;; [unrolled: 1-line block ×3, first 2 shown]
	v_cmp_lt_u32_e32 vcc_lo, 17, v5
	s_or_b32 s5, vcc_lo, s5
	s_waitcnt vmcnt(1) lgkmcnt(0)
	v_mul_f32_e32 v109, v106, v107
	v_mul_f32_e32 v107, v105, v107
	s_waitcnt vmcnt(0)
	v_fma_f32 v105, v105, v108, -v109
	v_fmac_f32_e32 v107, v106, v108
	v_add_f32_e32 v8, v8, v105
	v_add_f32_e32 v2, v2, v107
	s_andn2_b32 exec_lo, exec_lo, s5
	s_cbranch_execnz .LBB111_89
; %bb.90:
	s_or_b32 exec_lo, exec_lo, s5
	v_mov_b32_e32 v5, 0
	ds_read_b64 v[5:6], v5 offset:152
	s_waitcnt lgkmcnt(0)
	v_mul_f32_e32 v7, v2, v6
	v_mul_f32_e32 v6, v8, v6
	v_fma_f32 v7, v8, v5, -v7
	v_fmac_f32_e32 v6, v2, v5
	buffer_store_dword v7, off, s[0:3], 0 offset:152
	buffer_store_dword v6, off, s[0:3], 0 offset:156
.LBB111_91:
	s_or_b32 exec_lo, exec_lo, s4
	s_waitcnt_vscnt null, 0x0
	s_barrier
	buffer_gl0_inv
	s_clause 0x1
	buffer_load_dword v5, off, s[0:3], 0 offset:160
	buffer_load_dword v6, off, s[0:3], 0 offset:164
	s_mov_b32 s4, exec_lo
	s_waitcnt vmcnt(0)
	ds_write_b64 v4, v[5:6]
	s_waitcnt lgkmcnt(0)
	s_barrier
	buffer_gl0_inv
	v_cmpx_gt_u32_e32 20, v0
	s_cbranch_execz .LBB111_95
; %bb.92:
	v_add_nc_u32_e32 v5, -1, v0
	v_add_nc_u32_e32 v6, 0x180, v3
	v_mov_b32_e32 v7, v3
	v_mov_b32_e32 v2, 0
	;; [unrolled: 1-line block ×3, first 2 shown]
	s_mov_b32 s5, 0
	.p2align	6
.LBB111_93:                             ; =>This Inner Loop Header: Depth=1
	s_clause 0x1
	buffer_load_dword v107, v7, s[0:3], 0 offen offset:4
	buffer_load_dword v108, v7, s[0:3], 0 offen
	ds_read_b64 v[105:106], v6
	v_add_nc_u32_e32 v5, 1, v5
	v_add_nc_u32_e32 v6, 8, v6
	v_add_nc_u32_e32 v7, 8, v7
	v_cmp_lt_u32_e32 vcc_lo, 18, v5
	s_or_b32 s5, vcc_lo, s5
	s_waitcnt vmcnt(1) lgkmcnt(0)
	v_mul_f32_e32 v109, v106, v107
	v_mul_f32_e32 v107, v105, v107
	s_waitcnt vmcnt(0)
	v_fma_f32 v105, v105, v108, -v109
	v_fmac_f32_e32 v107, v106, v108
	v_add_f32_e32 v8, v8, v105
	v_add_f32_e32 v2, v2, v107
	s_andn2_b32 exec_lo, exec_lo, s5
	s_cbranch_execnz .LBB111_93
; %bb.94:
	s_or_b32 exec_lo, exec_lo, s5
	v_mov_b32_e32 v5, 0
	ds_read_b64 v[5:6], v5 offset:160
	s_waitcnt lgkmcnt(0)
	v_mul_f32_e32 v7, v2, v6
	v_mul_f32_e32 v6, v8, v6
	v_fma_f32 v7, v8, v5, -v7
	v_fmac_f32_e32 v6, v2, v5
	buffer_store_dword v7, off, s[0:3], 0 offset:160
	buffer_store_dword v6, off, s[0:3], 0 offset:164
.LBB111_95:
	s_or_b32 exec_lo, exec_lo, s4
	s_waitcnt_vscnt null, 0x0
	s_barrier
	buffer_gl0_inv
	s_clause 0x1
	buffer_load_dword v5, off, s[0:3], 0 offset:168
	buffer_load_dword v6, off, s[0:3], 0 offset:172
	s_mov_b32 s4, exec_lo
	s_waitcnt vmcnt(0)
	ds_write_b64 v4, v[5:6]
	s_waitcnt lgkmcnt(0)
	s_barrier
	buffer_gl0_inv
	v_cmpx_gt_u32_e32 21, v0
	s_cbranch_execz .LBB111_99
; %bb.96:
	v_add_nc_u32_e32 v5, -1, v0
	v_add_nc_u32_e32 v6, 0x180, v3
	v_mov_b32_e32 v7, v3
	v_mov_b32_e32 v2, 0
	v_mov_b32_e32 v8, 0
	s_mov_b32 s5, 0
	.p2align	6
.LBB111_97:                             ; =>This Inner Loop Header: Depth=1
	s_clause 0x1
	buffer_load_dword v107, v7, s[0:3], 0 offen offset:4
	buffer_load_dword v108, v7, s[0:3], 0 offen
	ds_read_b64 v[105:106], v6
	v_add_nc_u32_e32 v5, 1, v5
	v_add_nc_u32_e32 v6, 8, v6
	;; [unrolled: 1-line block ×3, first 2 shown]
	v_cmp_lt_u32_e32 vcc_lo, 19, v5
	s_or_b32 s5, vcc_lo, s5
	s_waitcnt vmcnt(1) lgkmcnt(0)
	v_mul_f32_e32 v109, v106, v107
	v_mul_f32_e32 v107, v105, v107
	s_waitcnt vmcnt(0)
	v_fma_f32 v105, v105, v108, -v109
	v_fmac_f32_e32 v107, v106, v108
	v_add_f32_e32 v8, v8, v105
	v_add_f32_e32 v2, v2, v107
	s_andn2_b32 exec_lo, exec_lo, s5
	s_cbranch_execnz .LBB111_97
; %bb.98:
	s_or_b32 exec_lo, exec_lo, s5
	v_mov_b32_e32 v5, 0
	ds_read_b64 v[5:6], v5 offset:168
	s_waitcnt lgkmcnt(0)
	v_mul_f32_e32 v7, v2, v6
	v_mul_f32_e32 v6, v8, v6
	v_fma_f32 v7, v8, v5, -v7
	v_fmac_f32_e32 v6, v2, v5
	buffer_store_dword v7, off, s[0:3], 0 offset:168
	buffer_store_dword v6, off, s[0:3], 0 offset:172
.LBB111_99:
	s_or_b32 exec_lo, exec_lo, s4
	s_waitcnt_vscnt null, 0x0
	s_barrier
	buffer_gl0_inv
	s_clause 0x1
	buffer_load_dword v5, off, s[0:3], 0 offset:176
	buffer_load_dword v6, off, s[0:3], 0 offset:180
	s_mov_b32 s4, exec_lo
	s_waitcnt vmcnt(0)
	ds_write_b64 v4, v[5:6]
	s_waitcnt lgkmcnt(0)
	s_barrier
	buffer_gl0_inv
	v_cmpx_gt_u32_e32 22, v0
	s_cbranch_execz .LBB111_103
; %bb.100:
	v_add_nc_u32_e32 v5, -1, v0
	v_add_nc_u32_e32 v6, 0x180, v3
	v_mov_b32_e32 v7, v3
	v_mov_b32_e32 v2, 0
	;; [unrolled: 1-line block ×3, first 2 shown]
	s_mov_b32 s5, 0
	.p2align	6
.LBB111_101:                            ; =>This Inner Loop Header: Depth=1
	s_clause 0x1
	buffer_load_dword v107, v7, s[0:3], 0 offen offset:4
	buffer_load_dword v108, v7, s[0:3], 0 offen
	ds_read_b64 v[105:106], v6
	v_add_nc_u32_e32 v5, 1, v5
	v_add_nc_u32_e32 v6, 8, v6
	v_add_nc_u32_e32 v7, 8, v7
	v_cmp_lt_u32_e32 vcc_lo, 20, v5
	s_or_b32 s5, vcc_lo, s5
	s_waitcnt vmcnt(1) lgkmcnt(0)
	v_mul_f32_e32 v109, v106, v107
	v_mul_f32_e32 v107, v105, v107
	s_waitcnt vmcnt(0)
	v_fma_f32 v105, v105, v108, -v109
	v_fmac_f32_e32 v107, v106, v108
	v_add_f32_e32 v8, v8, v105
	v_add_f32_e32 v2, v2, v107
	s_andn2_b32 exec_lo, exec_lo, s5
	s_cbranch_execnz .LBB111_101
; %bb.102:
	s_or_b32 exec_lo, exec_lo, s5
	v_mov_b32_e32 v5, 0
	ds_read_b64 v[5:6], v5 offset:176
	s_waitcnt lgkmcnt(0)
	v_mul_f32_e32 v7, v2, v6
	v_mul_f32_e32 v6, v8, v6
	v_fma_f32 v7, v8, v5, -v7
	v_fmac_f32_e32 v6, v2, v5
	buffer_store_dword v7, off, s[0:3], 0 offset:176
	buffer_store_dword v6, off, s[0:3], 0 offset:180
.LBB111_103:
	s_or_b32 exec_lo, exec_lo, s4
	s_waitcnt_vscnt null, 0x0
	s_barrier
	buffer_gl0_inv
	s_clause 0x1
	buffer_load_dword v5, off, s[0:3], 0 offset:184
	buffer_load_dword v6, off, s[0:3], 0 offset:188
	s_mov_b32 s4, exec_lo
	s_waitcnt vmcnt(0)
	ds_write_b64 v4, v[5:6]
	s_waitcnt lgkmcnt(0)
	s_barrier
	buffer_gl0_inv
	v_cmpx_gt_u32_e32 23, v0
	s_cbranch_execz .LBB111_107
; %bb.104:
	v_add_nc_u32_e32 v5, -1, v0
	v_add_nc_u32_e32 v6, 0x180, v3
	v_mov_b32_e32 v7, v3
	v_mov_b32_e32 v2, 0
	;; [unrolled: 1-line block ×3, first 2 shown]
	s_mov_b32 s5, 0
	.p2align	6
.LBB111_105:                            ; =>This Inner Loop Header: Depth=1
	s_clause 0x1
	buffer_load_dword v107, v7, s[0:3], 0 offen offset:4
	buffer_load_dword v108, v7, s[0:3], 0 offen
	ds_read_b64 v[105:106], v6
	v_add_nc_u32_e32 v5, 1, v5
	v_add_nc_u32_e32 v6, 8, v6
	;; [unrolled: 1-line block ×3, first 2 shown]
	v_cmp_lt_u32_e32 vcc_lo, 21, v5
	s_or_b32 s5, vcc_lo, s5
	s_waitcnt vmcnt(1) lgkmcnt(0)
	v_mul_f32_e32 v109, v106, v107
	v_mul_f32_e32 v107, v105, v107
	s_waitcnt vmcnt(0)
	v_fma_f32 v105, v105, v108, -v109
	v_fmac_f32_e32 v107, v106, v108
	v_add_f32_e32 v8, v8, v105
	v_add_f32_e32 v2, v2, v107
	s_andn2_b32 exec_lo, exec_lo, s5
	s_cbranch_execnz .LBB111_105
; %bb.106:
	s_or_b32 exec_lo, exec_lo, s5
	v_mov_b32_e32 v5, 0
	ds_read_b64 v[5:6], v5 offset:184
	s_waitcnt lgkmcnt(0)
	v_mul_f32_e32 v7, v2, v6
	v_mul_f32_e32 v6, v8, v6
	v_fma_f32 v7, v8, v5, -v7
	v_fmac_f32_e32 v6, v2, v5
	buffer_store_dword v7, off, s[0:3], 0 offset:184
	buffer_store_dword v6, off, s[0:3], 0 offset:188
.LBB111_107:
	s_or_b32 exec_lo, exec_lo, s4
	s_waitcnt_vscnt null, 0x0
	s_barrier
	buffer_gl0_inv
	s_clause 0x1
	buffer_load_dword v5, off, s[0:3], 0 offset:192
	buffer_load_dword v6, off, s[0:3], 0 offset:196
	s_mov_b32 s4, exec_lo
	s_waitcnt vmcnt(0)
	ds_write_b64 v4, v[5:6]
	s_waitcnt lgkmcnt(0)
	s_barrier
	buffer_gl0_inv
	v_cmpx_gt_u32_e32 24, v0
	s_cbranch_execz .LBB111_111
; %bb.108:
	v_add_nc_u32_e32 v5, -1, v0
	v_add_nc_u32_e32 v6, 0x180, v3
	v_mov_b32_e32 v7, v3
	v_mov_b32_e32 v2, 0
	;; [unrolled: 1-line block ×3, first 2 shown]
	s_mov_b32 s5, 0
	.p2align	6
.LBB111_109:                            ; =>This Inner Loop Header: Depth=1
	s_clause 0x1
	buffer_load_dword v107, v7, s[0:3], 0 offen offset:4
	buffer_load_dword v108, v7, s[0:3], 0 offen
	ds_read_b64 v[105:106], v6
	v_add_nc_u32_e32 v5, 1, v5
	v_add_nc_u32_e32 v6, 8, v6
	;; [unrolled: 1-line block ×3, first 2 shown]
	v_cmp_lt_u32_e32 vcc_lo, 22, v5
	s_or_b32 s5, vcc_lo, s5
	s_waitcnt vmcnt(1) lgkmcnt(0)
	v_mul_f32_e32 v109, v106, v107
	v_mul_f32_e32 v107, v105, v107
	s_waitcnt vmcnt(0)
	v_fma_f32 v105, v105, v108, -v109
	v_fmac_f32_e32 v107, v106, v108
	v_add_f32_e32 v8, v8, v105
	v_add_f32_e32 v2, v2, v107
	s_andn2_b32 exec_lo, exec_lo, s5
	s_cbranch_execnz .LBB111_109
; %bb.110:
	s_or_b32 exec_lo, exec_lo, s5
	v_mov_b32_e32 v5, 0
	ds_read_b64 v[5:6], v5 offset:192
	s_waitcnt lgkmcnt(0)
	v_mul_f32_e32 v7, v2, v6
	v_mul_f32_e32 v6, v8, v6
	v_fma_f32 v7, v8, v5, -v7
	v_fmac_f32_e32 v6, v2, v5
	buffer_store_dword v7, off, s[0:3], 0 offset:192
	buffer_store_dword v6, off, s[0:3], 0 offset:196
.LBB111_111:
	s_or_b32 exec_lo, exec_lo, s4
	s_waitcnt_vscnt null, 0x0
	s_barrier
	buffer_gl0_inv
	s_clause 0x1
	buffer_load_dword v5, off, s[0:3], 0 offset:200
	buffer_load_dword v6, off, s[0:3], 0 offset:204
	s_mov_b32 s4, exec_lo
	s_waitcnt vmcnt(0)
	ds_write_b64 v4, v[5:6]
	s_waitcnt lgkmcnt(0)
	s_barrier
	buffer_gl0_inv
	v_cmpx_gt_u32_e32 25, v0
	s_cbranch_execz .LBB111_115
; %bb.112:
	v_add_nc_u32_e32 v5, -1, v0
	v_add_nc_u32_e32 v6, 0x180, v3
	v_mov_b32_e32 v7, v3
	v_mov_b32_e32 v2, 0
	v_mov_b32_e32 v8, 0
	s_mov_b32 s5, 0
	.p2align	6
.LBB111_113:                            ; =>This Inner Loop Header: Depth=1
	s_clause 0x1
	buffer_load_dword v107, v7, s[0:3], 0 offen offset:4
	buffer_load_dword v108, v7, s[0:3], 0 offen
	ds_read_b64 v[105:106], v6
	v_add_nc_u32_e32 v5, 1, v5
	v_add_nc_u32_e32 v6, 8, v6
	;; [unrolled: 1-line block ×3, first 2 shown]
	v_cmp_lt_u32_e32 vcc_lo, 23, v5
	s_or_b32 s5, vcc_lo, s5
	s_waitcnt vmcnt(1) lgkmcnt(0)
	v_mul_f32_e32 v109, v106, v107
	v_mul_f32_e32 v107, v105, v107
	s_waitcnt vmcnt(0)
	v_fma_f32 v105, v105, v108, -v109
	v_fmac_f32_e32 v107, v106, v108
	v_add_f32_e32 v8, v8, v105
	v_add_f32_e32 v2, v2, v107
	s_andn2_b32 exec_lo, exec_lo, s5
	s_cbranch_execnz .LBB111_113
; %bb.114:
	s_or_b32 exec_lo, exec_lo, s5
	v_mov_b32_e32 v5, 0
	ds_read_b64 v[5:6], v5 offset:200
	s_waitcnt lgkmcnt(0)
	v_mul_f32_e32 v7, v2, v6
	v_mul_f32_e32 v6, v8, v6
	v_fma_f32 v7, v8, v5, -v7
	v_fmac_f32_e32 v6, v2, v5
	buffer_store_dword v7, off, s[0:3], 0 offset:200
	buffer_store_dword v6, off, s[0:3], 0 offset:204
.LBB111_115:
	s_or_b32 exec_lo, exec_lo, s4
	s_waitcnt_vscnt null, 0x0
	s_barrier
	buffer_gl0_inv
	s_clause 0x1
	buffer_load_dword v5, off, s[0:3], 0 offset:208
	buffer_load_dword v6, off, s[0:3], 0 offset:212
	s_mov_b32 s4, exec_lo
	s_waitcnt vmcnt(0)
	ds_write_b64 v4, v[5:6]
	s_waitcnt lgkmcnt(0)
	s_barrier
	buffer_gl0_inv
	v_cmpx_gt_u32_e32 26, v0
	s_cbranch_execz .LBB111_119
; %bb.116:
	v_add_nc_u32_e32 v5, -1, v0
	v_add_nc_u32_e32 v6, 0x180, v3
	v_mov_b32_e32 v7, v3
	v_mov_b32_e32 v2, 0
	;; [unrolled: 1-line block ×3, first 2 shown]
	s_mov_b32 s5, 0
	.p2align	6
.LBB111_117:                            ; =>This Inner Loop Header: Depth=1
	s_clause 0x1
	buffer_load_dword v107, v7, s[0:3], 0 offen offset:4
	buffer_load_dword v108, v7, s[0:3], 0 offen
	ds_read_b64 v[105:106], v6
	v_add_nc_u32_e32 v5, 1, v5
	v_add_nc_u32_e32 v6, 8, v6
	;; [unrolled: 1-line block ×3, first 2 shown]
	v_cmp_lt_u32_e32 vcc_lo, 24, v5
	s_or_b32 s5, vcc_lo, s5
	s_waitcnt vmcnt(1) lgkmcnt(0)
	v_mul_f32_e32 v109, v106, v107
	v_mul_f32_e32 v107, v105, v107
	s_waitcnt vmcnt(0)
	v_fma_f32 v105, v105, v108, -v109
	v_fmac_f32_e32 v107, v106, v108
	v_add_f32_e32 v8, v8, v105
	v_add_f32_e32 v2, v2, v107
	s_andn2_b32 exec_lo, exec_lo, s5
	s_cbranch_execnz .LBB111_117
; %bb.118:
	s_or_b32 exec_lo, exec_lo, s5
	v_mov_b32_e32 v5, 0
	ds_read_b64 v[5:6], v5 offset:208
	s_waitcnt lgkmcnt(0)
	v_mul_f32_e32 v7, v2, v6
	v_mul_f32_e32 v6, v8, v6
	v_fma_f32 v7, v8, v5, -v7
	v_fmac_f32_e32 v6, v2, v5
	buffer_store_dword v7, off, s[0:3], 0 offset:208
	buffer_store_dword v6, off, s[0:3], 0 offset:212
.LBB111_119:
	s_or_b32 exec_lo, exec_lo, s4
	s_waitcnt_vscnt null, 0x0
	s_barrier
	buffer_gl0_inv
	s_clause 0x1
	buffer_load_dword v5, off, s[0:3], 0 offset:216
	buffer_load_dword v6, off, s[0:3], 0 offset:220
	s_mov_b32 s4, exec_lo
	s_waitcnt vmcnt(0)
	ds_write_b64 v4, v[5:6]
	s_waitcnt lgkmcnt(0)
	s_barrier
	buffer_gl0_inv
	v_cmpx_gt_u32_e32 27, v0
	s_cbranch_execz .LBB111_123
; %bb.120:
	v_add_nc_u32_e32 v5, -1, v0
	v_add_nc_u32_e32 v6, 0x180, v3
	v_mov_b32_e32 v7, v3
	v_mov_b32_e32 v2, 0
	;; [unrolled: 1-line block ×3, first 2 shown]
	s_mov_b32 s5, 0
	.p2align	6
.LBB111_121:                            ; =>This Inner Loop Header: Depth=1
	s_clause 0x1
	buffer_load_dword v107, v7, s[0:3], 0 offen offset:4
	buffer_load_dword v108, v7, s[0:3], 0 offen
	ds_read_b64 v[105:106], v6
	v_add_nc_u32_e32 v5, 1, v5
	v_add_nc_u32_e32 v6, 8, v6
	;; [unrolled: 1-line block ×3, first 2 shown]
	v_cmp_lt_u32_e32 vcc_lo, 25, v5
	s_or_b32 s5, vcc_lo, s5
	s_waitcnt vmcnt(1) lgkmcnt(0)
	v_mul_f32_e32 v109, v106, v107
	v_mul_f32_e32 v107, v105, v107
	s_waitcnt vmcnt(0)
	v_fma_f32 v105, v105, v108, -v109
	v_fmac_f32_e32 v107, v106, v108
	v_add_f32_e32 v8, v8, v105
	v_add_f32_e32 v2, v2, v107
	s_andn2_b32 exec_lo, exec_lo, s5
	s_cbranch_execnz .LBB111_121
; %bb.122:
	s_or_b32 exec_lo, exec_lo, s5
	v_mov_b32_e32 v5, 0
	ds_read_b64 v[5:6], v5 offset:216
	s_waitcnt lgkmcnt(0)
	v_mul_f32_e32 v7, v2, v6
	v_mul_f32_e32 v6, v8, v6
	v_fma_f32 v7, v8, v5, -v7
	v_fmac_f32_e32 v6, v2, v5
	buffer_store_dword v7, off, s[0:3], 0 offset:216
	buffer_store_dword v6, off, s[0:3], 0 offset:220
.LBB111_123:
	s_or_b32 exec_lo, exec_lo, s4
	s_waitcnt_vscnt null, 0x0
	s_barrier
	buffer_gl0_inv
	s_clause 0x1
	buffer_load_dword v5, off, s[0:3], 0 offset:224
	buffer_load_dword v6, off, s[0:3], 0 offset:228
	s_mov_b32 s4, exec_lo
	s_waitcnt vmcnt(0)
	ds_write_b64 v4, v[5:6]
	s_waitcnt lgkmcnt(0)
	s_barrier
	buffer_gl0_inv
	v_cmpx_gt_u32_e32 28, v0
	s_cbranch_execz .LBB111_127
; %bb.124:
	v_add_nc_u32_e32 v5, -1, v0
	v_add_nc_u32_e32 v6, 0x180, v3
	v_mov_b32_e32 v7, v3
	v_mov_b32_e32 v2, 0
	;; [unrolled: 1-line block ×3, first 2 shown]
	s_mov_b32 s5, 0
	.p2align	6
.LBB111_125:                            ; =>This Inner Loop Header: Depth=1
	s_clause 0x1
	buffer_load_dword v107, v7, s[0:3], 0 offen offset:4
	buffer_load_dword v108, v7, s[0:3], 0 offen
	ds_read_b64 v[105:106], v6
	v_add_nc_u32_e32 v5, 1, v5
	v_add_nc_u32_e32 v6, 8, v6
	;; [unrolled: 1-line block ×3, first 2 shown]
	v_cmp_lt_u32_e32 vcc_lo, 26, v5
	s_or_b32 s5, vcc_lo, s5
	s_waitcnt vmcnt(1) lgkmcnt(0)
	v_mul_f32_e32 v109, v106, v107
	v_mul_f32_e32 v107, v105, v107
	s_waitcnt vmcnt(0)
	v_fma_f32 v105, v105, v108, -v109
	v_fmac_f32_e32 v107, v106, v108
	v_add_f32_e32 v8, v8, v105
	v_add_f32_e32 v2, v2, v107
	s_andn2_b32 exec_lo, exec_lo, s5
	s_cbranch_execnz .LBB111_125
; %bb.126:
	s_or_b32 exec_lo, exec_lo, s5
	v_mov_b32_e32 v5, 0
	ds_read_b64 v[5:6], v5 offset:224
	s_waitcnt lgkmcnt(0)
	v_mul_f32_e32 v7, v2, v6
	v_mul_f32_e32 v6, v8, v6
	v_fma_f32 v7, v8, v5, -v7
	v_fmac_f32_e32 v6, v2, v5
	buffer_store_dword v7, off, s[0:3], 0 offset:224
	buffer_store_dword v6, off, s[0:3], 0 offset:228
.LBB111_127:
	s_or_b32 exec_lo, exec_lo, s4
	s_waitcnt_vscnt null, 0x0
	s_barrier
	buffer_gl0_inv
	s_clause 0x1
	buffer_load_dword v5, off, s[0:3], 0 offset:232
	buffer_load_dword v6, off, s[0:3], 0 offset:236
	s_mov_b32 s4, exec_lo
	s_waitcnt vmcnt(0)
	ds_write_b64 v4, v[5:6]
	s_waitcnt lgkmcnt(0)
	s_barrier
	buffer_gl0_inv
	v_cmpx_gt_u32_e32 29, v0
	s_cbranch_execz .LBB111_131
; %bb.128:
	v_add_nc_u32_e32 v5, -1, v0
	v_add_nc_u32_e32 v6, 0x180, v3
	v_mov_b32_e32 v7, v3
	v_mov_b32_e32 v2, 0
	;; [unrolled: 1-line block ×3, first 2 shown]
	s_mov_b32 s5, 0
	.p2align	6
.LBB111_129:                            ; =>This Inner Loop Header: Depth=1
	s_clause 0x1
	buffer_load_dword v107, v7, s[0:3], 0 offen offset:4
	buffer_load_dword v108, v7, s[0:3], 0 offen
	ds_read_b64 v[105:106], v6
	v_add_nc_u32_e32 v5, 1, v5
	v_add_nc_u32_e32 v6, 8, v6
	;; [unrolled: 1-line block ×3, first 2 shown]
	v_cmp_lt_u32_e32 vcc_lo, 27, v5
	s_or_b32 s5, vcc_lo, s5
	s_waitcnt vmcnt(1) lgkmcnt(0)
	v_mul_f32_e32 v109, v106, v107
	v_mul_f32_e32 v107, v105, v107
	s_waitcnt vmcnt(0)
	v_fma_f32 v105, v105, v108, -v109
	v_fmac_f32_e32 v107, v106, v108
	v_add_f32_e32 v8, v8, v105
	v_add_f32_e32 v2, v2, v107
	s_andn2_b32 exec_lo, exec_lo, s5
	s_cbranch_execnz .LBB111_129
; %bb.130:
	s_or_b32 exec_lo, exec_lo, s5
	v_mov_b32_e32 v5, 0
	ds_read_b64 v[5:6], v5 offset:232
	s_waitcnt lgkmcnt(0)
	v_mul_f32_e32 v7, v2, v6
	v_mul_f32_e32 v6, v8, v6
	v_fma_f32 v7, v8, v5, -v7
	v_fmac_f32_e32 v6, v2, v5
	buffer_store_dword v7, off, s[0:3], 0 offset:232
	buffer_store_dword v6, off, s[0:3], 0 offset:236
.LBB111_131:
	s_or_b32 exec_lo, exec_lo, s4
	s_waitcnt_vscnt null, 0x0
	s_barrier
	buffer_gl0_inv
	s_clause 0x1
	buffer_load_dword v5, off, s[0:3], 0 offset:240
	buffer_load_dword v6, off, s[0:3], 0 offset:244
	s_mov_b32 s4, exec_lo
	s_waitcnt vmcnt(0)
	ds_write_b64 v4, v[5:6]
	s_waitcnt lgkmcnt(0)
	s_barrier
	buffer_gl0_inv
	v_cmpx_gt_u32_e32 30, v0
	s_cbranch_execz .LBB111_135
; %bb.132:
	v_add_nc_u32_e32 v5, -1, v0
	v_add_nc_u32_e32 v6, 0x180, v3
	v_mov_b32_e32 v7, v3
	v_mov_b32_e32 v2, 0
	;; [unrolled: 1-line block ×3, first 2 shown]
	s_mov_b32 s5, 0
	.p2align	6
.LBB111_133:                            ; =>This Inner Loop Header: Depth=1
	s_clause 0x1
	buffer_load_dword v107, v7, s[0:3], 0 offen offset:4
	buffer_load_dword v108, v7, s[0:3], 0 offen
	ds_read_b64 v[105:106], v6
	v_add_nc_u32_e32 v5, 1, v5
	v_add_nc_u32_e32 v6, 8, v6
	;; [unrolled: 1-line block ×3, first 2 shown]
	v_cmp_lt_u32_e32 vcc_lo, 28, v5
	s_or_b32 s5, vcc_lo, s5
	s_waitcnt vmcnt(1) lgkmcnt(0)
	v_mul_f32_e32 v109, v106, v107
	v_mul_f32_e32 v107, v105, v107
	s_waitcnt vmcnt(0)
	v_fma_f32 v105, v105, v108, -v109
	v_fmac_f32_e32 v107, v106, v108
	v_add_f32_e32 v8, v8, v105
	v_add_f32_e32 v2, v2, v107
	s_andn2_b32 exec_lo, exec_lo, s5
	s_cbranch_execnz .LBB111_133
; %bb.134:
	s_or_b32 exec_lo, exec_lo, s5
	v_mov_b32_e32 v5, 0
	ds_read_b64 v[5:6], v5 offset:240
	s_waitcnt lgkmcnt(0)
	v_mul_f32_e32 v7, v2, v6
	v_mul_f32_e32 v6, v8, v6
	v_fma_f32 v7, v8, v5, -v7
	v_fmac_f32_e32 v6, v2, v5
	buffer_store_dword v7, off, s[0:3], 0 offset:240
	buffer_store_dword v6, off, s[0:3], 0 offset:244
.LBB111_135:
	s_or_b32 exec_lo, exec_lo, s4
	s_waitcnt_vscnt null, 0x0
	s_barrier
	buffer_gl0_inv
	s_clause 0x1
	buffer_load_dword v5, off, s[0:3], 0 offset:248
	buffer_load_dword v6, off, s[0:3], 0 offset:252
	s_mov_b32 s4, exec_lo
	s_waitcnt vmcnt(0)
	ds_write_b64 v4, v[5:6]
	s_waitcnt lgkmcnt(0)
	s_barrier
	buffer_gl0_inv
	v_cmpx_gt_u32_e32 31, v0
	s_cbranch_execz .LBB111_139
; %bb.136:
	v_add_nc_u32_e32 v5, -1, v0
	v_add_nc_u32_e32 v6, 0x180, v3
	v_mov_b32_e32 v7, v3
	v_mov_b32_e32 v2, 0
	;; [unrolled: 1-line block ×3, first 2 shown]
	s_mov_b32 s5, 0
	.p2align	6
.LBB111_137:                            ; =>This Inner Loop Header: Depth=1
	s_clause 0x1
	buffer_load_dword v107, v7, s[0:3], 0 offen offset:4
	buffer_load_dword v108, v7, s[0:3], 0 offen
	ds_read_b64 v[105:106], v6
	v_add_nc_u32_e32 v5, 1, v5
	v_add_nc_u32_e32 v6, 8, v6
	;; [unrolled: 1-line block ×3, first 2 shown]
	v_cmp_lt_u32_e32 vcc_lo, 29, v5
	s_or_b32 s5, vcc_lo, s5
	s_waitcnt vmcnt(1) lgkmcnt(0)
	v_mul_f32_e32 v109, v106, v107
	v_mul_f32_e32 v107, v105, v107
	s_waitcnt vmcnt(0)
	v_fma_f32 v105, v105, v108, -v109
	v_fmac_f32_e32 v107, v106, v108
	v_add_f32_e32 v8, v8, v105
	v_add_f32_e32 v2, v2, v107
	s_andn2_b32 exec_lo, exec_lo, s5
	s_cbranch_execnz .LBB111_137
; %bb.138:
	s_or_b32 exec_lo, exec_lo, s5
	v_mov_b32_e32 v5, 0
	ds_read_b64 v[5:6], v5 offset:248
	s_waitcnt lgkmcnt(0)
	v_mul_f32_e32 v7, v2, v6
	v_mul_f32_e32 v6, v8, v6
	v_fma_f32 v7, v8, v5, -v7
	v_fmac_f32_e32 v6, v2, v5
	buffer_store_dword v7, off, s[0:3], 0 offset:248
	buffer_store_dword v6, off, s[0:3], 0 offset:252
.LBB111_139:
	s_or_b32 exec_lo, exec_lo, s4
	s_waitcnt_vscnt null, 0x0
	s_barrier
	buffer_gl0_inv
	s_clause 0x1
	buffer_load_dword v5, off, s[0:3], 0 offset:256
	buffer_load_dword v6, off, s[0:3], 0 offset:260
	s_mov_b32 s4, exec_lo
	s_waitcnt vmcnt(0)
	ds_write_b64 v4, v[5:6]
	s_waitcnt lgkmcnt(0)
	s_barrier
	buffer_gl0_inv
	v_cmpx_gt_u32_e32 32, v0
	s_cbranch_execz .LBB111_143
; %bb.140:
	v_add_nc_u32_e32 v5, -1, v0
	v_add_nc_u32_e32 v6, 0x180, v3
	v_mov_b32_e32 v7, v3
	v_mov_b32_e32 v2, 0
	v_mov_b32_e32 v8, 0
	s_mov_b32 s5, 0
	.p2align	6
.LBB111_141:                            ; =>This Inner Loop Header: Depth=1
	s_clause 0x1
	buffer_load_dword v107, v7, s[0:3], 0 offen offset:4
	buffer_load_dword v108, v7, s[0:3], 0 offen
	ds_read_b64 v[105:106], v6
	v_add_nc_u32_e32 v5, 1, v5
	v_add_nc_u32_e32 v6, 8, v6
	;; [unrolled: 1-line block ×3, first 2 shown]
	v_cmp_lt_u32_e32 vcc_lo, 30, v5
	s_or_b32 s5, vcc_lo, s5
	s_waitcnt vmcnt(1) lgkmcnt(0)
	v_mul_f32_e32 v109, v106, v107
	v_mul_f32_e32 v107, v105, v107
	s_waitcnt vmcnt(0)
	v_fma_f32 v105, v105, v108, -v109
	v_fmac_f32_e32 v107, v106, v108
	v_add_f32_e32 v8, v8, v105
	v_add_f32_e32 v2, v2, v107
	s_andn2_b32 exec_lo, exec_lo, s5
	s_cbranch_execnz .LBB111_141
; %bb.142:
	s_or_b32 exec_lo, exec_lo, s5
	v_mov_b32_e32 v5, 0
	ds_read_b64 v[5:6], v5 offset:256
	s_waitcnt lgkmcnt(0)
	v_mul_f32_e32 v7, v2, v6
	v_mul_f32_e32 v6, v8, v6
	v_fma_f32 v7, v8, v5, -v7
	v_fmac_f32_e32 v6, v2, v5
	buffer_store_dword v7, off, s[0:3], 0 offset:256
	buffer_store_dword v6, off, s[0:3], 0 offset:260
.LBB111_143:
	s_or_b32 exec_lo, exec_lo, s4
	s_waitcnt_vscnt null, 0x0
	s_barrier
	buffer_gl0_inv
	s_clause 0x1
	buffer_load_dword v5, off, s[0:3], 0 offset:264
	buffer_load_dword v6, off, s[0:3], 0 offset:268
	s_mov_b32 s4, exec_lo
	s_waitcnt vmcnt(0)
	ds_write_b64 v4, v[5:6]
	s_waitcnt lgkmcnt(0)
	s_barrier
	buffer_gl0_inv
	v_cmpx_gt_u32_e32 33, v0
	s_cbranch_execz .LBB111_147
; %bb.144:
	v_add_nc_u32_e32 v5, -1, v0
	v_add_nc_u32_e32 v6, 0x180, v3
	v_mov_b32_e32 v7, v3
	v_mov_b32_e32 v2, 0
	;; [unrolled: 1-line block ×3, first 2 shown]
	s_mov_b32 s5, 0
	.p2align	6
.LBB111_145:                            ; =>This Inner Loop Header: Depth=1
	s_clause 0x1
	buffer_load_dword v107, v7, s[0:3], 0 offen offset:4
	buffer_load_dword v108, v7, s[0:3], 0 offen
	ds_read_b64 v[105:106], v6
	v_add_nc_u32_e32 v5, 1, v5
	v_add_nc_u32_e32 v6, 8, v6
	;; [unrolled: 1-line block ×3, first 2 shown]
	v_cmp_lt_u32_e32 vcc_lo, 31, v5
	s_or_b32 s5, vcc_lo, s5
	s_waitcnt vmcnt(1) lgkmcnt(0)
	v_mul_f32_e32 v109, v106, v107
	v_mul_f32_e32 v107, v105, v107
	s_waitcnt vmcnt(0)
	v_fma_f32 v105, v105, v108, -v109
	v_fmac_f32_e32 v107, v106, v108
	v_add_f32_e32 v8, v8, v105
	v_add_f32_e32 v2, v2, v107
	s_andn2_b32 exec_lo, exec_lo, s5
	s_cbranch_execnz .LBB111_145
; %bb.146:
	s_or_b32 exec_lo, exec_lo, s5
	v_mov_b32_e32 v5, 0
	ds_read_b64 v[5:6], v5 offset:264
	s_waitcnt lgkmcnt(0)
	v_mul_f32_e32 v7, v2, v6
	v_mul_f32_e32 v6, v8, v6
	v_fma_f32 v7, v8, v5, -v7
	v_fmac_f32_e32 v6, v2, v5
	buffer_store_dword v7, off, s[0:3], 0 offset:264
	buffer_store_dword v6, off, s[0:3], 0 offset:268
.LBB111_147:
	s_or_b32 exec_lo, exec_lo, s4
	s_waitcnt_vscnt null, 0x0
	s_barrier
	buffer_gl0_inv
	s_clause 0x1
	buffer_load_dword v5, off, s[0:3], 0 offset:272
	buffer_load_dword v6, off, s[0:3], 0 offset:276
	s_mov_b32 s4, exec_lo
	s_waitcnt vmcnt(0)
	ds_write_b64 v4, v[5:6]
	s_waitcnt lgkmcnt(0)
	s_barrier
	buffer_gl0_inv
	v_cmpx_gt_u32_e32 34, v0
	s_cbranch_execz .LBB111_151
; %bb.148:
	v_add_nc_u32_e32 v5, -1, v0
	v_add_nc_u32_e32 v6, 0x180, v3
	v_mov_b32_e32 v7, v3
	v_mov_b32_e32 v2, 0
	;; [unrolled: 1-line block ×3, first 2 shown]
	s_mov_b32 s5, 0
	.p2align	6
.LBB111_149:                            ; =>This Inner Loop Header: Depth=1
	s_clause 0x1
	buffer_load_dword v107, v7, s[0:3], 0 offen offset:4
	buffer_load_dword v108, v7, s[0:3], 0 offen
	ds_read_b64 v[105:106], v6
	v_add_nc_u32_e32 v5, 1, v5
	v_add_nc_u32_e32 v6, 8, v6
	;; [unrolled: 1-line block ×3, first 2 shown]
	v_cmp_lt_u32_e32 vcc_lo, 32, v5
	s_or_b32 s5, vcc_lo, s5
	s_waitcnt vmcnt(1) lgkmcnt(0)
	v_mul_f32_e32 v109, v106, v107
	v_mul_f32_e32 v107, v105, v107
	s_waitcnt vmcnt(0)
	v_fma_f32 v105, v105, v108, -v109
	v_fmac_f32_e32 v107, v106, v108
	v_add_f32_e32 v8, v8, v105
	v_add_f32_e32 v2, v2, v107
	s_andn2_b32 exec_lo, exec_lo, s5
	s_cbranch_execnz .LBB111_149
; %bb.150:
	s_or_b32 exec_lo, exec_lo, s5
	v_mov_b32_e32 v5, 0
	ds_read_b64 v[5:6], v5 offset:272
	s_waitcnt lgkmcnt(0)
	v_mul_f32_e32 v7, v2, v6
	v_mul_f32_e32 v6, v8, v6
	v_fma_f32 v7, v8, v5, -v7
	v_fmac_f32_e32 v6, v2, v5
	buffer_store_dword v7, off, s[0:3], 0 offset:272
	buffer_store_dword v6, off, s[0:3], 0 offset:276
.LBB111_151:
	s_or_b32 exec_lo, exec_lo, s4
	s_waitcnt_vscnt null, 0x0
	s_barrier
	buffer_gl0_inv
	s_clause 0x1
	buffer_load_dword v5, off, s[0:3], 0 offset:280
	buffer_load_dword v6, off, s[0:3], 0 offset:284
	s_mov_b32 s4, exec_lo
	s_waitcnt vmcnt(0)
	ds_write_b64 v4, v[5:6]
	s_waitcnt lgkmcnt(0)
	s_barrier
	buffer_gl0_inv
	v_cmpx_gt_u32_e32 35, v0
	s_cbranch_execz .LBB111_155
; %bb.152:
	v_add_nc_u32_e32 v5, -1, v0
	v_add_nc_u32_e32 v6, 0x180, v3
	v_mov_b32_e32 v7, v3
	v_mov_b32_e32 v2, 0
	;; [unrolled: 1-line block ×3, first 2 shown]
	s_mov_b32 s5, 0
	.p2align	6
.LBB111_153:                            ; =>This Inner Loop Header: Depth=1
	s_clause 0x1
	buffer_load_dword v107, v7, s[0:3], 0 offen offset:4
	buffer_load_dword v108, v7, s[0:3], 0 offen
	ds_read_b64 v[105:106], v6
	v_add_nc_u32_e32 v5, 1, v5
	v_add_nc_u32_e32 v6, 8, v6
	;; [unrolled: 1-line block ×3, first 2 shown]
	v_cmp_lt_u32_e32 vcc_lo, 33, v5
	s_or_b32 s5, vcc_lo, s5
	s_waitcnt vmcnt(1) lgkmcnt(0)
	v_mul_f32_e32 v109, v106, v107
	v_mul_f32_e32 v107, v105, v107
	s_waitcnt vmcnt(0)
	v_fma_f32 v105, v105, v108, -v109
	v_fmac_f32_e32 v107, v106, v108
	v_add_f32_e32 v8, v8, v105
	v_add_f32_e32 v2, v2, v107
	s_andn2_b32 exec_lo, exec_lo, s5
	s_cbranch_execnz .LBB111_153
; %bb.154:
	s_or_b32 exec_lo, exec_lo, s5
	v_mov_b32_e32 v5, 0
	ds_read_b64 v[5:6], v5 offset:280
	s_waitcnt lgkmcnt(0)
	v_mul_f32_e32 v7, v2, v6
	v_mul_f32_e32 v6, v8, v6
	v_fma_f32 v7, v8, v5, -v7
	v_fmac_f32_e32 v6, v2, v5
	buffer_store_dword v7, off, s[0:3], 0 offset:280
	buffer_store_dword v6, off, s[0:3], 0 offset:284
.LBB111_155:
	s_or_b32 exec_lo, exec_lo, s4
	s_waitcnt_vscnt null, 0x0
	s_barrier
	buffer_gl0_inv
	s_clause 0x1
	buffer_load_dword v5, off, s[0:3], 0 offset:288
	buffer_load_dword v6, off, s[0:3], 0 offset:292
	s_mov_b32 s4, exec_lo
	s_waitcnt vmcnt(0)
	ds_write_b64 v4, v[5:6]
	s_waitcnt lgkmcnt(0)
	s_barrier
	buffer_gl0_inv
	v_cmpx_gt_u32_e32 36, v0
	s_cbranch_execz .LBB111_159
; %bb.156:
	v_add_nc_u32_e32 v5, -1, v0
	v_add_nc_u32_e32 v6, 0x180, v3
	v_mov_b32_e32 v7, v3
	v_mov_b32_e32 v2, 0
	;; [unrolled: 1-line block ×3, first 2 shown]
	s_mov_b32 s5, 0
	.p2align	6
.LBB111_157:                            ; =>This Inner Loop Header: Depth=1
	s_clause 0x1
	buffer_load_dword v107, v7, s[0:3], 0 offen offset:4
	buffer_load_dword v108, v7, s[0:3], 0 offen
	ds_read_b64 v[105:106], v6
	v_add_nc_u32_e32 v5, 1, v5
	v_add_nc_u32_e32 v6, 8, v6
	v_add_nc_u32_e32 v7, 8, v7
	v_cmp_lt_u32_e32 vcc_lo, 34, v5
	s_or_b32 s5, vcc_lo, s5
	s_waitcnt vmcnt(1) lgkmcnt(0)
	v_mul_f32_e32 v109, v106, v107
	v_mul_f32_e32 v107, v105, v107
	s_waitcnt vmcnt(0)
	v_fma_f32 v105, v105, v108, -v109
	v_fmac_f32_e32 v107, v106, v108
	v_add_f32_e32 v8, v8, v105
	v_add_f32_e32 v2, v2, v107
	s_andn2_b32 exec_lo, exec_lo, s5
	s_cbranch_execnz .LBB111_157
; %bb.158:
	s_or_b32 exec_lo, exec_lo, s5
	v_mov_b32_e32 v5, 0
	ds_read_b64 v[5:6], v5 offset:288
	s_waitcnt lgkmcnt(0)
	v_mul_f32_e32 v7, v2, v6
	v_mul_f32_e32 v6, v8, v6
	v_fma_f32 v7, v8, v5, -v7
	v_fmac_f32_e32 v6, v2, v5
	buffer_store_dword v7, off, s[0:3], 0 offset:288
	buffer_store_dword v6, off, s[0:3], 0 offset:292
.LBB111_159:
	s_or_b32 exec_lo, exec_lo, s4
	s_waitcnt_vscnt null, 0x0
	s_barrier
	buffer_gl0_inv
	s_clause 0x1
	buffer_load_dword v5, off, s[0:3], 0 offset:296
	buffer_load_dword v6, off, s[0:3], 0 offset:300
	s_mov_b32 s4, exec_lo
	s_waitcnt vmcnt(0)
	ds_write_b64 v4, v[5:6]
	s_waitcnt lgkmcnt(0)
	s_barrier
	buffer_gl0_inv
	v_cmpx_gt_u32_e32 37, v0
	s_cbranch_execz .LBB111_163
; %bb.160:
	v_add_nc_u32_e32 v5, -1, v0
	v_add_nc_u32_e32 v6, 0x180, v3
	v_mov_b32_e32 v7, v3
	v_mov_b32_e32 v2, 0
	;; [unrolled: 1-line block ×3, first 2 shown]
	s_mov_b32 s5, 0
	.p2align	6
.LBB111_161:                            ; =>This Inner Loop Header: Depth=1
	s_clause 0x1
	buffer_load_dword v107, v7, s[0:3], 0 offen offset:4
	buffer_load_dword v108, v7, s[0:3], 0 offen
	ds_read_b64 v[105:106], v6
	v_add_nc_u32_e32 v5, 1, v5
	v_add_nc_u32_e32 v6, 8, v6
	;; [unrolled: 1-line block ×3, first 2 shown]
	v_cmp_lt_u32_e32 vcc_lo, 35, v5
	s_or_b32 s5, vcc_lo, s5
	s_waitcnt vmcnt(1) lgkmcnt(0)
	v_mul_f32_e32 v109, v106, v107
	v_mul_f32_e32 v107, v105, v107
	s_waitcnt vmcnt(0)
	v_fma_f32 v105, v105, v108, -v109
	v_fmac_f32_e32 v107, v106, v108
	v_add_f32_e32 v8, v8, v105
	v_add_f32_e32 v2, v2, v107
	s_andn2_b32 exec_lo, exec_lo, s5
	s_cbranch_execnz .LBB111_161
; %bb.162:
	s_or_b32 exec_lo, exec_lo, s5
	v_mov_b32_e32 v5, 0
	ds_read_b64 v[5:6], v5 offset:296
	s_waitcnt lgkmcnt(0)
	v_mul_f32_e32 v7, v2, v6
	v_mul_f32_e32 v6, v8, v6
	v_fma_f32 v7, v8, v5, -v7
	v_fmac_f32_e32 v6, v2, v5
	buffer_store_dword v7, off, s[0:3], 0 offset:296
	buffer_store_dword v6, off, s[0:3], 0 offset:300
.LBB111_163:
	s_or_b32 exec_lo, exec_lo, s4
	s_waitcnt_vscnt null, 0x0
	s_barrier
	buffer_gl0_inv
	s_clause 0x1
	buffer_load_dword v5, off, s[0:3], 0 offset:304
	buffer_load_dword v6, off, s[0:3], 0 offset:308
	s_mov_b32 s4, exec_lo
	s_waitcnt vmcnt(0)
	ds_write_b64 v4, v[5:6]
	s_waitcnt lgkmcnt(0)
	s_barrier
	buffer_gl0_inv
	v_cmpx_gt_u32_e32 38, v0
	s_cbranch_execz .LBB111_167
; %bb.164:
	v_add_nc_u32_e32 v5, -1, v0
	v_add_nc_u32_e32 v6, 0x180, v3
	v_mov_b32_e32 v7, v3
	v_mov_b32_e32 v2, 0
	v_mov_b32_e32 v8, 0
	s_mov_b32 s5, 0
	.p2align	6
.LBB111_165:                            ; =>This Inner Loop Header: Depth=1
	s_clause 0x1
	buffer_load_dword v107, v7, s[0:3], 0 offen offset:4
	buffer_load_dword v108, v7, s[0:3], 0 offen
	ds_read_b64 v[105:106], v6
	v_add_nc_u32_e32 v5, 1, v5
	v_add_nc_u32_e32 v6, 8, v6
	;; [unrolled: 1-line block ×3, first 2 shown]
	v_cmp_lt_u32_e32 vcc_lo, 36, v5
	s_or_b32 s5, vcc_lo, s5
	s_waitcnt vmcnt(1) lgkmcnt(0)
	v_mul_f32_e32 v109, v106, v107
	v_mul_f32_e32 v107, v105, v107
	s_waitcnt vmcnt(0)
	v_fma_f32 v105, v105, v108, -v109
	v_fmac_f32_e32 v107, v106, v108
	v_add_f32_e32 v8, v8, v105
	v_add_f32_e32 v2, v2, v107
	s_andn2_b32 exec_lo, exec_lo, s5
	s_cbranch_execnz .LBB111_165
; %bb.166:
	s_or_b32 exec_lo, exec_lo, s5
	v_mov_b32_e32 v5, 0
	ds_read_b64 v[5:6], v5 offset:304
	s_waitcnt lgkmcnt(0)
	v_mul_f32_e32 v7, v2, v6
	v_mul_f32_e32 v6, v8, v6
	v_fma_f32 v7, v8, v5, -v7
	v_fmac_f32_e32 v6, v2, v5
	buffer_store_dword v7, off, s[0:3], 0 offset:304
	buffer_store_dword v6, off, s[0:3], 0 offset:308
.LBB111_167:
	s_or_b32 exec_lo, exec_lo, s4
	s_waitcnt_vscnt null, 0x0
	s_barrier
	buffer_gl0_inv
	s_clause 0x1
	buffer_load_dword v5, off, s[0:3], 0 offset:312
	buffer_load_dword v6, off, s[0:3], 0 offset:316
	s_mov_b32 s4, exec_lo
	s_waitcnt vmcnt(0)
	ds_write_b64 v4, v[5:6]
	s_waitcnt lgkmcnt(0)
	s_barrier
	buffer_gl0_inv
	v_cmpx_gt_u32_e32 39, v0
	s_cbranch_execz .LBB111_171
; %bb.168:
	v_add_nc_u32_e32 v5, -1, v0
	v_add_nc_u32_e32 v6, 0x180, v3
	v_mov_b32_e32 v7, v3
	v_mov_b32_e32 v2, 0
	;; [unrolled: 1-line block ×3, first 2 shown]
	s_mov_b32 s5, 0
	.p2align	6
.LBB111_169:                            ; =>This Inner Loop Header: Depth=1
	s_clause 0x1
	buffer_load_dword v107, v7, s[0:3], 0 offen offset:4
	buffer_load_dword v108, v7, s[0:3], 0 offen
	ds_read_b64 v[105:106], v6
	v_add_nc_u32_e32 v5, 1, v5
	v_add_nc_u32_e32 v6, 8, v6
	;; [unrolled: 1-line block ×3, first 2 shown]
	v_cmp_lt_u32_e32 vcc_lo, 37, v5
	s_or_b32 s5, vcc_lo, s5
	s_waitcnt vmcnt(1) lgkmcnt(0)
	v_mul_f32_e32 v109, v106, v107
	v_mul_f32_e32 v107, v105, v107
	s_waitcnt vmcnt(0)
	v_fma_f32 v105, v105, v108, -v109
	v_fmac_f32_e32 v107, v106, v108
	v_add_f32_e32 v8, v8, v105
	v_add_f32_e32 v2, v2, v107
	s_andn2_b32 exec_lo, exec_lo, s5
	s_cbranch_execnz .LBB111_169
; %bb.170:
	s_or_b32 exec_lo, exec_lo, s5
	v_mov_b32_e32 v5, 0
	ds_read_b64 v[5:6], v5 offset:312
	s_waitcnt lgkmcnt(0)
	v_mul_f32_e32 v7, v2, v6
	v_mul_f32_e32 v6, v8, v6
	v_fma_f32 v7, v8, v5, -v7
	v_fmac_f32_e32 v6, v2, v5
	buffer_store_dword v7, off, s[0:3], 0 offset:312
	buffer_store_dword v6, off, s[0:3], 0 offset:316
.LBB111_171:
	s_or_b32 exec_lo, exec_lo, s4
	s_waitcnt_vscnt null, 0x0
	s_barrier
	buffer_gl0_inv
	s_clause 0x1
	buffer_load_dword v5, off, s[0:3], 0 offset:320
	buffer_load_dword v6, off, s[0:3], 0 offset:324
	s_mov_b32 s4, exec_lo
	s_waitcnt vmcnt(0)
	ds_write_b64 v4, v[5:6]
	s_waitcnt lgkmcnt(0)
	s_barrier
	buffer_gl0_inv
	v_cmpx_gt_u32_e32 40, v0
	s_cbranch_execz .LBB111_175
; %bb.172:
	v_add_nc_u32_e32 v5, -1, v0
	v_add_nc_u32_e32 v6, 0x180, v3
	v_mov_b32_e32 v7, v3
	v_mov_b32_e32 v2, 0
	;; [unrolled: 1-line block ×3, first 2 shown]
	s_mov_b32 s5, 0
	.p2align	6
.LBB111_173:                            ; =>This Inner Loop Header: Depth=1
	s_clause 0x1
	buffer_load_dword v107, v7, s[0:3], 0 offen offset:4
	buffer_load_dword v108, v7, s[0:3], 0 offen
	ds_read_b64 v[105:106], v6
	v_add_nc_u32_e32 v5, 1, v5
	v_add_nc_u32_e32 v6, 8, v6
	;; [unrolled: 1-line block ×3, first 2 shown]
	v_cmp_lt_u32_e32 vcc_lo, 38, v5
	s_or_b32 s5, vcc_lo, s5
	s_waitcnt vmcnt(1) lgkmcnt(0)
	v_mul_f32_e32 v109, v106, v107
	v_mul_f32_e32 v107, v105, v107
	s_waitcnt vmcnt(0)
	v_fma_f32 v105, v105, v108, -v109
	v_fmac_f32_e32 v107, v106, v108
	v_add_f32_e32 v8, v8, v105
	v_add_f32_e32 v2, v2, v107
	s_andn2_b32 exec_lo, exec_lo, s5
	s_cbranch_execnz .LBB111_173
; %bb.174:
	s_or_b32 exec_lo, exec_lo, s5
	v_mov_b32_e32 v5, 0
	ds_read_b64 v[5:6], v5 offset:320
	s_waitcnt lgkmcnt(0)
	v_mul_f32_e32 v7, v2, v6
	v_mul_f32_e32 v6, v8, v6
	v_fma_f32 v7, v8, v5, -v7
	v_fmac_f32_e32 v6, v2, v5
	buffer_store_dword v7, off, s[0:3], 0 offset:320
	buffer_store_dword v6, off, s[0:3], 0 offset:324
.LBB111_175:
	s_or_b32 exec_lo, exec_lo, s4
	s_waitcnt_vscnt null, 0x0
	s_barrier
	buffer_gl0_inv
	s_clause 0x1
	buffer_load_dword v5, off, s[0:3], 0 offset:328
	buffer_load_dword v6, off, s[0:3], 0 offset:332
	s_mov_b32 s4, exec_lo
	s_waitcnt vmcnt(0)
	ds_write_b64 v4, v[5:6]
	s_waitcnt lgkmcnt(0)
	s_barrier
	buffer_gl0_inv
	v_cmpx_gt_u32_e32 41, v0
	s_cbranch_execz .LBB111_179
; %bb.176:
	v_add_nc_u32_e32 v5, -1, v0
	v_add_nc_u32_e32 v6, 0x180, v3
	v_mov_b32_e32 v7, v3
	v_mov_b32_e32 v2, 0
	;; [unrolled: 1-line block ×3, first 2 shown]
	s_mov_b32 s5, 0
	.p2align	6
.LBB111_177:                            ; =>This Inner Loop Header: Depth=1
	s_clause 0x1
	buffer_load_dword v107, v7, s[0:3], 0 offen offset:4
	buffer_load_dword v108, v7, s[0:3], 0 offen
	ds_read_b64 v[105:106], v6
	v_add_nc_u32_e32 v5, 1, v5
	v_add_nc_u32_e32 v6, 8, v6
	;; [unrolled: 1-line block ×3, first 2 shown]
	v_cmp_lt_u32_e32 vcc_lo, 39, v5
	s_or_b32 s5, vcc_lo, s5
	s_waitcnt vmcnt(1) lgkmcnt(0)
	v_mul_f32_e32 v109, v106, v107
	v_mul_f32_e32 v107, v105, v107
	s_waitcnt vmcnt(0)
	v_fma_f32 v105, v105, v108, -v109
	v_fmac_f32_e32 v107, v106, v108
	v_add_f32_e32 v8, v8, v105
	v_add_f32_e32 v2, v2, v107
	s_andn2_b32 exec_lo, exec_lo, s5
	s_cbranch_execnz .LBB111_177
; %bb.178:
	s_or_b32 exec_lo, exec_lo, s5
	v_mov_b32_e32 v5, 0
	ds_read_b64 v[5:6], v5 offset:328
	s_waitcnt lgkmcnt(0)
	v_mul_f32_e32 v7, v2, v6
	v_mul_f32_e32 v6, v8, v6
	v_fma_f32 v7, v8, v5, -v7
	v_fmac_f32_e32 v6, v2, v5
	buffer_store_dword v7, off, s[0:3], 0 offset:328
	buffer_store_dword v6, off, s[0:3], 0 offset:332
.LBB111_179:
	s_or_b32 exec_lo, exec_lo, s4
	s_waitcnt_vscnt null, 0x0
	s_barrier
	buffer_gl0_inv
	s_clause 0x1
	buffer_load_dword v5, off, s[0:3], 0 offset:336
	buffer_load_dword v6, off, s[0:3], 0 offset:340
	s_mov_b32 s4, exec_lo
	s_waitcnt vmcnt(0)
	ds_write_b64 v4, v[5:6]
	s_waitcnt lgkmcnt(0)
	s_barrier
	buffer_gl0_inv
	v_cmpx_gt_u32_e32 42, v0
	s_cbranch_execz .LBB111_183
; %bb.180:
	v_add_nc_u32_e32 v5, -1, v0
	v_add_nc_u32_e32 v6, 0x180, v3
	v_mov_b32_e32 v7, v3
	v_mov_b32_e32 v2, 0
	v_mov_b32_e32 v8, 0
	s_mov_b32 s5, 0
	.p2align	6
.LBB111_181:                            ; =>This Inner Loop Header: Depth=1
	s_clause 0x1
	buffer_load_dword v107, v7, s[0:3], 0 offen offset:4
	buffer_load_dword v108, v7, s[0:3], 0 offen
	ds_read_b64 v[105:106], v6
	v_add_nc_u32_e32 v5, 1, v5
	v_add_nc_u32_e32 v6, 8, v6
	;; [unrolled: 1-line block ×3, first 2 shown]
	v_cmp_lt_u32_e32 vcc_lo, 40, v5
	s_or_b32 s5, vcc_lo, s5
	s_waitcnt vmcnt(1) lgkmcnt(0)
	v_mul_f32_e32 v109, v106, v107
	v_mul_f32_e32 v107, v105, v107
	s_waitcnt vmcnt(0)
	v_fma_f32 v105, v105, v108, -v109
	v_fmac_f32_e32 v107, v106, v108
	v_add_f32_e32 v8, v8, v105
	v_add_f32_e32 v2, v2, v107
	s_andn2_b32 exec_lo, exec_lo, s5
	s_cbranch_execnz .LBB111_181
; %bb.182:
	s_or_b32 exec_lo, exec_lo, s5
	v_mov_b32_e32 v5, 0
	ds_read_b64 v[5:6], v5 offset:336
	s_waitcnt lgkmcnt(0)
	v_mul_f32_e32 v7, v2, v6
	v_mul_f32_e32 v6, v8, v6
	v_fma_f32 v7, v8, v5, -v7
	v_fmac_f32_e32 v6, v2, v5
	buffer_store_dword v7, off, s[0:3], 0 offset:336
	buffer_store_dword v6, off, s[0:3], 0 offset:340
.LBB111_183:
	s_or_b32 exec_lo, exec_lo, s4
	s_waitcnt_vscnt null, 0x0
	s_barrier
	buffer_gl0_inv
	s_clause 0x1
	buffer_load_dword v5, off, s[0:3], 0 offset:344
	buffer_load_dword v6, off, s[0:3], 0 offset:348
	s_mov_b32 s4, exec_lo
	s_waitcnt vmcnt(0)
	ds_write_b64 v4, v[5:6]
	s_waitcnt lgkmcnt(0)
	s_barrier
	buffer_gl0_inv
	v_cmpx_gt_u32_e32 43, v0
	s_cbranch_execz .LBB111_187
; %bb.184:
	v_add_nc_u32_e32 v5, -1, v0
	v_add_nc_u32_e32 v6, 0x180, v3
	v_mov_b32_e32 v7, v3
	v_mov_b32_e32 v2, 0
	;; [unrolled: 1-line block ×3, first 2 shown]
	s_mov_b32 s5, 0
	.p2align	6
.LBB111_185:                            ; =>This Inner Loop Header: Depth=1
	s_clause 0x1
	buffer_load_dword v107, v7, s[0:3], 0 offen offset:4
	buffer_load_dword v108, v7, s[0:3], 0 offen
	ds_read_b64 v[105:106], v6
	v_add_nc_u32_e32 v5, 1, v5
	v_add_nc_u32_e32 v6, 8, v6
	;; [unrolled: 1-line block ×3, first 2 shown]
	v_cmp_lt_u32_e32 vcc_lo, 41, v5
	s_or_b32 s5, vcc_lo, s5
	s_waitcnt vmcnt(1) lgkmcnt(0)
	v_mul_f32_e32 v109, v106, v107
	v_mul_f32_e32 v107, v105, v107
	s_waitcnt vmcnt(0)
	v_fma_f32 v105, v105, v108, -v109
	v_fmac_f32_e32 v107, v106, v108
	v_add_f32_e32 v8, v8, v105
	v_add_f32_e32 v2, v2, v107
	s_andn2_b32 exec_lo, exec_lo, s5
	s_cbranch_execnz .LBB111_185
; %bb.186:
	s_or_b32 exec_lo, exec_lo, s5
	v_mov_b32_e32 v5, 0
	ds_read_b64 v[5:6], v5 offset:344
	s_waitcnt lgkmcnt(0)
	v_mul_f32_e32 v7, v2, v6
	v_mul_f32_e32 v6, v8, v6
	v_fma_f32 v7, v8, v5, -v7
	v_fmac_f32_e32 v6, v2, v5
	buffer_store_dword v7, off, s[0:3], 0 offset:344
	buffer_store_dword v6, off, s[0:3], 0 offset:348
.LBB111_187:
	s_or_b32 exec_lo, exec_lo, s4
	s_waitcnt_vscnt null, 0x0
	s_barrier
	buffer_gl0_inv
	s_clause 0x1
	buffer_load_dword v5, off, s[0:3], 0 offset:352
	buffer_load_dword v6, off, s[0:3], 0 offset:356
	s_mov_b32 s4, exec_lo
	s_waitcnt vmcnt(0)
	ds_write_b64 v4, v[5:6]
	s_waitcnt lgkmcnt(0)
	s_barrier
	buffer_gl0_inv
	v_cmpx_gt_u32_e32 44, v0
	s_cbranch_execz .LBB111_191
; %bb.188:
	v_add_nc_u32_e32 v5, -1, v0
	v_add_nc_u32_e32 v6, 0x180, v3
	v_mov_b32_e32 v7, v3
	v_mov_b32_e32 v2, 0
	;; [unrolled: 1-line block ×3, first 2 shown]
	s_mov_b32 s5, 0
	.p2align	6
.LBB111_189:                            ; =>This Inner Loop Header: Depth=1
	s_clause 0x1
	buffer_load_dword v107, v7, s[0:3], 0 offen offset:4
	buffer_load_dword v108, v7, s[0:3], 0 offen
	ds_read_b64 v[105:106], v6
	v_add_nc_u32_e32 v5, 1, v5
	v_add_nc_u32_e32 v6, 8, v6
	;; [unrolled: 1-line block ×3, first 2 shown]
	v_cmp_lt_u32_e32 vcc_lo, 42, v5
	s_or_b32 s5, vcc_lo, s5
	s_waitcnt vmcnt(1) lgkmcnt(0)
	v_mul_f32_e32 v109, v106, v107
	v_mul_f32_e32 v107, v105, v107
	s_waitcnt vmcnt(0)
	v_fma_f32 v105, v105, v108, -v109
	v_fmac_f32_e32 v107, v106, v108
	v_add_f32_e32 v8, v8, v105
	v_add_f32_e32 v2, v2, v107
	s_andn2_b32 exec_lo, exec_lo, s5
	s_cbranch_execnz .LBB111_189
; %bb.190:
	s_or_b32 exec_lo, exec_lo, s5
	v_mov_b32_e32 v5, 0
	ds_read_b64 v[5:6], v5 offset:352
	s_waitcnt lgkmcnt(0)
	v_mul_f32_e32 v7, v2, v6
	v_mul_f32_e32 v6, v8, v6
	v_fma_f32 v7, v8, v5, -v7
	v_fmac_f32_e32 v6, v2, v5
	buffer_store_dword v7, off, s[0:3], 0 offset:352
	buffer_store_dword v6, off, s[0:3], 0 offset:356
.LBB111_191:
	s_or_b32 exec_lo, exec_lo, s4
	s_waitcnt_vscnt null, 0x0
	s_barrier
	buffer_gl0_inv
	s_clause 0x1
	buffer_load_dword v5, off, s[0:3], 0 offset:360
	buffer_load_dword v6, off, s[0:3], 0 offset:364
	s_mov_b32 s4, exec_lo
	s_waitcnt vmcnt(0)
	ds_write_b64 v4, v[5:6]
	s_waitcnt lgkmcnt(0)
	s_barrier
	buffer_gl0_inv
	v_cmpx_gt_u32_e32 45, v0
	s_cbranch_execz .LBB111_195
; %bb.192:
	v_add_nc_u32_e32 v5, -1, v0
	v_add_nc_u32_e32 v6, 0x180, v3
	v_mov_b32_e32 v7, v3
	v_mov_b32_e32 v2, 0
	;; [unrolled: 1-line block ×3, first 2 shown]
	s_mov_b32 s5, 0
	.p2align	6
.LBB111_193:                            ; =>This Inner Loop Header: Depth=1
	s_clause 0x1
	buffer_load_dword v107, v7, s[0:3], 0 offen offset:4
	buffer_load_dword v108, v7, s[0:3], 0 offen
	ds_read_b64 v[105:106], v6
	v_add_nc_u32_e32 v5, 1, v5
	v_add_nc_u32_e32 v6, 8, v6
	;; [unrolled: 1-line block ×3, first 2 shown]
	v_cmp_lt_u32_e32 vcc_lo, 43, v5
	s_or_b32 s5, vcc_lo, s5
	s_waitcnt vmcnt(1) lgkmcnt(0)
	v_mul_f32_e32 v109, v106, v107
	v_mul_f32_e32 v107, v105, v107
	s_waitcnt vmcnt(0)
	v_fma_f32 v105, v105, v108, -v109
	v_fmac_f32_e32 v107, v106, v108
	v_add_f32_e32 v8, v8, v105
	v_add_f32_e32 v2, v2, v107
	s_andn2_b32 exec_lo, exec_lo, s5
	s_cbranch_execnz .LBB111_193
; %bb.194:
	s_or_b32 exec_lo, exec_lo, s5
	v_mov_b32_e32 v5, 0
	ds_read_b64 v[5:6], v5 offset:360
	s_waitcnt lgkmcnt(0)
	v_mul_f32_e32 v7, v2, v6
	v_mul_f32_e32 v6, v8, v6
	v_fma_f32 v7, v8, v5, -v7
	v_fmac_f32_e32 v6, v2, v5
	buffer_store_dword v7, off, s[0:3], 0 offset:360
	buffer_store_dword v6, off, s[0:3], 0 offset:364
.LBB111_195:
	s_or_b32 exec_lo, exec_lo, s4
	s_waitcnt_vscnt null, 0x0
	s_barrier
	buffer_gl0_inv
	s_clause 0x1
	buffer_load_dword v5, off, s[0:3], 0 offset:368
	buffer_load_dword v6, off, s[0:3], 0 offset:372
	s_mov_b32 s4, exec_lo
	s_waitcnt vmcnt(0)
	ds_write_b64 v4, v[5:6]
	s_waitcnt lgkmcnt(0)
	s_barrier
	buffer_gl0_inv
	v_cmpx_gt_u32_e32 46, v0
	s_cbranch_execz .LBB111_199
; %bb.196:
	v_add_nc_u32_e32 v5, -1, v0
	v_add_nc_u32_e32 v6, 0x180, v3
	v_mov_b32_e32 v7, v3
	v_mov_b32_e32 v2, 0
	;; [unrolled: 1-line block ×3, first 2 shown]
	s_mov_b32 s5, 0
	.p2align	6
.LBB111_197:                            ; =>This Inner Loop Header: Depth=1
	s_clause 0x1
	buffer_load_dword v107, v7, s[0:3], 0 offen offset:4
	buffer_load_dword v108, v7, s[0:3], 0 offen
	ds_read_b64 v[105:106], v6
	v_add_nc_u32_e32 v5, 1, v5
	v_add_nc_u32_e32 v6, 8, v6
	;; [unrolled: 1-line block ×3, first 2 shown]
	v_cmp_lt_u32_e32 vcc_lo, 44, v5
	s_or_b32 s5, vcc_lo, s5
	s_waitcnt vmcnt(1) lgkmcnt(0)
	v_mul_f32_e32 v109, v106, v107
	v_mul_f32_e32 v107, v105, v107
	s_waitcnt vmcnt(0)
	v_fma_f32 v105, v105, v108, -v109
	v_fmac_f32_e32 v107, v106, v108
	v_add_f32_e32 v8, v8, v105
	v_add_f32_e32 v2, v2, v107
	s_andn2_b32 exec_lo, exec_lo, s5
	s_cbranch_execnz .LBB111_197
; %bb.198:
	s_or_b32 exec_lo, exec_lo, s5
	v_mov_b32_e32 v5, 0
	ds_read_b64 v[5:6], v5 offset:368
	s_waitcnt lgkmcnt(0)
	v_mul_f32_e32 v7, v2, v6
	v_mul_f32_e32 v6, v8, v6
	v_fma_f32 v7, v8, v5, -v7
	v_fmac_f32_e32 v6, v2, v5
	buffer_store_dword v7, off, s[0:3], 0 offset:368
	buffer_store_dword v6, off, s[0:3], 0 offset:372
.LBB111_199:
	s_or_b32 exec_lo, exec_lo, s4
	s_waitcnt_vscnt null, 0x0
	s_barrier
	buffer_gl0_inv
	s_clause 0x1
	buffer_load_dword v5, off, s[0:3], 0 offset:376
	buffer_load_dword v6, off, s[0:3], 0 offset:380
	s_mov_b32 s4, exec_lo
	s_waitcnt vmcnt(0)
	ds_write_b64 v4, v[5:6]
	s_waitcnt lgkmcnt(0)
	s_barrier
	buffer_gl0_inv
	v_cmpx_ne_u32_e32 47, v0
	s_cbranch_execz .LBB111_203
; %bb.200:
	v_mov_b32_e32 v2, 0
	v_mov_b32_e32 v5, 0
	s_mov_b32 s5, 0
	.p2align	6
.LBB111_201:                            ; =>This Inner Loop Header: Depth=1
	s_clause 0x1
	buffer_load_dword v8, v3, s[0:3], 0 offen offset:4
	buffer_load_dword v105, v3, s[0:3], 0 offen
	ds_read_b64 v[6:7], v4
	v_add_nc_u32_e32 v1, 1, v1
	v_add_nc_u32_e32 v4, 8, v4
	;; [unrolled: 1-line block ×3, first 2 shown]
	v_cmp_lt_u32_e32 vcc_lo, 45, v1
	s_or_b32 s5, vcc_lo, s5
	s_waitcnt vmcnt(1) lgkmcnt(0)
	v_mul_f32_e32 v106, v7, v8
	v_mul_f32_e32 v8, v6, v8
	s_waitcnt vmcnt(0)
	v_fma_f32 v6, v6, v105, -v106
	v_fmac_f32_e32 v8, v7, v105
	v_add_f32_e32 v5, v5, v6
	v_add_f32_e32 v2, v2, v8
	s_andn2_b32 exec_lo, exec_lo, s5
	s_cbranch_execnz .LBB111_201
; %bb.202:
	s_or_b32 exec_lo, exec_lo, s5
	v_mov_b32_e32 v1, 0
	ds_read_b64 v[3:4], v1 offset:376
	s_waitcnt lgkmcnt(0)
	v_mul_f32_e32 v1, v2, v4
	v_mul_f32_e32 v4, v5, v4
	v_fma_f32 v1, v5, v3, -v1
	v_fmac_f32_e32 v4, v2, v3
	buffer_store_dword v1, off, s[0:3], 0 offset:376
	buffer_store_dword v4, off, s[0:3], 0 offset:380
.LBB111_203:
	s_or_b32 exec_lo, exec_lo, s4
	s_mov_b32 s5, -1
	s_waitcnt_vscnt null, 0x0
	s_barrier
	buffer_gl0_inv
.LBB111_204:
	s_and_b32 vcc_lo, exec_lo, s5
	s_cbranch_vccz .LBB111_206
; %bb.205:
	s_lshl_b64 s[4:5], s[6:7], 2
	v_mov_b32_e32 v1, 0
	s_add_u32 s4, s10, s4
	s_addc_u32 s5, s11, s5
	global_load_dword v1, v1, s[4:5]
	s_waitcnt vmcnt(0)
	v_cmp_ne_u32_e32 vcc_lo, 0, v1
	s_cbranch_vccz .LBB111_207
.LBB111_206:
	s_endpgm
.LBB111_207:
	v_lshl_add_u32 v105, v0, 3, 0x180
	s_mov_b32 s4, exec_lo
	v_cmpx_eq_u32_e32 47, v0
	s_cbranch_execz .LBB111_209
; %bb.208:
	s_clause 0x1
	buffer_load_dword v1, off, s[0:3], 0 offset:368
	buffer_load_dword v2, off, s[0:3], 0 offset:372
	v_mov_b32_e32 v3, 0
	buffer_store_dword v3, off, s[0:3], 0 offset:368
	buffer_store_dword v3, off, s[0:3], 0 offset:372
	s_waitcnt vmcnt(0)
	ds_write_b64 v105, v[1:2]
.LBB111_209:
	s_or_b32 exec_lo, exec_lo, s4
	s_waitcnt lgkmcnt(0)
	s_waitcnt_vscnt null, 0x0
	s_barrier
	buffer_gl0_inv
	s_clause 0x3
	buffer_load_dword v4, off, s[0:3], 0 offset:380
	buffer_load_dword v5, off, s[0:3], 0 offset:376
	;; [unrolled: 1-line block ×4, first 2 shown]
	v_mov_b32_e32 v1, 0
	s_mov_b32 s4, exec_lo
	ds_read_b64 v[2:3], v1 offset:760
	s_waitcnt vmcnt(3) lgkmcnt(0)
	v_mul_f32_e32 v8, v3, v4
	v_mul_f32_e32 v4, v2, v4
	s_waitcnt vmcnt(2)
	v_fma_f32 v2, v2, v5, -v8
	v_fmac_f32_e32 v4, v3, v5
	v_add_f32_e32 v2, 0, v2
	v_add_f32_e32 v3, 0, v4
	s_waitcnt vmcnt(1)
	v_sub_f32_e32 v2, v6, v2
	s_waitcnt vmcnt(0)
	v_sub_f32_e32 v3, v7, v3
	buffer_store_dword v2, off, s[0:3], 0 offset:368
	buffer_store_dword v3, off, s[0:3], 0 offset:372
	v_cmpx_lt_u32_e32 45, v0
	s_cbranch_execz .LBB111_211
; %bb.210:
	s_clause 0x1
	buffer_load_dword v2, off, s[0:3], 0 offset:360
	buffer_load_dword v3, off, s[0:3], 0 offset:364
	buffer_store_dword v1, off, s[0:3], 0 offset:360
	buffer_store_dword v1, off, s[0:3], 0 offset:364
	s_waitcnt vmcnt(0)
	ds_write_b64 v105, v[2:3]
.LBB111_211:
	s_or_b32 exec_lo, exec_lo, s4
	s_waitcnt lgkmcnt(0)
	s_waitcnt_vscnt null, 0x0
	s_barrier
	buffer_gl0_inv
	s_clause 0x5
	buffer_load_dword v5, off, s[0:3], 0 offset:372
	buffer_load_dword v6, off, s[0:3], 0 offset:380
	;; [unrolled: 1-line block ×6, first 2 shown]
	ds_read_b128 v[1:4], v1 offset:752
	s_mov_b32 s4, exec_lo
	s_waitcnt vmcnt(5) lgkmcnt(0)
	v_mul_f32_e32 v108, v2, v5
	v_mul_f32_e32 v5, v1, v5
	s_waitcnt vmcnt(4)
	v_mul_f32_e32 v109, v3, v6
	v_mul_f32_e32 v6, v4, v6
	s_waitcnt vmcnt(3)
	v_fma_f32 v1, v1, v7, -v108
	v_fmac_f32_e32 v5, v2, v7
	s_waitcnt vmcnt(2)
	v_fmac_f32_e32 v109, v4, v8
	v_fma_f32 v2, v3, v8, -v6
	v_add_f32_e32 v1, 0, v1
	v_add_f32_e32 v3, 0, v5
	;; [unrolled: 1-line block ×4, first 2 shown]
	s_waitcnt vmcnt(1)
	v_sub_f32_e32 v1, v106, v1
	s_waitcnt vmcnt(0)
	v_sub_f32_e32 v2, v107, v2
	buffer_store_dword v1, off, s[0:3], 0 offset:360
	buffer_store_dword v2, off, s[0:3], 0 offset:364
	v_cmpx_lt_u32_e32 44, v0
	s_cbranch_execz .LBB111_213
; %bb.212:
	s_clause 0x1
	buffer_load_dword v1, off, s[0:3], 0 offset:352
	buffer_load_dword v2, off, s[0:3], 0 offset:356
	v_mov_b32_e32 v3, 0
	buffer_store_dword v3, off, s[0:3], 0 offset:352
	buffer_store_dword v3, off, s[0:3], 0 offset:356
	s_waitcnt vmcnt(0)
	ds_write_b64 v105, v[1:2]
.LBB111_213:
	s_or_b32 exec_lo, exec_lo, s4
	s_waitcnt lgkmcnt(0)
	s_waitcnt_vscnt null, 0x0
	s_barrier
	buffer_gl0_inv
	s_clause 0x7
	buffer_load_dword v8, off, s[0:3], 0 offset:364
	buffer_load_dword v106, off, s[0:3], 0 offset:372
	;; [unrolled: 1-line block ×8, first 2 shown]
	v_mov_b32_e32 v1, 0
	ds_read2_b64 v[2:5], v1 offset0:93 offset1:94
	ds_read_b64 v[6:7], v1 offset:760
	s_mov_b32 s4, exec_lo
	s_waitcnt vmcnt(7) lgkmcnt(1)
	v_mul_f32_e32 v113, v3, v8
	v_mul_f32_e32 v8, v2, v8
	s_waitcnt vmcnt(6)
	v_mul_f32_e32 v114, v4, v106
	v_mul_f32_e32 v106, v5, v106
	s_waitcnt vmcnt(5) lgkmcnt(0)
	v_mul_f32_e32 v115, v6, v107
	s_waitcnt vmcnt(4)
	v_fma_f32 v2, v2, v108, -v113
	v_fmac_f32_e32 v8, v3, v108
	v_mul_f32_e32 v3, v7, v107
	s_waitcnt vmcnt(3)
	v_fma_f32 v4, v4, v109, -v106
	v_fmac_f32_e32 v114, v5, v109
	v_add_f32_e32 v2, 0, v2
	v_add_f32_e32 v5, 0, v8
	s_waitcnt vmcnt(2)
	v_fma_f32 v3, v6, v110, -v3
	v_fmac_f32_e32 v115, v7, v110
	v_add_f32_e32 v2, v2, v4
	v_add_f32_e32 v4, v5, v114
	;; [unrolled: 1-line block ×4, first 2 shown]
	s_waitcnt vmcnt(1)
	v_sub_f32_e32 v2, v111, v2
	s_waitcnt vmcnt(0)
	v_sub_f32_e32 v3, v112, v3
	buffer_store_dword v2, off, s[0:3], 0 offset:352
	buffer_store_dword v3, off, s[0:3], 0 offset:356
	v_cmpx_lt_u32_e32 43, v0
	s_cbranch_execz .LBB111_215
; %bb.214:
	s_clause 0x1
	buffer_load_dword v2, off, s[0:3], 0 offset:344
	buffer_load_dword v3, off, s[0:3], 0 offset:348
	buffer_store_dword v1, off, s[0:3], 0 offset:344
	buffer_store_dword v1, off, s[0:3], 0 offset:348
	s_waitcnt vmcnt(0)
	ds_write_b64 v105, v[2:3]
.LBB111_215:
	s_or_b32 exec_lo, exec_lo, s4
	s_waitcnt lgkmcnt(0)
	s_waitcnt_vscnt null, 0x0
	s_barrier
	buffer_gl0_inv
	s_clause 0x9
	buffer_load_dword v6, off, s[0:3], 0 offset:356
	buffer_load_dword v7, off, s[0:3], 0 offset:364
	;; [unrolled: 1-line block ×10, first 2 shown]
	ds_read_b128 v[2:5], v1 offset:736
	ds_read_b128 v[106:109], v1 offset:752
	s_mov_b32 s4, exec_lo
	s_waitcnt vmcnt(9) lgkmcnt(1)
	v_mul_f32_e32 v1, v2, v6
	v_mul_f32_e32 v6, v3, v6
	s_waitcnt vmcnt(8)
	v_mul_f32_e32 v117, v4, v7
	v_mul_f32_e32 v7, v5, v7
	s_waitcnt vmcnt(7) lgkmcnt(0)
	v_mul_f32_e32 v118, v106, v8
	s_waitcnt vmcnt(5)
	v_fmac_f32_e32 v1, v3, v111
	v_fma_f32 v2, v2, v111, -v6
	v_mul_f32_e32 v3, v107, v8
	s_waitcnt vmcnt(4)
	v_fma_f32 v4, v4, v112, -v7
	v_fmac_f32_e32 v117, v5, v112
	v_add_f32_e32 v1, 0, v1
	v_add_f32_e32 v2, 0, v2
	v_mul_f32_e32 v5, v109, v110
	s_waitcnt vmcnt(3)
	v_fma_f32 v3, v106, v113, -v3
	v_mul_f32_e32 v119, v108, v110
	v_fmac_f32_e32 v118, v107, v113
	v_add_f32_e32 v2, v2, v4
	v_add_f32_e32 v1, v1, v117
	s_waitcnt vmcnt(2)
	v_fma_f32 v4, v108, v114, -v5
	v_fmac_f32_e32 v119, v109, v114
	v_add_f32_e32 v2, v2, v3
	v_add_f32_e32 v1, v1, v118
	;; [unrolled: 1-line block ×4, first 2 shown]
	s_waitcnt vmcnt(1)
	v_sub_f32_e32 v2, v115, v2
	s_waitcnt vmcnt(0)
	v_sub_f32_e32 v1, v116, v1
	buffer_store_dword v2, off, s[0:3], 0 offset:344
	buffer_store_dword v1, off, s[0:3], 0 offset:348
	v_cmpx_lt_u32_e32 42, v0
	s_cbranch_execz .LBB111_217
; %bb.216:
	s_clause 0x1
	buffer_load_dword v1, off, s[0:3], 0 offset:336
	buffer_load_dword v2, off, s[0:3], 0 offset:340
	v_mov_b32_e32 v3, 0
	buffer_store_dword v3, off, s[0:3], 0 offset:336
	buffer_store_dword v3, off, s[0:3], 0 offset:340
	s_waitcnt vmcnt(0)
	ds_write_b64 v105, v[1:2]
.LBB111_217:
	s_or_b32 exec_lo, exec_lo, s4
	s_waitcnt lgkmcnt(0)
	s_waitcnt_vscnt null, 0x0
	s_barrier
	buffer_gl0_inv
	s_clause 0xb
	buffer_load_dword v8, off, s[0:3], 0 offset:348
	buffer_load_dword v110, off, s[0:3], 0 offset:356
	;; [unrolled: 1-line block ×12, first 2 shown]
	v_mov_b32_e32 v1, 0
	ds_read2_b64 v[2:5], v1 offset0:91 offset1:92
	ds_read2_b64 v[106:109], v1 offset0:93 offset1:94
	ds_read_b64 v[6:7], v1 offset:760
	s_mov_b32 s4, exec_lo
	s_waitcnt vmcnt(11) lgkmcnt(2)
	v_mul_f32_e32 v121, v2, v8
	v_mul_f32_e32 v8, v3, v8
	s_waitcnt vmcnt(10)
	v_mul_f32_e32 v122, v4, v110
	v_mul_f32_e32 v110, v5, v110
	s_waitcnt vmcnt(9) lgkmcnt(1)
	v_mul_f32_e32 v123, v106, v111
	s_waitcnt vmcnt(6)
	v_fmac_f32_e32 v121, v3, v114
	v_fma_f32 v2, v2, v114, -v8
	v_mul_f32_e32 v3, v107, v111
	s_waitcnt vmcnt(5)
	v_fma_f32 v4, v4, v115, -v110
	v_fmac_f32_e32 v122, v5, v115
	v_add_f32_e32 v5, 0, v121
	v_add_f32_e32 v2, 0, v2
	v_mul_f32_e32 v8, v109, v112
	s_waitcnt vmcnt(4)
	v_fma_f32 v3, v106, v116, -v3
	v_mul_f32_e32 v124, v108, v112
	v_fmac_f32_e32 v123, v107, v116
	v_add_f32_e32 v2, v2, v4
	v_add_f32_e32 v4, v5, v122
	s_waitcnt lgkmcnt(0)
	v_mul_f32_e32 v5, v7, v113
	s_waitcnt vmcnt(3)
	v_fma_f32 v8, v108, v117, -v8
	v_mul_f32_e32 v125, v6, v113
	v_add_f32_e32 v2, v2, v3
	v_fmac_f32_e32 v124, v109, v117
	v_add_f32_e32 v3, v4, v123
	s_waitcnt vmcnt(2)
	v_fma_f32 v4, v6, v118, -v5
	v_fmac_f32_e32 v125, v7, v118
	v_add_f32_e32 v2, v2, v8
	v_add_f32_e32 v3, v3, v124
	;; [unrolled: 1-line block ×4, first 2 shown]
	s_waitcnt vmcnt(1)
	v_sub_f32_e32 v2, v119, v2
	s_waitcnt vmcnt(0)
	v_sub_f32_e32 v3, v120, v3
	buffer_store_dword v2, off, s[0:3], 0 offset:336
	buffer_store_dword v3, off, s[0:3], 0 offset:340
	v_cmpx_lt_u32_e32 41, v0
	s_cbranch_execz .LBB111_219
; %bb.218:
	s_clause 0x1
	buffer_load_dword v2, off, s[0:3], 0 offset:328
	buffer_load_dword v3, off, s[0:3], 0 offset:332
	buffer_store_dword v1, off, s[0:3], 0 offset:328
	buffer_store_dword v1, off, s[0:3], 0 offset:332
	s_waitcnt vmcnt(0)
	ds_write_b64 v105, v[2:3]
.LBB111_219:
	s_or_b32 exec_lo, exec_lo, s4
	s_waitcnt lgkmcnt(0)
	s_waitcnt_vscnt null, 0x0
	s_barrier
	buffer_gl0_inv
	s_clause 0xd
	buffer_load_dword v6, off, s[0:3], 0 offset:340
	buffer_load_dword v7, off, s[0:3], 0 offset:348
	;; [unrolled: 1-line block ×14, first 2 shown]
	ds_read_b128 v[2:5], v1 offset:720
	ds_read_b128 v[106:109], v1 offset:736
	;; [unrolled: 1-line block ×3, first 2 shown]
	s_mov_b32 s4, exec_lo
	s_waitcnt vmcnt(13) lgkmcnt(2)
	v_mul_f32_e32 v1, v2, v6
	v_mul_f32_e32 v6, v3, v6
	s_waitcnt vmcnt(12)
	v_mul_f32_e32 v125, v4, v7
	v_mul_f32_e32 v7, v5, v7
	s_waitcnt vmcnt(11) lgkmcnt(1)
	v_mul_f32_e32 v126, v106, v8
	s_waitcnt vmcnt(10)
	v_mul_f32_e32 v127, v108, v114
	s_waitcnt vmcnt(7)
	v_fma_f32 v2, v2, v117, -v6
	v_fmac_f32_e32 v1, v3, v117
	v_mul_f32_e32 v3, v107, v8
	s_waitcnt vmcnt(6)
	v_fma_f32 v4, v4, v118, -v7
	v_fmac_f32_e32 v125, v5, v118
	v_add_f32_e32 v2, 0, v2
	v_add_f32_e32 v1, 0, v1
	v_mul_f32_e32 v5, v109, v114
	s_waitcnt vmcnt(5)
	v_fma_f32 v3, v106, v119, -v3
	v_fmac_f32_e32 v126, v107, v119
	v_add_f32_e32 v2, v2, v4
	v_add_f32_e32 v1, v1, v125
	s_waitcnt lgkmcnt(0)
	v_mul_f32_e32 v4, v111, v115
	s_waitcnt vmcnt(4)
	v_fma_f32 v5, v108, v120, -v5
	v_mul_f32_e32 v128, v110, v115
	v_add_f32_e32 v2, v2, v3
	v_fmac_f32_e32 v127, v109, v120
	v_add_f32_e32 v1, v1, v126
	v_mul_f32_e32 v3, v113, v116
	s_waitcnt vmcnt(3)
	v_fma_f32 v4, v110, v121, -v4
	v_add_f32_e32 v2, v2, v5
	v_mul_f32_e32 v129, v112, v116
	v_fmac_f32_e32 v128, v111, v121
	v_add_f32_e32 v1, v1, v127
	s_waitcnt vmcnt(2)
	v_fma_f32 v3, v112, v122, -v3
	v_add_f32_e32 v2, v2, v4
	v_fmac_f32_e32 v129, v113, v122
	v_add_f32_e32 v1, v1, v128
	v_add_f32_e32 v2, v2, v3
	;; [unrolled: 1-line block ×3, first 2 shown]
	s_waitcnt vmcnt(1)
	v_sub_f32_e32 v2, v123, v2
	s_waitcnt vmcnt(0)
	v_sub_f32_e32 v1, v124, v1
	buffer_store_dword v2, off, s[0:3], 0 offset:328
	buffer_store_dword v1, off, s[0:3], 0 offset:332
	v_cmpx_lt_u32_e32 40, v0
	s_cbranch_execz .LBB111_221
; %bb.220:
	s_clause 0x1
	buffer_load_dword v1, off, s[0:3], 0 offset:320
	buffer_load_dword v2, off, s[0:3], 0 offset:324
	v_mov_b32_e32 v3, 0
	buffer_store_dword v3, off, s[0:3], 0 offset:320
	buffer_store_dword v3, off, s[0:3], 0 offset:324
	s_waitcnt vmcnt(0)
	ds_write_b64 v105, v[1:2]
.LBB111_221:
	s_or_b32 exec_lo, exec_lo, s4
	s_waitcnt lgkmcnt(0)
	s_waitcnt_vscnt null, 0x0
	s_barrier
	buffer_gl0_inv
	s_clause 0xf
	buffer_load_dword v8, off, s[0:3], 0 offset:332
	buffer_load_dword v114, off, s[0:3], 0 offset:340
	;; [unrolled: 1-line block ×16, first 2 shown]
	v_mov_b32_e32 v1, 0
	ds_read2_b64 v[2:5], v1 offset0:89 offset1:90
	ds_read2_b64 v[106:109], v1 offset0:91 offset1:92
	ds_read2_b64 v[110:113], v1 offset0:93 offset1:94
	ds_read_b64 v[6:7], v1 offset:760
	s_mov_b32 s4, exec_lo
	s_waitcnt vmcnt(15) lgkmcnt(3)
	v_mul_f32_e32 v129, v2, v8
	v_mul_f32_e32 v8, v3, v8
	s_waitcnt vmcnt(14)
	v_mul_f32_e32 v130, v4, v114
	v_mul_f32_e32 v114, v5, v114
	s_waitcnt vmcnt(13) lgkmcnt(2)
	v_mul_f32_e32 v131, v106, v115
	s_waitcnt vmcnt(12)
	v_mul_f32_e32 v132, v108, v116
	s_waitcnt vmcnt(11) lgkmcnt(1)
	v_mul_f32_e32 v133, v110, v117
	s_waitcnt vmcnt(8)
	v_fma_f32 v2, v2, v120, -v8
	v_fmac_f32_e32 v129, v3, v120
	v_mul_f32_e32 v3, v107, v115
	s_waitcnt vmcnt(7)
	v_fma_f32 v4, v4, v121, -v114
	v_fmac_f32_e32 v130, v5, v121
	v_add_f32_e32 v2, 0, v2
	v_add_f32_e32 v5, 0, v129
	v_mul_f32_e32 v8, v109, v116
	s_waitcnt vmcnt(6)
	v_fma_f32 v3, v106, v122, -v3
	v_fmac_f32_e32 v131, v107, v122
	v_add_f32_e32 v2, v2, v4
	v_add_f32_e32 v4, v5, v130
	v_mul_f32_e32 v5, v111, v117
	s_waitcnt vmcnt(5)
	v_fma_f32 v8, v108, v123, -v8
	v_fmac_f32_e32 v132, v109, v123
	v_add_f32_e32 v2, v2, v3
	v_add_f32_e32 v3, v4, v131
	v_mul_f32_e32 v4, v113, v118
	s_waitcnt vmcnt(4)
	v_fma_f32 v5, v110, v124, -v5
	v_mul_f32_e32 v134, v112, v118
	v_add_f32_e32 v2, v2, v8
	v_fmac_f32_e32 v133, v111, v124
	v_add_f32_e32 v3, v3, v132
	s_waitcnt lgkmcnt(0)
	v_mul_f32_e32 v8, v7, v119
	s_waitcnt vmcnt(3)
	v_fma_f32 v4, v112, v125, -v4
	v_add_f32_e32 v2, v2, v5
	v_mul_f32_e32 v135, v6, v119
	v_fmac_f32_e32 v134, v113, v125
	v_add_f32_e32 v3, v3, v133
	s_waitcnt vmcnt(2)
	v_fma_f32 v5, v6, v126, -v8
	v_add_f32_e32 v2, v2, v4
	v_fmac_f32_e32 v135, v7, v126
	v_add_f32_e32 v3, v3, v134
	v_add_f32_e32 v2, v2, v5
	;; [unrolled: 1-line block ×3, first 2 shown]
	s_waitcnt vmcnt(1)
	v_sub_f32_e32 v2, v127, v2
	s_waitcnt vmcnt(0)
	v_sub_f32_e32 v3, v128, v3
	buffer_store_dword v2, off, s[0:3], 0 offset:320
	buffer_store_dword v3, off, s[0:3], 0 offset:324
	v_cmpx_lt_u32_e32 39, v0
	s_cbranch_execz .LBB111_223
; %bb.222:
	s_clause 0x1
	buffer_load_dword v2, off, s[0:3], 0 offset:312
	buffer_load_dword v3, off, s[0:3], 0 offset:316
	buffer_store_dword v1, off, s[0:3], 0 offset:312
	buffer_store_dword v1, off, s[0:3], 0 offset:316
	s_waitcnt vmcnt(0)
	ds_write_b64 v105, v[2:3]
.LBB111_223:
	s_or_b32 exec_lo, exec_lo, s4
	s_waitcnt lgkmcnt(0)
	s_waitcnt_vscnt null, 0x0
	s_barrier
	buffer_gl0_inv
	s_clause 0x11
	buffer_load_dword v6, off, s[0:3], 0 offset:324
	buffer_load_dword v7, off, s[0:3], 0 offset:332
	;; [unrolled: 1-line block ×18, first 2 shown]
	ds_read_b128 v[2:5], v1 offset:704
	ds_read_b128 v[106:109], v1 offset:720
	;; [unrolled: 1-line block ×4, first 2 shown]
	s_mov_b32 s4, exec_lo
	s_waitcnt vmcnt(17) lgkmcnt(3)
	v_mul_f32_e32 v1, v2, v6
	v_mul_f32_e32 v6, v3, v6
	s_waitcnt vmcnt(16)
	v_mul_f32_e32 v133, v4, v7
	v_mul_f32_e32 v7, v5, v7
	s_waitcnt vmcnt(15) lgkmcnt(2)
	v_mul_f32_e32 v134, v106, v8
	s_waitcnt vmcnt(14)
	v_mul_f32_e32 v135, v108, v118
	s_waitcnt vmcnt(13) lgkmcnt(1)
	v_mul_f32_e32 v136, v110, v119
	s_waitcnt vmcnt(12)
	v_mul_f32_e32 v137, v112, v120
	s_waitcnt vmcnt(9)
	v_fma_f32 v2, v2, v123, -v6
	v_fmac_f32_e32 v1, v3, v123
	v_mul_f32_e32 v3, v107, v8
	s_waitcnt vmcnt(8)
	v_fma_f32 v4, v4, v124, -v7
	v_fmac_f32_e32 v133, v5, v124
	v_add_f32_e32 v2, 0, v2
	v_add_f32_e32 v1, 0, v1
	v_mul_f32_e32 v5, v109, v118
	s_waitcnt vmcnt(7)
	v_fma_f32 v3, v106, v125, -v3
	v_fmac_f32_e32 v134, v107, v125
	v_add_f32_e32 v2, v2, v4
	v_add_f32_e32 v1, v1, v133
	;; [unrolled: 6-line block ×4, first 2 shown]
	s_waitcnt lgkmcnt(0)
	v_mul_f32_e32 v5, v115, v121
	s_waitcnt vmcnt(4)
	v_fma_f32 v3, v112, v128, -v3
	v_mul_f32_e32 v138, v114, v121
	v_add_f32_e32 v2, v2, v4
	v_fmac_f32_e32 v137, v113, v128
	v_add_f32_e32 v1, v1, v136
	v_mul_f32_e32 v4, v117, v122
	s_waitcnt vmcnt(3)
	v_fma_f32 v5, v114, v129, -v5
	v_add_f32_e32 v2, v2, v3
	v_mul_f32_e32 v139, v116, v122
	v_fmac_f32_e32 v138, v115, v129
	v_add_f32_e32 v1, v1, v137
	s_waitcnt vmcnt(2)
	v_fma_f32 v3, v116, v130, -v4
	v_add_f32_e32 v2, v2, v5
	v_fmac_f32_e32 v139, v117, v130
	v_add_f32_e32 v1, v1, v138
	v_add_f32_e32 v2, v2, v3
	;; [unrolled: 1-line block ×3, first 2 shown]
	s_waitcnt vmcnt(1)
	v_sub_f32_e32 v2, v131, v2
	s_waitcnt vmcnt(0)
	v_sub_f32_e32 v1, v132, v1
	buffer_store_dword v2, off, s[0:3], 0 offset:312
	buffer_store_dword v1, off, s[0:3], 0 offset:316
	v_cmpx_lt_u32_e32 38, v0
	s_cbranch_execz .LBB111_225
; %bb.224:
	s_clause 0x1
	buffer_load_dword v1, off, s[0:3], 0 offset:304
	buffer_load_dword v2, off, s[0:3], 0 offset:308
	v_mov_b32_e32 v3, 0
	buffer_store_dword v3, off, s[0:3], 0 offset:304
	buffer_store_dword v3, off, s[0:3], 0 offset:308
	s_waitcnt vmcnt(0)
	ds_write_b64 v105, v[1:2]
.LBB111_225:
	s_or_b32 exec_lo, exec_lo, s4
	s_waitcnt lgkmcnt(0)
	s_waitcnt_vscnt null, 0x0
	s_barrier
	buffer_gl0_inv
	s_clause 0x13
	buffer_load_dword v8, off, s[0:3], 0 offset:316
	buffer_load_dword v118, off, s[0:3], 0 offset:324
	;; [unrolled: 1-line block ×20, first 2 shown]
	v_mov_b32_e32 v1, 0
	ds_read2_b64 v[2:5], v1 offset0:87 offset1:88
	ds_read2_b64 v[106:109], v1 offset0:89 offset1:90
	;; [unrolled: 1-line block ×4, first 2 shown]
	ds_read_b64 v[6:7], v1 offset:760
	s_mov_b32 s4, exec_lo
	s_waitcnt vmcnt(19) lgkmcnt(4)
	v_mul_f32_e32 v137, v2, v8
	v_mul_f32_e32 v8, v3, v8
	s_waitcnt vmcnt(18)
	v_mul_f32_e32 v138, v4, v118
	v_mul_f32_e32 v118, v5, v118
	s_waitcnt vmcnt(17) lgkmcnt(3)
	v_mul_f32_e32 v139, v106, v119
	s_waitcnt vmcnt(16)
	v_mul_f32_e32 v140, v108, v120
	s_waitcnt vmcnt(15) lgkmcnt(2)
	v_mul_f32_e32 v141, v110, v121
	s_waitcnt vmcnt(14)
	;; [unrolled: 4-line block ×3, first 2 shown]
	v_fma_f32 v2, v2, v126, -v8
	v_fmac_f32_e32 v137, v3, v126
	v_mul_f32_e32 v3, v107, v119
	s_waitcnt vmcnt(9)
	v_fma_f32 v4, v4, v127, -v118
	v_fmac_f32_e32 v138, v5, v127
	v_add_f32_e32 v2, 0, v2
	v_add_f32_e32 v5, 0, v137
	v_mul_f32_e32 v8, v109, v120
	s_waitcnt vmcnt(8)
	v_fma_f32 v3, v106, v128, -v3
	v_fmac_f32_e32 v139, v107, v128
	v_add_f32_e32 v2, v2, v4
	v_add_f32_e32 v4, v5, v138
	;; [unrolled: 6-line block ×5, first 2 shown]
	v_mul_f32_e32 v5, v117, v124
	s_waitcnt vmcnt(4)
	v_fma_f32 v8, v114, v132, -v8
	v_mul_f32_e32 v144, v116, v124
	v_add_f32_e32 v2, v2, v4
	v_fmac_f32_e32 v143, v115, v132
	v_add_f32_e32 v3, v3, v142
	s_waitcnt lgkmcnt(0)
	v_mul_f32_e32 v4, v7, v125
	s_waitcnt vmcnt(3)
	v_fma_f32 v5, v116, v133, -v5
	v_add_f32_e32 v2, v2, v8
	v_mul_f32_e32 v145, v6, v125
	v_fmac_f32_e32 v144, v117, v133
	v_add_f32_e32 v3, v3, v143
	s_waitcnt vmcnt(2)
	v_fma_f32 v4, v6, v134, -v4
	v_add_f32_e32 v2, v2, v5
	v_fmac_f32_e32 v145, v7, v134
	v_add_f32_e32 v3, v3, v144
	v_add_f32_e32 v2, v2, v4
	;; [unrolled: 1-line block ×3, first 2 shown]
	s_waitcnt vmcnt(1)
	v_sub_f32_e32 v2, v135, v2
	s_waitcnt vmcnt(0)
	v_sub_f32_e32 v3, v136, v3
	buffer_store_dword v2, off, s[0:3], 0 offset:304
	buffer_store_dword v3, off, s[0:3], 0 offset:308
	v_cmpx_lt_u32_e32 37, v0
	s_cbranch_execz .LBB111_227
; %bb.226:
	s_clause 0x1
	buffer_load_dword v2, off, s[0:3], 0 offset:296
	buffer_load_dword v3, off, s[0:3], 0 offset:300
	buffer_store_dword v1, off, s[0:3], 0 offset:296
	buffer_store_dword v1, off, s[0:3], 0 offset:300
	s_waitcnt vmcnt(0)
	ds_write_b64 v105, v[2:3]
.LBB111_227:
	s_or_b32 exec_lo, exec_lo, s4
	s_waitcnt lgkmcnt(0)
	s_waitcnt_vscnt null, 0x0
	s_barrier
	buffer_gl0_inv
	s_clause 0x15
	buffer_load_dword v6, off, s[0:3], 0 offset:308
	buffer_load_dword v7, off, s[0:3], 0 offset:316
	;; [unrolled: 1-line block ×22, first 2 shown]
	ds_read_b128 v[2:5], v1 offset:688
	ds_read_b128 v[106:109], v1 offset:704
	;; [unrolled: 1-line block ×5, first 2 shown]
	s_mov_b32 s4, exec_lo
	s_waitcnt vmcnt(21) lgkmcnt(4)
	v_mul_f32_e32 v1, v2, v6
	v_mul_f32_e32 v6, v3, v6
	s_waitcnt vmcnt(20)
	v_mul_f32_e32 v141, v4, v7
	v_mul_f32_e32 v7, v5, v7
	s_waitcnt vmcnt(19) lgkmcnt(3)
	v_mul_f32_e32 v142, v106, v8
	s_waitcnt vmcnt(18)
	v_mul_f32_e32 v143, v108, v122
	s_waitcnt vmcnt(17) lgkmcnt(2)
	v_mul_f32_e32 v144, v110, v123
	s_waitcnt vmcnt(16)
	v_mul_f32_e32 v145, v112, v124
	s_waitcnt vmcnt(15) lgkmcnt(1)
	v_mul_f32_e32 v146, v114, v125
	s_waitcnt vmcnt(14)
	v_mul_f32_e32 v147, v116, v126
	s_waitcnt vmcnt(11)
	v_fma_f32 v2, v2, v129, -v6
	v_fmac_f32_e32 v1, v3, v129
	v_mul_f32_e32 v3, v107, v8
	s_waitcnt vmcnt(10)
	v_fma_f32 v4, v4, v130, -v7
	v_fmac_f32_e32 v141, v5, v130
	v_add_f32_e32 v2, 0, v2
	v_add_f32_e32 v1, 0, v1
	v_mul_f32_e32 v5, v109, v122
	s_waitcnt vmcnt(9)
	v_fma_f32 v3, v106, v131, -v3
	v_fmac_f32_e32 v142, v107, v131
	v_add_f32_e32 v2, v2, v4
	v_add_f32_e32 v1, v1, v141
	;; [unrolled: 6-line block ×6, first 2 shown]
	s_waitcnt lgkmcnt(0)
	v_mul_f32_e32 v3, v119, v127
	s_waitcnt vmcnt(4)
	v_fma_f32 v4, v116, v136, -v4
	v_mul_f32_e32 v148, v118, v127
	v_add_f32_e32 v2, v2, v5
	v_fmac_f32_e32 v147, v117, v136
	v_add_f32_e32 v1, v1, v146
	v_mul_f32_e32 v5, v121, v128
	s_waitcnt vmcnt(3)
	v_fma_f32 v3, v118, v137, -v3
	v_add_f32_e32 v2, v2, v4
	v_mul_f32_e32 v149, v120, v128
	v_fmac_f32_e32 v148, v119, v137
	v_add_f32_e32 v1, v1, v147
	s_waitcnt vmcnt(2)
	v_fma_f32 v4, v120, v138, -v5
	v_add_f32_e32 v2, v2, v3
	v_fmac_f32_e32 v149, v121, v138
	v_add_f32_e32 v1, v1, v148
	v_add_f32_e32 v2, v2, v4
	;; [unrolled: 1-line block ×3, first 2 shown]
	s_waitcnt vmcnt(1)
	v_sub_f32_e32 v2, v139, v2
	s_waitcnt vmcnt(0)
	v_sub_f32_e32 v1, v140, v1
	buffer_store_dword v2, off, s[0:3], 0 offset:296
	buffer_store_dword v1, off, s[0:3], 0 offset:300
	v_cmpx_lt_u32_e32 36, v0
	s_cbranch_execz .LBB111_229
; %bb.228:
	s_clause 0x1
	buffer_load_dword v1, off, s[0:3], 0 offset:288
	buffer_load_dword v2, off, s[0:3], 0 offset:292
	v_mov_b32_e32 v3, 0
	buffer_store_dword v3, off, s[0:3], 0 offset:288
	buffer_store_dword v3, off, s[0:3], 0 offset:292
	s_waitcnt vmcnt(0)
	ds_write_b64 v105, v[1:2]
.LBB111_229:
	s_or_b32 exec_lo, exec_lo, s4
	s_waitcnt lgkmcnt(0)
	s_waitcnt_vscnt null, 0x0
	s_barrier
	buffer_gl0_inv
	s_clause 0x17
	buffer_load_dword v8, off, s[0:3], 0 offset:300
	buffer_load_dword v122, off, s[0:3], 0 offset:308
	;; [unrolled: 1-line block ×24, first 2 shown]
	v_mov_b32_e32 v1, 0
	ds_read2_b64 v[2:5], v1 offset0:85 offset1:86
	ds_read2_b64 v[106:109], v1 offset0:87 offset1:88
	;; [unrolled: 1-line block ×5, first 2 shown]
	ds_read_b64 v[6:7], v1 offset:760
	s_mov_b32 s4, exec_lo
	s_waitcnt vmcnt(23) lgkmcnt(5)
	v_mul_f32_e32 v145, v2, v8
	v_mul_f32_e32 v8, v3, v8
	s_waitcnt vmcnt(22)
	v_mul_f32_e32 v146, v4, v122
	v_mul_f32_e32 v122, v5, v122
	s_waitcnt vmcnt(21) lgkmcnt(4)
	v_mul_f32_e32 v147, v106, v123
	s_waitcnt vmcnt(20)
	v_mul_f32_e32 v148, v108, v124
	s_waitcnt vmcnt(19) lgkmcnt(3)
	v_mul_f32_e32 v149, v110, v125
	s_waitcnt vmcnt(18)
	;; [unrolled: 4-line block ×4, first 2 shown]
	v_fma_f32 v2, v2, v132, -v8
	v_fmac_f32_e32 v145, v3, v132
	v_mul_f32_e32 v3, v107, v123
	s_waitcnt vmcnt(11)
	v_fma_f32 v4, v4, v133, -v122
	v_fmac_f32_e32 v146, v5, v133
	v_add_f32_e32 v2, 0, v2
	v_add_f32_e32 v5, 0, v145
	v_mul_f32_e32 v8, v109, v124
	s_waitcnt vmcnt(10)
	v_fma_f32 v3, v106, v134, -v3
	v_fmac_f32_e32 v147, v107, v134
	v_add_f32_e32 v2, v2, v4
	v_add_f32_e32 v4, v5, v146
	;; [unrolled: 6-line block ×7, first 2 shown]
	v_mul_f32_e32 v8, v121, v130
	s_waitcnt vmcnt(4)
	v_fma_f32 v4, v118, v140, -v4
	v_mul_f32_e32 v154, v120, v130
	v_add_f32_e32 v2, v2, v5
	v_fmac_f32_e32 v153, v119, v140
	v_add_f32_e32 v3, v3, v152
	s_waitcnt lgkmcnt(0)
	v_mul_f32_e32 v5, v7, v131
	s_waitcnt vmcnt(3)
	v_fma_f32 v8, v120, v141, -v8
	v_add_f32_e32 v2, v2, v4
	v_mul_f32_e32 v155, v6, v131
	v_fmac_f32_e32 v154, v121, v141
	v_add_f32_e32 v3, v3, v153
	s_waitcnt vmcnt(2)
	v_fma_f32 v4, v6, v142, -v5
	v_add_f32_e32 v2, v2, v8
	v_fmac_f32_e32 v155, v7, v142
	v_add_f32_e32 v3, v3, v154
	v_add_f32_e32 v2, v2, v4
	;; [unrolled: 1-line block ×3, first 2 shown]
	s_waitcnt vmcnt(1)
	v_sub_f32_e32 v2, v143, v2
	s_waitcnt vmcnt(0)
	v_sub_f32_e32 v3, v144, v3
	buffer_store_dword v2, off, s[0:3], 0 offset:288
	buffer_store_dword v3, off, s[0:3], 0 offset:292
	v_cmpx_lt_u32_e32 35, v0
	s_cbranch_execz .LBB111_231
; %bb.230:
	s_clause 0x1
	buffer_load_dword v2, off, s[0:3], 0 offset:280
	buffer_load_dword v3, off, s[0:3], 0 offset:284
	buffer_store_dword v1, off, s[0:3], 0 offset:280
	buffer_store_dword v1, off, s[0:3], 0 offset:284
	s_waitcnt vmcnt(0)
	ds_write_b64 v105, v[2:3]
.LBB111_231:
	s_or_b32 exec_lo, exec_lo, s4
	s_waitcnt lgkmcnt(0)
	s_waitcnt_vscnt null, 0x0
	s_barrier
	buffer_gl0_inv
	s_clause 0x19
	buffer_load_dword v6, off, s[0:3], 0 offset:292
	buffer_load_dword v7, off, s[0:3], 0 offset:300
	;; [unrolled: 1-line block ×26, first 2 shown]
	ds_read_b128 v[2:5], v1 offset:672
	ds_read_b128 v[106:109], v1 offset:688
	;; [unrolled: 1-line block ×6, first 2 shown]
	s_mov_b32 s4, exec_lo
	s_waitcnt vmcnt(25) lgkmcnt(5)
	v_mul_f32_e32 v1, v2, v6
	v_mul_f32_e32 v6, v3, v6
	s_waitcnt vmcnt(24)
	v_mul_f32_e32 v149, v4, v7
	v_mul_f32_e32 v7, v5, v7
	s_waitcnt vmcnt(23) lgkmcnt(4)
	v_mul_f32_e32 v150, v106, v8
	s_waitcnt vmcnt(22)
	v_mul_f32_e32 v151, v108, v126
	s_waitcnt vmcnt(21) lgkmcnt(3)
	v_mul_f32_e32 v152, v110, v127
	s_waitcnt vmcnt(20)
	;; [unrolled: 4-line block ×4, first 2 shown]
	v_mul_f32_e32 v157, v120, v132
	s_waitcnt vmcnt(13)
	v_fma_f32 v2, v2, v135, -v6
	v_fmac_f32_e32 v1, v3, v135
	v_mul_f32_e32 v3, v107, v8
	s_waitcnt vmcnt(12)
	v_fma_f32 v4, v4, v136, -v7
	v_fmac_f32_e32 v149, v5, v136
	v_add_f32_e32 v2, 0, v2
	v_add_f32_e32 v1, 0, v1
	v_mul_f32_e32 v5, v109, v126
	s_waitcnt vmcnt(11)
	v_fma_f32 v3, v106, v137, -v3
	v_fmac_f32_e32 v150, v107, v137
	v_add_f32_e32 v2, v2, v4
	v_add_f32_e32 v1, v1, v149
	;; [unrolled: 6-line block ×8, first 2 shown]
	s_waitcnt lgkmcnt(0)
	v_mul_f32_e32 v4, v123, v133
	s_waitcnt vmcnt(4)
	v_fma_f32 v5, v120, v144, -v5
	v_mul_f32_e32 v158, v122, v133
	v_add_f32_e32 v2, v2, v3
	v_fmac_f32_e32 v157, v121, v144
	v_add_f32_e32 v1, v1, v156
	v_mul_f32_e32 v3, v125, v134
	s_waitcnt vmcnt(3)
	v_fma_f32 v4, v122, v145, -v4
	v_add_f32_e32 v2, v2, v5
	v_mul_f32_e32 v159, v124, v134
	v_fmac_f32_e32 v158, v123, v145
	v_add_f32_e32 v1, v1, v157
	s_waitcnt vmcnt(2)
	v_fma_f32 v3, v124, v146, -v3
	v_add_f32_e32 v2, v2, v4
	v_fmac_f32_e32 v159, v125, v146
	v_add_f32_e32 v1, v1, v158
	v_add_f32_e32 v2, v2, v3
	;; [unrolled: 1-line block ×3, first 2 shown]
	s_waitcnt vmcnt(1)
	v_sub_f32_e32 v2, v147, v2
	s_waitcnt vmcnt(0)
	v_sub_f32_e32 v1, v148, v1
	buffer_store_dword v2, off, s[0:3], 0 offset:280
	buffer_store_dword v1, off, s[0:3], 0 offset:284
	v_cmpx_lt_u32_e32 34, v0
	s_cbranch_execz .LBB111_233
; %bb.232:
	s_clause 0x1
	buffer_load_dword v1, off, s[0:3], 0 offset:272
	buffer_load_dword v2, off, s[0:3], 0 offset:276
	v_mov_b32_e32 v3, 0
	buffer_store_dword v3, off, s[0:3], 0 offset:272
	buffer_store_dword v3, off, s[0:3], 0 offset:276
	s_waitcnt vmcnt(0)
	ds_write_b64 v105, v[1:2]
.LBB111_233:
	s_or_b32 exec_lo, exec_lo, s4
	s_waitcnt lgkmcnt(0)
	s_waitcnt_vscnt null, 0x0
	s_barrier
	buffer_gl0_inv
	s_clause 0x1b
	buffer_load_dword v8, off, s[0:3], 0 offset:284
	buffer_load_dword v126, off, s[0:3], 0 offset:292
	;; [unrolled: 1-line block ×28, first 2 shown]
	v_mov_b32_e32 v1, 0
	ds_read2_b64 v[2:5], v1 offset0:83 offset1:84
	ds_read2_b64 v[106:109], v1 offset0:85 offset1:86
	ds_read2_b64 v[110:113], v1 offset0:87 offset1:88
	ds_read2_b64 v[114:117], v1 offset0:89 offset1:90
	ds_read2_b64 v[118:121], v1 offset0:91 offset1:92
	ds_read2_b64 v[122:125], v1 offset0:93 offset1:94
	ds_read_b64 v[6:7], v1 offset:760
	s_mov_b32 s4, exec_lo
	s_waitcnt vmcnt(27) lgkmcnt(6)
	v_mul_f32_e32 v153, v2, v8
	v_mul_f32_e32 v8, v3, v8
	s_waitcnt vmcnt(26)
	v_mul_f32_e32 v154, v4, v126
	v_mul_f32_e32 v126, v5, v126
	s_waitcnt vmcnt(25) lgkmcnt(5)
	v_mul_f32_e32 v155, v106, v127
	s_waitcnt vmcnt(24)
	v_mul_f32_e32 v156, v108, v128
	s_waitcnt vmcnt(23) lgkmcnt(4)
	v_mul_f32_e32 v157, v110, v129
	s_waitcnt vmcnt(22)
	;; [unrolled: 4-line block ×5, first 2 shown]
	v_fma_f32 v2, v2, v138, -v8
	v_fmac_f32_e32 v153, v3, v138
	v_mul_f32_e32 v3, v107, v127
	s_waitcnt vmcnt(13)
	v_fma_f32 v4, v4, v139, -v126
	v_fmac_f32_e32 v154, v5, v139
	v_add_f32_e32 v2, 0, v2
	v_add_f32_e32 v5, 0, v153
	v_mul_f32_e32 v8, v109, v128
	s_waitcnt vmcnt(12)
	v_fma_f32 v3, v106, v140, -v3
	v_fmac_f32_e32 v155, v107, v140
	v_add_f32_e32 v2, v2, v4
	v_add_f32_e32 v4, v5, v154
	v_mul_f32_e32 v5, v111, v129
	s_waitcnt vmcnt(11)
	v_fma_f32 v8, v108, v141, -v8
	v_fmac_f32_e32 v156, v109, v141
	v_add_f32_e32 v2, v2, v3
	v_add_f32_e32 v3, v4, v155
	v_mul_f32_e32 v4, v113, v130
	s_waitcnt vmcnt(10)
	v_fma_f32 v5, v110, v142, -v5
	v_fmac_f32_e32 v157, v111, v142
	v_add_f32_e32 v2, v2, v8
	v_add_f32_e32 v3, v3, v156
	v_mul_f32_e32 v8, v115, v131
	s_waitcnt vmcnt(9)
	v_fma_f32 v4, v112, v143, -v4
	v_fmac_f32_e32 v158, v113, v143
	v_add_f32_e32 v2, v2, v5
	v_add_f32_e32 v3, v3, v157
	v_mul_f32_e32 v5, v117, v132
	s_waitcnt vmcnt(8)
	v_fma_f32 v8, v114, v144, -v8
	v_fmac_f32_e32 v159, v115, v144
	v_add_f32_e32 v2, v2, v4
	v_add_f32_e32 v3, v3, v158
	v_mul_f32_e32 v4, v119, v133
	s_waitcnt vmcnt(7)
	v_fma_f32 v5, v116, v145, -v5
	v_fmac_f32_e32 v160, v117, v145
	v_add_f32_e32 v2, v2, v8
	v_add_f32_e32 v3, v3, v159
	v_mul_f32_e32 v8, v121, v134
	s_waitcnt vmcnt(6)
	v_fma_f32 v4, v118, v146, -v4
	v_fmac_f32_e32 v161, v119, v146
	v_add_f32_e32 v2, v2, v5
	v_add_f32_e32 v3, v3, v160
	v_mul_f32_e32 v5, v123, v135
	s_waitcnt vmcnt(5)
	v_fma_f32 v8, v120, v147, -v8
	v_fmac_f32_e32 v162, v121, v147
	v_add_f32_e32 v2, v2, v4
	v_add_f32_e32 v3, v3, v161
	v_mul_f32_e32 v4, v125, v136
	s_waitcnt vmcnt(4)
	v_fma_f32 v5, v122, v148, -v5
	v_mul_f32_e32 v164, v124, v136
	v_add_f32_e32 v2, v2, v8
	v_fmac_f32_e32 v163, v123, v148
	v_add_f32_e32 v3, v3, v162
	s_waitcnt lgkmcnt(0)
	v_mul_f32_e32 v8, v7, v137
	s_waitcnt vmcnt(3)
	v_fma_f32 v4, v124, v149, -v4
	v_add_f32_e32 v2, v2, v5
	v_mul_f32_e32 v165, v6, v137
	v_fmac_f32_e32 v164, v125, v149
	v_add_f32_e32 v3, v3, v163
	s_waitcnt vmcnt(2)
	v_fma_f32 v5, v6, v150, -v8
	v_add_f32_e32 v2, v2, v4
	v_fmac_f32_e32 v165, v7, v150
	v_add_f32_e32 v3, v3, v164
	v_add_f32_e32 v2, v2, v5
	v_add_f32_e32 v3, v3, v165
	s_waitcnt vmcnt(1)
	v_sub_f32_e32 v2, v151, v2
	s_waitcnt vmcnt(0)
	v_sub_f32_e32 v3, v152, v3
	buffer_store_dword v2, off, s[0:3], 0 offset:272
	buffer_store_dword v3, off, s[0:3], 0 offset:276
	v_cmpx_lt_u32_e32 33, v0
	s_cbranch_execz .LBB111_235
; %bb.234:
	s_clause 0x1
	buffer_load_dword v2, off, s[0:3], 0 offset:264
	buffer_load_dword v3, off, s[0:3], 0 offset:268
	buffer_store_dword v1, off, s[0:3], 0 offset:264
	buffer_store_dword v1, off, s[0:3], 0 offset:268
	s_waitcnt vmcnt(0)
	ds_write_b64 v105, v[2:3]
.LBB111_235:
	s_or_b32 exec_lo, exec_lo, s4
	s_waitcnt lgkmcnt(0)
	s_waitcnt_vscnt null, 0x0
	s_barrier
	buffer_gl0_inv
	s_clause 0x1d
	buffer_load_dword v6, off, s[0:3], 0 offset:276
	buffer_load_dword v7, off, s[0:3], 0 offset:284
	;; [unrolled: 1-line block ×30, first 2 shown]
	ds_read_b128 v[2:5], v1 offset:656
	ds_read_b128 v[106:109], v1 offset:672
	;; [unrolled: 1-line block ×7, first 2 shown]
	s_mov_b32 s4, exec_lo
	s_waitcnt vmcnt(29) lgkmcnt(6)
	v_mul_f32_e32 v1, v2, v6
	v_mul_f32_e32 v6, v3, v6
	s_waitcnt vmcnt(28)
	v_mul_f32_e32 v157, v4, v7
	v_mul_f32_e32 v7, v5, v7
	s_waitcnt vmcnt(27) lgkmcnt(5)
	v_mul_f32_e32 v158, v106, v8
	s_waitcnt vmcnt(26)
	v_mul_f32_e32 v159, v108, v130
	s_waitcnt vmcnt(25) lgkmcnt(4)
	v_mul_f32_e32 v160, v110, v131
	s_waitcnt vmcnt(24)
	;; [unrolled: 4-line block ×5, first 2 shown]
	v_mul_f32_e32 v167, v124, v138
	s_waitcnt vmcnt(15)
	v_fma_f32 v2, v2, v141, -v6
	v_fmac_f32_e32 v1, v3, v141
	v_mul_f32_e32 v3, v107, v8
	s_waitcnt vmcnt(14)
	v_fma_f32 v4, v4, v142, -v7
	v_fmac_f32_e32 v157, v5, v142
	v_add_f32_e32 v2, 0, v2
	v_add_f32_e32 v1, 0, v1
	v_mul_f32_e32 v5, v109, v130
	s_waitcnt vmcnt(13)
	v_fma_f32 v3, v106, v143, -v3
	v_fmac_f32_e32 v158, v107, v143
	v_add_f32_e32 v2, v2, v4
	v_add_f32_e32 v1, v1, v157
	;; [unrolled: 6-line block ×10, first 2 shown]
	s_waitcnt lgkmcnt(0)
	v_mul_f32_e32 v5, v127, v139
	s_waitcnt vmcnt(4)
	v_fma_f32 v3, v124, v152, -v3
	v_mul_f32_e32 v168, v126, v139
	v_add_f32_e32 v2, v2, v4
	v_fmac_f32_e32 v167, v125, v152
	v_add_f32_e32 v1, v1, v166
	v_mul_f32_e32 v4, v129, v140
	s_waitcnt vmcnt(3)
	v_fma_f32 v5, v126, v153, -v5
	v_add_f32_e32 v2, v2, v3
	v_mul_f32_e32 v169, v128, v140
	v_fmac_f32_e32 v168, v127, v153
	v_add_f32_e32 v1, v1, v167
	s_waitcnt vmcnt(2)
	v_fma_f32 v3, v128, v154, -v4
	v_add_f32_e32 v2, v2, v5
	v_fmac_f32_e32 v169, v129, v154
	v_add_f32_e32 v1, v1, v168
	v_add_f32_e32 v2, v2, v3
	;; [unrolled: 1-line block ×3, first 2 shown]
	s_waitcnt vmcnt(1)
	v_sub_f32_e32 v2, v155, v2
	s_waitcnt vmcnt(0)
	v_sub_f32_e32 v1, v156, v1
	buffer_store_dword v2, off, s[0:3], 0 offset:264
	buffer_store_dword v1, off, s[0:3], 0 offset:268
	v_cmpx_lt_u32_e32 32, v0
	s_cbranch_execz .LBB111_237
; %bb.236:
	s_clause 0x1
	buffer_load_dword v1, off, s[0:3], 0 offset:256
	buffer_load_dword v2, off, s[0:3], 0 offset:260
	v_mov_b32_e32 v3, 0
	buffer_store_dword v3, off, s[0:3], 0 offset:256
	buffer_store_dword v3, off, s[0:3], 0 offset:260
	s_waitcnt vmcnt(0)
	ds_write_b64 v105, v[1:2]
.LBB111_237:
	s_or_b32 exec_lo, exec_lo, s4
	s_waitcnt lgkmcnt(0)
	s_waitcnt_vscnt null, 0x0
	s_barrier
	buffer_gl0_inv
	s_clause 0x1f
	buffer_load_dword v8, off, s[0:3], 0 offset:268
	buffer_load_dword v130, off, s[0:3], 0 offset:276
	;; [unrolled: 1-line block ×32, first 2 shown]
	v_mov_b32_e32 v1, 0
	ds_read2_b64 v[2:5], v1 offset0:81 offset1:82
	ds_read2_b64 v[106:109], v1 offset0:83 offset1:84
	;; [unrolled: 1-line block ×7, first 2 shown]
	ds_read_b64 v[6:7], v1 offset:760
	s_mov_b32 s4, exec_lo
	s_waitcnt vmcnt(31) lgkmcnt(7)
	v_mul_f32_e32 v161, v2, v8
	v_mul_f32_e32 v8, v3, v8
	s_waitcnt vmcnt(30)
	v_mul_f32_e32 v162, v4, v130
	v_mul_f32_e32 v130, v5, v130
	s_waitcnt vmcnt(29) lgkmcnt(6)
	v_mul_f32_e32 v163, v106, v131
	s_waitcnt vmcnt(28)
	v_mul_f32_e32 v164, v108, v132
	s_waitcnt vmcnt(27) lgkmcnt(5)
	v_mul_f32_e32 v165, v110, v133
	s_waitcnt vmcnt(26)
	;; [unrolled: 4-line block ×6, first 2 shown]
	v_fma_f32 v2, v2, v144, -v8
	v_fmac_f32_e32 v161, v3, v144
	v_mul_f32_e32 v3, v107, v131
	s_waitcnt vmcnt(15)
	v_fma_f32 v4, v4, v145, -v130
	v_fmac_f32_e32 v162, v5, v145
	v_add_f32_e32 v2, 0, v2
	v_add_f32_e32 v5, 0, v161
	v_mul_f32_e32 v8, v109, v132
	s_waitcnt vmcnt(14)
	v_fma_f32 v3, v106, v146, -v3
	v_fmac_f32_e32 v163, v107, v146
	v_add_f32_e32 v2, v2, v4
	v_add_f32_e32 v4, v5, v162
	;; [unrolled: 6-line block ×11, first 2 shown]
	v_mul_f32_e32 v5, v129, v142
	s_waitcnt vmcnt(4)
	v_fma_f32 v8, v126, v156, -v8
	v_mul_f32_e32 v174, v128, v142
	v_add_f32_e32 v2, v2, v4
	v_fmac_f32_e32 v173, v127, v156
	v_add_f32_e32 v3, v3, v172
	s_waitcnt lgkmcnt(0)
	v_mul_f32_e32 v4, v7, v143
	s_waitcnt vmcnt(3)
	v_fma_f32 v5, v128, v157, -v5
	v_add_f32_e32 v2, v2, v8
	v_mul_f32_e32 v175, v6, v143
	v_fmac_f32_e32 v174, v129, v157
	v_add_f32_e32 v3, v3, v173
	s_waitcnt vmcnt(2)
	v_fma_f32 v4, v6, v158, -v4
	v_add_f32_e32 v2, v2, v5
	v_fmac_f32_e32 v175, v7, v158
	v_add_f32_e32 v3, v3, v174
	v_add_f32_e32 v2, v2, v4
	;; [unrolled: 1-line block ×3, first 2 shown]
	s_waitcnt vmcnt(1)
	v_sub_f32_e32 v2, v159, v2
	s_waitcnt vmcnt(0)
	v_sub_f32_e32 v3, v160, v3
	buffer_store_dword v2, off, s[0:3], 0 offset:256
	buffer_store_dword v3, off, s[0:3], 0 offset:260
	v_cmpx_lt_u32_e32 31, v0
	s_cbranch_execz .LBB111_239
; %bb.238:
	s_clause 0x1
	buffer_load_dword v2, off, s[0:3], 0 offset:248
	buffer_load_dword v3, off, s[0:3], 0 offset:252
	buffer_store_dword v1, off, s[0:3], 0 offset:248
	buffer_store_dword v1, off, s[0:3], 0 offset:252
	s_waitcnt vmcnt(0)
	ds_write_b64 v105, v[2:3]
.LBB111_239:
	s_or_b32 exec_lo, exec_lo, s4
	s_waitcnt lgkmcnt(0)
	s_waitcnt_vscnt null, 0x0
	s_barrier
	buffer_gl0_inv
	s_clause 0x21
	buffer_load_dword v6, off, s[0:3], 0 offset:260
	buffer_load_dword v7, off, s[0:3], 0 offset:268
	;; [unrolled: 1-line block ×34, first 2 shown]
	ds_read_b128 v[2:5], v1 offset:640
	ds_read_b128 v[106:109], v1 offset:656
	;; [unrolled: 1-line block ×8, first 2 shown]
	s_mov_b32 s4, exec_lo
	s_waitcnt vmcnt(33) lgkmcnt(7)
	v_mul_f32_e32 v1, v2, v6
	v_mul_f32_e32 v6, v3, v6
	s_waitcnt vmcnt(32)
	v_mul_f32_e32 v165, v4, v7
	v_mul_f32_e32 v7, v5, v7
	s_waitcnt vmcnt(31) lgkmcnt(6)
	v_mul_f32_e32 v166, v106, v8
	s_waitcnt vmcnt(30)
	v_mul_f32_e32 v167, v108, v134
	s_waitcnt vmcnt(29) lgkmcnt(5)
	v_mul_f32_e32 v168, v110, v135
	s_waitcnt vmcnt(28)
	;; [unrolled: 4-line block ×6, first 2 shown]
	v_mul_f32_e32 v177, v128, v144
	s_waitcnt vmcnt(17)
	v_fma_f32 v2, v2, v147, -v6
	v_fmac_f32_e32 v1, v3, v147
	v_mul_f32_e32 v3, v107, v8
	s_waitcnt vmcnt(16)
	v_fma_f32 v4, v4, v148, -v7
	v_fmac_f32_e32 v165, v5, v148
	v_add_f32_e32 v2, 0, v2
	v_add_f32_e32 v1, 0, v1
	v_mul_f32_e32 v5, v109, v134
	s_waitcnt vmcnt(15)
	v_fma_f32 v3, v106, v149, -v3
	v_fmac_f32_e32 v166, v107, v149
	v_add_f32_e32 v2, v2, v4
	v_add_f32_e32 v1, v1, v165
	;; [unrolled: 6-line block ×12, first 2 shown]
	s_waitcnt lgkmcnt(0)
	v_mul_f32_e32 v3, v131, v145
	s_waitcnt vmcnt(4)
	v_fma_f32 v4, v128, v160, -v4
	v_mul_f32_e32 v178, v130, v145
	v_add_f32_e32 v2, v2, v5
	v_fmac_f32_e32 v177, v129, v160
	v_add_f32_e32 v1, v1, v176
	v_mul_f32_e32 v5, v133, v146
	s_waitcnt vmcnt(3)
	v_fma_f32 v3, v130, v161, -v3
	v_add_f32_e32 v2, v2, v4
	v_mul_f32_e32 v179, v132, v146
	v_fmac_f32_e32 v178, v131, v161
	v_add_f32_e32 v1, v1, v177
	s_waitcnt vmcnt(2)
	v_fma_f32 v4, v132, v162, -v5
	v_add_f32_e32 v2, v2, v3
	v_fmac_f32_e32 v179, v133, v162
	v_add_f32_e32 v1, v1, v178
	v_add_f32_e32 v2, v2, v4
	;; [unrolled: 1-line block ×3, first 2 shown]
	s_waitcnt vmcnt(1)
	v_sub_f32_e32 v2, v163, v2
	s_waitcnt vmcnt(0)
	v_sub_f32_e32 v1, v164, v1
	buffer_store_dword v2, off, s[0:3], 0 offset:248
	buffer_store_dword v1, off, s[0:3], 0 offset:252
	v_cmpx_lt_u32_e32 30, v0
	s_cbranch_execz .LBB111_241
; %bb.240:
	s_clause 0x1
	buffer_load_dword v1, off, s[0:3], 0 offset:240
	buffer_load_dword v2, off, s[0:3], 0 offset:244
	v_mov_b32_e32 v3, 0
	buffer_store_dword v3, off, s[0:3], 0 offset:240
	buffer_store_dword v3, off, s[0:3], 0 offset:244
	s_waitcnt vmcnt(0)
	ds_write_b64 v105, v[1:2]
.LBB111_241:
	s_or_b32 exec_lo, exec_lo, s4
	s_waitcnt lgkmcnt(0)
	s_waitcnt_vscnt null, 0x0
	s_barrier
	buffer_gl0_inv
	s_clause 0x23
	buffer_load_dword v8, off, s[0:3], 0 offset:252
	buffer_load_dword v134, off, s[0:3], 0 offset:260
	buffer_load_dword v135, off, s[0:3], 0 offset:268
	buffer_load_dword v136, off, s[0:3], 0 offset:276
	buffer_load_dword v137, off, s[0:3], 0 offset:284
	buffer_load_dword v138, off, s[0:3], 0 offset:292
	buffer_load_dword v139, off, s[0:3], 0 offset:300
	buffer_load_dword v140, off, s[0:3], 0 offset:308
	buffer_load_dword v141, off, s[0:3], 0 offset:316
	buffer_load_dword v142, off, s[0:3], 0 offset:324
	buffer_load_dword v143, off, s[0:3], 0 offset:332
	buffer_load_dword v144, off, s[0:3], 0 offset:340
	buffer_load_dword v145, off, s[0:3], 0 offset:348
	buffer_load_dword v146, off, s[0:3], 0 offset:356
	buffer_load_dword v147, off, s[0:3], 0 offset:364
	buffer_load_dword v148, off, s[0:3], 0 offset:372
	buffer_load_dword v149, off, s[0:3], 0 offset:380
	buffer_load_dword v150, off, s[0:3], 0 offset:248
	buffer_load_dword v151, off, s[0:3], 0 offset:256
	buffer_load_dword v152, off, s[0:3], 0 offset:264
	buffer_load_dword v153, off, s[0:3], 0 offset:272
	buffer_load_dword v154, off, s[0:3], 0 offset:280
	buffer_load_dword v155, off, s[0:3], 0 offset:288
	buffer_load_dword v156, off, s[0:3], 0 offset:296
	buffer_load_dword v157, off, s[0:3], 0 offset:304
	buffer_load_dword v158, off, s[0:3], 0 offset:312
	buffer_load_dword v159, off, s[0:3], 0 offset:320
	buffer_load_dword v160, off, s[0:3], 0 offset:328
	buffer_load_dword v161, off, s[0:3], 0 offset:336
	buffer_load_dword v162, off, s[0:3], 0 offset:344
	buffer_load_dword v163, off, s[0:3], 0 offset:352
	buffer_load_dword v164, off, s[0:3], 0 offset:360
	buffer_load_dword v165, off, s[0:3], 0 offset:368
	buffer_load_dword v166, off, s[0:3], 0 offset:376
	buffer_load_dword v167, off, s[0:3], 0 offset:240
	buffer_load_dword v168, off, s[0:3], 0 offset:244
	v_mov_b32_e32 v1, 0
	ds_read2_b64 v[2:5], v1 offset0:79 offset1:80
	ds_read2_b64 v[106:109], v1 offset0:81 offset1:82
	;; [unrolled: 1-line block ×8, first 2 shown]
	ds_read_b64 v[6:7], v1 offset:760
	s_mov_b32 s4, exec_lo
	s_waitcnt vmcnt(35) lgkmcnt(8)
	v_mul_f32_e32 v169, v2, v8
	v_mul_f32_e32 v8, v3, v8
	s_waitcnt vmcnt(34)
	v_mul_f32_e32 v170, v4, v134
	v_mul_f32_e32 v134, v5, v134
	s_waitcnt vmcnt(33) lgkmcnt(7)
	v_mul_f32_e32 v171, v106, v135
	s_waitcnt vmcnt(32)
	v_mul_f32_e32 v172, v108, v136
	s_waitcnt vmcnt(31) lgkmcnt(6)
	v_mul_f32_e32 v173, v110, v137
	s_waitcnt vmcnt(30)
	;; [unrolled: 4-line block ×7, first 2 shown]
	v_fma_f32 v2, v2, v150, -v8
	v_fmac_f32_e32 v169, v3, v150
	v_mul_f32_e32 v3, v107, v135
	s_waitcnt vmcnt(17)
	v_fma_f32 v4, v4, v151, -v134
	v_fmac_f32_e32 v170, v5, v151
	v_add_f32_e32 v2, 0, v2
	v_add_f32_e32 v5, 0, v169
	v_mul_f32_e32 v8, v109, v136
	s_waitcnt vmcnt(16)
	v_fma_f32 v3, v106, v152, -v3
	v_fmac_f32_e32 v171, v107, v152
	v_add_f32_e32 v2, v2, v4
	v_add_f32_e32 v4, v5, v170
	;; [unrolled: 6-line block ×13, first 2 shown]
	v_mul_f32_e32 v8, v133, v148
	s_waitcnt vmcnt(4)
	v_fma_f32 v4, v130, v164, -v4
	v_mul_f32_e32 v184, v132, v148
	v_add_f32_e32 v2, v2, v5
	v_fmac_f32_e32 v183, v131, v164
	v_add_f32_e32 v3, v3, v182
	s_waitcnt lgkmcnt(0)
	v_mul_f32_e32 v5, v7, v149
	s_waitcnt vmcnt(3)
	v_fma_f32 v8, v132, v165, -v8
	v_add_f32_e32 v2, v2, v4
	v_mul_f32_e32 v185, v6, v149
	v_fmac_f32_e32 v184, v133, v165
	v_add_f32_e32 v3, v3, v183
	s_waitcnt vmcnt(2)
	v_fma_f32 v4, v6, v166, -v5
	v_add_f32_e32 v2, v2, v8
	v_fmac_f32_e32 v185, v7, v166
	v_add_f32_e32 v3, v3, v184
	v_add_f32_e32 v2, v2, v4
	;; [unrolled: 1-line block ×3, first 2 shown]
	s_waitcnt vmcnt(1)
	v_sub_f32_e32 v2, v167, v2
	s_waitcnt vmcnt(0)
	v_sub_f32_e32 v3, v168, v3
	buffer_store_dword v2, off, s[0:3], 0 offset:240
	buffer_store_dword v3, off, s[0:3], 0 offset:244
	v_cmpx_lt_u32_e32 29, v0
	s_cbranch_execz .LBB111_243
; %bb.242:
	s_clause 0x1
	buffer_load_dword v2, off, s[0:3], 0 offset:232
	buffer_load_dword v3, off, s[0:3], 0 offset:236
	buffer_store_dword v1, off, s[0:3], 0 offset:232
	buffer_store_dword v1, off, s[0:3], 0 offset:236
	s_waitcnt vmcnt(0)
	ds_write_b64 v105, v[2:3]
.LBB111_243:
	s_or_b32 exec_lo, exec_lo, s4
	s_waitcnt lgkmcnt(0)
	s_waitcnt_vscnt null, 0x0
	s_barrier
	buffer_gl0_inv
	s_clause 0x25
	buffer_load_dword v6, off, s[0:3], 0 offset:244
	buffer_load_dword v7, off, s[0:3], 0 offset:252
	buffer_load_dword v8, off, s[0:3], 0 offset:260
	buffer_load_dword v138, off, s[0:3], 0 offset:268
	buffer_load_dword v139, off, s[0:3], 0 offset:276
	buffer_load_dword v140, off, s[0:3], 0 offset:284
	buffer_load_dword v141, off, s[0:3], 0 offset:292
	buffer_load_dword v142, off, s[0:3], 0 offset:300
	buffer_load_dword v143, off, s[0:3], 0 offset:308
	buffer_load_dword v144, off, s[0:3], 0 offset:316
	buffer_load_dword v145, off, s[0:3], 0 offset:324
	buffer_load_dword v146, off, s[0:3], 0 offset:332
	buffer_load_dword v147, off, s[0:3], 0 offset:340
	buffer_load_dword v148, off, s[0:3], 0 offset:348
	buffer_load_dword v149, off, s[0:3], 0 offset:356
	buffer_load_dword v150, off, s[0:3], 0 offset:364
	buffer_load_dword v151, off, s[0:3], 0 offset:372
	buffer_load_dword v152, off, s[0:3], 0 offset:380
	buffer_load_dword v153, off, s[0:3], 0 offset:240
	buffer_load_dword v154, off, s[0:3], 0 offset:248
	buffer_load_dword v155, off, s[0:3], 0 offset:256
	buffer_load_dword v156, off, s[0:3], 0 offset:264
	buffer_load_dword v157, off, s[0:3], 0 offset:272
	buffer_load_dword v158, off, s[0:3], 0 offset:280
	buffer_load_dword v159, off, s[0:3], 0 offset:288
	buffer_load_dword v160, off, s[0:3], 0 offset:296
	buffer_load_dword v161, off, s[0:3], 0 offset:304
	buffer_load_dword v162, off, s[0:3], 0 offset:312
	buffer_load_dword v163, off, s[0:3], 0 offset:320
	buffer_load_dword v164, off, s[0:3], 0 offset:328
	buffer_load_dword v165, off, s[0:3], 0 offset:336
	buffer_load_dword v166, off, s[0:3], 0 offset:344
	buffer_load_dword v167, off, s[0:3], 0 offset:352
	buffer_load_dword v168, off, s[0:3], 0 offset:360
	buffer_load_dword v169, off, s[0:3], 0 offset:368
	buffer_load_dword v170, off, s[0:3], 0 offset:376
	buffer_load_dword v171, off, s[0:3], 0 offset:232
	buffer_load_dword v172, off, s[0:3], 0 offset:236
	ds_read_b128 v[2:5], v1 offset:624
	ds_read_b128 v[106:109], v1 offset:640
	;; [unrolled: 1-line block ×9, first 2 shown]
	s_mov_b32 s4, exec_lo
	s_waitcnt vmcnt(37) lgkmcnt(8)
	v_mul_f32_e32 v1, v2, v6
	v_mul_f32_e32 v6, v3, v6
	s_waitcnt vmcnt(36)
	v_mul_f32_e32 v173, v4, v7
	v_mul_f32_e32 v7, v5, v7
	s_waitcnt vmcnt(35) lgkmcnt(7)
	v_mul_f32_e32 v174, v106, v8
	s_waitcnt vmcnt(34)
	v_mul_f32_e32 v175, v108, v138
	s_waitcnt vmcnt(33) lgkmcnt(6)
	v_mul_f32_e32 v176, v110, v139
	s_waitcnt vmcnt(32)
	;; [unrolled: 4-line block ×7, first 2 shown]
	v_mul_f32_e32 v187, v132, v150
	s_waitcnt vmcnt(19)
	v_fma_f32 v2, v2, v153, -v6
	v_fmac_f32_e32 v1, v3, v153
	v_mul_f32_e32 v3, v107, v8
	s_waitcnt vmcnt(18)
	v_fma_f32 v4, v4, v154, -v7
	v_fmac_f32_e32 v173, v5, v154
	v_add_f32_e32 v2, 0, v2
	v_add_f32_e32 v1, 0, v1
	v_mul_f32_e32 v5, v109, v138
	s_waitcnt vmcnt(17)
	v_fma_f32 v3, v106, v155, -v3
	v_fmac_f32_e32 v174, v107, v155
	v_add_f32_e32 v2, v2, v4
	v_add_f32_e32 v1, v1, v173
	;; [unrolled: 6-line block ×14, first 2 shown]
	s_waitcnt lgkmcnt(0)
	v_mul_f32_e32 v4, v135, v151
	s_waitcnt vmcnt(4)
	v_fma_f32 v5, v132, v168, -v5
	v_mul_f32_e32 v188, v134, v151
	v_add_f32_e32 v2, v2, v3
	v_fmac_f32_e32 v187, v133, v168
	v_add_f32_e32 v1, v1, v186
	v_mul_f32_e32 v3, v137, v152
	s_waitcnt vmcnt(3)
	v_fma_f32 v4, v134, v169, -v4
	v_add_f32_e32 v2, v2, v5
	v_mul_f32_e32 v189, v136, v152
	v_fmac_f32_e32 v188, v135, v169
	v_add_f32_e32 v1, v1, v187
	s_waitcnt vmcnt(2)
	v_fma_f32 v3, v136, v170, -v3
	v_add_f32_e32 v2, v2, v4
	v_fmac_f32_e32 v189, v137, v170
	v_add_f32_e32 v1, v1, v188
	v_add_f32_e32 v2, v2, v3
	;; [unrolled: 1-line block ×3, first 2 shown]
	s_waitcnt vmcnt(1)
	v_sub_f32_e32 v2, v171, v2
	s_waitcnt vmcnt(0)
	v_sub_f32_e32 v1, v172, v1
	buffer_store_dword v2, off, s[0:3], 0 offset:232
	buffer_store_dword v1, off, s[0:3], 0 offset:236
	v_cmpx_lt_u32_e32 28, v0
	s_cbranch_execz .LBB111_245
; %bb.244:
	s_clause 0x1
	buffer_load_dword v1, off, s[0:3], 0 offset:224
	buffer_load_dword v2, off, s[0:3], 0 offset:228
	v_mov_b32_e32 v3, 0
	buffer_store_dword v3, off, s[0:3], 0 offset:224
	buffer_store_dword v3, off, s[0:3], 0 offset:228
	s_waitcnt vmcnt(0)
	ds_write_b64 v105, v[1:2]
.LBB111_245:
	s_or_b32 exec_lo, exec_lo, s4
	s_waitcnt lgkmcnt(0)
	s_waitcnt_vscnt null, 0x0
	s_barrier
	buffer_gl0_inv
	s_clause 0x27
	buffer_load_dword v8, off, s[0:3], 0 offset:236
	buffer_load_dword v138, off, s[0:3], 0 offset:244
	;; [unrolled: 1-line block ×40, first 2 shown]
	v_mov_b32_e32 v1, 0
	ds_read2_b64 v[2:5], v1 offset0:77 offset1:78
	ds_read2_b64 v[106:109], v1 offset0:79 offset1:80
	;; [unrolled: 1-line block ×9, first 2 shown]
	ds_read_b64 v[6:7], v1 offset:760
	s_mov_b32 s4, exec_lo
	s_waitcnt vmcnt(39) lgkmcnt(9)
	v_mul_f32_e32 v177, v2, v8
	v_mul_f32_e32 v8, v3, v8
	s_waitcnt vmcnt(38)
	v_mul_f32_e32 v178, v4, v138
	v_mul_f32_e32 v138, v5, v138
	s_waitcnt vmcnt(37) lgkmcnt(8)
	v_mul_f32_e32 v179, v106, v139
	s_waitcnt vmcnt(36)
	v_mul_f32_e32 v180, v108, v140
	s_waitcnt vmcnt(35) lgkmcnt(7)
	v_mul_f32_e32 v181, v110, v141
	s_waitcnt vmcnt(34)
	;; [unrolled: 4-line block ×8, first 2 shown]
	v_fma_f32 v2, v2, v156, -v8
	v_fmac_f32_e32 v177, v3, v156
	v_mul_f32_e32 v3, v107, v139
	s_waitcnt vmcnt(19)
	v_fma_f32 v4, v4, v157, -v138
	v_fmac_f32_e32 v178, v5, v157
	v_add_f32_e32 v2, 0, v2
	v_add_f32_e32 v5, 0, v177
	v_mul_f32_e32 v8, v109, v140
	s_waitcnt vmcnt(18)
	v_fma_f32 v3, v106, v158, -v3
	v_fmac_f32_e32 v179, v107, v158
	v_add_f32_e32 v2, v2, v4
	v_add_f32_e32 v4, v5, v178
	;; [unrolled: 6-line block ×15, first 2 shown]
	v_mul_f32_e32 v4, v137, v154
	s_waitcnt vmcnt(4)
	v_fma_f32 v5, v134, v172, -v5
	v_mul_f32_e32 v194, v136, v154
	v_add_f32_e32 v2, v2, v8
	v_fmac_f32_e32 v193, v135, v172
	v_add_f32_e32 v3, v3, v192
	s_waitcnt lgkmcnt(0)
	v_mul_f32_e32 v8, v7, v155
	s_waitcnt vmcnt(3)
	v_fma_f32 v4, v136, v173, -v4
	v_add_f32_e32 v2, v2, v5
	v_mul_f32_e32 v195, v6, v155
	v_fmac_f32_e32 v194, v137, v173
	v_add_f32_e32 v3, v3, v193
	s_waitcnt vmcnt(2)
	v_fma_f32 v5, v6, v174, -v8
	v_add_f32_e32 v2, v2, v4
	v_fmac_f32_e32 v195, v7, v174
	v_add_f32_e32 v3, v3, v194
	v_add_f32_e32 v2, v2, v5
	;; [unrolled: 1-line block ×3, first 2 shown]
	s_waitcnt vmcnt(1)
	v_sub_f32_e32 v2, v175, v2
	s_waitcnt vmcnt(0)
	v_sub_f32_e32 v3, v176, v3
	buffer_store_dword v2, off, s[0:3], 0 offset:224
	buffer_store_dword v3, off, s[0:3], 0 offset:228
	v_cmpx_lt_u32_e32 27, v0
	s_cbranch_execz .LBB111_247
; %bb.246:
	s_clause 0x1
	buffer_load_dword v2, off, s[0:3], 0 offset:216
	buffer_load_dword v3, off, s[0:3], 0 offset:220
	buffer_store_dword v1, off, s[0:3], 0 offset:216
	buffer_store_dword v1, off, s[0:3], 0 offset:220
	s_waitcnt vmcnt(0)
	ds_write_b64 v105, v[2:3]
.LBB111_247:
	s_or_b32 exec_lo, exec_lo, s4
	s_waitcnt lgkmcnt(0)
	s_waitcnt_vscnt null, 0x0
	s_barrier
	buffer_gl0_inv
	s_clause 0x29
	buffer_load_dword v6, off, s[0:3], 0 offset:228
	buffer_load_dword v7, off, s[0:3], 0 offset:236
	buffer_load_dword v8, off, s[0:3], 0 offset:244
	buffer_load_dword v142, off, s[0:3], 0 offset:252
	buffer_load_dword v143, off, s[0:3], 0 offset:260
	buffer_load_dword v144, off, s[0:3], 0 offset:268
	buffer_load_dword v145, off, s[0:3], 0 offset:276
	buffer_load_dword v146, off, s[0:3], 0 offset:284
	buffer_load_dword v147, off, s[0:3], 0 offset:292
	buffer_load_dword v148, off, s[0:3], 0 offset:300
	buffer_load_dword v149, off, s[0:3], 0 offset:308
	buffer_load_dword v150, off, s[0:3], 0 offset:316
	buffer_load_dword v151, off, s[0:3], 0 offset:324
	buffer_load_dword v152, off, s[0:3], 0 offset:332
	buffer_load_dword v153, off, s[0:3], 0 offset:340
	buffer_load_dword v154, off, s[0:3], 0 offset:348
	buffer_load_dword v155, off, s[0:3], 0 offset:356
	buffer_load_dword v156, off, s[0:3], 0 offset:364
	buffer_load_dword v157, off, s[0:3], 0 offset:372
	buffer_load_dword v158, off, s[0:3], 0 offset:380
	buffer_load_dword v159, off, s[0:3], 0 offset:224
	buffer_load_dword v160, off, s[0:3], 0 offset:232
	buffer_load_dword v161, off, s[0:3], 0 offset:240
	buffer_load_dword v162, off, s[0:3], 0 offset:248
	buffer_load_dword v163, off, s[0:3], 0 offset:256
	buffer_load_dword v164, off, s[0:3], 0 offset:264
	buffer_load_dword v165, off, s[0:3], 0 offset:272
	buffer_load_dword v166, off, s[0:3], 0 offset:280
	buffer_load_dword v167, off, s[0:3], 0 offset:288
	buffer_load_dword v168, off, s[0:3], 0 offset:296
	buffer_load_dword v169, off, s[0:3], 0 offset:304
	buffer_load_dword v170, off, s[0:3], 0 offset:312
	buffer_load_dword v171, off, s[0:3], 0 offset:320
	buffer_load_dword v172, off, s[0:3], 0 offset:328
	buffer_load_dword v173, off, s[0:3], 0 offset:336
	buffer_load_dword v174, off, s[0:3], 0 offset:344
	buffer_load_dword v175, off, s[0:3], 0 offset:352
	buffer_load_dword v176, off, s[0:3], 0 offset:360
	buffer_load_dword v177, off, s[0:3], 0 offset:368
	buffer_load_dword v178, off, s[0:3], 0 offset:376
	buffer_load_dword v179, off, s[0:3], 0 offset:216
	buffer_load_dword v180, off, s[0:3], 0 offset:220
	ds_read_b128 v[2:5], v1 offset:608
	ds_read_b128 v[106:109], v1 offset:624
	ds_read_b128 v[110:113], v1 offset:640
	ds_read_b128 v[114:117], v1 offset:656
	ds_read_b128 v[118:121], v1 offset:672
	ds_read_b128 v[122:125], v1 offset:688
	ds_read_b128 v[126:129], v1 offset:704
	ds_read_b128 v[130:133], v1 offset:720
	ds_read_b128 v[134:137], v1 offset:736
	ds_read_b128 v[138:141], v1 offset:752
	s_mov_b32 s4, exec_lo
	s_waitcnt vmcnt(41) lgkmcnt(9)
	v_mul_f32_e32 v1, v2, v6
	v_mul_f32_e32 v6, v3, v6
	s_waitcnt vmcnt(40)
	v_mul_f32_e32 v181, v4, v7
	v_mul_f32_e32 v7, v5, v7
	s_waitcnt vmcnt(39) lgkmcnt(8)
	v_mul_f32_e32 v182, v106, v8
	s_waitcnt vmcnt(38)
	v_mul_f32_e32 v183, v108, v142
	s_waitcnt vmcnt(37) lgkmcnt(7)
	v_mul_f32_e32 v184, v110, v143
	s_waitcnt vmcnt(36)
	v_mul_f32_e32 v185, v112, v144
	s_waitcnt vmcnt(35) lgkmcnt(6)
	v_mul_f32_e32 v186, v114, v145
	s_waitcnt vmcnt(34)
	v_mul_f32_e32 v187, v116, v146
	s_waitcnt vmcnt(33) lgkmcnt(5)
	v_mul_f32_e32 v188, v118, v147
	s_waitcnt vmcnt(32)
	v_mul_f32_e32 v189, v120, v148
	s_waitcnt vmcnt(31) lgkmcnt(4)
	v_mul_f32_e32 v190, v122, v149
	s_waitcnt vmcnt(30)
	v_mul_f32_e32 v191, v124, v150
	s_waitcnt vmcnt(29) lgkmcnt(3)
	v_mul_f32_e32 v192, v126, v151
	s_waitcnt vmcnt(28)
	v_mul_f32_e32 v193, v128, v152
	s_waitcnt vmcnt(27) lgkmcnt(2)
	v_mul_f32_e32 v194, v130, v153
	s_waitcnt vmcnt(26)
	v_mul_f32_e32 v195, v132, v154
	s_waitcnt vmcnt(25) lgkmcnt(1)
	v_mul_f32_e32 v196, v134, v155
	s_waitcnt vmcnt(24)
	v_mul_f32_e32 v197, v136, v156
	s_waitcnt vmcnt(21)
	v_fma_f32 v2, v2, v159, -v6
	v_fmac_f32_e32 v1, v3, v159
	v_mul_f32_e32 v3, v107, v8
	s_waitcnt vmcnt(20)
	v_fma_f32 v4, v4, v160, -v7
	v_fmac_f32_e32 v181, v5, v160
	v_add_f32_e32 v2, 0, v2
	v_add_f32_e32 v1, 0, v1
	v_mul_f32_e32 v5, v109, v142
	s_waitcnt vmcnt(19)
	v_fma_f32 v3, v106, v161, -v3
	v_fmac_f32_e32 v182, v107, v161
	v_add_f32_e32 v2, v2, v4
	v_add_f32_e32 v1, v1, v181
	;; [unrolled: 6-line block ×16, first 2 shown]
	s_waitcnt lgkmcnt(0)
	v_mul_f32_e32 v5, v139, v157
	s_waitcnt vmcnt(4)
	v_fma_f32 v3, v136, v176, -v3
	v_mul_f32_e32 v198, v138, v157
	v_add_f32_e32 v2, v2, v4
	v_fmac_f32_e32 v197, v137, v176
	v_add_f32_e32 v1, v1, v196
	v_mul_f32_e32 v4, v141, v158
	s_waitcnt vmcnt(3)
	v_fma_f32 v5, v138, v177, -v5
	v_add_f32_e32 v2, v2, v3
	v_mul_f32_e32 v199, v140, v158
	v_fmac_f32_e32 v198, v139, v177
	v_add_f32_e32 v1, v1, v197
	s_waitcnt vmcnt(2)
	v_fma_f32 v3, v140, v178, -v4
	v_add_f32_e32 v2, v2, v5
	v_fmac_f32_e32 v199, v141, v178
	v_add_f32_e32 v1, v1, v198
	v_add_f32_e32 v2, v2, v3
	;; [unrolled: 1-line block ×3, first 2 shown]
	s_waitcnt vmcnt(1)
	v_sub_f32_e32 v2, v179, v2
	s_waitcnt vmcnt(0)
	v_sub_f32_e32 v1, v180, v1
	buffer_store_dword v2, off, s[0:3], 0 offset:216
	buffer_store_dword v1, off, s[0:3], 0 offset:220
	v_cmpx_lt_u32_e32 26, v0
	s_cbranch_execz .LBB111_249
; %bb.248:
	s_clause 0x1
	buffer_load_dword v1, off, s[0:3], 0 offset:208
	buffer_load_dword v2, off, s[0:3], 0 offset:212
	v_mov_b32_e32 v3, 0
	buffer_store_dword v3, off, s[0:3], 0 offset:208
	buffer_store_dword v3, off, s[0:3], 0 offset:212
	s_waitcnt vmcnt(0)
	ds_write_b64 v105, v[1:2]
.LBB111_249:
	s_or_b32 exec_lo, exec_lo, s4
	s_waitcnt lgkmcnt(0)
	s_waitcnt_vscnt null, 0x0
	s_barrier
	buffer_gl0_inv
	s_clause 0x2b
	buffer_load_dword v8, off, s[0:3], 0 offset:220
	buffer_load_dword v142, off, s[0:3], 0 offset:228
	;; [unrolled: 1-line block ×44, first 2 shown]
	v_mov_b32_e32 v1, 0
	ds_read2_b64 v[2:5], v1 offset0:75 offset1:76
	ds_read2_b64 v[106:109], v1 offset0:77 offset1:78
	;; [unrolled: 1-line block ×10, first 2 shown]
	ds_read_b64 v[6:7], v1 offset:760
	s_mov_b32 s4, exec_lo
	s_waitcnt vmcnt(43) lgkmcnt(10)
	v_mul_f32_e32 v185, v2, v8
	v_mul_f32_e32 v8, v3, v8
	s_waitcnt vmcnt(42)
	v_mul_f32_e32 v186, v4, v142
	v_mul_f32_e32 v142, v5, v142
	s_waitcnt vmcnt(41) lgkmcnt(9)
	v_mul_f32_e32 v187, v106, v143
	s_waitcnt vmcnt(40)
	v_mul_f32_e32 v188, v108, v144
	s_waitcnt vmcnt(39) lgkmcnt(8)
	v_mul_f32_e32 v189, v110, v145
	s_waitcnt vmcnt(38)
	;; [unrolled: 4-line block ×9, first 2 shown]
	v_fma_f32 v2, v2, v162, -v8
	v_fmac_f32_e32 v185, v3, v162
	v_mul_f32_e32 v3, v107, v143
	s_waitcnt vmcnt(21)
	v_fma_f32 v4, v4, v163, -v142
	v_fmac_f32_e32 v186, v5, v163
	v_add_f32_e32 v2, 0, v2
	v_add_f32_e32 v5, 0, v185
	v_mul_f32_e32 v8, v109, v144
	s_waitcnt vmcnt(20)
	v_fma_f32 v3, v106, v164, -v3
	v_fmac_f32_e32 v187, v107, v164
	v_add_f32_e32 v2, v2, v4
	v_add_f32_e32 v4, v5, v186
	;; [unrolled: 6-line block ×17, first 2 shown]
	v_mul_f32_e32 v5, v141, v160
	s_waitcnt vmcnt(4)
	v_fma_f32 v8, v138, v180, -v8
	v_mul_f32_e32 v204, v140, v160
	v_add_f32_e32 v2, v2, v4
	v_fmac_f32_e32 v203, v139, v180
	v_add_f32_e32 v3, v3, v202
	s_waitcnt lgkmcnt(0)
	v_mul_f32_e32 v4, v7, v161
	s_waitcnt vmcnt(3)
	v_fma_f32 v5, v140, v181, -v5
	v_add_f32_e32 v2, v2, v8
	v_mul_f32_e32 v205, v6, v161
	v_fmac_f32_e32 v204, v141, v181
	v_add_f32_e32 v3, v3, v203
	s_waitcnt vmcnt(2)
	v_fma_f32 v4, v6, v182, -v4
	v_add_f32_e32 v2, v2, v5
	v_fmac_f32_e32 v205, v7, v182
	v_add_f32_e32 v3, v3, v204
	v_add_f32_e32 v2, v2, v4
	;; [unrolled: 1-line block ×3, first 2 shown]
	s_waitcnt vmcnt(1)
	v_sub_f32_e32 v2, v183, v2
	s_waitcnt vmcnt(0)
	v_sub_f32_e32 v3, v184, v3
	buffer_store_dword v2, off, s[0:3], 0 offset:208
	buffer_store_dword v3, off, s[0:3], 0 offset:212
	v_cmpx_lt_u32_e32 25, v0
	s_cbranch_execz .LBB111_251
; %bb.250:
	s_clause 0x1
	buffer_load_dword v2, off, s[0:3], 0 offset:200
	buffer_load_dword v3, off, s[0:3], 0 offset:204
	buffer_store_dword v1, off, s[0:3], 0 offset:200
	buffer_store_dword v1, off, s[0:3], 0 offset:204
	s_waitcnt vmcnt(0)
	ds_write_b64 v105, v[2:3]
.LBB111_251:
	s_or_b32 exec_lo, exec_lo, s4
	s_waitcnt lgkmcnt(0)
	s_waitcnt_vscnt null, 0x0
	s_barrier
	buffer_gl0_inv
	s_clause 0x2d
	buffer_load_dword v6, off, s[0:3], 0 offset:212
	buffer_load_dword v7, off, s[0:3], 0 offset:220
	;; [unrolled: 1-line block ×46, first 2 shown]
	ds_read_b128 v[2:5], v1 offset:592
	ds_read_b128 v[106:109], v1 offset:608
	;; [unrolled: 1-line block ×11, first 2 shown]
	s_mov_b32 s4, exec_lo
	s_waitcnt vmcnt(45) lgkmcnt(10)
	v_mul_f32_e32 v1, v2, v6
	v_mul_f32_e32 v6, v3, v6
	s_waitcnt vmcnt(44)
	v_mul_f32_e32 v189, v4, v7
	v_mul_f32_e32 v7, v5, v7
	s_waitcnt vmcnt(43) lgkmcnt(9)
	v_mul_f32_e32 v190, v106, v8
	s_waitcnt vmcnt(42)
	v_mul_f32_e32 v191, v108, v146
	s_waitcnt vmcnt(41) lgkmcnt(8)
	v_mul_f32_e32 v192, v110, v147
	s_waitcnt vmcnt(40)
	;; [unrolled: 4-line block ×9, first 2 shown]
	v_mul_f32_e32 v207, v140, v162
	s_waitcnt vmcnt(23)
	v_fma_f32 v2, v2, v165, -v6
	v_fmac_f32_e32 v1, v3, v165
	v_mul_f32_e32 v3, v107, v8
	s_waitcnt vmcnt(22)
	v_fma_f32 v4, v4, v166, -v7
	v_fmac_f32_e32 v189, v5, v166
	v_add_f32_e32 v2, 0, v2
	v_add_f32_e32 v1, 0, v1
	v_mul_f32_e32 v5, v109, v146
	s_waitcnt vmcnt(21)
	v_fma_f32 v3, v106, v167, -v3
	v_fmac_f32_e32 v190, v107, v167
	v_add_f32_e32 v2, v2, v4
	v_add_f32_e32 v1, v1, v189
	;; [unrolled: 6-line block ×18, first 2 shown]
	s_waitcnt lgkmcnt(0)
	v_mul_f32_e32 v3, v143, v163
	s_waitcnt vmcnt(4)
	v_fma_f32 v4, v140, v184, -v4
	v_mul_f32_e32 v208, v142, v163
	v_add_f32_e32 v2, v2, v5
	v_fmac_f32_e32 v207, v141, v184
	v_add_f32_e32 v1, v1, v206
	v_mul_f32_e32 v5, v145, v164
	s_waitcnt vmcnt(3)
	v_fma_f32 v3, v142, v185, -v3
	v_add_f32_e32 v2, v2, v4
	v_mul_f32_e32 v209, v144, v164
	v_fmac_f32_e32 v208, v143, v185
	v_add_f32_e32 v1, v1, v207
	s_waitcnt vmcnt(2)
	v_fma_f32 v4, v144, v186, -v5
	v_add_f32_e32 v2, v2, v3
	v_fmac_f32_e32 v209, v145, v186
	v_add_f32_e32 v1, v1, v208
	v_add_f32_e32 v2, v2, v4
	;; [unrolled: 1-line block ×3, first 2 shown]
	s_waitcnt vmcnt(1)
	v_sub_f32_e32 v2, v187, v2
	s_waitcnt vmcnt(0)
	v_sub_f32_e32 v1, v188, v1
	buffer_store_dword v2, off, s[0:3], 0 offset:200
	buffer_store_dword v1, off, s[0:3], 0 offset:204
	v_cmpx_lt_u32_e32 24, v0
	s_cbranch_execz .LBB111_253
; %bb.252:
	s_clause 0x1
	buffer_load_dword v1, off, s[0:3], 0 offset:192
	buffer_load_dword v2, off, s[0:3], 0 offset:196
	v_mov_b32_e32 v3, 0
	buffer_store_dword v3, off, s[0:3], 0 offset:192
	buffer_store_dword v3, off, s[0:3], 0 offset:196
	s_waitcnt vmcnt(0)
	ds_write_b64 v105, v[1:2]
.LBB111_253:
	s_or_b32 exec_lo, exec_lo, s4
	s_waitcnt lgkmcnt(0)
	s_waitcnt_vscnt null, 0x0
	s_barrier
	buffer_gl0_inv
	s_clause 0x2f
	buffer_load_dword v8, off, s[0:3], 0 offset:204
	buffer_load_dword v146, off, s[0:3], 0 offset:212
	;; [unrolled: 1-line block ×48, first 2 shown]
	v_mov_b32_e32 v1, 0
	ds_read2_b64 v[2:5], v1 offset0:73 offset1:74
	ds_read2_b64 v[106:109], v1 offset0:75 offset1:76
	;; [unrolled: 1-line block ×11, first 2 shown]
	ds_read_b64 v[6:7], v1 offset:760
	s_mov_b32 s4, exec_lo
	s_waitcnt vmcnt(47) lgkmcnt(11)
	v_mul_f32_e32 v193, v2, v8
	v_mul_f32_e32 v8, v3, v8
	s_waitcnt vmcnt(46)
	v_mul_f32_e32 v194, v4, v146
	v_mul_f32_e32 v146, v5, v146
	s_waitcnt vmcnt(45) lgkmcnt(10)
	v_mul_f32_e32 v195, v106, v147
	s_waitcnt vmcnt(44)
	v_mul_f32_e32 v196, v108, v148
	s_waitcnt vmcnt(43) lgkmcnt(9)
	v_mul_f32_e32 v197, v110, v149
	s_waitcnt vmcnt(42)
	;; [unrolled: 4-line block ×10, first 2 shown]
	v_fma_f32 v2, v2, v168, -v8
	v_fmac_f32_e32 v193, v3, v168
	v_mul_f32_e32 v3, v107, v147
	s_waitcnt vmcnt(23)
	v_fma_f32 v4, v4, v169, -v146
	v_fmac_f32_e32 v194, v5, v169
	v_add_f32_e32 v2, 0, v2
	v_add_f32_e32 v5, 0, v193
	v_mul_f32_e32 v8, v109, v148
	s_waitcnt vmcnt(22)
	v_fma_f32 v3, v106, v170, -v3
	v_fmac_f32_e32 v195, v107, v170
	v_add_f32_e32 v2, v2, v4
	v_add_f32_e32 v4, v5, v194
	;; [unrolled: 6-line block ×19, first 2 shown]
	v_mul_f32_e32 v8, v145, v166
	s_waitcnt vmcnt(4)
	v_fma_f32 v4, v142, v188, -v4
	v_mul_f32_e32 v214, v144, v166
	v_add_f32_e32 v2, v2, v5
	v_fmac_f32_e32 v213, v143, v188
	v_add_f32_e32 v3, v3, v212
	s_waitcnt lgkmcnt(0)
	v_mul_f32_e32 v5, v7, v167
	s_waitcnt vmcnt(3)
	v_fma_f32 v8, v144, v189, -v8
	v_add_f32_e32 v2, v2, v4
	v_mul_f32_e32 v215, v6, v167
	v_fmac_f32_e32 v214, v145, v189
	v_add_f32_e32 v3, v3, v213
	s_waitcnt vmcnt(2)
	v_fma_f32 v4, v6, v190, -v5
	v_add_f32_e32 v2, v2, v8
	v_fmac_f32_e32 v215, v7, v190
	v_add_f32_e32 v3, v3, v214
	v_add_f32_e32 v2, v2, v4
	;; [unrolled: 1-line block ×3, first 2 shown]
	s_waitcnt vmcnt(1)
	v_sub_f32_e32 v2, v191, v2
	s_waitcnt vmcnt(0)
	v_sub_f32_e32 v3, v192, v3
	buffer_store_dword v2, off, s[0:3], 0 offset:192
	buffer_store_dword v3, off, s[0:3], 0 offset:196
	v_cmpx_lt_u32_e32 23, v0
	s_cbranch_execz .LBB111_255
; %bb.254:
	s_clause 0x1
	buffer_load_dword v2, off, s[0:3], 0 offset:184
	buffer_load_dword v3, off, s[0:3], 0 offset:188
	buffer_store_dword v1, off, s[0:3], 0 offset:184
	buffer_store_dword v1, off, s[0:3], 0 offset:188
	s_waitcnt vmcnt(0)
	ds_write_b64 v105, v[2:3]
.LBB111_255:
	s_or_b32 exec_lo, exec_lo, s4
	s_waitcnt lgkmcnt(0)
	s_waitcnt_vscnt null, 0x0
	s_barrier
	buffer_gl0_inv
	s_clause 0x31
	buffer_load_dword v6, off, s[0:3], 0 offset:196
	buffer_load_dword v7, off, s[0:3], 0 offset:204
	;; [unrolled: 1-line block ×50, first 2 shown]
	ds_read_b128 v[2:5], v1 offset:576
	ds_read_b128 v[106:109], v1 offset:592
	;; [unrolled: 1-line block ×12, first 2 shown]
	s_mov_b32 s4, exec_lo
	s_waitcnt vmcnt(49) lgkmcnt(11)
	v_mul_f32_e32 v1, v2, v6
	v_mul_f32_e32 v6, v3, v6
	s_waitcnt vmcnt(48)
	v_mul_f32_e32 v197, v4, v7
	v_mul_f32_e32 v7, v5, v7
	s_waitcnt vmcnt(47) lgkmcnt(10)
	v_mul_f32_e32 v198, v106, v8
	s_waitcnt vmcnt(46)
	v_mul_f32_e32 v199, v108, v150
	s_waitcnt vmcnt(45) lgkmcnt(9)
	v_mul_f32_e32 v200, v110, v151
	s_waitcnt vmcnt(44)
	;; [unrolled: 4-line block ×10, first 2 shown]
	v_mul_f32_e32 v217, v144, v168
	s_waitcnt vmcnt(25)
	v_fma_f32 v2, v2, v171, -v6
	v_fmac_f32_e32 v1, v3, v171
	v_mul_f32_e32 v3, v107, v8
	s_waitcnt vmcnt(24)
	v_fma_f32 v4, v4, v172, -v7
	v_fmac_f32_e32 v197, v5, v172
	v_add_f32_e32 v2, 0, v2
	v_add_f32_e32 v1, 0, v1
	v_mul_f32_e32 v5, v109, v150
	s_waitcnt vmcnt(23)
	v_fma_f32 v3, v106, v173, -v3
	v_fmac_f32_e32 v198, v107, v173
	v_add_f32_e32 v2, v2, v4
	v_add_f32_e32 v1, v1, v197
	;; [unrolled: 6-line block ×20, first 2 shown]
	s_waitcnt lgkmcnt(0)
	v_mul_f32_e32 v4, v147, v169
	s_waitcnt vmcnt(4)
	v_fma_f32 v5, v144, v192, -v5
	v_mul_f32_e32 v218, v146, v169
	v_add_f32_e32 v2, v2, v3
	v_fmac_f32_e32 v217, v145, v192
	v_add_f32_e32 v1, v1, v216
	v_mul_f32_e32 v3, v149, v170
	s_waitcnt vmcnt(3)
	v_fma_f32 v4, v146, v193, -v4
	v_add_f32_e32 v2, v2, v5
	v_mul_f32_e32 v219, v148, v170
	v_fmac_f32_e32 v218, v147, v193
	v_add_f32_e32 v1, v1, v217
	s_waitcnt vmcnt(2)
	v_fma_f32 v3, v148, v194, -v3
	v_add_f32_e32 v2, v2, v4
	v_fmac_f32_e32 v219, v149, v194
	v_add_f32_e32 v1, v1, v218
	v_add_f32_e32 v2, v2, v3
	;; [unrolled: 1-line block ×3, first 2 shown]
	s_waitcnt vmcnt(1)
	v_sub_f32_e32 v2, v195, v2
	s_waitcnt vmcnt(0)
	v_sub_f32_e32 v1, v196, v1
	buffer_store_dword v2, off, s[0:3], 0 offset:184
	buffer_store_dword v1, off, s[0:3], 0 offset:188
	v_cmpx_lt_u32_e32 22, v0
	s_cbranch_execz .LBB111_257
; %bb.256:
	s_clause 0x1
	buffer_load_dword v1, off, s[0:3], 0 offset:176
	buffer_load_dword v2, off, s[0:3], 0 offset:180
	v_mov_b32_e32 v3, 0
	buffer_store_dword v3, off, s[0:3], 0 offset:176
	buffer_store_dword v3, off, s[0:3], 0 offset:180
	s_waitcnt vmcnt(0)
	ds_write_b64 v105, v[1:2]
.LBB111_257:
	s_or_b32 exec_lo, exec_lo, s4
	s_waitcnt lgkmcnt(0)
	s_waitcnt_vscnt null, 0x0
	s_barrier
	buffer_gl0_inv
	s_clause 0x33
	buffer_load_dword v8, off, s[0:3], 0 offset:188
	buffer_load_dword v150, off, s[0:3], 0 offset:196
	;; [unrolled: 1-line block ×52, first 2 shown]
	v_mov_b32_e32 v1, 0
	ds_read2_b64 v[2:5], v1 offset0:71 offset1:72
	ds_read2_b64 v[106:109], v1 offset0:73 offset1:74
	;; [unrolled: 1-line block ×12, first 2 shown]
	ds_read_b64 v[6:7], v1 offset:760
	s_mov_b32 s4, exec_lo
	s_waitcnt vmcnt(51) lgkmcnt(12)
	v_mul_f32_e32 v201, v2, v8
	v_mul_f32_e32 v8, v3, v8
	s_waitcnt vmcnt(50)
	v_mul_f32_e32 v202, v4, v150
	v_mul_f32_e32 v150, v5, v150
	s_waitcnt vmcnt(49) lgkmcnt(11)
	v_mul_f32_e32 v203, v106, v151
	s_waitcnt vmcnt(48)
	v_mul_f32_e32 v204, v108, v152
	s_waitcnt vmcnt(47) lgkmcnt(10)
	v_mul_f32_e32 v205, v110, v153
	s_waitcnt vmcnt(46)
	;; [unrolled: 4-line block ×11, first 2 shown]
	v_fma_f32 v2, v2, v174, -v8
	v_fmac_f32_e32 v201, v3, v174
	v_mul_f32_e32 v3, v107, v151
	s_waitcnt vmcnt(25)
	v_fma_f32 v4, v4, v175, -v150
	v_fmac_f32_e32 v202, v5, v175
	v_add_f32_e32 v2, 0, v2
	v_add_f32_e32 v5, 0, v201
	v_mul_f32_e32 v8, v109, v152
	s_waitcnt vmcnt(24)
	v_fma_f32 v3, v106, v176, -v3
	v_fmac_f32_e32 v203, v107, v176
	v_add_f32_e32 v2, v2, v4
	v_add_f32_e32 v4, v5, v202
	;; [unrolled: 6-line block ×21, first 2 shown]
	v_mul_f32_e32 v4, v149, v172
	s_waitcnt vmcnt(4)
	v_fma_f32 v5, v146, v196, -v5
	v_mul_f32_e32 v224, v148, v172
	v_add_f32_e32 v2, v2, v8
	v_fmac_f32_e32 v223, v147, v196
	v_add_f32_e32 v3, v3, v222
	s_waitcnt lgkmcnt(0)
	v_mul_f32_e32 v8, v7, v173
	s_waitcnt vmcnt(3)
	v_fma_f32 v4, v148, v197, -v4
	v_add_f32_e32 v2, v2, v5
	v_mul_f32_e32 v225, v6, v173
	v_fmac_f32_e32 v224, v149, v197
	v_add_f32_e32 v3, v3, v223
	s_waitcnt vmcnt(2)
	v_fma_f32 v5, v6, v198, -v8
	v_add_f32_e32 v2, v2, v4
	v_fmac_f32_e32 v225, v7, v198
	v_add_f32_e32 v3, v3, v224
	v_add_f32_e32 v2, v2, v5
	;; [unrolled: 1-line block ×3, first 2 shown]
	s_waitcnt vmcnt(1)
	v_sub_f32_e32 v2, v199, v2
	s_waitcnt vmcnt(0)
	v_sub_f32_e32 v3, v200, v3
	buffer_store_dword v2, off, s[0:3], 0 offset:176
	buffer_store_dword v3, off, s[0:3], 0 offset:180
	v_cmpx_lt_u32_e32 21, v0
	s_cbranch_execz .LBB111_259
; %bb.258:
	s_clause 0x1
	buffer_load_dword v2, off, s[0:3], 0 offset:168
	buffer_load_dword v3, off, s[0:3], 0 offset:172
	buffer_store_dword v1, off, s[0:3], 0 offset:168
	buffer_store_dword v1, off, s[0:3], 0 offset:172
	s_waitcnt vmcnt(0)
	ds_write_b64 v105, v[2:3]
.LBB111_259:
	s_or_b32 exec_lo, exec_lo, s4
	s_waitcnt lgkmcnt(0)
	s_waitcnt_vscnt null, 0x0
	s_barrier
	buffer_gl0_inv
	s_clause 0x35
	buffer_load_dword v6, off, s[0:3], 0 offset:180
	buffer_load_dword v7, off, s[0:3], 0 offset:188
	;; [unrolled: 1-line block ×54, first 2 shown]
	ds_read_b128 v[2:5], v1 offset:560
	ds_read_b128 v[106:109], v1 offset:576
	;; [unrolled: 1-line block ×13, first 2 shown]
	s_mov_b32 s4, exec_lo
	s_waitcnt vmcnt(53) lgkmcnt(12)
	v_mul_f32_e32 v1, v2, v6
	v_mul_f32_e32 v6, v3, v6
	s_waitcnt vmcnt(52)
	v_mul_f32_e32 v205, v4, v7
	v_mul_f32_e32 v7, v5, v7
	s_waitcnt vmcnt(51) lgkmcnt(11)
	v_mul_f32_e32 v206, v106, v8
	s_waitcnt vmcnt(50)
	v_mul_f32_e32 v207, v108, v154
	s_waitcnt vmcnt(49) lgkmcnt(10)
	v_mul_f32_e32 v208, v110, v155
	s_waitcnt vmcnt(48)
	;; [unrolled: 4-line block ×11, first 2 shown]
	v_mul_f32_e32 v227, v148, v174
	s_waitcnt vmcnt(27)
	v_fma_f32 v2, v2, v177, -v6
	v_fmac_f32_e32 v1, v3, v177
	v_mul_f32_e32 v3, v107, v8
	s_waitcnt vmcnt(26)
	v_fma_f32 v4, v4, v178, -v7
	v_fmac_f32_e32 v205, v5, v178
	v_add_f32_e32 v2, 0, v2
	v_add_f32_e32 v1, 0, v1
	v_mul_f32_e32 v5, v109, v154
	s_waitcnt vmcnt(25)
	v_fma_f32 v3, v106, v179, -v3
	v_fmac_f32_e32 v206, v107, v179
	v_add_f32_e32 v2, v2, v4
	v_add_f32_e32 v1, v1, v205
	;; [unrolled: 6-line block ×22, first 2 shown]
	s_waitcnt lgkmcnt(0)
	v_mul_f32_e32 v5, v151, v175
	s_waitcnt vmcnt(4)
	v_fma_f32 v3, v148, v200, -v3
	v_mul_f32_e32 v228, v150, v175
	v_add_f32_e32 v2, v2, v4
	v_fmac_f32_e32 v227, v149, v200
	v_add_f32_e32 v1, v1, v226
	v_mul_f32_e32 v4, v153, v176
	s_waitcnt vmcnt(3)
	v_fma_f32 v5, v150, v201, -v5
	v_add_f32_e32 v2, v2, v3
	v_mul_f32_e32 v229, v152, v176
	v_fmac_f32_e32 v228, v151, v201
	v_add_f32_e32 v1, v1, v227
	s_waitcnt vmcnt(2)
	v_fma_f32 v3, v152, v202, -v4
	v_add_f32_e32 v2, v2, v5
	v_fmac_f32_e32 v229, v153, v202
	v_add_f32_e32 v1, v1, v228
	v_add_f32_e32 v2, v2, v3
	v_add_f32_e32 v1, v1, v229
	s_waitcnt vmcnt(1)
	v_sub_f32_e32 v2, v203, v2
	s_waitcnt vmcnt(0)
	v_sub_f32_e32 v1, v204, v1
	buffer_store_dword v2, off, s[0:3], 0 offset:168
	buffer_store_dword v1, off, s[0:3], 0 offset:172
	v_cmpx_lt_u32_e32 20, v0
	s_cbranch_execz .LBB111_261
; %bb.260:
	s_clause 0x1
	buffer_load_dword v1, off, s[0:3], 0 offset:160
	buffer_load_dword v2, off, s[0:3], 0 offset:164
	v_mov_b32_e32 v3, 0
	buffer_store_dword v3, off, s[0:3], 0 offset:160
	buffer_store_dword v3, off, s[0:3], 0 offset:164
	s_waitcnt vmcnt(0)
	ds_write_b64 v105, v[1:2]
.LBB111_261:
	s_or_b32 exec_lo, exec_lo, s4
	s_waitcnt lgkmcnt(0)
	s_waitcnt_vscnt null, 0x0
	s_barrier
	buffer_gl0_inv
	s_clause 0x37
	buffer_load_dword v8, off, s[0:3], 0 offset:172
	buffer_load_dword v154, off, s[0:3], 0 offset:180
	;; [unrolled: 1-line block ×56, first 2 shown]
	v_mov_b32_e32 v1, 0
	ds_read2_b64 v[2:5], v1 offset0:69 offset1:70
	ds_read2_b64 v[106:109], v1 offset0:71 offset1:72
	;; [unrolled: 1-line block ×13, first 2 shown]
	ds_read_b64 v[6:7], v1 offset:760
	s_mov_b32 s4, exec_lo
	s_waitcnt vmcnt(55) lgkmcnt(13)
	v_mul_f32_e32 v209, v2, v8
	v_mul_f32_e32 v8, v3, v8
	s_waitcnt vmcnt(54)
	v_mul_f32_e32 v210, v4, v154
	v_mul_f32_e32 v154, v5, v154
	s_waitcnt vmcnt(53) lgkmcnt(12)
	v_mul_f32_e32 v211, v106, v155
	s_waitcnt vmcnt(52)
	v_mul_f32_e32 v212, v108, v156
	s_waitcnt vmcnt(51) lgkmcnt(11)
	v_mul_f32_e32 v213, v110, v157
	s_waitcnt vmcnt(50)
	;; [unrolled: 4-line block ×12, first 2 shown]
	v_fma_f32 v2, v2, v180, -v8
	v_fmac_f32_e32 v209, v3, v180
	v_mul_f32_e32 v3, v107, v155
	s_waitcnt vmcnt(27)
	v_fma_f32 v4, v4, v181, -v154
	v_fmac_f32_e32 v210, v5, v181
	v_add_f32_e32 v2, 0, v2
	v_add_f32_e32 v5, 0, v209
	v_mul_f32_e32 v8, v109, v156
	s_waitcnt vmcnt(26)
	v_fma_f32 v3, v106, v182, -v3
	v_fmac_f32_e32 v211, v107, v182
	v_add_f32_e32 v2, v2, v4
	v_add_f32_e32 v4, v5, v210
	;; [unrolled: 6-line block ×23, first 2 shown]
	v_mul_f32_e32 v5, v153, v178
	s_waitcnt vmcnt(4)
	v_fma_f32 v8, v150, v204, -v8
	v_mul_f32_e32 v234, v152, v178
	v_add_f32_e32 v2, v2, v4
	v_fmac_f32_e32 v233, v151, v204
	v_add_f32_e32 v3, v3, v232
	s_waitcnt lgkmcnt(0)
	v_mul_f32_e32 v4, v7, v179
	s_waitcnt vmcnt(3)
	v_fma_f32 v5, v152, v205, -v5
	v_add_f32_e32 v2, v2, v8
	v_mul_f32_e32 v235, v6, v179
	v_fmac_f32_e32 v234, v153, v205
	v_add_f32_e32 v3, v3, v233
	s_waitcnt vmcnt(2)
	v_fma_f32 v4, v6, v206, -v4
	v_add_f32_e32 v2, v2, v5
	v_fmac_f32_e32 v235, v7, v206
	v_add_f32_e32 v3, v3, v234
	v_add_f32_e32 v2, v2, v4
	;; [unrolled: 1-line block ×3, first 2 shown]
	s_waitcnt vmcnt(1)
	v_sub_f32_e32 v2, v207, v2
	s_waitcnt vmcnt(0)
	v_sub_f32_e32 v3, v208, v3
	buffer_store_dword v2, off, s[0:3], 0 offset:160
	buffer_store_dword v3, off, s[0:3], 0 offset:164
	v_cmpx_lt_u32_e32 19, v0
	s_cbranch_execz .LBB111_263
; %bb.262:
	s_clause 0x1
	buffer_load_dword v2, off, s[0:3], 0 offset:152
	buffer_load_dword v3, off, s[0:3], 0 offset:156
	buffer_store_dword v1, off, s[0:3], 0 offset:152
	buffer_store_dword v1, off, s[0:3], 0 offset:156
	s_waitcnt vmcnt(0)
	ds_write_b64 v105, v[2:3]
.LBB111_263:
	s_or_b32 exec_lo, exec_lo, s4
	s_waitcnt lgkmcnt(0)
	s_waitcnt_vscnt null, 0x0
	s_barrier
	buffer_gl0_inv
	s_clause 0x39
	buffer_load_dword v6, off, s[0:3], 0 offset:164
	buffer_load_dword v7, off, s[0:3], 0 offset:172
	;; [unrolled: 1-line block ×58, first 2 shown]
	ds_read_b128 v[2:5], v1 offset:544
	ds_read_b128 v[106:109], v1 offset:560
	;; [unrolled: 1-line block ×14, first 2 shown]
	s_mov_b32 s4, exec_lo
	s_waitcnt vmcnt(57) lgkmcnt(13)
	v_mul_f32_e32 v1, v2, v6
	v_mul_f32_e32 v6, v3, v6
	s_waitcnt vmcnt(56)
	v_mul_f32_e32 v213, v4, v7
	v_mul_f32_e32 v7, v5, v7
	s_waitcnt vmcnt(55) lgkmcnt(12)
	v_mul_f32_e32 v214, v106, v8
	s_waitcnt vmcnt(54)
	v_mul_f32_e32 v215, v108, v158
	s_waitcnt vmcnt(53) lgkmcnt(11)
	v_mul_f32_e32 v216, v110, v159
	s_waitcnt vmcnt(52)
	;; [unrolled: 4-line block ×12, first 2 shown]
	v_mul_f32_e32 v237, v152, v180
	s_waitcnt vmcnt(29)
	v_fma_f32 v2, v2, v183, -v6
	v_fmac_f32_e32 v1, v3, v183
	v_mul_f32_e32 v3, v107, v8
	s_waitcnt vmcnt(28)
	v_fma_f32 v4, v4, v184, -v7
	v_fmac_f32_e32 v213, v5, v184
	v_add_f32_e32 v2, 0, v2
	v_add_f32_e32 v1, 0, v1
	v_mul_f32_e32 v5, v109, v158
	s_waitcnt vmcnt(27)
	v_fma_f32 v3, v106, v185, -v3
	v_fmac_f32_e32 v214, v107, v185
	v_add_f32_e32 v2, v2, v4
	v_add_f32_e32 v1, v1, v213
	;; [unrolled: 6-line block ×24, first 2 shown]
	s_waitcnt lgkmcnt(0)
	v_mul_f32_e32 v3, v155, v181
	s_waitcnt vmcnt(4)
	v_fma_f32 v4, v152, v208, -v4
	v_mul_f32_e32 v238, v154, v181
	v_add_f32_e32 v2, v2, v5
	v_fmac_f32_e32 v237, v153, v208
	v_add_f32_e32 v1, v1, v236
	v_mul_f32_e32 v5, v157, v182
	s_waitcnt vmcnt(3)
	v_fma_f32 v3, v154, v209, -v3
	v_add_f32_e32 v2, v2, v4
	v_mul_f32_e32 v239, v156, v182
	v_fmac_f32_e32 v238, v155, v209
	v_add_f32_e32 v1, v1, v237
	s_waitcnt vmcnt(2)
	v_fma_f32 v4, v156, v210, -v5
	v_add_f32_e32 v2, v2, v3
	v_fmac_f32_e32 v239, v157, v210
	v_add_f32_e32 v1, v1, v238
	v_add_f32_e32 v2, v2, v4
	;; [unrolled: 1-line block ×3, first 2 shown]
	s_waitcnt vmcnt(1)
	v_sub_f32_e32 v2, v211, v2
	s_waitcnt vmcnt(0)
	v_sub_f32_e32 v1, v212, v1
	buffer_store_dword v2, off, s[0:3], 0 offset:152
	buffer_store_dword v1, off, s[0:3], 0 offset:156
	v_cmpx_lt_u32_e32 18, v0
	s_cbranch_execz .LBB111_265
; %bb.264:
	s_clause 0x1
	buffer_load_dword v1, off, s[0:3], 0 offset:144
	buffer_load_dword v2, off, s[0:3], 0 offset:148
	v_mov_b32_e32 v3, 0
	buffer_store_dword v3, off, s[0:3], 0 offset:144
	buffer_store_dword v3, off, s[0:3], 0 offset:148
	s_waitcnt vmcnt(0)
	ds_write_b64 v105, v[1:2]
.LBB111_265:
	s_or_b32 exec_lo, exec_lo, s4
	s_waitcnt lgkmcnt(0)
	s_waitcnt_vscnt null, 0x0
	s_barrier
	buffer_gl0_inv
	s_clause 0x3b
	buffer_load_dword v8, off, s[0:3], 0 offset:156
	buffer_load_dword v158, off, s[0:3], 0 offset:164
	;; [unrolled: 1-line block ×60, first 2 shown]
	v_mov_b32_e32 v1, 0
	ds_read2_b64 v[2:5], v1 offset0:67 offset1:68
	ds_read2_b64 v[106:109], v1 offset0:69 offset1:70
	;; [unrolled: 1-line block ×14, first 2 shown]
	ds_read_b64 v[6:7], v1 offset:760
	s_mov_b32 s4, exec_lo
	s_waitcnt vmcnt(59) lgkmcnt(14)
	v_mul_f32_e32 v217, v2, v8
	v_mul_f32_e32 v8, v3, v8
	s_waitcnt vmcnt(58)
	v_mul_f32_e32 v218, v4, v158
	v_mul_f32_e32 v158, v5, v158
	s_waitcnt vmcnt(57) lgkmcnt(13)
	v_mul_f32_e32 v219, v106, v159
	s_waitcnt vmcnt(56)
	v_mul_f32_e32 v220, v108, v160
	s_waitcnt vmcnt(55) lgkmcnt(12)
	v_mul_f32_e32 v221, v110, v161
	s_waitcnt vmcnt(54)
	v_mul_f32_e32 v222, v112, v162
	s_waitcnt vmcnt(53) lgkmcnt(11)
	v_mul_f32_e32 v223, v114, v163
	s_waitcnt vmcnt(52)
	v_mul_f32_e32 v224, v116, v164
	s_waitcnt vmcnt(51) lgkmcnt(10)
	v_mul_f32_e32 v225, v118, v165
	s_waitcnt vmcnt(50)
	v_mul_f32_e32 v226, v120, v166
	s_waitcnt vmcnt(49) lgkmcnt(9)
	v_mul_f32_e32 v227, v122, v167
	s_waitcnt vmcnt(48)
	v_mul_f32_e32 v228, v124, v168
	s_waitcnt vmcnt(47) lgkmcnt(8)
	v_mul_f32_e32 v229, v126, v169
	s_waitcnt vmcnt(46)
	v_mul_f32_e32 v230, v128, v170
	s_waitcnt vmcnt(45) lgkmcnt(7)
	v_mul_f32_e32 v231, v130, v171
	s_waitcnt vmcnt(44)
	v_mul_f32_e32 v232, v132, v172
	s_waitcnt vmcnt(43) lgkmcnt(6)
	v_mul_f32_e32 v233, v134, v173
	s_waitcnt vmcnt(42)
	v_mul_f32_e32 v234, v136, v174
	s_waitcnt vmcnt(41) lgkmcnt(5)
	v_mul_f32_e32 v235, v138, v175
	s_waitcnt vmcnt(40)
	v_mul_f32_e32 v236, v140, v176
	s_waitcnt vmcnt(39) lgkmcnt(4)
	v_mul_f32_e32 v237, v142, v177
	s_waitcnt vmcnt(38)
	v_mul_f32_e32 v238, v144, v178
	s_waitcnt vmcnt(37) lgkmcnt(3)
	v_mul_f32_e32 v239, v146, v179
	s_waitcnt vmcnt(36)
	v_mul_f32_e32 v240, v148, v180
	s_waitcnt vmcnt(35) lgkmcnt(2)
	v_mul_f32_e32 v241, v150, v181
	s_waitcnt vmcnt(34)
	v_mul_f32_e32 v242, v152, v182
	s_waitcnt vmcnt(33) lgkmcnt(1)
	v_mul_f32_e32 v243, v154, v183
	s_waitcnt vmcnt(30)
	v_fma_f32 v2, v2, v186, -v8
	v_fmac_f32_e32 v217, v3, v186
	v_mul_f32_e32 v3, v107, v159
	s_waitcnt vmcnt(29)
	v_fma_f32 v4, v4, v187, -v158
	v_fmac_f32_e32 v218, v5, v187
	v_add_f32_e32 v2, 0, v2
	v_add_f32_e32 v5, 0, v217
	v_mul_f32_e32 v8, v109, v160
	s_waitcnt vmcnt(28)
	v_fma_f32 v3, v106, v188, -v3
	v_fmac_f32_e32 v219, v107, v188
	v_add_f32_e32 v2, v2, v4
	v_add_f32_e32 v4, v5, v218
	;; [unrolled: 6-line block ×25, first 2 shown]
	v_mul_f32_e32 v8, v157, v184
	s_waitcnt vmcnt(4)
	v_fma_f32 v4, v154, v212, -v4
	v_mul_f32_e32 v244, v156, v184
	v_add_f32_e32 v2, v2, v5
	v_fmac_f32_e32 v243, v155, v212
	v_add_f32_e32 v3, v3, v242
	s_waitcnt lgkmcnt(0)
	v_mul_f32_e32 v5, v7, v185
	s_waitcnt vmcnt(3)
	v_fma_f32 v8, v156, v213, -v8
	v_add_f32_e32 v2, v2, v4
	v_mul_f32_e32 v245, v6, v185
	v_fmac_f32_e32 v244, v157, v213
	v_add_f32_e32 v3, v3, v243
	s_waitcnt vmcnt(2)
	v_fma_f32 v4, v6, v214, -v5
	v_add_f32_e32 v2, v2, v8
	v_fmac_f32_e32 v245, v7, v214
	v_add_f32_e32 v3, v3, v244
	v_add_f32_e32 v2, v2, v4
	;; [unrolled: 1-line block ×3, first 2 shown]
	s_waitcnt vmcnt(1)
	v_sub_f32_e32 v2, v215, v2
	s_waitcnt vmcnt(0)
	v_sub_f32_e32 v3, v216, v3
	buffer_store_dword v2, off, s[0:3], 0 offset:144
	buffer_store_dword v3, off, s[0:3], 0 offset:148
	v_cmpx_lt_u32_e32 17, v0
	s_cbranch_execz .LBB111_267
; %bb.266:
	s_clause 0x1
	buffer_load_dword v2, off, s[0:3], 0 offset:136
	buffer_load_dword v3, off, s[0:3], 0 offset:140
	buffer_store_dword v1, off, s[0:3], 0 offset:136
	buffer_store_dword v1, off, s[0:3], 0 offset:140
	s_waitcnt vmcnt(0)
	ds_write_b64 v105, v[2:3]
.LBB111_267:
	s_or_b32 exec_lo, exec_lo, s4
	s_waitcnt lgkmcnt(0)
	s_waitcnt_vscnt null, 0x0
	s_barrier
	buffer_gl0_inv
	s_clause 0x3d
	buffer_load_dword v6, off, s[0:3], 0 offset:148
	buffer_load_dword v7, off, s[0:3], 0 offset:156
	;; [unrolled: 1-line block ×62, first 2 shown]
	ds_read_b128 v[2:5], v1 offset:528
	ds_read_b128 v[106:109], v1 offset:544
	;; [unrolled: 1-line block ×15, first 2 shown]
	s_mov_b32 s4, exec_lo
	s_waitcnt vmcnt(61) lgkmcnt(14)
	v_mul_f32_e32 v1, v2, v6
	v_mul_f32_e32 v6, v3, v6
	s_waitcnt vmcnt(60)
	v_mul_f32_e32 v221, v4, v7
	v_mul_f32_e32 v7, v5, v7
	s_waitcnt vmcnt(59) lgkmcnt(13)
	v_mul_f32_e32 v222, v106, v8
	s_waitcnt vmcnt(58)
	v_mul_f32_e32 v223, v108, v162
	s_waitcnt vmcnt(57) lgkmcnt(12)
	v_mul_f32_e32 v224, v110, v163
	s_waitcnt vmcnt(56)
	;; [unrolled: 4-line block ×13, first 2 shown]
	v_mul_f32_e32 v247, v156, v186
	s_waitcnt vmcnt(31)
	v_fma_f32 v2, v2, v189, -v6
	v_fmac_f32_e32 v1, v3, v189
	v_mul_f32_e32 v3, v107, v8
	s_waitcnt vmcnt(30)
	v_fma_f32 v4, v4, v190, -v7
	v_fmac_f32_e32 v221, v5, v190
	v_add_f32_e32 v2, 0, v2
	v_add_f32_e32 v1, 0, v1
	v_mul_f32_e32 v5, v109, v162
	s_waitcnt vmcnt(29)
	v_fma_f32 v3, v106, v191, -v3
	v_fmac_f32_e32 v222, v107, v191
	v_add_f32_e32 v2, v2, v4
	v_add_f32_e32 v1, v1, v221
	;; [unrolled: 6-line block ×26, first 2 shown]
	s_waitcnt lgkmcnt(0)
	v_mul_f32_e32 v4, v159, v187
	s_waitcnt vmcnt(4)
	v_fma_f32 v5, v156, v216, -v5
	v_mul_f32_e32 v248, v158, v187
	v_add_f32_e32 v2, v2, v3
	v_fmac_f32_e32 v247, v157, v216
	v_add_f32_e32 v1, v1, v246
	v_mul_f32_e32 v3, v161, v188
	s_waitcnt vmcnt(3)
	v_fma_f32 v4, v158, v217, -v4
	v_add_f32_e32 v2, v2, v5
	v_mul_f32_e32 v249, v160, v188
	v_fmac_f32_e32 v248, v159, v217
	v_add_f32_e32 v1, v1, v247
	s_waitcnt vmcnt(2)
	v_fma_f32 v3, v160, v218, -v3
	v_add_f32_e32 v2, v2, v4
	v_fmac_f32_e32 v249, v161, v218
	v_add_f32_e32 v1, v1, v248
	v_add_f32_e32 v2, v2, v3
	;; [unrolled: 1-line block ×3, first 2 shown]
	s_waitcnt vmcnt(1)
	v_sub_f32_e32 v2, v219, v2
	s_waitcnt vmcnt(0)
	v_sub_f32_e32 v1, v220, v1
	buffer_store_dword v2, off, s[0:3], 0 offset:136
	buffer_store_dword v1, off, s[0:3], 0 offset:140
	v_cmpx_lt_u32_e32 16, v0
	s_cbranch_execz .LBB111_269
; %bb.268:
	s_clause 0x1
	buffer_load_dword v1, off, s[0:3], 0 offset:128
	buffer_load_dword v2, off, s[0:3], 0 offset:132
	v_mov_b32_e32 v3, 0
	buffer_store_dword v3, off, s[0:3], 0 offset:128
	buffer_store_dword v3, off, s[0:3], 0 offset:132
	s_waitcnt vmcnt(0)
	ds_write_b64 v105, v[1:2]
.LBB111_269:
	s_or_b32 exec_lo, exec_lo, s4
	s_waitcnt lgkmcnt(0)
	s_waitcnt_vscnt null, 0x0
	s_barrier
	buffer_gl0_inv
	s_clause 0x23
	buffer_load_dword v3, off, s[0:3], 0 offset:140
	buffer_load_dword v4, off, s[0:3], 0 offset:148
	;; [unrolled: 1-line block ×36, first 2 shown]
	v_mov_b32_e32 v1, 0
	ds_read2_b64 v[130:133], v1 offset0:65 offset1:66
	ds_read2_b64 v[134:137], v1 offset0:67 offset1:68
	;; [unrolled: 1-line block ×3, first 2 shown]
	s_clause 0x3
	buffer_load_dword v151, off, s[0:3], 0 offset:268
	buffer_load_dword v152, off, s[0:3], 0 offset:276
	;; [unrolled: 1-line block ×4, first 2 shown]
	ds_read2_b64 v[142:145], v1 offset0:71 offset1:72
	s_mov_b32 s4, exec_lo
	s_waitcnt vmcnt(39) lgkmcnt(3)
	v_mul_f32_e32 v155, v130, v3
	v_mul_f32_e32 v3, v131, v3
	s_waitcnt vmcnt(38)
	v_mul_f32_e32 v156, v132, v4
	v_mul_f32_e32 v4, v133, v4
	s_waitcnt vmcnt(35)
	v_fmac_f32_e32 v155, v131, v106
	v_fma_f32 v157, v130, v106, -v3
	s_waitcnt vmcnt(34) lgkmcnt(2)
	v_mul_f32_e32 v158, v134, v8
	v_mul_f32_e32 v3, v135, v8
	v_fmac_f32_e32 v156, v133, v5
	v_fma_f32 v8, v132, v5, -v4
	ds_read2_b64 v[130:133], v1 offset0:73 offset1:74
	s_waitcnt vmcnt(33)
	v_mul_f32_e32 v4, v137, v6
	v_mul_f32_e32 v159, v136, v6
	v_fmac_f32_e32 v158, v135, v2
	v_fma_f32 v6, v134, v2, -v3
	s_waitcnt vmcnt(32) lgkmcnt(2)
	v_mul_f32_e32 v134, v138, v7
	s_waitcnt vmcnt(28)
	v_fma_f32 v135, v136, v113, -v4
	ds_read2_b64 v[2:5], v1 offset0:75 offset1:76
	v_mul_f32_e32 v7, v139, v7
	s_waitcnt vmcnt(27)
	v_mul_f32_e32 v106, v141, v112
	v_mul_f32_e32 v136, v140, v112
	v_fmac_f32_e32 v159, v137, v113
	s_waitcnt vmcnt(26) lgkmcnt(2)
	v_mul_f32_e32 v137, v142, v109
	v_fma_f32 v7, v138, v111, -v7
	v_fma_f32 v138, v140, v108, -v106
	v_mul_f32_e32 v106, v143, v109
	v_fmac_f32_e32 v136, v141, v108
	v_fmac_f32_e32 v134, v139, v111
	s_waitcnt vmcnt(25)
	v_mul_f32_e32 v139, v144, v110
	v_mul_f32_e32 v108, v145, v110
	v_fma_f32 v141, v142, v107, -v106
	s_waitcnt vmcnt(19) lgkmcnt(1)
	v_mul_f32_e32 v142, v132, v120
	v_mul_f32_e32 v120, v133, v120
	;; [unrolled: 1-line block ×4, first 2 shown]
	v_fmac_f32_e32 v137, v143, v107
	v_fmac_f32_e32 v142, v133, v116
	v_fma_f32 v116, v132, v116, -v120
	s_waitcnt vmcnt(17) lgkmcnt(0)
	v_mul_f32_e32 v120, v4, v117
	v_mul_f32_e32 v117, v5, v117
	v_fmac_f32_e32 v139, v145, v121
	v_fma_f32 v121, v144, v121, -v108
	ds_read2_b64 v[106:109], v1 offset0:77 offset1:78
	ds_read2_b64 v[110:113], v1 offset0:79 offset1:80
	v_fmac_f32_e32 v140, v131, v118
	v_fma_f32 v114, v130, v118, -v114
	s_waitcnt vmcnt(13)
	v_fmac_f32_e32 v120, v5, v129
	v_fma_f32 v117, v4, v129, -v117
	s_clause 0x6
	buffer_load_dword v129, off, s[0:3], 0 offset:288
	buffer_load_dword v130, off, s[0:3], 0 offset:300
	;; [unrolled: 1-line block ×7, first 2 shown]
	v_mul_f32_e32 v118, v2, v119
	v_mul_f32_e32 v119, v3, v119
	v_fmac_f32_e32 v118, v3, v115
	v_fma_f32 v115, v2, v115, -v119
	s_waitcnt vmcnt(19) lgkmcnt(1)
	v_mul_f32_e32 v119, v106, v128
	v_mul_f32_e32 v2, v107, v128
	s_waitcnt vmcnt(16) lgkmcnt(0)
	v_mul_f32_e32 v162, v112, v126
	v_mul_f32_e32 v128, v108, v127
	;; [unrolled: 1-line block ×3, first 2 shown]
	v_fmac_f32_e32 v119, v107, v124
	v_fma_f32 v124, v106, v124, -v2
	v_mul_f32_e32 v2, v113, v126
	s_waitcnt vmcnt(11)
	v_fmac_f32_e32 v162, v113, v150
	v_mul_f32_e32 v127, v110, v125
	v_mul_f32_e32 v4, v111, v125
	s_clause 0x3
	buffer_load_dword v125, off, s[0:3], 0 offset:324
	buffer_load_dword v145, off, s[0:3], 0 offset:332
	;; [unrolled: 1-line block ×4, first 2 shown]
	v_fma_f32 v150, v112, v150, -v2
	v_add_f32_e32 v2, 0, v155
	s_clause 0x3
	buffer_load_dword v126, off, s[0:3], 0 offset:356
	buffer_load_dword v163, off, s[0:3], 0 offset:364
	;; [unrolled: 1-line block ×4, first 2 shown]
	v_fmac_f32_e32 v128, v109, v123
	v_fma_f32 v123, v108, v123, -v3
	v_add_f32_e32 v2, v2, v156
	s_clause 0x3
	buffer_load_dword v155, off, s[0:3], 0 offset:344
	buffer_load_dword v156, off, s[0:3], 0 offset:336
	;; [unrolled: 1-line block ×4, first 2 shown]
	v_add_f32_e32 v3, 0, v157
	v_fmac_f32_e32 v127, v111, v122
	v_fma_f32 v122, v110, v122, -v4
	v_add_f32_e32 v2, v2, v158
	v_add_f32_e32 v3, v3, v8
	;; [unrolled: 1-line block ×3, first 2 shown]
	s_clause 0x3
	buffer_load_dword v8, off, s[0:3], 0 offset:376
	buffer_load_dword v157, off, s[0:3], 0 offset:368
	;; [unrolled: 1-line block ×4, first 2 shown]
	v_add_f32_e32 v3, v3, v6
	ds_read2_b64 v[106:109], v1 offset0:83 offset1:84
	v_add_f32_e32 v2, v2, v134
	v_add_f32_e32 v3, v3, v135
	buffer_load_dword v135, off, s[0:3], 0 offset:128
	v_add_f32_e32 v6, v2, v136
	v_add_f32_e32 v3, v3, v7
	;; [unrolled: 1-line block ×4, first 2 shown]
	ds_read2_b64 v[2:5], v1 offset0:81 offset1:82
	v_add_f32_e32 v6, v6, v139
	v_add_f32_e32 v7, v7, v141
	s_waitcnt vmcnt(25) lgkmcnt(1)
	v_mul_f32_e32 v139, v108, v153
	v_add_f32_e32 v6, v6, v140
	v_add_f32_e32 v7, v7, v121
	;; [unrolled: 1-line block ×5, first 2 shown]
	v_mul_f32_e32 v118, v107, v147
	v_add_f32_e32 v7, v7, v116
	s_waitcnt lgkmcnt(0)
	v_mul_f32_e32 v134, v2, v151
	v_mul_f32_e32 v110, v3, v151
	v_add_f32_e32 v6, v6, v120
	v_mul_f32_e32 v136, v4, v152
	v_mul_f32_e32 v111, v5, v152
	v_fmac_f32_e32 v134, v3, v149
	v_add_f32_e32 v3, v7, v115
	v_add_f32_e32 v6, v6, v119
	v_fma_f32 v137, v2, v149, -v110
	v_fmac_f32_e32 v136, v5, v148
	v_fma_f32 v138, v4, v148, -v111
	v_add_f32_e32 v7, v3, v117
	v_add_f32_e32 v6, v6, v128
	ds_read2_b64 v[2:5], v1 offset0:85 offset1:86
	ds_read2_b64 v[110:113], v1 offset0:87 offset1:88
	v_fma_f32 v140, v106, v146, -v118
	ds_read2_b64 v[114:117], v1 offset0:89 offset1:90
	ds_read2_b64 v[118:121], v1 offset0:91 offset1:92
	v_add_f32_e32 v7, v7, v124
	v_mul_f32_e32 v124, v106, v147
	v_add_f32_e32 v7, v7, v123
	v_mul_f32_e32 v123, v109, v153
	v_fmac_f32_e32 v124, v107, v146
	v_add_f32_e32 v7, v7, v122
	s_waitcnt vmcnt(23)
	v_fma_f32 v122, v108, v129, -v123
	v_add_f32_e32 v123, v6, v127
	v_add_f32_e32 v127, v7, v150
	s_waitcnt vmcnt(22) lgkmcnt(3)
	v_mul_f32_e32 v128, v2, v130
	v_mul_f32_e32 v130, v3, v130
	v_fmac_f32_e32 v139, v109, v129
	v_add_f32_e32 v123, v123, v162
	v_add_f32_e32 v127, v127, v137
	s_waitcnt vmcnt(21)
	v_mul_f32_e32 v129, v4, v131
	v_mul_f32_e32 v131, v5, v131
	s_waitcnt vmcnt(17)
	v_fma_f32 v2, v2, v144, -v130
	v_add_f32_e32 v123, v123, v134
	v_add_f32_e32 v127, v127, v138
	v_fmac_f32_e32 v128, v3, v144
	s_waitcnt lgkmcnt(2)
	v_mul_f32_e32 v130, v111, v132
	v_fma_f32 v4, v4, v143, -v131
	v_add_f32_e32 v123, v123, v136
	v_add_f32_e32 v127, v127, v140
	v_mul_f32_e32 v134, v110, v132
	v_fmac_f32_e32 v129, v5, v143
	v_fma_f32 v110, v110, v133, -v130
	v_add_f32_e32 v123, v123, v124
	v_add_f32_e32 v122, v127, v122
	v_fmac_f32_e32 v134, v111, v133
	ds_read2_b64 v[106:109], v1 offset0:93 offset1:94
	ds_read_b64 v[6:7], v1 offset:760
	v_add_f32_e32 v123, v123, v139
	v_add_f32_e32 v2, v122, v2
	s_waitcnt vmcnt(16)
	v_mul_f32_e32 v122, v113, v125
	v_mul_f32_e32 v137, v112, v125
	s_waitcnt vmcnt(15) lgkmcnt(3)
	v_mul_f32_e32 v138, v114, v145
	v_add_f32_e32 v5, v123, v128
	v_add_f32_e32 v2, v2, v4
	s_waitcnt vmcnt(14)
	v_mul_f32_e32 v136, v116, v160
	s_waitcnt vmcnt(13) lgkmcnt(2)
	v_mul_f32_e32 v140, v118, v161
	s_waitcnt vmcnt(12)
	v_mul_f32_e32 v3, v120, v126
	v_add_f32_e32 v4, v5, v129
	v_mul_f32_e32 v5, v115, v145
	v_add_f32_e32 v2, v2, v110
	s_waitcnt vmcnt(5)
	v_fma_f32 v111, v112, v167, -v122
	v_fmac_f32_e32 v137, v113, v167
	v_add_f32_e32 v4, v4, v134
	v_mul_f32_e32 v110, v117, v160
	v_fma_f32 v5, v114, v166, -v5
	v_add_f32_e32 v2, v2, v111
	v_fmac_f32_e32 v138, v115, v166
	v_add_f32_e32 v4, v4, v137
	v_mul_f32_e32 v111, v119, v161
	v_fma_f32 v110, v116, v156, -v110
	v_add_f32_e32 v2, v2, v5
	;; [unrolled: 5-line block ×3, first 2 shown]
	v_fmac_f32_e32 v140, v119, v155
	v_add_f32_e32 v4, v4, v136
	s_waitcnt lgkmcnt(1)
	v_mul_f32_e32 v110, v107, v163
	s_waitcnt vmcnt(1)
	v_fma_f32 v5, v120, v159, -v5
	v_add_f32_e32 v2, v2, v111
	v_mul_f32_e32 v124, v106, v163
	v_fmac_f32_e32 v3, v121, v159
	v_add_f32_e32 v4, v4, v140
	v_mul_f32_e32 v111, v109, v164
	v_fma_f32 v106, v106, v158, -v110
	v_add_f32_e32 v2, v2, v5
	v_mul_f32_e32 v127, v108, v164
	v_fmac_f32_e32 v124, v107, v158
	v_add_f32_e32 v3, v4, v3
	s_waitcnt lgkmcnt(0)
	v_mul_f32_e32 v4, v7, v165
	v_fma_f32 v5, v108, v157, -v111
	v_add_f32_e32 v2, v2, v106
	v_mul_f32_e32 v132, v6, v165
	v_fmac_f32_e32 v127, v109, v157
	v_add_f32_e32 v3, v3, v124
	v_fma_f32 v4, v6, v8, -v4
	v_add_f32_e32 v2, v2, v5
	v_fmac_f32_e32 v132, v7, v8
	v_add_f32_e32 v3, v3, v127
	v_add_f32_e32 v2, v2, v4
	;; [unrolled: 1-line block ×3, first 2 shown]
	s_waitcnt vmcnt(0)
	v_sub_f32_e32 v2, v135, v2
	v_sub_f32_e32 v3, v154, v3
	buffer_store_dword v2, off, s[0:3], 0 offset:128
	buffer_store_dword v3, off, s[0:3], 0 offset:132
	v_cmpx_lt_u32_e32 15, v0
	s_cbranch_execz .LBB111_271
; %bb.270:
	s_clause 0x1
	buffer_load_dword v2, off, s[0:3], 0 offset:120
	buffer_load_dword v3, off, s[0:3], 0 offset:124
	buffer_store_dword v1, off, s[0:3], 0 offset:120
	buffer_store_dword v1, off, s[0:3], 0 offset:124
	s_waitcnt vmcnt(0)
	ds_write_b64 v105, v[2:3]
.LBB111_271:
	s_or_b32 exec_lo, exec_lo, s4
	s_waitcnt lgkmcnt(0)
	s_waitcnt_vscnt null, 0x0
	s_barrier
	buffer_gl0_inv
	s_clause 0x23
	buffer_load_dword v3, off, s[0:3], 0 offset:132
	buffer_load_dword v4, off, s[0:3], 0 offset:140
	;; [unrolled: 1-line block ×36, first 2 shown]
	ds_read_b128 v[130:133], v1 offset:512
	ds_read_b128 v[134:137], v1 offset:528
	s_clause 0x1
	buffer_load_dword v151, off, s[0:3], 0 offset:260
	buffer_load_dword v152, off, s[0:3], 0 offset:268
	ds_read_b128 v[138:141], v1 offset:544
	ds_read_b128 v[142:145], v1 offset:560
	buffer_load_dword v153, off, s[0:3], 0 offset:124
	s_mov_b32 s4, exec_lo
	s_waitcnt vmcnt(38) lgkmcnt(3)
	v_mul_f32_e32 v154, v130, v3
	v_mul_f32_e32 v3, v131, v3
	s_waitcnt vmcnt(37)
	v_mul_f32_e32 v155, v132, v4
	v_mul_f32_e32 v4, v133, v4
	s_waitcnt vmcnt(36) lgkmcnt(2)
	v_mul_f32_e32 v156, v134, v5
	s_waitcnt vmcnt(33)
	v_fmac_f32_e32 v154, v131, v8
	v_fma_f32 v8, v130, v8, -v3
	v_mul_f32_e32 v3, v135, v5
	s_waitcnt vmcnt(32)
	v_mul_f32_e32 v5, v137, v7
	v_mul_f32_e32 v157, v136, v7
	v_fmac_f32_e32 v155, v133, v6
	v_fma_f32 v6, v132, v6, -v4
	v_fmac_f32_e32 v156, v135, v2
	v_fma_f32 v7, v134, v2, -v3
	s_waitcnt vmcnt(28)
	v_fma_f32 v134, v136, v113, -v5
	ds_read_b128 v[2:5], v1 offset:576
	ds_read_b128 v[130:133], v1 offset:592
	s_waitcnt vmcnt(27) lgkmcnt(3)
	v_mul_f32_e32 v135, v138, v112
	v_mul_f32_e32 v112, v139, v112
	v_fmac_f32_e32 v157, v137, v113
	s_waitcnt vmcnt(26)
	v_mul_f32_e32 v136, v140, v111
	v_mul_f32_e32 v111, v141, v111
	s_waitcnt vmcnt(25) lgkmcnt(2)
	v_mul_f32_e32 v137, v142, v109
	v_fmac_f32_e32 v135, v139, v108
	v_fma_f32 v138, v138, v108, -v112
	s_waitcnt vmcnt(24)
	v_mul_f32_e32 v139, v144, v110
	v_mul_f32_e32 v108, v143, v109
	;; [unrolled: 1-line block ×3, first 2 shown]
	v_fmac_f32_e32 v136, v141, v107
	v_fma_f32 v140, v140, v107, -v111
	v_fmac_f32_e32 v137, v143, v106
	s_waitcnt vmcnt(20)
	v_fmac_f32_e32 v139, v145, v121
	v_fma_f32 v141, v142, v106, -v108
	v_fma_f32 v121, v144, v121, -v109
	ds_read_b128 v[106:109], v1 offset:608
	ds_read_b128 v[110:113], v1 offset:624
	s_waitcnt vmcnt(19) lgkmcnt(3)
	v_mul_f32_e32 v142, v2, v119
	s_waitcnt vmcnt(18)
	v_mul_f32_e32 v143, v4, v120
	v_mul_f32_e32 v119, v3, v119
	;; [unrolled: 1-line block ×3, first 2 shown]
	buffer_load_dword v144, off, s[0:3], 0 offset:284
	v_fmac_f32_e32 v142, v3, v118
	v_fmac_f32_e32 v143, v5, v117
	v_fma_f32 v118, v2, v118, -v119
	v_fma_f32 v117, v4, v117, -v120
	s_clause 0x3
	buffer_load_dword v145, off, s[0:3], 0 offset:304
	buffer_load_dword v158, off, s[0:3], 0 offset:296
	;; [unrolled: 1-line block ×4, first 2 shown]
	s_waitcnt vmcnt(22) lgkmcnt(2)
	v_mul_f32_e32 v120, v130, v116
	v_mul_f32_e32 v2, v131, v116
	s_waitcnt vmcnt(21)
	v_mul_f32_e32 v3, v133, v115
	v_mul_f32_e32 v116, v132, v115
	v_fmac_f32_e32 v120, v131, v114
	v_fma_f32 v114, v130, v114, -v2
	buffer_load_dword v130, off, s[0:3], 0 offset:292
	s_waitcnt vmcnt(18)
	v_fma_f32 v115, v132, v129, -v3
	s_waitcnt vmcnt(17) lgkmcnt(1)
	v_mul_f32_e32 v132, v106, v127
	v_mul_f32_e32 v2, v107, v127
	v_fmac_f32_e32 v116, v133, v129
	s_clause 0x1
	buffer_load_dword v129, off, s[0:3], 0 offset:300
	buffer_load_dword v131, off, s[0:3], 0 offset:308
	s_waitcnt vmcnt(18)
	v_mul_f32_e32 v133, v108, v128
	v_mul_f32_e32 v3, v109, v128
	v_fmac_f32_e32 v132, v107, v125
	v_fma_f32 v125, v106, v125, -v2
	s_waitcnt vmcnt(16) lgkmcnt(0)
	v_mul_f32_e32 v2, v113, v124
	v_fmac_f32_e32 v133, v109, v123
	v_fma_f32 v123, v108, v123, -v3
	v_mul_f32_e32 v162, v112, v124
	v_add_f32_e32 v3, 0, v8
	s_waitcnt vmcnt(11)
	v_fma_f32 v124, v112, v150, -v2
	v_add_f32_e32 v2, 0, v154
	v_mul_f32_e32 v127, v110, v126
	v_mul_f32_e32 v4, v111, v126
	s_clause 0x5
	buffer_load_dword v126, off, s[0:3], 0 offset:316
	buffer_load_dword v128, off, s[0:3], 0 offset:324
	;; [unrolled: 1-line block ×6, first 2 shown]
	v_fmac_f32_e32 v162, v113, v150
	s_clause 0x2
	buffer_load_dword v150, off, s[0:3], 0 offset:364
	buffer_load_dword v165, off, s[0:3], 0 offset:372
	;; [unrolled: 1-line block ×3, first 2 shown]
	v_add_f32_e32 v2, v2, v155
	v_add_f32_e32 v3, v3, v6
	s_clause 0x3
	buffer_load_dword v6, off, s[0:3], 0 offset:336
	buffer_load_dword v154, off, s[0:3], 0 offset:328
	;; [unrolled: 1-line block ×4, first 2 shown]
	v_fmac_f32_e32 v127, v111, v122
	v_fma_f32 v122, v110, v122, -v4
	v_add_f32_e32 v2, v2, v156
	v_add_f32_e32 v3, v3, v7
	;; [unrolled: 1-line block ×4, first 2 shown]
	s_clause 0x3
	buffer_load_dword v7, off, s[0:3], 0 offset:368
	buffer_load_dword v134, off, s[0:3], 0 offset:360
	;; [unrolled: 1-line block ×4, first 2 shown]
	v_add_f32_e32 v2, v2, v135
	buffer_load_dword v135, off, s[0:3], 0 offset:376
	v_add_f32_e32 v3, v3, v138
	buffer_load_dword v138, off, s[0:3], 0 offset:120
	v_add_f32_e32 v2, v2, v136
	v_add_f32_e32 v3, v3, v140
	;; [unrolled: 1-line block ×4, first 2 shown]
	ds_read_b128 v[2:5], v1 offset:640
	v_add_f32_e32 v106, v106, v139
	v_add_f32_e32 v107, v107, v121
	;; [unrolled: 1-line block ×4, first 2 shown]
	ds_read_b128 v[106:109], v1 offset:656
	v_add_f32_e32 v110, v110, v143
	v_add_f32_e32 v111, v111, v117
	;; [unrolled: 1-line block ×4, first 2 shown]
	s_waitcnt vmcnt(29) lgkmcnt(1)
	v_mul_f32_e32 v136, v2, v151
	v_mul_f32_e32 v112, v3, v151
	s_waitcnt vmcnt(28)
	v_mul_f32_e32 v137, v4, v152
	v_mul_f32_e32 v113, v5, v152
	v_add_f32_e32 v116, v110, v116
	v_fmac_f32_e32 v136, v3, v149
	v_fma_f32 v139, v2, v149, -v112
	v_fmac_f32_e32 v137, v5, v148
	v_fma_f32 v140, v4, v148, -v113
	ds_read_b128 v[2:5], v1 offset:672
	ds_read_b128 v[110:113], v1 offset:688
	v_add_f32_e32 v114, v114, v115
	s_waitcnt lgkmcnt(2)
	v_mul_f32_e32 v141, v106, v147
	v_add_f32_e32 v115, v116, v132
	v_mul_f32_e32 v116, v107, v147
	v_add_f32_e32 v114, v114, v125
	v_fmac_f32_e32 v141, v107, v146
	v_add_f32_e32 v107, v115, v133
	v_fma_f32 v132, v106, v146, -v116
	v_add_f32_e32 v118, v114, v123
	v_add_f32_e32 v122, v118, v122
	s_waitcnt vmcnt(26)
	v_mul_f32_e32 v142, v108, v144
	v_mul_f32_e32 v117, v109, v144
	s_waitcnt vmcnt(22)
	v_fmac_f32_e32 v142, v109, v119
	v_fma_f32 v133, v108, v119, -v117
	v_add_f32_e32 v119, v107, v127
	ds_read_b128 v[106:109], v1 offset:704
	ds_read_b128 v[114:117], v1 offset:720
	v_add_f32_e32 v125, v119, v162
	s_waitcnt vmcnt(21) lgkmcnt(3)
	v_mul_f32_e32 v127, v2, v130
	v_mul_f32_e32 v123, v3, v130
	v_add_f32_e32 v130, v122, v124
	ds_read_b128 v[118:121], v1 offset:736
	v_fmac_f32_e32 v127, v3, v159
	v_fma_f32 v2, v2, v159, -v123
	v_add_f32_e32 v3, v125, v136
	ds_read_b128 v[122:125], v1 offset:752
	v_add_f32_e32 v1, v130, v139
	s_waitcnt vmcnt(20)
	v_mul_f32_e32 v130, v4, v129
	v_mul_f32_e32 v129, v5, v129
	v_add_f32_e32 v3, v3, v137
	s_waitcnt vmcnt(19) lgkmcnt(4)
	v_mul_f32_e32 v136, v110, v131
	v_add_f32_e32 v1, v1, v140
	v_mul_f32_e32 v131, v111, v131
	v_fma_f32 v4, v4, v158, -v129
	v_add_f32_e32 v3, v3, v141
	v_fmac_f32_e32 v130, v5, v158
	v_add_f32_e32 v1, v1, v132
	s_waitcnt vmcnt(18)
	v_mul_f32_e32 v137, v112, v126
	v_mul_f32_e32 v126, v113, v126
	v_add_f32_e32 v3, v3, v142
	v_fma_f32 v110, v110, v145, -v131
	v_add_f32_e32 v1, v1, v133
	v_fmac_f32_e32 v136, v111, v145
	s_waitcnt vmcnt(6)
	v_fma_f32 v111, v112, v166, -v126
	s_waitcnt lgkmcnt(3)
	v_mul_f32_e32 v5, v106, v128
	v_fmac_f32_e32 v137, v113, v166
	v_add_f32_e32 v1, v1, v2
	v_add_f32_e32 v2, v3, v127
	v_mul_f32_e32 v129, v108, v160
	v_fmac_f32_e32 v5, v107, v155
	s_waitcnt lgkmcnt(2)
	v_mul_f32_e32 v132, v114, v161
	v_add_f32_e32 v1, v1, v4
	v_add_f32_e32 v2, v2, v130
	v_mul_f32_e32 v4, v107, v128
	v_fmac_f32_e32 v129, v109, v154
	v_mul_f32_e32 v139, v116, v163
	v_add_f32_e32 v1, v1, v110
	v_add_f32_e32 v2, v2, v136
	v_mul_f32_e32 v110, v109, v160
	v_fma_f32 v4, v106, v155, -v4
	v_mul_f32_e32 v106, v115, v161
	v_add_f32_e32 v1, v1, v111
	v_add_f32_e32 v2, v2, v137
	v_fma_f32 v107, v108, v154, -v110
	v_fmac_f32_e32 v132, v115, v6
	s_waitcnt lgkmcnt(1)
	v_mul_f32_e32 v140, v118, v164
	v_add_f32_e32 v1, v1, v4
	v_add_f32_e32 v2, v2, v5
	v_mul_f32_e32 v4, v117, v163
	v_fma_f32 v5, v114, v6, -v106
	v_mul_f32_e32 v6, v119, v164
	v_add_f32_e32 v1, v1, v107
	v_add_f32_e32 v2, v2, v129
	s_waitcnt vmcnt(2)
	v_fma_f32 v4, v116, v157, -v4
	v_fmac_f32_e32 v139, v117, v157
	v_fma_f32 v6, v118, v156, -v6
	v_add_f32_e32 v1, v1, v5
	v_add_f32_e32 v2, v2, v132
	v_mul_f32_e32 v5, v121, v150
	v_mul_f32_e32 v133, v120, v150
	v_fmac_f32_e32 v140, v119, v156
	v_add_f32_e32 v1, v1, v4
	v_add_f32_e32 v2, v2, v139
	s_waitcnt lgkmcnt(0)
	v_mul_f32_e32 v4, v123, v165
	v_fma_f32 v5, v120, v134, -v5
	v_mul_f32_e32 v141, v122, v165
	v_add_f32_e32 v1, v1, v6
	v_fmac_f32_e32 v133, v121, v134
	v_add_f32_e32 v2, v2, v140
	v_mul_f32_e32 v6, v125, v8
	v_fma_f32 v4, v122, v7, -v4
	v_add_f32_e32 v1, v1, v5
	v_mul_f32_e32 v3, v124, v8
	v_fmac_f32_e32 v141, v123, v7
	v_add_f32_e32 v2, v2, v133
	s_waitcnt vmcnt(1)
	v_fma_f32 v5, v124, v135, -v6
	v_add_f32_e32 v1, v1, v4
	v_fmac_f32_e32 v3, v125, v135
	v_add_f32_e32 v2, v2, v141
	v_add_f32_e32 v1, v1, v5
	;; [unrolled: 1-line block ×3, first 2 shown]
	s_waitcnt vmcnt(0)
	v_sub_f32_e32 v1, v138, v1
	v_sub_f32_e32 v2, v153, v2
	buffer_store_dword v1, off, s[0:3], 0 offset:120
	buffer_store_dword v2, off, s[0:3], 0 offset:124
	v_cmpx_lt_u32_e32 14, v0
	s_cbranch_execz .LBB111_273
; %bb.272:
	s_clause 0x1
	buffer_load_dword v1, off, s[0:3], 0 offset:112
	buffer_load_dword v2, off, s[0:3], 0 offset:116
	v_mov_b32_e32 v3, 0
	buffer_store_dword v3, off, s[0:3], 0 offset:112
	buffer_store_dword v3, off, s[0:3], 0 offset:116
	s_waitcnt vmcnt(0)
	ds_write_b64 v105, v[1:2]
.LBB111_273:
	s_or_b32 exec_lo, exec_lo, s4
	s_waitcnt lgkmcnt(0)
	s_waitcnt_vscnt null, 0x0
	s_barrier
	buffer_gl0_inv
	s_clause 0x23
	buffer_load_dword v107, off, s[0:3], 0 offset:124
	buffer_load_dword v109, off, s[0:3], 0 offset:132
	;; [unrolled: 1-line block ×36, first 2 shown]
	v_mov_b32_e32 v106, 0
	ds_read2_b64 v[5:8], v106 offset0:63 offset1:64
	ds_read2_b64 v[1:4], v106 offset0:65 offset1:66
	buffer_load_dword v151, off, s[0:3], 0 offset:116
	ds_read2_b64 v[143:146], v106 offset0:67 offset1:68
	ds_read2_b64 v[147:150], v106 offset0:69 offset1:70
	s_mov_b32 s4, exec_lo
	s_waitcnt vmcnt(36) lgkmcnt(3)
	v_mul_f32_e32 v152, v5, v107
	s_waitcnt vmcnt(35)
	v_mul_f32_e32 v153, v7, v109
	v_mul_f32_e32 v107, v6, v107
	;; [unrolled: 1-line block ×3, first 2 shown]
	s_waitcnt vmcnt(34) lgkmcnt(2)
	v_mul_f32_e32 v154, v1, v110
	v_mul_f32_e32 v110, v2, v110
	s_waitcnt vmcnt(30)
	v_mul_f32_e32 v155, v3, v111
	v_mul_f32_e32 v111, v4, v111
	v_fmac_f32_e32 v152, v6, v113
	v_fmac_f32_e32 v153, v8, v112
	v_fma_f32 v113, v5, v113, -v107
	v_fma_f32 v112, v7, v112, -v109
	ds_read2_b64 v[5:8], v106 offset0:71 offset1:72
	v_fmac_f32_e32 v154, v2, v108
	v_fma_f32 v156, v1, v108, -v110
	ds_read2_b64 v[107:110], v106 offset0:73 offset1:74
	s_waitcnt vmcnt(26)
	v_fmac_f32_e32 v155, v4, v122
	v_fma_f32 v111, v3, v122, -v111
	s_waitcnt vmcnt(25) lgkmcnt(3)
	v_mul_f32_e32 v122, v143, v120
	s_waitcnt vmcnt(24)
	v_mul_f32_e32 v157, v145, v121
	v_mul_f32_e32 v1, v144, v120
	;; [unrolled: 1-line block ×3, first 2 shown]
	s_clause 0x1
	buffer_load_dword v120, off, s[0:3], 0 offset:260
	buffer_load_dword v121, off, s[0:3], 0 offset:268
	v_fmac_f32_e32 v122, v144, v117
	v_fmac_f32_e32 v157, v146, v115
	v_fma_f32 v117, v143, v117, -v1
	v_fma_f32 v115, v145, v115, -v2
	ds_read2_b64 v[1:4], v106 offset0:75 offset1:76
	s_waitcnt vmcnt(25) lgkmcnt(3)
	v_mul_f32_e32 v143, v147, v118
	v_mul_f32_e32 v118, v148, v118
	s_waitcnt vmcnt(24)
	v_mul_f32_e32 v144, v149, v116
	v_mul_f32_e32 v116, v150, v116
	s_waitcnt vmcnt(23) lgkmcnt(2)
	v_mul_f32_e32 v145, v5, v119
	v_fmac_f32_e32 v143, v148, v114
	v_fma_f32 v114, v147, v114, -v118
	s_waitcnt vmcnt(22)
	v_mul_f32_e32 v118, v7, v123
	v_mul_f32_e32 v119, v6, v119
	;; [unrolled: 1-line block ×3, first 2 shown]
	s_waitcnt vmcnt(18)
	v_fma_f32 v116, v149, v130, -v116
	v_fmac_f32_e32 v145, v6, v128
	v_fmac_f32_e32 v118, v8, v127
	v_fma_f32 v119, v5, v128, -v119
	v_fma_f32 v123, v7, v127, -v123
	s_clause 0x5
	buffer_load_dword v127, off, s[0:3], 0 offset:276
	buffer_load_dword v128, off, s[0:3], 0 offset:284
	;; [unrolled: 1-line block ×6, first 2 shown]
	v_fmac_f32_e32 v144, v150, v130
	s_waitcnt vmcnt(23) lgkmcnt(1)
	v_mul_f32_e32 v130, v107, v129
	v_mul_f32_e32 v129, v108, v129
	s_waitcnt vmcnt(22)
	v_mul_f32_e32 v150, v109, v125
	v_mul_f32_e32 v125, v110, v125
	ds_read2_b64 v[5:8], v106 offset0:77 offset1:78
	v_fmac_f32_e32 v130, v108, v124
	v_fma_f32 v107, v107, v124, -v129
	s_waitcnt vmcnt(18)
	v_fmac_f32_e32 v150, v110, v141
	v_fma_f32 v108, v109, v141, -v125
	s_waitcnt vmcnt(17) lgkmcnt(1)
	v_mul_f32_e32 v109, v1, v139
	v_mul_f32_e32 v110, v2, v139
	s_clause 0x1
	buffer_load_dword v129, off, s[0:3], 0 offset:292
	buffer_load_dword v139, off, s[0:3], 0 offset:300
	v_add_f32_e32 v113, 0, v113
	s_waitcnt vmcnt(18)
	v_mul_f32_e32 v124, v3, v140
	v_mul_f32_e32 v125, v4, v140
	v_fma_f32 v110, v1, v136, -v110
	v_add_f32_e32 v1, 0, v152
	v_add_f32_e32 v112, v113, v112
	v_fmac_f32_e32 v109, v2, v136
	v_fmac_f32_e32 v124, v4, v135
	v_fma_f32 v125, v3, v135, -v125
	v_add_f32_e32 v152, v1, v153
	s_clause 0x3
	buffer_load_dword v135, off, s[0:3], 0 offset:308
	buffer_load_dword v136, off, s[0:3], 0 offset:316
	;; [unrolled: 1-line block ×4, first 2 shown]
	ds_read2_b64 v[1:4], v106 offset0:79 offset1:80
	s_waitcnt vmcnt(21) lgkmcnt(1)
	v_mul_f32_e32 v153, v5, v134
	v_mul_f32_e32 v113, v6, v134
	v_add_f32_e32 v134, v152, v154
	s_waitcnt vmcnt(20)
	v_mul_f32_e32 v152, v7, v133
	v_mul_f32_e32 v133, v8, v133
	v_fmac_f32_e32 v153, v6, v131
	v_fma_f32 v131, v5, v131, -v113
	v_add_f32_e32 v5, v134, v155
	v_add_f32_e32 v112, v112, v156
	s_clause 0x3
	buffer_load_dword v134, off, s[0:3], 0 offset:340
	buffer_load_dword v154, off, s[0:3], 0 offset:348
	;; [unrolled: 1-line block ×4, first 2 shown]
	s_waitcnt vmcnt(20)
	v_fmac_f32_e32 v152, v8, v142
	v_fma_f32 v133, v7, v142, -v133
	v_add_f32_e32 v5, v5, v122
	s_clause 0x5
	buffer_load_dword v142, off, s[0:3], 0 offset:372
	buffer_load_dword v122, off, s[0:3], 0 offset:328
	;; [unrolled: 1-line block ×6, first 2 shown]
	v_add_f32_e32 v6, v112, v111
	v_add_f32_e32 v5, v5, v157
	s_waitcnt vmcnt(25) lgkmcnt(0)
	v_mul_f32_e32 v113, v2, v138
	v_add_f32_e32 v6, v6, v117
	v_add_f32_e32 v112, v5, v143
	v_mul_f32_e32 v143, v1, v138
	v_add_f32_e32 v111, v6, v115
	ds_read2_b64 v[5:8], v106 offset0:81 offset1:82
	v_add_f32_e32 v112, v112, v144
	v_fmac_f32_e32 v143, v2, v137
	v_fma_f32 v115, v1, v137, -v113
	v_add_f32_e32 v111, v111, v114
	v_add_f32_e32 v2, v112, v145
	s_clause 0x5
	buffer_load_dword v137, off, s[0:3], 0 offset:360
	buffer_load_dword v138, off, s[0:3], 0 offset:352
	;; [unrolled: 1-line block ×6, first 2 shown]
	v_add_f32_e32 v1, v111, v116
	v_add_f32_e32 v2, v2, v118
	;; [unrolled: 1-line block ×5, first 2 shown]
	buffer_load_dword v123, off, s[0:3], 0 offset:112
	v_add_f32_e32 v111, v111, v150
	v_add_f32_e32 v107, v1, v107
	;; [unrolled: 1-line block ×6, first 2 shown]
	ds_read2_b64 v[107:110], v106 offset0:85 offset1:86
	v_add_f32_e32 v117, v117, v153
	v_add_f32_e32 v116, v113, v125
	;; [unrolled: 1-line block ×4, first 2 shown]
	s_waitcnt vmcnt(30)
	v_mul_f32_e32 v130, v3, v120
	v_mul_f32_e32 v2, v4, v120
	s_waitcnt vmcnt(29) lgkmcnt(1)
	v_mul_f32_e32 v112, v6, v121
	v_fmac_f32_e32 v130, v4, v132
	v_fma_f32 v119, v3, v132, -v2
	ds_read2_b64 v[1:4], v106 offset0:83 offset1:84
	v_mul_f32_e32 v132, v5, v121
	v_fmac_f32_e32 v132, v6, v126
	v_fma_f32 v126, v5, v126, -v112
	s_waitcnt vmcnt(28)
	v_mul_f32_e32 v121, v7, v127
	v_mul_f32_e32 v114, v8, v127
	s_waitcnt vmcnt(23)
	v_fmac_f32_e32 v121, v8, v149
	v_fma_f32 v125, v7, v149, -v114
	ds_read2_b64 v[5:8], v106 offset0:87 offset1:88
	ds_read2_b64 v[111:114], v106 offset0:89 offset1:90
	s_waitcnt lgkmcnt(2)
	v_mul_f32_e32 v118, v2, v128
	v_mul_f32_e32 v124, v1, v128
	v_fma_f32 v128, v1, v148, -v118
	v_add_f32_e32 v1, v117, v152
	s_waitcnt vmcnt(22)
	v_mul_f32_e32 v127, v3, v129
	v_mul_f32_e32 v120, v4, v129
	v_add_f32_e32 v129, v116, v115
	v_fmac_f32_e32 v124, v2, v148
	v_add_f32_e32 v133, v1, v143
	v_fmac_f32_e32 v127, v4, v147
	v_fma_f32 v131, v3, v147, -v120
	v_add_f32_e32 v129, v129, v119
	s_waitcnt vmcnt(21)
	v_mul_f32_e32 v143, v107, v139
	v_add_f32_e32 v130, v133, v130
	s_waitcnt vmcnt(20)
	v_mul_f32_e32 v133, v109, v135
	v_mul_f32_e32 v135, v110, v135
	v_add_f32_e32 v126, v129, v126
	v_mul_f32_e32 v129, v108, v139
	v_add_f32_e32 v130, v130, v132
	v_fmac_f32_e32 v143, v108, v146
	ds_read2_b64 v[115:118], v106 offset0:91 offset1:92
	ds_read2_b64 v[1:4], v106 offset0:93 offset1:94
	v_add_f32_e32 v125, v126, v125
	v_add_f32_e32 v121, v130, v121
	v_fma_f32 v107, v107, v146, -v129
	s_waitcnt vmcnt(19) lgkmcnt(3)
	v_mul_f32_e32 v132, v5, v136
	s_waitcnt vmcnt(18)
	v_mul_f32_e32 v126, v7, v140
	v_add_f32_e32 v125, v125, v128
	v_add_f32_e32 v121, v121, v124
	s_waitcnt vmcnt(17) lgkmcnt(2)
	v_mul_f32_e32 v139, v111, v141
	s_waitcnt vmcnt(9)
	v_fmac_f32_e32 v132, v6, v159
	s_waitcnt vmcnt(8)
	v_fma_f32 v109, v109, v160, -v135
	v_add_f32_e32 v125, v125, v131
	v_add_f32_e32 v121, v121, v127
	v_mul_f32_e32 v131, v6, v136
	v_fmac_f32_e32 v133, v110, v160
	v_fmac_f32_e32 v126, v8, v158
	v_add_f32_e32 v107, v125, v107
	v_add_f32_e32 v110, v121, v143
	v_mul_f32_e32 v121, v8, v140
	v_fma_f32 v5, v5, v159, -v131
	v_mul_f32_e32 v8, v114, v134
	v_add_f32_e32 v6, v107, v109
	v_add_f32_e32 v107, v110, v133
	v_mul_f32_e32 v109, v112, v141
	v_fma_f32 v7, v7, v158, -v121
	v_mul_f32_e32 v130, v113, v134
	v_add_f32_e32 v5, v6, v5
	v_add_f32_e32 v6, v107, v132
	v_fma_f32 v107, v111, v122, -v109
	v_fmac_f32_e32 v139, v112, v122
	ds_read_b64 v[119:120], v106 offset:760
	v_add_f32_e32 v5, v5, v7
	v_add_f32_e32 v6, v6, v126
	s_waitcnt lgkmcnt(2)
	v_mul_f32_e32 v7, v116, v154
	s_waitcnt vmcnt(3)
	v_fma_f32 v8, v113, v145, -v8
	v_mul_f32_e32 v128, v115, v154
	v_add_f32_e32 v5, v5, v107
	v_fmac_f32_e32 v130, v114, v145
	v_add_f32_e32 v6, v6, v139
	v_mul_f32_e32 v107, v118, v155
	v_fma_f32 v7, v115, v144, -v7
	v_add_f32_e32 v5, v5, v8
	v_mul_f32_e32 v108, v117, v155
	v_fmac_f32_e32 v128, v116, v144
	v_add_f32_e32 v6, v6, v130
	s_waitcnt lgkmcnt(1)
	v_mul_f32_e32 v124, v1, v156
	v_mul_f32_e32 v8, v2, v156
	v_fma_f32 v107, v117, v138, -v107
	v_add_f32_e32 v5, v5, v7
	v_fmac_f32_e32 v108, v118, v138
	v_add_f32_e32 v6, v6, v128
	v_mul_f32_e32 v7, v4, v142
	v_fmac_f32_e32 v124, v2, v137
	v_fma_f32 v1, v1, v137, -v8
	v_add_f32_e32 v2, v5, v107
	v_mul_f32_e32 v129, v3, v142
	v_add_f32_e32 v5, v6, v108
	s_waitcnt lgkmcnt(0)
	v_mul_f32_e32 v6, v120, v161
	s_waitcnt vmcnt(1)
	v_fma_f32 v3, v3, v162, -v7
	v_add_f32_e32 v1, v2, v1
	v_mul_f32_e32 v127, v119, v161
	v_fmac_f32_e32 v129, v4, v162
	v_add_f32_e32 v2, v5, v124
	v_fma_f32 v4, v119, v157, -v6
	v_add_f32_e32 v1, v1, v3
	v_fmac_f32_e32 v127, v120, v157
	v_add_f32_e32 v2, v2, v129
	v_add_f32_e32 v1, v1, v4
	;; [unrolled: 1-line block ×3, first 2 shown]
	s_waitcnt vmcnt(0)
	v_sub_f32_e32 v1, v123, v1
	v_sub_f32_e32 v2, v151, v2
	buffer_store_dword v1, off, s[0:3], 0 offset:112
	buffer_store_dword v2, off, s[0:3], 0 offset:116
	v_cmpx_lt_u32_e32 13, v0
	s_cbranch_execz .LBB111_275
; %bb.274:
	s_clause 0x1
	buffer_load_dword v1, off, s[0:3], 0 offset:104
	buffer_load_dword v2, off, s[0:3], 0 offset:108
	buffer_store_dword v106, off, s[0:3], 0 offset:104
	buffer_store_dword v106, off, s[0:3], 0 offset:108
	s_waitcnt vmcnt(0)
	ds_write_b64 v105, v[1:2]
.LBB111_275:
	s_or_b32 exec_lo, exec_lo, s4
	s_waitcnt lgkmcnt(0)
	s_waitcnt_vscnt null, 0x0
	s_barrier
	buffer_gl0_inv
	s_clause 0x23
	buffer_load_dword v141, off, s[0:3], 0 offset:116
	buffer_load_dword v142, off, s[0:3], 0 offset:124
	;; [unrolled: 1-line block ×36, first 2 shown]
	ds_read_b128 v[5:8], v106 offset:496
	ds_read_b128 v[1:4], v106 offset:512
	;; [unrolled: 1-line block ×3, first 2 shown]
	s_clause 0x1
	buffer_load_dword v151, off, s[0:3], 0 offset:252
	buffer_load_dword v152, off, s[0:3], 0 offset:260
	ds_read_b128 v[147:150], v106 offset:544
	buffer_load_dword v155, off, s[0:3], 0 offset:108
	s_mov_b32 s4, exec_lo
	s_waitcnt vmcnt(38) lgkmcnt(3)
	v_mul_f32_e32 v153, v5, v141
	s_waitcnt vmcnt(37)
	v_mul_f32_e32 v154, v7, v142
	v_mul_f32_e32 v141, v6, v141
	;; [unrolled: 1-line block ×3, first 2 shown]
	s_waitcnt vmcnt(34)
	v_fmac_f32_e32 v153, v6, v113
	v_fmac_f32_e32 v154, v8, v112
	v_fma_f32 v113, v5, v113, -v141
	v_fma_f32 v112, v7, v112, -v142
	ds_read_b128 v[5:8], v106 offset:560
	s_waitcnt vmcnt(33) lgkmcnt(3)
	v_mul_f32_e32 v141, v1, v110
	v_mul_f32_e32 v110, v2, v110
	s_waitcnt vmcnt(32)
	v_mul_f32_e32 v142, v3, v109
	v_mul_f32_e32 v109, v4, v109
	s_waitcnt vmcnt(31) lgkmcnt(2)
	v_mul_f32_e32 v156, v143, v108
	v_fmac_f32_e32 v141, v2, v107
	v_fma_f32 v157, v1, v107, -v110
	s_waitcnt vmcnt(30)
	v_mul_f32_e32 v158, v145, v111
	v_mul_f32_e32 v107, v144, v108
	;; [unrolled: 1-line block ×3, first 2 shown]
	s_waitcnt vmcnt(26)
	v_fmac_f32_e32 v142, v4, v119
	v_fma_f32 v111, v3, v119, -v109
	ds_read_b128 v[1:4], v106 offset:576
	v_fmac_f32_e32 v156, v144, v118
	v_fma_f32 v118, v143, v118, -v107
	s_waitcnt vmcnt(25) lgkmcnt(2)
	v_mul_f32_e32 v119, v147, v115
	s_waitcnt vmcnt(24)
	v_mul_f32_e32 v143, v149, v116
	v_mul_f32_e32 v115, v148, v115
	;; [unrolled: 1-line block ×3, first 2 shown]
	v_fmac_f32_e32 v158, v146, v117
	v_fma_f32 v117, v145, v117, -v108
	ds_read_b128 v[107:110], v106 offset:592
	v_fmac_f32_e32 v119, v148, v114
	s_waitcnt vmcnt(19)
	v_fmac_f32_e32 v143, v150, v130
	v_fma_f32 v114, v147, v114, -v115
	v_fma_f32 v115, v149, v130, -v116
	s_clause 0x4
	buffer_load_dword v116, off, s[0:3], 0 offset:268
	buffer_load_dword v130, off, s[0:3], 0 offset:288
	;; [unrolled: 1-line block ×5, first 2 shown]
	s_waitcnt lgkmcnt(2)
	v_mul_f32_e32 v144, v5, v120
	v_mul_f32_e32 v120, v6, v120
	s_waitcnt vmcnt(23)
	v_mul_f32_e32 v148, v7, v126
	v_mul_f32_e32 v126, v8, v126
	v_fmac_f32_e32 v144, v6, v125
	v_fma_f32 v5, v5, v125, -v120
	s_waitcnt vmcnt(22) lgkmcnt(1)
	v_mul_f32_e32 v120, v1, v123
	v_fmac_f32_e32 v148, v8, v122
	v_fma_f32 v122, v7, v122, -v126
	s_waitcnt vmcnt(21)
	v_mul_f32_e32 v125, v3, v124
	v_mul_f32_e32 v6, v2, v123
	;; [unrolled: 1-line block ×3, first 2 shown]
	s_clause 0x2
	buffer_load_dword v123, off, s[0:3], 0 offset:276
	buffer_load_dword v124, off, s[0:3], 0 offset:284
	;; [unrolled: 1-line block ×3, first 2 shown]
	v_fmac_f32_e32 v120, v2, v121
	s_waitcnt vmcnt(20)
	v_fmac_f32_e32 v125, v4, v139
	v_fma_f32 v121, v1, v121, -v6
	v_fma_f32 v139, v3, v139, -v7
	ds_read_b128 v[1:4], v106 offset:608
	v_add_f32_e32 v6, 0, v153
	v_add_f32_e32 v7, 0, v113
	s_waitcnt vmcnt(19) lgkmcnt(1)
	v_mul_f32_e32 v149, v107, v136
	s_waitcnt vmcnt(18)
	v_mul_f32_e32 v150, v109, v137
	v_mul_f32_e32 v8, v108, v136
	v_add_f32_e32 v6, v6, v154
	v_mul_f32_e32 v113, v110, v137
	v_add_f32_e32 v7, v7, v112
	v_fmac_f32_e32 v149, v108, v134
	v_fmac_f32_e32 v150, v110, v133
	v_add_f32_e32 v6, v6, v141
	v_fma_f32 v107, v107, v134, -v8
	v_fma_f32 v112, v109, v133, -v113
	v_add_f32_e32 v7, v7, v157
	s_clause 0x7
	buffer_load_dword v133, off, s[0:3], 0 offset:300
	buffer_load_dword v134, off, s[0:3], 0 offset:308
	;; [unrolled: 1-line block ×8, first 2 shown]
	v_add_f32_e32 v6, v6, v142
	v_add_f32_e32 v7, v7, v111
	s_waitcnt vmcnt(25) lgkmcnt(0)
	v_mul_f32_e32 v8, v2, v131
	v_mul_f32_e32 v113, v1, v131
	s_clause 0x3
	buffer_load_dword v131, off, s[0:3], 0 offset:332
	buffer_load_dword v142, off, s[0:3], 0 offset:340
	;; [unrolled: 1-line block ×4, first 2 shown]
	v_fma_f32 v111, v1, v128, -v8
	v_add_f32_e32 v1, v6, v156
	v_fmac_f32_e32 v113, v2, v128
	v_add_f32_e32 v6, v7, v118
	s_waitcnt vmcnt(28)
	v_mul_f32_e32 v118, v3, v129
	v_mul_f32_e32 v2, v4, v129
	v_add_f32_e32 v7, v1, v158
	s_clause 0x2
	buffer_load_dword v128, off, s[0:3], 0 offset:364
	buffer_load_dword v156, off, s[0:3], 0 offset:372
	;; [unrolled: 1-line block ×3, first 2 shown]
	s_waitcnt vmcnt(27)
	v_fmac_f32_e32 v118, v4, v140
	v_fma_f32 v140, v3, v140, -v2
	ds_read_b128 v[1:4], v106 offset:624
	v_add_f32_e32 v7, v7, v119
	v_add_f32_e32 v6, v6, v117
	;; [unrolled: 1-line block ×3, first 2 shown]
	s_clause 0x3
	buffer_load_dword v143, off, s[0:3], 0 offset:352
	buffer_load_dword v158, off, s[0:3], 0 offset:344
	buffer_load_dword v161, off, s[0:3], 0 offset:336
	buffer_load_dword v162, off, s[0:3], 0 offset:328
	v_add_f32_e32 v6, v6, v114
	v_add_f32_e32 v108, v7, v144
	;; [unrolled: 1-line block ×5, first 2 shown]
	ds_read_b128 v[5:8], v106 offset:640
	s_waitcnt vmcnt(30) lgkmcnt(1)
	v_mul_f32_e32 v115, v1, v138
	v_mul_f32_e32 v110, v2, v138
	s_waitcnt vmcnt(29)
	v_mul_f32_e32 v119, v3, v151
	v_fmac_f32_e32 v115, v2, v135
	v_fma_f32 v117, v1, v135, -v110
	s_clause 0x3
	buffer_load_dword v135, off, s[0:3], 0 offset:376
	buffer_load_dword v138, off, s[0:3], 0 offset:368
	;; [unrolled: 1-line block ×4, first 2 shown]
	v_add_f32_e32 v1, v109, v122
	v_add_f32_e32 v2, v108, v120
	v_mul_f32_e32 v108, v4, v151
	v_fmac_f32_e32 v119, v4, v132
	v_add_f32_e32 v1, v1, v121
	v_add_f32_e32 v2, v2, v125
	v_fma_f32 v120, v3, v132, -v108
	v_add_f32_e32 v109, v1, v139
	v_add_f32_e32 v114, v2, v149
	ds_read_b128 v[1:4], v106 offset:656
	s_waitcnt vmcnt(32) lgkmcnt(1)
	v_mul_f32_e32 v122, v5, v152
	v_mul_f32_e32 v125, v6, v152
	v_add_f32_e32 v121, v109, v107
	ds_read_b128 v[107:110], v106 offset:672
	v_add_f32_e32 v114, v114, v150
	v_fmac_f32_e32 v122, v6, v127
	v_fma_f32 v125, v5, v127, -v125
	v_add_f32_e32 v112, v121, v112
	v_add_f32_e32 v121, v114, v113
	;; [unrolled: 1-line block ×5, first 2 shown]
	s_waitcnt vmcnt(30)
	v_mul_f32_e32 v132, v7, v116
	v_mul_f32_e32 v116, v8, v116
	s_waitcnt vmcnt(26)
	v_fmac_f32_e32 v132, v8, v147
	v_fma_f32 v127, v7, v147, -v116
	v_add_f32_e32 v116, v112, v111
	ds_read_b128 v[5:8], v106 offset:688
	ds_read_b128 v[111:114], v106 offset:704
	v_add_f32_e32 v116, v116, v140
	s_waitcnt vmcnt(25) lgkmcnt(3)
	v_mul_f32_e32 v139, v1, v123
	v_mul_f32_e32 v121, v2, v123
	s_waitcnt vmcnt(24)
	v_mul_f32_e32 v140, v3, v124
	v_mul_f32_e32 v123, v4, v124
	s_waitcnt vmcnt(23) lgkmcnt(2)
	v_mul_f32_e32 v124, v107, v126
	v_fmac_f32_e32 v139, v2, v146
	v_fma_f32 v146, v1, v146, -v121
	v_add_f32_e32 v121, v116, v117
	v_fmac_f32_e32 v140, v4, v145
	v_fma_f32 v123, v3, v145, -v123
	v_mul_f32_e32 v126, v108, v126
	ds_read_b128 v[1:4], v106 offset:720
	ds_read_b128 v[115:118], v106 offset:736
	v_add_f32_e32 v145, v121, v120
	v_fmac_f32_e32 v124, v108, v130
	v_add_f32_e32 v108, v119, v122
	ds_read_b128 v[119:122], v106 offset:752
	v_fma_f32 v107, v107, v130, -v126
	v_add_f32_e32 v106, v145, v125
	s_waitcnt vmcnt(22)
	v_mul_f32_e32 v126, v110, v133
	v_add_f32_e32 v108, v108, v132
	v_mul_f32_e32 v125, v109, v133
	s_waitcnt vmcnt(21) lgkmcnt(4)
	v_mul_f32_e32 v130, v5, v134
	v_add_f32_e32 v106, v106, v127
	v_mul_f32_e32 v132, v6, v134
	v_add_f32_e32 v108, v108, v139
	s_waitcnt vmcnt(15)
	v_fma_f32 v109, v109, v157, -v126
	v_fmac_f32_e32 v125, v110, v157
	v_add_f32_e32 v106, v106, v146
	v_fmac_f32_e32 v130, v6, v154
	v_add_f32_e32 v108, v108, v140
	v_fma_f32 v5, v5, v154, -v132
	v_mul_f32_e32 v127, v7, v136
	v_add_f32_e32 v106, v106, v123
	v_mul_f32_e32 v123, v8, v136
	s_waitcnt lgkmcnt(3)
	v_mul_f32_e32 v110, v111, v137
	s_waitcnt vmcnt(14)
	v_mul_f32_e32 v126, v113, v131
	v_fmac_f32_e32 v127, v8, v153
	v_add_f32_e32 v106, v106, v107
	v_add_f32_e32 v107, v108, v124
	v_fma_f32 v7, v7, v153, -v123
	v_mul_f32_e32 v8, v114, v131
	v_fmac_f32_e32 v110, v112, v141
	v_add_f32_e32 v6, v106, v109
	v_add_f32_e32 v106, v107, v125
	v_mul_f32_e32 v107, v112, v137
	s_waitcnt vmcnt(13) lgkmcnt(2)
	v_mul_f32_e32 v133, v1, v142
	s_waitcnt vmcnt(12)
	v_mul_f32_e32 v134, v3, v159
	v_add_f32_e32 v5, v6, v5
	v_add_f32_e32 v6, v106, v130
	v_fma_f32 v106, v111, v141, -v107
	s_waitcnt vmcnt(4)
	v_fma_f32 v8, v113, v162, -v8
	v_fmac_f32_e32 v126, v114, v162
	v_add_f32_e32 v5, v5, v7
	v_add_f32_e32 v6, v6, v127
	v_mul_f32_e32 v7, v2, v142
	v_fmac_f32_e32 v133, v2, v161
	s_waitcnt lgkmcnt(1)
	v_mul_f32_e32 v139, v115, v160
	v_add_f32_e32 v5, v5, v106
	v_add_f32_e32 v6, v6, v110
	v_mul_f32_e32 v106, v4, v159
	v_fma_f32 v1, v1, v161, -v7
	v_fmac_f32_e32 v134, v4, v158
	v_add_f32_e32 v2, v5, v8
	v_add_f32_e32 v5, v6, v126
	v_mul_f32_e32 v6, v116, v160
	v_fma_f32 v3, v3, v158, -v106
	v_mul_f32_e32 v4, v118, v128
	v_add_f32_e32 v1, v2, v1
	v_add_f32_e32 v2, v5, v133
	v_fma_f32 v5, v115, v143, -v6
	v_mul_f32_e32 v136, v117, v128
	v_fmac_f32_e32 v139, v116, v143
	v_add_f32_e32 v1, v1, v3
	v_add_f32_e32 v2, v2, v134
	s_waitcnt lgkmcnt(0)
	v_mul_f32_e32 v3, v120, v156
	s_waitcnt vmcnt(1)
	v_fma_f32 v4, v117, v144, -v4
	v_mul_f32_e32 v140, v119, v156
	v_add_f32_e32 v1, v1, v5
	v_fmac_f32_e32 v136, v118, v144
	v_add_f32_e32 v2, v2, v139
	v_mul_f32_e32 v5, v122, v129
	v_fma_f32 v3, v119, v138, -v3
	v_add_f32_e32 v1, v1, v4
	v_mul_f32_e32 v108, v121, v129
	v_fmac_f32_e32 v140, v120, v138
	v_add_f32_e32 v2, v2, v136
	v_fma_f32 v4, v121, v135, -v5
	v_add_f32_e32 v1, v1, v3
	v_fmac_f32_e32 v108, v122, v135
	v_add_f32_e32 v2, v2, v140
	v_add_f32_e32 v1, v1, v4
	;; [unrolled: 1-line block ×3, first 2 shown]
	s_waitcnt vmcnt(0)
	v_sub_f32_e32 v1, v148, v1
	v_sub_f32_e32 v2, v155, v2
	buffer_store_dword v1, off, s[0:3], 0 offset:104
	buffer_store_dword v2, off, s[0:3], 0 offset:108
	v_cmpx_lt_u32_e32 12, v0
	s_cbranch_execz .LBB111_277
; %bb.276:
	s_clause 0x1
	buffer_load_dword v1, off, s[0:3], 0 offset:96
	buffer_load_dword v2, off, s[0:3], 0 offset:100
	v_mov_b32_e32 v3, 0
	buffer_store_dword v3, off, s[0:3], 0 offset:96
	buffer_store_dword v3, off, s[0:3], 0 offset:100
	s_waitcnt vmcnt(0)
	ds_write_b64 v105, v[1:2]
.LBB111_277:
	s_or_b32 exec_lo, exec_lo, s4
	s_waitcnt lgkmcnt(0)
	s_waitcnt_vscnt null, 0x0
	s_barrier
	buffer_gl0_inv
	s_clause 0x2a
	buffer_load_dword v7, off, s[0:3], 0 offset:108
	buffer_load_dword v8, off, s[0:3], 0 offset:116
	buffer_load_dword v2, off, s[0:3], 0 offset:120
	buffer_load_dword v5, off, s[0:3], 0 offset:112
	buffer_load_dword v6, off, s[0:3], 0 offset:104
	buffer_load_dword v3, off, s[0:3], 0 offset:124
	buffer_load_dword v4, off, s[0:3], 0 offset:132
	buffer_load_dword v106, off, s[0:3], 0 offset:152
	buffer_load_dword v107, off, s[0:3], 0 offset:144
	buffer_load_dword v109, off, s[0:3], 0 offset:136
	buffer_load_dword v114, off, s[0:3], 0 offset:128
	buffer_load_dword v113, off, s[0:3], 0 offset:140
	buffer_load_dword v112, off, s[0:3], 0 offset:148
	buffer_load_dword v110, off, s[0:3], 0 offset:156
	buffer_load_dword v108, off, s[0:3], 0 offset:164
	buffer_load_dword v111, off, s[0:3], 0 offset:172
	buffer_load_dword v115, off, s[0:3], 0 offset:184
	buffer_load_dword v116, off, s[0:3], 0 offset:176
	buffer_load_dword v119, off, s[0:3], 0 offset:168
	buffer_load_dword v121, off, s[0:3], 0 offset:160
	buffer_load_dword v120, off, s[0:3], 0 offset:180
	buffer_load_dword v118, off, s[0:3], 0 offset:188
	buffer_load_dword v117, off, s[0:3], 0 offset:196
	buffer_load_dword v122, off, s[0:3], 0 offset:216
	buffer_load_dword v123, off, s[0:3], 0 offset:208
	buffer_load_dword v124, off, s[0:3], 0 offset:200
	buffer_load_dword v129, off, s[0:3], 0 offset:192
	buffer_load_dword v127, off, s[0:3], 0 offset:204
	buffer_load_dword v128, off, s[0:3], 0 offset:212
	buffer_load_dword v126, off, s[0:3], 0 offset:220
	buffer_load_dword v125, off, s[0:3], 0 offset:228
	buffer_load_dword v130, off, s[0:3], 0 offset:248
	buffer_load_dword v131, off, s[0:3], 0 offset:240
	buffer_load_dword v133, off, s[0:3], 0 offset:232
	buffer_load_dword v137, off, s[0:3], 0 offset:224
	buffer_load_dword v136, off, s[0:3], 0 offset:236
	buffer_load_dword v135, off, s[0:3], 0 offset:244
	buffer_load_dword v134, off, s[0:3], 0 offset:252
	buffer_load_dword v132, off, s[0:3], 0 offset:260
	buffer_load_dword v150, off, s[0:3], 0 offset:280
	buffer_load_dword v151, off, s[0:3], 0 offset:272
	buffer_load_dword v152, off, s[0:3], 0 offset:264
	buffer_load_dword v153, off, s[0:3], 0 offset:256
	v_mov_b32_e32 v1, 0
	ds_read2_b64 v[138:141], v1 offset0:61 offset1:62
	ds_read2_b64 v[142:145], v1 offset0:63 offset1:64
	;; [unrolled: 1-line block ×3, first 2 shown]
	buffer_load_dword v156, off, s[0:3], 0 offset:100
	s_mov_b32 s4, exec_lo
	s_waitcnt vmcnt(43) lgkmcnt(2)
	v_mul_f32_e32 v154, v138, v7
	s_waitcnt vmcnt(42)
	v_mul_f32_e32 v155, v140, v8
	v_mul_f32_e32 v7, v139, v7
	;; [unrolled: 1-line block ×3, first 2 shown]
	s_waitcnt vmcnt(39)
	v_fmac_f32_e32 v154, v139, v6
	v_fmac_f32_e32 v155, v141, v5
	v_fma_f32 v157, v138, v6, -v7
	v_fma_f32 v158, v140, v5, -v8
	ds_read2_b64 v[5:8], v1 offset0:67 offset1:68
	ds_read2_b64 v[138:141], v1 offset0:69 offset1:70
	s_waitcnt vmcnt(38) lgkmcnt(3)
	v_mul_f32_e32 v159, v142, v3
	v_mul_f32_e32 v3, v143, v3
	s_waitcnt vmcnt(37)
	v_mul_f32_e32 v160, v144, v4
	v_mul_f32_e32 v4, v145, v4
	s_waitcnt vmcnt(32) lgkmcnt(2)
	v_mul_f32_e32 v162, v146, v113
	v_fmac_f32_e32 v159, v143, v2
	v_fma_f32 v161, v142, v2, -v3
	v_mul_f32_e32 v2, v147, v113
	s_waitcnt vmcnt(31)
	v_mul_f32_e32 v163, v148, v112
	v_mul_f32_e32 v3, v149, v112
	v_fmac_f32_e32 v160, v145, v114
	v_fma_f32 v114, v144, v114, -v4
	v_fmac_f32_e32 v162, v147, v109
	v_fma_f32 v146, v146, v109, -v2
	;; [unrolled: 2-line block ×3, first 2 shown]
	ds_read2_b64 v[142:145], v1 offset0:71 offset1:72
	s_waitcnt vmcnt(30) lgkmcnt(2)
	v_mul_f32_e32 v147, v5, v110
	v_mul_f32_e32 v2, v6, v110
	s_waitcnt vmcnt(29)
	v_mul_f32_e32 v149, v7, v108
	v_mul_f32_e32 v3, v8, v108
	s_waitcnt vmcnt(28) lgkmcnt(1)
	v_mul_f32_e32 v164, v138, v111
	v_fmac_f32_e32 v147, v6, v106
	v_fma_f32 v6, v5, v106, -v2
	s_waitcnt vmcnt(24)
	v_fmac_f32_e32 v149, v8, v121
	v_fma_f32 v7, v7, v121, -v3
	s_waitcnt vmcnt(23)
	v_mul_f32_e32 v8, v140, v120
	v_mul_f32_e32 v106, v139, v111
	;; [unrolled: 1-line block ×3, first 2 shown]
	ds_read2_b64 v[2:5], v1 offset0:73 offset1:74
	v_fmac_f32_e32 v164, v139, v119
	v_fmac_f32_e32 v8, v141, v116
	v_fma_f32 v119, v138, v119, -v106
	v_fma_f32 v116, v140, v116, -v107
	ds_read2_b64 v[106:109], v1 offset0:75 offset1:76
	s_waitcnt vmcnt(22) lgkmcnt(2)
	v_mul_f32_e32 v120, v142, v118
	v_mul_f32_e32 v110, v143, v118
	s_waitcnt vmcnt(21)
	v_mul_f32_e32 v118, v144, v117
	v_mul_f32_e32 v111, v145, v117
	buffer_load_dword v117, off, s[0:3], 0 offset:268
	v_fmac_f32_e32 v120, v143, v115
	v_fma_f32 v115, v142, v115, -v110
	s_waitcnt vmcnt(18)
	v_fmac_f32_e32 v118, v145, v129
	v_fma_f32 v121, v144, v129, -v111
	s_waitcnt vmcnt(17) lgkmcnt(1)
	v_mul_f32_e32 v129, v2, v127
	s_waitcnt vmcnt(16)
	v_mul_f32_e32 v138, v4, v128
	v_mul_f32_e32 v110, v3, v127
	;; [unrolled: 1-line block ×3, first 2 shown]
	v_fmac_f32_e32 v129, v3, v124
	v_fmac_f32_e32 v138, v5, v123
	v_fma_f32 v124, v2, v124, -v110
	v_fma_f32 v123, v4, v123, -v111
	ds_read2_b64 v[2:5], v1 offset0:77 offset1:78
	s_waitcnt vmcnt(15) lgkmcnt(1)
	v_mul_f32_e32 v127, v106, v126
	v_mul_f32_e32 v112, v107, v126
	s_waitcnt vmcnt(14)
	v_mul_f32_e32 v126, v108, v125
	v_mul_f32_e32 v125, v109, v125
	v_fmac_f32_e32 v127, v107, v122
	v_fma_f32 v122, v106, v122, -v112
	ds_read2_b64 v[110:113], v1 offset0:79 offset1:80
	s_waitcnt vmcnt(10)
	v_fmac_f32_e32 v126, v109, v137
	v_fma_f32 v125, v108, v137, -v125
	s_clause 0x1
	buffer_load_dword v128, off, s[0:3], 0 offset:276
	buffer_load_dword v137, off, s[0:3], 0 offset:284
	s_waitcnt vmcnt(11) lgkmcnt(1)
	v_mul_f32_e32 v139, v2, v136
	v_mul_f32_e32 v106, v3, v136
	s_waitcnt vmcnt(10)
	v_mul_f32_e32 v140, v4, v135
	v_mul_f32_e32 v107, v5, v135
	buffer_load_dword v136, off, s[0:3], 0 offset:292
	v_fmac_f32_e32 v139, v3, v133
	v_fma_f32 v133, v2, v133, -v106
	v_fmac_f32_e32 v140, v5, v131
	s_waitcnt vmcnt(10) lgkmcnt(0)
	v_mul_f32_e32 v135, v110, v134
	v_mul_f32_e32 v2, v111, v134
	s_waitcnt vmcnt(9)
	v_mul_f32_e32 v3, v113, v132
	s_clause 0x3
	buffer_load_dword v134, off, s[0:3], 0 offset:312
	buffer_load_dword v141, off, s[0:3], 0 offset:304
	;; [unrolled: 1-line block ×4, first 2 shown]
	v_mul_f32_e32 v144, v112, v132
	v_fmac_f32_e32 v135, v111, v130
	v_fma_f32 v130, v110, v130, -v2
	v_add_f32_e32 v2, 0, v154
	s_clause 0x1
	buffer_load_dword v132, off, s[0:3], 0 offset:300
	buffer_load_dword v154, off, s[0:3], 0 offset:316
	s_waitcnt vmcnt(11)
	v_fma_f32 v145, v112, v153, -v3
	v_add_f32_e32 v3, 0, v157
	v_add_f32_e32 v2, v2, v155
	v_fmac_f32_e32 v144, v113, v153
	s_clause 0x4
	buffer_load_dword v153, off, s[0:3], 0 offset:308
	buffer_load_dword v155, off, s[0:3], 0 offset:324
	;; [unrolled: 1-line block ×5, first 2 shown]
	v_add_f32_e32 v3, v3, v158
	v_add_f32_e32 v2, v2, v159
	s_clause 0x1
	buffer_load_dword v158, off, s[0:3], 0 offset:356
	buffer_load_dword v159, off, s[0:3], 0 offset:364
	v_fma_f32 v131, v4, v131, -v107
	v_add_f32_e32 v3, v3, v161
	v_add_f32_e32 v2, v2, v160
	s_clause 0x1
	buffer_load_dword v160, off, s[0:3], 0 offset:372
	buffer_load_dword v161, off, s[0:3], 0 offset:380
	v_add_f32_e32 v3, v3, v114
	v_add_f32_e32 v2, v2, v162
	;; [unrolled: 1-line block ×4, first 2 shown]
	s_clause 0x3
	buffer_load_dword v146, off, s[0:3], 0 offset:344
	buffer_load_dword v162, off, s[0:3], 0 offset:336
	buffer_load_dword v163, off, s[0:3], 0 offset:328
	buffer_load_dword v167, off, s[0:3], 0 offset:320
	v_add_f32_e32 v3, v3, v148
	v_add_f32_e32 v2, v2, v147
	;; [unrolled: 1-line block ×4, first 2 shown]
	s_clause 0x4
	buffer_load_dword v147, off, s[0:3], 0 offset:376
	buffer_load_dword v148, off, s[0:3], 0 offset:368
	buffer_load_dword v149, off, s[0:3], 0 offset:360
	buffer_load_dword v168, off, s[0:3], 0 offset:352
	buffer_load_dword v169, off, s[0:3], 0 offset:96
	ds_read2_b64 v[106:109], v1 offset0:83 offset1:84
	v_add_f32_e32 v3, v3, v7
	v_add_f32_e32 v2, v2, v164
	;; [unrolled: 1-line block ×5, first 2 shown]
	ds_read2_b64 v[2:5], v1 offset0:81 offset1:82
	v_add_f32_e32 v6, v6, v120
	v_add_f32_e32 v7, v7, v115
	;; [unrolled: 1-line block ×14, first 2 shown]
	s_waitcnt vmcnt(27) lgkmcnt(0)
	v_mul_f32_e32 v8, v2, v117
	v_mul_f32_e32 v110, v3, v117
	v_fmac_f32_e32 v8, v3, v152
	v_add_f32_e32 v3, v7, v122
	v_fma_f32 v122, v2, v152, -v110
	v_add_f32_e32 v8, v129, v8
	v_add_f32_e32 v7, v3, v125
	;; [unrolled: 1-line block ×5, first 2 shown]
	s_waitcnt vmcnt(26)
	v_mul_f32_e32 v123, v4, v128
	v_mul_f32_e32 v111, v5, v128
	v_add_f32_e32 v130, v7, v145
	s_waitcnt vmcnt(25)
	v_mul_f32_e32 v118, v107, v137
	v_mul_f32_e32 v125, v106, v137
	v_fmac_f32_e32 v123, v5, v151
	v_fma_f32 v124, v4, v151, -v111
	ds_read2_b64 v[2:5], v1 offset0:85 offset1:86
	ds_read2_b64 v[110:113], v1 offset0:87 offset1:88
	v_add_f32_e32 v122, v130, v122
	v_fma_f32 v128, v106, v150, -v118
	v_fmac_f32_e32 v125, v107, v150
	v_add_f32_e32 v8, v8, v123
	ds_read2_b64 v[114:117], v1 offset0:89 offset1:90
	ds_read2_b64 v[118:121], v1 offset0:91 offset1:92
	s_waitcnt vmcnt(24)
	v_mul_f32_e32 v127, v109, v136
	v_add_f32_e32 v122, v122, v124
	v_mul_f32_e32 v126, v108, v136
	v_add_f32_e32 v8, v8, v125
	v_add_f32_e32 v122, v122, v128
	s_waitcnt vmcnt(20)
	v_fma_f32 v127, v108, v143, -v127
	v_fmac_f32_e32 v126, v109, v143
	ds_read2_b64 v[106:109], v1 offset0:93 offset1:94
	ds_read_b64 v[6:7], v1 offset:760
	s_waitcnt vmcnt(19) lgkmcnt(5)
	v_mul_f32_e32 v130, v3, v132
	v_mul_f32_e32 v131, v2, v132
	v_add_f32_e32 v122, v122, v127
	v_add_f32_e32 v8, v8, v126
	s_waitcnt vmcnt(18) lgkmcnt(4)
	v_mul_f32_e32 v129, v110, v154
	v_fma_f32 v2, v2, v142, -v130
	s_waitcnt vmcnt(17)
	v_mul_f32_e32 v132, v5, v153
	v_mul_f32_e32 v133, v4, v153
	v_fmac_f32_e32 v131, v3, v142
	v_mul_f32_e32 v130, v111, v154
	v_add_f32_e32 v2, v122, v2
	v_fma_f32 v4, v4, v141, -v132
	v_fmac_f32_e32 v133, v5, v141
	v_add_f32_e32 v5, v8, v131
	s_waitcnt vmcnt(16)
	v_mul_f32_e32 v8, v113, v155
	v_fma_f32 v110, v110, v134, -v130
	v_add_f32_e32 v2, v2, v4
	v_mul_f32_e32 v124, v112, v155
	v_fmac_f32_e32 v129, v111, v134
	v_add_f32_e32 v4, v5, v133
	s_waitcnt vmcnt(15) lgkmcnt(3)
	v_mul_f32_e32 v5, v115, v157
	v_add_f32_e32 v2, v2, v110
	v_mul_f32_e32 v135, v114, v157
	s_waitcnt vmcnt(14)
	v_mul_f32_e32 v110, v117, v165
	v_add_f32_e32 v4, v4, v129
	s_waitcnt vmcnt(5)
	v_fma_f32 v8, v112, v167, -v8
	v_fmac_f32_e32 v124, v113, v167
	v_fma_f32 v5, v114, v163, -v5
	v_mul_f32_e32 v123, v116, v165
	v_fmac_f32_e32 v135, v115, v163
	v_add_f32_e32 v2, v2, v8
	v_add_f32_e32 v4, v4, v124
	s_waitcnt lgkmcnt(2)
	v_mul_f32_e32 v8, v119, v166
	v_fma_f32 v110, v116, v162, -v110
	v_mul_f32_e32 v128, v118, v166
	v_add_f32_e32 v2, v2, v5
	v_fmac_f32_e32 v123, v117, v162
	v_add_f32_e32 v4, v4, v135
	v_mul_f32_e32 v5, v121, v158
	v_fma_f32 v8, v118, v146, -v8
	v_add_f32_e32 v2, v2, v110
	v_mul_f32_e32 v3, v120, v158
	v_fmac_f32_e32 v128, v119, v146
	v_add_f32_e32 v4, v4, v123
	s_waitcnt lgkmcnt(1)
	v_mul_f32_e32 v110, v107, v159
	s_waitcnt vmcnt(1)
	v_fma_f32 v5, v120, v168, -v5
	v_add_f32_e32 v2, v2, v8
	v_mul_f32_e32 v125, v106, v159
	v_fmac_f32_e32 v3, v121, v168
	v_add_f32_e32 v4, v4, v128
	v_mul_f32_e32 v8, v109, v160
	v_fma_f32 v106, v106, v149, -v110
	v_add_f32_e32 v2, v2, v5
	v_mul_f32_e32 v127, v108, v160
	v_fmac_f32_e32 v125, v107, v149
	v_add_f32_e32 v3, v4, v3
	s_waitcnt lgkmcnt(0)
	v_mul_f32_e32 v4, v7, v161
	v_fma_f32 v5, v108, v148, -v8
	v_add_f32_e32 v2, v2, v106
	v_mul_f32_e32 v126, v6, v161
	v_fmac_f32_e32 v127, v109, v148
	v_add_f32_e32 v3, v3, v125
	v_fma_f32 v4, v6, v147, -v4
	v_add_f32_e32 v2, v2, v5
	v_fmac_f32_e32 v126, v7, v147
	v_add_f32_e32 v3, v3, v127
	v_add_f32_e32 v2, v2, v4
	;; [unrolled: 1-line block ×3, first 2 shown]
	s_waitcnt vmcnt(0)
	v_sub_f32_e32 v2, v169, v2
	v_sub_f32_e32 v3, v156, v3
	buffer_store_dword v2, off, s[0:3], 0 offset:96
	buffer_store_dword v3, off, s[0:3], 0 offset:100
	v_cmpx_lt_u32_e32 11, v0
	s_cbranch_execz .LBB111_279
; %bb.278:
	s_clause 0x1
	buffer_load_dword v2, off, s[0:3], 0 offset:88
	buffer_load_dword v3, off, s[0:3], 0 offset:92
	buffer_store_dword v1, off, s[0:3], 0 offset:88
	buffer_store_dword v1, off, s[0:3], 0 offset:92
	s_waitcnt vmcnt(0)
	ds_write_b64 v105, v[2:3]
.LBB111_279:
	s_or_b32 exec_lo, exec_lo, s4
	s_waitcnt lgkmcnt(0)
	s_waitcnt_vscnt null, 0x0
	s_barrier
	buffer_gl0_inv
	s_clause 0x2a
	buffer_load_dword v8, off, s[0:3], 0 offset:100
	buffer_load_dword v106, off, s[0:3], 0 offset:108
	;; [unrolled: 1-line block ×43, first 2 shown]
	ds_read_b128 v[138:141], v1 offset:480
	ds_read_b128 v[142:145], v1 offset:496
	;; [unrolled: 1-line block ×3, first 2 shown]
	buffer_load_dword v156, off, s[0:3], 0 offset:92
	s_mov_b32 s4, exec_lo
	s_waitcnt vmcnt(43) lgkmcnt(2)
	v_mul_f32_e32 v154, v138, v8
	s_waitcnt vmcnt(42)
	v_mul_f32_e32 v155, v140, v106
	v_mul_f32_e32 v8, v139, v8
	;; [unrolled: 1-line block ×3, first 2 shown]
	s_waitcnt vmcnt(39)
	v_fmac_f32_e32 v154, v139, v6
	v_fmac_f32_e32 v155, v141, v5
	v_fma_f32 v6, v138, v6, -v8
	v_fma_f32 v8, v140, v5, -v106
	ds_read_b128 v[138:141], v1 offset:528
	s_waitcnt vmcnt(38) lgkmcnt(2)
	v_mul_f32_e32 v157, v142, v3
	s_waitcnt vmcnt(37)
	v_mul_f32_e32 v158, v144, v4
	v_mul_f32_e32 v3, v143, v3
	;; [unrolled: 1-line block ×3, first 2 shown]
	s_waitcnt vmcnt(32) lgkmcnt(1)
	v_mul_f32_e32 v106, v147, v111
	v_fmac_f32_e32 v157, v143, v2
	v_fmac_f32_e32 v158, v145, v113
	v_fma_f32 v142, v142, v2, -v3
	v_fma_f32 v143, v144, v113, -v4
	ds_read_b128 v[2:5], v1 offset:544
	v_mul_f32_e32 v144, v146, v111
	s_waitcnt vmcnt(31)
	v_mul_f32_e32 v145, v148, v112
	v_mul_f32_e32 v111, v149, v112
	v_fma_f32 v146, v146, v110, -v106
	v_fmac_f32_e32 v144, v147, v110
	v_fmac_f32_e32 v145, v149, v107
	v_fma_f32 v147, v148, v107, -v111
	ds_read_b128 v[110:113], v1 offset:560
	s_waitcnt vmcnt(30) lgkmcnt(2)
	v_mul_f32_e32 v148, v138, v108
	s_waitcnt vmcnt(29)
	v_mul_f32_e32 v149, v140, v109
	v_mul_f32_e32 v106, v139, v108
	;; [unrolled: 1-line block ×3, first 2 shown]
	v_fmac_f32_e32 v148, v139, v7
	s_waitcnt vmcnt(25)
	v_fmac_f32_e32 v149, v141, v121
	v_fma_f32 v7, v138, v7, -v106
	v_fma_f32 v121, v140, v121, -v107
	ds_read_b128 v[106:109], v1 offset:576
	s_waitcnt vmcnt(24) lgkmcnt(2)
	v_mul_f32_e32 v138, v2, v119
	s_waitcnt vmcnt(23)
	v_mul_f32_e32 v139, v4, v120
	v_mul_f32_e32 v119, v3, v119
	;; [unrolled: 1-line block ×3, first 2 shown]
	v_fmac_f32_e32 v138, v3, v118
	v_fmac_f32_e32 v139, v5, v115
	v_fma_f32 v118, v2, v118, -v119
	v_fma_f32 v115, v4, v115, -v120
	ds_read_b128 v[2:5], v1 offset:592
	s_waitcnt vmcnt(22) lgkmcnt(2)
	v_mul_f32_e32 v119, v110, v116
	s_waitcnt vmcnt(21)
	v_mul_f32_e32 v120, v112, v117
	v_mul_f32_e32 v116, v111, v116
	;; [unrolled: 1-line block ×3, first 2 shown]
	v_fmac_f32_e32 v119, v111, v114
	s_waitcnt vmcnt(17)
	v_fmac_f32_e32 v120, v113, v129
	v_fma_f32 v114, v110, v114, -v116
	v_fma_f32 v116, v112, v129, -v117
	s_waitcnt vmcnt(16) lgkmcnt(1)
	v_mul_f32_e32 v117, v106, v127
	v_mul_f32_e32 v127, v107, v127
	ds_read_b128 v[110:113], v1 offset:608
	s_waitcnt vmcnt(15)
	v_mul_f32_e32 v129, v108, v128
	v_mul_f32_e32 v128, v109, v128
	v_fmac_f32_e32 v117, v107, v126
	v_fma_f32 v106, v106, v126, -v127
	s_clause 0x1
	buffer_load_dword v126, off, s[0:3], 0 offset:260
	buffer_load_dword v127, off, s[0:3], 0 offset:268
	v_fmac_f32_e32 v129, v109, v123
	v_fma_f32 v123, v108, v123, -v128
	s_waitcnt vmcnt(16) lgkmcnt(1)
	v_mul_f32_e32 v128, v2, v124
	s_waitcnt vmcnt(15)
	v_mul_f32_e32 v140, v4, v125
	v_mul_f32_e32 v107, v3, v124
	;; [unrolled: 1-line block ×3, first 2 shown]
	buffer_load_dword v125, off, s[0:3], 0 offset:276
	v_fmac_f32_e32 v128, v3, v122
	s_waitcnt vmcnt(12)
	v_fmac_f32_e32 v140, v5, v137
	v_fma_f32 v122, v2, v122, -v107
	v_fma_f32 v124, v4, v137, -v108
	ds_read_b128 v[2:5], v1 offset:624
	s_waitcnt vmcnt(11) lgkmcnt(1)
	v_mul_f32_e32 v137, v110, v135
	s_waitcnt vmcnt(10)
	v_mul_f32_e32 v141, v112, v136
	v_mul_f32_e32 v107, v111, v135
	;; [unrolled: 1-line block ×3, first 2 shown]
	s_clause 0x5
	buffer_load_dword v135, off, s[0:3], 0 offset:284
	buffer_load_dword v136, off, s[0:3], 0 offset:304
	;; [unrolled: 1-line block ×6, first 2 shown]
	v_fmac_f32_e32 v137, v111, v134
	v_fma_f32 v134, v110, v134, -v107
	v_fmac_f32_e32 v141, v113, v133
	v_fma_f32 v133, v112, v133, -v108
	s_waitcnt vmcnt(15) lgkmcnt(0)
	v_mul_f32_e32 v162, v2, v132
	v_mul_f32_e32 v107, v3, v132
	v_fmac_f32_e32 v162, v3, v130
	v_add_f32_e32 v3, 0, v154
	v_fma_f32 v130, v2, v130, -v107
	v_add_f32_e32 v2, 0, v6
	s_waitcnt vmcnt(14)
	v_mul_f32_e32 v6, v4, v131
	v_mul_f32_e32 v107, v5, v131
	v_add_f32_e32 v3, v3, v155
	buffer_load_dword v131, off, s[0:3], 0 offset:300
	v_add_f32_e32 v2, v2, v8
	buffer_load_dword v8, off, s[0:3], 0 offset:308
	s_waitcnt vmcnt(12)
	v_fmac_f32_e32 v6, v5, v153
	v_add_f32_e32 v3, v3, v157
	v_fma_f32 v132, v4, v153, -v107
	v_add_f32_e32 v2, v2, v142
	s_clause 0x3
	buffer_load_dword v153, off, s[0:3], 0 offset:316
	buffer_load_dword v142, off, s[0:3], 0 offset:324
	;; [unrolled: 1-line block ×4, first 2 shown]
	v_add_f32_e32 v3, v3, v158
	v_add_f32_e32 v2, v2, v143
	s_clause 0x3
	buffer_load_dword v143, off, s[0:3], 0 offset:348
	buffer_load_dword v157, off, s[0:3], 0 offset:356
	;; [unrolled: 1-line block ×4, first 2 shown]
	v_add_f32_e32 v3, v3, v144
	buffer_load_dword v144, off, s[0:3], 0 offset:380
	v_add_f32_e32 v2, v2, v146
	v_add_f32_e32 v3, v3, v145
	;; [unrolled: 1-line block ×3, first 2 shown]
	s_clause 0x3
	buffer_load_dword v145, off, s[0:3], 0 offset:336
	buffer_load_dword v146, off, s[0:3], 0 offset:328
	;; [unrolled: 1-line block ×4, first 2 shown]
	v_add_f32_e32 v3, v3, v148
	v_add_f32_e32 v2, v2, v7
	;; [unrolled: 1-line block ×3, first 2 shown]
	s_clause 0x4
	buffer_load_dword v7, off, s[0:3], 0 offset:368
	buffer_load_dword v148, off, s[0:3], 0 offset:360
	;; [unrolled: 1-line block ×5, first 2 shown]
	v_add_f32_e32 v2, v2, v121
	v_add_f32_e32 v3, v3, v138
	buffer_load_dword v138, off, s[0:3], 0 offset:376
	v_add_f32_e32 v2, v2, v118
	v_add_f32_e32 v3, v3, v139
	;; [unrolled: 1-line block ×5, first 2 shown]
	ds_read_b128 v[2:5], v1 offset:640
	v_add_f32_e32 v107, v107, v120
	v_add_f32_e32 v108, v108, v116
	v_add_f32_e32 v110, v107, v117
	v_add_f32_e32 v111, v108, v106
	ds_read_b128 v[106:109], v1 offset:656
	v_add_f32_e32 v110, v110, v129
	v_add_f32_e32 v111, v111, v123
	;; [unrolled: 1-line block ×11, first 2 shown]
	s_waitcnt vmcnt(29) lgkmcnt(1)
	v_mul_f32_e32 v129, v2, v126
	v_mul_f32_e32 v112, v3, v126
	s_waitcnt vmcnt(28)
	v_mul_f32_e32 v126, v4, v127
	v_mul_f32_e32 v113, v5, v127
	v_fmac_f32_e32 v129, v3, v152
	v_fma_f32 v127, v2, v152, -v112
	v_fmac_f32_e32 v126, v5, v151
	v_fma_f32 v128, v4, v151, -v113
	ds_read_b128 v[2:5], v1 offset:672
	ds_read_b128 v[110:113], v1 offset:688
	s_waitcnt vmcnt(27) lgkmcnt(2)
	v_mul_f32_e32 v139, v106, v125
	v_mul_f32_e32 v116, v107, v125
	v_fmac_f32_e32 v139, v107, v150
	v_add_f32_e32 v107, v115, v141
	v_fma_f32 v134, v106, v150, -v116
	s_waitcnt vmcnt(26)
	v_mul_f32_e32 v140, v108, v135
	v_mul_f32_e32 v117, v109, v135
	v_add_f32_e32 v119, v107, v162
	s_waitcnt vmcnt(22)
	v_fmac_f32_e32 v140, v109, v161
	v_fma_f32 v133, v108, v161, -v117
	v_add_f32_e32 v6, v119, v6
	ds_read_b128 v[106:109], v1 offset:704
	ds_read_b128 v[114:117], v1 offset:720
	s_waitcnt vmcnt(21) lgkmcnt(3)
	v_mul_f32_e32 v123, v3, v163
	v_mul_f32_e32 v130, v2, v163
	ds_read_b128 v[118:121], v1 offset:736
	v_fma_f32 v2, v2, v160, -v123
	ds_read_b128 v[122:125], v1 offset:752
	v_add_f32_e32 v1, v132, v127
	v_fmac_f32_e32 v130, v3, v160
	v_add_f32_e32 v3, v6, v129
	v_add_f32_e32 v1, v1, v128
	v_add_f32_e32 v3, v3, v126
	s_waitcnt vmcnt(20)
	v_mul_f32_e32 v127, v5, v131
	v_add_f32_e32 v1, v1, v134
	v_mul_f32_e32 v6, v4, v131
	v_add_f32_e32 v3, v3, v139
	s_waitcnt vmcnt(19) lgkmcnt(4)
	v_mul_f32_e32 v126, v110, v8
	v_mul_f32_e32 v8, v111, v8
	v_add_f32_e32 v1, v1, v133
	v_fma_f32 v4, v4, v159, -v127
	v_add_f32_e32 v3, v3, v140
	v_fmac_f32_e32 v6, v5, v159
	s_waitcnt vmcnt(18)
	v_mul_f32_e32 v133, v113, v153
	v_add_f32_e32 v1, v1, v2
	v_fma_f32 v8, v110, v136, -v8
	v_add_f32_e32 v2, v3, v130
	v_mul_f32_e32 v128, v112, v153
	v_fmac_f32_e32 v126, v111, v136
	v_add_f32_e32 v1, v1, v4
	s_waitcnt vmcnt(17) lgkmcnt(3)
	v_mul_f32_e32 v4, v107, v142
	v_add_f32_e32 v2, v2, v6
	v_mul_f32_e32 v5, v106, v142
	s_waitcnt vmcnt(16)
	v_mul_f32_e32 v127, v108, v154
	v_add_f32_e32 v1, v1, v8
	s_waitcnt vmcnt(6)
	v_fma_f32 v6, v112, v165, -v133
	v_fmac_f32_e32 v128, v113, v165
	v_add_f32_e32 v2, v2, v126
	v_mul_f32_e32 v8, v109, v154
	v_fma_f32 v4, v106, v147, -v4
	v_add_f32_e32 v1, v1, v6
	v_fmac_f32_e32 v5, v107, v147
	v_add_f32_e32 v2, v2, v128
	s_waitcnt lgkmcnt(2)
	v_mul_f32_e32 v6, v115, v155
	v_fma_f32 v8, v108, v146, -v8
	v_add_f32_e32 v1, v1, v4
	v_mul_f32_e32 v129, v114, v155
	v_fmac_f32_e32 v127, v109, v146
	v_add_f32_e32 v2, v2, v5
	v_mul_f32_e32 v4, v117, v143
	v_fma_f32 v5, v114, v145, -v6
	v_add_f32_e32 v1, v1, v8
	v_mul_f32_e32 v131, v116, v143
	v_fmac_f32_e32 v129, v115, v145
	v_add_f32_e32 v2, v2, v127
	s_waitcnt lgkmcnt(1)
	v_mul_f32_e32 v6, v119, v157
	s_waitcnt vmcnt(2)
	v_fma_f32 v4, v116, v166, -v4
	v_add_f32_e32 v1, v1, v5
	v_mul_f32_e32 v132, v118, v157
	v_fmac_f32_e32 v131, v117, v166
	v_add_f32_e32 v2, v2, v129
	v_mul_f32_e32 v5, v121, v158
	v_fma_f32 v6, v118, v149, -v6
	v_add_f32_e32 v1, v1, v4
	v_mul_f32_e32 v134, v120, v158
	v_fmac_f32_e32 v132, v119, v149
	v_add_f32_e32 v2, v2, v131
	s_waitcnt lgkmcnt(0)
	v_mul_f32_e32 v4, v123, v164
	v_fma_f32 v5, v120, v148, -v5
	v_add_f32_e32 v1, v1, v6
	v_mul_f32_e32 v135, v122, v164
	v_fmac_f32_e32 v134, v121, v148
	v_add_f32_e32 v2, v2, v132
	v_mul_f32_e32 v6, v125, v144
	v_fma_f32 v4, v122, v7, -v4
	v_add_f32_e32 v1, v1, v5
	v_mul_f32_e32 v3, v124, v144
	v_fmac_f32_e32 v135, v123, v7
	v_add_f32_e32 v2, v2, v134
	s_waitcnt vmcnt(0)
	v_fma_f32 v5, v124, v138, -v6
	v_add_f32_e32 v1, v1, v4
	v_fmac_f32_e32 v3, v125, v138
	v_add_f32_e32 v2, v2, v135
	v_add_f32_e32 v1, v1, v5
	;; [unrolled: 1-line block ×3, first 2 shown]
	v_sub_f32_e32 v1, v167, v1
	v_sub_f32_e32 v2, v156, v2
	buffer_store_dword v1, off, s[0:3], 0 offset:88
	buffer_store_dword v2, off, s[0:3], 0 offset:92
	v_cmpx_lt_u32_e32 10, v0
	s_cbranch_execz .LBB111_281
; %bb.280:
	s_clause 0x1
	buffer_load_dword v1, off, s[0:3], 0 offset:80
	buffer_load_dword v2, off, s[0:3], 0 offset:84
	v_mov_b32_e32 v3, 0
	buffer_store_dword v3, off, s[0:3], 0 offset:80
	buffer_store_dword v3, off, s[0:3], 0 offset:84
	s_waitcnt vmcnt(0)
	ds_write_b64 v105, v[1:2]
.LBB111_281:
	s_or_b32 exec_lo, exec_lo, s4
	s_waitcnt lgkmcnt(0)
	s_waitcnt_vscnt null, 0x0
	s_barrier
	buffer_gl0_inv
	s_clause 0x2b
	buffer_load_dword v137, off, s[0:3], 0 offset:92
	buffer_load_dword v2, off, s[0:3], 0 offset:104
	;; [unrolled: 1-line block ×44, first 2 shown]
	v_mov_b32_e32 v1, 0
	ds_read2_b64 v[138:141], v1 offset0:59 offset1:60
	ds_read2_b64 v[142:145], v1 offset0:61 offset1:62
	;; [unrolled: 1-line block ×3, first 2 shown]
	buffer_load_dword v156, off, s[0:3], 0 offset:84
	s_mov_b32 s4, exec_lo
	s_waitcnt vmcnt(44) lgkmcnt(2)
	v_mul_f32_e32 v155, v138, v137
	v_mul_f32_e32 v137, v139, v137
	s_waitcnt vmcnt(40)
	v_mul_f32_e32 v158, v140, v106
	v_mul_f32_e32 v106, v141, v106
	v_fmac_f32_e32 v155, v139, v107
	v_fma_f32 v157, v138, v107, -v137
	s_waitcnt vmcnt(39) lgkmcnt(1)
	v_mul_f32_e32 v160, v142, v7
	v_fmac_f32_e32 v158, v141, v5
	v_fma_f32 v159, v140, v5, -v106
	v_mul_f32_e32 v5, v143, v7
	ds_read2_b64 v[137:140], v1 offset0:65 offset1:66
	v_fmac_f32_e32 v160, v143, v2
	s_waitcnt vmcnt(38)
	v_mul_f32_e32 v162, v144, v4
	v_fma_f32 v161, v142, v2, -v5
	v_mul_f32_e32 v2, v145, v4
	s_waitcnt vmcnt(34)
	v_fmac_f32_e32 v162, v145, v111
	s_waitcnt vmcnt(33) lgkmcnt(1)
	v_mul_f32_e32 v145, v146, v110
	v_fma_f32 v111, v144, v111, -v2
	v_mul_f32_e32 v2, v147, v110
	ds_read2_b64 v[141:144], v1 offset0:67 offset1:68
	v_fmac_f32_e32 v145, v147, v108
	v_fma_f32 v110, v146, v108, -v2
	s_waitcnt vmcnt(32)
	v_mul_f32_e32 v146, v148, v109
	v_mul_f32_e32 v2, v149, v109
	ds_read2_b64 v[106:109], v1 offset0:71 offset1:72
	v_fmac_f32_e32 v146, v149, v6
	v_fma_f32 v147, v148, v6, -v2
	s_waitcnt vmcnt(31) lgkmcnt(2)
	v_mul_f32_e32 v2, v138, v8
	ds_read2_b64 v[4:7], v1 offset0:69 offset1:70
	v_mul_f32_e32 v148, v137, v8
	v_fma_f32 v8, v137, v3, -v2
	s_waitcnt vmcnt(30)
	v_mul_f32_e32 v2, v140, v112
	v_mul_f32_e32 v137, v139, v112
	v_fmac_f32_e32 v148, v138, v3
	s_waitcnt vmcnt(24) lgkmcnt(2)
	v_mul_f32_e32 v138, v143, v117
	v_fma_f32 v112, v139, v120, -v2
	v_mul_f32_e32 v2, v142, v119
	v_fmac_f32_e32 v137, v140, v120
	v_mul_f32_e32 v120, v141, v119
	v_fmac_f32_e32 v138, v144, v114
	v_fma_f32 v119, v141, v116, -v2
	v_mul_f32_e32 v2, v144, v117
	v_fmac_f32_e32 v120, v142, v116
	s_waitcnt vmcnt(23) lgkmcnt(0)
	v_mul_f32_e32 v140, v4, v115
	s_waitcnt vmcnt(22)
	v_mul_f32_e32 v141, v6, v118
	v_fma_f32 v139, v143, v114, -v2
	v_mul_f32_e32 v2, v5, v115
	ds_read2_b64 v[114:117], v1 offset0:73 offset1:74
	v_fmac_f32_e32 v140, v5, v113
	s_waitcnt vmcnt(18)
	v_fmac_f32_e32 v141, v7, v129
	v_fma_f32 v113, v4, v113, -v2
	v_mul_f32_e32 v2, v7, v118
	s_waitcnt vmcnt(17)
	v_mul_f32_e32 v7, v106, v128
	s_waitcnt vmcnt(16)
	v_mul_f32_e32 v118, v108, v127
	v_mul_f32_e32 v127, v109, v127
	v_fma_f32 v6, v6, v129, -v2
	v_mul_f32_e32 v2, v107, v128
	v_fmac_f32_e32 v7, v107, v125
	v_fmac_f32_e32 v118, v109, v122
	v_fma_f32 v122, v108, v122, -v127
	v_add_f32_e32 v108, 0, v155
	v_fma_f32 v125, v106, v125, -v2
	ds_read2_b64 v[2:5], v1 offset0:75 offset1:76
	s_clause 0x2
	buffer_load_dword v127, off, s[0:3], 0 offset:260
	buffer_load_dword v128, off, s[0:3], 0 offset:268
	buffer_load_dword v142, off, s[0:3], 0 offset:276
	s_waitcnt vmcnt(18) lgkmcnt(1)
	v_mul_f32_e32 v129, v114, v123
	v_mul_f32_e32 v106, v115, v123
	s_waitcnt vmcnt(17)
	v_mul_f32_e32 v123, v116, v126
	v_mul_f32_e32 v107, v117, v126
	v_fmac_f32_e32 v129, v115, v121
	v_fma_f32 v114, v114, v121, -v106
	s_waitcnt vmcnt(13)
	v_fmac_f32_e32 v123, v117, v136
	v_fma_f32 v115, v116, v136, -v107
	v_add_f32_e32 v117, v108, v158
	ds_read2_b64 v[106:109], v1 offset0:77 offset1:78
	v_add_f32_e32 v116, 0, v157
	v_add_f32_e32 v117, v117, v160
	;; [unrolled: 1-line block ×3, first 2 shown]
	s_waitcnt vmcnt(12) lgkmcnt(1)
	v_mul_f32_e32 v121, v2, v135
	v_mul_f32_e32 v126, v3, v135
	s_clause 0x3
	buffer_load_dword v135, off, s[0:3], 0 offset:296
	buffer_load_dword v136, off, s[0:3], 0 offset:288
	buffer_load_dword v143, off, s[0:3], 0 offset:280
	buffer_load_dword v144, off, s[0:3], 0 offset:272
	v_fmac_f32_e32 v121, v3, v134
	v_fma_f32 v126, v2, v134, -v126
	s_clause 0x1
	buffer_load_dword v134, off, s[0:3], 0 offset:284
	buffer_load_dword v149, off, s[0:3], 0 offset:292
	v_add_f32_e32 v2, v116, v161
	v_add_f32_e32 v3, v117, v162
	s_waitcnt vmcnt(17)
	v_mul_f32_e32 v116, v4, v133
	v_mul_f32_e32 v117, v5, v133
	buffer_load_dword v133, off, s[0:3], 0 offset:300
	v_add_f32_e32 v2, v2, v111
	v_add_f32_e32 v3, v3, v145
	v_fmac_f32_e32 v116, v5, v131
	v_fma_f32 v117, v4, v131, -v117
	s_clause 0x3
	buffer_load_dword v131, off, s[0:3], 0 offset:308
	buffer_load_dword v145, off, s[0:3], 0 offset:316
	;; [unrolled: 1-line block ×4, first 2 shown]
	v_add_f32_e32 v110, v2, v110
	v_add_f32_e32 v111, v3, v146
	ds_read2_b64 v[2:5], v1 offset0:79 offset1:80
	s_waitcnt vmcnt(21) lgkmcnt(1)
	v_mul_f32_e32 v146, v106, v130
	v_mul_f32_e32 v130, v107, v130
	v_add_f32_e32 v110, v110, v147
	v_add_f32_e32 v111, v111, v148
	s_waitcnt vmcnt(20)
	v_mul_f32_e32 v147, v108, v132
	v_fmac_f32_e32 v146, v107, v124
	v_fma_f32 v124, v106, v124, -v130
	v_add_f32_e32 v8, v110, v8
	v_add_f32_e32 v106, v111, v137
	v_mul_f32_e32 v110, v109, v132
	s_clause 0x4
	buffer_load_dword v130, off, s[0:3], 0 offset:340
	buffer_load_dword v132, off, s[0:3], 0 offset:348
	;; [unrolled: 1-line block ×5, first 2 shown]
	v_add_f32_e32 v8, v8, v112
	s_clause 0x4
	buffer_load_dword v159, off, s[0:3], 0 offset:328
	buffer_load_dword v160, off, s[0:3], 0 offset:320
	;; [unrolled: 1-line block ×5, first 2 shown]
	v_add_f32_e32 v106, v106, v120
	s_waitcnt vmcnt(26)
	v_fmac_f32_e32 v147, v109, v153
	v_fma_f32 v153, v108, v153, -v110
	v_add_f32_e32 v8, v8, v119
	v_add_f32_e32 v106, v106, v138
	s_waitcnt vmcnt(25) lgkmcnt(0)
	v_mul_f32_e32 v111, v3, v154
	v_mul_f32_e32 v138, v2, v154
	v_add_f32_e32 v8, v8, v139
	v_add_f32_e32 v110, v106, v140
	ds_read2_b64 v[106:109], v1 offset0:81 offset1:82
	v_fma_f32 v119, v2, v152, -v111
	v_add_f32_e32 v8, v8, v113
	v_fmac_f32_e32 v138, v3, v152
	v_add_f32_e32 v110, v110, v141
	v_add_f32_e32 v2, v8, v6
	s_clause 0x3
	buffer_load_dword v8, off, s[0:3], 0 offset:360
	buffer_load_dword v139, off, s[0:3], 0 offset:352
	;; [unrolled: 1-line block ×4, first 2 shown]
	v_add_f32_e32 v3, v110, v7
	v_add_f32_e32 v2, v2, v125
	s_clause 0x1
	buffer_load_dword v125, off, s[0:3], 0 offset:376
	buffer_load_dword v152, off, s[0:3], 0 offset:368
	v_add_f32_e32 v3, v3, v118
	ds_read2_b64 v[110:113], v1 offset0:85 offset1:86
	v_add_f32_e32 v2, v2, v122
	buffer_load_dword v122, off, s[0:3], 0 offset:80
	v_add_f32_e32 v6, v3, v129
	v_add_f32_e32 v7, v2, v114
	;; [unrolled: 1-line block ×11, first 2 shown]
	s_waitcnt vmcnt(30)
	v_mul_f32_e32 v129, v4, v127
	v_mul_f32_e32 v3, v5, v127
	s_waitcnt vmcnt(29) lgkmcnt(1)
	v_mul_f32_e32 v114, v107, v128
	v_mul_f32_e32 v123, v106, v128
	s_waitcnt vmcnt(28)
	v_mul_f32_e32 v115, v109, v142
	v_fmac_f32_e32 v129, v5, v151
	v_fma_f32 v127, v4, v151, -v3
	ds_read2_b64 v[2:5], v1 offset0:83 offset1:84
	v_fma_f32 v126, v106, v150, -v114
	v_mul_f32_e32 v128, v108, v142
	v_fmac_f32_e32 v123, v107, v150
	s_waitcnt vmcnt(24)
	v_fma_f32 v142, v108, v144, -v115
	v_fmac_f32_e32 v128, v109, v144
	ds_read2_b64 v[106:109], v1 offset0:87 offset1:88
	ds_read2_b64 v[114:117], v1 offset0:89 offset1:90
	s_waitcnt vmcnt(23) lgkmcnt(2)
	v_mul_f32_e32 v124, v2, v134
	v_mul_f32_e32 v118, v3, v134
	s_waitcnt vmcnt(22)
	v_mul_f32_e32 v134, v4, v149
	v_mul_f32_e32 v144, v5, v149
	v_fmac_f32_e32 v124, v3, v143
	v_fma_f32 v143, v2, v143, -v118
	v_add_f32_e32 v2, v6, v147
	v_add_f32_e32 v6, v7, v119
	v_fmac_f32_e32 v134, v5, v136
	v_fma_f32 v136, v4, v136, -v144
	s_waitcnt vmcnt(21)
	v_mul_f32_e32 v144, v110, v133
	v_add_f32_e32 v138, v2, v138
	v_add_f32_e32 v127, v6, v127
	ds_read2_b64 v[118:121], v1 offset0:91 offset1:92
	ds_read2_b64 v[2:5], v1 offset0:93 offset1:94
	v_fmac_f32_e32 v144, v111, v135
	v_add_f32_e32 v129, v138, v129
	v_add_f32_e32 v126, v127, v126
	v_mul_f32_e32 v127, v111, v133
	s_waitcnt vmcnt(20)
	v_mul_f32_e32 v138, v112, v131
	v_mul_f32_e32 v131, v113, v131
	v_add_f32_e32 v123, v129, v123
	v_add_f32_e32 v126, v126, v142
	v_fma_f32 v110, v110, v135, -v127
	s_waitcnt vmcnt(19) lgkmcnt(3)
	v_mul_f32_e32 v129, v106, v145
	v_mul_f32_e32 v135, v107, v145
	v_add_f32_e32 v123, v123, v128
	v_add_f32_e32 v126, v126, v143
	s_waitcnt vmcnt(8)
	v_fma_f32 v112, v112, v162, -v131
	v_fmac_f32_e32 v138, v113, v162
	v_fmac_f32_e32 v129, v107, v161
	v_add_f32_e32 v123, v123, v124
	v_add_f32_e32 v126, v126, v136
	v_fma_f32 v106, v106, v161, -v135
	v_mul_f32_e32 v133, v108, v155
	s_waitcnt lgkmcnt(2)
	v_mul_f32_e32 v142, v114, v157
	v_add_f32_e32 v123, v123, v134
	v_add_f32_e32 v110, v126, v110
	v_mul_f32_e32 v128, v116, v130
	v_fmac_f32_e32 v133, v109, v160
	v_fmac_f32_e32 v142, v115, v159
	v_add_f32_e32 v113, v123, v144
	v_mul_f32_e32 v123, v109, v155
	v_add_f32_e32 v107, v110, v112
	v_mul_f32_e32 v112, v115, v157
	v_mul_f32_e32 v109, v117, v130
	v_add_f32_e32 v110, v113, v138
	v_fma_f32 v108, v108, v160, -v123
	v_add_f32_e32 v106, v107, v106
	ds_read_b64 v[6:7], v1 offset:760
	s_waitcnt vmcnt(3)
	v_fma_f32 v109, v116, v141, -v109
	v_add_f32_e32 v107, v110, v129
	v_fma_f32 v110, v114, v159, -v112
	v_add_f32_e32 v106, v106, v108
	s_waitcnt lgkmcnt(2)
	v_mul_f32_e32 v108, v119, v132
	v_mul_f32_e32 v143, v118, v132
	v_add_f32_e32 v107, v107, v133
	v_fmac_f32_e32 v128, v117, v141
	v_add_f32_e32 v106, v106, v110
	v_mul_f32_e32 v110, v121, v137
	v_fma_f32 v108, v118, v140, -v108
	v_add_f32_e32 v107, v107, v142
	v_mul_f32_e32 v111, v120, v137
	v_add_f32_e32 v106, v106, v109
	v_fmac_f32_e32 v143, v119, v140
	s_waitcnt lgkmcnt(1)
	v_mul_f32_e32 v124, v2, v148
	v_add_f32_e32 v107, v107, v128
	v_mul_f32_e32 v109, v3, v148
	v_fma_f32 v110, v120, v139, -v110
	v_add_f32_e32 v106, v106, v108
	v_fmac_f32_e32 v111, v121, v139
	v_add_f32_e32 v107, v107, v143
	v_mul_f32_e32 v108, v5, v158
	v_fmac_f32_e32 v124, v3, v8
	v_fma_f32 v2, v2, v8, -v109
	v_add_f32_e32 v3, v106, v110
	v_mul_f32_e32 v127, v4, v158
	v_add_f32_e32 v8, v107, v111
	s_waitcnt lgkmcnt(0)
	v_mul_f32_e32 v106, v7, v163
	s_waitcnt vmcnt(1)
	v_fma_f32 v4, v4, v152, -v108
	v_add_f32_e32 v2, v3, v2
	v_mul_f32_e32 v134, v6, v163
	v_fmac_f32_e32 v127, v5, v152
	v_add_f32_e32 v3, v8, v124
	v_fma_f32 v5, v6, v125, -v106
	v_add_f32_e32 v2, v2, v4
	v_fmac_f32_e32 v134, v7, v125
	v_add_f32_e32 v3, v3, v127
	v_add_f32_e32 v2, v2, v5
	v_add_f32_e32 v3, v3, v134
	s_waitcnt vmcnt(0)
	v_sub_f32_e32 v2, v122, v2
	v_sub_f32_e32 v3, v156, v3
	buffer_store_dword v2, off, s[0:3], 0 offset:80
	buffer_store_dword v3, off, s[0:3], 0 offset:84
	v_cmpx_lt_u32_e32 9, v0
	s_cbranch_execz .LBB111_283
; %bb.282:
	s_clause 0x1
	buffer_load_dword v2, off, s[0:3], 0 offset:72
	buffer_load_dword v3, off, s[0:3], 0 offset:76
	buffer_store_dword v1, off, s[0:3], 0 offset:72
	buffer_store_dword v1, off, s[0:3], 0 offset:76
	s_waitcnt vmcnt(0)
	ds_write_b64 v105, v[2:3]
.LBB111_283:
	s_or_b32 exec_lo, exec_lo, s4
	s_waitcnt lgkmcnt(0)
	s_waitcnt_vscnt null, 0x0
	s_barrier
	buffer_gl0_inv
	s_clause 0x2b
	buffer_load_dword v137, off, s[0:3], 0 offset:84
	buffer_load_dword v2, off, s[0:3], 0 offset:96
	;; [unrolled: 1-line block ×44, first 2 shown]
	ds_read_b128 v[138:141], v1 offset:464
	ds_read_b128 v[142:145], v1 offset:480
	;; [unrolled: 1-line block ×3, first 2 shown]
	buffer_load_dword v156, off, s[0:3], 0 offset:76
	s_mov_b32 s4, exec_lo
	s_waitcnt vmcnt(44) lgkmcnt(2)
	v_mul_f32_e32 v155, v138, v137
	v_mul_f32_e32 v137, v139, v137
	s_waitcnt vmcnt(40)
	v_mul_f32_e32 v158, v140, v106
	v_mul_f32_e32 v106, v141, v106
	s_waitcnt vmcnt(39) lgkmcnt(1)
	v_mul_f32_e32 v160, v142, v7
	v_fmac_f32_e32 v155, v139, v107
	v_fma_f32 v157, v138, v107, -v137
	v_fmac_f32_e32 v158, v141, v5
	v_fma_f32 v159, v140, v5, -v106
	v_mul_f32_e32 v5, v143, v7
	ds_read_b128 v[137:140], v1 offset:512
	v_fmac_f32_e32 v160, v143, v2
	s_waitcnt vmcnt(38)
	v_mul_f32_e32 v162, v144, v4
	v_fma_f32 v161, v142, v2, -v5
	v_mul_f32_e32 v2, v145, v4
	s_waitcnt vmcnt(34)
	v_fmac_f32_e32 v162, v145, v111
	s_waitcnt vmcnt(33) lgkmcnt(1)
	v_mul_f32_e32 v145, v146, v110
	v_fma_f32 v111, v144, v111, -v2
	v_mul_f32_e32 v2, v147, v110
	ds_read_b128 v[141:144], v1 offset:528
	v_fmac_f32_e32 v145, v147, v108
	v_fma_f32 v110, v146, v108, -v2
	s_waitcnt vmcnt(32)
	v_mul_f32_e32 v146, v148, v109
	v_mul_f32_e32 v2, v149, v109
	ds_read_b128 v[106:109], v1 offset:560
	v_fmac_f32_e32 v146, v149, v6
	v_fma_f32 v147, v148, v6, -v2
	ds_read_b128 v[4:7], v1 offset:544
	s_waitcnt vmcnt(31) lgkmcnt(3)
	v_mul_f32_e32 v2, v138, v8
	v_mul_f32_e32 v148, v137, v8
	s_waitcnt vmcnt(30)
	v_mul_f32_e32 v149, v139, v112
	v_fma_f32 v8, v137, v3, -v2
	v_mul_f32_e32 v2, v140, v112
	s_waitcnt vmcnt(26)
	v_fmac_f32_e32 v149, v140, v120
	v_fmac_f32_e32 v148, v138, v3
	s_waitcnt vmcnt(24) lgkmcnt(2)
	v_mul_f32_e32 v3, v144, v118
	v_fma_f32 v112, v139, v120, -v2
	v_mul_f32_e32 v120, v141, v119
	v_mul_f32_e32 v2, v142, v119
	;; [unrolled: 1-line block ×3, first 2 shown]
	ds_read_b128 v[137:140], v1 offset:576
	v_fmac_f32_e32 v120, v142, v116
	v_fma_f32 v116, v141, v116, -v2
	s_waitcnt vmcnt(23) lgkmcnt(1)
	v_mul_f32_e32 v118, v4, v115
	v_mul_f32_e32 v2, v5, v115
	s_waitcnt vmcnt(22)
	v_mul_f32_e32 v115, v6, v117
	v_fmac_f32_e32 v119, v144, v114
	v_fma_f32 v114, v143, v114, -v3
	v_fmac_f32_e32 v118, v5, v113
	v_fma_f32 v113, v4, v113, -v2
	v_mul_f32_e32 v2, v7, v117
	s_waitcnt vmcnt(18)
	v_fmac_f32_e32 v115, v7, v130
	s_clause 0x1
	buffer_load_dword v7, off, s[0:3], 0 offset:252
	buffer_load_dword v117, off, s[0:3], 0 offset:260
	s_waitcnt vmcnt(18)
	v_mul_f32_e32 v3, v109, v127
	v_fma_f32 v6, v6, v130, -v2
	v_mul_f32_e32 v130, v106, v128
	v_mul_f32_e32 v2, v107, v128
	;; [unrolled: 1-line block ×3, first 2 shown]
	s_waitcnt vmcnt(17) lgkmcnt(0)
	v_mul_f32_e32 v127, v137, v126
	v_mul_f32_e32 v126, v138, v126
	v_fmac_f32_e32 v130, v107, v124
	v_fma_f32 v124, v106, v124, -v2
	s_waitcnt vmcnt(16)
	v_mul_f32_e32 v141, v139, v131
	v_mul_f32_e32 v106, v140, v131
	v_fmac_f32_e32 v128, v109, v123
	v_fma_f32 v123, v108, v123, -v3
	ds_read_b128 v[2:5], v1 offset:592
	v_fmac_f32_e32 v127, v138, v121
	v_fma_f32 v121, v137, v121, -v126
	s_waitcnt vmcnt(12)
	v_fmac_f32_e32 v141, v140, v136
	v_fma_f32 v126, v139, v136, -v106
	s_clause 0x7
	buffer_load_dword v131, off, s[0:3], 0 offset:268
	buffer_load_dword v136, off, s[0:3], 0 offset:288
	;; [unrolled: 1-line block ×8, first 2 shown]
	v_add_f32_e32 v106, 0, v155
	v_add_f32_e32 v107, 0, v157
	;; [unrolled: 1-line block ×6, first 2 shown]
	s_waitcnt vmcnt(19) lgkmcnt(0)
	v_mul_f32_e32 v155, v2, v135
	v_mul_f32_e32 v135, v3, v135
	v_add_f32_e32 v144, v106, v162
	v_add_f32_e32 v111, v107, v111
	ds_read_b128 v[106:109], v1 offset:608
	v_fmac_f32_e32 v155, v3, v133
	v_fma_f32 v133, v2, v133, -v135
	v_add_f32_e32 v144, v144, v145
	v_add_f32_e32 v110, v111, v110
	s_waitcnt vmcnt(18)
	v_mul_f32_e32 v145, v4, v134
	v_mul_f32_e32 v111, v5, v134
	v_add_f32_e32 v3, v144, v146
	v_add_f32_e32 v110, v110, v147
	v_fmac_f32_e32 v145, v5, v132
	v_fma_f32 v132, v4, v132, -v111
	v_add_f32_e32 v2, v3, v148
	v_add_f32_e32 v3, v110, v8
	s_clause 0x7
	buffer_load_dword v8, off, s[0:3], 0 offset:300
	buffer_load_dword v134, off, s[0:3], 0 offset:308
	;; [unrolled: 1-line block ×8, first 2 shown]
	v_add_f32_e32 v2, v2, v149
	v_add_f32_e32 v3, v3, v112
	s_waitcnt vmcnt(25) lgkmcnt(0)
	v_mul_f32_e32 v158, v106, v129
	v_mul_f32_e32 v4, v107, v129
	s_clause 0x3
	buffer_load_dword v129, off, s[0:3], 0 offset:332
	buffer_load_dword v149, off, s[0:3], 0 offset:340
	;; [unrolled: 1-line block ×4, first 2 shown]
	v_add_f32_e32 v2, v2, v120
	s_clause 0x1
	buffer_load_dword v161, off, s[0:3], 0 offset:364
	buffer_load_dword v162, off, s[0:3], 0 offset:372
	v_fmac_f32_e32 v158, v107, v122
	v_fma_f32 v122, v106, v122, -v4
	v_add_f32_e32 v106, v3, v116
	s_waitcnt vmcnt(30)
	v_mul_f32_e32 v3, v109, v125
	v_mul_f32_e32 v120, v108, v125
	v_add_f32_e32 v107, v2, v119
	buffer_load_dword v163, off, s[0:3], 0 offset:380
	v_add_f32_e32 v106, v106, v114
	s_waitcnt vmcnt(27)
	v_fma_f32 v119, v108, v153, -v3
	ds_read_b128 v[2:5], v1 offset:624
	v_fmac_f32_e32 v120, v109, v153
	v_add_f32_e32 v107, v107, v118
	s_clause 0x3
	buffer_load_dword v153, off, s[0:3], 0 offset:352
	buffer_load_dword v164, off, s[0:3], 0 offset:344
	;; [unrolled: 1-line block ×4, first 2 shown]
	v_add_f32_e32 v106, v106, v113
	v_add_f32_e32 v107, v107, v115
	;; [unrolled: 1-line block ×4, first 2 shown]
	ds_read_b128 v[106:109], v1 offset:640
	v_add_f32_e32 v6, v6, v124
	v_add_f32_e32 v110, v110, v128
	s_waitcnt vmcnt(30) lgkmcnt(1)
	v_mul_f32_e32 v118, v2, v154
	v_mul_f32_e32 v111, v3, v154
	v_fmac_f32_e32 v118, v3, v152
	v_fma_f32 v124, v2, v152, -v111
	v_add_f32_e32 v2, v6, v123
	v_add_f32_e32 v3, v110, v127
	s_clause 0x3
	buffer_load_dword v6, off, s[0:3], 0 offset:376
	buffer_load_dword v127, off, s[0:3], 0 offset:368
	;; [unrolled: 1-line block ×4, first 2 shown]
	v_add_f32_e32 v2, v2, v121
	v_add_f32_e32 v3, v3, v141
	;; [unrolled: 1-line block ×6, first 2 shown]
	ds_read_b128 v[110:113], v1 offset:672
	v_add_f32_e32 v115, v115, v132
	v_add_f32_e32 v125, v114, v158
	;; [unrolled: 1-line block ×6, first 2 shown]
	s_waitcnt vmcnt(32)
	v_mul_f32_e32 v121, v4, v7
	v_mul_f32_e32 v7, v5, v7
	s_waitcnt vmcnt(31) lgkmcnt(1)
	v_mul_f32_e32 v123, v106, v117
	v_mul_f32_e32 v116, v107, v117
	v_fmac_f32_e32 v121, v5, v151
	v_fma_f32 v7, v4, v151, -v7
	ds_read_b128 v[2:5], v1 offset:656
	v_fmac_f32_e32 v123, v107, v150
	s_waitcnt vmcnt(30)
	v_mul_f32_e32 v126, v108, v131
	v_mul_f32_e32 v117, v109, v131
	v_fma_f32 v131, v106, v150, -v116
	s_waitcnt vmcnt(26)
	v_fmac_f32_e32 v126, v109, v139
	v_fma_f32 v132, v108, v139, -v117
	ds_read_b128 v[106:109], v1 offset:688
	ds_read_b128 v[114:117], v1 offset:704
	s_waitcnt vmcnt(23) lgkmcnt(3)
	v_mul_f32_e32 v141, v111, v143
	s_waitcnt lgkmcnt(2)
	v_mul_f32_e32 v133, v2, v140
	v_mul_f32_e32 v122, v3, v140
	;; [unrolled: 1-line block ×5, first 2 shown]
	v_fmac_f32_e32 v133, v3, v138
	v_fma_f32 v138, v2, v138, -v122
	v_add_f32_e32 v122, v119, v124
	v_add_f32_e32 v124, v118, v121
	v_fmac_f32_e32 v139, v5, v137
	v_fma_f32 v137, v4, v137, -v125
	ds_read_b128 v[2:5], v1 offset:720
	ds_read_b128 v[118:121], v1 offset:736
	v_add_f32_e32 v7, v122, v7
	v_fmac_f32_e32 v140, v111, v136
	v_add_f32_e32 v111, v124, v123
	ds_read_b128 v[122:125], v1 offset:752
	v_fma_f32 v110, v110, v136, -v141
	v_add_f32_e32 v1, v7, v131
	v_add_f32_e32 v111, v111, v126
	s_waitcnt vmcnt(22)
	v_mul_f32_e32 v7, v112, v8
	v_add_f32_e32 v1, v1, v132
	v_mul_f32_e32 v8, v113, v8
	v_add_f32_e32 v111, v111, v133
	s_waitcnt vmcnt(21) lgkmcnt(4)
	v_mul_f32_e32 v132, v107, v134
	v_mul_f32_e32 v126, v106, v134
	v_add_f32_e32 v1, v1, v138
	s_waitcnt vmcnt(15)
	v_fma_f32 v8, v112, v157, -v8
	v_add_f32_e32 v111, v111, v139
	v_fmac_f32_e32 v7, v113, v157
	v_mul_f32_e32 v131, v108, v135
	v_add_f32_e32 v1, v1, v137
	v_mul_f32_e32 v135, v109, v135
	v_fma_f32 v106, v106, v148, -v132
	v_fmac_f32_e32 v126, v107, v148
	s_waitcnt lgkmcnt(3)
	v_mul_f32_e32 v112, v114, v144
	v_add_f32_e32 v1, v1, v110
	v_add_f32_e32 v110, v111, v140
	v_fma_f32 v107, v108, v147, -v135
	v_fmac_f32_e32 v131, v109, v147
	s_waitcnt vmcnt(14)
	v_mul_f32_e32 v113, v116, v129
	v_add_f32_e32 v1, v1, v8
	v_add_f32_e32 v7, v110, v7
	v_mul_f32_e32 v8, v115, v144
	v_fmac_f32_e32 v112, v115, v146
	s_waitcnt vmcnt(13) lgkmcnt(2)
	v_mul_f32_e32 v133, v2, v149
	v_add_f32_e32 v1, v1, v106
	v_add_f32_e32 v7, v7, v126
	v_mul_f32_e32 v106, v117, v129
	v_fma_f32 v8, v114, v146, -v8
	s_waitcnt vmcnt(4)
	v_fmac_f32_e32 v113, v117, v166
	v_add_f32_e32 v1, v1, v107
	v_add_f32_e32 v7, v7, v131
	v_mul_f32_e32 v107, v3, v149
	v_fma_f32 v106, v116, v166, -v106
	v_mul_f32_e32 v134, v4, v159
	v_add_f32_e32 v1, v1, v8
	v_add_f32_e32 v7, v7, v112
	v_mul_f32_e32 v8, v5, v159
	v_fma_f32 v2, v2, v165, -v107
	v_fmac_f32_e32 v133, v3, v165
	v_add_f32_e32 v1, v1, v106
	v_add_f32_e32 v3, v7, v113
	s_waitcnt lgkmcnt(1)
	v_mul_f32_e32 v7, v119, v160
	v_fma_f32 v4, v4, v164, -v8
	v_mul_f32_e32 v136, v118, v160
	v_add_f32_e32 v1, v1, v2
	v_fmac_f32_e32 v134, v5, v164
	v_add_f32_e32 v2, v3, v133
	v_mul_f32_e32 v3, v121, v161
	v_fma_f32 v5, v118, v153, -v7
	v_add_f32_e32 v1, v1, v4
	v_mul_f32_e32 v137, v120, v161
	v_fmac_f32_e32 v136, v119, v153
	v_add_f32_e32 v2, v2, v134
	s_waitcnt lgkmcnt(0)
	v_mul_f32_e32 v4, v123, v162
	s_waitcnt vmcnt(1)
	v_fma_f32 v3, v120, v128, -v3
	v_add_f32_e32 v1, v1, v5
	v_mul_f32_e32 v138, v122, v162
	v_fmac_f32_e32 v137, v121, v128
	v_add_f32_e32 v2, v2, v136
	v_mul_f32_e32 v5, v125, v163
	v_fma_f32 v4, v122, v127, -v4
	v_add_f32_e32 v1, v1, v3
	v_mul_f32_e32 v111, v124, v163
	v_fmac_f32_e32 v138, v123, v127
	v_add_f32_e32 v2, v2, v137
	v_fma_f32 v3, v124, v6, -v5
	v_add_f32_e32 v1, v1, v4
	v_fmac_f32_e32 v111, v125, v6
	v_add_f32_e32 v2, v2, v138
	v_add_f32_e32 v1, v1, v3
	;; [unrolled: 1-line block ×3, first 2 shown]
	s_waitcnt vmcnt(0)
	v_sub_f32_e32 v1, v130, v1
	v_sub_f32_e32 v2, v156, v2
	buffer_store_dword v1, off, s[0:3], 0 offset:72
	buffer_store_dword v2, off, s[0:3], 0 offset:76
	v_cmpx_lt_u32_e32 8, v0
	s_cbranch_execz .LBB111_285
; %bb.284:
	s_clause 0x1
	buffer_load_dword v1, off, s[0:3], 0 offset:64
	buffer_load_dword v2, off, s[0:3], 0 offset:68
	v_mov_b32_e32 v3, 0
	buffer_store_dword v3, off, s[0:3], 0 offset:64
	buffer_store_dword v3, off, s[0:3], 0 offset:68
	s_waitcnt vmcnt(0)
	ds_write_b64 v105, v[1:2]
.LBB111_285:
	s_or_b32 exec_lo, exec_lo, s4
	s_waitcnt lgkmcnt(0)
	s_waitcnt_vscnt null, 0x0
	s_barrier
	buffer_gl0_inv
	s_clause 0x2c
	buffer_load_dword v6, off, s[0:3], 0 offset:76
	buffer_load_dword v7, off, s[0:3], 0 offset:84
	;; [unrolled: 1-line block ×45, first 2 shown]
	v_mov_b32_e32 v1, 0
	ds_read2_b64 v[2:5], v1 offset0:57 offset1:58
	ds_read2_b64 v[106:109], v1 offset0:59 offset1:60
	s_clause 0x2
	buffer_load_dword v154, off, s[0:3], 0 offset:68
	buffer_load_dword v155, off, s[0:3], 0 offset:252
	;; [unrolled: 1-line block ×3, first 2 shown]
	s_mov_b32 s4, exec_lo
	s_waitcnt vmcnt(47) lgkmcnt(1)
	v_mul_f32_e32 v152, v3, v6
	v_mul_f32_e32 v6, v2, v6
	s_waitcnt vmcnt(46)
	v_mul_f32_e32 v153, v4, v7
	v_mul_f32_e32 v7, v5, v7
	s_waitcnt vmcnt(43)
	v_fma_f32 v152, v2, v111, -v152
	v_fmac_f32_e32 v6, v3, v111
	v_fmac_f32_e32 v153, v5, v110
	v_fma_f32 v7, v4, v110, -v7
	ds_read2_b64 v[2:5], v1 offset0:61 offset1:62
	s_waitcnt vmcnt(42) lgkmcnt(1)
	v_mul_f32_e32 v110, v106, v112
	v_mul_f32_e32 v111, v107, v112
	s_waitcnt vmcnt(41)
	v_mul_f32_e32 v112, v108, v113
	v_mul_f32_e32 v113, v109, v113
	v_fmac_f32_e32 v110, v107, v8
	v_fma_f32 v8, v106, v8, -v111
	s_waitcnt vmcnt(37)
	v_fmac_f32_e32 v112, v109, v117
	v_fma_f32 v111, v108, v117, -v113
	ds_read2_b64 v[106:109], v1 offset0:63 offset1:64
	s_waitcnt vmcnt(36) lgkmcnt(1)
	v_mul_f32_e32 v113, v2, v118
	v_mul_f32_e32 v117, v3, v118
	s_waitcnt vmcnt(35)
	v_mul_f32_e32 v118, v4, v119
	v_mul_f32_e32 v119, v5, v119
	v_fmac_f32_e32 v113, v3, v116
	v_fma_f32 v116, v2, v116, -v117
	v_fmac_f32_e32 v118, v5, v115
	v_fma_f32 v115, v4, v115, -v119
	ds_read2_b64 v[2:5], v1 offset0:65 offset1:66
	s_waitcnt vmcnt(34) lgkmcnt(1)
	v_mul_f32_e32 v117, v106, v120
	v_mul_f32_e32 v119, v107, v120
	s_waitcnt vmcnt(33)
	v_mul_f32_e32 v120, v108, v121
	v_mul_f32_e32 v121, v109, v121
	v_fmac_f32_e32 v117, v107, v114
	v_fma_f32 v114, v106, v114, -v119
	s_waitcnt vmcnt(29)
	v_fmac_f32_e32 v120, v109, v125
	v_fma_f32 v119, v108, v125, -v121
	ds_read2_b64 v[106:109], v1 offset0:67 offset1:68
	s_waitcnt vmcnt(28) lgkmcnt(1)
	v_mul_f32_e32 v121, v2, v126
	v_mul_f32_e32 v125, v3, v126
	s_waitcnt vmcnt(27)
	v_mul_f32_e32 v126, v4, v127
	v_mul_f32_e32 v127, v5, v127
	v_fmac_f32_e32 v121, v3, v124
	v_fma_f32 v124, v2, v124, -v125
	;; [unrolled: 23-line block ×5, first 2 shown]
	v_fmac_f32_e32 v150, v5, v147
	v_fma_f32 v147, v4, v147, -v151
	s_clause 0x3
	buffer_load_dword v149, off, s[0:3], 0 offset:280
	buffer_load_dword v151, off, s[0:3], 0 offset:272
	;; [unrolled: 1-line block ×4, first 2 shown]
	s_waitcnt vmcnt(5) lgkmcnt(0)
	v_mul_f32_e32 v158, v106, v155
	v_mul_f32_e32 v3, v107, v155
	s_waitcnt vmcnt(4)
	v_mul_f32_e32 v155, v108, v156
	v_mul_f32_e32 v4, v109, v156
	s_clause 0x1
	buffer_load_dword v156, off, s[0:3], 0 offset:268
	buffer_load_dword v160, off, s[0:3], 0 offset:276
	v_fmac_f32_e32 v158, v107, v146
	v_fma_f32 v146, v106, v146, -v3
	v_add_f32_e32 v3, 0, v6
	buffer_load_dword v6, off, s[0:3], 0 offset:292
	v_add_f32_e32 v3, v3, v153
	v_add_f32_e32 v3, v3, v110
	;; [unrolled: 1-line block ×17, first 2 shown]
	s_waitcnt vmcnt(3)
	v_fmac_f32_e32 v155, v109, v2
	v_fma_f32 v159, v108, v2, -v4
	v_add_f32_e32 v2, 0, v152
	buffer_load_dword v152, off, s[0:3], 0 offset:284
	v_add_f32_e32 v2, v2, v7
	v_add_f32_e32 v2, v2, v8
	s_clause 0xa
	buffer_load_dword v8, off, s[0:3], 0 offset:312
	buffer_load_dword v153, off, s[0:3], 0 offset:304
	;; [unrolled: 1-line block ×11, first 2 shown]
	v_add_f32_e32 v2, v2, v111
	s_clause 0x3
	buffer_load_dword v169, off, s[0:3], 0 offset:356
	buffer_load_dword v170, off, s[0:3], 0 offset:364
	;; [unrolled: 1-line block ×4, first 2 shown]
	v_add_f32_e32 v2, v2, v116
	v_add_f32_e32 v2, v2, v115
	;; [unrolled: 1-line block ×9, first 2 shown]
	s_clause 0x3
	buffer_load_dword v123, off, s[0:3], 0 offset:344
	buffer_load_dword v124, off, s[0:3], 0 offset:336
	;; [unrolled: 1-line block ×4, first 2 shown]
	v_add_f32_e32 v2, v2, v122
	v_add_f32_e32 v2, v2, v127
	s_clause 0x4
	buffer_load_dword v122, off, s[0:3], 0 offset:376
	buffer_load_dword v125, off, s[0:3], 0 offset:368
	;; [unrolled: 1-line block ×5, first 2 shown]
	v_add_f32_e32 v2, v2, v132
	v_add_f32_e32 v106, v2, v131
	ds_read2_b64 v[2:5], v1 offset0:81 offset1:82
	v_add_f32_e32 v106, v106, v130
	v_add_f32_e32 v106, v106, v135
	;; [unrolled: 1-line block ×3, first 2 shown]
	ds_read2_b64 v[106:109], v1 offset0:83 offset1:84
	v_add_f32_e32 v111, v111, v139
	s_waitcnt vmcnt(27) lgkmcnt(1)
	v_mul_f32_e32 v129, v2, v156
	v_mul_f32_e32 v112, v3, v156
	s_waitcnt vmcnt(26)
	v_mul_f32_e32 v130, v4, v160
	v_mul_f32_e32 v113, v5, v160
	v_fmac_f32_e32 v129, v3, v157
	v_add_f32_e32 v3, v111, v138
	v_fma_f32 v131, v2, v157, -v112
	v_fmac_f32_e32 v130, v5, v151
	v_fma_f32 v132, v4, v151, -v113
	v_add_f32_e32 v118, v3, v143
	ds_read2_b64 v[2:5], v1 offset0:85 offset1:86
	ds_read2_b64 v[110:113], v1 offset0:87 offset1:88
	;; [unrolled: 1-line block ×3, first 2 shown]
	s_waitcnt vmcnt(25) lgkmcnt(3)
	v_mul_f32_e32 v134, v108, v6
	v_add_f32_e32 v118, v118, v148
	v_mul_f32_e32 v6, v109, v6
	v_add_f32_e32 v118, v118, v147
	s_waitcnt vmcnt(24)
	v_mul_f32_e32 v120, v107, v152
	v_mul_f32_e32 v133, v106, v152
	v_fma_f32 v135, v106, v149, -v120
	v_add_f32_e32 v106, v119, v150
	v_fmac_f32_e32 v133, v107, v149
	v_add_f32_e32 v107, v118, v146
	ds_read2_b64 v[118:121], v1 offset0:91 offset1:92
	s_waitcnt vmcnt(20)
	v_fma_f32 v136, v108, v7, -v6
	v_add_f32_e32 v137, v106, v158
	v_fmac_f32_e32 v134, v109, v7
	v_add_f32_e32 v138, v107, v159
	s_waitcnt vmcnt(19) lgkmcnt(3)
	v_mul_f32_e32 v139, v2, v162
	s_waitcnt vmcnt(18)
	v_mul_f32_e32 v141, v5, v163
	v_add_f32_e32 v137, v137, v155
	v_mul_f32_e32 v140, v4, v163
	v_add_f32_e32 v131, v138, v131
	v_mul_f32_e32 v138, v3, v162
	v_fmac_f32_e32 v139, v3, v161
	v_add_f32_e32 v129, v137, v129
	s_waitcnt vmcnt(17) lgkmcnt(2)
	v_mul_f32_e32 v137, v110, v164
	v_add_f32_e32 v131, v131, v132
	v_fma_f32 v2, v2, v161, -v138
	v_mul_f32_e32 v138, v111, v164
	v_add_f32_e32 v129, v129, v130
	v_fma_f32 v4, v4, v153, -v141
	v_add_f32_e32 v131, v131, v135
	v_fmac_f32_e32 v140, v5, v153
	v_fmac_f32_e32 v137, v111, v8
	v_add_f32_e32 v129, v129, v133
	v_fma_f32 v8, v110, v8, -v138
	v_add_f32_e32 v131, v131, v136
	s_waitcnt vmcnt(16)
	v_mul_f32_e32 v132, v112, v165
	ds_read2_b64 v[106:109], v1 offset0:93 offset1:94
	ds_read_b64 v[6:7], v1 offset:760
	v_add_f32_e32 v129, v129, v134
	s_waitcnt vmcnt(15) lgkmcnt(3)
	v_mul_f32_e32 v142, v114, v166
	v_add_f32_e32 v2, v131, v2
	s_waitcnt vmcnt(14)
	v_mul_f32_e32 v130, v116, v167
	s_waitcnt vmcnt(13) lgkmcnt(2)
	v_mul_f32_e32 v135, v118, v168
	v_add_f32_e32 v5, v129, v139
	v_mul_f32_e32 v129, v113, v165
	v_add_f32_e32 v2, v2, v4
	s_waitcnt vmcnt(6)
	v_fmac_f32_e32 v142, v115, v173
	s_waitcnt vmcnt(5)
	v_fmac_f32_e32 v132, v113, v174
	v_add_f32_e32 v4, v5, v140
	v_mul_f32_e32 v5, v115, v166
	v_fma_f32 v110, v112, v174, -v129
	v_add_f32_e32 v2, v2, v8
	v_mul_f32_e32 v8, v117, v167
	v_add_f32_e32 v4, v4, v137
	v_fma_f32 v5, v114, v173, -v5
	v_fmac_f32_e32 v130, v117, v124
	v_add_f32_e32 v2, v2, v110
	v_mul_f32_e32 v110, v119, v168
	v_add_f32_e32 v4, v4, v132
	v_fma_f32 v8, v116, v124, -v8
	v_mul_f32_e32 v3, v120, v169
	v_add_f32_e32 v2, v2, v5
	v_mul_f32_e32 v5, v121, v169
	v_add_f32_e32 v4, v4, v142
	v_fma_f32 v110, v118, v123, -v110
	v_fmac_f32_e32 v135, v119, v123
	v_add_f32_e32 v2, v2, v8
	s_waitcnt lgkmcnt(1)
	v_mul_f32_e32 v8, v107, v170
	v_add_f32_e32 v4, v4, v130
	s_waitcnt vmcnt(1)
	v_fma_f32 v5, v120, v127, -v5
	v_mul_f32_e32 v133, v106, v170
	v_add_f32_e32 v2, v2, v110
	v_fmac_f32_e32 v3, v121, v127
	v_add_f32_e32 v4, v4, v135
	v_mul_f32_e32 v110, v109, v171
	v_fma_f32 v8, v106, v126, -v8
	v_add_f32_e32 v2, v2, v5
	v_mul_f32_e32 v136, v108, v171
	v_fmac_f32_e32 v133, v107, v126
	v_add_f32_e32 v3, v4, v3
	s_waitcnt lgkmcnt(0)
	v_mul_f32_e32 v4, v7, v172
	v_fma_f32 v5, v108, v125, -v110
	v_add_f32_e32 v2, v2, v8
	v_mul_f32_e32 v134, v6, v172
	v_fmac_f32_e32 v136, v109, v125
	v_add_f32_e32 v3, v3, v133
	v_fma_f32 v4, v6, v122, -v4
	v_add_f32_e32 v2, v2, v5
	v_fmac_f32_e32 v134, v7, v122
	v_add_f32_e32 v3, v3, v136
	v_add_f32_e32 v2, v2, v4
	;; [unrolled: 1-line block ×3, first 2 shown]
	s_waitcnt vmcnt(0)
	v_sub_f32_e32 v2, v128, v2
	v_sub_f32_e32 v3, v154, v3
	buffer_store_dword v2, off, s[0:3], 0 offset:64
	buffer_store_dword v3, off, s[0:3], 0 offset:68
	v_cmpx_lt_u32_e32 7, v0
	s_cbranch_execz .LBB111_287
; %bb.286:
	s_clause 0x1
	buffer_load_dword v2, off, s[0:3], 0 offset:56
	buffer_load_dword v3, off, s[0:3], 0 offset:60
	buffer_store_dword v1, off, s[0:3], 0 offset:56
	buffer_store_dword v1, off, s[0:3], 0 offset:60
	s_waitcnt vmcnt(0)
	ds_write_b64 v105, v[2:3]
.LBB111_287:
	s_or_b32 exec_lo, exec_lo, s4
	s_waitcnt lgkmcnt(0)
	s_waitcnt_vscnt null, 0x0
	s_barrier
	buffer_gl0_inv
	s_clause 0x2c
	buffer_load_dword v6, off, s[0:3], 0 offset:68
	buffer_load_dword v7, off, s[0:3], 0 offset:76
	;; [unrolled: 1-line block ×45, first 2 shown]
	ds_read_b128 v[2:5], v1 offset:448
	ds_read_b128 v[106:109], v1 offset:464
	s_clause 0x2
	buffer_load_dword v154, off, s[0:3], 0 offset:60
	buffer_load_dword v155, off, s[0:3], 0 offset:244
	;; [unrolled: 1-line block ×3, first 2 shown]
	s_mov_b32 s4, exec_lo
	s_waitcnt vmcnt(47) lgkmcnt(1)
	v_mul_f32_e32 v152, v3, v6
	v_mul_f32_e32 v6, v2, v6
	s_waitcnt vmcnt(46)
	v_mul_f32_e32 v153, v4, v7
	v_mul_f32_e32 v7, v5, v7
	s_waitcnt vmcnt(43)
	v_fma_f32 v152, v2, v111, -v152
	v_fmac_f32_e32 v6, v3, v111
	v_fmac_f32_e32 v153, v5, v110
	v_fma_f32 v7, v4, v110, -v7
	ds_read_b128 v[2:5], v1 offset:480
	s_waitcnt vmcnt(42) lgkmcnt(1)
	v_mul_f32_e32 v110, v106, v112
	v_mul_f32_e32 v111, v107, v112
	s_waitcnt vmcnt(41)
	v_mul_f32_e32 v112, v108, v113
	v_mul_f32_e32 v113, v109, v113
	v_fmac_f32_e32 v110, v107, v8
	v_fma_f32 v8, v106, v8, -v111
	s_waitcnt vmcnt(37)
	v_fmac_f32_e32 v112, v109, v117
	v_fma_f32 v111, v108, v117, -v113
	ds_read_b128 v[106:109], v1 offset:496
	s_waitcnt vmcnt(36) lgkmcnt(1)
	v_mul_f32_e32 v113, v2, v118
	v_mul_f32_e32 v117, v3, v118
	s_waitcnt vmcnt(35)
	v_mul_f32_e32 v118, v4, v119
	v_mul_f32_e32 v119, v5, v119
	v_fmac_f32_e32 v113, v3, v116
	v_fma_f32 v116, v2, v116, -v117
	v_fmac_f32_e32 v118, v5, v115
	v_fma_f32 v115, v4, v115, -v119
	ds_read_b128 v[2:5], v1 offset:512
	s_waitcnt vmcnt(34) lgkmcnt(1)
	v_mul_f32_e32 v117, v106, v120
	v_mul_f32_e32 v119, v107, v120
	s_waitcnt vmcnt(33)
	v_mul_f32_e32 v120, v108, v121
	v_mul_f32_e32 v121, v109, v121
	v_fmac_f32_e32 v117, v107, v114
	v_fma_f32 v114, v106, v114, -v119
	s_waitcnt vmcnt(29)
	v_fmac_f32_e32 v120, v109, v125
	v_fma_f32 v119, v108, v125, -v121
	ds_read_b128 v[106:109], v1 offset:528
	s_waitcnt vmcnt(28) lgkmcnt(1)
	v_mul_f32_e32 v121, v2, v126
	v_mul_f32_e32 v125, v3, v126
	s_waitcnt vmcnt(27)
	v_mul_f32_e32 v126, v4, v127
	v_mul_f32_e32 v127, v5, v127
	v_fmac_f32_e32 v121, v3, v124
	v_fma_f32 v124, v2, v124, -v125
	;; [unrolled: 23-line block ×5, first 2 shown]
	v_fmac_f32_e32 v150, v5, v147
	v_fma_f32 v147, v4, v147, -v151
	s_clause 0x5
	buffer_load_dword v149, off, s[0:3], 0 offset:272
	buffer_load_dword v151, off, s[0:3], 0 offset:264
	;; [unrolled: 1-line block ×6, first 2 shown]
	v_add_f32_e32 v4, 0, v6
	buffer_load_dword v6, off, s[0:3], 0 offset:276
	v_add_f32_e32 v3, 0, v152
	s_waitcnt vmcnt(8) lgkmcnt(0)
	v_mul_f32_e32 v5, v107, v155
	s_waitcnt vmcnt(7)
	v_mul_f32_e32 v162, v108, v156
	v_add_f32_e32 v4, v4, v153
	v_add_f32_e32 v3, v3, v7
	v_mul_f32_e32 v7, v106, v155
	v_add_f32_e32 v4, v4, v110
	v_add_f32_e32 v3, v3, v8
	s_clause 0x7
	buffer_load_dword v8, off, s[0:3], 0 offset:284
	buffer_load_dword v152, off, s[0:3], 0 offset:304
	;; [unrolled: 1-line block ×8, first 2 shown]
	v_add_f32_e32 v3, v3, v111
	v_add_f32_e32 v4, v4, v112
	v_fmac_f32_e32 v7, v107, v146
	v_fma_f32 v146, v106, v146, -v5
	v_mul_f32_e32 v5, v109, v156
	v_add_f32_e32 v3, v3, v116
	v_add_f32_e32 v4, v4, v113
	s_clause 0x7
	buffer_load_dword v156, off, s[0:3], 0 offset:300
	buffer_load_dword v165, off, s[0:3], 0 offset:324
	;; [unrolled: 1-line block ×8, first 2 shown]
	v_add_f32_e32 v3, v3, v115
	v_add_f32_e32 v4, v4, v118
	buffer_load_dword v172, off, s[0:3], 0 offset:380
	s_waitcnt vmcnt(20)
	v_fmac_f32_e32 v162, v109, v2
	v_fma_f32 v118, v108, v2, -v5
	v_add_f32_e32 v2, v3, v114
	v_add_f32_e32 v3, v4, v117
	;; [unrolled: 1-line block ×8, first 2 shown]
	s_clause 0x3
	buffer_load_dword v126, off, s[0:3], 0 offset:336
	buffer_load_dword v173, off, s[0:3], 0 offset:328
	;; [unrolled: 1-line block ×4, first 2 shown]
	v_add_f32_e32 v2, v2, v122
	v_add_f32_e32 v3, v3, v125
	;; [unrolled: 1-line block ×4, first 2 shown]
	s_clause 0x3
	buffer_load_dword v127, off, s[0:3], 0 offset:368
	buffer_load_dword v128, off, s[0:3], 0 offset:360
	;; [unrolled: 1-line block ×4, first 2 shown]
	v_add_f32_e32 v2, v2, v132
	buffer_load_dword v132, off, s[0:3], 0 offset:376
	v_add_f32_e32 v3, v3, v129
	buffer_load_dword v129, off, s[0:3], 0 offset:56
	v_add_f32_e32 v2, v2, v131
	v_add_f32_e32 v3, v3, v134
	;; [unrolled: 1-line block ×4, first 2 shown]
	ds_read_b128 v[2:5], v1 offset:640
	v_add_f32_e32 v106, v106, v135
	v_add_f32_e32 v107, v107, v136
	;; [unrolled: 1-line block ×4, first 2 shown]
	ds_read_b128 v[106:109], v1 offset:656
	v_add_f32_e32 v110, v110, v139
	v_add_f32_e32 v111, v111, v142
	;; [unrolled: 1-line block ×4, first 2 shown]
	s_waitcnt vmcnt(29) lgkmcnt(1)
	v_mul_f32_e32 v130, v2, v158
	v_mul_f32_e32 v112, v3, v158
	s_waitcnt vmcnt(28)
	v_mul_f32_e32 v131, v4, v159
	v_mul_f32_e32 v113, v5, v159
	v_add_f32_e32 v115, v110, v143
	v_fmac_f32_e32 v130, v3, v157
	v_fma_f32 v122, v2, v157, -v112
	v_fmac_f32_e32 v131, v5, v151
	v_fma_f32 v133, v4, v151, -v113
	ds_read_b128 v[2:5], v1 offset:672
	ds_read_b128 v[110:113], v1 offset:688
	v_add_f32_e32 v114, v114, v144
	s_waitcnt vmcnt(27) lgkmcnt(2)
	v_mul_f32_e32 v134, v106, v6
	v_add_f32_e32 v115, v115, v148
	v_mul_f32_e32 v6, v107, v6
	s_waitcnt vmcnt(26)
	v_mul_f32_e32 v135, v108, v8
	v_add_f32_e32 v114, v114, v145
	v_fmac_f32_e32 v134, v107, v149
	v_add_f32_e32 v107, v115, v147
	v_mul_f32_e32 v8, v109, v8
	v_fma_f32 v6, v106, v149, -v6
	v_add_f32_e32 v119, v114, v150
	s_waitcnt vmcnt(22)
	v_fmac_f32_e32 v135, v109, v160
	v_add_f32_e32 v120, v107, v146
	v_fma_f32 v8, v108, v160, -v8
	ds_read_b128 v[106:109], v1 offset:704
	ds_read_b128 v[114:117], v1 offset:720
	v_add_f32_e32 v7, v119, v7
	v_add_f32_e32 v124, v120, v118
	s_waitcnt vmcnt(21) lgkmcnt(3)
	v_mul_f32_e32 v136, v2, v161
	v_mul_f32_e32 v123, v3, v161
	v_add_f32_e32 v7, v7, v162
	ds_read_b128 v[118:121], v1 offset:736
	s_waitcnt vmcnt(20) lgkmcnt(3)
	v_mul_f32_e32 v137, v111, v163
	v_fmac_f32_e32 v136, v3, v155
	v_add_f32_e32 v3, v124, v122
	v_fma_f32 v2, v2, v155, -v123
	ds_read_b128 v[122:125], v1 offset:752
	v_add_f32_e32 v1, v7, v130
	s_waitcnt vmcnt(18)
	v_mul_f32_e32 v130, v5, v156
	v_add_f32_e32 v3, v3, v133
	v_mul_f32_e32 v7, v4, v156
	v_mul_f32_e32 v133, v110, v163
	v_add_f32_e32 v1, v1, v131
	v_fma_f32 v4, v4, v153, -v130
	v_add_f32_e32 v3, v3, v6
	v_fmac_f32_e32 v7, v5, v153
	v_fma_f32 v110, v110, v152, -v137
	v_add_f32_e32 v1, v1, v134
	v_mul_f32_e32 v131, v112, v164
	v_add_f32_e32 v3, v3, v8
	v_mul_f32_e32 v8, v113, v164
	v_fmac_f32_e32 v133, v111, v152
	v_add_f32_e32 v1, v1, v135
	s_waitcnt vmcnt(17) lgkmcnt(3)
	v_mul_f32_e32 v5, v106, v165
	v_add_f32_e32 v2, v3, v2
	s_waitcnt vmcnt(16)
	v_mul_f32_e32 v130, v108, v166
	s_waitcnt vmcnt(15) lgkmcnt(2)
	v_mul_f32_e32 v6, v114, v167
	v_add_f32_e32 v1, v1, v136
	s_waitcnt vmcnt(14)
	v_mul_f32_e32 v134, v116, v168
	v_add_f32_e32 v2, v2, v4
	v_mul_f32_e32 v4, v107, v165
	s_waitcnt vmcnt(13) lgkmcnt(1)
	v_mul_f32_e32 v138, v118, v169
	v_add_f32_e32 v1, v1, v7
	s_waitcnt vmcnt(12)
	v_mul_f32_e32 v135, v120, v170
	v_add_f32_e32 v2, v2, v110
	s_waitcnt vmcnt(11) lgkmcnt(0)
	v_mul_f32_e32 v139, v122, v171
	s_waitcnt vmcnt(10)
	v_mul_f32_e32 v3, v124, v172
	v_add_f32_e32 v1, v1, v133
	s_waitcnt vmcnt(9)
	v_fmac_f32_e32 v6, v115, v126
	s_waitcnt vmcnt(8)
	v_fmac_f32_e32 v130, v109, v173
	s_waitcnt vmcnt(7)
	v_fma_f32 v4, v106, v174, -v4
	s_waitcnt vmcnt(6)
	v_fma_f32 v7, v112, v175, -v8
	v_fmac_f32_e32 v131, v113, v175
	v_mul_f32_e32 v8, v109, v166
	v_fmac_f32_e32 v5, v107, v174
	v_add_f32_e32 v2, v2, v7
	v_add_f32_e32 v1, v1, v131
	v_mul_f32_e32 v7, v115, v167
	v_fma_f32 v8, v108, v173, -v8
	s_waitcnt vmcnt(3)
	v_fmac_f32_e32 v138, v119, v176
	v_add_f32_e32 v2, v2, v4
	v_add_f32_e32 v1, v1, v5
	v_mul_f32_e32 v4, v117, v168
	v_fma_f32 v5, v114, v126, -v7
	v_mul_f32_e32 v7, v119, v169
	v_add_f32_e32 v2, v2, v8
	v_add_f32_e32 v1, v1, v130
	s_waitcnt vmcnt(2)
	v_fma_f32 v4, v116, v177, -v4
	v_fmac_f32_e32 v134, v117, v177
	v_fmac_f32_e32 v135, v121, v128
	v_add_f32_e32 v2, v2, v5
	v_add_f32_e32 v1, v1, v6
	v_mul_f32_e32 v5, v121, v170
	v_fma_f32 v6, v118, v176, -v7
	v_fmac_f32_e32 v139, v123, v127
	v_add_f32_e32 v2, v2, v4
	v_add_f32_e32 v1, v1, v134
	v_mul_f32_e32 v4, v123, v171
	v_fma_f32 v5, v120, v128, -v5
	s_waitcnt vmcnt(1)
	v_fmac_f32_e32 v3, v125, v132
	v_add_f32_e32 v2, v2, v6
	v_add_f32_e32 v1, v1, v138
	v_mul_f32_e32 v6, v125, v172
	v_fma_f32 v4, v122, v127, -v4
	v_add_f32_e32 v2, v2, v5
	v_add_f32_e32 v1, v1, v135
	v_fma_f32 v5, v124, v132, -v6
	v_add_f32_e32 v2, v2, v4
	v_add_f32_e32 v1, v1, v139
	;; [unrolled: 1-line block ×4, first 2 shown]
	s_waitcnt vmcnt(0)
	v_sub_f32_e32 v2, v129, v2
	v_sub_f32_e32 v1, v154, v1
	buffer_store_dword v2, off, s[0:3], 0 offset:56
	buffer_store_dword v1, off, s[0:3], 0 offset:60
	v_cmpx_lt_u32_e32 6, v0
	s_cbranch_execz .LBB111_289
; %bb.288:
	s_clause 0x1
	buffer_load_dword v1, off, s[0:3], 0 offset:48
	buffer_load_dword v2, off, s[0:3], 0 offset:52
	v_mov_b32_e32 v3, 0
	buffer_store_dword v3, off, s[0:3], 0 offset:48
	buffer_store_dword v3, off, s[0:3], 0 offset:52
	s_waitcnt vmcnt(0)
	ds_write_b64 v105, v[1:2]
.LBB111_289:
	s_or_b32 exec_lo, exec_lo, s4
	s_waitcnt lgkmcnt(0)
	s_waitcnt_vscnt null, 0x0
	s_barrier
	buffer_gl0_inv
	s_clause 0x24
	buffer_load_dword v2, off, s[0:3], 0 offset:60
	buffer_load_dword v3, off, s[0:3], 0 offset:68
	buffer_load_dword v130, off, s[0:3], 0 offset:72
	buffer_load_dword v131, off, s[0:3], 0 offset:64
	buffer_load_dword v132, off, s[0:3], 0 offset:56
	buffer_load_dword v133, off, s[0:3], 0 offset:76
	buffer_load_dword v134, off, s[0:3], 0 offset:84
	buffer_load_dword v135, off, s[0:3], 0 offset:92
	buffer_load_dword v136, off, s[0:3], 0 offset:100
	buffer_load_dword v137, off, s[0:3], 0 offset:104
	buffer_load_dword v138, off, s[0:3], 0 offset:96
	buffer_load_dword v139, off, s[0:3], 0 offset:88
	buffer_load_dword v140, off, s[0:3], 0 offset:80
	buffer_load_dword v141, off, s[0:3], 0 offset:108
	buffer_load_dword v142, off, s[0:3], 0 offset:116
	buffer_load_dword v143, off, s[0:3], 0 offset:124
	buffer_load_dword v8, off, s[0:3], 0 offset:136
	buffer_load_dword v111, off, s[0:3], 0 offset:128
	buffer_load_dword v144, off, s[0:3], 0 offset:120
	buffer_load_dword v145, off, s[0:3], 0 offset:112
	buffer_load_dword v146, off, s[0:3], 0 offset:132
	buffer_load_dword v147, off, s[0:3], 0 offset:140
	buffer_load_dword v148, off, s[0:3], 0 offset:148
	buffer_load_dword v5, off, s[0:3], 0 offset:168
	buffer_load_dword v106, off, s[0:3], 0 offset:160
	buffer_load_dword v112, off, s[0:3], 0 offset:152
	buffer_load_dword v149, off, s[0:3], 0 offset:144
	buffer_load_dword v150, off, s[0:3], 0 offset:156
	buffer_load_dword v151, off, s[0:3], 0 offset:164
	buffer_load_dword v108, off, s[0:3], 0 offset:172
	buffer_load_dword v107, off, s[0:3], 0 offset:180
	buffer_load_dword v4, off, s[0:3], 0 offset:200
	buffer_load_dword v6, off, s[0:3], 0 offset:192
	buffer_load_dword v7, off, s[0:3], 0 offset:184
	buffer_load_dword v113, off, s[0:3], 0 offset:176
	buffer_load_dword v110, off, s[0:3], 0 offset:188
	buffer_load_dword v109, off, s[0:3], 0 offset:196
	v_mov_b32_e32 v1, 0
	ds_read2_b64 v[114:117], v1 offset0:55 offset1:56
	ds_read2_b64 v[118:121], v1 offset0:57 offset1:58
	;; [unrolled: 1-line block ×3, first 2 shown]
	s_clause 0x1
	buffer_load_dword v152, off, s[0:3], 0 offset:204
	buffer_load_dword v153, off, s[0:3], 0 offset:52
	ds_read2_b64 v[126:129], v1 offset0:61 offset1:62
	s_mov_b32 s4, exec_lo
	s_waitcnt vmcnt(38) lgkmcnt(3)
	v_mul_f32_e32 v154, v115, v2
	v_mul_f32_e32 v2, v114, v2
	s_waitcnt vmcnt(37)
	v_mul_f32_e32 v155, v116, v3
	v_mul_f32_e32 v3, v117, v3
	s_waitcnt vmcnt(34)
	v_fma_f32 v154, v114, v132, -v154
	v_fmac_f32_e32 v2, v115, v132
	v_fmac_f32_e32 v155, v117, v131
	v_fma_f32 v3, v116, v131, -v3
	ds_read2_b64 v[114:117], v1 offset0:63 offset1:64
	s_waitcnt vmcnt(33) lgkmcnt(3)
	v_mul_f32_e32 v131, v118, v133
	v_mul_f32_e32 v132, v119, v133
	s_waitcnt vmcnt(32)
	v_mul_f32_e32 v133, v120, v134
	v_mul_f32_e32 v134, v121, v134
	s_waitcnt vmcnt(31) lgkmcnt(2)
	v_mul_f32_e32 v156, v122, v135
	v_fmac_f32_e32 v131, v119, v130
	v_fma_f32 v130, v118, v130, -v132
	s_waitcnt vmcnt(26)
	v_fmac_f32_e32 v133, v121, v140
	v_fma_f32 v134, v120, v140, -v134
	ds_read2_b64 v[118:121], v1 offset0:65 offset1:66
	v_mul_f32_e32 v135, v123, v135
	v_mul_f32_e32 v132, v124, v136
	;; [unrolled: 1-line block ×3, first 2 shown]
	v_fmac_f32_e32 v156, v123, v139
	s_waitcnt vmcnt(24) lgkmcnt(2)
	v_mul_f32_e32 v140, v128, v142
	v_fma_f32 v135, v122, v139, -v135
	v_fmac_f32_e32 v132, v125, v138
	v_fma_f32 v136, v124, v138, -v136
	v_mul_f32_e32 v138, v126, v141
	v_mul_f32_e32 v139, v127, v141
	;; [unrolled: 1-line block ×3, first 2 shown]
	ds_read2_b64 v[122:125], v1 offset0:67 offset1:68
	s_waitcnt vmcnt(19)
	v_fmac_f32_e32 v140, v129, v145
	v_fmac_f32_e32 v138, v127, v137
	v_fma_f32 v126, v126, v137, -v139
	v_fma_f32 v127, v128, v145, -v141
	s_clause 0x4
	buffer_load_dword v128, off, s[0:3], 0 offset:212
	buffer_load_dword v129, off, s[0:3], 0 offset:232
	;; [unrolled: 1-line block ×5, first 2 shown]
	s_waitcnt lgkmcnt(2)
	v_mul_f32_e32 v142, v114, v143
	v_mul_f32_e32 v143, v115, v143
	s_waitcnt vmcnt(23)
	v_mul_f32_e32 v145, v116, v146
	v_mul_f32_e32 v146, v117, v146
	s_waitcnt vmcnt(21) lgkmcnt(1)
	v_mul_f32_e32 v157, v120, v148
	v_fmac_f32_e32 v142, v115, v144
	v_fma_f32 v143, v114, v144, -v143
	v_mul_f32_e32 v144, v118, v147
	v_mul_f32_e32 v114, v119, v147
	buffer_load_dword v147, off, s[0:3], 0 offset:220
	v_fmac_f32_e32 v145, v117, v111
	v_fma_f32 v146, v116, v111, -v146
	v_mul_f32_e32 v111, v121, v148
	v_fmac_f32_e32 v144, v119, v8
	v_fma_f32 v8, v118, v8, -v114
	ds_read2_b64 v[114:117], v1 offset0:69 offset1:70
	s_waitcnt vmcnt(18)
	v_fmac_f32_e32 v157, v121, v149
	v_fma_f32 v148, v120, v149, -v111
	ds_read2_b64 v[118:121], v1 offset0:71 offset1:72
	s_waitcnt vmcnt(17) lgkmcnt(2)
	v_mul_f32_e32 v149, v122, v150
	v_mul_f32_e32 v111, v123, v150
	s_waitcnt vmcnt(16)
	v_mul_f32_e32 v150, v124, v151
	v_mul_f32_e32 v151, v125, v151
	v_add_f32_e32 v2, 0, v2
	v_fmac_f32_e32 v149, v123, v112
	v_fma_f32 v122, v122, v112, -v111
	v_fmac_f32_e32 v150, v125, v106
	v_fma_f32 v123, v124, v106, -v151
	s_clause 0x2
	buffer_load_dword v124, off, s[0:3], 0 offset:228
	buffer_load_dword v125, off, s[0:3], 0 offset:236
	;; [unrolled: 1-line block ×3, first 2 shown]
	s_waitcnt vmcnt(18) lgkmcnt(1)
	v_mul_f32_e32 v151, v114, v108
	v_mul_f32_e32 v106, v115, v108
	s_waitcnt vmcnt(17)
	v_mul_f32_e32 v158, v116, v107
	v_mul_f32_e32 v107, v117, v107
	v_fmac_f32_e32 v151, v115, v5
	v_fma_f32 v115, v114, v5, -v106
	s_waitcnt vmcnt(13)
	v_fmac_f32_e32 v158, v117, v113
	s_waitcnt vmcnt(12) lgkmcnt(0)
	v_mul_f32_e32 v117, v118, v110
	v_mul_f32_e32 v5, v119, v110
	s_waitcnt vmcnt(11)
	v_mul_f32_e32 v110, v120, v109
	v_mul_f32_e32 v106, v121, v109
	v_fma_f32 v116, v116, v113, -v107
	ds_read2_b64 v[111:114], v1 offset0:73 offset1:74
	v_fmac_f32_e32 v117, v119, v7
	v_fma_f32 v7, v118, v7, -v5
	v_fmac_f32_e32 v110, v121, v6
	v_fma_f32 v6, v120, v6, -v106
	s_clause 0x4
	buffer_load_dword v118, off, s[0:3], 0 offset:264
	buffer_load_dword v119, off, s[0:3], 0 offset:256
	;; [unrolled: 1-line block ×5, first 2 shown]
	v_add_f32_e32 v5, 0, v154
	v_add_f32_e32 v3, v5, v3
	;; [unrolled: 1-line block ×3, first 2 shown]
	s_waitcnt vmcnt(15) lgkmcnt(0)
	v_mul_f32_e32 v154, v111, v152
	v_mul_f32_e32 v106, v112, v152
	v_add_f32_e32 v107, v107, v134
	v_fmac_f32_e32 v154, v112, v4
	buffer_load_dword v112, off, s[0:3], 0 offset:260
	v_fma_f32 v111, v111, v4, -v106
	v_add_f32_e32 v106, v2, v155
	ds_read2_b64 v[2:5], v1 offset0:75 offset1:76
	v_add_f32_e32 v107, v107, v135
	v_add_f32_e32 v106, v106, v131
	buffer_load_dword v131, off, s[0:3], 0 offset:276
	v_add_f32_e32 v106, v106, v133
	v_add_f32_e32 v133, v107, v136
	;; [unrolled: 1-line block ×3, first 2 shown]
	s_waitcnt vmcnt(15)
	v_mul_f32_e32 v130, v113, v128
	v_mul_f32_e32 v108, v114, v128
	buffer_load_dword v128, off, s[0:3], 0 offset:268
	s_waitcnt vmcnt(12)
	v_fmac_f32_e32 v130, v114, v141
	v_add_f32_e32 v114, v106, v156
	v_fma_f32 v113, v113, v141, -v108
	ds_read2_b64 v[106:109], v1 offset0:77 offset1:78
	v_add_f32_e32 v114, v114, v132
	s_clause 0x3
	buffer_load_dword v132, off, s[0:3], 0 offset:296
	buffer_load_dword v133, off, s[0:3], 0 offset:288
	buffer_load_dword v136, off, s[0:3], 0 offset:280
	buffer_load_dword v141, off, s[0:3], 0 offset:272
	s_waitcnt vmcnt(15) lgkmcnt(1)
	v_mul_f32_e32 v134, v2, v147
	v_mul_f32_e32 v135, v3, v147
	v_fmac_f32_e32 v134, v3, v139
	v_fma_f32 v135, v2, v139, -v135
	v_add_f32_e32 v2, v114, v138
	s_clause 0x1
	buffer_load_dword v138, off, s[0:3], 0 offset:284
	buffer_load_dword v139, off, s[0:3], 0 offset:292
	v_add_f32_e32 v3, v126, v127
	buffer_load_dword v126, off, s[0:3], 0 offset:300
	v_add_f32_e32 v2, v2, v140
	v_add_f32_e32 v3, v3, v143
	;; [unrolled: 1-line block ×3, first 2 shown]
	s_waitcnt vmcnt(17)
	v_mul_f32_e32 v114, v4, v124
	v_add_f32_e32 v146, v3, v146
	v_mul_f32_e32 v124, v5, v124
	v_add_f32_e32 v127, v127, v145
	s_waitcnt vmcnt(16) lgkmcnt(0)
	v_mul_f32_e32 v145, v106, v125
	v_add_f32_e32 v8, v146, v8
	v_mul_f32_e32 v125, v107, v125
	v_fmac_f32_e32 v114, v5, v137
	v_add_f32_e32 v127, v127, v144
	v_fma_f32 v124, v4, v137, -v124
	s_clause 0x3
	buffer_load_dword v137, off, s[0:3], 0 offset:308
	buffer_load_dword v140, off, s[0:3], 0 offset:316
	;; [unrolled: 1-line block ×4, first 2 shown]
	ds_read2_b64 v[2:5], v1 offset0:79 offset1:80
	v_add_f32_e32 v8, v8, v148
	s_waitcnt vmcnt(19)
	v_mul_f32_e32 v146, v108, v159
	v_mul_f32_e32 v144, v109, v159
	v_fma_f32 v125, v106, v129, -v125
	v_add_f32_e32 v106, v127, v157
	v_add_f32_e32 v8, v8, v122
	v_fmac_f32_e32 v145, v107, v129
	s_clause 0x3
	buffer_load_dword v127, off, s[0:3], 0 offset:340
	buffer_load_dword v129, off, s[0:3], 0 offset:348
	;; [unrolled: 1-line block ×4, first 2 shown]
	v_add_f32_e32 v106, v106, v149
	v_add_f32_e32 v8, v8, v123
	s_waitcnt vmcnt(19)
	v_fmac_f32_e32 v146, v109, v121
	v_fma_f32 v121, v108, v121, -v144
	s_clause 0x5
	buffer_load_dword v144, off, s[0:3], 0 offset:372
	buffer_load_dword v122, off, s[0:3], 0 offset:328
	;; [unrolled: 1-line block ×6, first 2 shown]
	v_add_f32_e32 v123, v106, v150
	v_add_f32_e32 v8, v8, v115
	ds_read2_b64 v[106:109], v1 offset0:81 offset1:82
	s_waitcnt vmcnt(24) lgkmcnt(1)
	v_mul_f32_e32 v150, v3, v160
	v_add_f32_e32 v115, v123, v151
	v_mul_f32_e32 v123, v2, v160
	v_add_f32_e32 v8, v8, v116
	v_fmac_f32_e32 v123, v3, v120
	v_fma_f32 v120, v2, v120, -v150
	v_add_f32_e32 v3, v8, v7
	s_clause 0x3
	buffer_load_dword v8, off, s[0:3], 0 offset:360
	buffer_load_dword v150, off, s[0:3], 0 offset:352
	;; [unrolled: 1-line block ×4, first 2 shown]
	v_add_f32_e32 v2, v115, v158
	s_clause 0x2
	buffer_load_dword v158, off, s[0:3], 0 offset:376
	buffer_load_dword v159, off, s[0:3], 0 offset:368
	;; [unrolled: 1-line block ×3, first 2 shown]
	v_add_f32_e32 v3, v3, v6
	s_waitcnt vmcnt(30)
	v_mul_f32_e32 v161, v4, v112
	v_add_f32_e32 v2, v2, v117
	v_add_f32_e32 v6, v3, v111
	v_mul_f32_e32 v3, v5, v112
	v_add_f32_e32 v2, v2, v110
	v_fmac_f32_e32 v161, v5, v119
	s_waitcnt vmcnt(29) lgkmcnt(0)
	v_mul_f32_e32 v116, v109, v131
	v_add_f32_e32 v6, v6, v113
	ds_read2_b64 v[110:113], v1 offset0:85 offset1:86
	v_add_f32_e32 v7, v2, v154
	v_fma_f32 v154, v4, v119, -v3
	ds_read2_b64 v[2:5], v1 offset0:83 offset1:84
	v_add_f32_e32 v6, v6, v135
	v_add_f32_e32 v7, v7, v130
	;; [unrolled: 1-line block ×9, first 2 shown]
	s_waitcnt vmcnt(28)
	v_mul_f32_e32 v130, v106, v128
	v_mul_f32_e32 v115, v107, v128
	;; [unrolled: 1-line block ×3, first 2 shown]
	v_fmac_f32_e32 v130, v107, v118
	v_fma_f32 v131, v106, v118, -v115
	s_waitcnt vmcnt(24)
	v_fma_f32 v124, v108, v141, -v116
	v_fmac_f32_e32 v128, v109, v141
	ds_read2_b64 v[106:109], v1 offset0:87 offset1:88
	ds_read2_b64 v[114:117], v1 offset0:89 offset1:90
	s_waitcnt vmcnt(23) lgkmcnt(2)
	v_mul_f32_e32 v125, v2, v138
	v_mul_f32_e32 v118, v3, v138
	s_waitcnt vmcnt(22)
	v_mul_f32_e32 v134, v4, v139
	v_mul_f32_e32 v135, v5, v139
	s_waitcnt vmcnt(21)
	v_mul_f32_e32 v138, v110, v126
	v_fmac_f32_e32 v125, v3, v136
	v_fma_f32 v136, v2, v136, -v118
	v_add_f32_e32 v2, v7, v146
	v_fmac_f32_e32 v134, v5, v133
	v_fma_f32 v133, v4, v133, -v135
	v_add_f32_e32 v135, v6, v154
	v_mul_f32_e32 v126, v111, v126
	v_add_f32_e32 v123, v2, v123
	v_fmac_f32_e32 v138, v111, v132
	ds_read2_b64 v[118:121], v1 offset0:91 offset1:92
	ds_read2_b64 v[2:5], v1 offset0:93 offset1:94
	v_add_f32_e32 v131, v135, v131
	v_add_f32_e32 v123, v123, v161
	v_fma_f32 v110, v110, v132, -v126
	s_waitcnt vmcnt(20)
	v_mul_f32_e32 v135, v113, v137
	v_mul_f32_e32 v139, v112, v137
	v_add_f32_e32 v124, v131, v124
	v_add_f32_e32 v123, v123, v130
	s_waitcnt vmcnt(19) lgkmcnt(3)
	v_mul_f32_e32 v130, v106, v140
	v_mul_f32_e32 v132, v107, v140
	s_waitcnt vmcnt(18)
	v_mul_f32_e32 v131, v108, v142
	v_add_f32_e32 v124, v124, v136
	v_add_f32_e32 v123, v123, v128
	s_waitcnt vmcnt(17) lgkmcnt(2)
	v_mul_f32_e32 v137, v114, v143
	s_waitcnt vmcnt(16)
	v_mul_f32_e32 v128, v116, v127
	ds_read_b64 v[6:7], v1 offset:760
	v_add_f32_e32 v124, v124, v133
	v_add_f32_e32 v123, v123, v125
	s_waitcnt vmcnt(15) lgkmcnt(2)
	v_mul_f32_e32 v136, v118, v129
	s_waitcnt vmcnt(11)
	v_fmac_f32_e32 v137, v115, v122
	v_add_f32_e32 v110, v124, v110
	v_add_f32_e32 v123, v123, v134
	s_waitcnt vmcnt(8)
	v_fma_f32 v112, v112, v155, -v135
	v_fmac_f32_e32 v139, v113, v155
	v_fmac_f32_e32 v130, v107, v152
	v_fma_f32 v106, v106, v152, -v132
	v_add_f32_e32 v113, v123, v138
	v_mul_f32_e32 v123, v109, v142
	v_add_f32_e32 v107, v110, v112
	v_mul_f32_e32 v112, v115, v143
	v_fmac_f32_e32 v131, v109, v149
	v_add_f32_e32 v110, v113, v139
	v_fma_f32 v108, v108, v149, -v123
	v_add_f32_e32 v106, v107, v106
	v_mul_f32_e32 v109, v117, v127
	v_mul_f32_e32 v111, v120, v147
	v_add_f32_e32 v107, v110, v130
	v_fma_f32 v110, v114, v122, -v112
	v_add_f32_e32 v106, v106, v108
	v_mul_f32_e32 v108, v119, v129
	s_waitcnt vmcnt(3)
	v_fma_f32 v109, v116, v157, -v109
	v_add_f32_e32 v107, v107, v131
	v_fmac_f32_e32 v128, v117, v157
	v_add_f32_e32 v106, v106, v110
	v_mul_f32_e32 v110, v121, v147
	v_fma_f32 v108, v118, v151, -v108
	v_add_f32_e32 v107, v107, v137
	v_fmac_f32_e32 v136, v119, v151
	v_add_f32_e32 v106, v106, v109
	s_waitcnt lgkmcnt(1)
	v_mul_f32_e32 v125, v2, v148
	v_mul_f32_e32 v109, v3, v148
	v_add_f32_e32 v107, v107, v128
	v_fma_f32 v110, v120, v150, -v110
	v_add_f32_e32 v106, v106, v108
	v_fmac_f32_e32 v111, v121, v150
	v_mul_f32_e32 v108, v5, v144
	v_add_f32_e32 v107, v107, v136
	v_fmac_f32_e32 v125, v3, v8
	v_fma_f32 v2, v2, v8, -v109
	v_add_f32_e32 v3, v106, v110
	v_mul_f32_e32 v126, v4, v144
	v_add_f32_e32 v8, v107, v111
	s_waitcnt lgkmcnt(0)
	v_mul_f32_e32 v106, v7, v156
	s_waitcnt vmcnt(1)
	v_fma_f32 v4, v4, v159, -v108
	v_add_f32_e32 v2, v3, v2
	v_mul_f32_e32 v133, v6, v156
	v_fmac_f32_e32 v126, v5, v159
	v_add_f32_e32 v3, v8, v125
	v_fma_f32 v5, v6, v158, -v106
	v_add_f32_e32 v2, v2, v4
	v_fmac_f32_e32 v133, v7, v158
	v_add_f32_e32 v3, v3, v126
	v_add_f32_e32 v2, v2, v5
	;; [unrolled: 1-line block ×3, first 2 shown]
	s_waitcnt vmcnt(0)
	v_sub_f32_e32 v2, v160, v2
	v_sub_f32_e32 v3, v153, v3
	buffer_store_dword v2, off, s[0:3], 0 offset:48
	buffer_store_dword v3, off, s[0:3], 0 offset:52
	v_cmpx_lt_u32_e32 5, v0
	s_cbranch_execz .LBB111_291
; %bb.290:
	s_clause 0x1
	buffer_load_dword v2, off, s[0:3], 0 offset:40
	buffer_load_dword v3, off, s[0:3], 0 offset:44
	buffer_store_dword v1, off, s[0:3], 0 offset:40
	buffer_store_dword v1, off, s[0:3], 0 offset:44
	s_waitcnt vmcnt(0)
	ds_write_b64 v105, v[2:3]
.LBB111_291:
	s_or_b32 exec_lo, exec_lo, s4
	s_waitcnt lgkmcnt(0)
	s_waitcnt_vscnt null, 0x0
	s_barrier
	buffer_gl0_inv
	s_clause 0x24
	buffer_load_dword v134, off, s[0:3], 0 offset:52
	buffer_load_dword v2, off, s[0:3], 0 offset:60
	;; [unrolled: 1-line block ×37, first 2 shown]
	ds_read_b128 v[118:121], v1 offset:432
	ds_read_b128 v[122:125], v1 offset:448
	;; [unrolled: 1-line block ×3, first 2 shown]
	s_clause 0x1
	buffer_load_dword v152, off, s[0:3], 0 offset:196
	buffer_load_dword v153, off, s[0:3], 0 offset:204
	ds_read_b128 v[130:133], v1 offset:480
	buffer_load_dword v155, off, s[0:3], 0 offset:44
	s_mov_b32 s4, exec_lo
	s_waitcnt vmcnt(39) lgkmcnt(3)
	v_mul_f32_e32 v154, v119, v134
	v_mul_f32_e32 v134, v118, v134
	s_waitcnt vmcnt(38)
	v_mul_f32_e32 v156, v120, v2
	v_mul_f32_e32 v2, v121, v2
	s_waitcnt vmcnt(35)
	v_fma_f32 v154, v118, v137, -v154
	v_fmac_f32_e32 v134, v119, v137
	v_fmac_f32_e32 v156, v121, v136
	v_fma_f32 v2, v120, v136, -v2
	s_waitcnt vmcnt(33) lgkmcnt(2)
	v_mul_f32_e32 v136, v124, v139
	v_mul_f32_e32 v119, v125, v139
	;; [unrolled: 1-line block ×4, first 2 shown]
	s_waitcnt vmcnt(32) lgkmcnt(1)
	v_mul_f32_e32 v138, v126, v140
	v_mul_f32_e32 v139, v127, v140
	s_waitcnt vmcnt(28)
	v_fmac_f32_e32 v136, v125, v143
	v_fma_f32 v140, v124, v143, -v119
	s_waitcnt vmcnt(27)
	v_mul_f32_e32 v143, v128, v144
	v_mul_f32_e32 v144, v129, v144
	v_fmac_f32_e32 v137, v123, v135
	v_fma_f32 v135, v122, v135, -v118
	ds_read_b128 v[118:121], v1 offset:496
	ds_read_b128 v[122:125], v1 offset:512
	v_fmac_f32_e32 v138, v127, v142
	v_fma_f32 v139, v126, v142, -v139
	s_waitcnt vmcnt(26) lgkmcnt(2)
	v_mul_f32_e32 v142, v130, v145
	v_mul_f32_e32 v126, v131, v145
	v_fmac_f32_e32 v143, v129, v141
	v_fma_f32 v141, v128, v141, -v144
	s_waitcnt vmcnt(25)
	v_mul_f32_e32 v144, v132, v146
	v_mul_f32_e32 v127, v133, v146
	s_clause 0x3
	buffer_load_dword v145, off, s[0:3], 0 offset:224
	buffer_load_dword v146, off, s[0:3], 0 offset:216
	;; [unrolled: 1-line block ×4, first 2 shown]
	v_fmac_f32_e32 v142, v131, v108
	v_fma_f32 v130, v130, v108, -v126
	s_waitcnt vmcnt(25)
	v_fmac_f32_e32 v144, v133, v147
	v_fma_f32 v131, v132, v147, -v127
	ds_read_b128 v[126:129], v1 offset:528
	s_clause 0x1
	buffer_load_dword v159, off, s[0:3], 0 offset:212
	buffer_load_dword v160, off, s[0:3], 0 offset:220
	s_waitcnt vmcnt(26) lgkmcnt(2)
	v_mul_f32_e32 v132, v118, v148
	v_mul_f32_e32 v108, v119, v148
	s_waitcnt vmcnt(25)
	v_mul_f32_e32 v133, v120, v149
	v_mul_f32_e32 v147, v121, v149
	s_waitcnt vmcnt(24) lgkmcnt(1)
	v_mul_f32_e32 v149, v122, v150
	v_fmac_f32_e32 v132, v119, v115
	v_fma_f32 v148, v118, v115, -v108
	v_fmac_f32_e32 v133, v121, v109
	v_fma_f32 v147, v120, v109, -v147
	ds_read_b128 v[118:121], v1 offset:544
	v_mul_f32_e32 v108, v123, v150
	s_waitcnt vmcnt(23)
	v_mul_f32_e32 v109, v125, v114
	v_mul_f32_e32 v150, v124, v114
	v_fmac_f32_e32 v149, v123, v6
	v_fma_f32 v6, v122, v6, -v108
	s_waitcnt vmcnt(19)
	v_fma_f32 v122, v124, v151, -v109
	s_waitcnt vmcnt(18) lgkmcnt(1)
	v_mul_f32_e32 v123, v126, v117
	v_mul_f32_e32 v108, v127, v117
	s_waitcnt vmcnt(17)
	v_mul_f32_e32 v124, v128, v116
	v_mul_f32_e32 v109, v129, v116
	ds_read_b128 v[114:117], v1 offset:560
	v_fmac_f32_e32 v150, v125, v151
	v_fmac_f32_e32 v123, v127, v110
	buffer_load_dword v125, off, s[0:3], 0 offset:228
	v_fma_f32 v110, v126, v110, -v108
	v_fmac_f32_e32 v124, v129, v8
	v_fma_f32 v8, v128, v8, -v109
	s_waitcnt vmcnt(16) lgkmcnt(1)
	v_mul_f32_e32 v127, v120, v106
	v_mul_f32_e32 v106, v121, v106
	;; [unrolled: 1-line block ×4, first 2 shown]
	s_waitcnt vmcnt(12)
	v_fmac_f32_e32 v127, v121, v113
	v_fma_f32 v113, v120, v113, -v106
	buffer_load_dword v120, off, s[0:3], 0 offset:236
	v_fmac_f32_e32 v126, v119, v4
	v_fma_f32 v118, v118, v4, -v107
	ds_read_b128 v[106:109], v1 offset:576
	s_waitcnt vmcnt(12) lgkmcnt(1)
	v_mul_f32_e32 v119, v114, v112
	v_mul_f32_e32 v4, v115, v112
	s_waitcnt vmcnt(11)
	v_mul_f32_e32 v112, v116, v111
	v_mul_f32_e32 v111, v117, v111
	v_fmac_f32_e32 v119, v115, v7
	v_fma_f32 v7, v114, v7, -v4
	v_fmac_f32_e32 v112, v117, v5
	v_fma_f32 v111, v116, v5, -v111
	s_clause 0x4
	buffer_load_dword v114, off, s[0:3], 0 offset:256
	buffer_load_dword v115, off, s[0:3], 0 offset:248
	;; [unrolled: 1-line block ×5, first 2 shown]
	v_add_f32_e32 v4, 0, v154
	v_add_f32_e32 v5, 0, v134
	s_clause 0x1
	buffer_load_dword v128, off, s[0:3], 0 offset:252
	buffer_load_dword v129, off, s[0:3], 0 offset:260
	v_add_f32_e32 v2, v4, v2
	v_add_f32_e32 v4, v5, v156
	s_waitcnt vmcnt(17) lgkmcnt(0)
	v_mul_f32_e32 v134, v106, v152
	v_mul_f32_e32 v5, v107, v152
	v_add_f32_e32 v2, v2, v135
	v_add_f32_e32 v4, v4, v137
	s_waitcnt vmcnt(16)
	v_mul_f32_e32 v137, v109, v153
	v_fmac_f32_e32 v134, v107, v3
	v_fma_f32 v151, v106, v3, -v5
	v_add_f32_e32 v106, v2, v140
	v_add_f32_e32 v107, v4, v136
	ds_read_b128 v[2:5], v1 offset:592
	v_mul_f32_e32 v135, v108, v153
	v_add_f32_e32 v106, v106, v139
	v_add_f32_e32 v107, v107, v138
	;; [unrolled: 1-line block ×10, first 2 shown]
	s_waitcnt vmcnt(11)
	v_fma_f32 v136, v108, v158, -v137
	s_clause 0x7
	buffer_load_dword v137, off, s[0:3], 0 offset:268
	buffer_load_dword v138, off, s[0:3], 0 offset:288
	;; [unrolled: 1-line block ×8, first 2 shown]
	v_fmac_f32_e32 v135, v109, v158
	ds_read_b128 v[106:109], v1 offset:608
	s_waitcnt vmcnt(18) lgkmcnt(1)
	v_mul_f32_e32 v144, v2, v159
	v_mul_f32_e32 v153, v3, v159
	s_waitcnt vmcnt(17)
	v_mul_f32_e32 v143, v4, v160
	v_mul_f32_e32 v148, v5, v160
	v_fmac_f32_e32 v144, v3, v157
	v_add_f32_e32 v3, v131, v147
	v_add_f32_e32 v131, v132, v133
	v_fma_f32 v132, v2, v157, -v153
	v_fmac_f32_e32 v143, v5, v146
	v_fma_f32 v133, v4, v146, -v148
	v_add_f32_e32 v2, v3, v6
	v_add_f32_e32 v3, v131, v149
	s_clause 0x7
	buffer_load_dword v6, off, s[0:3], 0 offset:300
	buffer_load_dword v131, off, s[0:3], 0 offset:308
	;; [unrolled: 1-line block ×8, first 2 shown]
	v_add_f32_e32 v2, v2, v122
	v_add_f32_e32 v3, v3, v150
	s_clause 0x3
	buffer_load_dword v150, off, s[0:3], 0 offset:332
	buffer_load_dword v157, off, s[0:3], 0 offset:340
	;; [unrolled: 1-line block ×4, first 2 shown]
	v_add_f32_e32 v2, v2, v110
	v_add_f32_e32 v8, v2, v8
	s_waitcnt vmcnt(28) lgkmcnt(0)
	v_mul_f32_e32 v4, v107, v125
	v_mul_f32_e32 v156, v106, v125
	v_add_f32_e32 v8, v8, v118
	v_fma_f32 v122, v106, v145, -v4
	v_add_f32_e32 v106, v3, v123
	v_fmac_f32_e32 v156, v107, v145
	s_clause 0x2
	buffer_load_dword v145, off, s[0:3], 0 offset:364
	buffer_load_dword v160, off, s[0:3], 0 offset:372
	;; [unrolled: 1-line block ×3, first 2 shown]
	v_add_f32_e32 v8, v8, v113
	v_add_f32_e32 v106, v106, v124
	s_waitcnt vmcnt(30)
	v_mul_f32_e32 v3, v109, v120
	v_mul_f32_e32 v123, v108, v120
	v_add_f32_e32 v7, v8, v7
	v_add_f32_e32 v106, v106, v126
	;; [unrolled: 1-line block ×4, first 2 shown]
	s_waitcnt vmcnt(26)
	v_fma_f32 v120, v108, v117, -v3
	ds_read_b128 v[2:5], v1 offset:624
	s_clause 0x3
	buffer_load_dword v126, off, s[0:3], 0 offset:352
	buffer_load_dword v162, off, s[0:3], 0 offset:344
	;; [unrolled: 1-line block ×4, first 2 shown]
	v_add_f32_e32 v8, v106, v119
	v_fmac_f32_e32 v123, v109, v117
	ds_read_b128 v[106:109], v1 offset:640
	s_waitcnt vmcnt(29) lgkmcnt(1)
	v_mul_f32_e32 v118, v2, v121
	v_mul_f32_e32 v110, v3, v121
	s_waitcnt vmcnt(28)
	v_mul_f32_e32 v124, v4, v128
	s_waitcnt vmcnt(27) lgkmcnt(0)
	v_mul_f32_e32 v117, v107, v129
	v_fmac_f32_e32 v118, v3, v116
	v_fma_f32 v119, v2, v116, -v110
	v_add_f32_e32 v2, v8, v112
	v_add_f32_e32 v3, v7, v151
	s_clause 0x2
	buffer_load_dword v7, off, s[0:3], 0 offset:376
	buffer_load_dword v8, off, s[0:3], 0 offset:368
	;; [unrolled: 1-line block ×3, first 2 shown]
	v_mul_f32_e32 v110, v5, v128
	v_fmac_f32_e32 v124, v5, v115
	v_add_f32_e32 v2, v2, v134
	buffer_load_dword v134, off, s[0:3], 0 offset:40
	v_add_f32_e32 v3, v3, v136
	v_fma_f32 v121, v4, v115, -v110
	v_mul_f32_e32 v128, v106, v129
	v_add_f32_e32 v111, v2, v135
	v_add_f32_e32 v115, v3, v132
	ds_read_b128 v[2:5], v1 offset:656
	v_fma_f32 v132, v106, v114, -v117
	v_add_f32_e32 v116, v111, v144
	ds_read_b128 v[110:113], v1 offset:672
	v_add_f32_e32 v115, v115, v133
	v_fmac_f32_e32 v128, v107, v114
	v_add_f32_e32 v116, v116, v143
	v_add_f32_e32 v122, v115, v122
	;; [unrolled: 1-line block ×4, first 2 shown]
	s_waitcnt vmcnt(30)
	v_mul_f32_e32 v125, v109, v137
	v_mul_f32_e32 v129, v108, v137
	s_waitcnt vmcnt(25) lgkmcnt(1)
	v_mul_f32_e32 v135, v2, v130
	v_mul_f32_e32 v122, v3, v130
	v_fma_f32 v133, v108, v152, -v125
	v_add_f32_e32 v125, v116, v156
	s_waitcnt vmcnt(23) lgkmcnt(0)
	v_mul_f32_e32 v136, v110, v142
	v_fmac_f32_e32 v135, v3, v140
	v_fma_f32 v140, v2, v140, -v122
	v_mul_f32_e32 v130, v4, v141
	v_add_f32_e32 v123, v125, v123
	v_mul_f32_e32 v125, v5, v141
	v_mul_f32_e32 v137, v111, v142
	v_fmac_f32_e32 v136, v111, v138
	v_fmac_f32_e32 v129, v109, v152
	v_add_f32_e32 v122, v123, v118
	v_add_f32_e32 v123, v119, v121
	ds_read_b128 v[106:109], v1 offset:688
	ds_read_b128 v[114:117], v1 offset:704
	v_fmac_f32_e32 v130, v5, v139
	v_fma_f32 v139, v4, v139, -v125
	v_add_f32_e32 v141, v122, v124
	v_add_f32_e32 v111, v123, v132
	ds_read_b128 v[2:5], v1 offset:720
	ds_read_b128 v[118:121], v1 offset:736
	;; [unrolled: 1-line block ×3, first 2 shown]
	v_fma_f32 v110, v110, v138, -v137
	v_add_f32_e32 v1, v141, v128
	v_add_f32_e32 v111, v111, v133
	s_waitcnt vmcnt(22)
	v_mul_f32_e32 v128, v112, v6
	v_mul_f32_e32 v6, v113, v6
	v_add_f32_e32 v1, v1, v129
	v_add_f32_e32 v111, v111, v140
	s_waitcnt vmcnt(15)
	v_fmac_f32_e32 v128, v113, v154
	v_fma_f32 v6, v112, v154, -v6
	v_add_f32_e32 v1, v1, v135
	v_add_f32_e32 v111, v111, v139
	s_waitcnt lgkmcnt(4)
	v_mul_f32_e32 v132, v106, v131
	v_mul_f32_e32 v131, v107, v131
	;; [unrolled: 1-line block ×3, first 2 shown]
	v_add_f32_e32 v1, v1, v130
	v_add_f32_e32 v110, v111, v110
	v_mul_f32_e32 v130, v109, v146
	v_fma_f32 v106, v106, v153, -v131
	v_fmac_f32_e32 v132, v107, v153
	v_add_f32_e32 v1, v1, v136
	v_add_f32_e32 v6, v110, v6
	s_waitcnt lgkmcnt(3)
	v_mul_f32_e32 v107, v115, v147
	v_fma_f32 v108, v108, v149, -v130
	v_mul_f32_e32 v112, v114, v147
	v_add_f32_e32 v1, v1, v128
	v_add_f32_e32 v6, v6, v106
	v_fmac_f32_e32 v129, v109, v149
	s_waitcnt vmcnt(14)
	v_mul_f32_e32 v106, v117, v150
	v_fma_f32 v107, v114, v148, -v107
	v_add_f32_e32 v1, v1, v132
	v_add_f32_e32 v6, v6, v108
	v_mul_f32_e32 v113, v116, v150
	v_fmac_f32_e32 v112, v115, v148
	s_waitcnt vmcnt(13) lgkmcnt(2)
	v_mul_f32_e32 v133, v2, v157
	v_add_f32_e32 v1, v1, v129
	v_mul_f32_e32 v108, v3, v157
	v_add_f32_e32 v6, v6, v107
	s_waitcnt vmcnt(4)
	v_fma_f32 v106, v116, v164, -v106
	v_fmac_f32_e32 v113, v117, v164
	v_add_f32_e32 v1, v1, v112
	v_mul_f32_e32 v107, v5, v158
	v_fmac_f32_e32 v133, v3, v163
	v_fma_f32 v2, v2, v163, -v108
	v_add_f32_e32 v3, v6, v106
	v_mul_f32_e32 v135, v4, v158
	v_add_f32_e32 v1, v1, v113
	s_waitcnt lgkmcnt(1)
	v_mul_f32_e32 v6, v119, v159
	v_fma_f32 v4, v4, v162, -v107
	v_add_f32_e32 v2, v3, v2
	v_mul_f32_e32 v137, v118, v159
	v_fmac_f32_e32 v135, v5, v162
	v_add_f32_e32 v1, v1, v133
	v_mul_f32_e32 v3, v121, v145
	v_fma_f32 v5, v118, v126, -v6
	v_add_f32_e32 v2, v2, v4
	v_mul_f32_e32 v138, v120, v145
	v_fmac_f32_e32 v137, v119, v126
	v_add_f32_e32 v1, v1, v135
	s_waitcnt lgkmcnt(0)
	v_mul_f32_e32 v4, v123, v160
	v_add_f32_e32 v2, v2, v5
	v_mul_f32_e32 v139, v122, v160
	v_mul_f32_e32 v5, v125, v161
	v_add_f32_e32 v1, v1, v137
	v_mul_f32_e32 v111, v124, v161
	s_waitcnt vmcnt(2)
	v_fma_f32 v4, v122, v8, -v4
	s_waitcnt vmcnt(1)
	v_fma_f32 v3, v120, v127, -v3
	v_fmac_f32_e32 v138, v121, v127
	v_fmac_f32_e32 v139, v123, v8
	;; [unrolled: 1-line block ×3, first 2 shown]
	v_add_f32_e32 v2, v2, v3
	v_add_f32_e32 v1, v1, v138
	v_fma_f32 v3, v124, v7, -v5
	v_add_f32_e32 v2, v2, v4
	v_add_f32_e32 v1, v1, v139
	;; [unrolled: 1-line block ×4, first 2 shown]
	s_waitcnt vmcnt(0)
	v_sub_f32_e32 v2, v134, v2
	v_sub_f32_e32 v1, v155, v1
	buffer_store_dword v2, off, s[0:3], 0 offset:40
	buffer_store_dword v1, off, s[0:3], 0 offset:44
	v_cmpx_lt_u32_e32 4, v0
	s_cbranch_execz .LBB111_293
; %bb.292:
	s_clause 0x1
	buffer_load_dword v1, off, s[0:3], 0 offset:32
	buffer_load_dword v2, off, s[0:3], 0 offset:36
	v_mov_b32_e32 v3, 0
	buffer_store_dword v3, off, s[0:3], 0 offset:32
	buffer_store_dword v3, off, s[0:3], 0 offset:36
	s_waitcnt vmcnt(0)
	ds_write_b64 v105, v[1:2]
.LBB111_293:
	s_or_b32 exec_lo, exec_lo, s4
	s_waitcnt lgkmcnt(0)
	s_waitcnt_vscnt null, 0x0
	s_barrier
	buffer_gl0_inv
	s_clause 0x2c
	buffer_load_dword v144, off, s[0:3], 0 offset:44
	buffer_load_dword v145, off, s[0:3], 0 offset:52
	;; [unrolled: 1-line block ×45, first 2 shown]
	v_mov_b32_e32 v1, 0
	ds_read2_b64 v[136:139], v1 offset0:53 offset1:54
	ds_read2_b64 v[140:143], v1 offset0:55 offset1:56
	buffer_load_dword v154, off, s[0:3], 0 offset:36
	s_mov_b32 s4, exec_lo
	s_waitcnt vmcnt(45) lgkmcnt(1)
	v_mul_f32_e32 v152, v137, v144
	v_mul_f32_e32 v144, v136, v144
	s_waitcnt vmcnt(44)
	v_mul_f32_e32 v153, v138, v145
	v_mul_f32_e32 v145, v139, v145
	s_waitcnt vmcnt(41)
	v_fma_f32 v152, v136, v133, -v152
	v_fmac_f32_e32 v144, v137, v133
	v_fmac_f32_e32 v153, v139, v129
	v_fma_f32 v145, v138, v129, -v145
	ds_read2_b64 v[136:139], v1 offset0:57 offset1:58
	s_waitcnt vmcnt(40) lgkmcnt(1)
	v_mul_f32_e32 v155, v140, v128
	v_mul_f32_e32 v128, v141, v128
	s_waitcnt vmcnt(39)
	v_mul_f32_e32 v156, v142, v126
	v_mul_f32_e32 v126, v143, v126
	v_fmac_f32_e32 v155, v141, v115
	v_fma_f32 v115, v140, v115, -v128
	s_waitcnt vmcnt(35)
	v_fmac_f32_e32 v156, v143, v134
	v_fma_f32 v157, v142, v134, -v126
	ds_read2_b64 v[140:143], v1 offset0:59 offset1:60
	s_waitcnt vmcnt(34) lgkmcnt(1)
	v_mul_f32_e32 v158, v136, v132
	v_mul_f32_e32 v126, v137, v132
	s_waitcnt vmcnt(33)
	v_mul_f32_e32 v159, v138, v131
	v_mul_f32_e32 v128, v139, v131
	ds_read2_b64 v[131:134], v1 offset0:61 offset1:62
	v_fmac_f32_e32 v158, v137, v123
	v_fma_f32 v123, v136, v123, -v126
	v_fmac_f32_e32 v159, v139, v118
	v_fma_f32 v160, v138, v118, -v128
	ds_read2_b64 v[136:139], v1 offset0:63 offset1:64
	s_waitcnt vmcnt(32) lgkmcnt(2)
	v_mul_f32_e32 v161, v140, v122
	v_mul_f32_e32 v118, v141, v122
	s_waitcnt vmcnt(31)
	v_mul_f32_e32 v122, v142, v120
	v_mul_f32_e32 v120, v143, v120
	v_fmac_f32_e32 v161, v141, v8
	v_fma_f32 v8, v140, v8, -v118
	s_waitcnt vmcnt(27)
	v_fmac_f32_e32 v122, v143, v130
	v_fma_f32 v140, v142, v130, -v120
	s_waitcnt vmcnt(26) lgkmcnt(1)
	v_mul_f32_e32 v141, v131, v127
	v_mul_f32_e32 v118, v132, v127
	s_waitcnt vmcnt(25)
	v_mul_f32_e32 v142, v133, v125
	v_mul_f32_e32 v120, v134, v125
	ds_read2_b64 v[125:128], v1 offset0:65 offset1:66
	v_fmac_f32_e32 v141, v132, v116
	v_fma_f32 v116, v131, v116, -v118
	ds_read2_b64 v[129:132], v1 offset0:67 offset1:68
	v_fmac_f32_e32 v142, v134, v110
	v_fma_f32 v133, v133, v110, -v120
	s_waitcnt vmcnt(24) lgkmcnt(2)
	v_mul_f32_e32 v134, v136, v114
	v_mul_f32_e32 v110, v137, v114
	s_waitcnt vmcnt(23)
	v_mul_f32_e32 v114, v138, v112
	v_mul_f32_e32 v112, v139, v112
	v_fmac_f32_e32 v134, v137, v4
	v_fma_f32 v136, v136, v4, -v110
	s_waitcnt vmcnt(19)
	v_fmac_f32_e32 v114, v139, v124
	v_fma_f32 v124, v138, v124, -v112
	s_waitcnt vmcnt(18) lgkmcnt(1)
	v_mul_f32_e32 v137, v125, v121
	v_mul_f32_e32 v4, v126, v121
	s_waitcnt vmcnt(17)
	v_mul_f32_e32 v138, v127, v119
	v_mul_f32_e32 v110, v128, v119
	ds_read2_b64 v[118:121], v1 offset0:69 offset1:70
	v_fmac_f32_e32 v137, v126, v109
	v_fma_f32 v125, v125, v109, -v4
	v_fmac_f32_e32 v138, v128, v106
	v_fma_f32 v126, v127, v106, -v110
	s_waitcnt vmcnt(15) lgkmcnt(1)
	v_mul_f32_e32 v128, v131, v107
	v_mul_f32_e32 v106, v132, v107
	;; [unrolled: 1-line block ×4, first 2 shown]
	s_waitcnt vmcnt(11)
	v_fmac_f32_e32 v128, v132, v117
	v_fma_f32 v117, v131, v117, -v106
	ds_read2_b64 v[106:109], v1 offset0:71 offset1:72
	v_fmac_f32_e32 v127, v130, v3
	v_fma_f32 v129, v129, v3, -v4
	s_waitcnt vmcnt(10) lgkmcnt(1)
	v_mul_f32_e32 v130, v118, v113
	v_mul_f32_e32 v3, v119, v113
	s_waitcnt vmcnt(9)
	v_mul_f32_e32 v131, v120, v111
	v_mul_f32_e32 v4, v121, v111
	ds_read2_b64 v[110:113], v1 offset0:73 offset1:74
	v_fmac_f32_e32 v130, v119, v7
	v_fma_f32 v7, v118, v7, -v3
	v_fmac_f32_e32 v131, v121, v5
	v_fma_f32 v118, v120, v5, -v4
	buffer_load_dword v120, off, s[0:3], 0 offset:220
	s_waitcnt vmcnt(8) lgkmcnt(1)
	v_mul_f32_e32 v4, v109, v135
	v_mul_f32_e32 v119, v106, v6
	;; [unrolled: 1-line block ×4, first 2 shown]
	s_waitcnt vmcnt(4)
	v_fma_f32 v132, v108, v149, -v4
	buffer_load_dword v108, off, s[0:3], 0 offset:228
	v_fmac_f32_e32 v119, v107, v2
	v_fma_f32 v121, v106, v2, -v3
	ds_read2_b64 v[2:5], v1 offset0:75 offset1:76
	v_fmac_f32_e32 v6, v109, v149
	s_waitcnt vmcnt(4) lgkmcnt(1)
	v_mul_f32_e32 v135, v110, v150
	v_mul_f32_e32 v106, v111, v150
	s_waitcnt vmcnt(3)
	v_mul_f32_e32 v139, v112, v151
	v_mul_f32_e32 v107, v113, v151
	v_fmac_f32_e32 v135, v111, v148
	v_fma_f32 v110, v110, v148, -v106
	v_fmac_f32_e32 v139, v113, v147
	v_fma_f32 v111, v112, v147, -v107
	s_clause 0x4
	buffer_load_dword v112, off, s[0:3], 0 offset:248
	buffer_load_dword v113, off, s[0:3], 0 offset:240
	;; [unrolled: 1-line block ×5, first 2 shown]
	s_waitcnt vmcnt(6) lgkmcnt(0)
	v_mul_f32_e32 v148, v2, v120
	v_mul_f32_e32 v107, v3, v120
	v_fmac_f32_e32 v148, v3, v146
	v_fma_f32 v120, v2, v146, -v107
	s_waitcnt vmcnt(5)
	v_mul_f32_e32 v146, v4, v108
	v_mul_f32_e32 v2, v5, v108
	s_waitcnt vmcnt(1)
	v_fmac_f32_e32 v146, v5, v106
	v_fma_f32 v149, v4, v106, -v2
	ds_read2_b64 v[2:5], v1 offset0:77 offset1:78
	ds_read2_b64 v[106:109], v1 offset0:79 offset1:80
	s_waitcnt vmcnt(0) lgkmcnt(1)
	v_mul_f32_e32 v150, v2, v147
	v_mul_f32_e32 v147, v3, v147
	v_fmac_f32_e32 v150, v3, v143
	v_fma_f32 v143, v2, v143, -v147
	buffer_load_dword v2, off, s[0:3], 0 offset:244
	s_waitcnt vmcnt(0)
	v_mul_f32_e32 v147, v4, v2
	v_mul_f32_e32 v2, v5, v2
	v_fmac_f32_e32 v147, v5, v113
	v_fma_f32 v151, v4, v113, -v2
	buffer_load_dword v2, off, s[0:3], 0 offset:252
	s_waitcnt vmcnt(0) lgkmcnt(0)
	v_mul_f32_e32 v162, v106, v2
	v_mul_f32_e32 v2, v107, v2
	v_fmac_f32_e32 v162, v107, v112
	v_fma_f32 v163, v106, v112, -v2
	s_clause 0x4
	buffer_load_dword v2, off, s[0:3], 0 offset:260
	buffer_load_dword v164, off, s[0:3], 0 offset:280
	;; [unrolled: 1-line block ×5, first 2 shown]
	s_waitcnt vmcnt(4)
	v_mul_f32_e32 v165, v108, v2
	v_mul_f32_e32 v2, v109, v2
	s_waitcnt vmcnt(0)
	v_fmac_f32_e32 v165, v109, v3
	v_fma_f32 v166, v108, v3, -v2
	v_add_f32_e32 v2, 0, v152
	v_add_f32_e32 v3, 0, v144
	buffer_load_dword v144, off, s[0:3], 0 offset:276
	v_add_f32_e32 v2, v2, v145
	v_add_f32_e32 v3, v3, v153
	buffer_load_dword v145, off, s[0:3], 0 offset:292
	v_add_f32_e32 v2, v2, v115
	buffer_load_dword v115, off, s[0:3], 0 offset:268
	v_add_f32_e32 v3, v3, v155
	v_add_f32_e32 v2, v2, v157
	;; [unrolled: 1-line block ×4, first 2 shown]
	buffer_load_dword v123, off, s[0:3], 0 offset:284
	v_add_f32_e32 v3, v3, v158
	v_add_f32_e32 v2, v2, v160
	;; [unrolled: 1-line block ×4, first 2 shown]
	s_clause 0x3
	buffer_load_dword v8, off, s[0:3], 0 offset:312
	buffer_load_dword v152, off, s[0:3], 0 offset:304
	buffer_load_dword v153, off, s[0:3], 0 offset:296
	buffer_load_dword v155, off, s[0:3], 0 offset:288
	v_add_f32_e32 v3, v3, v161
	v_add_f32_e32 v2, v2, v140
	s_clause 0x1
	buffer_load_dword v140, off, s[0:3], 0 offset:300
	buffer_load_dword v156, off, s[0:3], 0 offset:308
	v_add_f32_e32 v3, v3, v122
	buffer_load_dword v122, off, s[0:3], 0 offset:316
	v_add_f32_e32 v2, v2, v116
	v_add_f32_e32 v3, v3, v141
	;; [unrolled: 1-line block ×3, first 2 shown]
	s_clause 0x3
	buffer_load_dword v133, off, s[0:3], 0 offset:324
	buffer_load_dword v141, off, s[0:3], 0 offset:332
	;; [unrolled: 1-line block ×4, first 2 shown]
	v_add_f32_e32 v3, v3, v142
	v_add_f32_e32 v2, v2, v136
	s_clause 0x1
	buffer_load_dword v136, off, s[0:3], 0 offset:356
	buffer_load_dword v142, off, s[0:3], 0 offset:364
	v_add_f32_e32 v3, v3, v134
	v_add_f32_e32 v2, v2, v124
	s_clause 0x1
	buffer_load_dword v124, off, s[0:3], 0 offset:372
	buffer_load_dword v134, off, s[0:3], 0 offset:380
	v_add_f32_e32 v3, v3, v114
	v_add_f32_e32 v2, v2, v125
	;; [unrolled: 1-line block ×4, first 2 shown]
	s_clause 0x3
	buffer_load_dword v125, off, s[0:3], 0 offset:344
	buffer_load_dword v126, off, s[0:3], 0 offset:336
	;; [unrolled: 1-line block ×4, first 2 shown]
	v_add_f32_e32 v3, v3, v138
	v_add_f32_e32 v2, v2, v129
	;; [unrolled: 1-line block ×3, first 2 shown]
	s_clause 0x3
	buffer_load_dword v127, off, s[0:3], 0 offset:376
	buffer_load_dword v129, off, s[0:3], 0 offset:368
	buffer_load_dword v138, off, s[0:3], 0 offset:360
	buffer_load_dword v160, off, s[0:3], 0 offset:352
	v_add_f32_e32 v2, v2, v117
	v_add_f32_e32 v3, v3, v128
	buffer_load_dword v128, off, s[0:3], 0 offset:32
	v_add_f32_e32 v2, v2, v7
	v_add_f32_e32 v3, v3, v130
	;; [unrolled: 1-line block ×4, first 2 shown]
	ds_read2_b64 v[2:5], v1 offset0:81 offset1:82
	v_add_f32_e32 v7, v7, v121
	v_add_f32_e32 v106, v106, v119
	;; [unrolled: 1-line block ×4, first 2 shown]
	ds_read2_b64 v[106:109], v1 offset0:83 offset1:84
	v_add_f32_e32 v7, v7, v110
	v_add_f32_e32 v6, v6, v135
	;; [unrolled: 1-line block ×8, first 2 shown]
	s_waitcnt vmcnt(27) lgkmcnt(1)
	v_mul_f32_e32 v131, v4, v144
	v_mul_f32_e32 v111, v5, v144
	v_fmac_f32_e32 v131, v5, v112
	v_fma_f32 v135, v4, v112, -v111
	s_waitcnt vmcnt(25)
	v_mul_f32_e32 v130, v2, v115
	v_mul_f32_e32 v110, v3, v115
	v_fmac_f32_e32 v130, v3, v113
	v_add_f32_e32 v3, v7, v120
	v_fma_f32 v132, v2, v113, -v110
	s_waitcnt vmcnt(24) lgkmcnt(0)
	v_mul_f32_e32 v139, v106, v123
	v_add_f32_e32 v7, v3, v149
	ds_read2_b64 v[2:5], v1 offset0:85 offset1:86
	ds_read2_b64 v[110:113], v1 offset0:87 offset1:88
	v_mul_f32_e32 v118, v107, v123
	v_mul_f32_e32 v123, v108, v145
	v_fmac_f32_e32 v139, v107, v164
	v_add_f32_e32 v7, v7, v143
	v_mul_f32_e32 v143, v109, v145
	v_add_f32_e32 v145, v6, v162
	v_fma_f32 v144, v106, v164, -v118
	ds_read2_b64 v[114:117], v1 offset0:89 offset1:90
	ds_read2_b64 v[118:121], v1 offset0:91 offset1:92
	v_add_f32_e32 v7, v7, v151
	v_add_f32_e32 v145, v145, v165
	s_waitcnt vmcnt(20)
	v_fma_f32 v143, v108, v155, -v143
	v_fmac_f32_e32 v123, v109, v155
	v_add_f32_e32 v7, v7, v163
	v_add_f32_e32 v130, v145, v130
	s_waitcnt vmcnt(19) lgkmcnt(3)
	v_mul_f32_e32 v147, v2, v140
	v_add_f32_e32 v146, v7, v166
	v_add_f32_e32 v130, v130, v131
	v_mul_f32_e32 v140, v3, v140
	s_waitcnt vmcnt(18)
	v_mul_f32_e32 v148, v4, v156
	v_fmac_f32_e32 v147, v3, v153
	v_add_f32_e32 v132, v146, v132
	v_add_f32_e32 v130, v130, v139
	v_mul_f32_e32 v146, v5, v156
	v_fma_f32 v2, v2, v153, -v140
	s_waitcnt vmcnt(17) lgkmcnt(2)
	v_mul_f32_e32 v145, v110, v122
	v_add_f32_e32 v132, v132, v135
	v_add_f32_e32 v123, v130, v123
	v_mul_f32_e32 v122, v111, v122
	v_fma_f32 v4, v4, v152, -v146
	v_fmac_f32_e32 v148, v5, v152
	v_add_f32_e32 v132, v132, v144
	v_add_f32_e32 v5, v123, v147
	s_waitcnt vmcnt(16)
	v_mul_f32_e32 v123, v113, v133
	v_fmac_f32_e32 v145, v111, v8
	v_fma_f32 v8, v110, v8, -v122
	v_add_f32_e32 v132, v132, v143
	v_mul_f32_e32 v135, v112, v133
	ds_read2_b64 v[106:109], v1 offset0:93 offset1:94
	ds_read_b64 v[6:7], v1 offset:760
	s_waitcnt vmcnt(5)
	v_fma_f32 v110, v112, v159, -v123
	s_waitcnt lgkmcnt(3)
	v_mul_f32_e32 v149, v114, v141
	v_add_f32_e32 v2, v132, v2
	v_fmac_f32_e32 v135, v113, v159
	v_mul_f32_e32 v131, v116, v157
	s_waitcnt lgkmcnt(2)
	v_mul_f32_e32 v144, v118, v158
	v_fmac_f32_e32 v149, v115, v137
	v_add_f32_e32 v2, v2, v4
	v_add_f32_e32 v4, v5, v148
	v_mul_f32_e32 v5, v115, v141
	v_fmac_f32_e32 v131, v117, v126
	v_mul_f32_e32 v3, v120, v136
	v_add_f32_e32 v2, v2, v8
	v_add_f32_e32 v4, v4, v145
	v_mul_f32_e32 v8, v117, v157
	v_fma_f32 v5, v114, v137, -v5
	v_fmac_f32_e32 v144, v119, v125
	v_add_f32_e32 v2, v2, v110
	v_add_f32_e32 v4, v4, v135
	v_mul_f32_e32 v110, v119, v158
	v_fma_f32 v8, v116, v126, -v8
	s_waitcnt lgkmcnt(1)
	v_mul_f32_e32 v139, v106, v142
	v_add_f32_e32 v2, v2, v5
	v_add_f32_e32 v4, v4, v149
	v_mul_f32_e32 v5, v121, v136
	v_fma_f32 v110, v118, v125, -v110
	s_waitcnt vmcnt(1)
	v_fmac_f32_e32 v3, v121, v160
	v_add_f32_e32 v2, v2, v8
	v_add_f32_e32 v4, v4, v131
	v_mul_f32_e32 v8, v107, v142
	v_fma_f32 v5, v120, v160, -v5
	v_mul_f32_e32 v140, v108, v124
	v_add_f32_e32 v2, v2, v110
	v_add_f32_e32 v4, v4, v144
	v_mul_f32_e32 v110, v109, v124
	v_fma_f32 v8, v106, v138, -v8
	v_fmac_f32_e32 v139, v107, v138
	v_add_f32_e32 v2, v2, v5
	v_add_f32_e32 v3, v4, v3
	s_waitcnt lgkmcnt(0)
	v_mul_f32_e32 v4, v7, v134
	v_fma_f32 v5, v108, v129, -v110
	v_mul_f32_e32 v130, v6, v134
	v_add_f32_e32 v2, v2, v8
	v_fmac_f32_e32 v140, v109, v129
	v_add_f32_e32 v3, v3, v139
	v_fma_f32 v4, v6, v127, -v4
	v_fmac_f32_e32 v130, v7, v127
	v_add_f32_e32 v2, v2, v5
	v_add_f32_e32 v3, v3, v140
	v_add_f32_e32 v2, v2, v4
	v_add_f32_e32 v3, v3, v130
	s_waitcnt vmcnt(0)
	v_sub_f32_e32 v2, v128, v2
	v_sub_f32_e32 v3, v154, v3
	buffer_store_dword v2, off, s[0:3], 0 offset:32
	buffer_store_dword v3, off, s[0:3], 0 offset:36
	v_cmpx_lt_u32_e32 3, v0
	s_cbranch_execz .LBB111_295
; %bb.294:
	s_clause 0x1
	buffer_load_dword v2, off, s[0:3], 0 offset:24
	buffer_load_dword v3, off, s[0:3], 0 offset:28
	buffer_store_dword v1, off, s[0:3], 0 offset:24
	buffer_store_dword v1, off, s[0:3], 0 offset:28
	s_waitcnt vmcnt(0)
	ds_write_b64 v105, v[2:3]
.LBB111_295:
	s_or_b32 exec_lo, exec_lo, s4
	s_waitcnt lgkmcnt(0)
	s_waitcnt_vscnt null, 0x0
	s_barrier
	buffer_gl0_inv
	s_clause 0x2c
	buffer_load_dword v144, off, s[0:3], 0 offset:36
	buffer_load_dword v145, off, s[0:3], 0 offset:44
	;; [unrolled: 1-line block ×45, first 2 shown]
	ds_read_b128 v[136:139], v1 offset:416
	ds_read_b128 v[140:143], v1 offset:432
	buffer_load_dword v154, off, s[0:3], 0 offset:28
	s_mov_b32 s4, exec_lo
	s_waitcnt vmcnt(45) lgkmcnt(1)
	v_mul_f32_e32 v152, v137, v144
	v_mul_f32_e32 v144, v136, v144
	s_waitcnt vmcnt(44)
	v_mul_f32_e32 v153, v138, v145
	v_mul_f32_e32 v145, v139, v145
	s_waitcnt vmcnt(41)
	v_fma_f32 v152, v136, v134, -v152
	v_fmac_f32_e32 v144, v137, v134
	v_fmac_f32_e32 v153, v139, v130
	v_fma_f32 v145, v138, v130, -v145
	ds_read_b128 v[136:139], v1 offset:448
	s_waitcnt vmcnt(40) lgkmcnt(1)
	v_mul_f32_e32 v155, v140, v129
	v_mul_f32_e32 v129, v141, v129
	s_waitcnt vmcnt(39)
	v_mul_f32_e32 v156, v142, v127
	v_mul_f32_e32 v127, v143, v127
	v_fmac_f32_e32 v155, v141, v116
	v_fma_f32 v116, v140, v116, -v129
	s_waitcnt vmcnt(35)
	v_fmac_f32_e32 v156, v143, v135
	v_fma_f32 v157, v142, v135, -v127
	ds_read_b128 v[140:143], v1 offset:464
	s_waitcnt vmcnt(34) lgkmcnt(1)
	v_mul_f32_e32 v158, v136, v133
	v_mul_f32_e32 v127, v137, v133
	s_waitcnt vmcnt(33)
	v_mul_f32_e32 v159, v138, v132
	v_mul_f32_e32 v129, v139, v132
	ds_read_b128 v[132:135], v1 offset:480
	v_fmac_f32_e32 v158, v137, v124
	v_fma_f32 v124, v136, v124, -v127
	v_fmac_f32_e32 v159, v139, v119
	v_fma_f32 v160, v138, v119, -v129
	ds_read_b128 v[136:139], v1 offset:496
	s_waitcnt vmcnt(32) lgkmcnt(2)
	v_mul_f32_e32 v161, v140, v123
	v_mul_f32_e32 v119, v141, v123
	s_waitcnt vmcnt(31)
	v_mul_f32_e32 v123, v142, v121
	v_mul_f32_e32 v121, v143, v121
	v_fmac_f32_e32 v161, v141, v106
	v_fma_f32 v140, v140, v106, -v119
	s_waitcnt vmcnt(27)
	v_fmac_f32_e32 v123, v143, v131
	v_fma_f32 v141, v142, v131, -v121
	s_waitcnt vmcnt(26) lgkmcnt(1)
	v_mul_f32_e32 v142, v132, v128
	v_mul_f32_e32 v106, v133, v128
	s_waitcnt vmcnt(25)
	v_mul_f32_e32 v143, v134, v126
	v_mul_f32_e32 v119, v135, v126
	ds_read_b128 v[126:129], v1 offset:512
	v_fmac_f32_e32 v142, v133, v117
	v_fma_f32 v117, v132, v117, -v106
	ds_read_b128 v[130:133], v1 offset:528
	v_fmac_f32_e32 v143, v135, v111
	v_fma_f32 v134, v134, v111, -v119
	s_waitcnt vmcnt(24) lgkmcnt(2)
	v_mul_f32_e32 v135, v136, v115
	v_mul_f32_e32 v106, v137, v115
	s_waitcnt vmcnt(23)
	v_mul_f32_e32 v115, v138, v113
	v_mul_f32_e32 v111, v139, v113
	v_fmac_f32_e32 v135, v137, v4
	v_fma_f32 v136, v136, v4, -v106
	s_waitcnt vmcnt(19)
	v_fmac_f32_e32 v115, v139, v125
	v_fma_f32 v125, v138, v125, -v111
	s_waitcnt vmcnt(18) lgkmcnt(1)
	v_mul_f32_e32 v137, v126, v122
	v_mul_f32_e32 v4, v127, v122
	s_waitcnt vmcnt(17)
	v_mul_f32_e32 v138, v128, v120
	v_mul_f32_e32 v106, v129, v120
	ds_read_b128 v[119:122], v1 offset:544
	v_fmac_f32_e32 v137, v127, v110
	v_fma_f32 v126, v126, v110, -v4
	v_fmac_f32_e32 v138, v129, v107
	v_fma_f32 v127, v128, v107, -v106
	s_waitcnt vmcnt(15) lgkmcnt(1)
	v_mul_f32_e32 v129, v132, v108
	v_mul_f32_e32 v106, v133, v108
	;; [unrolled: 1-line block ×4, first 2 shown]
	s_waitcnt vmcnt(11)
	v_fmac_f32_e32 v129, v133, v118
	v_fma_f32 v118, v132, v118, -v106
	ds_read_b128 v[106:109], v1 offset:560
	v_fmac_f32_e32 v128, v131, v3
	v_fma_f32 v130, v130, v3, -v4
	s_waitcnt vmcnt(10) lgkmcnt(1)
	v_mul_f32_e32 v131, v119, v114
	v_mul_f32_e32 v3, v120, v114
	s_waitcnt vmcnt(9)
	v_mul_f32_e32 v114, v121, v112
	v_mul_f32_e32 v4, v122, v112
	ds_read_b128 v[110:113], v1 offset:576
	v_fmac_f32_e32 v131, v120, v8
	v_fma_f32 v8, v119, v8, -v3
	v_fmac_f32_e32 v114, v122, v5
	v_fma_f32 v119, v121, v5, -v4
	s_waitcnt vmcnt(8) lgkmcnt(1)
	v_mul_f32_e32 v120, v106, v7
	v_mul_f32_e32 v3, v107, v7
	s_waitcnt vmcnt(7)
	v_mul_f32_e32 v7, v108, v6
	v_mul_f32_e32 v4, v109, v6
	buffer_load_dword v6, off, s[0:3], 0 offset:212
	v_fmac_f32_e32 v120, v107, v2
	v_fma_f32 v121, v106, v2, -v3
	s_waitcnt vmcnt(4)
	v_fmac_f32_e32 v7, v109, v149
	v_fma_f32 v122, v108, v149, -v4
	buffer_load_dword v108, off, s[0:3], 0 offset:220
	ds_read_b128 v[2:5], v1 offset:592
	s_waitcnt vmcnt(4) lgkmcnt(1)
	v_mul_f32_e32 v132, v110, v150
	v_mul_f32_e32 v106, v111, v150
	s_waitcnt vmcnt(3)
	v_mul_f32_e32 v133, v112, v151
	v_mul_f32_e32 v107, v113, v151
	v_fmac_f32_e32 v132, v111, v148
	v_fma_f32 v110, v110, v148, -v106
	v_fmac_f32_e32 v133, v113, v147
	v_fma_f32 v111, v112, v147, -v107
	s_clause 0x4
	buffer_load_dword v112, off, s[0:3], 0 offset:240
	buffer_load_dword v113, off, s[0:3], 0 offset:232
	;; [unrolled: 1-line block ×5, first 2 shown]
	s_waitcnt vmcnt(6) lgkmcnt(0)
	v_mul_f32_e32 v148, v2, v6
	v_mul_f32_e32 v6, v3, v6
	v_fmac_f32_e32 v148, v3, v146
	v_fma_f32 v6, v2, v146, -v6
	s_waitcnt vmcnt(5)
	v_mul_f32_e32 v146, v4, v108
	v_mul_f32_e32 v2, v5, v108
	s_waitcnt vmcnt(1)
	v_fmac_f32_e32 v146, v5, v106
	v_fma_f32 v149, v4, v106, -v2
	ds_read_b128 v[2:5], v1 offset:608
	ds_read_b128 v[106:109], v1 offset:624
	s_waitcnt vmcnt(0) lgkmcnt(1)
	v_mul_f32_e32 v150, v2, v147
	v_mul_f32_e32 v147, v3, v147
	v_fmac_f32_e32 v150, v3, v139
	v_fma_f32 v139, v2, v139, -v147
	s_clause 0x1
	buffer_load_dword v2, off, s[0:3], 0 offset:236
	buffer_load_dword v3, off, s[0:3], 0 offset:244
	s_waitcnt vmcnt(1)
	v_mul_f32_e32 v147, v4, v2
	v_mul_f32_e32 v2, v5, v2
	v_fmac_f32_e32 v147, v5, v113
	v_fma_f32 v151, v4, v113, -v2
	v_add_f32_e32 v2, 0, v152
	buffer_load_dword v5, off, s[0:3], 0 offset:252
	v_add_f32_e32 v4, 0, v144
	v_add_f32_e32 v2, v2, v145
	;; [unrolled: 1-line block ×4, first 2 shown]
	s_clause 0x3
	buffer_load_dword v116, off, s[0:3], 0 offset:272
	buffer_load_dword v113, off, s[0:3], 0 offset:264
	;; [unrolled: 1-line block ×4, first 2 shown]
	v_add_f32_e32 v4, v4, v155
	s_clause 0x1
	buffer_load_dword v152, off, s[0:3], 0 offset:268
	buffer_load_dword v153, off, s[0:3], 0 offset:276
	v_add_f32_e32 v2, v2, v157
	s_waitcnt vmcnt(7) lgkmcnt(0)
	v_mul_f32_e32 v155, v106, v3
	v_add_f32_e32 v4, v4, v156
	v_mul_f32_e32 v3, v107, v3
	v_add_f32_e32 v2, v2, v124
	buffer_load_dword v124, off, s[0:3], 0 offset:260
	v_add_f32_e32 v4, v4, v158
	v_fma_f32 v156, v106, v112, -v3
	v_fmac_f32_e32 v155, v107, v112
	v_add_f32_e32 v2, v2, v160
	v_add_f32_e32 v4, v4, v159
	;; [unrolled: 1-line block ×3, first 2 shown]
	buffer_load_dword v140, off, s[0:3], 0 offset:284
	v_add_f32_e32 v4, v4, v161
	v_add_f32_e32 v2, v2, v141
	;; [unrolled: 1-line block ×3, first 2 shown]
	s_clause 0x5
	buffer_load_dword v141, off, s[0:3], 0 offset:304
	buffer_load_dword v157, off, s[0:3], 0 offset:296
	;; [unrolled: 1-line block ×6, first 2 shown]
	v_add_f32_e32 v2, v2, v117
	v_add_f32_e32 v3, v3, v142
	;; [unrolled: 1-line block ×4, first 2 shown]
	s_clause 0x1
	buffer_load_dword v134, off, s[0:3], 0 offset:300
	buffer_load_dword v143, off, s[0:3], 0 offset:308
	v_add_f32_e32 v2, v2, v136
	v_add_f32_e32 v3, v3, v135
	s_clause 0x6
	buffer_load_dword v135, off, s[0:3], 0 offset:324
	buffer_load_dword v136, off, s[0:3], 0 offset:332
	;; [unrolled: 1-line block ×7, first 2 shown]
	v_add_f32_e32 v2, v2, v125
	v_add_f32_e32 v3, v3, v115
	;; [unrolled: 1-line block ×4, first 2 shown]
	buffer_load_dword v126, off, s[0:3], 0 offset:380
	v_add_f32_e32 v2, v2, v127
	v_add_f32_e32 v3, v3, v138
	s_clause 0x3
	buffer_load_dword v127, off, s[0:3], 0 offset:336
	buffer_load_dword v137, off, s[0:3], 0 offset:328
	;; [unrolled: 1-line block ×4, first 2 shown]
	v_add_f32_e32 v2, v2, v130
	v_add_f32_e32 v3, v3, v128
	;; [unrolled: 1-line block ×4, first 2 shown]
	s_clause 0x3
	buffer_load_dword v128, off, s[0:3], 0 offset:368
	buffer_load_dword v129, off, s[0:3], 0 offset:360
	buffer_load_dword v130, off, s[0:3], 0 offset:352
	buffer_load_dword v167, off, s[0:3], 0 offset:344
	v_add_f32_e32 v2, v2, v8
	buffer_load_dword v8, off, s[0:3], 0 offset:376
	v_add_f32_e32 v3, v3, v131
	buffer_load_dword v131, off, s[0:3], 0 offset:24
	v_add_f32_e32 v2, v2, v119
	v_add_f32_e32 v3, v3, v114
	;; [unrolled: 1-line block ×20, first 2 shown]
	s_waitcnt vmcnt(34)
	v_mul_f32_e32 v142, v108, v5
	v_mul_f32_e32 v4, v109, v5
	s_waitcnt vmcnt(30)
	v_fmac_f32_e32 v142, v109, v145
	v_fma_f32 v145, v108, v145, -v4
	ds_read_b128 v[2:5], v1 offset:640
	ds_read_b128 v[106:109], v1 offset:656
	v_add_f32_e32 v7, v7, v142
	v_add_f32_e32 v6, v6, v145
	s_waitcnt vmcnt(27) lgkmcnt(1)
	v_mul_f32_e32 v132, v2, v124
	v_mul_f32_e32 v111, v3, v124
	;; [unrolled: 1-line block ×4, first 2 shown]
	s_waitcnt lgkmcnt(0)
	v_mul_f32_e32 v148, v106, v153
	v_fmac_f32_e32 v132, v3, v144
	v_fma_f32 v122, v2, v144, -v111
	v_fmac_f32_e32 v133, v5, v113
	v_fma_f32 v144, v4, v113, -v112
	ds_read_b128 v[2:5], v1 offset:672
	ds_read_b128 v[110:113], v1 offset:688
	v_mul_f32_e32 v114, v107, v153
	s_waitcnt vmcnt(26)
	v_mul_f32_e32 v139, v108, v140
	v_mul_f32_e32 v115, v109, v140
	v_fmac_f32_e32 v148, v107, v116
	v_fma_f32 v140, v106, v116, -v114
	s_waitcnt vmcnt(22)
	v_fmac_f32_e32 v139, v109, v158
	v_fma_f32 v146, v108, v158, -v115
	ds_read_b128 v[106:109], v1 offset:704
	ds_read_b128 v[114:117], v1 offset:720
	;; [unrolled: 1-line block ×3, first 2 shown]
	s_waitcnt vmcnt(21) lgkmcnt(4)
	v_mul_f32_e32 v147, v2, v159
	v_mul_f32_e32 v124, v3, v159
	v_fmac_f32_e32 v147, v3, v123
	v_add_f32_e32 v3, v6, v122
	v_fma_f32 v2, v2, v123, -v124
	ds_read_b128 v[122:125], v1 offset:752
	v_add_f32_e32 v1, v7, v132
	s_waitcnt vmcnt(19)
	v_mul_f32_e32 v7, v5, v134
	v_add_f32_e32 v3, v3, v144
	v_mul_f32_e32 v6, v4, v134
	s_waitcnt vmcnt(18) lgkmcnt(4)
	v_mul_f32_e32 v134, v111, v143
	v_add_f32_e32 v1, v1, v133
	v_fma_f32 v4, v4, v157, -v7
	v_add_f32_e32 v3, v3, v140
	v_mul_f32_e32 v132, v110, v143
	v_fmac_f32_e32 v6, v5, v157
	v_add_f32_e32 v1, v1, v148
	v_fma_f32 v110, v110, v141, -v134
	v_add_f32_e32 v3, v3, v146
	v_mul_f32_e32 v133, v112, v160
	v_fmac_f32_e32 v132, v111, v141
	v_add_f32_e32 v1, v1, v139
	v_mul_f32_e32 v139, v113, v160
	v_add_f32_e32 v2, v3, v2
	s_waitcnt vmcnt(17) lgkmcnt(3)
	v_mul_f32_e32 v5, v106, v135
	s_waitcnt vmcnt(6)
	v_fmac_f32_e32 v133, v113, v166
	v_add_f32_e32 v1, v1, v147
	v_mul_f32_e32 v7, v108, v136
	v_add_f32_e32 v2, v2, v4
	v_mul_f32_e32 v4, v107, v135
	v_fmac_f32_e32 v5, v107, v138
	v_add_f32_e32 v1, v1, v6
	v_fma_f32 v6, v112, v166, -v139
	v_add_f32_e32 v2, v2, v110
	v_mul_f32_e32 v110, v109, v136
	v_fma_f32 v4, v106, v138, -v4
	v_add_f32_e32 v1, v1, v132
	s_waitcnt lgkmcnt(2)
	v_mul_f32_e32 v140, v114, v161
	v_add_f32_e32 v2, v2, v6
	v_mul_f32_e32 v6, v115, v161
	v_fma_f32 v106, v108, v137, -v110
	v_add_f32_e32 v1, v1, v133
	v_fmac_f32_e32 v7, v109, v137
	v_add_f32_e32 v2, v2, v4
	v_mul_f32_e32 v4, v117, v162
	v_mul_f32_e32 v142, v116, v162
	v_add_f32_e32 v1, v1, v5
	v_fma_f32 v5, v114, v127, -v6
	v_add_f32_e32 v2, v2, v106
	v_fmac_f32_e32 v140, v115, v127
	s_waitcnt lgkmcnt(1)
	v_mul_f32_e32 v6, v119, v163
	v_add_f32_e32 v1, v1, v7
	s_waitcnt vmcnt(2)
	v_fma_f32 v4, v116, v167, -v4
	v_add_f32_e32 v2, v2, v5
	v_mul_f32_e32 v143, v118, v163
	v_fmac_f32_e32 v142, v117, v167
	v_add_f32_e32 v1, v1, v140
	v_mul_f32_e32 v5, v121, v164
	v_fma_f32 v6, v118, v130, -v6
	v_add_f32_e32 v2, v2, v4
	v_mul_f32_e32 v144, v120, v164
	v_fmac_f32_e32 v143, v119, v130
	v_add_f32_e32 v1, v1, v142
	s_waitcnt lgkmcnt(0)
	v_mul_f32_e32 v4, v123, v165
	v_fma_f32 v5, v120, v129, -v5
	v_add_f32_e32 v2, v2, v6
	v_mul_f32_e32 v145, v122, v165
	v_fmac_f32_e32 v144, v121, v129
	v_add_f32_e32 v1, v1, v143
	v_mul_f32_e32 v6, v125, v126
	v_fma_f32 v4, v122, v128, -v4
	v_add_f32_e32 v2, v2, v5
	v_mul_f32_e32 v3, v124, v126
	v_fmac_f32_e32 v145, v123, v128
	v_add_f32_e32 v1, v1, v144
	s_waitcnt vmcnt(1)
	v_fma_f32 v5, v124, v8, -v6
	v_add_f32_e32 v2, v2, v4
	v_fmac_f32_e32 v3, v125, v8
	v_add_f32_e32 v1, v1, v145
	v_add_f32_e32 v2, v2, v5
	;; [unrolled: 1-line block ×3, first 2 shown]
	s_waitcnt vmcnt(0)
	v_sub_f32_e32 v2, v131, v2
	v_sub_f32_e32 v1, v154, v1
	buffer_store_dword v2, off, s[0:3], 0 offset:24
	buffer_store_dword v1, off, s[0:3], 0 offset:28
	v_cmpx_lt_u32_e32 2, v0
	s_cbranch_execz .LBB111_297
; %bb.296:
	s_clause 0x1
	buffer_load_dword v1, off, s[0:3], 0 offset:16
	buffer_load_dword v2, off, s[0:3], 0 offset:20
	v_mov_b32_e32 v3, 0
	buffer_store_dword v3, off, s[0:3], 0 offset:16
	buffer_store_dword v3, off, s[0:3], 0 offset:20
	s_waitcnt vmcnt(0)
	ds_write_b64 v105, v[1:2]
.LBB111_297:
	s_or_b32 exec_lo, exec_lo, s4
	s_waitcnt lgkmcnt(0)
	s_waitcnt_vscnt null, 0x0
	s_barrier
	buffer_gl0_inv
	s_clause 0x2c
	buffer_load_dword v144, off, s[0:3], 0 offset:28
	buffer_load_dword v145, off, s[0:3], 0 offset:36
	;; [unrolled: 1-line block ×45, first 2 shown]
	v_mov_b32_e32 v1, 0
	ds_read2_b64 v[136:139], v1 offset0:51 offset1:52
	ds_read2_b64 v[140:143], v1 offset0:53 offset1:54
	buffer_load_dword v154, off, s[0:3], 0 offset:20
	s_mov_b32 s4, exec_lo
	s_waitcnt vmcnt(45) lgkmcnt(1)
	v_mul_f32_e32 v152, v137, v144
	v_mul_f32_e32 v144, v136, v144
	s_waitcnt vmcnt(44)
	v_mul_f32_e32 v153, v138, v145
	v_mul_f32_e32 v145, v139, v145
	s_waitcnt vmcnt(41)
	v_fma_f32 v152, v136, v133, -v152
	v_fmac_f32_e32 v144, v137, v133
	v_fmac_f32_e32 v153, v139, v129
	v_fma_f32 v145, v138, v129, -v145
	ds_read2_b64 v[136:139], v1 offset0:55 offset1:56
	s_waitcnt vmcnt(40) lgkmcnt(1)
	v_mul_f32_e32 v155, v140, v128
	v_mul_f32_e32 v128, v141, v128
	s_waitcnt vmcnt(39)
	v_mul_f32_e32 v156, v142, v126
	v_mul_f32_e32 v126, v143, v126
	v_fmac_f32_e32 v155, v141, v115
	v_fma_f32 v115, v140, v115, -v128
	s_waitcnt vmcnt(35)
	v_fmac_f32_e32 v156, v143, v134
	v_fma_f32 v157, v142, v134, -v126
	ds_read2_b64 v[140:143], v1 offset0:57 offset1:58
	s_waitcnt vmcnt(34) lgkmcnt(1)
	v_mul_f32_e32 v158, v136, v132
	v_mul_f32_e32 v126, v137, v132
	s_waitcnt vmcnt(33)
	v_mul_f32_e32 v159, v138, v131
	v_mul_f32_e32 v128, v139, v131
	ds_read2_b64 v[131:134], v1 offset0:59 offset1:60
	v_fmac_f32_e32 v158, v137, v123
	v_fma_f32 v123, v136, v123, -v126
	v_fmac_f32_e32 v159, v139, v118
	v_fma_f32 v160, v138, v118, -v128
	ds_read2_b64 v[136:139], v1 offset0:61 offset1:62
	s_waitcnt vmcnt(32) lgkmcnt(2)
	v_mul_f32_e32 v161, v140, v122
	v_mul_f32_e32 v118, v141, v122
	s_waitcnt vmcnt(31)
	v_mul_f32_e32 v122, v142, v120
	v_mul_f32_e32 v120, v143, v120
	v_fmac_f32_e32 v161, v141, v8
	v_fma_f32 v8, v140, v8, -v118
	s_waitcnt vmcnt(27)
	v_fmac_f32_e32 v122, v143, v130
	v_fma_f32 v140, v142, v130, -v120
	buffer_load_dword v143, off, s[0:3], 0 offset:212
	s_waitcnt vmcnt(27) lgkmcnt(1)
	v_mul_f32_e32 v141, v131, v127
	v_mul_f32_e32 v118, v132, v127
	s_waitcnt vmcnt(26)
	v_mul_f32_e32 v142, v133, v125
	v_mul_f32_e32 v120, v134, v125
	ds_read2_b64 v[125:128], v1 offset0:63 offset1:64
	v_fmac_f32_e32 v141, v132, v116
	v_fma_f32 v116, v131, v116, -v118
	v_fmac_f32_e32 v142, v134, v110
	v_fma_f32 v133, v133, v110, -v120
	s_waitcnt vmcnt(25) lgkmcnt(1)
	v_mul_f32_e32 v134, v136, v114
	v_mul_f32_e32 v110, v137, v114
	s_waitcnt vmcnt(24)
	v_mul_f32_e32 v114, v138, v112
	v_mul_f32_e32 v112, v139, v112
	ds_read2_b64 v[129:132], v1 offset0:65 offset1:66
	v_fmac_f32_e32 v134, v137, v4
	v_fma_f32 v136, v136, v4, -v110
	s_waitcnt vmcnt(20)
	v_fmac_f32_e32 v114, v139, v124
	v_fma_f32 v124, v138, v124, -v112
	s_waitcnt vmcnt(19) lgkmcnt(1)
	v_mul_f32_e32 v137, v125, v121
	v_mul_f32_e32 v4, v126, v121
	s_waitcnt vmcnt(18)
	v_mul_f32_e32 v138, v127, v119
	v_mul_f32_e32 v110, v128, v119
	ds_read2_b64 v[118:121], v1 offset0:67 offset1:68
	v_fmac_f32_e32 v137, v126, v109
	v_fma_f32 v125, v125, v109, -v4
	v_fmac_f32_e32 v138, v128, v106
	v_fma_f32 v126, v127, v106, -v110
	s_waitcnt vmcnt(17) lgkmcnt(1)
	v_mul_f32_e32 v127, v129, v108
	s_waitcnt vmcnt(16)
	v_mul_f32_e32 v128, v131, v107
	v_mul_f32_e32 v106, v132, v107
	;; [unrolled: 1-line block ×3, first 2 shown]
	v_fmac_f32_e32 v127, v130, v3
	s_waitcnt vmcnt(12)
	v_fmac_f32_e32 v128, v132, v117
	v_fma_f32 v117, v131, v117, -v106
	ds_read2_b64 v[106:109], v1 offset0:69 offset1:70
	v_fma_f32 v129, v129, v3, -v4
	s_waitcnt vmcnt(11) lgkmcnt(1)
	v_mul_f32_e32 v130, v118, v113
	v_mul_f32_e32 v3, v119, v113
	s_waitcnt vmcnt(10)
	v_mul_f32_e32 v131, v120, v111
	v_mul_f32_e32 v4, v121, v111
	ds_read2_b64 v[110:113], v1 offset0:71 offset1:72
	v_fmac_f32_e32 v130, v119, v7
	buffer_load_dword v119, off, s[0:3], 0 offset:204
	v_fma_f32 v7, v118, v7, -v3
	v_fma_f32 v118, v120, v5, -v4
	v_fmac_f32_e32 v131, v121, v5
	s_waitcnt vmcnt(10) lgkmcnt(1)
	v_mul_f32_e32 v120, v106, v6
	v_mul_f32_e32 v3, v107, v6
	s_waitcnt vmcnt(9)
	v_mul_f32_e32 v4, v109, v135
	v_mul_f32_e32 v6, v108, v135
	v_fmac_f32_e32 v120, v107, v2
	v_fma_f32 v121, v106, v2, -v3
	s_waitcnt vmcnt(5)
	v_fma_f32 v132, v108, v149, -v4
	ds_read2_b64 v[2:5], v1 offset0:73 offset1:74
	v_fmac_f32_e32 v6, v109, v149
	s_waitcnt vmcnt(4) lgkmcnt(1)
	v_mul_f32_e32 v135, v110, v150
	v_mul_f32_e32 v106, v111, v150
	s_waitcnt vmcnt(3)
	v_mul_f32_e32 v139, v112, v151
	v_mul_f32_e32 v107, v113, v151
	v_fmac_f32_e32 v135, v111, v148
	v_fma_f32 v110, v110, v148, -v106
	v_fmac_f32_e32 v139, v113, v147
	v_fma_f32 v111, v112, v147, -v107
	s_clause 0x5
	buffer_load_dword v112, off, s[0:3], 0 offset:232
	buffer_load_dword v113, off, s[0:3], 0 offset:224
	;; [unrolled: 1-line block ×6, first 2 shown]
	v_add_f32_e32 v106, 0, v152
	v_add_f32_e32 v107, 0, v144
	buffer_load_dword v144, off, s[0:3], 0 offset:236
	v_add_f32_e32 v106, v106, v145
	buffer_load_dword v145, off, s[0:3], 0 offset:244
	v_add_f32_e32 v107, v107, v153
	v_add_f32_e32 v106, v106, v115
	s_clause 0x3
	buffer_load_dword v115, off, s[0:3], 0 offset:264
	buffer_load_dword v151, off, s[0:3], 0 offset:256
	;; [unrolled: 1-line block ×4, first 2 shown]
	v_add_f32_e32 v107, v107, v155
	v_add_f32_e32 v106, v106, v157
	v_add_f32_e32 v107, v107, v156
	v_add_f32_e32 v106, v106, v123
	buffer_load_dword v123, off, s[0:3], 0 offset:252
	v_add_f32_e32 v107, v107, v158
	v_add_f32_e32 v106, v106, v160
	s_waitcnt vmcnt(13) lgkmcnt(0)
	v_mul_f32_e32 v155, v2, v119
	v_mul_f32_e32 v108, v3, v119
	v_fmac_f32_e32 v155, v3, v146
	v_fma_f32 v119, v2, v146, -v108
	v_add_f32_e32 v2, v107, v159
	v_add_f32_e32 v3, v106, v8
	ds_read2_b64 v[106:109], v1 offset0:75 offset1:76
	buffer_load_dword v8, off, s[0:3], 0 offset:260
	v_add_f32_e32 v2, v2, v161
	v_add_f32_e32 v3, v3, v140
	v_mul_f32_e32 v140, v4, v143
	v_mul_f32_e32 v143, v5, v143
	v_add_f32_e32 v2, v2, v122
	v_add_f32_e32 v3, v3, v116
	s_clause 0x1
	buffer_load_dword v122, off, s[0:3], 0 offset:268
	buffer_load_dword v116, off, s[0:3], 0 offset:276
	v_add_f32_e32 v141, v2, v141
	v_add_f32_e32 v133, v3, v133
	s_waitcnt vmcnt(12)
	v_fmac_f32_e32 v140, v5, v148
	v_fma_f32 v143, v4, v148, -v143
	ds_read2_b64 v[2:5], v1 offset0:77 offset1:78
	v_add_f32_e32 v141, v141, v142
	s_waitcnt vmcnt(11) lgkmcnt(1)
	v_mul_f32_e32 v146, v106, v149
	v_mul_f32_e32 v148, v107, v149
	v_add_f32_e32 v133, v133, v136
	s_clause 0x3
	buffer_load_dword v136, off, s[0:3], 0 offset:296
	buffer_load_dword v142, off, s[0:3], 0 offset:288
	;; [unrolled: 1-line block ×4, first 2 shown]
	v_fmac_f32_e32 v146, v107, v147
	v_fma_f32 v147, v106, v147, -v148
	v_add_f32_e32 v106, v141, v134
	v_add_f32_e32 v107, v133, v124
	s_waitcnt vmcnt(14)
	v_mul_f32_e32 v124, v108, v150
	v_mul_f32_e32 v133, v109, v150
	s_clause 0x1
	buffer_load_dword v134, off, s[0:3], 0 offset:284
	buffer_load_dword v141, off, s[0:3], 0 offset:292
	v_add_f32_e32 v106, v106, v114
	v_add_f32_e32 v107, v107, v125
	v_fmac_f32_e32 v124, v109, v113
	v_fma_f32 v114, v108, v113, -v133
	buffer_load_dword v148, off, s[0:3], 0 offset:300
	v_add_f32_e32 v113, v106, v137
	v_add_f32_e32 v126, v107, v126
	s_clause 0x3
	buffer_load_dword v125, off, s[0:3], 0 offset:308
	buffer_load_dword v133, off, s[0:3], 0 offset:316
	;; [unrolled: 1-line block ×4, first 2 shown]
	ds_read2_b64 v[106:109], v1 offset0:79 offset1:80
	v_add_f32_e32 v113, v113, v138
	s_waitcnt vmcnt(20) lgkmcnt(1)
	v_mul_f32_e32 v138, v2, v144
	v_mul_f32_e32 v144, v3, v144
	v_add_f32_e32 v126, v126, v129
	s_waitcnt vmcnt(19)
	v_mul_f32_e32 v129, v4, v145
	v_add_f32_e32 v113, v113, v127
	v_mul_f32_e32 v127, v5, v145
	v_fmac_f32_e32 v138, v3, v112
	v_fma_f32 v144, v2, v112, -v144
	v_add_f32_e32 v2, v126, v117
	v_add_f32_e32 v3, v113, v128
	s_clause 0x3
	buffer_load_dword v126, off, s[0:3], 0 offset:340
	buffer_load_dword v128, off, s[0:3], 0 offset:348
	;; [unrolled: 1-line block ×4, first 2 shown]
	s_waitcnt vmcnt(19)
	v_fmac_f32_e32 v129, v5, v153
	v_fma_f32 v127, v4, v153, -v127
	buffer_load_dword v153, off, s[0:3], 0 offset:372
	v_add_f32_e32 v3, v3, v130
	s_clause 0x4
	buffer_load_dword v130, off, s[0:3], 0 offset:328
	buffer_load_dword v158, off, s[0:3], 0 offset:320
	;; [unrolled: 1-line block ×5, first 2 shown]
	v_add_f32_e32 v2, v2, v7
	s_waitcnt vmcnt(24) lgkmcnt(0)
	v_mul_f32_e32 v113, v107, v123
	v_add_f32_e32 v7, v3, v131
	v_mul_f32_e32 v131, v106, v123
	v_add_f32_e32 v2, v2, v118
	v_fma_f32 v118, v106, v152, -v113
	v_add_f32_e32 v7, v7, v120
	v_fmac_f32_e32 v131, v107, v152
	v_add_f32_e32 v112, v2, v121
	ds_read2_b64 v[2:5], v1 offset0:81 offset1:82
	v_add_f32_e32 v6, v7, v6
	v_add_f32_e32 v112, v112, v132
	s_clause 0x3
	buffer_load_dword v123, off, s[0:3], 0 offset:360
	buffer_load_dword v132, off, s[0:3], 0 offset:352
	;; [unrolled: 1-line block ×4, first 2 shown]
	v_add_f32_e32 v6, v6, v135
	s_clause 0x1
	buffer_load_dword v135, off, s[0:3], 0 offset:376
	buffer_load_dword v163, off, s[0:3], 0 offset:368
	v_add_f32_e32 v7, v112, v110
	v_add_f32_e32 v6, v6, v139
	buffer_load_dword v139, off, s[0:3], 0 offset:16
	v_add_f32_e32 v7, v7, v111
	ds_read2_b64 v[110:113], v1 offset0:85 offset1:86
	v_add_f32_e32 v6, v6, v155
	v_add_f32_e32 v7, v7, v119
	;; [unrolled: 1-line block ×14, first 2 shown]
	s_waitcnt vmcnt(30)
	v_mul_f32_e32 v164, v108, v8
	v_mul_f32_e32 v8, v109, v8
	v_fmac_f32_e32 v164, v109, v151
	v_fma_f32 v8, v108, v151, -v8
	ds_read2_b64 v[106:109], v1 offset0:83 offset1:84
	s_waitcnt vmcnt(29) lgkmcnt(2)
	v_mul_f32_e32 v117, v3, v122
	v_mul_f32_e32 v140, v2, v122
	s_waitcnt vmcnt(28)
	v_mul_f32_e32 v122, v4, v116
	v_mul_f32_e32 v116, v5, v116
	v_add_f32_e32 v8, v7, v8
	v_fma_f32 v143, v2, v115, -v117
	v_fmac_f32_e32 v140, v3, v115
	v_add_f32_e32 v129, v129, v164
	v_add_f32_e32 v8, v8, v143
	;; [unrolled: 1-line block ×3, first 2 shown]
	s_waitcnt vmcnt(24)
	v_fma_f32 v146, v4, v156, -v116
	v_fmac_f32_e32 v122, v5, v156
	ds_read2_b64 v[2:5], v1 offset0:87 offset1:88
	ds_read2_b64 v[114:117], v1 offset0:89 offset1:90
	ds_read_b64 v[6:7], v1 offset:760
	v_add_f32_e32 v8, v8, v146
	v_add_f32_e32 v122, v129, v122
	s_waitcnt vmcnt(23) lgkmcnt(3)
	v_mul_f32_e32 v119, v107, v134
	v_mul_f32_e32 v124, v106, v134
	s_waitcnt vmcnt(22)
	v_mul_f32_e32 v134, v108, v141
	v_mul_f32_e32 v127, v109, v141
	v_fma_f32 v138, v106, v149, -v119
	v_fmac_f32_e32 v124, v107, v149
	v_fmac_f32_e32 v134, v109, v142
	v_fma_f32 v127, v108, v142, -v127
	s_waitcnt vmcnt(21)
	v_mul_f32_e32 v142, v111, v148
	v_add_f32_e32 v8, v8, v138
	v_mul_f32_e32 v131, v110, v148
	v_add_f32_e32 v122, v122, v124
	s_waitcnt vmcnt(20)
	v_mul_f32_e32 v141, v112, v125
	v_mul_f32_e32 v125, v113, v125
	v_fma_f32 v110, v110, v136, -v142
	v_add_f32_e32 v8, v8, v127
	v_fmac_f32_e32 v131, v111, v136
	v_add_f32_e32 v122, v122, v134
	ds_read2_b64 v[118:121], v1 offset0:91 offset1:92
	ds_read2_b64 v[106:109], v1 offset0:93 offset1:94
	s_waitcnt vmcnt(19) lgkmcnt(4)
	v_mul_f32_e32 v140, v2, v133
	v_mul_f32_e32 v133, v3, v133
	v_add_f32_e32 v8, v8, v110
	v_add_f32_e32 v110, v122, v131
	s_waitcnt vmcnt(18)
	v_mul_f32_e32 v143, v4, v137
	s_waitcnt vmcnt(9)
	v_fmac_f32_e32 v140, v3, v159
	s_waitcnt vmcnt(8)
	v_fma_f32 v112, v112, v160, -v125
	v_fmac_f32_e32 v141, v113, v160
	v_mul_f32_e32 v113, v5, v137
	v_fma_f32 v2, v2, v159, -v133
	s_waitcnt lgkmcnt(3)
	v_mul_f32_e32 v144, v114, v150
	v_add_f32_e32 v3, v8, v112
	v_add_f32_e32 v8, v110, v141
	v_mul_f32_e32 v110, v115, v150
	v_fma_f32 v4, v4, v158, -v113
	v_fmac_f32_e32 v143, v5, v158
	v_add_f32_e32 v2, v3, v2
	v_add_f32_e32 v3, v8, v140
	v_mul_f32_e32 v5, v117, v126
	v_fma_f32 v8, v114, v130, -v110
	v_mul_f32_e32 v129, v116, v126
	v_add_f32_e32 v2, v2, v4
	v_fmac_f32_e32 v144, v115, v130
	v_add_f32_e32 v3, v3, v143
	s_waitcnt lgkmcnt(1)
	v_mul_f32_e32 v4, v119, v128
	s_waitcnt vmcnt(3)
	v_fma_f32 v5, v116, v162, -v5
	v_add_f32_e32 v2, v2, v8
	v_mul_f32_e32 v138, v118, v128
	v_fmac_f32_e32 v129, v117, v162
	v_add_f32_e32 v3, v3, v144
	v_mul_f32_e32 v8, v121, v145
	v_fma_f32 v4, v118, v152, -v4
	v_add_f32_e32 v2, v2, v5
	v_mul_f32_e32 v111, v120, v145
	v_fmac_f32_e32 v138, v119, v152
	v_add_f32_e32 v3, v3, v129
	s_waitcnt lgkmcnt(0)
	v_mul_f32_e32 v5, v107, v157
	v_fma_f32 v8, v120, v132, -v8
	v_add_f32_e32 v2, v2, v4
	v_mul_f32_e32 v124, v106, v157
	v_fmac_f32_e32 v111, v121, v132
	v_add_f32_e32 v3, v3, v138
	v_mul_f32_e32 v4, v109, v153
	v_fma_f32 v5, v106, v123, -v5
	v_add_f32_e32 v2, v2, v8
	v_mul_f32_e32 v127, v108, v153
	v_fmac_f32_e32 v124, v107, v123
	v_add_f32_e32 v3, v3, v111
	v_mul_f32_e32 v8, v7, v161
	s_waitcnt vmcnt(1)
	v_fma_f32 v4, v108, v163, -v4
	v_add_f32_e32 v2, v2, v5
	v_mul_f32_e32 v134, v6, v161
	v_fmac_f32_e32 v127, v109, v163
	v_add_f32_e32 v3, v3, v124
	v_fma_f32 v5, v6, v135, -v8
	v_add_f32_e32 v2, v2, v4
	v_fmac_f32_e32 v134, v7, v135
	v_add_f32_e32 v3, v3, v127
	v_add_f32_e32 v2, v2, v5
	;; [unrolled: 1-line block ×3, first 2 shown]
	s_waitcnt vmcnt(0)
	v_sub_f32_e32 v2, v139, v2
	v_sub_f32_e32 v3, v154, v3
	buffer_store_dword v2, off, s[0:3], 0 offset:16
	buffer_store_dword v3, off, s[0:3], 0 offset:20
	v_cmpx_lt_u32_e32 1, v0
	s_cbranch_execz .LBB111_299
; %bb.298:
	s_clause 0x1
	buffer_load_dword v2, off, s[0:3], 0 offset:8
	buffer_load_dword v3, off, s[0:3], 0 offset:12
	buffer_store_dword v1, off, s[0:3], 0 offset:8
	buffer_store_dword v1, off, s[0:3], 0 offset:12
	s_waitcnt vmcnt(0)
	ds_write_b64 v105, v[2:3]
.LBB111_299:
	s_or_b32 exec_lo, exec_lo, s4
	s_waitcnt lgkmcnt(0)
	s_waitcnt_vscnt null, 0x0
	s_barrier
	buffer_gl0_inv
	s_clause 0x2c
	buffer_load_dword v144, off, s[0:3], 0 offset:20
	buffer_load_dword v145, off, s[0:3], 0 offset:28
	;; [unrolled: 1-line block ×45, first 2 shown]
	ds_read_b128 v[136:139], v1 offset:400
	ds_read_b128 v[140:143], v1 offset:416
	buffer_load_dword v154, off, s[0:3], 0 offset:12
	s_mov_b32 s4, exec_lo
	s_waitcnt vmcnt(45) lgkmcnt(1)
	v_mul_f32_e32 v152, v137, v144
	v_mul_f32_e32 v144, v136, v144
	s_waitcnt vmcnt(44)
	v_mul_f32_e32 v153, v138, v145
	v_mul_f32_e32 v145, v139, v145
	s_waitcnt vmcnt(41)
	v_fma_f32 v152, v136, v134, -v152
	v_fmac_f32_e32 v144, v137, v134
	v_fmac_f32_e32 v153, v139, v130
	v_fma_f32 v145, v138, v130, -v145
	ds_read_b128 v[136:139], v1 offset:432
	s_waitcnt vmcnt(40) lgkmcnt(1)
	v_mul_f32_e32 v155, v140, v129
	v_mul_f32_e32 v129, v141, v129
	s_waitcnt vmcnt(39)
	v_mul_f32_e32 v156, v142, v127
	v_mul_f32_e32 v127, v143, v127
	v_fmac_f32_e32 v155, v141, v116
	v_fma_f32 v116, v140, v116, -v129
	s_waitcnt vmcnt(35)
	v_fmac_f32_e32 v156, v143, v135
	v_fma_f32 v157, v142, v135, -v127
	ds_read_b128 v[140:143], v1 offset:448
	s_waitcnt vmcnt(34) lgkmcnt(1)
	v_mul_f32_e32 v158, v136, v133
	v_mul_f32_e32 v127, v137, v133
	s_waitcnt vmcnt(33)
	v_mul_f32_e32 v159, v138, v132
	v_mul_f32_e32 v129, v139, v132
	ds_read_b128 v[132:135], v1 offset:464
	v_fmac_f32_e32 v158, v137, v124
	v_fma_f32 v124, v136, v124, -v127
	v_fmac_f32_e32 v159, v139, v119
	v_fma_f32 v160, v138, v119, -v129
	ds_read_b128 v[136:139], v1 offset:480
	s_waitcnt vmcnt(32) lgkmcnt(2)
	v_mul_f32_e32 v161, v140, v123
	v_mul_f32_e32 v119, v141, v123
	s_waitcnt vmcnt(31)
	v_mul_f32_e32 v123, v142, v121
	v_mul_f32_e32 v121, v143, v121
	v_fmac_f32_e32 v161, v141, v106
	v_fma_f32 v140, v140, v106, -v119
	s_waitcnt vmcnt(27)
	v_fmac_f32_e32 v123, v143, v131
	v_fma_f32 v141, v142, v131, -v121
	s_waitcnt vmcnt(26) lgkmcnt(1)
	v_mul_f32_e32 v142, v132, v128
	v_mul_f32_e32 v106, v133, v128
	s_waitcnt vmcnt(25)
	v_mul_f32_e32 v143, v134, v126
	v_mul_f32_e32 v119, v135, v126
	ds_read_b128 v[126:129], v1 offset:496
	v_fmac_f32_e32 v142, v133, v117
	v_fma_f32 v117, v132, v117, -v106
	ds_read_b128 v[130:133], v1 offset:512
	v_fmac_f32_e32 v143, v135, v111
	v_fma_f32 v134, v134, v111, -v119
	s_waitcnt vmcnt(24) lgkmcnt(2)
	v_mul_f32_e32 v135, v136, v115
	v_mul_f32_e32 v106, v137, v115
	s_waitcnt vmcnt(23)
	v_mul_f32_e32 v115, v138, v113
	v_mul_f32_e32 v111, v139, v113
	v_fmac_f32_e32 v135, v137, v4
	v_fma_f32 v136, v136, v4, -v106
	s_waitcnt vmcnt(19)
	v_fmac_f32_e32 v115, v139, v125
	v_fma_f32 v125, v138, v125, -v111
	s_waitcnt vmcnt(18) lgkmcnt(1)
	v_mul_f32_e32 v137, v126, v122
	s_waitcnt vmcnt(17)
	v_mul_f32_e32 v138, v128, v120
	v_mul_f32_e32 v106, v129, v120
	;; [unrolled: 1-line block ×3, first 2 shown]
	ds_read_b128 v[119:122], v1 offset:528
	v_fmac_f32_e32 v137, v127, v110
	v_fmac_f32_e32 v138, v129, v107
	v_fma_f32 v127, v128, v107, -v106
	s_waitcnt vmcnt(15) lgkmcnt(1)
	v_mul_f32_e32 v129, v132, v108
	v_mul_f32_e32 v106, v133, v108
	v_fma_f32 v126, v126, v110, -v4
	v_mul_f32_e32 v128, v130, v109
	v_mul_f32_e32 v4, v131, v109
	s_waitcnt vmcnt(11)
	v_fmac_f32_e32 v129, v133, v118
	v_fma_f32 v118, v132, v118, -v106
	ds_read_b128 v[106:109], v1 offset:544
	v_fmac_f32_e32 v128, v131, v3
	v_fma_f32 v130, v130, v3, -v4
	s_waitcnt vmcnt(10) lgkmcnt(1)
	v_mul_f32_e32 v131, v119, v114
	v_mul_f32_e32 v3, v120, v114
	s_waitcnt vmcnt(9)
	v_mul_f32_e32 v4, v122, v112
	v_mul_f32_e32 v114, v121, v112
	ds_read_b128 v[110:113], v1 offset:560
	v_fmac_f32_e32 v131, v120, v8
	v_fma_f32 v8, v119, v8, -v3
	v_fma_f32 v119, v121, v5, -v4
	v_fmac_f32_e32 v114, v122, v5
	s_waitcnt vmcnt(8) lgkmcnt(1)
	v_mul_f32_e32 v120, v106, v7
	v_mul_f32_e32 v3, v107, v7
	s_waitcnt vmcnt(7)
	v_mul_f32_e32 v7, v108, v6
	v_mul_f32_e32 v4, v109, v6
	buffer_load_dword v6, off, s[0:3], 0 offset:196
	v_fmac_f32_e32 v120, v107, v2
	v_fma_f32 v121, v106, v2, -v3
	s_waitcnt vmcnt(4)
	v_fmac_f32_e32 v7, v109, v149
	v_fma_f32 v122, v108, v149, -v4
	buffer_load_dword v108, off, s[0:3], 0 offset:204
	ds_read_b128 v[2:5], v1 offset:576
	s_waitcnt vmcnt(4) lgkmcnt(1)
	v_mul_f32_e32 v132, v110, v150
	v_mul_f32_e32 v106, v111, v150
	s_waitcnt vmcnt(3)
	v_mul_f32_e32 v133, v112, v151
	v_mul_f32_e32 v107, v113, v151
	v_fmac_f32_e32 v132, v111, v148
	v_fma_f32 v110, v110, v148, -v106
	v_fmac_f32_e32 v133, v113, v147
	v_fma_f32 v111, v112, v147, -v107
	s_clause 0x5
	buffer_load_dword v112, off, s[0:3], 0 offset:224
	buffer_load_dword v113, off, s[0:3], 0 offset:216
	;; [unrolled: 1-line block ×6, first 2 shown]
	v_add_f32_e32 v106, 0, v152
	v_add_f32_e32 v107, 0, v144
	;; [unrolled: 1-line block ×3, first 2 shown]
	buffer_load_dword v145, off, s[0:3], 0 offset:228
	v_add_f32_e32 v107, v107, v153
	v_add_f32_e32 v106, v106, v116
	s_clause 0x4
	buffer_load_dword v116, off, s[0:3], 0 offset:236
	buffer_load_dword v144, off, s[0:3], 0 offset:256
	;; [unrolled: 1-line block ×5, first 2 shown]
	v_add_f32_e32 v107, v107, v155
	v_add_f32_e32 v106, v106, v157
	;; [unrolled: 1-line block ×4, first 2 shown]
	s_clause 0x2
	buffer_load_dword v124, off, s[0:3], 0 offset:244
	buffer_load_dword v153, off, s[0:3], 0 offset:252
	buffer_load_dword v155, off, s[0:3], 0 offset:260
	v_add_f32_e32 v107, v107, v158
	v_add_f32_e32 v106, v106, v160
	;; [unrolled: 1-line block ×5, first 2 shown]
	s_waitcnt vmcnt(16) lgkmcnt(0)
	v_mul_f32_e32 v156, v2, v6
	v_mul_f32_e32 v6, v3, v6
	v_fmac_f32_e32 v156, v3, v146
	v_fma_f32 v6, v2, v146, -v6
	v_add_f32_e32 v2, v106, v141
	v_add_f32_e32 v3, v107, v123
	s_waitcnt vmcnt(15)
	v_mul_f32_e32 v140, v4, v108
	v_mul_f32_e32 v157, v5, v108
	ds_read_b128 v[106:109], v1 offset:592
	v_add_f32_e32 v2, v2, v117
	v_add_f32_e32 v3, v3, v142
	s_waitcnt vmcnt(11)
	v_fmac_f32_e32 v140, v5, v147
	v_add_f32_e32 v2, v2, v134
	v_add_f32_e32 v3, v3, v143
	v_fma_f32 v123, v4, v147, -v157
	s_clause 0x4
	buffer_load_dword v117, off, s[0:3], 0 offset:268
	buffer_load_dword v141, off, s[0:3], 0 offset:288
	;; [unrolled: 1-line block ×5, first 2 shown]
	v_add_f32_e32 v2, v2, v136
	v_add_f32_e32 v3, v3, v135
	s_clause 0x2
	buffer_load_dword v134, off, s[0:3], 0 offset:276
	buffer_load_dword v135, off, s[0:3], 0 offset:284
	;; [unrolled: 1-line block ×3, first 2 shown]
	v_add_f32_e32 v125, v2, v125
	v_add_f32_e32 v115, v3, v115
	ds_read_b128 v[2:5], v1 offset:608
	s_waitcnt vmcnt(18) lgkmcnt(1)
	v_mul_f32_e32 v143, v106, v148
	v_add_f32_e32 v125, v125, v126
	v_add_f32_e32 v115, v115, v137
	v_mul_f32_e32 v148, v107, v148
	s_waitcnt vmcnt(17)
	v_mul_f32_e32 v137, v109, v149
	v_fmac_f32_e32 v143, v107, v139
	v_add_f32_e32 v107, v125, v127
	v_add_f32_e32 v115, v115, v138
	v_mul_f32_e32 v126, v108, v149
	v_fma_f32 v125, v106, v139, -v148
	v_fma_f32 v127, v108, v113, -v137
	v_add_f32_e32 v106, v107, v130
	v_add_f32_e32 v107, v115, v128
	s_clause 0x7
	buffer_load_dword v128, off, s[0:3], 0 offset:300
	buffer_load_dword v130, off, s[0:3], 0 offset:308
	buffer_load_dword v137, off, s[0:3], 0 offset:316
	buffer_load_dword v138, off, s[0:3], 0 offset:324
	buffer_load_dword v139, off, s[0:3], 0 offset:320
	buffer_load_dword v148, off, s[0:3], 0 offset:312
	buffer_load_dword v149, off, s[0:3], 0 offset:304
	buffer_load_dword v157, off, s[0:3], 0 offset:296
	v_fmac_f32_e32 v126, v109, v113
	v_add_f32_e32 v106, v106, v118
	v_add_f32_e32 v107, v107, v129
	s_waitcnt vmcnt(24) lgkmcnt(0)
	v_mul_f32_e32 v115, v2, v145
	v_mul_f32_e32 v108, v3, v145
	s_clause 0x3
	buffer_load_dword v129, off, s[0:3], 0 offset:332
	buffer_load_dword v145, off, s[0:3], 0 offset:340
	;; [unrolled: 1-line block ×4, first 2 shown]
	v_fmac_f32_e32 v115, v3, v112
	v_fma_f32 v118, v2, v112, -v108
	v_add_f32_e32 v2, v106, v8
	v_add_f32_e32 v106, v107, v131
	s_waitcnt vmcnt(27)
	v_mul_f32_e32 v131, v4, v116
	v_mul_f32_e32 v3, v5, v116
	s_clause 0x1
	buffer_load_dword v8, off, s[0:3], 0 offset:364
	buffer_load_dword v160, off, s[0:3], 0 offset:372
	v_add_f32_e32 v107, v2, v119
	buffer_load_dword v161, off, s[0:3], 0 offset:380
	s_waitcnt vmcnt(26)
	v_fmac_f32_e32 v131, v5, v152
	v_fma_f32 v119, v4, v152, -v3
	ds_read_b128 v[2:5], v1 offset:624
	v_add_f32_e32 v106, v106, v114
	v_add_f32_e32 v107, v107, v121
	s_clause 0x3
	buffer_load_dword v152, off, s[0:3], 0 offset:352
	buffer_load_dword v162, off, s[0:3], 0 offset:344
	;; [unrolled: 1-line block ×4, first 2 shown]
	v_add_f32_e32 v106, v106, v120
	v_add_f32_e32 v107, v107, v122
	;; [unrolled: 1-line block ×4, first 2 shown]
	ds_read_b128 v[106:109], v1 offset:640
	v_add_f32_e32 v7, v7, v132
	v_add_f32_e32 v110, v110, v111
	s_waitcnt vmcnt(29) lgkmcnt(1)
	v_mul_f32_e32 v120, v2, v124
	v_mul_f32_e32 v111, v3, v124
	s_waitcnt vmcnt(28)
	v_mul_f32_e32 v122, v4, v153
	v_fmac_f32_e32 v120, v3, v151
	v_fma_f32 v121, v2, v151, -v111
	v_add_f32_e32 v2, v7, v133
	v_add_f32_e32 v3, v110, v6
	s_clause 0x3
	buffer_load_dword v6, off, s[0:3], 0 offset:376
	buffer_load_dword v7, off, s[0:3], 0 offset:368
	;; [unrolled: 1-line block ×4, first 2 shown]
	v_mul_f32_e32 v110, v5, v153
	v_add_f32_e32 v2, v2, v156
	v_add_f32_e32 v3, v3, v123
	v_fmac_f32_e32 v122, v5, v150
	s_waitcnt vmcnt(31) lgkmcnt(0)
	v_mul_f32_e32 v124, v107, v155
	v_fma_f32 v123, v4, v150, -v110
	v_add_f32_e32 v111, v2, v140
	v_add_f32_e32 v114, v3, v125
	ds_read_b128 v[2:5], v1 offset:656
	v_fma_f32 v124, v106, v144, -v124
	v_add_f32_e32 v116, v111, v143
	ds_read_b128 v[110:113], v1 offset:672
	v_add_f32_e32 v114, v114, v127
	v_mul_f32_e32 v127, v106, v155
	v_add_f32_e32 v116, v116, v126
	v_add_f32_e32 v118, v114, v118
	v_fmac_f32_e32 v127, v107, v144
	v_add_f32_e32 v125, v116, v115
	v_add_f32_e32 v118, v118, v119
	;; [unrolled: 1-line block ×6, first 2 shown]
	s_waitcnt vmcnt(30)
	v_mul_f32_e32 v126, v108, v117
	v_mul_f32_e32 v117, v109, v117
	s_waitcnt vmcnt(26)
	v_fmac_f32_e32 v126, v109, v147
	s_waitcnt vmcnt(25) lgkmcnt(1)
	v_mul_f32_e32 v143, v2, v134
	v_mul_f32_e32 v119, v3, v134
	s_waitcnt vmcnt(24)
	v_mul_f32_e32 v131, v4, v135
	v_mul_f32_e32 v134, v5, v135
	s_waitcnt vmcnt(23) lgkmcnt(0)
	v_mul_f32_e32 v135, v110, v136
	v_fma_f32 v140, v108, v147, -v117
	v_mul_f32_e32 v136, v111, v136
	v_fmac_f32_e32 v131, v5, v142
	v_fma_f32 v134, v4, v142, -v134
	v_add_f32_e32 v142, v125, v122
	v_fmac_f32_e32 v135, v111, v141
	v_add_f32_e32 v111, v123, v124
	ds_read_b128 v[106:109], v1 offset:688
	ds_read_b128 v[114:117], v1 offset:704
	v_fmac_f32_e32 v143, v3, v146
	v_fma_f32 v144, v2, v146, -v119
	ds_read_b128 v[2:5], v1 offset:720
	ds_read_b128 v[118:121], v1 offset:736
	;; [unrolled: 1-line block ×3, first 2 shown]
	v_add_f32_e32 v1, v142, v127
	v_add_f32_e32 v111, v111, v140
	v_fma_f32 v110, v110, v141, -v136
	s_waitcnt vmcnt(22)
	v_mul_f32_e32 v127, v112, v128
	v_mul_f32_e32 v128, v113, v128
	v_add_f32_e32 v1, v1, v126
	v_add_f32_e32 v111, v111, v144
	s_waitcnt vmcnt(15)
	v_fmac_f32_e32 v127, v113, v157
	v_fma_f32 v112, v112, v157, -v128
	v_add_f32_e32 v1, v1, v143
	v_add_f32_e32 v111, v111, v134
	s_waitcnt lgkmcnt(4)
	v_mul_f32_e32 v136, v106, v130
	v_add_f32_e32 v1, v1, v131
	v_mul_f32_e32 v130, v107, v130
	v_add_f32_e32 v110, v111, v110
	v_mul_f32_e32 v131, v109, v137
	v_fmac_f32_e32 v136, v107, v149
	v_add_f32_e32 v1, v1, v135
	v_fma_f32 v106, v106, v149, -v130
	v_add_f32_e32 v107, v110, v112
	v_mul_f32_e32 v126, v108, v137
	s_waitcnt lgkmcnt(3)
	v_mul_f32_e32 v110, v115, v138
	v_add_f32_e32 v1, v1, v127
	v_fma_f32 v108, v108, v148, -v131
	v_add_f32_e32 v106, v107, v106
	v_mul_f32_e32 v113, v114, v138
	v_fmac_f32_e32 v126, v109, v148
	v_add_f32_e32 v1, v1, v136
	s_waitcnt vmcnt(14)
	v_mul_f32_e32 v107, v117, v129
	v_fma_f32 v109, v114, v139, -v110
	v_add_f32_e32 v106, v106, v108
	v_mul_f32_e32 v128, v116, v129
	v_fmac_f32_e32 v113, v115, v139
	v_add_f32_e32 v1, v1, v126
	s_waitcnt vmcnt(13) lgkmcnt(2)
	v_mul_f32_e32 v140, v2, v145
	v_mul_f32_e32 v108, v3, v145
	s_waitcnt vmcnt(4)
	v_fma_f32 v107, v116, v164, -v107
	v_add_f32_e32 v106, v106, v109
	v_fmac_f32_e32 v128, v117, v164
	v_add_f32_e32 v1, v1, v113
	v_mul_f32_e32 v109, v5, v158
	v_fmac_f32_e32 v140, v3, v163
	v_fma_f32 v2, v2, v163, -v108
	v_add_f32_e32 v3, v106, v107
	v_mul_f32_e32 v141, v4, v158
	v_add_f32_e32 v1, v1, v128
	s_waitcnt lgkmcnt(1)
	v_mul_f32_e32 v106, v119, v159
	v_fma_f32 v4, v4, v162, -v109
	v_add_f32_e32 v2, v3, v2
	v_mul_f32_e32 v142, v118, v159
	v_fmac_f32_e32 v141, v5, v162
	v_add_f32_e32 v1, v1, v140
	v_mul_f32_e32 v3, v121, v8
	v_fma_f32 v5, v118, v152, -v106
	v_add_f32_e32 v2, v2, v4
	v_mul_f32_e32 v134, v120, v8
	v_fmac_f32_e32 v142, v119, v152
	v_add_f32_e32 v1, v1, v141
	s_waitcnt lgkmcnt(0)
	v_mul_f32_e32 v4, v123, v160
	s_waitcnt vmcnt(1)
	v_fma_f32 v3, v120, v132, -v3
	v_add_f32_e32 v2, v2, v5
	v_mul_f32_e32 v137, v122, v160
	v_fmac_f32_e32 v134, v121, v132
	v_add_f32_e32 v1, v1, v142
	v_mul_f32_e32 v5, v125, v161
	v_fma_f32 v4, v122, v7, -v4
	v_add_f32_e32 v2, v2, v3
	v_mul_f32_e32 v111, v124, v161
	v_fmac_f32_e32 v137, v123, v7
	v_add_f32_e32 v1, v1, v134
	v_fma_f32 v3, v124, v6, -v5
	v_add_f32_e32 v2, v2, v4
	v_fmac_f32_e32 v111, v125, v6
	v_add_f32_e32 v1, v1, v137
	v_add_f32_e32 v2, v2, v3
	;; [unrolled: 1-line block ×3, first 2 shown]
	s_waitcnt vmcnt(0)
	v_sub_f32_e32 v2, v133, v2
	v_sub_f32_e32 v1, v154, v1
	buffer_store_dword v2, off, s[0:3], 0 offset:8
	buffer_store_dword v1, off, s[0:3], 0 offset:12
	v_cmpx_ne_u32_e32 0, v0
	s_cbranch_execz .LBB111_301
; %bb.300:
	s_clause 0x1
	buffer_load_dword v0, off, s[0:3], 0
	buffer_load_dword v1, off, s[0:3], 0 offset:4
	v_mov_b32_e32 v2, 0
	buffer_store_dword v2, off, s[0:3], 0
	buffer_store_dword v2, off, s[0:3], 0 offset:4
	s_waitcnt vmcnt(0)
	ds_write_b64 v105, v[0:1]
.LBB111_301:
	s_or_b32 exec_lo, exec_lo, s4
	s_waitcnt lgkmcnt(0)
	s_waitcnt_vscnt null, 0x0
	s_barrier
	buffer_gl0_inv
	s_clause 0x2c
	buffer_load_dword v135, off, s[0:3], 0 offset:12
	buffer_load_dword v117, off, s[0:3], 0 offset:24
	;; [unrolled: 1-line block ×45, first 2 shown]
	v_mov_b32_e32 v0, 0
	ds_read2_b64 v[136:139], v0 offset0:49 offset1:50
	ds_read2_b64 v[140:143], v0 offset0:51 offset1:52
	;; [unrolled: 1-line block ×3, first 2 shown]
	buffer_load_dword v155, off, s[0:3], 0 offset:4
	s_and_b32 vcc_lo, exec_lo, s16
	s_waitcnt vmcnt(45) lgkmcnt(2)
	v_mul_f32_e32 v154, v137, v135
	v_mul_f32_e32 v135, v136, v135
	s_waitcnt vmcnt(41)
	v_mul_f32_e32 v156, v138, v131
	v_mul_f32_e32 v131, v139, v131
	v_fma_f32 v154, v136, v133, -v154
	v_fmac_f32_e32 v135, v137, v133
	s_waitcnt vmcnt(40) lgkmcnt(1)
	v_mul_f32_e32 v158, v140, v129
	v_fmac_f32_e32 v156, v139, v126
	v_fma_f32 v157, v138, v126, -v131
	v_mul_f32_e32 v126, v141, v129
	ds_read2_b64 v[136:139], v0 offset0:55 offset1:56
	v_fmac_f32_e32 v158, v141, v117
	s_waitcnt vmcnt(39)
	v_mul_f32_e32 v159, v142, v122
	s_waitcnt vmcnt(34) lgkmcnt(1)
	v_mul_f32_e32 v161, v144, v132
	v_fma_f32 v129, v140, v117, -v126
	v_mul_f32_e32 v117, v143, v122
	v_fmac_f32_e32 v159, v143, v134
	v_fmac_f32_e32 v161, v145, v125
	v_fma_f32 v160, v142, v134, -v117
	v_mul_f32_e32 v117, v145, v132
	ds_read2_b64 v[131:134], v0 offset0:57 offset1:58
	ds_read2_b64 v[140:143], v0 offset0:59 offset1:60
	s_waitcnt vmcnt(33)
	v_mul_f32_e32 v145, v146, v127
	v_fma_f32 v144, v144, v125, -v117
	v_mul_f32_e32 v117, v147, v127
	v_fmac_f32_e32 v145, v147, v118
	s_waitcnt vmcnt(32) lgkmcnt(2)
	v_mul_f32_e32 v147, v136, v123
	v_fma_f32 v146, v146, v118, -v117
	v_mul_f32_e32 v117, v137, v123
	v_fmac_f32_e32 v147, v137, v106
	v_fma_f32 v106, v136, v106, -v117
	s_waitcnt vmcnt(31)
	v_mul_f32_e32 v136, v138, v114
	v_mul_f32_e32 v114, v139, v114
	s_waitcnt vmcnt(26) lgkmcnt(1)
	v_mul_f32_e32 v137, v131, v128
	v_fmac_f32_e32 v136, v139, v130
	v_fma_f32 v130, v138, v130, -v114
	v_mul_f32_e32 v114, v132, v128
	ds_read2_b64 v[125:128], v0 offset0:61 offset1:62
	v_fmac_f32_e32 v137, v132, v119
	s_waitcnt vmcnt(25)
	v_mul_f32_e32 v132, v133, v120
	s_waitcnt vmcnt(23) lgkmcnt(1)
	v_mul_f32_e32 v139, v142, v108
	v_fma_f32 v131, v131, v119, -v114
	v_mul_f32_e32 v114, v134, v120
	ds_read2_b64 v[117:120], v0 offset0:63 offset1:64
	v_fmac_f32_e32 v132, v134, v110
	v_mul_f32_e32 v134, v140, v115
	s_waitcnt vmcnt(19)
	v_fmac_f32_e32 v139, v143, v124
	v_fma_f32 v133, v133, v110, -v114
	v_mul_f32_e32 v110, v141, v115
	v_fmac_f32_e32 v134, v141, v4
	v_fma_f32 v138, v140, v4, -v110
	v_mul_f32_e32 v4, v143, v108
	s_waitcnt vmcnt(18) lgkmcnt(1)
	v_mul_f32_e32 v141, v125, v121
	v_fma_f32 v140, v142, v124, -v4
	v_mul_f32_e32 v4, v126, v121
	ds_read2_b64 v[121:124], v0 offset0:65 offset1:66
	v_fmac_f32_e32 v141, v126, v111
	s_waitcnt vmcnt(17)
	v_mul_f32_e32 v126, v127, v112
	v_fma_f32 v125, v125, v111, -v4
	v_mul_f32_e32 v4, v128, v112
	v_fmac_f32_e32 v126, v128, v8
	s_waitcnt vmcnt(16) lgkmcnt(1)
	v_mul_f32_e32 v128, v117, v109
	v_fma_f32 v127, v127, v8, -v4
	v_mul_f32_e32 v4, v118, v109
	ds_read2_b64 v[108:111], v0 offset0:67 offset1:68
	v_fmac_f32_e32 v128, v118, v2
	s_waitcnt vmcnt(15)
	v_mul_f32_e32 v118, v119, v6
	buffer_load_dword v8, off, s[0:3], 0 offset:196
	v_fma_f32 v117, v117, v2, -v4
	v_mul_f32_e32 v2, v120, v6
	s_waitcnt vmcnt(12)
	v_fmac_f32_e32 v118, v120, v116
	s_waitcnt vmcnt(10) lgkmcnt(1)
	v_mul_f32_e32 v120, v123, v107
	v_fma_f32 v116, v119, v116, -v2
	v_mul_f32_e32 v119, v121, v113
	v_mul_f32_e32 v2, v122, v113
	ds_read2_b64 v[112:115], v0 offset0:69 offset1:70
	v_fmac_f32_e32 v120, v124, v3
	v_fmac_f32_e32 v119, v122, v105
	v_fma_f32 v105, v121, v105, -v2
	v_mul_f32_e32 v2, v124, v107
	s_waitcnt vmcnt(9) lgkmcnt(1)
	v_mul_f32_e32 v121, v108, v7
	s_waitcnt vmcnt(8)
	v_mul_f32_e32 v122, v110, v5
	v_fma_f32 v107, v123, v3, -v2
	v_mul_f32_e32 v2, v109, v7
	v_mul_f32_e32 v3, v111, v5
	buffer_load_dword v5, off, s[0:3], 0 offset:188
	v_fmac_f32_e32 v121, v109, v1
	s_waitcnt vmcnt(5)
	v_fmac_f32_e32 v122, v111, v151
	v_fma_f32 v108, v108, v1, -v2
	v_fma_f32 v109, v110, v151, -v3
	ds_read2_b64 v[1:4], v0 offset0:71 offset1:72
	s_waitcnt vmcnt(4) lgkmcnt(1)
	v_mul_f32_e32 v110, v112, v152
	v_mul_f32_e32 v6, v113, v152
	s_waitcnt vmcnt(3)
	v_mul_f32_e32 v111, v114, v153
	v_mul_f32_e32 v7, v115, v153
	v_fmac_f32_e32 v110, v113, v150
	v_fma_f32 v112, v112, v150, -v6
	v_fmac_f32_e32 v111, v115, v149
	v_fma_f32 v113, v114, v149, -v7
	s_clause 0x4
	buffer_load_dword v114, off, s[0:3], 0 offset:216
	buffer_load_dword v115, off, s[0:3], 0 offset:208
	;; [unrolled: 1-line block ×5, first 2 shown]
	s_waitcnt vmcnt(6) lgkmcnt(0)
	v_mul_f32_e32 v143, v3, v8
	v_mul_f32_e32 v7, v4, v8
	s_waitcnt vmcnt(5)
	v_mul_f32_e32 v142, v1, v5
	v_mul_f32_e32 v5, v2, v5
	v_fmac_f32_e32 v142, v2, v148
	v_fma_f32 v148, v1, v148, -v5
	s_waitcnt vmcnt(1)
	v_fmac_f32_e32 v143, v4, v6
	v_fma_f32 v149, v3, v6, -v7
	ds_read2_b64 v[1:4], v0 offset0:73 offset1:74
	ds_read2_b64 v[5:8], v0 offset0:75 offset1:76
	s_waitcnt vmcnt(0) lgkmcnt(1)
	v_mul_f32_e32 v150, v1, v124
	v_mul_f32_e32 v124, v2, v124
	v_fmac_f32_e32 v150, v2, v123
	v_fma_f32 v123, v1, v123, -v124
	buffer_load_dword v1, off, s[0:3], 0 offset:212
	s_waitcnt vmcnt(0)
	v_mul_f32_e32 v124, v3, v1
	v_mul_f32_e32 v1, v4, v1
	v_fmac_f32_e32 v124, v4, v115
	v_fma_f32 v115, v3, v115, -v1
	buffer_load_dword v1, off, s[0:3], 0 offset:220
	s_waitcnt vmcnt(0) lgkmcnt(0)
	v_mul_f32_e32 v151, v5, v1
	v_mul_f32_e32 v1, v6, v1
	v_fmac_f32_e32 v151, v6, v114
	v_fma_f32 v114, v5, v114, -v1
	s_clause 0x5
	buffer_load_dword v1, off, s[0:3], 0 offset:228
	buffer_load_dword v152, off, s[0:3], 0 offset:248
	;; [unrolled: 1-line block ×6, first 2 shown]
	s_waitcnt vmcnt(5)
	v_mul_f32_e32 v163, v7, v1
	v_mul_f32_e32 v1, v8, v1
	s_waitcnt vmcnt(1)
	v_fmac_f32_e32 v163, v8, v2
	v_fma_f32 v164, v7, v2, -v1
	ds_read2_b64 v[1:4], v0 offset0:77 offset1:78
	ds_read2_b64 v[5:8], v0 offset0:79 offset1:80
	s_waitcnt vmcnt(0) lgkmcnt(1)
	v_mul_f32_e32 v166, v1, v165
	v_mul_f32_e32 v165, v2, v165
	v_fmac_f32_e32 v166, v2, v162
	v_fma_f32 v162, v1, v162, -v165
	buffer_load_dword v1, off, s[0:3], 0 offset:244
	s_waitcnt vmcnt(0)
	v_mul_f32_e32 v165, v3, v1
	v_mul_f32_e32 v1, v4, v1
	v_fmac_f32_e32 v165, v4, v153
	v_fma_f32 v153, v3, v153, -v1
	buffer_load_dword v1, off, s[0:3], 0 offset:252
	s_waitcnt vmcnt(0) lgkmcnt(0)
	v_mul_f32_e32 v167, v5, v1
	v_mul_f32_e32 v1, v6, v1
	v_fmac_f32_e32 v167, v6, v152
	v_fma_f32 v152, v5, v152, -v1
	s_clause 0x4
	buffer_load_dword v1, off, s[0:3], 0 offset:260
	buffer_load_dword v168, off, s[0:3], 0 offset:280
	;; [unrolled: 1-line block ×5, first 2 shown]
	s_waitcnt vmcnt(4)
	v_mul_f32_e32 v171, v7, v1
	v_mul_f32_e32 v1, v8, v1
	s_waitcnt vmcnt(0)
	v_fmac_f32_e32 v171, v8, v2
	v_fma_f32 v172, v7, v2, -v1
	v_add_f32_e32 v1, 0, v154
	v_add_f32_e32 v2, 0, v135
	v_add_f32_e32 v1, v1, v157
	v_add_f32_e32 v2, v2, v156
	v_add_f32_e32 v1, v1, v129
	v_add_f32_e32 v2, v2, v158
	buffer_load_dword v129, off, s[0:3], 0 offset:268
	v_add_f32_e32 v1, v1, v160
	v_add_f32_e32 v2, v2, v159
	;; [unrolled: 1-line block ×7, first 2 shown]
	buffer_load_dword v106, off, s[0:3], 0 offset:276
	v_add_f32_e32 v2, v2, v147
	v_add_f32_e32 v1, v1, v130
	buffer_load_dword v130, off, s[0:3], 0 offset:284
	v_add_f32_e32 v2, v2, v136
	v_add_f32_e32 v1, v1, v131
	;; [unrolled: 3-line block ×3, first 2 shown]
	s_clause 0x3
	buffer_load_dword v133, off, s[0:3], 0 offset:312
	buffer_load_dword v135, off, s[0:3], 0 offset:304
	;; [unrolled: 1-line block ×4, first 2 shown]
	v_add_f32_e32 v2, v2, v132
	buffer_load_dword v132, off, s[0:3], 0 offset:300
	v_add_f32_e32 v1, v1, v138
	v_add_f32_e32 v2, v2, v134
	buffer_load_dword v134, off, s[0:3], 0 offset:308
	v_add_f32_e32 v1, v1, v140
	v_add_f32_e32 v2, v2, v139
	s_clause 0x1
	buffer_load_dword v138, off, s[0:3], 0 offset:316
	buffer_load_dword v139, off, s[0:3], 0 offset:324
	v_add_f32_e32 v1, v1, v125
	buffer_load_dword v125, off, s[0:3], 0 offset:332
	v_add_f32_e32 v2, v2, v141
	s_clause 0x2
	buffer_load_dword v140, off, s[0:3], 0 offset:340
	buffer_load_dword v141, off, s[0:3], 0 offset:348
	;; [unrolled: 1-line block ×3, first 2 shown]
	v_add_f32_e32 v1, v1, v127
	buffer_load_dword v127, off, s[0:3], 0 offset:356
	v_add_f32_e32 v2, v2, v126
	buffer_load_dword v126, off, s[0:3], 0 offset:364
	v_add_f32_e32 v1, v1, v117
	v_add_f32_e32 v2, v2, v128
	buffer_load_dword v128, off, s[0:3], 0 offset:380
	v_add_f32_e32 v1, v1, v116
	v_add_f32_e32 v2, v2, v118
	;; [unrolled: 1-line block ×4, first 2 shown]
	s_clause 0x3
	buffer_load_dword v119, off, s[0:3], 0 offset:344
	buffer_load_dword v145, off, s[0:3], 0 offset:336
	;; [unrolled: 1-line block ×4, first 2 shown]
	v_add_f32_e32 v1, v1, v107
	v_add_f32_e32 v2, v2, v120
	;; [unrolled: 1-line block ×4, first 2 shown]
	s_clause 0x4
	buffer_load_dword v120, off, s[0:3], 0 offset:376
	buffer_load_dword v121, off, s[0:3], 0 offset:368
	;; [unrolled: 1-line block ×4, first 2 shown]
	buffer_load_dword v157, off, s[0:3], 0
	v_add_f32_e32 v1, v1, v109
	v_add_f32_e32 v2, v2, v122
	;; [unrolled: 1-line block ×5, first 2 shown]
	ds_read2_b64 v[1:4], v0 offset0:81 offset1:82
	v_add_f32_e32 v5, v5, v111
	v_add_f32_e32 v6, v6, v148
	;; [unrolled: 1-line block ×5, first 2 shown]
	ds_read2_b64 v[5:8], v0 offset0:83 offset1:84
	v_add_f32_e32 v105, v105, v123
	v_add_f32_e32 v107, v107, v150
	;; [unrolled: 1-line block ×6, first 2 shown]
	s_waitcnt vmcnt(27) lgkmcnt(1)
	v_mul_f32_e32 v122, v1, v129
	v_mul_f32_e32 v108, v2, v129
	v_fmac_f32_e32 v122, v2, v170
	v_add_f32_e32 v2, v107, v124
	v_fma_f32 v124, v1, v170, -v108
	v_add_f32_e32 v113, v2, v151
	v_add_f32_e32 v113, v113, v163
	s_waitcnt vmcnt(26)
	v_mul_f32_e32 v123, v3, v106
	v_mul_f32_e32 v106, v4, v106
	v_add_f32_e32 v113, v113, v166
	s_waitcnt vmcnt(25) lgkmcnt(0)
	v_mul_f32_e32 v142, v5, v130
	v_mul_f32_e32 v115, v6, v130
	v_fmac_f32_e32 v123, v4, v169
	v_fma_f32 v129, v3, v169, -v106
	ds_read2_b64 v[1:4], v0 offset0:85 offset1:86
	ds_read2_b64 v[105:108], v0 offset0:87 offset1:88
	v_fmac_f32_e32 v142, v6, v168
	v_add_f32_e32 v6, v114, v153
	s_waitcnt vmcnt(24)
	v_mul_f32_e32 v130, v7, v131
	v_mul_f32_e32 v117, v8, v131
	v_fma_f32 v131, v5, v168, -v115
	v_add_f32_e32 v5, v113, v165
	v_add_f32_e32 v143, v6, v152
	ds_read2_b64 v[109:112], v0 offset0:89 offset1:90
	ds_read2_b64 v[113:116], v0 offset0:91 offset1:92
	s_waitcnt vmcnt(20)
	v_fmac_f32_e32 v130, v8, v137
	v_add_f32_e32 v148, v5, v167
	v_add_f32_e32 v143, v143, v172
	v_fma_f32 v137, v7, v137, -v117
	ds_read2_b64 v[5:8], v0 offset0:93 offset1:94
	ds_read_b64 v[117:118], v0 offset:760
	v_add_f32_e32 v148, v148, v171
	v_add_f32_e32 v124, v143, v124
	s_waitcnt vmcnt(19) lgkmcnt(5)
	v_mul_f32_e32 v149, v1, v132
	v_mul_f32_e32 v132, v2, v132
	v_add_f32_e32 v122, v148, v122
	v_add_f32_e32 v124, v124, v129
	s_waitcnt vmcnt(18)
	v_mul_f32_e32 v150, v3, v134
	v_mul_f32_e32 v134, v4, v134
	v_fma_f32 v1, v1, v136, -v132
	v_add_f32_e32 v122, v122, v123
	v_add_f32_e32 v124, v124, v131
	v_fmac_f32_e32 v149, v2, v136
	s_waitcnt vmcnt(17) lgkmcnt(4)
	v_mul_f32_e32 v132, v106, v138
	v_fma_f32 v3, v3, v135, -v134
	v_add_f32_e32 v122, v122, v142
	v_add_f32_e32 v124, v124, v137
	v_mul_f32_e32 v143, v105, v138
	v_fmac_f32_e32 v150, v4, v135
	v_fma_f32 v105, v105, v133, -v132
	v_add_f32_e32 v122, v122, v130
	v_add_f32_e32 v1, v124, v1
	s_waitcnt vmcnt(16)
	v_mul_f32_e32 v148, v107, v139
	v_fmac_f32_e32 v143, v106, v133
	s_waitcnt vmcnt(15) lgkmcnt(3)
	v_mul_f32_e32 v129, v109, v125
	v_add_f32_e32 v4, v122, v149
	v_mul_f32_e32 v122, v108, v139
	v_add_f32_e32 v1, v1, v3
	s_waitcnt vmcnt(5)
	v_fmac_f32_e32 v148, v108, v147
	v_mul_f32_e32 v123, v111, v140
	v_add_f32_e32 v3, v4, v150
	v_mul_f32_e32 v4, v110, v125
	v_fma_f32 v106, v107, v147, -v122
	v_add_f32_e32 v1, v1, v105
	v_mul_f32_e32 v105, v112, v140
	v_add_f32_e32 v3, v3, v143
	v_fma_f32 v4, v109, v146, -v4
	v_fmac_f32_e32 v129, v110, v146
	v_add_f32_e32 v1, v1, v106
	s_waitcnt lgkmcnt(2)
	v_mul_f32_e32 v106, v114, v141
	v_add_f32_e32 v3, v3, v148
	v_fma_f32 v105, v111, v145, -v105
	v_mul_f32_e32 v151, v113, v141
	v_add_f32_e32 v1, v1, v4
	v_fmac_f32_e32 v123, v112, v145
	v_add_f32_e32 v3, v3, v129
	v_mul_f32_e32 v4, v116, v127
	v_fma_f32 v106, v113, v119, -v106
	v_add_f32_e32 v1, v1, v105
	v_mul_f32_e32 v131, v115, v127
	v_fmac_f32_e32 v151, v114, v119
	v_add_f32_e32 v3, v3, v123
	s_waitcnt lgkmcnt(1)
	v_mul_f32_e32 v105, v6, v126
	s_waitcnt vmcnt(1)
	v_fma_f32 v4, v115, v156, -v4
	v_add_f32_e32 v1, v1, v106
	v_mul_f32_e32 v142, v5, v126
	v_fmac_f32_e32 v131, v116, v156
	v_add_f32_e32 v3, v3, v151
	v_mul_f32_e32 v106, v8, v144
	v_fma_f32 v5, v5, v154, -v105
	v_add_f32_e32 v1, v1, v4
	v_mul_f32_e32 v2, v7, v144
	v_fmac_f32_e32 v142, v6, v154
	v_add_f32_e32 v3, v3, v131
	s_waitcnt lgkmcnt(0)
	v_mul_f32_e32 v4, v118, v128
	v_fma_f32 v6, v7, v121, -v106
	v_add_f32_e32 v1, v1, v5
	v_mul_f32_e32 v130, v117, v128
	v_fmac_f32_e32 v2, v8, v121
	v_add_f32_e32 v3, v3, v142
	v_fma_f32 v4, v117, v120, -v4
	v_add_f32_e32 v1, v1, v6
	v_fmac_f32_e32 v130, v118, v120
	v_add_f32_e32 v2, v3, v2
	v_add_f32_e32 v1, v1, v4
	;; [unrolled: 1-line block ×3, first 2 shown]
	s_waitcnt vmcnt(0)
	v_sub_f32_e32 v1, v157, v1
	v_sub_f32_e32 v2, v155, v2
	buffer_store_dword v1, off, s[0:3], 0
	buffer_store_dword v2, off, s[0:3], 0 offset:4
	s_cbranch_vccz .LBB111_396
; %bb.302:
	global_load_dword v0, v0, s[12:13] offset:184
	s_waitcnt vmcnt(0)
	v_add_nc_u32_e32 v0, -1, v0
	v_cmp_ne_u32_e32 vcc_lo, 46, v0
	s_cbranch_vccz .LBB111_304
; %bb.303:
	v_lshlrev_b32_e32 v0, 3, v0
	s_clause 0x3
	buffer_load_dword v1, v0, s[0:3], 0 offen
	buffer_load_dword v2, v0, s[0:3], 0 offen offset:4
	buffer_load_dword v3, off, s[0:3], 0 offset:372
	buffer_load_dword v4, off, s[0:3], 0 offset:368
	s_waitcnt vmcnt(3)
	buffer_store_dword v1, off, s[0:3], 0 offset:368
	s_waitcnt vmcnt(2)
	buffer_store_dword v2, off, s[0:3], 0 offset:372
	s_waitcnt vmcnt(1)
	buffer_store_dword v3, v0, s[0:3], 0 offen offset:4
	s_waitcnt vmcnt(0)
	buffer_store_dword v4, v0, s[0:3], 0 offen
.LBB111_304:
	v_mov_b32_e32 v0, 0
	global_load_dword v1, v0, s[12:13] offset:180
	s_waitcnt vmcnt(0)
	v_add_nc_u32_e32 v1, -1, v1
	v_cmp_eq_u32_e32 vcc_lo, 45, v1
	s_cbranch_vccnz .LBB111_306
; %bb.305:
	v_lshlrev_b32_e32 v1, 3, v1
	s_clause 0x3
	buffer_load_dword v2, v1, s[0:3], 0 offen
	buffer_load_dword v3, v1, s[0:3], 0 offen offset:4
	buffer_load_dword v4, off, s[0:3], 0 offset:360
	buffer_load_dword v5, off, s[0:3], 0 offset:364
	s_waitcnt vmcnt(3)
	buffer_store_dword v2, off, s[0:3], 0 offset:360
	s_waitcnt vmcnt(2)
	buffer_store_dword v3, off, s[0:3], 0 offset:364
	s_waitcnt vmcnt(1)
	buffer_store_dword v4, v1, s[0:3], 0 offen
	s_waitcnt vmcnt(0)
	buffer_store_dword v5, v1, s[0:3], 0 offen offset:4
.LBB111_306:
	global_load_dword v0, v0, s[12:13] offset:176
	s_waitcnt vmcnt(0)
	v_add_nc_u32_e32 v0, -1, v0
	v_cmp_eq_u32_e32 vcc_lo, 44, v0
	s_cbranch_vccnz .LBB111_308
; %bb.307:
	v_lshlrev_b32_e32 v0, 3, v0
	s_clause 0x3
	buffer_load_dword v1, v0, s[0:3], 0 offen
	buffer_load_dword v2, v0, s[0:3], 0 offen offset:4
	buffer_load_dword v3, off, s[0:3], 0 offset:356
	buffer_load_dword v4, off, s[0:3], 0 offset:352
	s_waitcnt vmcnt(3)
	buffer_store_dword v1, off, s[0:3], 0 offset:352
	s_waitcnt vmcnt(2)
	buffer_store_dword v2, off, s[0:3], 0 offset:356
	s_waitcnt vmcnt(1)
	buffer_store_dword v3, v0, s[0:3], 0 offen offset:4
	s_waitcnt vmcnt(0)
	buffer_store_dword v4, v0, s[0:3], 0 offen
.LBB111_308:
	v_mov_b32_e32 v0, 0
	global_load_dword v1, v0, s[12:13] offset:172
	s_waitcnt vmcnt(0)
	v_add_nc_u32_e32 v1, -1, v1
	v_cmp_eq_u32_e32 vcc_lo, 43, v1
	s_cbranch_vccnz .LBB111_310
; %bb.309:
	v_lshlrev_b32_e32 v1, 3, v1
	s_clause 0x3
	buffer_load_dword v2, v1, s[0:3], 0 offen
	buffer_load_dword v3, v1, s[0:3], 0 offen offset:4
	buffer_load_dword v4, off, s[0:3], 0 offset:344
	buffer_load_dword v5, off, s[0:3], 0 offset:348
	s_waitcnt vmcnt(3)
	buffer_store_dword v2, off, s[0:3], 0 offset:344
	s_waitcnt vmcnt(2)
	buffer_store_dword v3, off, s[0:3], 0 offset:348
	s_waitcnt vmcnt(1)
	buffer_store_dword v4, v1, s[0:3], 0 offen
	s_waitcnt vmcnt(0)
	buffer_store_dword v5, v1, s[0:3], 0 offen offset:4
.LBB111_310:
	global_load_dword v0, v0, s[12:13] offset:168
	s_waitcnt vmcnt(0)
	v_add_nc_u32_e32 v0, -1, v0
	v_cmp_eq_u32_e32 vcc_lo, 42, v0
	s_cbranch_vccnz .LBB111_312
; %bb.311:
	v_lshlrev_b32_e32 v0, 3, v0
	s_clause 0x3
	buffer_load_dword v1, v0, s[0:3], 0 offen
	buffer_load_dword v2, v0, s[0:3], 0 offen offset:4
	buffer_load_dword v3, off, s[0:3], 0 offset:340
	buffer_load_dword v4, off, s[0:3], 0 offset:336
	s_waitcnt vmcnt(3)
	buffer_store_dword v1, off, s[0:3], 0 offset:336
	s_waitcnt vmcnt(2)
	buffer_store_dword v2, off, s[0:3], 0 offset:340
	s_waitcnt vmcnt(1)
	buffer_store_dword v3, v0, s[0:3], 0 offen offset:4
	s_waitcnt vmcnt(0)
	buffer_store_dword v4, v0, s[0:3], 0 offen
.LBB111_312:
	;; [unrolled: 43-line block ×22, first 2 shown]
	v_mov_b32_e32 v0, 0
	global_load_dword v1, v0, s[12:13] offset:4
	s_waitcnt vmcnt(0)
	v_add_nc_u32_e32 v1, -1, v1
	v_cmp_eq_u32_e32 vcc_lo, 1, v1
	s_cbranch_vccnz .LBB111_394
; %bb.393:
	v_lshlrev_b32_e32 v1, 3, v1
	s_clause 0x3
	buffer_load_dword v2, v1, s[0:3], 0 offen
	buffer_load_dword v3, v1, s[0:3], 0 offen offset:4
	buffer_load_dword v4, off, s[0:3], 0 offset:8
	buffer_load_dword v5, off, s[0:3], 0 offset:12
	s_waitcnt vmcnt(3)
	buffer_store_dword v2, off, s[0:3], 0 offset:8
	s_waitcnt vmcnt(2)
	buffer_store_dword v3, off, s[0:3], 0 offset:12
	s_waitcnt vmcnt(1)
	buffer_store_dword v4, v1, s[0:3], 0 offen
	s_waitcnt vmcnt(0)
	buffer_store_dword v5, v1, s[0:3], 0 offen offset:4
.LBB111_394:
	global_load_dword v0, v0, s[12:13]
	s_waitcnt vmcnt(0)
	v_add_nc_u32_e32 v0, -1, v0
	v_cmp_eq_u32_e32 vcc_lo, 0, v0
	s_cbranch_vccnz .LBB111_396
; %bb.395:
	v_lshlrev_b32_e32 v0, 3, v0
	s_clause 0x3
	buffer_load_dword v1, v0, s[0:3], 0 offen
	buffer_load_dword v2, v0, s[0:3], 0 offen offset:4
	buffer_load_dword v3, off, s[0:3], 0 offset:4
	buffer_load_dword v4, off, s[0:3], 0
	s_waitcnt vmcnt(3)
	buffer_store_dword v1, off, s[0:3], 0
	s_waitcnt vmcnt(2)
	buffer_store_dword v2, off, s[0:3], 0 offset:4
	s_waitcnt vmcnt(1)
	buffer_store_dword v3, v0, s[0:3], 0 offen offset:4
	s_waitcnt vmcnt(0)
	buffer_store_dword v4, v0, s[0:3], 0 offen
.LBB111_396:
	s_clause 0x1
	buffer_load_dword v0, off, s[0:3], 0
	buffer_load_dword v1, off, s[0:3], 0 offset:4
	s_waitcnt vmcnt(0)
	flat_store_dwordx2 v[9:10], v[0:1]
	s_clause 0x1
	buffer_load_dword v0, off, s[0:3], 0 offset:8
	buffer_load_dword v1, off, s[0:3], 0 offset:12
	s_waitcnt vmcnt(0)
	flat_store_dwordx2 v[11:12], v[0:1]
	s_clause 0x1
	buffer_load_dword v0, off, s[0:3], 0 offset:16
	;; [unrolled: 5-line block ×47, first 2 shown]
	buffer_load_dword v1, off, s[0:3], 0 offset:380
	s_waitcnt vmcnt(0)
	flat_store_dwordx2 v[103:104], v[0:1]
	s_endpgm
	.section	.rodata,"a",@progbits
	.p2align	6, 0x0
	.amdhsa_kernel _ZN9rocsolver6v33100L18getri_kernel_smallILi48E19rocblas_complex_numIfEPKPS3_EEvT1_iilPiilS8_bb
		.amdhsa_group_segment_fixed_size 772
		.amdhsa_private_segment_fixed_size 400
		.amdhsa_kernarg_size 60
		.amdhsa_user_sgpr_count 6
		.amdhsa_user_sgpr_private_segment_buffer 1
		.amdhsa_user_sgpr_dispatch_ptr 0
		.amdhsa_user_sgpr_queue_ptr 0
		.amdhsa_user_sgpr_kernarg_segment_ptr 1
		.amdhsa_user_sgpr_dispatch_id 0
		.amdhsa_user_sgpr_flat_scratch_init 0
		.amdhsa_user_sgpr_private_segment_size 0
		.amdhsa_wavefront_size32 1
		.amdhsa_uses_dynamic_stack 0
		.amdhsa_system_sgpr_private_segment_wavefront_offset 1
		.amdhsa_system_sgpr_workgroup_id_x 1
		.amdhsa_system_sgpr_workgroup_id_y 0
		.amdhsa_system_sgpr_workgroup_id_z 0
		.amdhsa_system_sgpr_workgroup_info 0
		.amdhsa_system_vgpr_workitem_id 0
		.amdhsa_next_free_vgpr 250
		.amdhsa_next_free_sgpr 20
		.amdhsa_reserve_vcc 1
		.amdhsa_reserve_flat_scratch 0
		.amdhsa_float_round_mode_32 0
		.amdhsa_float_round_mode_16_64 0
		.amdhsa_float_denorm_mode_32 3
		.amdhsa_float_denorm_mode_16_64 3
		.amdhsa_dx10_clamp 1
		.amdhsa_ieee_mode 1
		.amdhsa_fp16_overflow 0
		.amdhsa_workgroup_processor_mode 1
		.amdhsa_memory_ordered 1
		.amdhsa_forward_progress 1
		.amdhsa_shared_vgpr_count 0
		.amdhsa_exception_fp_ieee_invalid_op 0
		.amdhsa_exception_fp_denorm_src 0
		.amdhsa_exception_fp_ieee_div_zero 0
		.amdhsa_exception_fp_ieee_overflow 0
		.amdhsa_exception_fp_ieee_underflow 0
		.amdhsa_exception_fp_ieee_inexact 0
		.amdhsa_exception_int_div_zero 0
	.end_amdhsa_kernel
	.section	.text._ZN9rocsolver6v33100L18getri_kernel_smallILi48E19rocblas_complex_numIfEPKPS3_EEvT1_iilPiilS8_bb,"axG",@progbits,_ZN9rocsolver6v33100L18getri_kernel_smallILi48E19rocblas_complex_numIfEPKPS3_EEvT1_iilPiilS8_bb,comdat
.Lfunc_end111:
	.size	_ZN9rocsolver6v33100L18getri_kernel_smallILi48E19rocblas_complex_numIfEPKPS3_EEvT1_iilPiilS8_bb, .Lfunc_end111-_ZN9rocsolver6v33100L18getri_kernel_smallILi48E19rocblas_complex_numIfEPKPS3_EEvT1_iilPiilS8_bb
                                        ; -- End function
	.set _ZN9rocsolver6v33100L18getri_kernel_smallILi48E19rocblas_complex_numIfEPKPS3_EEvT1_iilPiilS8_bb.num_vgpr, 250
	.set _ZN9rocsolver6v33100L18getri_kernel_smallILi48E19rocblas_complex_numIfEPKPS3_EEvT1_iilPiilS8_bb.num_agpr, 0
	.set _ZN9rocsolver6v33100L18getri_kernel_smallILi48E19rocblas_complex_numIfEPKPS3_EEvT1_iilPiilS8_bb.numbered_sgpr, 20
	.set _ZN9rocsolver6v33100L18getri_kernel_smallILi48E19rocblas_complex_numIfEPKPS3_EEvT1_iilPiilS8_bb.num_named_barrier, 0
	.set _ZN9rocsolver6v33100L18getri_kernel_smallILi48E19rocblas_complex_numIfEPKPS3_EEvT1_iilPiilS8_bb.private_seg_size, 400
	.set _ZN9rocsolver6v33100L18getri_kernel_smallILi48E19rocblas_complex_numIfEPKPS3_EEvT1_iilPiilS8_bb.uses_vcc, 1
	.set _ZN9rocsolver6v33100L18getri_kernel_smallILi48E19rocblas_complex_numIfEPKPS3_EEvT1_iilPiilS8_bb.uses_flat_scratch, 0
	.set _ZN9rocsolver6v33100L18getri_kernel_smallILi48E19rocblas_complex_numIfEPKPS3_EEvT1_iilPiilS8_bb.has_dyn_sized_stack, 0
	.set _ZN9rocsolver6v33100L18getri_kernel_smallILi48E19rocblas_complex_numIfEPKPS3_EEvT1_iilPiilS8_bb.has_recursion, 0
	.set _ZN9rocsolver6v33100L18getri_kernel_smallILi48E19rocblas_complex_numIfEPKPS3_EEvT1_iilPiilS8_bb.has_indirect_call, 0
	.section	.AMDGPU.csdata,"",@progbits
; Kernel info:
; codeLenInByte = 90772
; TotalNumSgprs: 22
; NumVgprs: 250
; ScratchSize: 400
; MemoryBound: 0
; FloatMode: 240
; IeeeMode: 1
; LDSByteSize: 772 bytes/workgroup (compile time only)
; SGPRBlocks: 0
; VGPRBlocks: 31
; NumSGPRsForWavesPerEU: 22
; NumVGPRsForWavesPerEU: 250
; Occupancy: 4
; WaveLimiterHint : 1
; COMPUTE_PGM_RSRC2:SCRATCH_EN: 1
; COMPUTE_PGM_RSRC2:USER_SGPR: 6
; COMPUTE_PGM_RSRC2:TRAP_HANDLER: 0
; COMPUTE_PGM_RSRC2:TGID_X_EN: 1
; COMPUTE_PGM_RSRC2:TGID_Y_EN: 0
; COMPUTE_PGM_RSRC2:TGID_Z_EN: 0
; COMPUTE_PGM_RSRC2:TIDIG_COMP_CNT: 0
	.section	.text._ZN9rocsolver6v33100L18getri_kernel_smallILi49E19rocblas_complex_numIfEPKPS3_EEvT1_iilPiilS8_bb,"axG",@progbits,_ZN9rocsolver6v33100L18getri_kernel_smallILi49E19rocblas_complex_numIfEPKPS3_EEvT1_iilPiilS8_bb,comdat
	.globl	_ZN9rocsolver6v33100L18getri_kernel_smallILi49E19rocblas_complex_numIfEPKPS3_EEvT1_iilPiilS8_bb ; -- Begin function _ZN9rocsolver6v33100L18getri_kernel_smallILi49E19rocblas_complex_numIfEPKPS3_EEvT1_iilPiilS8_bb
	.p2align	8
	.type	_ZN9rocsolver6v33100L18getri_kernel_smallILi49E19rocblas_complex_numIfEPKPS3_EEvT1_iilPiilS8_bb,@function
_ZN9rocsolver6v33100L18getri_kernel_smallILi49E19rocblas_complex_numIfEPKPS3_EEvT1_iilPiilS8_bb: ; @_ZN9rocsolver6v33100L18getri_kernel_smallILi49E19rocblas_complex_numIfEPKPS3_EEvT1_iilPiilS8_bb
; %bb.0:
	s_add_u32 s0, s0, s7
	s_addc_u32 s1, s1, 0
	s_mov_b32 s7, exec_lo
	v_cmpx_gt_u32_e32 49, v0
	s_cbranch_execz .LBB112_210
; %bb.1:
	s_clause 0x2
	s_load_dword s17, s[4:5], 0x38
	s_load_dwordx2 s[12:13], s[4:5], 0x0
	s_load_dwordx4 s[8:11], s[4:5], 0x28
	s_waitcnt lgkmcnt(0)
	s_bitcmp1_b32 s17, 8
	s_cselect_b32 s16, -1, 0
	s_ashr_i32 s7, s6, 31
	s_lshl_b64 s[14:15], s[6:7], 3
	s_add_u32 s12, s12, s14
	s_addc_u32 s13, s13, s15
	s_load_dwordx2 s[14:15], s[12:13], 0x0
	s_bfe_u32 s12, s17, 0x10008
	s_cmp_eq_u32 s12, 0
                                        ; implicit-def: $sgpr12_sgpr13
	s_cbranch_scc1 .LBB112_3
; %bb.2:
	s_clause 0x1
	s_load_dword s12, s[4:5], 0x20
	s_load_dwordx2 s[18:19], s[4:5], 0x18
	s_mul_i32 s13, s8, s7
	s_mul_hi_u32 s17, s8, s6
	s_mul_i32 s9, s9, s6
	s_add_i32 s13, s17, s13
	s_mul_i32 s8, s8, s6
	s_add_i32 s9, s13, s9
	s_lshl_b64 s[8:9], s[8:9], 2
	s_waitcnt lgkmcnt(0)
	s_ashr_i32 s13, s12, 31
	s_add_u32 s17, s18, s8
	s_addc_u32 s18, s19, s9
	s_lshl_b64 s[8:9], s[12:13], 2
	s_add_u32 s12, s17, s8
	s_addc_u32 s13, s18, s9
.LBB112_3:
	s_clause 0x1
	s_load_dwordx2 s[8:9], s[4:5], 0x8
	s_load_dword s17, s[4:5], 0x38
	v_lshlrev_b32_e32 v3, 3, v0
	s_waitcnt lgkmcnt(0)
	s_ashr_i32 s5, s8, 31
	s_mov_b32 s4, s8
	v_add3_u32 v4, s9, s9, v0
	s_lshl_b64 s[4:5], s[4:5], 3
	s_add_u32 s4, s14, s4
	s_addc_u32 s5, s15, s5
	v_add_co_u32 v9, s8, s4, v3
	v_add_co_ci_u32_e64 v10, null, s5, 0, s8
	s_mov_b32 s14, s9
	s_ashr_i32 s15, s9, 31
	v_ashrrev_i32_e32 v5, 31, v4
	flat_load_dwordx2 v[1:2], v[9:10]
	s_lshl_b64 s[14:15], s[14:15], 3
	s_bitcmp0_b32 s17, 0
	v_add_co_u32 v11, vcc_lo, v9, s14
	v_add_co_ci_u32_e64 v12, null, s15, v10, vcc_lo
	v_lshlrev_b64 v[5:6], 3, v[4:5]
	v_add_nc_u32_e32 v4, s9, v4
	s_waitcnt vmcnt(0) lgkmcnt(0)
	buffer_store_dword v2, off, s[0:3], 0 offset:4
	buffer_store_dword v1, off, s[0:3], 0
	flat_load_dwordx2 v[1:2], v[11:12]
	v_add_co_u32 v13, vcc_lo, s4, v5
	v_add_co_ci_u32_e64 v14, null, s5, v6, vcc_lo
	v_ashrrev_i32_e32 v5, 31, v4
	s_waitcnt vmcnt(0) lgkmcnt(0)
	buffer_store_dword v2, off, s[0:3], 0 offset:12
	buffer_store_dword v1, off, s[0:3], 0 offset:8
	flat_load_dwordx2 v[1:2], v[13:14]
	v_lshlrev_b64 v[5:6], 3, v[4:5]
	v_add_nc_u32_e32 v4, s9, v4
	s_waitcnt vmcnt(0) lgkmcnt(0)
	buffer_store_dword v2, off, s[0:3], 0 offset:20
	buffer_store_dword v1, off, s[0:3], 0 offset:16
	v_add_co_u32 v15, vcc_lo, s4, v5
	v_add_co_ci_u32_e64 v16, null, s5, v6, vcc_lo
	v_ashrrev_i32_e32 v5, 31, v4
	flat_load_dwordx2 v[1:2], v[15:16]
	s_waitcnt vmcnt(0) lgkmcnt(0)
	buffer_store_dword v2, off, s[0:3], 0 offset:28
	buffer_store_dword v1, off, s[0:3], 0 offset:24
	v_lshlrev_b64 v[5:6], 3, v[4:5]
	v_add_nc_u32_e32 v4, s9, v4
	v_add_co_u32 v17, vcc_lo, s4, v5
	v_add_co_ci_u32_e64 v18, null, s5, v6, vcc_lo
	v_ashrrev_i32_e32 v5, 31, v4
	flat_load_dwordx2 v[1:2], v[17:18]
	s_waitcnt vmcnt(0) lgkmcnt(0)
	buffer_store_dword v2, off, s[0:3], 0 offset:36
	buffer_store_dword v1, off, s[0:3], 0 offset:32
	v_lshlrev_b64 v[5:6], 3, v[4:5]
	v_add_nc_u32_e32 v4, s9, v4
	;; [unrolled: 9-line block ×44, first 2 shown]
	v_add_co_u32 v103, vcc_lo, s4, v5
	v_add_co_ci_u32_e64 v104, null, s5, v6, vcc_lo
	v_ashrrev_i32_e32 v5, 31, v4
	flat_load_dwordx2 v[1:2], v[103:104]
	s_waitcnt vmcnt(0) lgkmcnt(0)
	buffer_store_dword v2, off, s[0:3], 0 offset:380
	buffer_store_dword v1, off, s[0:3], 0 offset:376
	v_lshlrev_b64 v[4:5], 3, v[4:5]
	v_add_co_u32 v105, vcc_lo, s4, v4
	v_add_co_ci_u32_e64 v106, null, s5, v5, vcc_lo
	s_mov_b32 s5, -1
	flat_load_dwordx2 v[1:2], v[105:106]
	s_waitcnt vmcnt(0) lgkmcnt(0)
	buffer_store_dword v2, off, s[0:3], 0 offset:388
	buffer_store_dword v1, off, s[0:3], 0 offset:384
	s_cbranch_scc1 .LBB112_208
; %bb.4:
	v_cmp_eq_u32_e64 s4, 0, v0
	s_and_saveexec_b32 s5, s4
; %bb.5:
	v_mov_b32_e32 v1, 0
	ds_write_b32 v1, v1 offset:392
; %bb.6:
	s_or_b32 exec_lo, exec_lo, s5
	v_lshl_add_u32 v5, v0, 3, 0
	s_waitcnt lgkmcnt(0)
	s_waitcnt_vscnt null, 0x0
	s_barrier
	buffer_gl0_inv
	s_clause 0x1
	buffer_load_dword v1, v5, s[0:3], 0 offen
	buffer_load_dword v2, v5, s[0:3], 0 offen offset:4
	s_waitcnt vmcnt(1)
	v_cmp_eq_f32_e32 vcc_lo, 0, v1
	s_waitcnt vmcnt(0)
	v_cmp_eq_f32_e64 s5, 0, v2
	s_and_b32 s5, vcc_lo, s5
	s_and_saveexec_b32 s8, s5
	s_cbranch_execz .LBB112_10
; %bb.7:
	v_mov_b32_e32 v1, 0
	s_mov_b32 s9, 0
	ds_read_b32 v2, v1 offset:392
	s_waitcnt lgkmcnt(0)
	v_readfirstlane_b32 s5, v2
	v_add_nc_u32_e32 v2, 1, v0
	s_cmp_eq_u32 s5, 0
	v_cmp_gt_i32_e32 vcc_lo, s5, v2
	s_cselect_b32 s14, -1, 0
	s_or_b32 s14, s14, vcc_lo
	s_and_b32 exec_lo, exec_lo, s14
	s_cbranch_execz .LBB112_10
; %bb.8:
	v_mov_b32_e32 v4, s5
.LBB112_9:                              ; =>This Inner Loop Header: Depth=1
	ds_cmpst_rtn_b32 v4, v1, v4, v2 offset:392
	s_waitcnt lgkmcnt(0)
	v_cmp_ne_u32_e32 vcc_lo, 0, v4
	v_cmp_le_i32_e64 s5, v4, v2
	s_and_b32 s5, vcc_lo, s5
	s_and_b32 s5, exec_lo, s5
	s_or_b32 s9, s5, s9
	s_andn2_b32 exec_lo, exec_lo, s9
	s_cbranch_execnz .LBB112_9
.LBB112_10:
	s_or_b32 exec_lo, exec_lo, s8
	v_mov_b32_e32 v1, 0
	s_barrier
	buffer_gl0_inv
	ds_read_b32 v2, v1 offset:392
	s_and_saveexec_b32 s5, s4
	s_cbranch_execz .LBB112_12
; %bb.11:
	s_lshl_b64 s[8:9], s[6:7], 2
	s_add_u32 s8, s10, s8
	s_addc_u32 s9, s11, s9
	s_waitcnt lgkmcnt(0)
	global_store_dword v1, v2, s[8:9]
.LBB112_12:
	s_or_b32 exec_lo, exec_lo, s5
	s_waitcnt lgkmcnt(0)
	v_cmp_ne_u32_e32 vcc_lo, 0, v2
	s_mov_b32 s5, 0
	s_cbranch_vccnz .LBB112_208
; %bb.13:
	s_clause 0x1
	buffer_load_dword v2, v5, s[0:3], 0 offen
	buffer_load_dword v4, v5, s[0:3], 0 offen offset:4
                                        ; implicit-def: $vgpr7
                                        ; implicit-def: $vgpr6
                                        ; implicit-def: $vgpr1
	s_waitcnt vmcnt(0)
	v_cmp_ngt_f32_e64 s5, |v2|, |v4|
	s_and_saveexec_b32 s8, s5
	s_xor_b32 s5, exec_lo, s8
	s_cbranch_execz .LBB112_15
; %bb.14:
	v_div_scale_f32 v1, null, v4, v4, v2
	v_div_scale_f32 v8, vcc_lo, v2, v4, v2
	v_rcp_f32_e32 v6, v1
	v_fma_f32 v7, -v1, v6, 1.0
	v_fmac_f32_e32 v6, v7, v6
	v_mul_f32_e32 v7, v8, v6
	v_fma_f32 v107, -v1, v7, v8
	v_fmac_f32_e32 v7, v107, v6
	v_fma_f32 v1, -v1, v7, v8
	v_div_fmas_f32 v1, v1, v6, v7
	v_div_fixup_f32 v1, v1, v4, v2
	v_fmac_f32_e32 v4, v2, v1
	v_div_scale_f32 v2, null, v4, v4, 1.0
	v_rcp_f32_e32 v6, v2
	v_fma_f32 v7, -v2, v6, 1.0
	v_fmac_f32_e32 v6, v7, v6
	v_div_scale_f32 v7, vcc_lo, 1.0, v4, 1.0
	v_mul_f32_e32 v8, v7, v6
	v_fma_f32 v107, -v2, v8, v7
	v_fmac_f32_e32 v8, v107, v6
	v_fma_f32 v2, -v2, v8, v7
	v_div_fmas_f32 v2, v2, v6, v8
	v_div_fixup_f32 v2, v2, v4, 1.0
                                        ; implicit-def: $vgpr4
	v_mul_f32_e32 v7, v1, v2
	v_xor_b32_e32 v6, 0x80000000, v2
                                        ; implicit-def: $vgpr2
	v_xor_b32_e32 v1, 0x80000000, v7
.LBB112_15:
	s_andn2_saveexec_b32 s5, s5
	s_cbranch_execz .LBB112_17
; %bb.16:
	v_div_scale_f32 v1, null, v2, v2, v4
	v_div_scale_f32 v8, vcc_lo, v4, v2, v4
	v_rcp_f32_e32 v6, v1
	v_fma_f32 v7, -v1, v6, 1.0
	v_fmac_f32_e32 v6, v7, v6
	v_mul_f32_e32 v7, v8, v6
	v_fma_f32 v107, -v1, v7, v8
	v_fmac_f32_e32 v7, v107, v6
	v_fma_f32 v1, -v1, v7, v8
	v_div_fmas_f32 v1, v1, v6, v7
	v_div_fixup_f32 v6, v1, v2, v4
	v_fmac_f32_e32 v2, v4, v6
	v_div_scale_f32 v1, null, v2, v2, 1.0
	v_div_scale_f32 v8, vcc_lo, 1.0, v2, 1.0
	v_rcp_f32_e32 v4, v1
	v_fma_f32 v7, -v1, v4, 1.0
	v_fmac_f32_e32 v4, v7, v4
	v_mul_f32_e32 v7, v8, v4
	v_fma_f32 v107, -v1, v7, v8
	v_fmac_f32_e32 v7, v107, v4
	v_fma_f32 v1, -v1, v7, v8
	v_div_fmas_f32 v1, v1, v4, v7
	v_div_fixup_f32 v7, v1, v2, 1.0
	v_xor_b32_e32 v1, 0x80000000, v7
	v_mul_f32_e64 v6, v6, -v7
.LBB112_17:
	s_or_b32 exec_lo, exec_lo, s5
	buffer_store_dword v7, v5, s[0:3], 0 offen
	buffer_store_dword v6, v5, s[0:3], 0 offen offset:4
	s_clause 0x1
	buffer_load_dword v8, off, s[0:3], 0 offset:12
	buffer_load_dword v7, off, s[0:3], 0 offset:8
	v_xor_b32_e32 v2, 0x80000000, v6
	v_add_nc_u32_e32 v4, 0x190, v3
	s_waitcnt vmcnt(0)
	ds_write2_b64 v3, v[1:2], v[7:8] offset1:50
	s_waitcnt lgkmcnt(0)
	s_waitcnt_vscnt null, 0x0
	s_barrier
	buffer_gl0_inv
	s_and_saveexec_b32 s5, s4
	s_cbranch_execz .LBB112_19
; %bb.18:
	s_clause 0x1
	buffer_load_dword v8, v5, s[0:3], 0 offen offset:4
	buffer_load_dword v107, v5, s[0:3], 0 offen
	ds_read_b64 v[1:2], v4
	v_mov_b32_e32 v6, 0
	ds_read_b64 v[6:7], v6 offset:8
	s_waitcnt vmcnt(1) lgkmcnt(1)
	v_mul_f32_e32 v108, v1, v8
	v_mul_f32_e32 v8, v2, v8
	s_waitcnt vmcnt(0)
	v_fmac_f32_e32 v108, v2, v107
	v_fma_f32 v1, v1, v107, -v8
	v_add_f32_e32 v2, 0, v108
	v_add_f32_e32 v1, 0, v1
	s_waitcnt lgkmcnt(0)
	v_mul_f32_e32 v8, v2, v7
	v_mul_f32_e32 v7, v1, v7
	v_fma_f32 v1, v1, v6, -v8
	v_fmac_f32_e32 v7, v2, v6
	buffer_store_dword v1, off, s[0:3], 0 offset:8
	buffer_store_dword v7, off, s[0:3], 0 offset:12
.LBB112_19:
	s_or_b32 exec_lo, exec_lo, s5
	s_waitcnt_vscnt null, 0x0
	s_barrier
	buffer_gl0_inv
	s_clause 0x1
	buffer_load_dword v1, off, s[0:3], 0 offset:16
	buffer_load_dword v2, off, s[0:3], 0 offset:20
	s_mov_b32 s5, exec_lo
	s_waitcnt vmcnt(0)
	ds_write_b64 v4, v[1:2]
	s_waitcnt lgkmcnt(0)
	s_barrier
	buffer_gl0_inv
	v_cmpx_gt_u32_e32 2, v0
	s_cbranch_execz .LBB112_23
; %bb.20:
	s_clause 0x1
	buffer_load_dword v6, v5, s[0:3], 0 offen offset:4
	buffer_load_dword v5, v5, s[0:3], 0 offen
	ds_read_b64 v[1:2], v4
	s_waitcnt vmcnt(1) lgkmcnt(0)
	v_mul_f32_e32 v7, v2, v6
	v_mul_f32_e32 v6, v1, v6
	s_waitcnt vmcnt(0)
	v_fma_f32 v1, v1, v5, -v7
	v_fmac_f32_e32 v6, v2, v5
	v_add_f32_e32 v2, 0, v1
	v_add_f32_e32 v1, 0, v6
	s_and_saveexec_b32 s8, s4
	s_cbranch_execz .LBB112_22
; %bb.21:
	s_clause 0x1
	buffer_load_dword v7, off, s[0:3], 0 offset:12
	buffer_load_dword v8, off, s[0:3], 0 offset:8
	v_mov_b32_e32 v5, 0
	ds_read_b64 v[5:6], v5 offset:408
	s_waitcnt vmcnt(1) lgkmcnt(0)
	v_mul_f32_e32 v107, v5, v7
	v_mul_f32_e32 v7, v6, v7
	s_waitcnt vmcnt(0)
	v_fmac_f32_e32 v107, v6, v8
	v_fma_f32 v5, v5, v8, -v7
	v_add_f32_e32 v1, v1, v107
	v_add_f32_e32 v2, v2, v5
.LBB112_22:
	s_or_b32 exec_lo, exec_lo, s8
	v_mov_b32_e32 v5, 0
	ds_read_b64 v[5:6], v5 offset:16
	s_waitcnt lgkmcnt(0)
	v_mul_f32_e32 v7, v1, v6
	v_mul_f32_e32 v6, v2, v6
	v_fma_f32 v2, v2, v5, -v7
	v_fmac_f32_e32 v6, v1, v5
	buffer_store_dword v2, off, s[0:3], 0 offset:16
	buffer_store_dword v6, off, s[0:3], 0 offset:20
.LBB112_23:
	s_or_b32 exec_lo, exec_lo, s5
	s_waitcnt_vscnt null, 0x0
	s_barrier
	buffer_gl0_inv
	s_clause 0x1
	buffer_load_dword v5, off, s[0:3], 0 offset:24
	buffer_load_dword v6, off, s[0:3], 0 offset:28
	v_add_nc_u32_e32 v1, -1, v0
	s_mov_b32 s4, exec_lo
	s_waitcnt vmcnt(0)
	ds_write_b64 v4, v[5:6]
	s_waitcnt lgkmcnt(0)
	s_barrier
	buffer_gl0_inv
	v_cmpx_gt_u32_e32 3, v0
	s_cbranch_execz .LBB112_27
; %bb.24:
	v_add_nc_u32_e32 v5, -1, v0
	v_add_nc_u32_e32 v6, 0x190, v3
	v_mov_b32_e32 v7, v3
	v_mov_b32_e32 v2, 0
	;; [unrolled: 1-line block ×3, first 2 shown]
	s_mov_b32 s5, 0
	.p2align	6
.LBB112_25:                             ; =>This Inner Loop Header: Depth=1
	s_clause 0x1
	buffer_load_dword v109, v7, s[0:3], 0 offen offset:4
	buffer_load_dword v110, v7, s[0:3], 0 offen
	ds_read_b64 v[107:108], v6
	v_add_nc_u32_e32 v5, 1, v5
	v_add_nc_u32_e32 v6, 8, v6
	;; [unrolled: 1-line block ×3, first 2 shown]
	v_cmp_lt_u32_e32 vcc_lo, 1, v5
	s_or_b32 s5, vcc_lo, s5
	s_waitcnt vmcnt(1) lgkmcnt(0)
	v_mul_f32_e32 v111, v108, v109
	v_mul_f32_e32 v109, v107, v109
	s_waitcnt vmcnt(0)
	v_fma_f32 v107, v107, v110, -v111
	v_fmac_f32_e32 v109, v108, v110
	v_add_f32_e32 v8, v8, v107
	v_add_f32_e32 v2, v2, v109
	s_andn2_b32 exec_lo, exec_lo, s5
	s_cbranch_execnz .LBB112_25
; %bb.26:
	s_or_b32 exec_lo, exec_lo, s5
	v_mov_b32_e32 v5, 0
	ds_read_b64 v[5:6], v5 offset:24
	s_waitcnt lgkmcnt(0)
	v_mul_f32_e32 v7, v2, v6
	v_mul_f32_e32 v6, v8, v6
	v_fma_f32 v7, v8, v5, -v7
	v_fmac_f32_e32 v6, v2, v5
	buffer_store_dword v7, off, s[0:3], 0 offset:24
	buffer_store_dword v6, off, s[0:3], 0 offset:28
.LBB112_27:
	s_or_b32 exec_lo, exec_lo, s4
	s_waitcnt_vscnt null, 0x0
	s_barrier
	buffer_gl0_inv
	s_clause 0x1
	buffer_load_dword v5, off, s[0:3], 0 offset:32
	buffer_load_dword v6, off, s[0:3], 0 offset:36
	s_mov_b32 s4, exec_lo
	s_waitcnt vmcnt(0)
	ds_write_b64 v4, v[5:6]
	s_waitcnt lgkmcnt(0)
	s_barrier
	buffer_gl0_inv
	v_cmpx_gt_u32_e32 4, v0
	s_cbranch_execz .LBB112_31
; %bb.28:
	v_add_nc_u32_e32 v5, -1, v0
	v_add_nc_u32_e32 v6, 0x190, v3
	v_mov_b32_e32 v7, v3
	v_mov_b32_e32 v2, 0
	;; [unrolled: 1-line block ×3, first 2 shown]
	s_mov_b32 s5, 0
	.p2align	6
.LBB112_29:                             ; =>This Inner Loop Header: Depth=1
	s_clause 0x1
	buffer_load_dword v109, v7, s[0:3], 0 offen offset:4
	buffer_load_dword v110, v7, s[0:3], 0 offen
	ds_read_b64 v[107:108], v6
	v_add_nc_u32_e32 v5, 1, v5
	v_add_nc_u32_e32 v6, 8, v6
	;; [unrolled: 1-line block ×3, first 2 shown]
	v_cmp_lt_u32_e32 vcc_lo, 2, v5
	s_or_b32 s5, vcc_lo, s5
	s_waitcnt vmcnt(1) lgkmcnt(0)
	v_mul_f32_e32 v111, v108, v109
	v_mul_f32_e32 v109, v107, v109
	s_waitcnt vmcnt(0)
	v_fma_f32 v107, v107, v110, -v111
	v_fmac_f32_e32 v109, v108, v110
	v_add_f32_e32 v8, v8, v107
	v_add_f32_e32 v2, v2, v109
	s_andn2_b32 exec_lo, exec_lo, s5
	s_cbranch_execnz .LBB112_29
; %bb.30:
	s_or_b32 exec_lo, exec_lo, s5
	v_mov_b32_e32 v5, 0
	ds_read_b64 v[5:6], v5 offset:32
	s_waitcnt lgkmcnt(0)
	v_mul_f32_e32 v7, v2, v6
	v_mul_f32_e32 v6, v8, v6
	v_fma_f32 v7, v8, v5, -v7
	v_fmac_f32_e32 v6, v2, v5
	buffer_store_dword v7, off, s[0:3], 0 offset:32
	buffer_store_dword v6, off, s[0:3], 0 offset:36
.LBB112_31:
	s_or_b32 exec_lo, exec_lo, s4
	s_waitcnt_vscnt null, 0x0
	s_barrier
	buffer_gl0_inv
	s_clause 0x1
	buffer_load_dword v5, off, s[0:3], 0 offset:40
	buffer_load_dword v6, off, s[0:3], 0 offset:44
	s_mov_b32 s4, exec_lo
	s_waitcnt vmcnt(0)
	ds_write_b64 v4, v[5:6]
	s_waitcnt lgkmcnt(0)
	s_barrier
	buffer_gl0_inv
	v_cmpx_gt_u32_e32 5, v0
	s_cbranch_execz .LBB112_35
; %bb.32:
	v_add_nc_u32_e32 v5, -1, v0
	v_add_nc_u32_e32 v6, 0x190, v3
	v_mov_b32_e32 v7, v3
	v_mov_b32_e32 v2, 0
	;; [unrolled: 1-line block ×3, first 2 shown]
	s_mov_b32 s5, 0
	.p2align	6
.LBB112_33:                             ; =>This Inner Loop Header: Depth=1
	s_clause 0x1
	buffer_load_dword v109, v7, s[0:3], 0 offen offset:4
	buffer_load_dword v110, v7, s[0:3], 0 offen
	ds_read_b64 v[107:108], v6
	v_add_nc_u32_e32 v5, 1, v5
	v_add_nc_u32_e32 v6, 8, v6
	;; [unrolled: 1-line block ×3, first 2 shown]
	v_cmp_lt_u32_e32 vcc_lo, 3, v5
	s_or_b32 s5, vcc_lo, s5
	s_waitcnt vmcnt(1) lgkmcnt(0)
	v_mul_f32_e32 v111, v108, v109
	v_mul_f32_e32 v109, v107, v109
	s_waitcnt vmcnt(0)
	v_fma_f32 v107, v107, v110, -v111
	v_fmac_f32_e32 v109, v108, v110
	v_add_f32_e32 v8, v8, v107
	v_add_f32_e32 v2, v2, v109
	s_andn2_b32 exec_lo, exec_lo, s5
	s_cbranch_execnz .LBB112_33
; %bb.34:
	s_or_b32 exec_lo, exec_lo, s5
	v_mov_b32_e32 v5, 0
	ds_read_b64 v[5:6], v5 offset:40
	s_waitcnt lgkmcnt(0)
	v_mul_f32_e32 v7, v2, v6
	v_mul_f32_e32 v6, v8, v6
	v_fma_f32 v7, v8, v5, -v7
	v_fmac_f32_e32 v6, v2, v5
	buffer_store_dword v7, off, s[0:3], 0 offset:40
	buffer_store_dword v6, off, s[0:3], 0 offset:44
.LBB112_35:
	s_or_b32 exec_lo, exec_lo, s4
	s_waitcnt_vscnt null, 0x0
	s_barrier
	buffer_gl0_inv
	s_clause 0x1
	buffer_load_dword v5, off, s[0:3], 0 offset:48
	buffer_load_dword v6, off, s[0:3], 0 offset:52
	s_mov_b32 s4, exec_lo
	s_waitcnt vmcnt(0)
	ds_write_b64 v4, v[5:6]
	s_waitcnt lgkmcnt(0)
	s_barrier
	buffer_gl0_inv
	v_cmpx_gt_u32_e32 6, v0
	s_cbranch_execz .LBB112_39
; %bb.36:
	v_add_nc_u32_e32 v5, -1, v0
	v_add_nc_u32_e32 v6, 0x190, v3
	v_mov_b32_e32 v7, v3
	v_mov_b32_e32 v2, 0
	v_mov_b32_e32 v8, 0
	s_mov_b32 s5, 0
	.p2align	6
.LBB112_37:                             ; =>This Inner Loop Header: Depth=1
	s_clause 0x1
	buffer_load_dword v109, v7, s[0:3], 0 offen offset:4
	buffer_load_dword v110, v7, s[0:3], 0 offen
	ds_read_b64 v[107:108], v6
	v_add_nc_u32_e32 v5, 1, v5
	v_add_nc_u32_e32 v6, 8, v6
	;; [unrolled: 1-line block ×3, first 2 shown]
	v_cmp_lt_u32_e32 vcc_lo, 4, v5
	s_or_b32 s5, vcc_lo, s5
	s_waitcnt vmcnt(1) lgkmcnt(0)
	v_mul_f32_e32 v111, v108, v109
	v_mul_f32_e32 v109, v107, v109
	s_waitcnt vmcnt(0)
	v_fma_f32 v107, v107, v110, -v111
	v_fmac_f32_e32 v109, v108, v110
	v_add_f32_e32 v8, v8, v107
	v_add_f32_e32 v2, v2, v109
	s_andn2_b32 exec_lo, exec_lo, s5
	s_cbranch_execnz .LBB112_37
; %bb.38:
	s_or_b32 exec_lo, exec_lo, s5
	v_mov_b32_e32 v5, 0
	ds_read_b64 v[5:6], v5 offset:48
	s_waitcnt lgkmcnt(0)
	v_mul_f32_e32 v7, v2, v6
	v_mul_f32_e32 v6, v8, v6
	v_fma_f32 v7, v8, v5, -v7
	v_fmac_f32_e32 v6, v2, v5
	buffer_store_dword v7, off, s[0:3], 0 offset:48
	buffer_store_dword v6, off, s[0:3], 0 offset:52
.LBB112_39:
	s_or_b32 exec_lo, exec_lo, s4
	s_waitcnt_vscnt null, 0x0
	s_barrier
	buffer_gl0_inv
	s_clause 0x1
	buffer_load_dword v5, off, s[0:3], 0 offset:56
	buffer_load_dword v6, off, s[0:3], 0 offset:60
	s_mov_b32 s4, exec_lo
	s_waitcnt vmcnt(0)
	ds_write_b64 v4, v[5:6]
	s_waitcnt lgkmcnt(0)
	s_barrier
	buffer_gl0_inv
	v_cmpx_gt_u32_e32 7, v0
	s_cbranch_execz .LBB112_43
; %bb.40:
	v_add_nc_u32_e32 v5, -1, v0
	v_add_nc_u32_e32 v6, 0x190, v3
	v_mov_b32_e32 v7, v3
	v_mov_b32_e32 v2, 0
	;; [unrolled: 1-line block ×3, first 2 shown]
	s_mov_b32 s5, 0
	.p2align	6
.LBB112_41:                             ; =>This Inner Loop Header: Depth=1
	s_clause 0x1
	buffer_load_dword v109, v7, s[0:3], 0 offen offset:4
	buffer_load_dword v110, v7, s[0:3], 0 offen
	ds_read_b64 v[107:108], v6
	v_add_nc_u32_e32 v5, 1, v5
	v_add_nc_u32_e32 v6, 8, v6
	;; [unrolled: 1-line block ×3, first 2 shown]
	v_cmp_lt_u32_e32 vcc_lo, 5, v5
	s_or_b32 s5, vcc_lo, s5
	s_waitcnt vmcnt(1) lgkmcnt(0)
	v_mul_f32_e32 v111, v108, v109
	v_mul_f32_e32 v109, v107, v109
	s_waitcnt vmcnt(0)
	v_fma_f32 v107, v107, v110, -v111
	v_fmac_f32_e32 v109, v108, v110
	v_add_f32_e32 v8, v8, v107
	v_add_f32_e32 v2, v2, v109
	s_andn2_b32 exec_lo, exec_lo, s5
	s_cbranch_execnz .LBB112_41
; %bb.42:
	s_or_b32 exec_lo, exec_lo, s5
	v_mov_b32_e32 v5, 0
	ds_read_b64 v[5:6], v5 offset:56
	s_waitcnt lgkmcnt(0)
	v_mul_f32_e32 v7, v2, v6
	v_mul_f32_e32 v6, v8, v6
	v_fma_f32 v7, v8, v5, -v7
	v_fmac_f32_e32 v6, v2, v5
	buffer_store_dword v7, off, s[0:3], 0 offset:56
	buffer_store_dword v6, off, s[0:3], 0 offset:60
.LBB112_43:
	s_or_b32 exec_lo, exec_lo, s4
	s_waitcnt_vscnt null, 0x0
	s_barrier
	buffer_gl0_inv
	s_clause 0x1
	buffer_load_dword v5, off, s[0:3], 0 offset:64
	buffer_load_dword v6, off, s[0:3], 0 offset:68
	s_mov_b32 s4, exec_lo
	s_waitcnt vmcnt(0)
	ds_write_b64 v4, v[5:6]
	s_waitcnt lgkmcnt(0)
	s_barrier
	buffer_gl0_inv
	v_cmpx_gt_u32_e32 8, v0
	s_cbranch_execz .LBB112_47
; %bb.44:
	v_add_nc_u32_e32 v5, -1, v0
	v_add_nc_u32_e32 v6, 0x190, v3
	v_mov_b32_e32 v7, v3
	v_mov_b32_e32 v2, 0
	;; [unrolled: 1-line block ×3, first 2 shown]
	s_mov_b32 s5, 0
	.p2align	6
.LBB112_45:                             ; =>This Inner Loop Header: Depth=1
	s_clause 0x1
	buffer_load_dword v109, v7, s[0:3], 0 offen offset:4
	buffer_load_dword v110, v7, s[0:3], 0 offen
	ds_read_b64 v[107:108], v6
	v_add_nc_u32_e32 v5, 1, v5
	v_add_nc_u32_e32 v6, 8, v6
	;; [unrolled: 1-line block ×3, first 2 shown]
	v_cmp_lt_u32_e32 vcc_lo, 6, v5
	s_or_b32 s5, vcc_lo, s5
	s_waitcnt vmcnt(1) lgkmcnt(0)
	v_mul_f32_e32 v111, v108, v109
	v_mul_f32_e32 v109, v107, v109
	s_waitcnt vmcnt(0)
	v_fma_f32 v107, v107, v110, -v111
	v_fmac_f32_e32 v109, v108, v110
	v_add_f32_e32 v8, v8, v107
	v_add_f32_e32 v2, v2, v109
	s_andn2_b32 exec_lo, exec_lo, s5
	s_cbranch_execnz .LBB112_45
; %bb.46:
	s_or_b32 exec_lo, exec_lo, s5
	v_mov_b32_e32 v5, 0
	ds_read_b64 v[5:6], v5 offset:64
	s_waitcnt lgkmcnt(0)
	v_mul_f32_e32 v7, v2, v6
	v_mul_f32_e32 v6, v8, v6
	v_fma_f32 v7, v8, v5, -v7
	v_fmac_f32_e32 v6, v2, v5
	buffer_store_dword v7, off, s[0:3], 0 offset:64
	buffer_store_dword v6, off, s[0:3], 0 offset:68
.LBB112_47:
	s_or_b32 exec_lo, exec_lo, s4
	s_waitcnt_vscnt null, 0x0
	s_barrier
	buffer_gl0_inv
	s_clause 0x1
	buffer_load_dword v5, off, s[0:3], 0 offset:72
	buffer_load_dword v6, off, s[0:3], 0 offset:76
	s_mov_b32 s4, exec_lo
	s_waitcnt vmcnt(0)
	ds_write_b64 v4, v[5:6]
	s_waitcnt lgkmcnt(0)
	s_barrier
	buffer_gl0_inv
	v_cmpx_gt_u32_e32 9, v0
	s_cbranch_execz .LBB112_51
; %bb.48:
	v_add_nc_u32_e32 v5, -1, v0
	v_add_nc_u32_e32 v6, 0x190, v3
	v_mov_b32_e32 v7, v3
	v_mov_b32_e32 v2, 0
	;; [unrolled: 1-line block ×3, first 2 shown]
	s_mov_b32 s5, 0
	.p2align	6
.LBB112_49:                             ; =>This Inner Loop Header: Depth=1
	s_clause 0x1
	buffer_load_dword v109, v7, s[0:3], 0 offen offset:4
	buffer_load_dword v110, v7, s[0:3], 0 offen
	ds_read_b64 v[107:108], v6
	v_add_nc_u32_e32 v5, 1, v5
	v_add_nc_u32_e32 v6, 8, v6
	;; [unrolled: 1-line block ×3, first 2 shown]
	v_cmp_lt_u32_e32 vcc_lo, 7, v5
	s_or_b32 s5, vcc_lo, s5
	s_waitcnt vmcnt(1) lgkmcnt(0)
	v_mul_f32_e32 v111, v108, v109
	v_mul_f32_e32 v109, v107, v109
	s_waitcnt vmcnt(0)
	v_fma_f32 v107, v107, v110, -v111
	v_fmac_f32_e32 v109, v108, v110
	v_add_f32_e32 v8, v8, v107
	v_add_f32_e32 v2, v2, v109
	s_andn2_b32 exec_lo, exec_lo, s5
	s_cbranch_execnz .LBB112_49
; %bb.50:
	s_or_b32 exec_lo, exec_lo, s5
	v_mov_b32_e32 v5, 0
	ds_read_b64 v[5:6], v5 offset:72
	s_waitcnt lgkmcnt(0)
	v_mul_f32_e32 v7, v2, v6
	v_mul_f32_e32 v6, v8, v6
	v_fma_f32 v7, v8, v5, -v7
	v_fmac_f32_e32 v6, v2, v5
	buffer_store_dword v7, off, s[0:3], 0 offset:72
	buffer_store_dword v6, off, s[0:3], 0 offset:76
.LBB112_51:
	s_or_b32 exec_lo, exec_lo, s4
	s_waitcnt_vscnt null, 0x0
	s_barrier
	buffer_gl0_inv
	s_clause 0x1
	buffer_load_dword v5, off, s[0:3], 0 offset:80
	buffer_load_dword v6, off, s[0:3], 0 offset:84
	s_mov_b32 s4, exec_lo
	s_waitcnt vmcnt(0)
	ds_write_b64 v4, v[5:6]
	s_waitcnt lgkmcnt(0)
	s_barrier
	buffer_gl0_inv
	v_cmpx_gt_u32_e32 10, v0
	s_cbranch_execz .LBB112_55
; %bb.52:
	v_add_nc_u32_e32 v5, -1, v0
	v_add_nc_u32_e32 v6, 0x190, v3
	v_mov_b32_e32 v7, v3
	v_mov_b32_e32 v2, 0
	;; [unrolled: 1-line block ×3, first 2 shown]
	s_mov_b32 s5, 0
	.p2align	6
.LBB112_53:                             ; =>This Inner Loop Header: Depth=1
	s_clause 0x1
	buffer_load_dword v109, v7, s[0:3], 0 offen offset:4
	buffer_load_dword v110, v7, s[0:3], 0 offen
	ds_read_b64 v[107:108], v6
	v_add_nc_u32_e32 v5, 1, v5
	v_add_nc_u32_e32 v6, 8, v6
	;; [unrolled: 1-line block ×3, first 2 shown]
	v_cmp_lt_u32_e32 vcc_lo, 8, v5
	s_or_b32 s5, vcc_lo, s5
	s_waitcnt vmcnt(1) lgkmcnt(0)
	v_mul_f32_e32 v111, v108, v109
	v_mul_f32_e32 v109, v107, v109
	s_waitcnt vmcnt(0)
	v_fma_f32 v107, v107, v110, -v111
	v_fmac_f32_e32 v109, v108, v110
	v_add_f32_e32 v8, v8, v107
	v_add_f32_e32 v2, v2, v109
	s_andn2_b32 exec_lo, exec_lo, s5
	s_cbranch_execnz .LBB112_53
; %bb.54:
	s_or_b32 exec_lo, exec_lo, s5
	v_mov_b32_e32 v5, 0
	ds_read_b64 v[5:6], v5 offset:80
	s_waitcnt lgkmcnt(0)
	v_mul_f32_e32 v7, v2, v6
	v_mul_f32_e32 v6, v8, v6
	v_fma_f32 v7, v8, v5, -v7
	v_fmac_f32_e32 v6, v2, v5
	buffer_store_dword v7, off, s[0:3], 0 offset:80
	buffer_store_dword v6, off, s[0:3], 0 offset:84
.LBB112_55:
	s_or_b32 exec_lo, exec_lo, s4
	s_waitcnt_vscnt null, 0x0
	s_barrier
	buffer_gl0_inv
	s_clause 0x1
	buffer_load_dword v5, off, s[0:3], 0 offset:88
	buffer_load_dword v6, off, s[0:3], 0 offset:92
	s_mov_b32 s4, exec_lo
	s_waitcnt vmcnt(0)
	ds_write_b64 v4, v[5:6]
	s_waitcnt lgkmcnt(0)
	s_barrier
	buffer_gl0_inv
	v_cmpx_gt_u32_e32 11, v0
	s_cbranch_execz .LBB112_59
; %bb.56:
	v_add_nc_u32_e32 v5, -1, v0
	v_add_nc_u32_e32 v6, 0x190, v3
	v_mov_b32_e32 v7, v3
	v_mov_b32_e32 v2, 0
	;; [unrolled: 1-line block ×3, first 2 shown]
	s_mov_b32 s5, 0
	.p2align	6
.LBB112_57:                             ; =>This Inner Loop Header: Depth=1
	s_clause 0x1
	buffer_load_dword v109, v7, s[0:3], 0 offen offset:4
	buffer_load_dword v110, v7, s[0:3], 0 offen
	ds_read_b64 v[107:108], v6
	v_add_nc_u32_e32 v5, 1, v5
	v_add_nc_u32_e32 v6, 8, v6
	v_add_nc_u32_e32 v7, 8, v7
	v_cmp_lt_u32_e32 vcc_lo, 9, v5
	s_or_b32 s5, vcc_lo, s5
	s_waitcnt vmcnt(1) lgkmcnt(0)
	v_mul_f32_e32 v111, v108, v109
	v_mul_f32_e32 v109, v107, v109
	s_waitcnt vmcnt(0)
	v_fma_f32 v107, v107, v110, -v111
	v_fmac_f32_e32 v109, v108, v110
	v_add_f32_e32 v8, v8, v107
	v_add_f32_e32 v2, v2, v109
	s_andn2_b32 exec_lo, exec_lo, s5
	s_cbranch_execnz .LBB112_57
; %bb.58:
	s_or_b32 exec_lo, exec_lo, s5
	v_mov_b32_e32 v5, 0
	ds_read_b64 v[5:6], v5 offset:88
	s_waitcnt lgkmcnt(0)
	v_mul_f32_e32 v7, v2, v6
	v_mul_f32_e32 v6, v8, v6
	v_fma_f32 v7, v8, v5, -v7
	v_fmac_f32_e32 v6, v2, v5
	buffer_store_dword v7, off, s[0:3], 0 offset:88
	buffer_store_dword v6, off, s[0:3], 0 offset:92
.LBB112_59:
	s_or_b32 exec_lo, exec_lo, s4
	s_waitcnt_vscnt null, 0x0
	s_barrier
	buffer_gl0_inv
	s_clause 0x1
	buffer_load_dword v5, off, s[0:3], 0 offset:96
	buffer_load_dword v6, off, s[0:3], 0 offset:100
	s_mov_b32 s4, exec_lo
	s_waitcnt vmcnt(0)
	ds_write_b64 v4, v[5:6]
	s_waitcnt lgkmcnt(0)
	s_barrier
	buffer_gl0_inv
	v_cmpx_gt_u32_e32 12, v0
	s_cbranch_execz .LBB112_63
; %bb.60:
	v_add_nc_u32_e32 v5, -1, v0
	v_add_nc_u32_e32 v6, 0x190, v3
	v_mov_b32_e32 v7, v3
	v_mov_b32_e32 v2, 0
	;; [unrolled: 1-line block ×3, first 2 shown]
	s_mov_b32 s5, 0
	.p2align	6
.LBB112_61:                             ; =>This Inner Loop Header: Depth=1
	s_clause 0x1
	buffer_load_dword v109, v7, s[0:3], 0 offen offset:4
	buffer_load_dword v110, v7, s[0:3], 0 offen
	ds_read_b64 v[107:108], v6
	v_add_nc_u32_e32 v5, 1, v5
	v_add_nc_u32_e32 v6, 8, v6
	;; [unrolled: 1-line block ×3, first 2 shown]
	v_cmp_lt_u32_e32 vcc_lo, 10, v5
	s_or_b32 s5, vcc_lo, s5
	s_waitcnt vmcnt(1) lgkmcnt(0)
	v_mul_f32_e32 v111, v108, v109
	v_mul_f32_e32 v109, v107, v109
	s_waitcnt vmcnt(0)
	v_fma_f32 v107, v107, v110, -v111
	v_fmac_f32_e32 v109, v108, v110
	v_add_f32_e32 v8, v8, v107
	v_add_f32_e32 v2, v2, v109
	s_andn2_b32 exec_lo, exec_lo, s5
	s_cbranch_execnz .LBB112_61
; %bb.62:
	s_or_b32 exec_lo, exec_lo, s5
	v_mov_b32_e32 v5, 0
	ds_read_b64 v[5:6], v5 offset:96
	s_waitcnt lgkmcnt(0)
	v_mul_f32_e32 v7, v2, v6
	v_mul_f32_e32 v6, v8, v6
	v_fma_f32 v7, v8, v5, -v7
	v_fmac_f32_e32 v6, v2, v5
	buffer_store_dword v7, off, s[0:3], 0 offset:96
	buffer_store_dword v6, off, s[0:3], 0 offset:100
.LBB112_63:
	s_or_b32 exec_lo, exec_lo, s4
	s_waitcnt_vscnt null, 0x0
	s_barrier
	buffer_gl0_inv
	s_clause 0x1
	buffer_load_dword v5, off, s[0:3], 0 offset:104
	buffer_load_dword v6, off, s[0:3], 0 offset:108
	s_mov_b32 s4, exec_lo
	s_waitcnt vmcnt(0)
	ds_write_b64 v4, v[5:6]
	s_waitcnt lgkmcnt(0)
	s_barrier
	buffer_gl0_inv
	v_cmpx_gt_u32_e32 13, v0
	s_cbranch_execz .LBB112_67
; %bb.64:
	v_add_nc_u32_e32 v5, -1, v0
	v_add_nc_u32_e32 v6, 0x190, v3
	v_mov_b32_e32 v7, v3
	v_mov_b32_e32 v2, 0
	;; [unrolled: 1-line block ×3, first 2 shown]
	s_mov_b32 s5, 0
	.p2align	6
.LBB112_65:                             ; =>This Inner Loop Header: Depth=1
	s_clause 0x1
	buffer_load_dword v109, v7, s[0:3], 0 offen offset:4
	buffer_load_dword v110, v7, s[0:3], 0 offen
	ds_read_b64 v[107:108], v6
	v_add_nc_u32_e32 v5, 1, v5
	v_add_nc_u32_e32 v6, 8, v6
	;; [unrolled: 1-line block ×3, first 2 shown]
	v_cmp_lt_u32_e32 vcc_lo, 11, v5
	s_or_b32 s5, vcc_lo, s5
	s_waitcnt vmcnt(1) lgkmcnt(0)
	v_mul_f32_e32 v111, v108, v109
	v_mul_f32_e32 v109, v107, v109
	s_waitcnt vmcnt(0)
	v_fma_f32 v107, v107, v110, -v111
	v_fmac_f32_e32 v109, v108, v110
	v_add_f32_e32 v8, v8, v107
	v_add_f32_e32 v2, v2, v109
	s_andn2_b32 exec_lo, exec_lo, s5
	s_cbranch_execnz .LBB112_65
; %bb.66:
	s_or_b32 exec_lo, exec_lo, s5
	v_mov_b32_e32 v5, 0
	ds_read_b64 v[5:6], v5 offset:104
	s_waitcnt lgkmcnt(0)
	v_mul_f32_e32 v7, v2, v6
	v_mul_f32_e32 v6, v8, v6
	v_fma_f32 v7, v8, v5, -v7
	v_fmac_f32_e32 v6, v2, v5
	buffer_store_dword v7, off, s[0:3], 0 offset:104
	buffer_store_dword v6, off, s[0:3], 0 offset:108
.LBB112_67:
	s_or_b32 exec_lo, exec_lo, s4
	s_waitcnt_vscnt null, 0x0
	s_barrier
	buffer_gl0_inv
	s_clause 0x1
	buffer_load_dword v5, off, s[0:3], 0 offset:112
	buffer_load_dword v6, off, s[0:3], 0 offset:116
	s_mov_b32 s4, exec_lo
	s_waitcnt vmcnt(0)
	ds_write_b64 v4, v[5:6]
	s_waitcnt lgkmcnt(0)
	s_barrier
	buffer_gl0_inv
	v_cmpx_gt_u32_e32 14, v0
	s_cbranch_execz .LBB112_71
; %bb.68:
	v_add_nc_u32_e32 v5, -1, v0
	v_add_nc_u32_e32 v6, 0x190, v3
	v_mov_b32_e32 v7, v3
	v_mov_b32_e32 v2, 0
	;; [unrolled: 1-line block ×3, first 2 shown]
	s_mov_b32 s5, 0
	.p2align	6
.LBB112_69:                             ; =>This Inner Loop Header: Depth=1
	s_clause 0x1
	buffer_load_dword v109, v7, s[0:3], 0 offen offset:4
	buffer_load_dword v110, v7, s[0:3], 0 offen
	ds_read_b64 v[107:108], v6
	v_add_nc_u32_e32 v5, 1, v5
	v_add_nc_u32_e32 v6, 8, v6
	;; [unrolled: 1-line block ×3, first 2 shown]
	v_cmp_lt_u32_e32 vcc_lo, 12, v5
	s_or_b32 s5, vcc_lo, s5
	s_waitcnt vmcnt(1) lgkmcnt(0)
	v_mul_f32_e32 v111, v108, v109
	v_mul_f32_e32 v109, v107, v109
	s_waitcnt vmcnt(0)
	v_fma_f32 v107, v107, v110, -v111
	v_fmac_f32_e32 v109, v108, v110
	v_add_f32_e32 v8, v8, v107
	v_add_f32_e32 v2, v2, v109
	s_andn2_b32 exec_lo, exec_lo, s5
	s_cbranch_execnz .LBB112_69
; %bb.70:
	s_or_b32 exec_lo, exec_lo, s5
	v_mov_b32_e32 v5, 0
	ds_read_b64 v[5:6], v5 offset:112
	s_waitcnt lgkmcnt(0)
	v_mul_f32_e32 v7, v2, v6
	v_mul_f32_e32 v6, v8, v6
	v_fma_f32 v7, v8, v5, -v7
	v_fmac_f32_e32 v6, v2, v5
	buffer_store_dword v7, off, s[0:3], 0 offset:112
	buffer_store_dword v6, off, s[0:3], 0 offset:116
.LBB112_71:
	s_or_b32 exec_lo, exec_lo, s4
	s_waitcnt_vscnt null, 0x0
	s_barrier
	buffer_gl0_inv
	s_clause 0x1
	buffer_load_dword v5, off, s[0:3], 0 offset:120
	buffer_load_dword v6, off, s[0:3], 0 offset:124
	s_mov_b32 s4, exec_lo
	s_waitcnt vmcnt(0)
	ds_write_b64 v4, v[5:6]
	s_waitcnt lgkmcnt(0)
	s_barrier
	buffer_gl0_inv
	v_cmpx_gt_u32_e32 15, v0
	s_cbranch_execz .LBB112_75
; %bb.72:
	v_add_nc_u32_e32 v5, -1, v0
	v_add_nc_u32_e32 v6, 0x190, v3
	v_mov_b32_e32 v7, v3
	v_mov_b32_e32 v2, 0
	;; [unrolled: 1-line block ×3, first 2 shown]
	s_mov_b32 s5, 0
	.p2align	6
.LBB112_73:                             ; =>This Inner Loop Header: Depth=1
	s_clause 0x1
	buffer_load_dword v109, v7, s[0:3], 0 offen offset:4
	buffer_load_dword v110, v7, s[0:3], 0 offen
	ds_read_b64 v[107:108], v6
	v_add_nc_u32_e32 v5, 1, v5
	v_add_nc_u32_e32 v6, 8, v6
	;; [unrolled: 1-line block ×3, first 2 shown]
	v_cmp_lt_u32_e32 vcc_lo, 13, v5
	s_or_b32 s5, vcc_lo, s5
	s_waitcnt vmcnt(1) lgkmcnt(0)
	v_mul_f32_e32 v111, v108, v109
	v_mul_f32_e32 v109, v107, v109
	s_waitcnt vmcnt(0)
	v_fma_f32 v107, v107, v110, -v111
	v_fmac_f32_e32 v109, v108, v110
	v_add_f32_e32 v8, v8, v107
	v_add_f32_e32 v2, v2, v109
	s_andn2_b32 exec_lo, exec_lo, s5
	s_cbranch_execnz .LBB112_73
; %bb.74:
	s_or_b32 exec_lo, exec_lo, s5
	v_mov_b32_e32 v5, 0
	ds_read_b64 v[5:6], v5 offset:120
	s_waitcnt lgkmcnt(0)
	v_mul_f32_e32 v7, v2, v6
	v_mul_f32_e32 v6, v8, v6
	v_fma_f32 v7, v8, v5, -v7
	v_fmac_f32_e32 v6, v2, v5
	buffer_store_dword v7, off, s[0:3], 0 offset:120
	buffer_store_dword v6, off, s[0:3], 0 offset:124
.LBB112_75:
	s_or_b32 exec_lo, exec_lo, s4
	s_waitcnt_vscnt null, 0x0
	s_barrier
	buffer_gl0_inv
	s_clause 0x1
	buffer_load_dword v5, off, s[0:3], 0 offset:128
	buffer_load_dword v6, off, s[0:3], 0 offset:132
	s_mov_b32 s4, exec_lo
	s_waitcnt vmcnt(0)
	ds_write_b64 v4, v[5:6]
	s_waitcnt lgkmcnt(0)
	s_barrier
	buffer_gl0_inv
	v_cmpx_gt_u32_e32 16, v0
	s_cbranch_execz .LBB112_79
; %bb.76:
	v_add_nc_u32_e32 v5, -1, v0
	v_add_nc_u32_e32 v6, 0x190, v3
	v_mov_b32_e32 v7, v3
	v_mov_b32_e32 v2, 0
	;; [unrolled: 1-line block ×3, first 2 shown]
	s_mov_b32 s5, 0
	.p2align	6
.LBB112_77:                             ; =>This Inner Loop Header: Depth=1
	s_clause 0x1
	buffer_load_dword v109, v7, s[0:3], 0 offen offset:4
	buffer_load_dword v110, v7, s[0:3], 0 offen
	ds_read_b64 v[107:108], v6
	v_add_nc_u32_e32 v5, 1, v5
	v_add_nc_u32_e32 v6, 8, v6
	;; [unrolled: 1-line block ×3, first 2 shown]
	v_cmp_lt_u32_e32 vcc_lo, 14, v5
	s_or_b32 s5, vcc_lo, s5
	s_waitcnt vmcnt(1) lgkmcnt(0)
	v_mul_f32_e32 v111, v108, v109
	v_mul_f32_e32 v109, v107, v109
	s_waitcnt vmcnt(0)
	v_fma_f32 v107, v107, v110, -v111
	v_fmac_f32_e32 v109, v108, v110
	v_add_f32_e32 v8, v8, v107
	v_add_f32_e32 v2, v2, v109
	s_andn2_b32 exec_lo, exec_lo, s5
	s_cbranch_execnz .LBB112_77
; %bb.78:
	s_or_b32 exec_lo, exec_lo, s5
	v_mov_b32_e32 v5, 0
	ds_read_b64 v[5:6], v5 offset:128
	s_waitcnt lgkmcnt(0)
	v_mul_f32_e32 v7, v2, v6
	v_mul_f32_e32 v6, v8, v6
	v_fma_f32 v7, v8, v5, -v7
	v_fmac_f32_e32 v6, v2, v5
	buffer_store_dword v7, off, s[0:3], 0 offset:128
	buffer_store_dword v6, off, s[0:3], 0 offset:132
.LBB112_79:
	s_or_b32 exec_lo, exec_lo, s4
	s_waitcnt_vscnt null, 0x0
	s_barrier
	buffer_gl0_inv
	s_clause 0x1
	buffer_load_dword v5, off, s[0:3], 0 offset:136
	buffer_load_dword v6, off, s[0:3], 0 offset:140
	s_mov_b32 s4, exec_lo
	s_waitcnt vmcnt(0)
	ds_write_b64 v4, v[5:6]
	s_waitcnt lgkmcnt(0)
	s_barrier
	buffer_gl0_inv
	v_cmpx_gt_u32_e32 17, v0
	s_cbranch_execz .LBB112_83
; %bb.80:
	v_add_nc_u32_e32 v5, -1, v0
	v_add_nc_u32_e32 v6, 0x190, v3
	v_mov_b32_e32 v7, v3
	v_mov_b32_e32 v2, 0
	;; [unrolled: 1-line block ×3, first 2 shown]
	s_mov_b32 s5, 0
	.p2align	6
.LBB112_81:                             ; =>This Inner Loop Header: Depth=1
	s_clause 0x1
	buffer_load_dword v109, v7, s[0:3], 0 offen offset:4
	buffer_load_dword v110, v7, s[0:3], 0 offen
	ds_read_b64 v[107:108], v6
	v_add_nc_u32_e32 v5, 1, v5
	v_add_nc_u32_e32 v6, 8, v6
	;; [unrolled: 1-line block ×3, first 2 shown]
	v_cmp_lt_u32_e32 vcc_lo, 15, v5
	s_or_b32 s5, vcc_lo, s5
	s_waitcnt vmcnt(1) lgkmcnt(0)
	v_mul_f32_e32 v111, v108, v109
	v_mul_f32_e32 v109, v107, v109
	s_waitcnt vmcnt(0)
	v_fma_f32 v107, v107, v110, -v111
	v_fmac_f32_e32 v109, v108, v110
	v_add_f32_e32 v8, v8, v107
	v_add_f32_e32 v2, v2, v109
	s_andn2_b32 exec_lo, exec_lo, s5
	s_cbranch_execnz .LBB112_81
; %bb.82:
	s_or_b32 exec_lo, exec_lo, s5
	v_mov_b32_e32 v5, 0
	ds_read_b64 v[5:6], v5 offset:136
	s_waitcnt lgkmcnt(0)
	v_mul_f32_e32 v7, v2, v6
	v_mul_f32_e32 v6, v8, v6
	v_fma_f32 v7, v8, v5, -v7
	v_fmac_f32_e32 v6, v2, v5
	buffer_store_dword v7, off, s[0:3], 0 offset:136
	buffer_store_dword v6, off, s[0:3], 0 offset:140
.LBB112_83:
	s_or_b32 exec_lo, exec_lo, s4
	s_waitcnt_vscnt null, 0x0
	s_barrier
	buffer_gl0_inv
	s_clause 0x1
	buffer_load_dword v5, off, s[0:3], 0 offset:144
	buffer_load_dword v6, off, s[0:3], 0 offset:148
	s_mov_b32 s4, exec_lo
	s_waitcnt vmcnt(0)
	ds_write_b64 v4, v[5:6]
	s_waitcnt lgkmcnt(0)
	s_barrier
	buffer_gl0_inv
	v_cmpx_gt_u32_e32 18, v0
	s_cbranch_execz .LBB112_87
; %bb.84:
	v_add_nc_u32_e32 v5, -1, v0
	v_add_nc_u32_e32 v6, 0x190, v3
	v_mov_b32_e32 v7, v3
	v_mov_b32_e32 v2, 0
	;; [unrolled: 1-line block ×3, first 2 shown]
	s_mov_b32 s5, 0
	.p2align	6
.LBB112_85:                             ; =>This Inner Loop Header: Depth=1
	s_clause 0x1
	buffer_load_dword v109, v7, s[0:3], 0 offen offset:4
	buffer_load_dword v110, v7, s[0:3], 0 offen
	ds_read_b64 v[107:108], v6
	v_add_nc_u32_e32 v5, 1, v5
	v_add_nc_u32_e32 v6, 8, v6
	;; [unrolled: 1-line block ×3, first 2 shown]
	v_cmp_lt_u32_e32 vcc_lo, 16, v5
	s_or_b32 s5, vcc_lo, s5
	s_waitcnt vmcnt(1) lgkmcnt(0)
	v_mul_f32_e32 v111, v108, v109
	v_mul_f32_e32 v109, v107, v109
	s_waitcnt vmcnt(0)
	v_fma_f32 v107, v107, v110, -v111
	v_fmac_f32_e32 v109, v108, v110
	v_add_f32_e32 v8, v8, v107
	v_add_f32_e32 v2, v2, v109
	s_andn2_b32 exec_lo, exec_lo, s5
	s_cbranch_execnz .LBB112_85
; %bb.86:
	s_or_b32 exec_lo, exec_lo, s5
	v_mov_b32_e32 v5, 0
	ds_read_b64 v[5:6], v5 offset:144
	s_waitcnt lgkmcnt(0)
	v_mul_f32_e32 v7, v2, v6
	v_mul_f32_e32 v6, v8, v6
	v_fma_f32 v7, v8, v5, -v7
	v_fmac_f32_e32 v6, v2, v5
	buffer_store_dword v7, off, s[0:3], 0 offset:144
	buffer_store_dword v6, off, s[0:3], 0 offset:148
.LBB112_87:
	s_or_b32 exec_lo, exec_lo, s4
	s_waitcnt_vscnt null, 0x0
	s_barrier
	buffer_gl0_inv
	s_clause 0x1
	buffer_load_dword v5, off, s[0:3], 0 offset:152
	buffer_load_dword v6, off, s[0:3], 0 offset:156
	s_mov_b32 s4, exec_lo
	s_waitcnt vmcnt(0)
	ds_write_b64 v4, v[5:6]
	s_waitcnt lgkmcnt(0)
	s_barrier
	buffer_gl0_inv
	v_cmpx_gt_u32_e32 19, v0
	s_cbranch_execz .LBB112_91
; %bb.88:
	v_add_nc_u32_e32 v5, -1, v0
	v_add_nc_u32_e32 v6, 0x190, v3
	v_mov_b32_e32 v7, v3
	v_mov_b32_e32 v2, 0
	v_mov_b32_e32 v8, 0
	s_mov_b32 s5, 0
	.p2align	6
.LBB112_89:                             ; =>This Inner Loop Header: Depth=1
	s_clause 0x1
	buffer_load_dword v109, v7, s[0:3], 0 offen offset:4
	buffer_load_dword v110, v7, s[0:3], 0 offen
	ds_read_b64 v[107:108], v6
	v_add_nc_u32_e32 v5, 1, v5
	v_add_nc_u32_e32 v6, 8, v6
	;; [unrolled: 1-line block ×3, first 2 shown]
	v_cmp_lt_u32_e32 vcc_lo, 17, v5
	s_or_b32 s5, vcc_lo, s5
	s_waitcnt vmcnt(1) lgkmcnt(0)
	v_mul_f32_e32 v111, v108, v109
	v_mul_f32_e32 v109, v107, v109
	s_waitcnt vmcnt(0)
	v_fma_f32 v107, v107, v110, -v111
	v_fmac_f32_e32 v109, v108, v110
	v_add_f32_e32 v8, v8, v107
	v_add_f32_e32 v2, v2, v109
	s_andn2_b32 exec_lo, exec_lo, s5
	s_cbranch_execnz .LBB112_89
; %bb.90:
	s_or_b32 exec_lo, exec_lo, s5
	v_mov_b32_e32 v5, 0
	ds_read_b64 v[5:6], v5 offset:152
	s_waitcnt lgkmcnt(0)
	v_mul_f32_e32 v7, v2, v6
	v_mul_f32_e32 v6, v8, v6
	v_fma_f32 v7, v8, v5, -v7
	v_fmac_f32_e32 v6, v2, v5
	buffer_store_dword v7, off, s[0:3], 0 offset:152
	buffer_store_dword v6, off, s[0:3], 0 offset:156
.LBB112_91:
	s_or_b32 exec_lo, exec_lo, s4
	s_waitcnt_vscnt null, 0x0
	s_barrier
	buffer_gl0_inv
	s_clause 0x1
	buffer_load_dword v5, off, s[0:3], 0 offset:160
	buffer_load_dword v6, off, s[0:3], 0 offset:164
	s_mov_b32 s4, exec_lo
	s_waitcnt vmcnt(0)
	ds_write_b64 v4, v[5:6]
	s_waitcnt lgkmcnt(0)
	s_barrier
	buffer_gl0_inv
	v_cmpx_gt_u32_e32 20, v0
	s_cbranch_execz .LBB112_95
; %bb.92:
	v_add_nc_u32_e32 v5, -1, v0
	v_add_nc_u32_e32 v6, 0x190, v3
	v_mov_b32_e32 v7, v3
	v_mov_b32_e32 v2, 0
	;; [unrolled: 1-line block ×3, first 2 shown]
	s_mov_b32 s5, 0
	.p2align	6
.LBB112_93:                             ; =>This Inner Loop Header: Depth=1
	s_clause 0x1
	buffer_load_dword v109, v7, s[0:3], 0 offen offset:4
	buffer_load_dword v110, v7, s[0:3], 0 offen
	ds_read_b64 v[107:108], v6
	v_add_nc_u32_e32 v5, 1, v5
	v_add_nc_u32_e32 v6, 8, v6
	;; [unrolled: 1-line block ×3, first 2 shown]
	v_cmp_lt_u32_e32 vcc_lo, 18, v5
	s_or_b32 s5, vcc_lo, s5
	s_waitcnt vmcnt(1) lgkmcnt(0)
	v_mul_f32_e32 v111, v108, v109
	v_mul_f32_e32 v109, v107, v109
	s_waitcnt vmcnt(0)
	v_fma_f32 v107, v107, v110, -v111
	v_fmac_f32_e32 v109, v108, v110
	v_add_f32_e32 v8, v8, v107
	v_add_f32_e32 v2, v2, v109
	s_andn2_b32 exec_lo, exec_lo, s5
	s_cbranch_execnz .LBB112_93
; %bb.94:
	s_or_b32 exec_lo, exec_lo, s5
	v_mov_b32_e32 v5, 0
	ds_read_b64 v[5:6], v5 offset:160
	s_waitcnt lgkmcnt(0)
	v_mul_f32_e32 v7, v2, v6
	v_mul_f32_e32 v6, v8, v6
	v_fma_f32 v7, v8, v5, -v7
	v_fmac_f32_e32 v6, v2, v5
	buffer_store_dword v7, off, s[0:3], 0 offset:160
	buffer_store_dword v6, off, s[0:3], 0 offset:164
.LBB112_95:
	s_or_b32 exec_lo, exec_lo, s4
	s_waitcnt_vscnt null, 0x0
	s_barrier
	buffer_gl0_inv
	s_clause 0x1
	buffer_load_dword v5, off, s[0:3], 0 offset:168
	buffer_load_dword v6, off, s[0:3], 0 offset:172
	s_mov_b32 s4, exec_lo
	s_waitcnt vmcnt(0)
	ds_write_b64 v4, v[5:6]
	s_waitcnt lgkmcnt(0)
	s_barrier
	buffer_gl0_inv
	v_cmpx_gt_u32_e32 21, v0
	s_cbranch_execz .LBB112_99
; %bb.96:
	v_add_nc_u32_e32 v5, -1, v0
	v_add_nc_u32_e32 v6, 0x190, v3
	v_mov_b32_e32 v7, v3
	v_mov_b32_e32 v2, 0
	;; [unrolled: 1-line block ×3, first 2 shown]
	s_mov_b32 s5, 0
	.p2align	6
.LBB112_97:                             ; =>This Inner Loop Header: Depth=1
	s_clause 0x1
	buffer_load_dword v109, v7, s[0:3], 0 offen offset:4
	buffer_load_dword v110, v7, s[0:3], 0 offen
	ds_read_b64 v[107:108], v6
	v_add_nc_u32_e32 v5, 1, v5
	v_add_nc_u32_e32 v6, 8, v6
	v_add_nc_u32_e32 v7, 8, v7
	v_cmp_lt_u32_e32 vcc_lo, 19, v5
	s_or_b32 s5, vcc_lo, s5
	s_waitcnt vmcnt(1) lgkmcnt(0)
	v_mul_f32_e32 v111, v108, v109
	v_mul_f32_e32 v109, v107, v109
	s_waitcnt vmcnt(0)
	v_fma_f32 v107, v107, v110, -v111
	v_fmac_f32_e32 v109, v108, v110
	v_add_f32_e32 v8, v8, v107
	v_add_f32_e32 v2, v2, v109
	s_andn2_b32 exec_lo, exec_lo, s5
	s_cbranch_execnz .LBB112_97
; %bb.98:
	s_or_b32 exec_lo, exec_lo, s5
	v_mov_b32_e32 v5, 0
	ds_read_b64 v[5:6], v5 offset:168
	s_waitcnt lgkmcnt(0)
	v_mul_f32_e32 v7, v2, v6
	v_mul_f32_e32 v6, v8, v6
	v_fma_f32 v7, v8, v5, -v7
	v_fmac_f32_e32 v6, v2, v5
	buffer_store_dword v7, off, s[0:3], 0 offset:168
	buffer_store_dword v6, off, s[0:3], 0 offset:172
.LBB112_99:
	s_or_b32 exec_lo, exec_lo, s4
	s_waitcnt_vscnt null, 0x0
	s_barrier
	buffer_gl0_inv
	s_clause 0x1
	buffer_load_dword v5, off, s[0:3], 0 offset:176
	buffer_load_dword v6, off, s[0:3], 0 offset:180
	s_mov_b32 s4, exec_lo
	s_waitcnt vmcnt(0)
	ds_write_b64 v4, v[5:6]
	s_waitcnt lgkmcnt(0)
	s_barrier
	buffer_gl0_inv
	v_cmpx_gt_u32_e32 22, v0
	s_cbranch_execz .LBB112_103
; %bb.100:
	v_add_nc_u32_e32 v5, -1, v0
	v_add_nc_u32_e32 v6, 0x190, v3
	v_mov_b32_e32 v7, v3
	v_mov_b32_e32 v2, 0
	;; [unrolled: 1-line block ×3, first 2 shown]
	s_mov_b32 s5, 0
	.p2align	6
.LBB112_101:                            ; =>This Inner Loop Header: Depth=1
	s_clause 0x1
	buffer_load_dword v109, v7, s[0:3], 0 offen offset:4
	buffer_load_dword v110, v7, s[0:3], 0 offen
	ds_read_b64 v[107:108], v6
	v_add_nc_u32_e32 v5, 1, v5
	v_add_nc_u32_e32 v6, 8, v6
	;; [unrolled: 1-line block ×3, first 2 shown]
	v_cmp_lt_u32_e32 vcc_lo, 20, v5
	s_or_b32 s5, vcc_lo, s5
	s_waitcnt vmcnt(1) lgkmcnt(0)
	v_mul_f32_e32 v111, v108, v109
	v_mul_f32_e32 v109, v107, v109
	s_waitcnt vmcnt(0)
	v_fma_f32 v107, v107, v110, -v111
	v_fmac_f32_e32 v109, v108, v110
	v_add_f32_e32 v8, v8, v107
	v_add_f32_e32 v2, v2, v109
	s_andn2_b32 exec_lo, exec_lo, s5
	s_cbranch_execnz .LBB112_101
; %bb.102:
	s_or_b32 exec_lo, exec_lo, s5
	v_mov_b32_e32 v5, 0
	ds_read_b64 v[5:6], v5 offset:176
	s_waitcnt lgkmcnt(0)
	v_mul_f32_e32 v7, v2, v6
	v_mul_f32_e32 v6, v8, v6
	v_fma_f32 v7, v8, v5, -v7
	v_fmac_f32_e32 v6, v2, v5
	buffer_store_dword v7, off, s[0:3], 0 offset:176
	buffer_store_dword v6, off, s[0:3], 0 offset:180
.LBB112_103:
	s_or_b32 exec_lo, exec_lo, s4
	s_waitcnt_vscnt null, 0x0
	s_barrier
	buffer_gl0_inv
	s_clause 0x1
	buffer_load_dword v5, off, s[0:3], 0 offset:184
	buffer_load_dword v6, off, s[0:3], 0 offset:188
	s_mov_b32 s4, exec_lo
	s_waitcnt vmcnt(0)
	ds_write_b64 v4, v[5:6]
	s_waitcnt lgkmcnt(0)
	s_barrier
	buffer_gl0_inv
	v_cmpx_gt_u32_e32 23, v0
	s_cbranch_execz .LBB112_107
; %bb.104:
	v_add_nc_u32_e32 v5, -1, v0
	v_add_nc_u32_e32 v6, 0x190, v3
	v_mov_b32_e32 v7, v3
	v_mov_b32_e32 v2, 0
	;; [unrolled: 1-line block ×3, first 2 shown]
	s_mov_b32 s5, 0
	.p2align	6
.LBB112_105:                            ; =>This Inner Loop Header: Depth=1
	s_clause 0x1
	buffer_load_dword v109, v7, s[0:3], 0 offen offset:4
	buffer_load_dword v110, v7, s[0:3], 0 offen
	ds_read_b64 v[107:108], v6
	v_add_nc_u32_e32 v5, 1, v5
	v_add_nc_u32_e32 v6, 8, v6
	;; [unrolled: 1-line block ×3, first 2 shown]
	v_cmp_lt_u32_e32 vcc_lo, 21, v5
	s_or_b32 s5, vcc_lo, s5
	s_waitcnt vmcnt(1) lgkmcnt(0)
	v_mul_f32_e32 v111, v108, v109
	v_mul_f32_e32 v109, v107, v109
	s_waitcnt vmcnt(0)
	v_fma_f32 v107, v107, v110, -v111
	v_fmac_f32_e32 v109, v108, v110
	v_add_f32_e32 v8, v8, v107
	v_add_f32_e32 v2, v2, v109
	s_andn2_b32 exec_lo, exec_lo, s5
	s_cbranch_execnz .LBB112_105
; %bb.106:
	s_or_b32 exec_lo, exec_lo, s5
	v_mov_b32_e32 v5, 0
	ds_read_b64 v[5:6], v5 offset:184
	s_waitcnt lgkmcnt(0)
	v_mul_f32_e32 v7, v2, v6
	v_mul_f32_e32 v6, v8, v6
	v_fma_f32 v7, v8, v5, -v7
	v_fmac_f32_e32 v6, v2, v5
	buffer_store_dword v7, off, s[0:3], 0 offset:184
	buffer_store_dword v6, off, s[0:3], 0 offset:188
.LBB112_107:
	s_or_b32 exec_lo, exec_lo, s4
	s_waitcnt_vscnt null, 0x0
	s_barrier
	buffer_gl0_inv
	s_clause 0x1
	buffer_load_dword v5, off, s[0:3], 0 offset:192
	buffer_load_dword v6, off, s[0:3], 0 offset:196
	s_mov_b32 s4, exec_lo
	s_waitcnt vmcnt(0)
	ds_write_b64 v4, v[5:6]
	s_waitcnt lgkmcnt(0)
	s_barrier
	buffer_gl0_inv
	v_cmpx_gt_u32_e32 24, v0
	s_cbranch_execz .LBB112_111
; %bb.108:
	v_add_nc_u32_e32 v5, -1, v0
	v_add_nc_u32_e32 v6, 0x190, v3
	v_mov_b32_e32 v7, v3
	v_mov_b32_e32 v2, 0
	;; [unrolled: 1-line block ×3, first 2 shown]
	s_mov_b32 s5, 0
	.p2align	6
.LBB112_109:                            ; =>This Inner Loop Header: Depth=1
	s_clause 0x1
	buffer_load_dword v109, v7, s[0:3], 0 offen offset:4
	buffer_load_dword v110, v7, s[0:3], 0 offen
	ds_read_b64 v[107:108], v6
	v_add_nc_u32_e32 v5, 1, v5
	v_add_nc_u32_e32 v6, 8, v6
	;; [unrolled: 1-line block ×3, first 2 shown]
	v_cmp_lt_u32_e32 vcc_lo, 22, v5
	s_or_b32 s5, vcc_lo, s5
	s_waitcnt vmcnt(1) lgkmcnt(0)
	v_mul_f32_e32 v111, v108, v109
	v_mul_f32_e32 v109, v107, v109
	s_waitcnt vmcnt(0)
	v_fma_f32 v107, v107, v110, -v111
	v_fmac_f32_e32 v109, v108, v110
	v_add_f32_e32 v8, v8, v107
	v_add_f32_e32 v2, v2, v109
	s_andn2_b32 exec_lo, exec_lo, s5
	s_cbranch_execnz .LBB112_109
; %bb.110:
	s_or_b32 exec_lo, exec_lo, s5
	v_mov_b32_e32 v5, 0
	ds_read_b64 v[5:6], v5 offset:192
	s_waitcnt lgkmcnt(0)
	v_mul_f32_e32 v7, v2, v6
	v_mul_f32_e32 v6, v8, v6
	v_fma_f32 v7, v8, v5, -v7
	v_fmac_f32_e32 v6, v2, v5
	buffer_store_dword v7, off, s[0:3], 0 offset:192
	buffer_store_dword v6, off, s[0:3], 0 offset:196
.LBB112_111:
	s_or_b32 exec_lo, exec_lo, s4
	s_waitcnt_vscnt null, 0x0
	s_barrier
	buffer_gl0_inv
	s_clause 0x1
	buffer_load_dword v5, off, s[0:3], 0 offset:200
	buffer_load_dword v6, off, s[0:3], 0 offset:204
	s_mov_b32 s4, exec_lo
	s_waitcnt vmcnt(0)
	ds_write_b64 v4, v[5:6]
	s_waitcnt lgkmcnt(0)
	s_barrier
	buffer_gl0_inv
	v_cmpx_gt_u32_e32 25, v0
	s_cbranch_execz .LBB112_115
; %bb.112:
	v_add_nc_u32_e32 v5, -1, v0
	v_add_nc_u32_e32 v6, 0x190, v3
	v_mov_b32_e32 v7, v3
	v_mov_b32_e32 v2, 0
	;; [unrolled: 1-line block ×3, first 2 shown]
	s_mov_b32 s5, 0
	.p2align	6
.LBB112_113:                            ; =>This Inner Loop Header: Depth=1
	s_clause 0x1
	buffer_load_dword v109, v7, s[0:3], 0 offen offset:4
	buffer_load_dword v110, v7, s[0:3], 0 offen
	ds_read_b64 v[107:108], v6
	v_add_nc_u32_e32 v5, 1, v5
	v_add_nc_u32_e32 v6, 8, v6
	;; [unrolled: 1-line block ×3, first 2 shown]
	v_cmp_lt_u32_e32 vcc_lo, 23, v5
	s_or_b32 s5, vcc_lo, s5
	s_waitcnt vmcnt(1) lgkmcnt(0)
	v_mul_f32_e32 v111, v108, v109
	v_mul_f32_e32 v109, v107, v109
	s_waitcnt vmcnt(0)
	v_fma_f32 v107, v107, v110, -v111
	v_fmac_f32_e32 v109, v108, v110
	v_add_f32_e32 v8, v8, v107
	v_add_f32_e32 v2, v2, v109
	s_andn2_b32 exec_lo, exec_lo, s5
	s_cbranch_execnz .LBB112_113
; %bb.114:
	s_or_b32 exec_lo, exec_lo, s5
	v_mov_b32_e32 v5, 0
	ds_read_b64 v[5:6], v5 offset:200
	s_waitcnt lgkmcnt(0)
	v_mul_f32_e32 v7, v2, v6
	v_mul_f32_e32 v6, v8, v6
	v_fma_f32 v7, v8, v5, -v7
	v_fmac_f32_e32 v6, v2, v5
	buffer_store_dword v7, off, s[0:3], 0 offset:200
	buffer_store_dword v6, off, s[0:3], 0 offset:204
.LBB112_115:
	s_or_b32 exec_lo, exec_lo, s4
	s_waitcnt_vscnt null, 0x0
	s_barrier
	buffer_gl0_inv
	s_clause 0x1
	buffer_load_dword v5, off, s[0:3], 0 offset:208
	buffer_load_dword v6, off, s[0:3], 0 offset:212
	s_mov_b32 s4, exec_lo
	s_waitcnt vmcnt(0)
	ds_write_b64 v4, v[5:6]
	s_waitcnt lgkmcnt(0)
	s_barrier
	buffer_gl0_inv
	v_cmpx_gt_u32_e32 26, v0
	s_cbranch_execz .LBB112_119
; %bb.116:
	v_add_nc_u32_e32 v5, -1, v0
	v_add_nc_u32_e32 v6, 0x190, v3
	v_mov_b32_e32 v7, v3
	v_mov_b32_e32 v2, 0
	;; [unrolled: 1-line block ×3, first 2 shown]
	s_mov_b32 s5, 0
	.p2align	6
.LBB112_117:                            ; =>This Inner Loop Header: Depth=1
	s_clause 0x1
	buffer_load_dword v109, v7, s[0:3], 0 offen offset:4
	buffer_load_dword v110, v7, s[0:3], 0 offen
	ds_read_b64 v[107:108], v6
	v_add_nc_u32_e32 v5, 1, v5
	v_add_nc_u32_e32 v6, 8, v6
	;; [unrolled: 1-line block ×3, first 2 shown]
	v_cmp_lt_u32_e32 vcc_lo, 24, v5
	s_or_b32 s5, vcc_lo, s5
	s_waitcnt vmcnt(1) lgkmcnt(0)
	v_mul_f32_e32 v111, v108, v109
	v_mul_f32_e32 v109, v107, v109
	s_waitcnt vmcnt(0)
	v_fma_f32 v107, v107, v110, -v111
	v_fmac_f32_e32 v109, v108, v110
	v_add_f32_e32 v8, v8, v107
	v_add_f32_e32 v2, v2, v109
	s_andn2_b32 exec_lo, exec_lo, s5
	s_cbranch_execnz .LBB112_117
; %bb.118:
	s_or_b32 exec_lo, exec_lo, s5
	v_mov_b32_e32 v5, 0
	ds_read_b64 v[5:6], v5 offset:208
	s_waitcnt lgkmcnt(0)
	v_mul_f32_e32 v7, v2, v6
	v_mul_f32_e32 v6, v8, v6
	v_fma_f32 v7, v8, v5, -v7
	v_fmac_f32_e32 v6, v2, v5
	buffer_store_dword v7, off, s[0:3], 0 offset:208
	buffer_store_dword v6, off, s[0:3], 0 offset:212
.LBB112_119:
	s_or_b32 exec_lo, exec_lo, s4
	s_waitcnt_vscnt null, 0x0
	s_barrier
	buffer_gl0_inv
	s_clause 0x1
	buffer_load_dword v5, off, s[0:3], 0 offset:216
	buffer_load_dword v6, off, s[0:3], 0 offset:220
	s_mov_b32 s4, exec_lo
	s_waitcnt vmcnt(0)
	ds_write_b64 v4, v[5:6]
	s_waitcnt lgkmcnt(0)
	s_barrier
	buffer_gl0_inv
	v_cmpx_gt_u32_e32 27, v0
	s_cbranch_execz .LBB112_123
; %bb.120:
	v_add_nc_u32_e32 v5, -1, v0
	v_add_nc_u32_e32 v6, 0x190, v3
	v_mov_b32_e32 v7, v3
	v_mov_b32_e32 v2, 0
	;; [unrolled: 1-line block ×3, first 2 shown]
	s_mov_b32 s5, 0
	.p2align	6
.LBB112_121:                            ; =>This Inner Loop Header: Depth=1
	s_clause 0x1
	buffer_load_dword v109, v7, s[0:3], 0 offen offset:4
	buffer_load_dword v110, v7, s[0:3], 0 offen
	ds_read_b64 v[107:108], v6
	v_add_nc_u32_e32 v5, 1, v5
	v_add_nc_u32_e32 v6, 8, v6
	;; [unrolled: 1-line block ×3, first 2 shown]
	v_cmp_lt_u32_e32 vcc_lo, 25, v5
	s_or_b32 s5, vcc_lo, s5
	s_waitcnt vmcnt(1) lgkmcnt(0)
	v_mul_f32_e32 v111, v108, v109
	v_mul_f32_e32 v109, v107, v109
	s_waitcnt vmcnt(0)
	v_fma_f32 v107, v107, v110, -v111
	v_fmac_f32_e32 v109, v108, v110
	v_add_f32_e32 v8, v8, v107
	v_add_f32_e32 v2, v2, v109
	s_andn2_b32 exec_lo, exec_lo, s5
	s_cbranch_execnz .LBB112_121
; %bb.122:
	s_or_b32 exec_lo, exec_lo, s5
	v_mov_b32_e32 v5, 0
	ds_read_b64 v[5:6], v5 offset:216
	s_waitcnt lgkmcnt(0)
	v_mul_f32_e32 v7, v2, v6
	v_mul_f32_e32 v6, v8, v6
	v_fma_f32 v7, v8, v5, -v7
	v_fmac_f32_e32 v6, v2, v5
	buffer_store_dword v7, off, s[0:3], 0 offset:216
	buffer_store_dword v6, off, s[0:3], 0 offset:220
.LBB112_123:
	s_or_b32 exec_lo, exec_lo, s4
	s_waitcnt_vscnt null, 0x0
	s_barrier
	buffer_gl0_inv
	s_clause 0x1
	buffer_load_dword v5, off, s[0:3], 0 offset:224
	buffer_load_dword v6, off, s[0:3], 0 offset:228
	s_mov_b32 s4, exec_lo
	s_waitcnt vmcnt(0)
	ds_write_b64 v4, v[5:6]
	s_waitcnt lgkmcnt(0)
	s_barrier
	buffer_gl0_inv
	v_cmpx_gt_u32_e32 28, v0
	s_cbranch_execz .LBB112_127
; %bb.124:
	v_add_nc_u32_e32 v5, -1, v0
	v_add_nc_u32_e32 v6, 0x190, v3
	v_mov_b32_e32 v7, v3
	v_mov_b32_e32 v2, 0
	;; [unrolled: 1-line block ×3, first 2 shown]
	s_mov_b32 s5, 0
	.p2align	6
.LBB112_125:                            ; =>This Inner Loop Header: Depth=1
	s_clause 0x1
	buffer_load_dword v109, v7, s[0:3], 0 offen offset:4
	buffer_load_dword v110, v7, s[0:3], 0 offen
	ds_read_b64 v[107:108], v6
	v_add_nc_u32_e32 v5, 1, v5
	v_add_nc_u32_e32 v6, 8, v6
	;; [unrolled: 1-line block ×3, first 2 shown]
	v_cmp_lt_u32_e32 vcc_lo, 26, v5
	s_or_b32 s5, vcc_lo, s5
	s_waitcnt vmcnt(1) lgkmcnt(0)
	v_mul_f32_e32 v111, v108, v109
	v_mul_f32_e32 v109, v107, v109
	s_waitcnt vmcnt(0)
	v_fma_f32 v107, v107, v110, -v111
	v_fmac_f32_e32 v109, v108, v110
	v_add_f32_e32 v8, v8, v107
	v_add_f32_e32 v2, v2, v109
	s_andn2_b32 exec_lo, exec_lo, s5
	s_cbranch_execnz .LBB112_125
; %bb.126:
	s_or_b32 exec_lo, exec_lo, s5
	v_mov_b32_e32 v5, 0
	ds_read_b64 v[5:6], v5 offset:224
	s_waitcnt lgkmcnt(0)
	v_mul_f32_e32 v7, v2, v6
	v_mul_f32_e32 v6, v8, v6
	v_fma_f32 v7, v8, v5, -v7
	v_fmac_f32_e32 v6, v2, v5
	buffer_store_dword v7, off, s[0:3], 0 offset:224
	buffer_store_dword v6, off, s[0:3], 0 offset:228
.LBB112_127:
	s_or_b32 exec_lo, exec_lo, s4
	s_waitcnt_vscnt null, 0x0
	s_barrier
	buffer_gl0_inv
	s_clause 0x1
	buffer_load_dword v5, off, s[0:3], 0 offset:232
	buffer_load_dword v6, off, s[0:3], 0 offset:236
	s_mov_b32 s4, exec_lo
	s_waitcnt vmcnt(0)
	ds_write_b64 v4, v[5:6]
	s_waitcnt lgkmcnt(0)
	s_barrier
	buffer_gl0_inv
	v_cmpx_gt_u32_e32 29, v0
	s_cbranch_execz .LBB112_131
; %bb.128:
	v_add_nc_u32_e32 v5, -1, v0
	v_add_nc_u32_e32 v6, 0x190, v3
	v_mov_b32_e32 v7, v3
	v_mov_b32_e32 v2, 0
	;; [unrolled: 1-line block ×3, first 2 shown]
	s_mov_b32 s5, 0
	.p2align	6
.LBB112_129:                            ; =>This Inner Loop Header: Depth=1
	s_clause 0x1
	buffer_load_dword v109, v7, s[0:3], 0 offen offset:4
	buffer_load_dword v110, v7, s[0:3], 0 offen
	ds_read_b64 v[107:108], v6
	v_add_nc_u32_e32 v5, 1, v5
	v_add_nc_u32_e32 v6, 8, v6
	;; [unrolled: 1-line block ×3, first 2 shown]
	v_cmp_lt_u32_e32 vcc_lo, 27, v5
	s_or_b32 s5, vcc_lo, s5
	s_waitcnt vmcnt(1) lgkmcnt(0)
	v_mul_f32_e32 v111, v108, v109
	v_mul_f32_e32 v109, v107, v109
	s_waitcnt vmcnt(0)
	v_fma_f32 v107, v107, v110, -v111
	v_fmac_f32_e32 v109, v108, v110
	v_add_f32_e32 v8, v8, v107
	v_add_f32_e32 v2, v2, v109
	s_andn2_b32 exec_lo, exec_lo, s5
	s_cbranch_execnz .LBB112_129
; %bb.130:
	s_or_b32 exec_lo, exec_lo, s5
	v_mov_b32_e32 v5, 0
	ds_read_b64 v[5:6], v5 offset:232
	s_waitcnt lgkmcnt(0)
	v_mul_f32_e32 v7, v2, v6
	v_mul_f32_e32 v6, v8, v6
	v_fma_f32 v7, v8, v5, -v7
	v_fmac_f32_e32 v6, v2, v5
	buffer_store_dword v7, off, s[0:3], 0 offset:232
	buffer_store_dword v6, off, s[0:3], 0 offset:236
.LBB112_131:
	s_or_b32 exec_lo, exec_lo, s4
	s_waitcnt_vscnt null, 0x0
	s_barrier
	buffer_gl0_inv
	s_clause 0x1
	buffer_load_dword v5, off, s[0:3], 0 offset:240
	buffer_load_dword v6, off, s[0:3], 0 offset:244
	s_mov_b32 s4, exec_lo
	s_waitcnt vmcnt(0)
	ds_write_b64 v4, v[5:6]
	s_waitcnt lgkmcnt(0)
	s_barrier
	buffer_gl0_inv
	v_cmpx_gt_u32_e32 30, v0
	s_cbranch_execz .LBB112_135
; %bb.132:
	v_add_nc_u32_e32 v5, -1, v0
	v_add_nc_u32_e32 v6, 0x190, v3
	v_mov_b32_e32 v7, v3
	v_mov_b32_e32 v2, 0
	;; [unrolled: 1-line block ×3, first 2 shown]
	s_mov_b32 s5, 0
	.p2align	6
.LBB112_133:                            ; =>This Inner Loop Header: Depth=1
	s_clause 0x1
	buffer_load_dword v109, v7, s[0:3], 0 offen offset:4
	buffer_load_dword v110, v7, s[0:3], 0 offen
	ds_read_b64 v[107:108], v6
	v_add_nc_u32_e32 v5, 1, v5
	v_add_nc_u32_e32 v6, 8, v6
	;; [unrolled: 1-line block ×3, first 2 shown]
	v_cmp_lt_u32_e32 vcc_lo, 28, v5
	s_or_b32 s5, vcc_lo, s5
	s_waitcnt vmcnt(1) lgkmcnt(0)
	v_mul_f32_e32 v111, v108, v109
	v_mul_f32_e32 v109, v107, v109
	s_waitcnt vmcnt(0)
	v_fma_f32 v107, v107, v110, -v111
	v_fmac_f32_e32 v109, v108, v110
	v_add_f32_e32 v8, v8, v107
	v_add_f32_e32 v2, v2, v109
	s_andn2_b32 exec_lo, exec_lo, s5
	s_cbranch_execnz .LBB112_133
; %bb.134:
	s_or_b32 exec_lo, exec_lo, s5
	v_mov_b32_e32 v5, 0
	ds_read_b64 v[5:6], v5 offset:240
	s_waitcnt lgkmcnt(0)
	v_mul_f32_e32 v7, v2, v6
	v_mul_f32_e32 v6, v8, v6
	v_fma_f32 v7, v8, v5, -v7
	v_fmac_f32_e32 v6, v2, v5
	buffer_store_dword v7, off, s[0:3], 0 offset:240
	buffer_store_dword v6, off, s[0:3], 0 offset:244
.LBB112_135:
	s_or_b32 exec_lo, exec_lo, s4
	s_waitcnt_vscnt null, 0x0
	s_barrier
	buffer_gl0_inv
	s_clause 0x1
	buffer_load_dword v5, off, s[0:3], 0 offset:248
	buffer_load_dword v6, off, s[0:3], 0 offset:252
	s_mov_b32 s4, exec_lo
	s_waitcnt vmcnt(0)
	ds_write_b64 v4, v[5:6]
	s_waitcnt lgkmcnt(0)
	s_barrier
	buffer_gl0_inv
	v_cmpx_gt_u32_e32 31, v0
	s_cbranch_execz .LBB112_139
; %bb.136:
	v_add_nc_u32_e32 v5, -1, v0
	v_add_nc_u32_e32 v6, 0x190, v3
	v_mov_b32_e32 v7, v3
	v_mov_b32_e32 v2, 0
	;; [unrolled: 1-line block ×3, first 2 shown]
	s_mov_b32 s5, 0
	.p2align	6
.LBB112_137:                            ; =>This Inner Loop Header: Depth=1
	s_clause 0x1
	buffer_load_dword v109, v7, s[0:3], 0 offen offset:4
	buffer_load_dword v110, v7, s[0:3], 0 offen
	ds_read_b64 v[107:108], v6
	v_add_nc_u32_e32 v5, 1, v5
	v_add_nc_u32_e32 v6, 8, v6
	;; [unrolled: 1-line block ×3, first 2 shown]
	v_cmp_lt_u32_e32 vcc_lo, 29, v5
	s_or_b32 s5, vcc_lo, s5
	s_waitcnt vmcnt(1) lgkmcnt(0)
	v_mul_f32_e32 v111, v108, v109
	v_mul_f32_e32 v109, v107, v109
	s_waitcnt vmcnt(0)
	v_fma_f32 v107, v107, v110, -v111
	v_fmac_f32_e32 v109, v108, v110
	v_add_f32_e32 v8, v8, v107
	v_add_f32_e32 v2, v2, v109
	s_andn2_b32 exec_lo, exec_lo, s5
	s_cbranch_execnz .LBB112_137
; %bb.138:
	s_or_b32 exec_lo, exec_lo, s5
	v_mov_b32_e32 v5, 0
	ds_read_b64 v[5:6], v5 offset:248
	s_waitcnt lgkmcnt(0)
	v_mul_f32_e32 v7, v2, v6
	v_mul_f32_e32 v6, v8, v6
	v_fma_f32 v7, v8, v5, -v7
	v_fmac_f32_e32 v6, v2, v5
	buffer_store_dword v7, off, s[0:3], 0 offset:248
	buffer_store_dword v6, off, s[0:3], 0 offset:252
.LBB112_139:
	s_or_b32 exec_lo, exec_lo, s4
	s_waitcnt_vscnt null, 0x0
	s_barrier
	buffer_gl0_inv
	s_clause 0x1
	buffer_load_dword v5, off, s[0:3], 0 offset:256
	buffer_load_dword v6, off, s[0:3], 0 offset:260
	s_mov_b32 s4, exec_lo
	s_waitcnt vmcnt(0)
	ds_write_b64 v4, v[5:6]
	s_waitcnt lgkmcnt(0)
	s_barrier
	buffer_gl0_inv
	v_cmpx_gt_u32_e32 32, v0
	s_cbranch_execz .LBB112_143
; %bb.140:
	v_add_nc_u32_e32 v5, -1, v0
	v_add_nc_u32_e32 v6, 0x190, v3
	v_mov_b32_e32 v7, v3
	v_mov_b32_e32 v2, 0
	;; [unrolled: 1-line block ×3, first 2 shown]
	s_mov_b32 s5, 0
	.p2align	6
.LBB112_141:                            ; =>This Inner Loop Header: Depth=1
	s_clause 0x1
	buffer_load_dword v109, v7, s[0:3], 0 offen offset:4
	buffer_load_dword v110, v7, s[0:3], 0 offen
	ds_read_b64 v[107:108], v6
	v_add_nc_u32_e32 v5, 1, v5
	v_add_nc_u32_e32 v6, 8, v6
	v_add_nc_u32_e32 v7, 8, v7
	v_cmp_lt_u32_e32 vcc_lo, 30, v5
	s_or_b32 s5, vcc_lo, s5
	s_waitcnt vmcnt(1) lgkmcnt(0)
	v_mul_f32_e32 v111, v108, v109
	v_mul_f32_e32 v109, v107, v109
	s_waitcnt vmcnt(0)
	v_fma_f32 v107, v107, v110, -v111
	v_fmac_f32_e32 v109, v108, v110
	v_add_f32_e32 v8, v8, v107
	v_add_f32_e32 v2, v2, v109
	s_andn2_b32 exec_lo, exec_lo, s5
	s_cbranch_execnz .LBB112_141
; %bb.142:
	s_or_b32 exec_lo, exec_lo, s5
	v_mov_b32_e32 v5, 0
	ds_read_b64 v[5:6], v5 offset:256
	s_waitcnt lgkmcnt(0)
	v_mul_f32_e32 v7, v2, v6
	v_mul_f32_e32 v6, v8, v6
	v_fma_f32 v7, v8, v5, -v7
	v_fmac_f32_e32 v6, v2, v5
	buffer_store_dword v7, off, s[0:3], 0 offset:256
	buffer_store_dword v6, off, s[0:3], 0 offset:260
.LBB112_143:
	s_or_b32 exec_lo, exec_lo, s4
	s_waitcnt_vscnt null, 0x0
	s_barrier
	buffer_gl0_inv
	s_clause 0x1
	buffer_load_dword v5, off, s[0:3], 0 offset:264
	buffer_load_dword v6, off, s[0:3], 0 offset:268
	s_mov_b32 s4, exec_lo
	s_waitcnt vmcnt(0)
	ds_write_b64 v4, v[5:6]
	s_waitcnt lgkmcnt(0)
	s_barrier
	buffer_gl0_inv
	v_cmpx_gt_u32_e32 33, v0
	s_cbranch_execz .LBB112_147
; %bb.144:
	v_add_nc_u32_e32 v5, -1, v0
	v_add_nc_u32_e32 v6, 0x190, v3
	v_mov_b32_e32 v7, v3
	v_mov_b32_e32 v2, 0
	;; [unrolled: 1-line block ×3, first 2 shown]
	s_mov_b32 s5, 0
	.p2align	6
.LBB112_145:                            ; =>This Inner Loop Header: Depth=1
	s_clause 0x1
	buffer_load_dword v109, v7, s[0:3], 0 offen offset:4
	buffer_load_dword v110, v7, s[0:3], 0 offen
	ds_read_b64 v[107:108], v6
	v_add_nc_u32_e32 v5, 1, v5
	v_add_nc_u32_e32 v6, 8, v6
	;; [unrolled: 1-line block ×3, first 2 shown]
	v_cmp_lt_u32_e32 vcc_lo, 31, v5
	s_or_b32 s5, vcc_lo, s5
	s_waitcnt vmcnt(1) lgkmcnt(0)
	v_mul_f32_e32 v111, v108, v109
	v_mul_f32_e32 v109, v107, v109
	s_waitcnt vmcnt(0)
	v_fma_f32 v107, v107, v110, -v111
	v_fmac_f32_e32 v109, v108, v110
	v_add_f32_e32 v8, v8, v107
	v_add_f32_e32 v2, v2, v109
	s_andn2_b32 exec_lo, exec_lo, s5
	s_cbranch_execnz .LBB112_145
; %bb.146:
	s_or_b32 exec_lo, exec_lo, s5
	v_mov_b32_e32 v5, 0
	ds_read_b64 v[5:6], v5 offset:264
	s_waitcnt lgkmcnt(0)
	v_mul_f32_e32 v7, v2, v6
	v_mul_f32_e32 v6, v8, v6
	v_fma_f32 v7, v8, v5, -v7
	v_fmac_f32_e32 v6, v2, v5
	buffer_store_dword v7, off, s[0:3], 0 offset:264
	buffer_store_dword v6, off, s[0:3], 0 offset:268
.LBB112_147:
	s_or_b32 exec_lo, exec_lo, s4
	s_waitcnt_vscnt null, 0x0
	s_barrier
	buffer_gl0_inv
	s_clause 0x1
	buffer_load_dword v5, off, s[0:3], 0 offset:272
	buffer_load_dword v6, off, s[0:3], 0 offset:276
	s_mov_b32 s4, exec_lo
	s_waitcnt vmcnt(0)
	ds_write_b64 v4, v[5:6]
	s_waitcnt lgkmcnt(0)
	s_barrier
	buffer_gl0_inv
	v_cmpx_gt_u32_e32 34, v0
	s_cbranch_execz .LBB112_151
; %bb.148:
	v_add_nc_u32_e32 v5, -1, v0
	v_add_nc_u32_e32 v6, 0x190, v3
	v_mov_b32_e32 v7, v3
	v_mov_b32_e32 v2, 0
	;; [unrolled: 1-line block ×3, first 2 shown]
	s_mov_b32 s5, 0
	.p2align	6
.LBB112_149:                            ; =>This Inner Loop Header: Depth=1
	s_clause 0x1
	buffer_load_dword v109, v7, s[0:3], 0 offen offset:4
	buffer_load_dword v110, v7, s[0:3], 0 offen
	ds_read_b64 v[107:108], v6
	v_add_nc_u32_e32 v5, 1, v5
	v_add_nc_u32_e32 v6, 8, v6
	;; [unrolled: 1-line block ×3, first 2 shown]
	v_cmp_lt_u32_e32 vcc_lo, 32, v5
	s_or_b32 s5, vcc_lo, s5
	s_waitcnt vmcnt(1) lgkmcnt(0)
	v_mul_f32_e32 v111, v108, v109
	v_mul_f32_e32 v109, v107, v109
	s_waitcnt vmcnt(0)
	v_fma_f32 v107, v107, v110, -v111
	v_fmac_f32_e32 v109, v108, v110
	v_add_f32_e32 v8, v8, v107
	v_add_f32_e32 v2, v2, v109
	s_andn2_b32 exec_lo, exec_lo, s5
	s_cbranch_execnz .LBB112_149
; %bb.150:
	s_or_b32 exec_lo, exec_lo, s5
	v_mov_b32_e32 v5, 0
	ds_read_b64 v[5:6], v5 offset:272
	s_waitcnt lgkmcnt(0)
	v_mul_f32_e32 v7, v2, v6
	v_mul_f32_e32 v6, v8, v6
	v_fma_f32 v7, v8, v5, -v7
	v_fmac_f32_e32 v6, v2, v5
	buffer_store_dword v7, off, s[0:3], 0 offset:272
	buffer_store_dword v6, off, s[0:3], 0 offset:276
.LBB112_151:
	s_or_b32 exec_lo, exec_lo, s4
	s_waitcnt_vscnt null, 0x0
	s_barrier
	buffer_gl0_inv
	s_clause 0x1
	buffer_load_dword v5, off, s[0:3], 0 offset:280
	buffer_load_dword v6, off, s[0:3], 0 offset:284
	s_mov_b32 s4, exec_lo
	s_waitcnt vmcnt(0)
	ds_write_b64 v4, v[5:6]
	s_waitcnt lgkmcnt(0)
	s_barrier
	buffer_gl0_inv
	v_cmpx_gt_u32_e32 35, v0
	s_cbranch_execz .LBB112_155
; %bb.152:
	v_add_nc_u32_e32 v5, -1, v0
	v_add_nc_u32_e32 v6, 0x190, v3
	v_mov_b32_e32 v7, v3
	v_mov_b32_e32 v2, 0
	;; [unrolled: 1-line block ×3, first 2 shown]
	s_mov_b32 s5, 0
	.p2align	6
.LBB112_153:                            ; =>This Inner Loop Header: Depth=1
	s_clause 0x1
	buffer_load_dword v109, v7, s[0:3], 0 offen offset:4
	buffer_load_dword v110, v7, s[0:3], 0 offen
	ds_read_b64 v[107:108], v6
	v_add_nc_u32_e32 v5, 1, v5
	v_add_nc_u32_e32 v6, 8, v6
	;; [unrolled: 1-line block ×3, first 2 shown]
	v_cmp_lt_u32_e32 vcc_lo, 33, v5
	s_or_b32 s5, vcc_lo, s5
	s_waitcnt vmcnt(1) lgkmcnt(0)
	v_mul_f32_e32 v111, v108, v109
	v_mul_f32_e32 v109, v107, v109
	s_waitcnt vmcnt(0)
	v_fma_f32 v107, v107, v110, -v111
	v_fmac_f32_e32 v109, v108, v110
	v_add_f32_e32 v8, v8, v107
	v_add_f32_e32 v2, v2, v109
	s_andn2_b32 exec_lo, exec_lo, s5
	s_cbranch_execnz .LBB112_153
; %bb.154:
	s_or_b32 exec_lo, exec_lo, s5
	v_mov_b32_e32 v5, 0
	ds_read_b64 v[5:6], v5 offset:280
	s_waitcnt lgkmcnt(0)
	v_mul_f32_e32 v7, v2, v6
	v_mul_f32_e32 v6, v8, v6
	v_fma_f32 v7, v8, v5, -v7
	v_fmac_f32_e32 v6, v2, v5
	buffer_store_dword v7, off, s[0:3], 0 offset:280
	buffer_store_dword v6, off, s[0:3], 0 offset:284
.LBB112_155:
	s_or_b32 exec_lo, exec_lo, s4
	s_waitcnt_vscnt null, 0x0
	s_barrier
	buffer_gl0_inv
	s_clause 0x1
	buffer_load_dword v5, off, s[0:3], 0 offset:288
	buffer_load_dword v6, off, s[0:3], 0 offset:292
	s_mov_b32 s4, exec_lo
	s_waitcnt vmcnt(0)
	ds_write_b64 v4, v[5:6]
	s_waitcnt lgkmcnt(0)
	s_barrier
	buffer_gl0_inv
	v_cmpx_gt_u32_e32 36, v0
	s_cbranch_execz .LBB112_159
; %bb.156:
	v_add_nc_u32_e32 v5, -1, v0
	v_add_nc_u32_e32 v6, 0x190, v3
	v_mov_b32_e32 v7, v3
	v_mov_b32_e32 v2, 0
	;; [unrolled: 1-line block ×3, first 2 shown]
	s_mov_b32 s5, 0
	.p2align	6
.LBB112_157:                            ; =>This Inner Loop Header: Depth=1
	s_clause 0x1
	buffer_load_dword v109, v7, s[0:3], 0 offen offset:4
	buffer_load_dword v110, v7, s[0:3], 0 offen
	ds_read_b64 v[107:108], v6
	v_add_nc_u32_e32 v5, 1, v5
	v_add_nc_u32_e32 v6, 8, v6
	;; [unrolled: 1-line block ×3, first 2 shown]
	v_cmp_lt_u32_e32 vcc_lo, 34, v5
	s_or_b32 s5, vcc_lo, s5
	s_waitcnt vmcnt(1) lgkmcnt(0)
	v_mul_f32_e32 v111, v108, v109
	v_mul_f32_e32 v109, v107, v109
	s_waitcnt vmcnt(0)
	v_fma_f32 v107, v107, v110, -v111
	v_fmac_f32_e32 v109, v108, v110
	v_add_f32_e32 v8, v8, v107
	v_add_f32_e32 v2, v2, v109
	s_andn2_b32 exec_lo, exec_lo, s5
	s_cbranch_execnz .LBB112_157
; %bb.158:
	s_or_b32 exec_lo, exec_lo, s5
	v_mov_b32_e32 v5, 0
	ds_read_b64 v[5:6], v5 offset:288
	s_waitcnt lgkmcnt(0)
	v_mul_f32_e32 v7, v2, v6
	v_mul_f32_e32 v6, v8, v6
	v_fma_f32 v7, v8, v5, -v7
	v_fmac_f32_e32 v6, v2, v5
	buffer_store_dword v7, off, s[0:3], 0 offset:288
	buffer_store_dword v6, off, s[0:3], 0 offset:292
.LBB112_159:
	s_or_b32 exec_lo, exec_lo, s4
	s_waitcnt_vscnt null, 0x0
	s_barrier
	buffer_gl0_inv
	s_clause 0x1
	buffer_load_dword v5, off, s[0:3], 0 offset:296
	buffer_load_dword v6, off, s[0:3], 0 offset:300
	s_mov_b32 s4, exec_lo
	s_waitcnt vmcnt(0)
	ds_write_b64 v4, v[5:6]
	s_waitcnt lgkmcnt(0)
	s_barrier
	buffer_gl0_inv
	v_cmpx_gt_u32_e32 37, v0
	s_cbranch_execz .LBB112_163
; %bb.160:
	v_add_nc_u32_e32 v5, -1, v0
	v_add_nc_u32_e32 v6, 0x190, v3
	v_mov_b32_e32 v7, v3
	v_mov_b32_e32 v2, 0
	;; [unrolled: 1-line block ×3, first 2 shown]
	s_mov_b32 s5, 0
	.p2align	6
.LBB112_161:                            ; =>This Inner Loop Header: Depth=1
	s_clause 0x1
	buffer_load_dword v109, v7, s[0:3], 0 offen offset:4
	buffer_load_dword v110, v7, s[0:3], 0 offen
	ds_read_b64 v[107:108], v6
	v_add_nc_u32_e32 v5, 1, v5
	v_add_nc_u32_e32 v6, 8, v6
	;; [unrolled: 1-line block ×3, first 2 shown]
	v_cmp_lt_u32_e32 vcc_lo, 35, v5
	s_or_b32 s5, vcc_lo, s5
	s_waitcnt vmcnt(1) lgkmcnt(0)
	v_mul_f32_e32 v111, v108, v109
	v_mul_f32_e32 v109, v107, v109
	s_waitcnt vmcnt(0)
	v_fma_f32 v107, v107, v110, -v111
	v_fmac_f32_e32 v109, v108, v110
	v_add_f32_e32 v8, v8, v107
	v_add_f32_e32 v2, v2, v109
	s_andn2_b32 exec_lo, exec_lo, s5
	s_cbranch_execnz .LBB112_161
; %bb.162:
	s_or_b32 exec_lo, exec_lo, s5
	v_mov_b32_e32 v5, 0
	ds_read_b64 v[5:6], v5 offset:296
	s_waitcnt lgkmcnt(0)
	v_mul_f32_e32 v7, v2, v6
	v_mul_f32_e32 v6, v8, v6
	v_fma_f32 v7, v8, v5, -v7
	v_fmac_f32_e32 v6, v2, v5
	buffer_store_dword v7, off, s[0:3], 0 offset:296
	buffer_store_dword v6, off, s[0:3], 0 offset:300
.LBB112_163:
	s_or_b32 exec_lo, exec_lo, s4
	s_waitcnt_vscnt null, 0x0
	s_barrier
	buffer_gl0_inv
	s_clause 0x1
	buffer_load_dword v5, off, s[0:3], 0 offset:304
	buffer_load_dword v6, off, s[0:3], 0 offset:308
	s_mov_b32 s4, exec_lo
	s_waitcnt vmcnt(0)
	ds_write_b64 v4, v[5:6]
	s_waitcnt lgkmcnt(0)
	s_barrier
	buffer_gl0_inv
	v_cmpx_gt_u32_e32 38, v0
	s_cbranch_execz .LBB112_167
; %bb.164:
	v_add_nc_u32_e32 v5, -1, v0
	v_add_nc_u32_e32 v6, 0x190, v3
	v_mov_b32_e32 v7, v3
	v_mov_b32_e32 v2, 0
	;; [unrolled: 1-line block ×3, first 2 shown]
	s_mov_b32 s5, 0
	.p2align	6
.LBB112_165:                            ; =>This Inner Loop Header: Depth=1
	s_clause 0x1
	buffer_load_dword v109, v7, s[0:3], 0 offen offset:4
	buffer_load_dword v110, v7, s[0:3], 0 offen
	ds_read_b64 v[107:108], v6
	v_add_nc_u32_e32 v5, 1, v5
	v_add_nc_u32_e32 v6, 8, v6
	v_add_nc_u32_e32 v7, 8, v7
	v_cmp_lt_u32_e32 vcc_lo, 36, v5
	s_or_b32 s5, vcc_lo, s5
	s_waitcnt vmcnt(1) lgkmcnt(0)
	v_mul_f32_e32 v111, v108, v109
	v_mul_f32_e32 v109, v107, v109
	s_waitcnt vmcnt(0)
	v_fma_f32 v107, v107, v110, -v111
	v_fmac_f32_e32 v109, v108, v110
	v_add_f32_e32 v8, v8, v107
	v_add_f32_e32 v2, v2, v109
	s_andn2_b32 exec_lo, exec_lo, s5
	s_cbranch_execnz .LBB112_165
; %bb.166:
	s_or_b32 exec_lo, exec_lo, s5
	v_mov_b32_e32 v5, 0
	ds_read_b64 v[5:6], v5 offset:304
	s_waitcnt lgkmcnt(0)
	v_mul_f32_e32 v7, v2, v6
	v_mul_f32_e32 v6, v8, v6
	v_fma_f32 v7, v8, v5, -v7
	v_fmac_f32_e32 v6, v2, v5
	buffer_store_dword v7, off, s[0:3], 0 offset:304
	buffer_store_dword v6, off, s[0:3], 0 offset:308
.LBB112_167:
	s_or_b32 exec_lo, exec_lo, s4
	s_waitcnt_vscnt null, 0x0
	s_barrier
	buffer_gl0_inv
	s_clause 0x1
	buffer_load_dword v5, off, s[0:3], 0 offset:312
	buffer_load_dword v6, off, s[0:3], 0 offset:316
	s_mov_b32 s4, exec_lo
	s_waitcnt vmcnt(0)
	ds_write_b64 v4, v[5:6]
	s_waitcnt lgkmcnt(0)
	s_barrier
	buffer_gl0_inv
	v_cmpx_gt_u32_e32 39, v0
	s_cbranch_execz .LBB112_171
; %bb.168:
	v_add_nc_u32_e32 v5, -1, v0
	v_add_nc_u32_e32 v6, 0x190, v3
	v_mov_b32_e32 v7, v3
	v_mov_b32_e32 v2, 0
	;; [unrolled: 1-line block ×3, first 2 shown]
	s_mov_b32 s5, 0
	.p2align	6
.LBB112_169:                            ; =>This Inner Loop Header: Depth=1
	s_clause 0x1
	buffer_load_dword v109, v7, s[0:3], 0 offen offset:4
	buffer_load_dword v110, v7, s[0:3], 0 offen
	ds_read_b64 v[107:108], v6
	v_add_nc_u32_e32 v5, 1, v5
	v_add_nc_u32_e32 v6, 8, v6
	;; [unrolled: 1-line block ×3, first 2 shown]
	v_cmp_lt_u32_e32 vcc_lo, 37, v5
	s_or_b32 s5, vcc_lo, s5
	s_waitcnt vmcnt(1) lgkmcnt(0)
	v_mul_f32_e32 v111, v108, v109
	v_mul_f32_e32 v109, v107, v109
	s_waitcnt vmcnt(0)
	v_fma_f32 v107, v107, v110, -v111
	v_fmac_f32_e32 v109, v108, v110
	v_add_f32_e32 v8, v8, v107
	v_add_f32_e32 v2, v2, v109
	s_andn2_b32 exec_lo, exec_lo, s5
	s_cbranch_execnz .LBB112_169
; %bb.170:
	s_or_b32 exec_lo, exec_lo, s5
	v_mov_b32_e32 v5, 0
	ds_read_b64 v[5:6], v5 offset:312
	s_waitcnt lgkmcnt(0)
	v_mul_f32_e32 v7, v2, v6
	v_mul_f32_e32 v6, v8, v6
	v_fma_f32 v7, v8, v5, -v7
	v_fmac_f32_e32 v6, v2, v5
	buffer_store_dword v7, off, s[0:3], 0 offset:312
	buffer_store_dword v6, off, s[0:3], 0 offset:316
.LBB112_171:
	s_or_b32 exec_lo, exec_lo, s4
	s_waitcnt_vscnt null, 0x0
	s_barrier
	buffer_gl0_inv
	s_clause 0x1
	buffer_load_dword v5, off, s[0:3], 0 offset:320
	buffer_load_dword v6, off, s[0:3], 0 offset:324
	s_mov_b32 s4, exec_lo
	s_waitcnt vmcnt(0)
	ds_write_b64 v4, v[5:6]
	s_waitcnt lgkmcnt(0)
	s_barrier
	buffer_gl0_inv
	v_cmpx_gt_u32_e32 40, v0
	s_cbranch_execz .LBB112_175
; %bb.172:
	v_add_nc_u32_e32 v5, -1, v0
	v_add_nc_u32_e32 v6, 0x190, v3
	v_mov_b32_e32 v7, v3
	v_mov_b32_e32 v2, 0
	;; [unrolled: 1-line block ×3, first 2 shown]
	s_mov_b32 s5, 0
	.p2align	6
.LBB112_173:                            ; =>This Inner Loop Header: Depth=1
	s_clause 0x1
	buffer_load_dword v109, v7, s[0:3], 0 offen offset:4
	buffer_load_dword v110, v7, s[0:3], 0 offen
	ds_read_b64 v[107:108], v6
	v_add_nc_u32_e32 v5, 1, v5
	v_add_nc_u32_e32 v6, 8, v6
	;; [unrolled: 1-line block ×3, first 2 shown]
	v_cmp_lt_u32_e32 vcc_lo, 38, v5
	s_or_b32 s5, vcc_lo, s5
	s_waitcnt vmcnt(1) lgkmcnt(0)
	v_mul_f32_e32 v111, v108, v109
	v_mul_f32_e32 v109, v107, v109
	s_waitcnt vmcnt(0)
	v_fma_f32 v107, v107, v110, -v111
	v_fmac_f32_e32 v109, v108, v110
	v_add_f32_e32 v8, v8, v107
	v_add_f32_e32 v2, v2, v109
	s_andn2_b32 exec_lo, exec_lo, s5
	s_cbranch_execnz .LBB112_173
; %bb.174:
	s_or_b32 exec_lo, exec_lo, s5
	v_mov_b32_e32 v5, 0
	ds_read_b64 v[5:6], v5 offset:320
	s_waitcnt lgkmcnt(0)
	v_mul_f32_e32 v7, v2, v6
	v_mul_f32_e32 v6, v8, v6
	v_fma_f32 v7, v8, v5, -v7
	v_fmac_f32_e32 v6, v2, v5
	buffer_store_dword v7, off, s[0:3], 0 offset:320
	buffer_store_dword v6, off, s[0:3], 0 offset:324
.LBB112_175:
	s_or_b32 exec_lo, exec_lo, s4
	s_waitcnt_vscnt null, 0x0
	s_barrier
	buffer_gl0_inv
	s_clause 0x1
	buffer_load_dword v5, off, s[0:3], 0 offset:328
	buffer_load_dword v6, off, s[0:3], 0 offset:332
	s_mov_b32 s4, exec_lo
	s_waitcnt vmcnt(0)
	ds_write_b64 v4, v[5:6]
	s_waitcnt lgkmcnt(0)
	s_barrier
	buffer_gl0_inv
	v_cmpx_gt_u32_e32 41, v0
	s_cbranch_execz .LBB112_179
; %bb.176:
	v_add_nc_u32_e32 v5, -1, v0
	v_add_nc_u32_e32 v6, 0x190, v3
	v_mov_b32_e32 v7, v3
	v_mov_b32_e32 v2, 0
	;; [unrolled: 1-line block ×3, first 2 shown]
	s_mov_b32 s5, 0
	.p2align	6
.LBB112_177:                            ; =>This Inner Loop Header: Depth=1
	s_clause 0x1
	buffer_load_dword v109, v7, s[0:3], 0 offen offset:4
	buffer_load_dword v110, v7, s[0:3], 0 offen
	ds_read_b64 v[107:108], v6
	v_add_nc_u32_e32 v5, 1, v5
	v_add_nc_u32_e32 v6, 8, v6
	;; [unrolled: 1-line block ×3, first 2 shown]
	v_cmp_lt_u32_e32 vcc_lo, 39, v5
	s_or_b32 s5, vcc_lo, s5
	s_waitcnt vmcnt(1) lgkmcnt(0)
	v_mul_f32_e32 v111, v108, v109
	v_mul_f32_e32 v109, v107, v109
	s_waitcnt vmcnt(0)
	v_fma_f32 v107, v107, v110, -v111
	v_fmac_f32_e32 v109, v108, v110
	v_add_f32_e32 v8, v8, v107
	v_add_f32_e32 v2, v2, v109
	s_andn2_b32 exec_lo, exec_lo, s5
	s_cbranch_execnz .LBB112_177
; %bb.178:
	s_or_b32 exec_lo, exec_lo, s5
	v_mov_b32_e32 v5, 0
	ds_read_b64 v[5:6], v5 offset:328
	s_waitcnt lgkmcnt(0)
	v_mul_f32_e32 v7, v2, v6
	v_mul_f32_e32 v6, v8, v6
	v_fma_f32 v7, v8, v5, -v7
	v_fmac_f32_e32 v6, v2, v5
	buffer_store_dword v7, off, s[0:3], 0 offset:328
	buffer_store_dword v6, off, s[0:3], 0 offset:332
.LBB112_179:
	s_or_b32 exec_lo, exec_lo, s4
	s_waitcnt_vscnt null, 0x0
	s_barrier
	buffer_gl0_inv
	s_clause 0x1
	buffer_load_dword v5, off, s[0:3], 0 offset:336
	buffer_load_dword v6, off, s[0:3], 0 offset:340
	s_mov_b32 s4, exec_lo
	s_waitcnt vmcnt(0)
	ds_write_b64 v4, v[5:6]
	s_waitcnt lgkmcnt(0)
	s_barrier
	buffer_gl0_inv
	v_cmpx_gt_u32_e32 42, v0
	s_cbranch_execz .LBB112_183
; %bb.180:
	v_add_nc_u32_e32 v5, -1, v0
	v_add_nc_u32_e32 v6, 0x190, v3
	v_mov_b32_e32 v7, v3
	v_mov_b32_e32 v2, 0
	;; [unrolled: 1-line block ×3, first 2 shown]
	s_mov_b32 s5, 0
	.p2align	6
.LBB112_181:                            ; =>This Inner Loop Header: Depth=1
	s_clause 0x1
	buffer_load_dword v109, v7, s[0:3], 0 offen offset:4
	buffer_load_dword v110, v7, s[0:3], 0 offen
	ds_read_b64 v[107:108], v6
	v_add_nc_u32_e32 v5, 1, v5
	v_add_nc_u32_e32 v6, 8, v6
	;; [unrolled: 1-line block ×3, first 2 shown]
	v_cmp_lt_u32_e32 vcc_lo, 40, v5
	s_or_b32 s5, vcc_lo, s5
	s_waitcnt vmcnt(1) lgkmcnt(0)
	v_mul_f32_e32 v111, v108, v109
	v_mul_f32_e32 v109, v107, v109
	s_waitcnt vmcnt(0)
	v_fma_f32 v107, v107, v110, -v111
	v_fmac_f32_e32 v109, v108, v110
	v_add_f32_e32 v8, v8, v107
	v_add_f32_e32 v2, v2, v109
	s_andn2_b32 exec_lo, exec_lo, s5
	s_cbranch_execnz .LBB112_181
; %bb.182:
	s_or_b32 exec_lo, exec_lo, s5
	v_mov_b32_e32 v5, 0
	ds_read_b64 v[5:6], v5 offset:336
	s_waitcnt lgkmcnt(0)
	v_mul_f32_e32 v7, v2, v6
	v_mul_f32_e32 v6, v8, v6
	v_fma_f32 v7, v8, v5, -v7
	v_fmac_f32_e32 v6, v2, v5
	buffer_store_dword v7, off, s[0:3], 0 offset:336
	buffer_store_dword v6, off, s[0:3], 0 offset:340
.LBB112_183:
	s_or_b32 exec_lo, exec_lo, s4
	s_waitcnt_vscnt null, 0x0
	s_barrier
	buffer_gl0_inv
	s_clause 0x1
	buffer_load_dword v5, off, s[0:3], 0 offset:344
	buffer_load_dword v6, off, s[0:3], 0 offset:348
	s_mov_b32 s4, exec_lo
	s_waitcnt vmcnt(0)
	ds_write_b64 v4, v[5:6]
	s_waitcnt lgkmcnt(0)
	s_barrier
	buffer_gl0_inv
	v_cmpx_gt_u32_e32 43, v0
	s_cbranch_execz .LBB112_187
; %bb.184:
	v_add_nc_u32_e32 v5, -1, v0
	v_add_nc_u32_e32 v6, 0x190, v3
	v_mov_b32_e32 v7, v3
	v_mov_b32_e32 v2, 0
	;; [unrolled: 1-line block ×3, first 2 shown]
	s_mov_b32 s5, 0
	.p2align	6
.LBB112_185:                            ; =>This Inner Loop Header: Depth=1
	s_clause 0x1
	buffer_load_dword v109, v7, s[0:3], 0 offen offset:4
	buffer_load_dword v110, v7, s[0:3], 0 offen
	ds_read_b64 v[107:108], v6
	v_add_nc_u32_e32 v5, 1, v5
	v_add_nc_u32_e32 v6, 8, v6
	;; [unrolled: 1-line block ×3, first 2 shown]
	v_cmp_lt_u32_e32 vcc_lo, 41, v5
	s_or_b32 s5, vcc_lo, s5
	s_waitcnt vmcnt(1) lgkmcnt(0)
	v_mul_f32_e32 v111, v108, v109
	v_mul_f32_e32 v109, v107, v109
	s_waitcnt vmcnt(0)
	v_fma_f32 v107, v107, v110, -v111
	v_fmac_f32_e32 v109, v108, v110
	v_add_f32_e32 v8, v8, v107
	v_add_f32_e32 v2, v2, v109
	s_andn2_b32 exec_lo, exec_lo, s5
	s_cbranch_execnz .LBB112_185
; %bb.186:
	s_or_b32 exec_lo, exec_lo, s5
	v_mov_b32_e32 v5, 0
	ds_read_b64 v[5:6], v5 offset:344
	s_waitcnt lgkmcnt(0)
	v_mul_f32_e32 v7, v2, v6
	v_mul_f32_e32 v6, v8, v6
	v_fma_f32 v7, v8, v5, -v7
	v_fmac_f32_e32 v6, v2, v5
	buffer_store_dword v7, off, s[0:3], 0 offset:344
	buffer_store_dword v6, off, s[0:3], 0 offset:348
.LBB112_187:
	s_or_b32 exec_lo, exec_lo, s4
	s_waitcnt_vscnt null, 0x0
	s_barrier
	buffer_gl0_inv
	s_clause 0x1
	buffer_load_dword v5, off, s[0:3], 0 offset:352
	buffer_load_dword v6, off, s[0:3], 0 offset:356
	s_mov_b32 s4, exec_lo
	s_waitcnt vmcnt(0)
	ds_write_b64 v4, v[5:6]
	s_waitcnt lgkmcnt(0)
	s_barrier
	buffer_gl0_inv
	v_cmpx_gt_u32_e32 44, v0
	s_cbranch_execz .LBB112_191
; %bb.188:
	v_add_nc_u32_e32 v5, -1, v0
	v_add_nc_u32_e32 v6, 0x190, v3
	v_mov_b32_e32 v7, v3
	v_mov_b32_e32 v2, 0
	;; [unrolled: 1-line block ×3, first 2 shown]
	s_mov_b32 s5, 0
	.p2align	6
.LBB112_189:                            ; =>This Inner Loop Header: Depth=1
	s_clause 0x1
	buffer_load_dword v109, v7, s[0:3], 0 offen offset:4
	buffer_load_dword v110, v7, s[0:3], 0 offen
	ds_read_b64 v[107:108], v6
	v_add_nc_u32_e32 v5, 1, v5
	v_add_nc_u32_e32 v6, 8, v6
	;; [unrolled: 1-line block ×3, first 2 shown]
	v_cmp_lt_u32_e32 vcc_lo, 42, v5
	s_or_b32 s5, vcc_lo, s5
	s_waitcnt vmcnt(1) lgkmcnt(0)
	v_mul_f32_e32 v111, v108, v109
	v_mul_f32_e32 v109, v107, v109
	s_waitcnt vmcnt(0)
	v_fma_f32 v107, v107, v110, -v111
	v_fmac_f32_e32 v109, v108, v110
	v_add_f32_e32 v8, v8, v107
	v_add_f32_e32 v2, v2, v109
	s_andn2_b32 exec_lo, exec_lo, s5
	s_cbranch_execnz .LBB112_189
; %bb.190:
	s_or_b32 exec_lo, exec_lo, s5
	v_mov_b32_e32 v5, 0
	ds_read_b64 v[5:6], v5 offset:352
	s_waitcnt lgkmcnt(0)
	v_mul_f32_e32 v7, v2, v6
	v_mul_f32_e32 v6, v8, v6
	v_fma_f32 v7, v8, v5, -v7
	v_fmac_f32_e32 v6, v2, v5
	buffer_store_dword v7, off, s[0:3], 0 offset:352
	buffer_store_dword v6, off, s[0:3], 0 offset:356
.LBB112_191:
	s_or_b32 exec_lo, exec_lo, s4
	s_waitcnt_vscnt null, 0x0
	s_barrier
	buffer_gl0_inv
	s_clause 0x1
	buffer_load_dword v5, off, s[0:3], 0 offset:360
	buffer_load_dword v6, off, s[0:3], 0 offset:364
	s_mov_b32 s4, exec_lo
	s_waitcnt vmcnt(0)
	ds_write_b64 v4, v[5:6]
	s_waitcnt lgkmcnt(0)
	s_barrier
	buffer_gl0_inv
	v_cmpx_gt_u32_e32 45, v0
	s_cbranch_execz .LBB112_195
; %bb.192:
	v_add_nc_u32_e32 v5, -1, v0
	v_add_nc_u32_e32 v6, 0x190, v3
	v_mov_b32_e32 v7, v3
	v_mov_b32_e32 v2, 0
	;; [unrolled: 1-line block ×3, first 2 shown]
	s_mov_b32 s5, 0
	.p2align	6
.LBB112_193:                            ; =>This Inner Loop Header: Depth=1
	s_clause 0x1
	buffer_load_dword v109, v7, s[0:3], 0 offen offset:4
	buffer_load_dword v110, v7, s[0:3], 0 offen
	ds_read_b64 v[107:108], v6
	v_add_nc_u32_e32 v5, 1, v5
	v_add_nc_u32_e32 v6, 8, v6
	;; [unrolled: 1-line block ×3, first 2 shown]
	v_cmp_lt_u32_e32 vcc_lo, 43, v5
	s_or_b32 s5, vcc_lo, s5
	s_waitcnt vmcnt(1) lgkmcnt(0)
	v_mul_f32_e32 v111, v108, v109
	v_mul_f32_e32 v109, v107, v109
	s_waitcnt vmcnt(0)
	v_fma_f32 v107, v107, v110, -v111
	v_fmac_f32_e32 v109, v108, v110
	v_add_f32_e32 v8, v8, v107
	v_add_f32_e32 v2, v2, v109
	s_andn2_b32 exec_lo, exec_lo, s5
	s_cbranch_execnz .LBB112_193
; %bb.194:
	s_or_b32 exec_lo, exec_lo, s5
	v_mov_b32_e32 v5, 0
	ds_read_b64 v[5:6], v5 offset:360
	s_waitcnt lgkmcnt(0)
	v_mul_f32_e32 v7, v2, v6
	v_mul_f32_e32 v6, v8, v6
	v_fma_f32 v7, v8, v5, -v7
	v_fmac_f32_e32 v6, v2, v5
	buffer_store_dword v7, off, s[0:3], 0 offset:360
	buffer_store_dword v6, off, s[0:3], 0 offset:364
.LBB112_195:
	s_or_b32 exec_lo, exec_lo, s4
	s_waitcnt_vscnt null, 0x0
	s_barrier
	buffer_gl0_inv
	s_clause 0x1
	buffer_load_dword v5, off, s[0:3], 0 offset:368
	buffer_load_dword v6, off, s[0:3], 0 offset:372
	s_mov_b32 s4, exec_lo
	s_waitcnt vmcnt(0)
	ds_write_b64 v4, v[5:6]
	s_waitcnt lgkmcnt(0)
	s_barrier
	buffer_gl0_inv
	v_cmpx_gt_u32_e32 46, v0
	s_cbranch_execz .LBB112_199
; %bb.196:
	v_add_nc_u32_e32 v5, -1, v0
	v_add_nc_u32_e32 v6, 0x190, v3
	v_mov_b32_e32 v7, v3
	v_mov_b32_e32 v2, 0
	;; [unrolled: 1-line block ×3, first 2 shown]
	s_mov_b32 s5, 0
	.p2align	6
.LBB112_197:                            ; =>This Inner Loop Header: Depth=1
	s_clause 0x1
	buffer_load_dword v109, v7, s[0:3], 0 offen offset:4
	buffer_load_dword v110, v7, s[0:3], 0 offen
	ds_read_b64 v[107:108], v6
	v_add_nc_u32_e32 v5, 1, v5
	v_add_nc_u32_e32 v6, 8, v6
	;; [unrolled: 1-line block ×3, first 2 shown]
	v_cmp_lt_u32_e32 vcc_lo, 44, v5
	s_or_b32 s5, vcc_lo, s5
	s_waitcnt vmcnt(1) lgkmcnt(0)
	v_mul_f32_e32 v111, v108, v109
	v_mul_f32_e32 v109, v107, v109
	s_waitcnt vmcnt(0)
	v_fma_f32 v107, v107, v110, -v111
	v_fmac_f32_e32 v109, v108, v110
	v_add_f32_e32 v8, v8, v107
	v_add_f32_e32 v2, v2, v109
	s_andn2_b32 exec_lo, exec_lo, s5
	s_cbranch_execnz .LBB112_197
; %bb.198:
	s_or_b32 exec_lo, exec_lo, s5
	v_mov_b32_e32 v5, 0
	ds_read_b64 v[5:6], v5 offset:368
	s_waitcnt lgkmcnt(0)
	v_mul_f32_e32 v7, v2, v6
	v_mul_f32_e32 v6, v8, v6
	v_fma_f32 v7, v8, v5, -v7
	v_fmac_f32_e32 v6, v2, v5
	buffer_store_dword v7, off, s[0:3], 0 offset:368
	buffer_store_dword v6, off, s[0:3], 0 offset:372
.LBB112_199:
	s_or_b32 exec_lo, exec_lo, s4
	s_waitcnt_vscnt null, 0x0
	s_barrier
	buffer_gl0_inv
	s_clause 0x1
	buffer_load_dword v5, off, s[0:3], 0 offset:376
	buffer_load_dword v6, off, s[0:3], 0 offset:380
	s_mov_b32 s4, exec_lo
	s_waitcnt vmcnt(0)
	ds_write_b64 v4, v[5:6]
	s_waitcnt lgkmcnt(0)
	s_barrier
	buffer_gl0_inv
	v_cmpx_gt_u32_e32 47, v0
	s_cbranch_execz .LBB112_203
; %bb.200:
	v_add_nc_u32_e32 v5, -1, v0
	v_add_nc_u32_e32 v6, 0x190, v3
	v_mov_b32_e32 v7, v3
	v_mov_b32_e32 v2, 0
	;; [unrolled: 1-line block ×3, first 2 shown]
	s_mov_b32 s5, 0
	.p2align	6
.LBB112_201:                            ; =>This Inner Loop Header: Depth=1
	s_clause 0x1
	buffer_load_dword v109, v7, s[0:3], 0 offen offset:4
	buffer_load_dword v110, v7, s[0:3], 0 offen
	ds_read_b64 v[107:108], v6
	v_add_nc_u32_e32 v5, 1, v5
	v_add_nc_u32_e32 v6, 8, v6
	;; [unrolled: 1-line block ×3, first 2 shown]
	v_cmp_lt_u32_e32 vcc_lo, 45, v5
	s_or_b32 s5, vcc_lo, s5
	s_waitcnt vmcnt(1) lgkmcnt(0)
	v_mul_f32_e32 v111, v108, v109
	v_mul_f32_e32 v109, v107, v109
	s_waitcnt vmcnt(0)
	v_fma_f32 v107, v107, v110, -v111
	v_fmac_f32_e32 v109, v108, v110
	v_add_f32_e32 v8, v8, v107
	v_add_f32_e32 v2, v2, v109
	s_andn2_b32 exec_lo, exec_lo, s5
	s_cbranch_execnz .LBB112_201
; %bb.202:
	s_or_b32 exec_lo, exec_lo, s5
	v_mov_b32_e32 v5, 0
	ds_read_b64 v[5:6], v5 offset:376
	s_waitcnt lgkmcnt(0)
	v_mul_f32_e32 v7, v2, v6
	v_mul_f32_e32 v6, v8, v6
	v_fma_f32 v7, v8, v5, -v7
	v_fmac_f32_e32 v6, v2, v5
	buffer_store_dword v7, off, s[0:3], 0 offset:376
	buffer_store_dword v6, off, s[0:3], 0 offset:380
.LBB112_203:
	s_or_b32 exec_lo, exec_lo, s4
	s_waitcnt_vscnt null, 0x0
	s_barrier
	buffer_gl0_inv
	s_clause 0x1
	buffer_load_dword v5, off, s[0:3], 0 offset:384
	buffer_load_dword v6, off, s[0:3], 0 offset:388
	s_mov_b32 s4, exec_lo
	s_waitcnt vmcnt(0)
	ds_write_b64 v4, v[5:6]
	s_waitcnt lgkmcnt(0)
	s_barrier
	buffer_gl0_inv
	v_cmpx_ne_u32_e32 48, v0
	s_cbranch_execz .LBB112_207
; %bb.204:
	v_mov_b32_e32 v2, 0
	v_mov_b32_e32 v5, 0
	s_mov_b32 s5, 0
	.p2align	6
.LBB112_205:                            ; =>This Inner Loop Header: Depth=1
	s_clause 0x1
	buffer_load_dword v8, v3, s[0:3], 0 offen offset:4
	buffer_load_dword v107, v3, s[0:3], 0 offen
	ds_read_b64 v[6:7], v4
	v_add_nc_u32_e32 v1, 1, v1
	v_add_nc_u32_e32 v4, 8, v4
	;; [unrolled: 1-line block ×3, first 2 shown]
	v_cmp_lt_u32_e32 vcc_lo, 46, v1
	s_or_b32 s5, vcc_lo, s5
	s_waitcnt vmcnt(1) lgkmcnt(0)
	v_mul_f32_e32 v108, v7, v8
	v_mul_f32_e32 v8, v6, v8
	s_waitcnt vmcnt(0)
	v_fma_f32 v6, v6, v107, -v108
	v_fmac_f32_e32 v8, v7, v107
	v_add_f32_e32 v5, v5, v6
	v_add_f32_e32 v2, v2, v8
	s_andn2_b32 exec_lo, exec_lo, s5
	s_cbranch_execnz .LBB112_205
; %bb.206:
	s_or_b32 exec_lo, exec_lo, s5
	v_mov_b32_e32 v1, 0
	ds_read_b64 v[3:4], v1 offset:384
	s_waitcnt lgkmcnt(0)
	v_mul_f32_e32 v1, v2, v4
	v_mul_f32_e32 v4, v5, v4
	v_fma_f32 v1, v5, v3, -v1
	v_fmac_f32_e32 v4, v2, v3
	buffer_store_dword v1, off, s[0:3], 0 offset:384
	buffer_store_dword v4, off, s[0:3], 0 offset:388
.LBB112_207:
	s_or_b32 exec_lo, exec_lo, s4
	s_mov_b32 s5, -1
	s_waitcnt_vscnt null, 0x0
	s_barrier
	buffer_gl0_inv
.LBB112_208:
	s_and_b32 vcc_lo, exec_lo, s5
	s_cbranch_vccz .LBB112_210
; %bb.209:
	s_lshl_b64 s[4:5], s[6:7], 2
	v_mov_b32_e32 v1, 0
	s_add_u32 s4, s10, s4
	s_addc_u32 s5, s11, s5
	global_load_dword v1, v1, s[4:5]
	s_waitcnt vmcnt(0)
	v_cmp_ne_u32_e32 vcc_lo, 0, v1
	s_cbranch_vccz .LBB112_211
.LBB112_210:
	s_endpgm
.LBB112_211:
	v_lshl_add_u32 v107, v0, 3, 0x190
	s_mov_b32 s4, exec_lo
	v_cmpx_eq_u32_e32 48, v0
	s_cbranch_execz .LBB112_213
; %bb.212:
	s_clause 0x1
	buffer_load_dword v1, off, s[0:3], 0 offset:376
	buffer_load_dword v2, off, s[0:3], 0 offset:380
	v_mov_b32_e32 v3, 0
	buffer_store_dword v3, off, s[0:3], 0 offset:376
	buffer_store_dword v3, off, s[0:3], 0 offset:380
	s_waitcnt vmcnt(0)
	ds_write_b64 v107, v[1:2]
.LBB112_213:
	s_or_b32 exec_lo, exec_lo, s4
	s_waitcnt lgkmcnt(0)
	s_waitcnt_vscnt null, 0x0
	s_barrier
	buffer_gl0_inv
	s_clause 0x3
	buffer_load_dword v4, off, s[0:3], 0 offset:388
	buffer_load_dword v5, off, s[0:3], 0 offset:384
	;; [unrolled: 1-line block ×4, first 2 shown]
	v_mov_b32_e32 v1, 0
	s_mov_b32 s4, exec_lo
	ds_read_b64 v[2:3], v1 offset:784
	s_waitcnt vmcnt(3) lgkmcnt(0)
	v_mul_f32_e32 v8, v3, v4
	v_mul_f32_e32 v4, v2, v4
	s_waitcnt vmcnt(2)
	v_fma_f32 v2, v2, v5, -v8
	v_fmac_f32_e32 v4, v3, v5
	v_add_f32_e32 v2, 0, v2
	v_add_f32_e32 v3, 0, v4
	s_waitcnt vmcnt(1)
	v_sub_f32_e32 v2, v6, v2
	s_waitcnt vmcnt(0)
	v_sub_f32_e32 v3, v7, v3
	buffer_store_dword v2, off, s[0:3], 0 offset:376
	buffer_store_dword v3, off, s[0:3], 0 offset:380
	v_cmpx_lt_u32_e32 46, v0
	s_cbranch_execz .LBB112_215
; %bb.214:
	s_clause 0x1
	buffer_load_dword v2, off, s[0:3], 0 offset:368
	buffer_load_dword v3, off, s[0:3], 0 offset:372
	buffer_store_dword v1, off, s[0:3], 0 offset:368
	buffer_store_dword v1, off, s[0:3], 0 offset:372
	s_waitcnt vmcnt(0)
	ds_write_b64 v107, v[2:3]
.LBB112_215:
	s_or_b32 exec_lo, exec_lo, s4
	s_waitcnt lgkmcnt(0)
	s_waitcnt_vscnt null, 0x0
	s_barrier
	buffer_gl0_inv
	s_clause 0x5
	buffer_load_dword v5, off, s[0:3], 0 offset:380
	buffer_load_dword v6, off, s[0:3], 0 offset:388
	;; [unrolled: 1-line block ×6, first 2 shown]
	ds_read2_b64 v[1:4], v1 offset0:97 offset1:98
	s_mov_b32 s4, exec_lo
	s_waitcnt vmcnt(5) lgkmcnt(0)
	v_mul_f32_e32 v110, v2, v5
	v_mul_f32_e32 v5, v1, v5
	s_waitcnt vmcnt(4)
	v_mul_f32_e32 v111, v3, v6
	v_mul_f32_e32 v6, v4, v6
	s_waitcnt vmcnt(3)
	v_fma_f32 v1, v1, v7, -v110
	v_fmac_f32_e32 v5, v2, v7
	s_waitcnt vmcnt(2)
	v_fmac_f32_e32 v111, v4, v8
	v_fma_f32 v2, v3, v8, -v6
	v_add_f32_e32 v1, 0, v1
	v_add_f32_e32 v3, 0, v5
	;; [unrolled: 1-line block ×4, first 2 shown]
	s_waitcnt vmcnt(1)
	v_sub_f32_e32 v1, v108, v1
	s_waitcnt vmcnt(0)
	v_sub_f32_e32 v2, v109, v2
	buffer_store_dword v1, off, s[0:3], 0 offset:368
	buffer_store_dword v2, off, s[0:3], 0 offset:372
	v_cmpx_lt_u32_e32 45, v0
	s_cbranch_execz .LBB112_217
; %bb.216:
	s_clause 0x1
	buffer_load_dword v1, off, s[0:3], 0 offset:360
	buffer_load_dword v2, off, s[0:3], 0 offset:364
	v_mov_b32_e32 v3, 0
	buffer_store_dword v3, off, s[0:3], 0 offset:360
	buffer_store_dword v3, off, s[0:3], 0 offset:364
	s_waitcnt vmcnt(0)
	ds_write_b64 v107, v[1:2]
.LBB112_217:
	s_or_b32 exec_lo, exec_lo, s4
	s_waitcnt lgkmcnt(0)
	s_waitcnt_vscnt null, 0x0
	s_barrier
	buffer_gl0_inv
	s_clause 0x7
	buffer_load_dword v8, off, s[0:3], 0 offset:372
	buffer_load_dword v108, off, s[0:3], 0 offset:380
	;; [unrolled: 1-line block ×8, first 2 shown]
	v_mov_b32_e32 v1, 0
	ds_read_b128 v[2:5], v1 offset:768
	ds_read_b64 v[6:7], v1 offset:784
	s_mov_b32 s4, exec_lo
	s_waitcnt vmcnt(7) lgkmcnt(1)
	v_mul_f32_e32 v115, v3, v8
	v_mul_f32_e32 v8, v2, v8
	s_waitcnt vmcnt(6)
	v_mul_f32_e32 v116, v4, v108
	v_mul_f32_e32 v108, v5, v108
	s_waitcnt vmcnt(5) lgkmcnt(0)
	v_mul_f32_e32 v117, v6, v109
	s_waitcnt vmcnt(4)
	v_fma_f32 v2, v2, v110, -v115
	v_fmac_f32_e32 v8, v3, v110
	v_mul_f32_e32 v3, v7, v109
	s_waitcnt vmcnt(3)
	v_fma_f32 v4, v4, v111, -v108
	v_fmac_f32_e32 v116, v5, v111
	v_add_f32_e32 v2, 0, v2
	v_add_f32_e32 v5, 0, v8
	s_waitcnt vmcnt(2)
	v_fma_f32 v3, v6, v112, -v3
	v_fmac_f32_e32 v117, v7, v112
	v_add_f32_e32 v2, v2, v4
	v_add_f32_e32 v4, v5, v116
	v_add_f32_e32 v2, v2, v3
	v_add_f32_e32 v3, v4, v117
	s_waitcnt vmcnt(1)
	v_sub_f32_e32 v2, v113, v2
	s_waitcnt vmcnt(0)
	v_sub_f32_e32 v3, v114, v3
	buffer_store_dword v2, off, s[0:3], 0 offset:360
	buffer_store_dword v3, off, s[0:3], 0 offset:364
	v_cmpx_lt_u32_e32 44, v0
	s_cbranch_execz .LBB112_219
; %bb.218:
	s_clause 0x1
	buffer_load_dword v2, off, s[0:3], 0 offset:352
	buffer_load_dword v3, off, s[0:3], 0 offset:356
	buffer_store_dword v1, off, s[0:3], 0 offset:352
	buffer_store_dword v1, off, s[0:3], 0 offset:356
	s_waitcnt vmcnt(0)
	ds_write_b64 v107, v[2:3]
.LBB112_219:
	s_or_b32 exec_lo, exec_lo, s4
	s_waitcnt lgkmcnt(0)
	s_waitcnt_vscnt null, 0x0
	s_barrier
	buffer_gl0_inv
	s_clause 0x9
	buffer_load_dword v6, off, s[0:3], 0 offset:364
	buffer_load_dword v7, off, s[0:3], 0 offset:372
	;; [unrolled: 1-line block ×10, first 2 shown]
	ds_read2_b64 v[2:5], v1 offset0:95 offset1:96
	ds_read2_b64 v[108:111], v1 offset0:97 offset1:98
	s_mov_b32 s4, exec_lo
	s_waitcnt vmcnt(9) lgkmcnt(1)
	v_mul_f32_e32 v1, v2, v6
	v_mul_f32_e32 v6, v3, v6
	s_waitcnt vmcnt(8)
	v_mul_f32_e32 v119, v4, v7
	v_mul_f32_e32 v7, v5, v7
	s_waitcnt vmcnt(7) lgkmcnt(0)
	v_mul_f32_e32 v120, v108, v8
	s_waitcnt vmcnt(5)
	v_fmac_f32_e32 v1, v3, v113
	v_fma_f32 v2, v2, v113, -v6
	v_mul_f32_e32 v3, v109, v8
	s_waitcnt vmcnt(4)
	v_fma_f32 v4, v4, v114, -v7
	v_fmac_f32_e32 v119, v5, v114
	v_add_f32_e32 v1, 0, v1
	v_add_f32_e32 v2, 0, v2
	v_mul_f32_e32 v5, v111, v112
	s_waitcnt vmcnt(3)
	v_fma_f32 v3, v108, v115, -v3
	v_mul_f32_e32 v121, v110, v112
	v_fmac_f32_e32 v120, v109, v115
	v_add_f32_e32 v2, v2, v4
	v_add_f32_e32 v1, v1, v119
	s_waitcnt vmcnt(2)
	v_fma_f32 v4, v110, v116, -v5
	v_fmac_f32_e32 v121, v111, v116
	v_add_f32_e32 v2, v2, v3
	v_add_f32_e32 v1, v1, v120
	;; [unrolled: 1-line block ×4, first 2 shown]
	s_waitcnt vmcnt(1)
	v_sub_f32_e32 v2, v117, v2
	s_waitcnt vmcnt(0)
	v_sub_f32_e32 v1, v118, v1
	buffer_store_dword v2, off, s[0:3], 0 offset:352
	buffer_store_dword v1, off, s[0:3], 0 offset:356
	v_cmpx_lt_u32_e32 43, v0
	s_cbranch_execz .LBB112_221
; %bb.220:
	s_clause 0x1
	buffer_load_dword v1, off, s[0:3], 0 offset:344
	buffer_load_dword v2, off, s[0:3], 0 offset:348
	v_mov_b32_e32 v3, 0
	buffer_store_dword v3, off, s[0:3], 0 offset:344
	buffer_store_dword v3, off, s[0:3], 0 offset:348
	s_waitcnt vmcnt(0)
	ds_write_b64 v107, v[1:2]
.LBB112_221:
	s_or_b32 exec_lo, exec_lo, s4
	s_waitcnt lgkmcnt(0)
	s_waitcnt_vscnt null, 0x0
	s_barrier
	buffer_gl0_inv
	s_clause 0xb
	buffer_load_dword v8, off, s[0:3], 0 offset:356
	buffer_load_dword v112, off, s[0:3], 0 offset:364
	;; [unrolled: 1-line block ×12, first 2 shown]
	v_mov_b32_e32 v1, 0
	ds_read_b128 v[2:5], v1 offset:752
	ds_read_b128 v[108:111], v1 offset:768
	ds_read_b64 v[6:7], v1 offset:784
	s_mov_b32 s4, exec_lo
	s_waitcnt vmcnt(11) lgkmcnt(2)
	v_mul_f32_e32 v123, v2, v8
	v_mul_f32_e32 v8, v3, v8
	s_waitcnt vmcnt(10)
	v_mul_f32_e32 v124, v4, v112
	v_mul_f32_e32 v112, v5, v112
	s_waitcnt vmcnt(9) lgkmcnt(1)
	v_mul_f32_e32 v125, v108, v113
	s_waitcnt vmcnt(6)
	v_fmac_f32_e32 v123, v3, v116
	v_fma_f32 v2, v2, v116, -v8
	v_mul_f32_e32 v3, v109, v113
	s_waitcnt vmcnt(5)
	v_fma_f32 v4, v4, v117, -v112
	v_fmac_f32_e32 v124, v5, v117
	v_add_f32_e32 v5, 0, v123
	v_add_f32_e32 v2, 0, v2
	v_mul_f32_e32 v8, v111, v114
	s_waitcnt vmcnt(4)
	v_fma_f32 v3, v108, v118, -v3
	v_mul_f32_e32 v126, v110, v114
	v_fmac_f32_e32 v125, v109, v118
	v_add_f32_e32 v2, v2, v4
	v_add_f32_e32 v4, v5, v124
	s_waitcnt lgkmcnt(0)
	v_mul_f32_e32 v5, v7, v115
	s_waitcnt vmcnt(3)
	v_fma_f32 v8, v110, v119, -v8
	v_mul_f32_e32 v127, v6, v115
	v_add_f32_e32 v2, v2, v3
	v_fmac_f32_e32 v126, v111, v119
	v_add_f32_e32 v3, v4, v125
	s_waitcnt vmcnt(2)
	v_fma_f32 v4, v6, v120, -v5
	v_fmac_f32_e32 v127, v7, v120
	v_add_f32_e32 v2, v2, v8
	v_add_f32_e32 v3, v3, v126
	;; [unrolled: 1-line block ×4, first 2 shown]
	s_waitcnt vmcnt(1)
	v_sub_f32_e32 v2, v121, v2
	s_waitcnt vmcnt(0)
	v_sub_f32_e32 v3, v122, v3
	buffer_store_dword v2, off, s[0:3], 0 offset:344
	buffer_store_dword v3, off, s[0:3], 0 offset:348
	v_cmpx_lt_u32_e32 42, v0
	s_cbranch_execz .LBB112_223
; %bb.222:
	s_clause 0x1
	buffer_load_dword v2, off, s[0:3], 0 offset:336
	buffer_load_dword v3, off, s[0:3], 0 offset:340
	buffer_store_dword v1, off, s[0:3], 0 offset:336
	buffer_store_dword v1, off, s[0:3], 0 offset:340
	s_waitcnt vmcnt(0)
	ds_write_b64 v107, v[2:3]
.LBB112_223:
	s_or_b32 exec_lo, exec_lo, s4
	s_waitcnt lgkmcnt(0)
	s_waitcnt_vscnt null, 0x0
	s_barrier
	buffer_gl0_inv
	s_clause 0xd
	buffer_load_dword v6, off, s[0:3], 0 offset:348
	buffer_load_dword v7, off, s[0:3], 0 offset:356
	;; [unrolled: 1-line block ×14, first 2 shown]
	ds_read2_b64 v[2:5], v1 offset0:93 offset1:94
	ds_read2_b64 v[108:111], v1 offset0:95 offset1:96
	;; [unrolled: 1-line block ×3, first 2 shown]
	s_mov_b32 s4, exec_lo
	s_waitcnt vmcnt(13) lgkmcnt(2)
	v_mul_f32_e32 v1, v2, v6
	v_mul_f32_e32 v6, v3, v6
	s_waitcnt vmcnt(12)
	v_mul_f32_e32 v127, v4, v7
	v_mul_f32_e32 v7, v5, v7
	s_waitcnt vmcnt(11) lgkmcnt(1)
	v_mul_f32_e32 v128, v108, v8
	s_waitcnt vmcnt(10)
	v_mul_f32_e32 v129, v110, v116
	s_waitcnt vmcnt(7)
	v_fma_f32 v2, v2, v119, -v6
	v_fmac_f32_e32 v1, v3, v119
	v_mul_f32_e32 v3, v109, v8
	s_waitcnt vmcnt(6)
	v_fma_f32 v4, v4, v120, -v7
	v_fmac_f32_e32 v127, v5, v120
	v_add_f32_e32 v2, 0, v2
	v_add_f32_e32 v1, 0, v1
	v_mul_f32_e32 v5, v111, v116
	s_waitcnt vmcnt(5)
	v_fma_f32 v3, v108, v121, -v3
	v_fmac_f32_e32 v128, v109, v121
	v_add_f32_e32 v2, v2, v4
	v_add_f32_e32 v1, v1, v127
	s_waitcnt lgkmcnt(0)
	v_mul_f32_e32 v4, v113, v117
	s_waitcnt vmcnt(4)
	v_fma_f32 v5, v110, v122, -v5
	v_mul_f32_e32 v130, v112, v117
	v_add_f32_e32 v2, v2, v3
	v_fmac_f32_e32 v129, v111, v122
	v_add_f32_e32 v1, v1, v128
	v_mul_f32_e32 v3, v115, v118
	s_waitcnt vmcnt(3)
	v_fma_f32 v4, v112, v123, -v4
	v_add_f32_e32 v2, v2, v5
	v_mul_f32_e32 v131, v114, v118
	v_fmac_f32_e32 v130, v113, v123
	v_add_f32_e32 v1, v1, v129
	s_waitcnt vmcnt(2)
	v_fma_f32 v3, v114, v124, -v3
	v_add_f32_e32 v2, v2, v4
	v_fmac_f32_e32 v131, v115, v124
	v_add_f32_e32 v1, v1, v130
	v_add_f32_e32 v2, v2, v3
	;; [unrolled: 1-line block ×3, first 2 shown]
	s_waitcnt vmcnt(1)
	v_sub_f32_e32 v2, v125, v2
	s_waitcnt vmcnt(0)
	v_sub_f32_e32 v1, v126, v1
	buffer_store_dword v2, off, s[0:3], 0 offset:336
	buffer_store_dword v1, off, s[0:3], 0 offset:340
	v_cmpx_lt_u32_e32 41, v0
	s_cbranch_execz .LBB112_225
; %bb.224:
	s_clause 0x1
	buffer_load_dword v1, off, s[0:3], 0 offset:328
	buffer_load_dword v2, off, s[0:3], 0 offset:332
	v_mov_b32_e32 v3, 0
	buffer_store_dword v3, off, s[0:3], 0 offset:328
	buffer_store_dword v3, off, s[0:3], 0 offset:332
	s_waitcnt vmcnt(0)
	ds_write_b64 v107, v[1:2]
.LBB112_225:
	s_or_b32 exec_lo, exec_lo, s4
	s_waitcnt lgkmcnt(0)
	s_waitcnt_vscnt null, 0x0
	s_barrier
	buffer_gl0_inv
	s_clause 0xf
	buffer_load_dword v8, off, s[0:3], 0 offset:340
	buffer_load_dword v116, off, s[0:3], 0 offset:348
	;; [unrolled: 1-line block ×16, first 2 shown]
	v_mov_b32_e32 v1, 0
	ds_read_b128 v[2:5], v1 offset:736
	ds_read_b128 v[108:111], v1 offset:752
	;; [unrolled: 1-line block ×3, first 2 shown]
	ds_read_b64 v[6:7], v1 offset:784
	s_mov_b32 s4, exec_lo
	s_waitcnt vmcnt(15) lgkmcnt(3)
	v_mul_f32_e32 v131, v2, v8
	v_mul_f32_e32 v8, v3, v8
	s_waitcnt vmcnt(14)
	v_mul_f32_e32 v132, v4, v116
	v_mul_f32_e32 v116, v5, v116
	s_waitcnt vmcnt(13) lgkmcnt(2)
	v_mul_f32_e32 v133, v108, v117
	s_waitcnt vmcnt(12)
	v_mul_f32_e32 v134, v110, v118
	s_waitcnt vmcnt(11) lgkmcnt(1)
	v_mul_f32_e32 v135, v112, v119
	s_waitcnt vmcnt(8)
	v_fma_f32 v2, v2, v122, -v8
	v_fmac_f32_e32 v131, v3, v122
	v_mul_f32_e32 v3, v109, v117
	s_waitcnt vmcnt(7)
	v_fma_f32 v4, v4, v123, -v116
	v_fmac_f32_e32 v132, v5, v123
	v_add_f32_e32 v2, 0, v2
	v_add_f32_e32 v5, 0, v131
	v_mul_f32_e32 v8, v111, v118
	s_waitcnt vmcnt(6)
	v_fma_f32 v3, v108, v124, -v3
	v_fmac_f32_e32 v133, v109, v124
	v_add_f32_e32 v2, v2, v4
	v_add_f32_e32 v4, v5, v132
	;; [unrolled: 6-line block ×3, first 2 shown]
	v_mul_f32_e32 v4, v115, v120
	s_waitcnt vmcnt(4)
	v_fma_f32 v5, v112, v126, -v5
	v_mul_f32_e32 v136, v114, v120
	v_add_f32_e32 v2, v2, v8
	v_fmac_f32_e32 v135, v113, v126
	v_add_f32_e32 v3, v3, v134
	s_waitcnt lgkmcnt(0)
	v_mul_f32_e32 v8, v7, v121
	s_waitcnt vmcnt(3)
	v_fma_f32 v4, v114, v127, -v4
	v_add_f32_e32 v2, v2, v5
	v_mul_f32_e32 v137, v6, v121
	v_fmac_f32_e32 v136, v115, v127
	v_add_f32_e32 v3, v3, v135
	s_waitcnt vmcnt(2)
	v_fma_f32 v5, v6, v128, -v8
	v_add_f32_e32 v2, v2, v4
	v_fmac_f32_e32 v137, v7, v128
	v_add_f32_e32 v3, v3, v136
	v_add_f32_e32 v2, v2, v5
	;; [unrolled: 1-line block ×3, first 2 shown]
	s_waitcnt vmcnt(1)
	v_sub_f32_e32 v2, v129, v2
	s_waitcnt vmcnt(0)
	v_sub_f32_e32 v3, v130, v3
	buffer_store_dword v2, off, s[0:3], 0 offset:328
	buffer_store_dword v3, off, s[0:3], 0 offset:332
	v_cmpx_lt_u32_e32 40, v0
	s_cbranch_execz .LBB112_227
; %bb.226:
	s_clause 0x1
	buffer_load_dword v2, off, s[0:3], 0 offset:320
	buffer_load_dword v3, off, s[0:3], 0 offset:324
	buffer_store_dword v1, off, s[0:3], 0 offset:320
	buffer_store_dword v1, off, s[0:3], 0 offset:324
	s_waitcnt vmcnt(0)
	ds_write_b64 v107, v[2:3]
.LBB112_227:
	s_or_b32 exec_lo, exec_lo, s4
	s_waitcnt lgkmcnt(0)
	s_waitcnt_vscnt null, 0x0
	s_barrier
	buffer_gl0_inv
	s_clause 0x11
	buffer_load_dword v6, off, s[0:3], 0 offset:332
	buffer_load_dword v7, off, s[0:3], 0 offset:340
	;; [unrolled: 1-line block ×18, first 2 shown]
	ds_read2_b64 v[2:5], v1 offset0:91 offset1:92
	ds_read2_b64 v[108:111], v1 offset0:93 offset1:94
	;; [unrolled: 1-line block ×4, first 2 shown]
	s_mov_b32 s4, exec_lo
	s_waitcnt vmcnt(17) lgkmcnt(3)
	v_mul_f32_e32 v1, v2, v6
	v_mul_f32_e32 v6, v3, v6
	s_waitcnt vmcnt(16)
	v_mul_f32_e32 v135, v4, v7
	v_mul_f32_e32 v7, v5, v7
	s_waitcnt vmcnt(15) lgkmcnt(2)
	v_mul_f32_e32 v136, v108, v8
	s_waitcnt vmcnt(14)
	v_mul_f32_e32 v137, v110, v120
	s_waitcnt vmcnt(13) lgkmcnt(1)
	v_mul_f32_e32 v138, v112, v121
	s_waitcnt vmcnt(12)
	v_mul_f32_e32 v139, v114, v122
	s_waitcnt vmcnt(9)
	v_fma_f32 v2, v2, v125, -v6
	v_fmac_f32_e32 v1, v3, v125
	v_mul_f32_e32 v3, v109, v8
	s_waitcnt vmcnt(8)
	v_fma_f32 v4, v4, v126, -v7
	v_fmac_f32_e32 v135, v5, v126
	v_add_f32_e32 v2, 0, v2
	v_add_f32_e32 v1, 0, v1
	v_mul_f32_e32 v5, v111, v120
	s_waitcnt vmcnt(7)
	v_fma_f32 v3, v108, v127, -v3
	v_fmac_f32_e32 v136, v109, v127
	v_add_f32_e32 v2, v2, v4
	v_add_f32_e32 v1, v1, v135
	;; [unrolled: 6-line block ×4, first 2 shown]
	s_waitcnt lgkmcnt(0)
	v_mul_f32_e32 v5, v117, v123
	s_waitcnt vmcnt(4)
	v_fma_f32 v3, v114, v130, -v3
	v_mul_f32_e32 v140, v116, v123
	v_add_f32_e32 v2, v2, v4
	v_fmac_f32_e32 v139, v115, v130
	v_add_f32_e32 v1, v1, v138
	v_mul_f32_e32 v4, v119, v124
	s_waitcnt vmcnt(3)
	v_fma_f32 v5, v116, v131, -v5
	v_add_f32_e32 v2, v2, v3
	v_mul_f32_e32 v141, v118, v124
	v_fmac_f32_e32 v140, v117, v131
	v_add_f32_e32 v1, v1, v139
	s_waitcnt vmcnt(2)
	v_fma_f32 v3, v118, v132, -v4
	v_add_f32_e32 v2, v2, v5
	v_fmac_f32_e32 v141, v119, v132
	v_add_f32_e32 v1, v1, v140
	v_add_f32_e32 v2, v2, v3
	;; [unrolled: 1-line block ×3, first 2 shown]
	s_waitcnt vmcnt(1)
	v_sub_f32_e32 v2, v133, v2
	s_waitcnt vmcnt(0)
	v_sub_f32_e32 v1, v134, v1
	buffer_store_dword v2, off, s[0:3], 0 offset:320
	buffer_store_dword v1, off, s[0:3], 0 offset:324
	v_cmpx_lt_u32_e32 39, v0
	s_cbranch_execz .LBB112_229
; %bb.228:
	s_clause 0x1
	buffer_load_dword v1, off, s[0:3], 0 offset:312
	buffer_load_dword v2, off, s[0:3], 0 offset:316
	v_mov_b32_e32 v3, 0
	buffer_store_dword v3, off, s[0:3], 0 offset:312
	buffer_store_dword v3, off, s[0:3], 0 offset:316
	s_waitcnt vmcnt(0)
	ds_write_b64 v107, v[1:2]
.LBB112_229:
	s_or_b32 exec_lo, exec_lo, s4
	s_waitcnt lgkmcnt(0)
	s_waitcnt_vscnt null, 0x0
	s_barrier
	buffer_gl0_inv
	s_clause 0x13
	buffer_load_dword v8, off, s[0:3], 0 offset:324
	buffer_load_dword v120, off, s[0:3], 0 offset:332
	buffer_load_dword v121, off, s[0:3], 0 offset:340
	buffer_load_dword v122, off, s[0:3], 0 offset:348
	buffer_load_dword v123, off, s[0:3], 0 offset:356
	buffer_load_dword v124, off, s[0:3], 0 offset:364
	buffer_load_dword v125, off, s[0:3], 0 offset:372
	buffer_load_dword v126, off, s[0:3], 0 offset:380
	buffer_load_dword v127, off, s[0:3], 0 offset:388
	buffer_load_dword v128, off, s[0:3], 0 offset:320
	buffer_load_dword v129, off, s[0:3], 0 offset:328
	buffer_load_dword v130, off, s[0:3], 0 offset:336
	buffer_load_dword v131, off, s[0:3], 0 offset:344
	buffer_load_dword v132, off, s[0:3], 0 offset:352
	buffer_load_dword v133, off, s[0:3], 0 offset:360
	buffer_load_dword v134, off, s[0:3], 0 offset:368
	buffer_load_dword v135, off, s[0:3], 0 offset:376
	buffer_load_dword v136, off, s[0:3], 0 offset:384
	buffer_load_dword v137, off, s[0:3], 0 offset:312
	buffer_load_dword v138, off, s[0:3], 0 offset:316
	v_mov_b32_e32 v1, 0
	ds_read_b128 v[2:5], v1 offset:720
	ds_read_b128 v[108:111], v1 offset:736
	;; [unrolled: 1-line block ×4, first 2 shown]
	ds_read_b64 v[6:7], v1 offset:784
	s_mov_b32 s4, exec_lo
	s_waitcnt vmcnt(19) lgkmcnt(4)
	v_mul_f32_e32 v139, v2, v8
	v_mul_f32_e32 v8, v3, v8
	s_waitcnt vmcnt(18)
	v_mul_f32_e32 v140, v4, v120
	v_mul_f32_e32 v120, v5, v120
	s_waitcnt vmcnt(17) lgkmcnt(3)
	v_mul_f32_e32 v141, v108, v121
	s_waitcnt vmcnt(16)
	v_mul_f32_e32 v142, v110, v122
	s_waitcnt vmcnt(15) lgkmcnt(2)
	v_mul_f32_e32 v143, v112, v123
	s_waitcnt vmcnt(14)
	;; [unrolled: 4-line block ×3, first 2 shown]
	v_fma_f32 v2, v2, v128, -v8
	v_fmac_f32_e32 v139, v3, v128
	v_mul_f32_e32 v3, v109, v121
	s_waitcnt vmcnt(9)
	v_fma_f32 v4, v4, v129, -v120
	v_fmac_f32_e32 v140, v5, v129
	v_add_f32_e32 v2, 0, v2
	v_add_f32_e32 v5, 0, v139
	v_mul_f32_e32 v8, v111, v122
	s_waitcnt vmcnt(8)
	v_fma_f32 v3, v108, v130, -v3
	v_fmac_f32_e32 v141, v109, v130
	v_add_f32_e32 v2, v2, v4
	v_add_f32_e32 v4, v5, v140
	;; [unrolled: 6-line block ×5, first 2 shown]
	v_mul_f32_e32 v5, v119, v126
	s_waitcnt vmcnt(4)
	v_fma_f32 v8, v116, v134, -v8
	v_mul_f32_e32 v146, v118, v126
	v_add_f32_e32 v2, v2, v4
	v_fmac_f32_e32 v145, v117, v134
	v_add_f32_e32 v3, v3, v144
	s_waitcnt lgkmcnt(0)
	v_mul_f32_e32 v4, v7, v127
	s_waitcnt vmcnt(3)
	v_fma_f32 v5, v118, v135, -v5
	v_add_f32_e32 v2, v2, v8
	v_mul_f32_e32 v147, v6, v127
	v_fmac_f32_e32 v146, v119, v135
	v_add_f32_e32 v3, v3, v145
	s_waitcnt vmcnt(2)
	v_fma_f32 v4, v6, v136, -v4
	v_add_f32_e32 v2, v2, v5
	v_fmac_f32_e32 v147, v7, v136
	v_add_f32_e32 v3, v3, v146
	v_add_f32_e32 v2, v2, v4
	;; [unrolled: 1-line block ×3, first 2 shown]
	s_waitcnt vmcnt(1)
	v_sub_f32_e32 v2, v137, v2
	s_waitcnt vmcnt(0)
	v_sub_f32_e32 v3, v138, v3
	buffer_store_dword v2, off, s[0:3], 0 offset:312
	buffer_store_dword v3, off, s[0:3], 0 offset:316
	v_cmpx_lt_u32_e32 38, v0
	s_cbranch_execz .LBB112_231
; %bb.230:
	s_clause 0x1
	buffer_load_dword v2, off, s[0:3], 0 offset:304
	buffer_load_dword v3, off, s[0:3], 0 offset:308
	buffer_store_dword v1, off, s[0:3], 0 offset:304
	buffer_store_dword v1, off, s[0:3], 0 offset:308
	s_waitcnt vmcnt(0)
	ds_write_b64 v107, v[2:3]
.LBB112_231:
	s_or_b32 exec_lo, exec_lo, s4
	s_waitcnt lgkmcnt(0)
	s_waitcnt_vscnt null, 0x0
	s_barrier
	buffer_gl0_inv
	s_clause 0x15
	buffer_load_dword v6, off, s[0:3], 0 offset:316
	buffer_load_dword v7, off, s[0:3], 0 offset:324
	;; [unrolled: 1-line block ×22, first 2 shown]
	ds_read2_b64 v[2:5], v1 offset0:89 offset1:90
	ds_read2_b64 v[108:111], v1 offset0:91 offset1:92
	;; [unrolled: 1-line block ×5, first 2 shown]
	s_mov_b32 s4, exec_lo
	s_waitcnt vmcnt(21) lgkmcnt(4)
	v_mul_f32_e32 v1, v2, v6
	v_mul_f32_e32 v6, v3, v6
	s_waitcnt vmcnt(20)
	v_mul_f32_e32 v143, v4, v7
	v_mul_f32_e32 v7, v5, v7
	s_waitcnt vmcnt(19) lgkmcnt(3)
	v_mul_f32_e32 v144, v108, v8
	s_waitcnt vmcnt(18)
	v_mul_f32_e32 v145, v110, v124
	s_waitcnt vmcnt(17) lgkmcnt(2)
	v_mul_f32_e32 v146, v112, v125
	s_waitcnt vmcnt(16)
	;; [unrolled: 4-line block ×3, first 2 shown]
	v_mul_f32_e32 v149, v118, v128
	s_waitcnt vmcnt(11)
	v_fma_f32 v2, v2, v131, -v6
	v_fmac_f32_e32 v1, v3, v131
	v_mul_f32_e32 v3, v109, v8
	s_waitcnt vmcnt(10)
	v_fma_f32 v4, v4, v132, -v7
	v_fmac_f32_e32 v143, v5, v132
	v_add_f32_e32 v2, 0, v2
	v_add_f32_e32 v1, 0, v1
	v_mul_f32_e32 v5, v111, v124
	s_waitcnt vmcnt(9)
	v_fma_f32 v3, v108, v133, -v3
	v_fmac_f32_e32 v144, v109, v133
	v_add_f32_e32 v2, v2, v4
	v_add_f32_e32 v1, v1, v143
	v_mul_f32_e32 v4, v113, v125
	s_waitcnt vmcnt(8)
	v_fma_f32 v5, v110, v134, -v5
	v_fmac_f32_e32 v145, v111, v134
	v_add_f32_e32 v2, v2, v3
	v_add_f32_e32 v1, v1, v144
	v_mul_f32_e32 v3, v115, v126
	s_waitcnt vmcnt(7)
	v_fma_f32 v4, v112, v135, -v4
	v_fmac_f32_e32 v146, v113, v135
	v_add_f32_e32 v2, v2, v5
	v_add_f32_e32 v1, v1, v145
	v_mul_f32_e32 v5, v117, v127
	s_waitcnt vmcnt(6)
	v_fma_f32 v3, v114, v136, -v3
	v_fmac_f32_e32 v147, v115, v136
	v_add_f32_e32 v2, v2, v4
	v_add_f32_e32 v1, v1, v146
	v_mul_f32_e32 v4, v119, v128
	s_waitcnt vmcnt(5)
	v_fma_f32 v5, v116, v137, -v5
	v_fmac_f32_e32 v148, v117, v137
	v_add_f32_e32 v2, v2, v3
	v_add_f32_e32 v1, v1, v147
	s_waitcnt lgkmcnt(0)
	v_mul_f32_e32 v3, v121, v129
	s_waitcnt vmcnt(4)
	v_fma_f32 v4, v118, v138, -v4
	v_mul_f32_e32 v150, v120, v129
	v_add_f32_e32 v2, v2, v5
	v_fmac_f32_e32 v149, v119, v138
	v_add_f32_e32 v1, v1, v148
	v_mul_f32_e32 v5, v123, v130
	s_waitcnt vmcnt(3)
	v_fma_f32 v3, v120, v139, -v3
	v_add_f32_e32 v2, v2, v4
	v_mul_f32_e32 v151, v122, v130
	v_fmac_f32_e32 v150, v121, v139
	v_add_f32_e32 v1, v1, v149
	s_waitcnt vmcnt(2)
	v_fma_f32 v4, v122, v140, -v5
	v_add_f32_e32 v2, v2, v3
	v_fmac_f32_e32 v151, v123, v140
	v_add_f32_e32 v1, v1, v150
	v_add_f32_e32 v2, v2, v4
	;; [unrolled: 1-line block ×3, first 2 shown]
	s_waitcnt vmcnt(1)
	v_sub_f32_e32 v2, v141, v2
	s_waitcnt vmcnt(0)
	v_sub_f32_e32 v1, v142, v1
	buffer_store_dword v2, off, s[0:3], 0 offset:304
	buffer_store_dword v1, off, s[0:3], 0 offset:308
	v_cmpx_lt_u32_e32 37, v0
	s_cbranch_execz .LBB112_233
; %bb.232:
	s_clause 0x1
	buffer_load_dword v1, off, s[0:3], 0 offset:296
	buffer_load_dword v2, off, s[0:3], 0 offset:300
	v_mov_b32_e32 v3, 0
	buffer_store_dword v3, off, s[0:3], 0 offset:296
	buffer_store_dword v3, off, s[0:3], 0 offset:300
	s_waitcnt vmcnt(0)
	ds_write_b64 v107, v[1:2]
.LBB112_233:
	s_or_b32 exec_lo, exec_lo, s4
	s_waitcnt lgkmcnt(0)
	s_waitcnt_vscnt null, 0x0
	s_barrier
	buffer_gl0_inv
	s_clause 0x17
	buffer_load_dword v8, off, s[0:3], 0 offset:308
	buffer_load_dword v124, off, s[0:3], 0 offset:316
	;; [unrolled: 1-line block ×24, first 2 shown]
	v_mov_b32_e32 v1, 0
	ds_read_b128 v[2:5], v1 offset:704
	ds_read_b128 v[108:111], v1 offset:720
	;; [unrolled: 1-line block ×5, first 2 shown]
	ds_read_b64 v[6:7], v1 offset:784
	s_mov_b32 s4, exec_lo
	s_waitcnt vmcnt(23) lgkmcnt(5)
	v_mul_f32_e32 v147, v2, v8
	v_mul_f32_e32 v8, v3, v8
	s_waitcnt vmcnt(22)
	v_mul_f32_e32 v148, v4, v124
	v_mul_f32_e32 v124, v5, v124
	s_waitcnt vmcnt(21) lgkmcnt(4)
	v_mul_f32_e32 v149, v108, v125
	s_waitcnt vmcnt(20)
	v_mul_f32_e32 v150, v110, v126
	s_waitcnt vmcnt(19) lgkmcnt(3)
	v_mul_f32_e32 v151, v112, v127
	s_waitcnt vmcnt(18)
	;; [unrolled: 4-line block ×4, first 2 shown]
	v_fma_f32 v2, v2, v134, -v8
	v_fmac_f32_e32 v147, v3, v134
	v_mul_f32_e32 v3, v109, v125
	s_waitcnt vmcnt(11)
	v_fma_f32 v4, v4, v135, -v124
	v_fmac_f32_e32 v148, v5, v135
	v_add_f32_e32 v2, 0, v2
	v_add_f32_e32 v5, 0, v147
	v_mul_f32_e32 v8, v111, v126
	s_waitcnt vmcnt(10)
	v_fma_f32 v3, v108, v136, -v3
	v_fmac_f32_e32 v149, v109, v136
	v_add_f32_e32 v2, v2, v4
	v_add_f32_e32 v4, v5, v148
	;; [unrolled: 6-line block ×7, first 2 shown]
	v_mul_f32_e32 v8, v123, v132
	s_waitcnt vmcnt(4)
	v_fma_f32 v4, v120, v142, -v4
	v_mul_f32_e32 v156, v122, v132
	v_add_f32_e32 v2, v2, v5
	v_fmac_f32_e32 v155, v121, v142
	v_add_f32_e32 v3, v3, v154
	s_waitcnt lgkmcnt(0)
	v_mul_f32_e32 v5, v7, v133
	s_waitcnt vmcnt(3)
	v_fma_f32 v8, v122, v143, -v8
	v_add_f32_e32 v2, v2, v4
	v_mul_f32_e32 v157, v6, v133
	v_fmac_f32_e32 v156, v123, v143
	v_add_f32_e32 v3, v3, v155
	s_waitcnt vmcnt(2)
	v_fma_f32 v4, v6, v144, -v5
	v_add_f32_e32 v2, v2, v8
	v_fmac_f32_e32 v157, v7, v144
	v_add_f32_e32 v3, v3, v156
	v_add_f32_e32 v2, v2, v4
	;; [unrolled: 1-line block ×3, first 2 shown]
	s_waitcnt vmcnt(1)
	v_sub_f32_e32 v2, v145, v2
	s_waitcnt vmcnt(0)
	v_sub_f32_e32 v3, v146, v3
	buffer_store_dword v2, off, s[0:3], 0 offset:296
	buffer_store_dword v3, off, s[0:3], 0 offset:300
	v_cmpx_lt_u32_e32 36, v0
	s_cbranch_execz .LBB112_235
; %bb.234:
	s_clause 0x1
	buffer_load_dword v2, off, s[0:3], 0 offset:288
	buffer_load_dword v3, off, s[0:3], 0 offset:292
	buffer_store_dword v1, off, s[0:3], 0 offset:288
	buffer_store_dword v1, off, s[0:3], 0 offset:292
	s_waitcnt vmcnt(0)
	ds_write_b64 v107, v[2:3]
.LBB112_235:
	s_or_b32 exec_lo, exec_lo, s4
	s_waitcnt lgkmcnt(0)
	s_waitcnt_vscnt null, 0x0
	s_barrier
	buffer_gl0_inv
	s_clause 0x19
	buffer_load_dword v6, off, s[0:3], 0 offset:300
	buffer_load_dword v7, off, s[0:3], 0 offset:308
	;; [unrolled: 1-line block ×26, first 2 shown]
	ds_read2_b64 v[2:5], v1 offset0:87 offset1:88
	ds_read2_b64 v[108:111], v1 offset0:89 offset1:90
	;; [unrolled: 1-line block ×6, first 2 shown]
	s_mov_b32 s4, exec_lo
	s_waitcnt vmcnt(25) lgkmcnt(5)
	v_mul_f32_e32 v1, v2, v6
	v_mul_f32_e32 v6, v3, v6
	s_waitcnt vmcnt(24)
	v_mul_f32_e32 v151, v4, v7
	v_mul_f32_e32 v7, v5, v7
	s_waitcnt vmcnt(23) lgkmcnt(4)
	v_mul_f32_e32 v152, v108, v8
	s_waitcnt vmcnt(22)
	v_mul_f32_e32 v153, v110, v128
	s_waitcnt vmcnt(21) lgkmcnt(3)
	v_mul_f32_e32 v154, v112, v129
	s_waitcnt vmcnt(20)
	;; [unrolled: 4-line block ×4, first 2 shown]
	v_mul_f32_e32 v159, v122, v134
	s_waitcnt vmcnt(13)
	v_fma_f32 v2, v2, v137, -v6
	v_fmac_f32_e32 v1, v3, v137
	v_mul_f32_e32 v3, v109, v8
	s_waitcnt vmcnt(12)
	v_fma_f32 v4, v4, v138, -v7
	v_fmac_f32_e32 v151, v5, v138
	v_add_f32_e32 v2, 0, v2
	v_add_f32_e32 v1, 0, v1
	v_mul_f32_e32 v5, v111, v128
	s_waitcnt vmcnt(11)
	v_fma_f32 v3, v108, v139, -v3
	v_fmac_f32_e32 v152, v109, v139
	v_add_f32_e32 v2, v2, v4
	v_add_f32_e32 v1, v1, v151
	v_mul_f32_e32 v4, v113, v129
	s_waitcnt vmcnt(10)
	v_fma_f32 v5, v110, v140, -v5
	v_fmac_f32_e32 v153, v111, v140
	v_add_f32_e32 v2, v2, v3
	v_add_f32_e32 v1, v1, v152
	v_mul_f32_e32 v3, v115, v130
	s_waitcnt vmcnt(9)
	v_fma_f32 v4, v112, v141, -v4
	v_fmac_f32_e32 v154, v113, v141
	v_add_f32_e32 v2, v2, v5
	v_add_f32_e32 v1, v1, v153
	v_mul_f32_e32 v5, v117, v131
	s_waitcnt vmcnt(8)
	v_fma_f32 v3, v114, v142, -v3
	v_fmac_f32_e32 v155, v115, v142
	v_add_f32_e32 v2, v2, v4
	v_add_f32_e32 v1, v1, v154
	v_mul_f32_e32 v4, v119, v132
	s_waitcnt vmcnt(7)
	v_fma_f32 v5, v116, v143, -v5
	v_fmac_f32_e32 v156, v117, v143
	v_add_f32_e32 v2, v2, v3
	v_add_f32_e32 v1, v1, v155
	v_mul_f32_e32 v3, v121, v133
	s_waitcnt vmcnt(6)
	v_fma_f32 v4, v118, v144, -v4
	v_fmac_f32_e32 v157, v119, v144
	v_add_f32_e32 v2, v2, v5
	v_add_f32_e32 v1, v1, v156
	v_mul_f32_e32 v5, v123, v134
	s_waitcnt vmcnt(5)
	v_fma_f32 v3, v120, v145, -v3
	v_fmac_f32_e32 v158, v121, v145
	v_add_f32_e32 v2, v2, v4
	v_add_f32_e32 v1, v1, v157
	s_waitcnt lgkmcnt(0)
	v_mul_f32_e32 v4, v125, v135
	s_waitcnt vmcnt(4)
	v_fma_f32 v5, v122, v146, -v5
	v_mul_f32_e32 v160, v124, v135
	v_add_f32_e32 v2, v2, v3
	v_fmac_f32_e32 v159, v123, v146
	v_add_f32_e32 v1, v1, v158
	v_mul_f32_e32 v3, v127, v136
	s_waitcnt vmcnt(3)
	v_fma_f32 v4, v124, v147, -v4
	v_add_f32_e32 v2, v2, v5
	v_mul_f32_e32 v161, v126, v136
	v_fmac_f32_e32 v160, v125, v147
	v_add_f32_e32 v1, v1, v159
	s_waitcnt vmcnt(2)
	v_fma_f32 v3, v126, v148, -v3
	v_add_f32_e32 v2, v2, v4
	v_fmac_f32_e32 v161, v127, v148
	v_add_f32_e32 v1, v1, v160
	v_add_f32_e32 v2, v2, v3
	;; [unrolled: 1-line block ×3, first 2 shown]
	s_waitcnt vmcnt(1)
	v_sub_f32_e32 v2, v149, v2
	s_waitcnt vmcnt(0)
	v_sub_f32_e32 v1, v150, v1
	buffer_store_dword v2, off, s[0:3], 0 offset:288
	buffer_store_dword v1, off, s[0:3], 0 offset:292
	v_cmpx_lt_u32_e32 35, v0
	s_cbranch_execz .LBB112_237
; %bb.236:
	s_clause 0x1
	buffer_load_dword v1, off, s[0:3], 0 offset:280
	buffer_load_dword v2, off, s[0:3], 0 offset:284
	v_mov_b32_e32 v3, 0
	buffer_store_dword v3, off, s[0:3], 0 offset:280
	buffer_store_dword v3, off, s[0:3], 0 offset:284
	s_waitcnt vmcnt(0)
	ds_write_b64 v107, v[1:2]
.LBB112_237:
	s_or_b32 exec_lo, exec_lo, s4
	s_waitcnt lgkmcnt(0)
	s_waitcnt_vscnt null, 0x0
	s_barrier
	buffer_gl0_inv
	s_clause 0x1b
	buffer_load_dword v8, off, s[0:3], 0 offset:292
	buffer_load_dword v128, off, s[0:3], 0 offset:300
	;; [unrolled: 1-line block ×28, first 2 shown]
	v_mov_b32_e32 v1, 0
	ds_read_b128 v[2:5], v1 offset:688
	ds_read_b128 v[108:111], v1 offset:704
	;; [unrolled: 1-line block ×6, first 2 shown]
	ds_read_b64 v[6:7], v1 offset:784
	s_mov_b32 s4, exec_lo
	s_waitcnt vmcnt(27) lgkmcnt(6)
	v_mul_f32_e32 v155, v2, v8
	v_mul_f32_e32 v8, v3, v8
	s_waitcnt vmcnt(26)
	v_mul_f32_e32 v156, v4, v128
	v_mul_f32_e32 v128, v5, v128
	s_waitcnt vmcnt(25) lgkmcnt(5)
	v_mul_f32_e32 v157, v108, v129
	s_waitcnt vmcnt(24)
	v_mul_f32_e32 v158, v110, v130
	s_waitcnt vmcnt(23) lgkmcnt(4)
	v_mul_f32_e32 v159, v112, v131
	s_waitcnt vmcnt(22)
	;; [unrolled: 4-line block ×5, first 2 shown]
	v_fma_f32 v2, v2, v140, -v8
	v_fmac_f32_e32 v155, v3, v140
	v_mul_f32_e32 v3, v109, v129
	s_waitcnt vmcnt(13)
	v_fma_f32 v4, v4, v141, -v128
	v_fmac_f32_e32 v156, v5, v141
	v_add_f32_e32 v2, 0, v2
	v_add_f32_e32 v5, 0, v155
	v_mul_f32_e32 v8, v111, v130
	s_waitcnt vmcnt(12)
	v_fma_f32 v3, v108, v142, -v3
	v_fmac_f32_e32 v157, v109, v142
	v_add_f32_e32 v2, v2, v4
	v_add_f32_e32 v4, v5, v156
	;; [unrolled: 6-line block ×9, first 2 shown]
	v_mul_f32_e32 v4, v127, v138
	s_waitcnt vmcnt(4)
	v_fma_f32 v5, v124, v150, -v5
	v_mul_f32_e32 v166, v126, v138
	v_add_f32_e32 v2, v2, v8
	v_fmac_f32_e32 v165, v125, v150
	v_add_f32_e32 v3, v3, v164
	s_waitcnt lgkmcnt(0)
	v_mul_f32_e32 v8, v7, v139
	s_waitcnt vmcnt(3)
	v_fma_f32 v4, v126, v151, -v4
	v_add_f32_e32 v2, v2, v5
	v_mul_f32_e32 v167, v6, v139
	v_fmac_f32_e32 v166, v127, v151
	v_add_f32_e32 v3, v3, v165
	s_waitcnt vmcnt(2)
	v_fma_f32 v5, v6, v152, -v8
	v_add_f32_e32 v2, v2, v4
	v_fmac_f32_e32 v167, v7, v152
	v_add_f32_e32 v3, v3, v166
	v_add_f32_e32 v2, v2, v5
	;; [unrolled: 1-line block ×3, first 2 shown]
	s_waitcnt vmcnt(1)
	v_sub_f32_e32 v2, v153, v2
	s_waitcnt vmcnt(0)
	v_sub_f32_e32 v3, v154, v3
	buffer_store_dword v2, off, s[0:3], 0 offset:280
	buffer_store_dword v3, off, s[0:3], 0 offset:284
	v_cmpx_lt_u32_e32 34, v0
	s_cbranch_execz .LBB112_239
; %bb.238:
	s_clause 0x1
	buffer_load_dword v2, off, s[0:3], 0 offset:272
	buffer_load_dword v3, off, s[0:3], 0 offset:276
	buffer_store_dword v1, off, s[0:3], 0 offset:272
	buffer_store_dword v1, off, s[0:3], 0 offset:276
	s_waitcnt vmcnt(0)
	ds_write_b64 v107, v[2:3]
.LBB112_239:
	s_or_b32 exec_lo, exec_lo, s4
	s_waitcnt lgkmcnt(0)
	s_waitcnt_vscnt null, 0x0
	s_barrier
	buffer_gl0_inv
	s_clause 0x1d
	buffer_load_dword v6, off, s[0:3], 0 offset:284
	buffer_load_dword v7, off, s[0:3], 0 offset:292
	;; [unrolled: 1-line block ×30, first 2 shown]
	ds_read2_b64 v[2:5], v1 offset0:85 offset1:86
	ds_read2_b64 v[108:111], v1 offset0:87 offset1:88
	;; [unrolled: 1-line block ×7, first 2 shown]
	s_mov_b32 s4, exec_lo
	s_waitcnt vmcnt(29) lgkmcnt(6)
	v_mul_f32_e32 v1, v2, v6
	v_mul_f32_e32 v6, v3, v6
	s_waitcnt vmcnt(28)
	v_mul_f32_e32 v159, v4, v7
	v_mul_f32_e32 v7, v5, v7
	s_waitcnt vmcnt(27) lgkmcnt(5)
	v_mul_f32_e32 v160, v108, v8
	s_waitcnt vmcnt(26)
	v_mul_f32_e32 v161, v110, v132
	s_waitcnt vmcnt(25) lgkmcnt(4)
	v_mul_f32_e32 v162, v112, v133
	s_waitcnt vmcnt(24)
	;; [unrolled: 4-line block ×5, first 2 shown]
	v_mul_f32_e32 v169, v126, v140
	s_waitcnt vmcnt(15)
	v_fma_f32 v2, v2, v143, -v6
	v_fmac_f32_e32 v1, v3, v143
	v_mul_f32_e32 v3, v109, v8
	s_waitcnt vmcnt(14)
	v_fma_f32 v4, v4, v144, -v7
	v_fmac_f32_e32 v159, v5, v144
	v_add_f32_e32 v2, 0, v2
	v_add_f32_e32 v1, 0, v1
	v_mul_f32_e32 v5, v111, v132
	s_waitcnt vmcnt(13)
	v_fma_f32 v3, v108, v145, -v3
	v_fmac_f32_e32 v160, v109, v145
	v_add_f32_e32 v2, v2, v4
	v_add_f32_e32 v1, v1, v159
	;; [unrolled: 6-line block ×10, first 2 shown]
	s_waitcnt lgkmcnt(0)
	v_mul_f32_e32 v5, v129, v141
	s_waitcnt vmcnt(4)
	v_fma_f32 v3, v126, v154, -v3
	v_mul_f32_e32 v170, v128, v141
	v_add_f32_e32 v2, v2, v4
	v_fmac_f32_e32 v169, v127, v154
	v_add_f32_e32 v1, v1, v168
	v_mul_f32_e32 v4, v131, v142
	s_waitcnt vmcnt(3)
	v_fma_f32 v5, v128, v155, -v5
	v_add_f32_e32 v2, v2, v3
	v_mul_f32_e32 v171, v130, v142
	v_fmac_f32_e32 v170, v129, v155
	v_add_f32_e32 v1, v1, v169
	s_waitcnt vmcnt(2)
	v_fma_f32 v3, v130, v156, -v4
	v_add_f32_e32 v2, v2, v5
	v_fmac_f32_e32 v171, v131, v156
	v_add_f32_e32 v1, v1, v170
	v_add_f32_e32 v2, v2, v3
	;; [unrolled: 1-line block ×3, first 2 shown]
	s_waitcnt vmcnt(1)
	v_sub_f32_e32 v2, v157, v2
	s_waitcnt vmcnt(0)
	v_sub_f32_e32 v1, v158, v1
	buffer_store_dword v2, off, s[0:3], 0 offset:272
	buffer_store_dword v1, off, s[0:3], 0 offset:276
	v_cmpx_lt_u32_e32 33, v0
	s_cbranch_execz .LBB112_241
; %bb.240:
	s_clause 0x1
	buffer_load_dword v1, off, s[0:3], 0 offset:264
	buffer_load_dword v2, off, s[0:3], 0 offset:268
	v_mov_b32_e32 v3, 0
	buffer_store_dword v3, off, s[0:3], 0 offset:264
	buffer_store_dword v3, off, s[0:3], 0 offset:268
	s_waitcnt vmcnt(0)
	ds_write_b64 v107, v[1:2]
.LBB112_241:
	s_or_b32 exec_lo, exec_lo, s4
	s_waitcnt lgkmcnt(0)
	s_waitcnt_vscnt null, 0x0
	s_barrier
	buffer_gl0_inv
	s_clause 0x1f
	buffer_load_dword v8, off, s[0:3], 0 offset:276
	buffer_load_dword v132, off, s[0:3], 0 offset:284
	;; [unrolled: 1-line block ×32, first 2 shown]
	v_mov_b32_e32 v1, 0
	ds_read_b128 v[2:5], v1 offset:672
	ds_read_b128 v[108:111], v1 offset:688
	;; [unrolled: 1-line block ×7, first 2 shown]
	ds_read_b64 v[6:7], v1 offset:784
	s_mov_b32 s4, exec_lo
	s_waitcnt vmcnt(31) lgkmcnt(7)
	v_mul_f32_e32 v163, v2, v8
	v_mul_f32_e32 v8, v3, v8
	s_waitcnt vmcnt(30)
	v_mul_f32_e32 v164, v4, v132
	v_mul_f32_e32 v132, v5, v132
	s_waitcnt vmcnt(29) lgkmcnt(6)
	v_mul_f32_e32 v165, v108, v133
	s_waitcnt vmcnt(28)
	v_mul_f32_e32 v166, v110, v134
	s_waitcnt vmcnt(27) lgkmcnt(5)
	v_mul_f32_e32 v167, v112, v135
	s_waitcnt vmcnt(26)
	;; [unrolled: 4-line block ×6, first 2 shown]
	v_fma_f32 v2, v2, v146, -v8
	v_fmac_f32_e32 v163, v3, v146
	v_mul_f32_e32 v3, v109, v133
	s_waitcnt vmcnt(15)
	v_fma_f32 v4, v4, v147, -v132
	v_fmac_f32_e32 v164, v5, v147
	v_add_f32_e32 v2, 0, v2
	v_add_f32_e32 v5, 0, v163
	v_mul_f32_e32 v8, v111, v134
	s_waitcnt vmcnt(14)
	v_fma_f32 v3, v108, v148, -v3
	v_fmac_f32_e32 v165, v109, v148
	v_add_f32_e32 v2, v2, v4
	v_add_f32_e32 v4, v5, v164
	;; [unrolled: 6-line block ×11, first 2 shown]
	v_mul_f32_e32 v5, v131, v144
	s_waitcnt vmcnt(4)
	v_fma_f32 v8, v128, v158, -v8
	v_mul_f32_e32 v176, v130, v144
	v_add_f32_e32 v2, v2, v4
	v_fmac_f32_e32 v175, v129, v158
	v_add_f32_e32 v3, v3, v174
	s_waitcnt lgkmcnt(0)
	v_mul_f32_e32 v4, v7, v145
	s_waitcnt vmcnt(3)
	v_fma_f32 v5, v130, v159, -v5
	v_add_f32_e32 v2, v2, v8
	v_mul_f32_e32 v177, v6, v145
	v_fmac_f32_e32 v176, v131, v159
	v_add_f32_e32 v3, v3, v175
	s_waitcnt vmcnt(2)
	v_fma_f32 v4, v6, v160, -v4
	v_add_f32_e32 v2, v2, v5
	v_fmac_f32_e32 v177, v7, v160
	v_add_f32_e32 v3, v3, v176
	v_add_f32_e32 v2, v2, v4
	;; [unrolled: 1-line block ×3, first 2 shown]
	s_waitcnt vmcnt(1)
	v_sub_f32_e32 v2, v161, v2
	s_waitcnt vmcnt(0)
	v_sub_f32_e32 v3, v162, v3
	buffer_store_dword v2, off, s[0:3], 0 offset:264
	buffer_store_dword v3, off, s[0:3], 0 offset:268
	v_cmpx_lt_u32_e32 32, v0
	s_cbranch_execz .LBB112_243
; %bb.242:
	s_clause 0x1
	buffer_load_dword v2, off, s[0:3], 0 offset:256
	buffer_load_dword v3, off, s[0:3], 0 offset:260
	buffer_store_dword v1, off, s[0:3], 0 offset:256
	buffer_store_dword v1, off, s[0:3], 0 offset:260
	s_waitcnt vmcnt(0)
	ds_write_b64 v107, v[2:3]
.LBB112_243:
	s_or_b32 exec_lo, exec_lo, s4
	s_waitcnt lgkmcnt(0)
	s_waitcnt_vscnt null, 0x0
	s_barrier
	buffer_gl0_inv
	s_clause 0x21
	buffer_load_dword v6, off, s[0:3], 0 offset:268
	buffer_load_dword v7, off, s[0:3], 0 offset:276
	buffer_load_dword v8, off, s[0:3], 0 offset:284
	buffer_load_dword v136, off, s[0:3], 0 offset:292
	buffer_load_dword v137, off, s[0:3], 0 offset:300
	buffer_load_dword v138, off, s[0:3], 0 offset:308
	buffer_load_dword v139, off, s[0:3], 0 offset:316
	buffer_load_dword v140, off, s[0:3], 0 offset:324
	buffer_load_dword v141, off, s[0:3], 0 offset:332
	buffer_load_dword v142, off, s[0:3], 0 offset:340
	buffer_load_dword v143, off, s[0:3], 0 offset:348
	buffer_load_dword v144, off, s[0:3], 0 offset:356
	buffer_load_dword v145, off, s[0:3], 0 offset:364
	buffer_load_dword v146, off, s[0:3], 0 offset:372
	buffer_load_dword v147, off, s[0:3], 0 offset:380
	buffer_load_dword v148, off, s[0:3], 0 offset:388
	buffer_load_dword v149, off, s[0:3], 0 offset:264
	buffer_load_dword v150, off, s[0:3], 0 offset:272
	buffer_load_dword v151, off, s[0:3], 0 offset:280
	buffer_load_dword v152, off, s[0:3], 0 offset:288
	buffer_load_dword v153, off, s[0:3], 0 offset:296
	buffer_load_dword v154, off, s[0:3], 0 offset:304
	buffer_load_dword v155, off, s[0:3], 0 offset:312
	buffer_load_dword v156, off, s[0:3], 0 offset:320
	buffer_load_dword v157, off, s[0:3], 0 offset:328
	buffer_load_dword v158, off, s[0:3], 0 offset:336
	buffer_load_dword v159, off, s[0:3], 0 offset:344
	buffer_load_dword v160, off, s[0:3], 0 offset:352
	buffer_load_dword v161, off, s[0:3], 0 offset:360
	buffer_load_dword v162, off, s[0:3], 0 offset:368
	buffer_load_dword v163, off, s[0:3], 0 offset:376
	buffer_load_dword v164, off, s[0:3], 0 offset:384
	buffer_load_dword v165, off, s[0:3], 0 offset:256
	buffer_load_dword v166, off, s[0:3], 0 offset:260
	ds_read2_b64 v[2:5], v1 offset0:83 offset1:84
	ds_read2_b64 v[108:111], v1 offset0:85 offset1:86
	;; [unrolled: 1-line block ×8, first 2 shown]
	s_mov_b32 s4, exec_lo
	s_waitcnt vmcnt(33) lgkmcnt(7)
	v_mul_f32_e32 v1, v2, v6
	v_mul_f32_e32 v6, v3, v6
	s_waitcnt vmcnt(32)
	v_mul_f32_e32 v167, v4, v7
	v_mul_f32_e32 v7, v5, v7
	s_waitcnt vmcnt(31) lgkmcnt(6)
	v_mul_f32_e32 v168, v108, v8
	s_waitcnt vmcnt(30)
	v_mul_f32_e32 v169, v110, v136
	s_waitcnt vmcnt(29) lgkmcnt(5)
	v_mul_f32_e32 v170, v112, v137
	s_waitcnt vmcnt(28)
	;; [unrolled: 4-line block ×6, first 2 shown]
	v_mul_f32_e32 v179, v130, v146
	s_waitcnt vmcnt(17)
	v_fma_f32 v2, v2, v149, -v6
	v_fmac_f32_e32 v1, v3, v149
	v_mul_f32_e32 v3, v109, v8
	s_waitcnt vmcnt(16)
	v_fma_f32 v4, v4, v150, -v7
	v_fmac_f32_e32 v167, v5, v150
	v_add_f32_e32 v2, 0, v2
	v_add_f32_e32 v1, 0, v1
	v_mul_f32_e32 v5, v111, v136
	s_waitcnt vmcnt(15)
	v_fma_f32 v3, v108, v151, -v3
	v_fmac_f32_e32 v168, v109, v151
	v_add_f32_e32 v2, v2, v4
	v_add_f32_e32 v1, v1, v167
	;; [unrolled: 6-line block ×12, first 2 shown]
	s_waitcnt lgkmcnt(0)
	v_mul_f32_e32 v3, v133, v147
	s_waitcnt vmcnt(4)
	v_fma_f32 v4, v130, v162, -v4
	v_mul_f32_e32 v180, v132, v147
	v_add_f32_e32 v2, v2, v5
	v_fmac_f32_e32 v179, v131, v162
	v_add_f32_e32 v1, v1, v178
	v_mul_f32_e32 v5, v135, v148
	s_waitcnt vmcnt(3)
	v_fma_f32 v3, v132, v163, -v3
	v_add_f32_e32 v2, v2, v4
	v_mul_f32_e32 v181, v134, v148
	v_fmac_f32_e32 v180, v133, v163
	v_add_f32_e32 v1, v1, v179
	s_waitcnt vmcnt(2)
	v_fma_f32 v4, v134, v164, -v5
	v_add_f32_e32 v2, v2, v3
	v_fmac_f32_e32 v181, v135, v164
	v_add_f32_e32 v1, v1, v180
	v_add_f32_e32 v2, v2, v4
	;; [unrolled: 1-line block ×3, first 2 shown]
	s_waitcnt vmcnt(1)
	v_sub_f32_e32 v2, v165, v2
	s_waitcnt vmcnt(0)
	v_sub_f32_e32 v1, v166, v1
	buffer_store_dword v2, off, s[0:3], 0 offset:256
	buffer_store_dword v1, off, s[0:3], 0 offset:260
	v_cmpx_lt_u32_e32 31, v0
	s_cbranch_execz .LBB112_245
; %bb.244:
	s_clause 0x1
	buffer_load_dword v1, off, s[0:3], 0 offset:248
	buffer_load_dword v2, off, s[0:3], 0 offset:252
	v_mov_b32_e32 v3, 0
	buffer_store_dword v3, off, s[0:3], 0 offset:248
	buffer_store_dword v3, off, s[0:3], 0 offset:252
	s_waitcnt vmcnt(0)
	ds_write_b64 v107, v[1:2]
.LBB112_245:
	s_or_b32 exec_lo, exec_lo, s4
	s_waitcnt lgkmcnt(0)
	s_waitcnt_vscnt null, 0x0
	s_barrier
	buffer_gl0_inv
	s_clause 0x23
	buffer_load_dword v8, off, s[0:3], 0 offset:260
	buffer_load_dword v136, off, s[0:3], 0 offset:268
	buffer_load_dword v137, off, s[0:3], 0 offset:276
	buffer_load_dword v138, off, s[0:3], 0 offset:284
	buffer_load_dword v139, off, s[0:3], 0 offset:292
	buffer_load_dword v140, off, s[0:3], 0 offset:300
	buffer_load_dword v141, off, s[0:3], 0 offset:308
	buffer_load_dword v142, off, s[0:3], 0 offset:316
	buffer_load_dword v143, off, s[0:3], 0 offset:324
	buffer_load_dword v144, off, s[0:3], 0 offset:332
	buffer_load_dword v145, off, s[0:3], 0 offset:340
	buffer_load_dword v146, off, s[0:3], 0 offset:348
	buffer_load_dword v147, off, s[0:3], 0 offset:356
	buffer_load_dword v148, off, s[0:3], 0 offset:364
	buffer_load_dword v149, off, s[0:3], 0 offset:372
	buffer_load_dword v150, off, s[0:3], 0 offset:380
	buffer_load_dword v151, off, s[0:3], 0 offset:388
	buffer_load_dword v152, off, s[0:3], 0 offset:256
	buffer_load_dword v153, off, s[0:3], 0 offset:264
	buffer_load_dword v154, off, s[0:3], 0 offset:272
	buffer_load_dword v155, off, s[0:3], 0 offset:280
	buffer_load_dword v156, off, s[0:3], 0 offset:288
	buffer_load_dword v157, off, s[0:3], 0 offset:296
	buffer_load_dword v158, off, s[0:3], 0 offset:304
	buffer_load_dword v159, off, s[0:3], 0 offset:312
	buffer_load_dword v160, off, s[0:3], 0 offset:320
	buffer_load_dword v161, off, s[0:3], 0 offset:328
	buffer_load_dword v162, off, s[0:3], 0 offset:336
	buffer_load_dword v163, off, s[0:3], 0 offset:344
	buffer_load_dword v164, off, s[0:3], 0 offset:352
	buffer_load_dword v165, off, s[0:3], 0 offset:360
	buffer_load_dword v166, off, s[0:3], 0 offset:368
	buffer_load_dword v167, off, s[0:3], 0 offset:376
	buffer_load_dword v168, off, s[0:3], 0 offset:384
	buffer_load_dword v169, off, s[0:3], 0 offset:248
	buffer_load_dword v170, off, s[0:3], 0 offset:252
	v_mov_b32_e32 v1, 0
	ds_read_b128 v[2:5], v1 offset:656
	ds_read_b128 v[108:111], v1 offset:672
	;; [unrolled: 1-line block ×8, first 2 shown]
	ds_read_b64 v[6:7], v1 offset:784
	s_mov_b32 s4, exec_lo
	s_waitcnt vmcnt(35) lgkmcnt(8)
	v_mul_f32_e32 v171, v2, v8
	v_mul_f32_e32 v8, v3, v8
	s_waitcnt vmcnt(34)
	v_mul_f32_e32 v172, v4, v136
	v_mul_f32_e32 v136, v5, v136
	s_waitcnt vmcnt(33) lgkmcnt(7)
	v_mul_f32_e32 v173, v108, v137
	s_waitcnt vmcnt(32)
	v_mul_f32_e32 v174, v110, v138
	s_waitcnt vmcnt(31) lgkmcnt(6)
	v_mul_f32_e32 v175, v112, v139
	s_waitcnt vmcnt(30)
	;; [unrolled: 4-line block ×7, first 2 shown]
	v_fma_f32 v2, v2, v152, -v8
	v_fmac_f32_e32 v171, v3, v152
	v_mul_f32_e32 v3, v109, v137
	s_waitcnt vmcnt(17)
	v_fma_f32 v4, v4, v153, -v136
	v_fmac_f32_e32 v172, v5, v153
	v_add_f32_e32 v2, 0, v2
	v_add_f32_e32 v5, 0, v171
	v_mul_f32_e32 v8, v111, v138
	s_waitcnt vmcnt(16)
	v_fma_f32 v3, v108, v154, -v3
	v_fmac_f32_e32 v173, v109, v154
	v_add_f32_e32 v2, v2, v4
	v_add_f32_e32 v4, v5, v172
	v_mul_f32_e32 v5, v113, v139
	s_waitcnt vmcnt(15)
	v_fma_f32 v8, v110, v155, -v8
	v_fmac_f32_e32 v174, v111, v155
	v_add_f32_e32 v2, v2, v3
	v_add_f32_e32 v3, v4, v173
	v_mul_f32_e32 v4, v115, v140
	s_waitcnt vmcnt(14)
	v_fma_f32 v5, v112, v156, -v5
	v_fmac_f32_e32 v175, v113, v156
	v_add_f32_e32 v2, v2, v8
	v_add_f32_e32 v3, v3, v174
	v_mul_f32_e32 v8, v117, v141
	s_waitcnt vmcnt(13)
	v_fma_f32 v4, v114, v157, -v4
	v_fmac_f32_e32 v176, v115, v157
	v_add_f32_e32 v2, v2, v5
	v_add_f32_e32 v3, v3, v175
	v_mul_f32_e32 v5, v119, v142
	s_waitcnt vmcnt(12)
	v_fma_f32 v8, v116, v158, -v8
	v_fmac_f32_e32 v177, v117, v158
	v_add_f32_e32 v2, v2, v4
	v_add_f32_e32 v3, v3, v176
	v_mul_f32_e32 v4, v121, v143
	s_waitcnt vmcnt(11)
	v_fma_f32 v5, v118, v159, -v5
	v_fmac_f32_e32 v178, v119, v159
	v_add_f32_e32 v2, v2, v8
	v_add_f32_e32 v3, v3, v177
	v_mul_f32_e32 v8, v123, v144
	s_waitcnt vmcnt(10)
	v_fma_f32 v4, v120, v160, -v4
	v_fmac_f32_e32 v179, v121, v160
	v_add_f32_e32 v2, v2, v5
	v_add_f32_e32 v3, v3, v178
	v_mul_f32_e32 v5, v125, v145
	s_waitcnt vmcnt(9)
	v_fma_f32 v8, v122, v161, -v8
	v_fmac_f32_e32 v180, v123, v161
	v_add_f32_e32 v2, v2, v4
	v_add_f32_e32 v3, v3, v179
	v_mul_f32_e32 v4, v127, v146
	s_waitcnt vmcnt(8)
	v_fma_f32 v5, v124, v162, -v5
	v_fmac_f32_e32 v181, v125, v162
	v_add_f32_e32 v2, v2, v8
	v_add_f32_e32 v3, v3, v180
	v_mul_f32_e32 v8, v129, v147
	s_waitcnt vmcnt(7)
	v_fma_f32 v4, v126, v163, -v4
	v_fmac_f32_e32 v182, v127, v163
	v_add_f32_e32 v2, v2, v5
	v_add_f32_e32 v3, v3, v181
	v_mul_f32_e32 v5, v131, v148
	s_waitcnt vmcnt(6)
	v_fma_f32 v8, v128, v164, -v8
	v_fmac_f32_e32 v183, v129, v164
	v_add_f32_e32 v2, v2, v4
	v_add_f32_e32 v3, v3, v182
	v_mul_f32_e32 v4, v133, v149
	s_waitcnt vmcnt(5)
	v_fma_f32 v5, v130, v165, -v5
	v_fmac_f32_e32 v184, v131, v165
	v_add_f32_e32 v2, v2, v8
	v_add_f32_e32 v3, v3, v183
	v_mul_f32_e32 v8, v135, v150
	s_waitcnt vmcnt(4)
	v_fma_f32 v4, v132, v166, -v4
	v_mul_f32_e32 v186, v134, v150
	v_add_f32_e32 v2, v2, v5
	v_fmac_f32_e32 v185, v133, v166
	v_add_f32_e32 v3, v3, v184
	s_waitcnt lgkmcnt(0)
	v_mul_f32_e32 v5, v7, v151
	s_waitcnt vmcnt(3)
	v_fma_f32 v8, v134, v167, -v8
	v_add_f32_e32 v2, v2, v4
	v_mul_f32_e32 v187, v6, v151
	v_fmac_f32_e32 v186, v135, v167
	v_add_f32_e32 v3, v3, v185
	s_waitcnt vmcnt(2)
	v_fma_f32 v4, v6, v168, -v5
	v_add_f32_e32 v2, v2, v8
	v_fmac_f32_e32 v187, v7, v168
	v_add_f32_e32 v3, v3, v186
	v_add_f32_e32 v2, v2, v4
	;; [unrolled: 1-line block ×3, first 2 shown]
	s_waitcnt vmcnt(1)
	v_sub_f32_e32 v2, v169, v2
	s_waitcnt vmcnt(0)
	v_sub_f32_e32 v3, v170, v3
	buffer_store_dword v2, off, s[0:3], 0 offset:248
	buffer_store_dword v3, off, s[0:3], 0 offset:252
	v_cmpx_lt_u32_e32 30, v0
	s_cbranch_execz .LBB112_247
; %bb.246:
	s_clause 0x1
	buffer_load_dword v2, off, s[0:3], 0 offset:240
	buffer_load_dword v3, off, s[0:3], 0 offset:244
	buffer_store_dword v1, off, s[0:3], 0 offset:240
	buffer_store_dword v1, off, s[0:3], 0 offset:244
	s_waitcnt vmcnt(0)
	ds_write_b64 v107, v[2:3]
.LBB112_247:
	s_or_b32 exec_lo, exec_lo, s4
	s_waitcnt lgkmcnt(0)
	s_waitcnt_vscnt null, 0x0
	s_barrier
	buffer_gl0_inv
	s_clause 0x25
	buffer_load_dword v6, off, s[0:3], 0 offset:252
	buffer_load_dword v7, off, s[0:3], 0 offset:260
	;; [unrolled: 1-line block ×38, first 2 shown]
	ds_read2_b64 v[2:5], v1 offset0:81 offset1:82
	ds_read2_b64 v[108:111], v1 offset0:83 offset1:84
	;; [unrolled: 1-line block ×9, first 2 shown]
	s_mov_b32 s4, exec_lo
	s_waitcnt vmcnt(37) lgkmcnt(8)
	v_mul_f32_e32 v1, v2, v6
	v_mul_f32_e32 v6, v3, v6
	s_waitcnt vmcnt(36)
	v_mul_f32_e32 v175, v4, v7
	v_mul_f32_e32 v7, v5, v7
	s_waitcnt vmcnt(35) lgkmcnt(7)
	v_mul_f32_e32 v176, v108, v8
	s_waitcnt vmcnt(34)
	v_mul_f32_e32 v177, v110, v140
	s_waitcnt vmcnt(33) lgkmcnt(6)
	v_mul_f32_e32 v178, v112, v141
	s_waitcnt vmcnt(32)
	;; [unrolled: 4-line block ×7, first 2 shown]
	v_mul_f32_e32 v189, v134, v152
	s_waitcnt vmcnt(19)
	v_fma_f32 v2, v2, v155, -v6
	v_fmac_f32_e32 v1, v3, v155
	v_mul_f32_e32 v3, v109, v8
	s_waitcnt vmcnt(18)
	v_fma_f32 v4, v4, v156, -v7
	v_fmac_f32_e32 v175, v5, v156
	v_add_f32_e32 v2, 0, v2
	v_add_f32_e32 v1, 0, v1
	v_mul_f32_e32 v5, v111, v140
	s_waitcnt vmcnt(17)
	v_fma_f32 v3, v108, v157, -v3
	v_fmac_f32_e32 v176, v109, v157
	v_add_f32_e32 v2, v2, v4
	v_add_f32_e32 v1, v1, v175
	;; [unrolled: 6-line block ×14, first 2 shown]
	s_waitcnt lgkmcnt(0)
	v_mul_f32_e32 v4, v137, v153
	s_waitcnt vmcnt(4)
	v_fma_f32 v5, v134, v170, -v5
	v_mul_f32_e32 v190, v136, v153
	v_add_f32_e32 v2, v2, v3
	v_fmac_f32_e32 v189, v135, v170
	v_add_f32_e32 v1, v1, v188
	v_mul_f32_e32 v3, v139, v154
	s_waitcnt vmcnt(3)
	v_fma_f32 v4, v136, v171, -v4
	v_add_f32_e32 v2, v2, v5
	v_mul_f32_e32 v191, v138, v154
	v_fmac_f32_e32 v190, v137, v171
	v_add_f32_e32 v1, v1, v189
	s_waitcnt vmcnt(2)
	v_fma_f32 v3, v138, v172, -v3
	v_add_f32_e32 v2, v2, v4
	v_fmac_f32_e32 v191, v139, v172
	v_add_f32_e32 v1, v1, v190
	v_add_f32_e32 v2, v2, v3
	;; [unrolled: 1-line block ×3, first 2 shown]
	s_waitcnt vmcnt(1)
	v_sub_f32_e32 v2, v173, v2
	s_waitcnt vmcnt(0)
	v_sub_f32_e32 v1, v174, v1
	buffer_store_dword v2, off, s[0:3], 0 offset:240
	buffer_store_dword v1, off, s[0:3], 0 offset:244
	v_cmpx_lt_u32_e32 29, v0
	s_cbranch_execz .LBB112_249
; %bb.248:
	s_clause 0x1
	buffer_load_dword v1, off, s[0:3], 0 offset:232
	buffer_load_dword v2, off, s[0:3], 0 offset:236
	v_mov_b32_e32 v3, 0
	buffer_store_dword v3, off, s[0:3], 0 offset:232
	buffer_store_dword v3, off, s[0:3], 0 offset:236
	s_waitcnt vmcnt(0)
	ds_write_b64 v107, v[1:2]
.LBB112_249:
	s_or_b32 exec_lo, exec_lo, s4
	s_waitcnt lgkmcnt(0)
	s_waitcnt_vscnt null, 0x0
	s_barrier
	buffer_gl0_inv
	s_clause 0x27
	buffer_load_dword v8, off, s[0:3], 0 offset:244
	buffer_load_dword v140, off, s[0:3], 0 offset:252
	;; [unrolled: 1-line block ×40, first 2 shown]
	v_mov_b32_e32 v1, 0
	ds_read_b128 v[2:5], v1 offset:640
	ds_read_b128 v[108:111], v1 offset:656
	;; [unrolled: 1-line block ×9, first 2 shown]
	ds_read_b64 v[6:7], v1 offset:784
	s_mov_b32 s4, exec_lo
	s_waitcnt vmcnt(39) lgkmcnt(9)
	v_mul_f32_e32 v179, v2, v8
	v_mul_f32_e32 v8, v3, v8
	s_waitcnt vmcnt(38)
	v_mul_f32_e32 v180, v4, v140
	v_mul_f32_e32 v140, v5, v140
	s_waitcnt vmcnt(37) lgkmcnt(8)
	v_mul_f32_e32 v181, v108, v141
	s_waitcnt vmcnt(36)
	v_mul_f32_e32 v182, v110, v142
	s_waitcnt vmcnt(35) lgkmcnt(7)
	v_mul_f32_e32 v183, v112, v143
	s_waitcnt vmcnt(34)
	v_mul_f32_e32 v184, v114, v144
	s_waitcnt vmcnt(33) lgkmcnt(6)
	v_mul_f32_e32 v185, v116, v145
	s_waitcnt vmcnt(32)
	v_mul_f32_e32 v186, v118, v146
	s_waitcnt vmcnt(31) lgkmcnt(5)
	v_mul_f32_e32 v187, v120, v147
	s_waitcnt vmcnt(30)
	v_mul_f32_e32 v188, v122, v148
	s_waitcnt vmcnt(29) lgkmcnt(4)
	v_mul_f32_e32 v189, v124, v149
	s_waitcnt vmcnt(28)
	v_mul_f32_e32 v190, v126, v150
	s_waitcnt vmcnt(27) lgkmcnt(3)
	v_mul_f32_e32 v191, v128, v151
	s_waitcnt vmcnt(26)
	v_mul_f32_e32 v192, v130, v152
	s_waitcnt vmcnt(25) lgkmcnt(2)
	v_mul_f32_e32 v193, v132, v153
	s_waitcnt vmcnt(24)
	v_mul_f32_e32 v194, v134, v154
	s_waitcnt vmcnt(23) lgkmcnt(1)
	v_mul_f32_e32 v195, v136, v155
	s_waitcnt vmcnt(20)
	v_fma_f32 v2, v2, v158, -v8
	v_fmac_f32_e32 v179, v3, v158
	v_mul_f32_e32 v3, v109, v141
	s_waitcnt vmcnt(19)
	v_fma_f32 v4, v4, v159, -v140
	v_fmac_f32_e32 v180, v5, v159
	v_add_f32_e32 v2, 0, v2
	v_add_f32_e32 v5, 0, v179
	v_mul_f32_e32 v8, v111, v142
	s_waitcnt vmcnt(18)
	v_fma_f32 v3, v108, v160, -v3
	v_fmac_f32_e32 v181, v109, v160
	v_add_f32_e32 v2, v2, v4
	v_add_f32_e32 v4, v5, v180
	;; [unrolled: 6-line block ×15, first 2 shown]
	v_mul_f32_e32 v4, v139, v156
	s_waitcnt vmcnt(4)
	v_fma_f32 v5, v136, v174, -v5
	v_mul_f32_e32 v196, v138, v156
	v_add_f32_e32 v2, v2, v8
	v_fmac_f32_e32 v195, v137, v174
	v_add_f32_e32 v3, v3, v194
	s_waitcnt lgkmcnt(0)
	v_mul_f32_e32 v8, v7, v157
	s_waitcnt vmcnt(3)
	v_fma_f32 v4, v138, v175, -v4
	v_add_f32_e32 v2, v2, v5
	v_mul_f32_e32 v197, v6, v157
	v_fmac_f32_e32 v196, v139, v175
	v_add_f32_e32 v3, v3, v195
	s_waitcnt vmcnt(2)
	v_fma_f32 v5, v6, v176, -v8
	v_add_f32_e32 v2, v2, v4
	v_fmac_f32_e32 v197, v7, v176
	v_add_f32_e32 v3, v3, v196
	v_add_f32_e32 v2, v2, v5
	;; [unrolled: 1-line block ×3, first 2 shown]
	s_waitcnt vmcnt(1)
	v_sub_f32_e32 v2, v177, v2
	s_waitcnt vmcnt(0)
	v_sub_f32_e32 v3, v178, v3
	buffer_store_dword v2, off, s[0:3], 0 offset:232
	buffer_store_dword v3, off, s[0:3], 0 offset:236
	v_cmpx_lt_u32_e32 28, v0
	s_cbranch_execz .LBB112_251
; %bb.250:
	s_clause 0x1
	buffer_load_dword v2, off, s[0:3], 0 offset:224
	buffer_load_dword v3, off, s[0:3], 0 offset:228
	buffer_store_dword v1, off, s[0:3], 0 offset:224
	buffer_store_dword v1, off, s[0:3], 0 offset:228
	s_waitcnt vmcnt(0)
	ds_write_b64 v107, v[2:3]
.LBB112_251:
	s_or_b32 exec_lo, exec_lo, s4
	s_waitcnt lgkmcnt(0)
	s_waitcnt_vscnt null, 0x0
	s_barrier
	buffer_gl0_inv
	s_clause 0x29
	buffer_load_dword v6, off, s[0:3], 0 offset:236
	buffer_load_dword v7, off, s[0:3], 0 offset:244
	;; [unrolled: 1-line block ×42, first 2 shown]
	ds_read2_b64 v[2:5], v1 offset0:79 offset1:80
	ds_read2_b64 v[108:111], v1 offset0:81 offset1:82
	;; [unrolled: 1-line block ×10, first 2 shown]
	s_mov_b32 s4, exec_lo
	s_waitcnt vmcnt(41) lgkmcnt(9)
	v_mul_f32_e32 v1, v2, v6
	v_mul_f32_e32 v6, v3, v6
	s_waitcnt vmcnt(40)
	v_mul_f32_e32 v183, v4, v7
	v_mul_f32_e32 v7, v5, v7
	s_waitcnt vmcnt(39) lgkmcnt(8)
	v_mul_f32_e32 v184, v108, v8
	s_waitcnt vmcnt(38)
	v_mul_f32_e32 v185, v110, v144
	s_waitcnt vmcnt(37) lgkmcnt(7)
	v_mul_f32_e32 v186, v112, v145
	s_waitcnt vmcnt(36)
	;; [unrolled: 4-line block ×8, first 2 shown]
	v_mul_f32_e32 v199, v138, v158
	s_waitcnt vmcnt(21)
	v_fma_f32 v2, v2, v161, -v6
	v_fmac_f32_e32 v1, v3, v161
	v_mul_f32_e32 v3, v109, v8
	s_waitcnt vmcnt(20)
	v_fma_f32 v4, v4, v162, -v7
	v_fmac_f32_e32 v183, v5, v162
	v_add_f32_e32 v2, 0, v2
	v_add_f32_e32 v1, 0, v1
	v_mul_f32_e32 v5, v111, v144
	s_waitcnt vmcnt(19)
	v_fma_f32 v3, v108, v163, -v3
	v_fmac_f32_e32 v184, v109, v163
	v_add_f32_e32 v2, v2, v4
	v_add_f32_e32 v1, v1, v183
	;; [unrolled: 6-line block ×16, first 2 shown]
	s_waitcnt lgkmcnt(0)
	v_mul_f32_e32 v5, v141, v159
	s_waitcnt vmcnt(4)
	v_fma_f32 v3, v138, v178, -v3
	v_mul_f32_e32 v200, v140, v159
	v_add_f32_e32 v2, v2, v4
	v_fmac_f32_e32 v199, v139, v178
	v_add_f32_e32 v1, v1, v198
	v_mul_f32_e32 v4, v143, v160
	s_waitcnt vmcnt(3)
	v_fma_f32 v5, v140, v179, -v5
	v_add_f32_e32 v2, v2, v3
	v_mul_f32_e32 v201, v142, v160
	v_fmac_f32_e32 v200, v141, v179
	v_add_f32_e32 v1, v1, v199
	s_waitcnt vmcnt(2)
	v_fma_f32 v3, v142, v180, -v4
	v_add_f32_e32 v2, v2, v5
	v_fmac_f32_e32 v201, v143, v180
	v_add_f32_e32 v1, v1, v200
	v_add_f32_e32 v2, v2, v3
	;; [unrolled: 1-line block ×3, first 2 shown]
	s_waitcnt vmcnt(1)
	v_sub_f32_e32 v2, v181, v2
	s_waitcnt vmcnt(0)
	v_sub_f32_e32 v1, v182, v1
	buffer_store_dword v2, off, s[0:3], 0 offset:224
	buffer_store_dword v1, off, s[0:3], 0 offset:228
	v_cmpx_lt_u32_e32 27, v0
	s_cbranch_execz .LBB112_253
; %bb.252:
	s_clause 0x1
	buffer_load_dword v1, off, s[0:3], 0 offset:216
	buffer_load_dword v2, off, s[0:3], 0 offset:220
	v_mov_b32_e32 v3, 0
	buffer_store_dword v3, off, s[0:3], 0 offset:216
	buffer_store_dword v3, off, s[0:3], 0 offset:220
	s_waitcnt vmcnt(0)
	ds_write_b64 v107, v[1:2]
.LBB112_253:
	s_or_b32 exec_lo, exec_lo, s4
	s_waitcnt lgkmcnt(0)
	s_waitcnt_vscnt null, 0x0
	s_barrier
	buffer_gl0_inv
	s_clause 0x2b
	buffer_load_dword v8, off, s[0:3], 0 offset:228
	buffer_load_dword v144, off, s[0:3], 0 offset:236
	;; [unrolled: 1-line block ×44, first 2 shown]
	v_mov_b32_e32 v1, 0
	ds_read_b128 v[2:5], v1 offset:624
	ds_read_b128 v[108:111], v1 offset:640
	ds_read_b128 v[112:115], v1 offset:656
	ds_read_b128 v[116:119], v1 offset:672
	ds_read_b128 v[120:123], v1 offset:688
	ds_read_b128 v[124:127], v1 offset:704
	ds_read_b128 v[128:131], v1 offset:720
	ds_read_b128 v[132:135], v1 offset:736
	ds_read_b128 v[136:139], v1 offset:752
	ds_read_b128 v[140:143], v1 offset:768
	ds_read_b64 v[6:7], v1 offset:784
	s_mov_b32 s4, exec_lo
	s_waitcnt vmcnt(43) lgkmcnt(10)
	v_mul_f32_e32 v187, v2, v8
	v_mul_f32_e32 v8, v3, v8
	s_waitcnt vmcnt(42)
	v_mul_f32_e32 v188, v4, v144
	v_mul_f32_e32 v144, v5, v144
	s_waitcnt vmcnt(41) lgkmcnt(9)
	v_mul_f32_e32 v189, v108, v145
	s_waitcnt vmcnt(40)
	v_mul_f32_e32 v190, v110, v146
	s_waitcnt vmcnt(39) lgkmcnt(8)
	v_mul_f32_e32 v191, v112, v147
	s_waitcnt vmcnt(38)
	v_mul_f32_e32 v192, v114, v148
	s_waitcnt vmcnt(37) lgkmcnt(7)
	v_mul_f32_e32 v193, v116, v149
	s_waitcnt vmcnt(36)
	v_mul_f32_e32 v194, v118, v150
	s_waitcnt vmcnt(35) lgkmcnt(6)
	v_mul_f32_e32 v195, v120, v151
	s_waitcnt vmcnt(34)
	v_mul_f32_e32 v196, v122, v152
	s_waitcnt vmcnt(33) lgkmcnt(5)
	v_mul_f32_e32 v197, v124, v153
	s_waitcnt vmcnt(32)
	v_mul_f32_e32 v198, v126, v154
	s_waitcnt vmcnt(31) lgkmcnt(4)
	v_mul_f32_e32 v199, v128, v155
	s_waitcnt vmcnt(30)
	v_mul_f32_e32 v200, v130, v156
	s_waitcnt vmcnt(29) lgkmcnt(3)
	v_mul_f32_e32 v201, v132, v157
	s_waitcnt vmcnt(28)
	v_mul_f32_e32 v202, v134, v158
	s_waitcnt vmcnt(27) lgkmcnt(2)
	v_mul_f32_e32 v203, v136, v159
	s_waitcnt vmcnt(26)
	v_mul_f32_e32 v204, v138, v160
	s_waitcnt vmcnt(25) lgkmcnt(1)
	v_mul_f32_e32 v205, v140, v161
	s_waitcnt vmcnt(22)
	v_fma_f32 v2, v2, v164, -v8
	v_fmac_f32_e32 v187, v3, v164
	v_mul_f32_e32 v3, v109, v145
	s_waitcnt vmcnt(21)
	v_fma_f32 v4, v4, v165, -v144
	v_fmac_f32_e32 v188, v5, v165
	v_add_f32_e32 v2, 0, v2
	v_add_f32_e32 v5, 0, v187
	v_mul_f32_e32 v8, v111, v146
	s_waitcnt vmcnt(20)
	v_fma_f32 v3, v108, v166, -v3
	v_fmac_f32_e32 v189, v109, v166
	v_add_f32_e32 v2, v2, v4
	v_add_f32_e32 v4, v5, v188
	;; [unrolled: 6-line block ×17, first 2 shown]
	v_mul_f32_e32 v5, v143, v162
	s_waitcnt vmcnt(4)
	v_fma_f32 v8, v140, v182, -v8
	v_mul_f32_e32 v206, v142, v162
	v_add_f32_e32 v2, v2, v4
	v_fmac_f32_e32 v205, v141, v182
	v_add_f32_e32 v3, v3, v204
	s_waitcnt lgkmcnt(0)
	v_mul_f32_e32 v4, v7, v163
	s_waitcnt vmcnt(3)
	v_fma_f32 v5, v142, v183, -v5
	v_add_f32_e32 v2, v2, v8
	v_mul_f32_e32 v207, v6, v163
	v_fmac_f32_e32 v206, v143, v183
	v_add_f32_e32 v3, v3, v205
	s_waitcnt vmcnt(2)
	v_fma_f32 v4, v6, v184, -v4
	v_add_f32_e32 v2, v2, v5
	v_fmac_f32_e32 v207, v7, v184
	v_add_f32_e32 v3, v3, v206
	v_add_f32_e32 v2, v2, v4
	;; [unrolled: 1-line block ×3, first 2 shown]
	s_waitcnt vmcnt(1)
	v_sub_f32_e32 v2, v185, v2
	s_waitcnt vmcnt(0)
	v_sub_f32_e32 v3, v186, v3
	buffer_store_dword v2, off, s[0:3], 0 offset:216
	buffer_store_dword v3, off, s[0:3], 0 offset:220
	v_cmpx_lt_u32_e32 26, v0
	s_cbranch_execz .LBB112_255
; %bb.254:
	s_clause 0x1
	buffer_load_dword v2, off, s[0:3], 0 offset:208
	buffer_load_dword v3, off, s[0:3], 0 offset:212
	buffer_store_dword v1, off, s[0:3], 0 offset:208
	buffer_store_dword v1, off, s[0:3], 0 offset:212
	s_waitcnt vmcnt(0)
	ds_write_b64 v107, v[2:3]
.LBB112_255:
	s_or_b32 exec_lo, exec_lo, s4
	s_waitcnt lgkmcnt(0)
	s_waitcnt_vscnt null, 0x0
	s_barrier
	buffer_gl0_inv
	s_clause 0x2d
	buffer_load_dword v6, off, s[0:3], 0 offset:220
	buffer_load_dword v7, off, s[0:3], 0 offset:228
	;; [unrolled: 1-line block ×46, first 2 shown]
	ds_read2_b64 v[2:5], v1 offset0:77 offset1:78
	ds_read2_b64 v[108:111], v1 offset0:79 offset1:80
	;; [unrolled: 1-line block ×11, first 2 shown]
	s_mov_b32 s4, exec_lo
	s_waitcnt vmcnt(45) lgkmcnt(10)
	v_mul_f32_e32 v1, v2, v6
	v_mul_f32_e32 v6, v3, v6
	s_waitcnt vmcnt(44)
	v_mul_f32_e32 v191, v4, v7
	v_mul_f32_e32 v7, v5, v7
	s_waitcnt vmcnt(43) lgkmcnt(9)
	v_mul_f32_e32 v192, v108, v8
	s_waitcnt vmcnt(42)
	v_mul_f32_e32 v193, v110, v148
	s_waitcnt vmcnt(41) lgkmcnt(8)
	v_mul_f32_e32 v194, v112, v149
	s_waitcnt vmcnt(40)
	;; [unrolled: 4-line block ×9, first 2 shown]
	v_mul_f32_e32 v209, v142, v164
	s_waitcnt vmcnt(23)
	v_fma_f32 v2, v2, v167, -v6
	v_fmac_f32_e32 v1, v3, v167
	v_mul_f32_e32 v3, v109, v8
	s_waitcnt vmcnt(22)
	v_fma_f32 v4, v4, v168, -v7
	v_fmac_f32_e32 v191, v5, v168
	v_add_f32_e32 v2, 0, v2
	v_add_f32_e32 v1, 0, v1
	v_mul_f32_e32 v5, v111, v148
	s_waitcnt vmcnt(21)
	v_fma_f32 v3, v108, v169, -v3
	v_fmac_f32_e32 v192, v109, v169
	v_add_f32_e32 v2, v2, v4
	v_add_f32_e32 v1, v1, v191
	;; [unrolled: 6-line block ×18, first 2 shown]
	s_waitcnt lgkmcnt(0)
	v_mul_f32_e32 v3, v145, v165
	s_waitcnt vmcnt(4)
	v_fma_f32 v4, v142, v186, -v4
	v_mul_f32_e32 v210, v144, v165
	v_add_f32_e32 v2, v2, v5
	v_fmac_f32_e32 v209, v143, v186
	v_add_f32_e32 v1, v1, v208
	v_mul_f32_e32 v5, v147, v166
	s_waitcnt vmcnt(3)
	v_fma_f32 v3, v144, v187, -v3
	v_add_f32_e32 v2, v2, v4
	v_mul_f32_e32 v211, v146, v166
	v_fmac_f32_e32 v210, v145, v187
	v_add_f32_e32 v1, v1, v209
	s_waitcnt vmcnt(2)
	v_fma_f32 v4, v146, v188, -v5
	v_add_f32_e32 v2, v2, v3
	v_fmac_f32_e32 v211, v147, v188
	v_add_f32_e32 v1, v1, v210
	v_add_f32_e32 v2, v2, v4
	;; [unrolled: 1-line block ×3, first 2 shown]
	s_waitcnt vmcnt(1)
	v_sub_f32_e32 v2, v189, v2
	s_waitcnt vmcnt(0)
	v_sub_f32_e32 v1, v190, v1
	buffer_store_dword v2, off, s[0:3], 0 offset:208
	buffer_store_dword v1, off, s[0:3], 0 offset:212
	v_cmpx_lt_u32_e32 25, v0
	s_cbranch_execz .LBB112_257
; %bb.256:
	s_clause 0x1
	buffer_load_dword v1, off, s[0:3], 0 offset:200
	buffer_load_dword v2, off, s[0:3], 0 offset:204
	v_mov_b32_e32 v3, 0
	buffer_store_dword v3, off, s[0:3], 0 offset:200
	buffer_store_dword v3, off, s[0:3], 0 offset:204
	s_waitcnt vmcnt(0)
	ds_write_b64 v107, v[1:2]
.LBB112_257:
	s_or_b32 exec_lo, exec_lo, s4
	s_waitcnt lgkmcnt(0)
	s_waitcnt_vscnt null, 0x0
	s_barrier
	buffer_gl0_inv
	s_clause 0x2f
	buffer_load_dword v8, off, s[0:3], 0 offset:212
	buffer_load_dword v148, off, s[0:3], 0 offset:220
	;; [unrolled: 1-line block ×48, first 2 shown]
	v_mov_b32_e32 v1, 0
	ds_read_b128 v[2:5], v1 offset:608
	ds_read_b128 v[108:111], v1 offset:624
	;; [unrolled: 1-line block ×11, first 2 shown]
	ds_read_b64 v[6:7], v1 offset:784
	s_mov_b32 s4, exec_lo
	s_waitcnt vmcnt(47) lgkmcnt(11)
	v_mul_f32_e32 v195, v2, v8
	v_mul_f32_e32 v8, v3, v8
	s_waitcnt vmcnt(46)
	v_mul_f32_e32 v196, v4, v148
	v_mul_f32_e32 v148, v5, v148
	s_waitcnt vmcnt(45) lgkmcnt(10)
	v_mul_f32_e32 v197, v108, v149
	s_waitcnt vmcnt(44)
	v_mul_f32_e32 v198, v110, v150
	s_waitcnt vmcnt(43) lgkmcnt(9)
	v_mul_f32_e32 v199, v112, v151
	s_waitcnt vmcnt(42)
	;; [unrolled: 4-line block ×10, first 2 shown]
	v_fma_f32 v2, v2, v170, -v8
	v_fmac_f32_e32 v195, v3, v170
	v_mul_f32_e32 v3, v109, v149
	s_waitcnt vmcnt(23)
	v_fma_f32 v4, v4, v171, -v148
	v_fmac_f32_e32 v196, v5, v171
	v_add_f32_e32 v2, 0, v2
	v_add_f32_e32 v5, 0, v195
	v_mul_f32_e32 v8, v111, v150
	s_waitcnt vmcnt(22)
	v_fma_f32 v3, v108, v172, -v3
	v_fmac_f32_e32 v197, v109, v172
	v_add_f32_e32 v2, v2, v4
	v_add_f32_e32 v4, v5, v196
	;; [unrolled: 6-line block ×19, first 2 shown]
	v_mul_f32_e32 v8, v147, v168
	s_waitcnt vmcnt(4)
	v_fma_f32 v4, v144, v190, -v4
	v_mul_f32_e32 v216, v146, v168
	v_add_f32_e32 v2, v2, v5
	v_fmac_f32_e32 v215, v145, v190
	v_add_f32_e32 v3, v3, v214
	s_waitcnt lgkmcnt(0)
	v_mul_f32_e32 v5, v7, v169
	s_waitcnt vmcnt(3)
	v_fma_f32 v8, v146, v191, -v8
	v_add_f32_e32 v2, v2, v4
	v_mul_f32_e32 v217, v6, v169
	v_fmac_f32_e32 v216, v147, v191
	v_add_f32_e32 v3, v3, v215
	s_waitcnt vmcnt(2)
	v_fma_f32 v4, v6, v192, -v5
	v_add_f32_e32 v2, v2, v8
	v_fmac_f32_e32 v217, v7, v192
	v_add_f32_e32 v3, v3, v216
	v_add_f32_e32 v2, v2, v4
	;; [unrolled: 1-line block ×3, first 2 shown]
	s_waitcnt vmcnt(1)
	v_sub_f32_e32 v2, v193, v2
	s_waitcnt vmcnt(0)
	v_sub_f32_e32 v3, v194, v3
	buffer_store_dword v2, off, s[0:3], 0 offset:200
	buffer_store_dword v3, off, s[0:3], 0 offset:204
	v_cmpx_lt_u32_e32 24, v0
	s_cbranch_execz .LBB112_259
; %bb.258:
	s_clause 0x1
	buffer_load_dword v2, off, s[0:3], 0 offset:192
	buffer_load_dword v3, off, s[0:3], 0 offset:196
	buffer_store_dword v1, off, s[0:3], 0 offset:192
	buffer_store_dword v1, off, s[0:3], 0 offset:196
	s_waitcnt vmcnt(0)
	ds_write_b64 v107, v[2:3]
.LBB112_259:
	s_or_b32 exec_lo, exec_lo, s4
	s_waitcnt lgkmcnt(0)
	s_waitcnt_vscnt null, 0x0
	s_barrier
	buffer_gl0_inv
	s_clause 0x31
	buffer_load_dword v6, off, s[0:3], 0 offset:204
	buffer_load_dword v7, off, s[0:3], 0 offset:212
	;; [unrolled: 1-line block ×50, first 2 shown]
	ds_read2_b64 v[2:5], v1 offset0:75 offset1:76
	ds_read2_b64 v[108:111], v1 offset0:77 offset1:78
	;; [unrolled: 1-line block ×12, first 2 shown]
	s_mov_b32 s4, exec_lo
	s_waitcnt vmcnt(49) lgkmcnt(11)
	v_mul_f32_e32 v1, v2, v6
	v_mul_f32_e32 v6, v3, v6
	s_waitcnt vmcnt(48)
	v_mul_f32_e32 v199, v4, v7
	v_mul_f32_e32 v7, v5, v7
	s_waitcnt vmcnt(47) lgkmcnt(10)
	v_mul_f32_e32 v200, v108, v8
	s_waitcnt vmcnt(46)
	v_mul_f32_e32 v201, v110, v152
	s_waitcnt vmcnt(45) lgkmcnt(9)
	v_mul_f32_e32 v202, v112, v153
	s_waitcnt vmcnt(44)
	;; [unrolled: 4-line block ×10, first 2 shown]
	v_mul_f32_e32 v219, v146, v170
	s_waitcnt vmcnt(25)
	v_fma_f32 v2, v2, v173, -v6
	v_fmac_f32_e32 v1, v3, v173
	v_mul_f32_e32 v3, v109, v8
	s_waitcnt vmcnt(24)
	v_fma_f32 v4, v4, v174, -v7
	v_fmac_f32_e32 v199, v5, v174
	v_add_f32_e32 v2, 0, v2
	v_add_f32_e32 v1, 0, v1
	v_mul_f32_e32 v5, v111, v152
	s_waitcnt vmcnt(23)
	v_fma_f32 v3, v108, v175, -v3
	v_fmac_f32_e32 v200, v109, v175
	v_add_f32_e32 v2, v2, v4
	v_add_f32_e32 v1, v1, v199
	;; [unrolled: 6-line block ×20, first 2 shown]
	s_waitcnt lgkmcnt(0)
	v_mul_f32_e32 v4, v149, v171
	s_waitcnt vmcnt(4)
	v_fma_f32 v5, v146, v194, -v5
	v_mul_f32_e32 v220, v148, v171
	v_add_f32_e32 v2, v2, v3
	v_fmac_f32_e32 v219, v147, v194
	v_add_f32_e32 v1, v1, v218
	v_mul_f32_e32 v3, v151, v172
	s_waitcnt vmcnt(3)
	v_fma_f32 v4, v148, v195, -v4
	v_add_f32_e32 v2, v2, v5
	v_mul_f32_e32 v221, v150, v172
	v_fmac_f32_e32 v220, v149, v195
	v_add_f32_e32 v1, v1, v219
	s_waitcnt vmcnt(2)
	v_fma_f32 v3, v150, v196, -v3
	v_add_f32_e32 v2, v2, v4
	v_fmac_f32_e32 v221, v151, v196
	v_add_f32_e32 v1, v1, v220
	v_add_f32_e32 v2, v2, v3
	;; [unrolled: 1-line block ×3, first 2 shown]
	s_waitcnt vmcnt(1)
	v_sub_f32_e32 v2, v197, v2
	s_waitcnt vmcnt(0)
	v_sub_f32_e32 v1, v198, v1
	buffer_store_dword v2, off, s[0:3], 0 offset:192
	buffer_store_dword v1, off, s[0:3], 0 offset:196
	v_cmpx_lt_u32_e32 23, v0
	s_cbranch_execz .LBB112_261
; %bb.260:
	s_clause 0x1
	buffer_load_dword v1, off, s[0:3], 0 offset:184
	buffer_load_dword v2, off, s[0:3], 0 offset:188
	v_mov_b32_e32 v3, 0
	buffer_store_dword v3, off, s[0:3], 0 offset:184
	buffer_store_dword v3, off, s[0:3], 0 offset:188
	s_waitcnt vmcnt(0)
	ds_write_b64 v107, v[1:2]
.LBB112_261:
	s_or_b32 exec_lo, exec_lo, s4
	s_waitcnt lgkmcnt(0)
	s_waitcnt_vscnt null, 0x0
	s_barrier
	buffer_gl0_inv
	s_clause 0x33
	buffer_load_dword v8, off, s[0:3], 0 offset:196
	buffer_load_dword v152, off, s[0:3], 0 offset:204
	;; [unrolled: 1-line block ×52, first 2 shown]
	v_mov_b32_e32 v1, 0
	ds_read_b128 v[2:5], v1 offset:592
	ds_read_b128 v[108:111], v1 offset:608
	;; [unrolled: 1-line block ×12, first 2 shown]
	ds_read_b64 v[6:7], v1 offset:784
	s_mov_b32 s4, exec_lo
	s_waitcnt vmcnt(51) lgkmcnt(12)
	v_mul_f32_e32 v203, v2, v8
	v_mul_f32_e32 v8, v3, v8
	s_waitcnt vmcnt(50)
	v_mul_f32_e32 v204, v4, v152
	v_mul_f32_e32 v152, v5, v152
	s_waitcnt vmcnt(49) lgkmcnt(11)
	v_mul_f32_e32 v205, v108, v153
	s_waitcnt vmcnt(48)
	v_mul_f32_e32 v206, v110, v154
	s_waitcnt vmcnt(47) lgkmcnt(10)
	v_mul_f32_e32 v207, v112, v155
	s_waitcnt vmcnt(46)
	;; [unrolled: 4-line block ×11, first 2 shown]
	v_fma_f32 v2, v2, v176, -v8
	v_fmac_f32_e32 v203, v3, v176
	v_mul_f32_e32 v3, v109, v153
	s_waitcnt vmcnt(25)
	v_fma_f32 v4, v4, v177, -v152
	v_fmac_f32_e32 v204, v5, v177
	v_add_f32_e32 v2, 0, v2
	v_add_f32_e32 v5, 0, v203
	v_mul_f32_e32 v8, v111, v154
	s_waitcnt vmcnt(24)
	v_fma_f32 v3, v108, v178, -v3
	v_fmac_f32_e32 v205, v109, v178
	v_add_f32_e32 v2, v2, v4
	v_add_f32_e32 v4, v5, v204
	;; [unrolled: 6-line block ×21, first 2 shown]
	v_mul_f32_e32 v4, v151, v174
	s_waitcnt vmcnt(4)
	v_fma_f32 v5, v148, v198, -v5
	v_mul_f32_e32 v226, v150, v174
	v_add_f32_e32 v2, v2, v8
	v_fmac_f32_e32 v225, v149, v198
	v_add_f32_e32 v3, v3, v224
	s_waitcnt lgkmcnt(0)
	v_mul_f32_e32 v8, v7, v175
	s_waitcnt vmcnt(3)
	v_fma_f32 v4, v150, v199, -v4
	v_add_f32_e32 v2, v2, v5
	v_mul_f32_e32 v227, v6, v175
	v_fmac_f32_e32 v226, v151, v199
	v_add_f32_e32 v3, v3, v225
	s_waitcnt vmcnt(2)
	v_fma_f32 v5, v6, v200, -v8
	v_add_f32_e32 v2, v2, v4
	v_fmac_f32_e32 v227, v7, v200
	v_add_f32_e32 v3, v3, v226
	v_add_f32_e32 v2, v2, v5
	;; [unrolled: 1-line block ×3, first 2 shown]
	s_waitcnt vmcnt(1)
	v_sub_f32_e32 v2, v201, v2
	s_waitcnt vmcnt(0)
	v_sub_f32_e32 v3, v202, v3
	buffer_store_dword v2, off, s[0:3], 0 offset:184
	buffer_store_dword v3, off, s[0:3], 0 offset:188
	v_cmpx_lt_u32_e32 22, v0
	s_cbranch_execz .LBB112_263
; %bb.262:
	s_clause 0x1
	buffer_load_dword v2, off, s[0:3], 0 offset:176
	buffer_load_dword v3, off, s[0:3], 0 offset:180
	buffer_store_dword v1, off, s[0:3], 0 offset:176
	buffer_store_dword v1, off, s[0:3], 0 offset:180
	s_waitcnt vmcnt(0)
	ds_write_b64 v107, v[2:3]
.LBB112_263:
	s_or_b32 exec_lo, exec_lo, s4
	s_waitcnt lgkmcnt(0)
	s_waitcnt_vscnt null, 0x0
	s_barrier
	buffer_gl0_inv
	s_clause 0x35
	buffer_load_dword v6, off, s[0:3], 0 offset:188
	buffer_load_dword v7, off, s[0:3], 0 offset:196
	;; [unrolled: 1-line block ×54, first 2 shown]
	ds_read2_b64 v[2:5], v1 offset0:73 offset1:74
	ds_read2_b64 v[108:111], v1 offset0:75 offset1:76
	;; [unrolled: 1-line block ×13, first 2 shown]
	s_mov_b32 s4, exec_lo
	s_waitcnt vmcnt(53) lgkmcnt(12)
	v_mul_f32_e32 v1, v2, v6
	v_mul_f32_e32 v6, v3, v6
	s_waitcnt vmcnt(52)
	v_mul_f32_e32 v207, v4, v7
	v_mul_f32_e32 v7, v5, v7
	s_waitcnt vmcnt(51) lgkmcnt(11)
	v_mul_f32_e32 v208, v108, v8
	s_waitcnt vmcnt(50)
	v_mul_f32_e32 v209, v110, v156
	s_waitcnt vmcnt(49) lgkmcnt(10)
	v_mul_f32_e32 v210, v112, v157
	s_waitcnt vmcnt(48)
	v_mul_f32_e32 v211, v114, v158
	s_waitcnt vmcnt(47) lgkmcnt(9)
	v_mul_f32_e32 v212, v116, v159
	s_waitcnt vmcnt(46)
	v_mul_f32_e32 v213, v118, v160
	s_waitcnt vmcnt(45) lgkmcnt(8)
	v_mul_f32_e32 v214, v120, v161
	s_waitcnt vmcnt(44)
	v_mul_f32_e32 v215, v122, v162
	s_waitcnt vmcnt(43) lgkmcnt(7)
	v_mul_f32_e32 v216, v124, v163
	s_waitcnt vmcnt(42)
	v_mul_f32_e32 v217, v126, v164
	s_waitcnt vmcnt(41) lgkmcnt(6)
	v_mul_f32_e32 v218, v128, v165
	s_waitcnt vmcnt(40)
	v_mul_f32_e32 v219, v130, v166
	s_waitcnt vmcnt(39) lgkmcnt(5)
	v_mul_f32_e32 v220, v132, v167
	s_waitcnt vmcnt(38)
	v_mul_f32_e32 v221, v134, v168
	s_waitcnt vmcnt(37) lgkmcnt(4)
	v_mul_f32_e32 v222, v136, v169
	s_waitcnt vmcnt(36)
	v_mul_f32_e32 v223, v138, v170
	s_waitcnt vmcnt(35) lgkmcnt(3)
	v_mul_f32_e32 v224, v140, v171
	s_waitcnt vmcnt(34)
	v_mul_f32_e32 v225, v142, v172
	s_waitcnt vmcnt(33) lgkmcnt(2)
	v_mul_f32_e32 v226, v144, v173
	s_waitcnt vmcnt(32)
	v_mul_f32_e32 v227, v146, v174
	s_waitcnt vmcnt(31) lgkmcnt(1)
	v_mul_f32_e32 v228, v148, v175
	s_waitcnt vmcnt(30)
	v_mul_f32_e32 v229, v150, v176
	s_waitcnt vmcnt(27)
	v_fma_f32 v2, v2, v179, -v6
	v_fmac_f32_e32 v1, v3, v179
	v_mul_f32_e32 v3, v109, v8
	s_waitcnt vmcnt(26)
	v_fma_f32 v4, v4, v180, -v7
	v_fmac_f32_e32 v207, v5, v180
	v_add_f32_e32 v2, 0, v2
	v_add_f32_e32 v1, 0, v1
	v_mul_f32_e32 v5, v111, v156
	s_waitcnt vmcnt(25)
	v_fma_f32 v3, v108, v181, -v3
	v_fmac_f32_e32 v208, v109, v181
	v_add_f32_e32 v2, v2, v4
	v_add_f32_e32 v1, v1, v207
	;; [unrolled: 6-line block ×22, first 2 shown]
	s_waitcnt lgkmcnt(0)
	v_mul_f32_e32 v5, v153, v177
	s_waitcnt vmcnt(4)
	v_fma_f32 v3, v150, v202, -v3
	v_mul_f32_e32 v230, v152, v177
	v_add_f32_e32 v2, v2, v4
	v_fmac_f32_e32 v229, v151, v202
	v_add_f32_e32 v1, v1, v228
	v_mul_f32_e32 v4, v155, v178
	s_waitcnt vmcnt(3)
	v_fma_f32 v5, v152, v203, -v5
	v_add_f32_e32 v2, v2, v3
	v_mul_f32_e32 v231, v154, v178
	v_fmac_f32_e32 v230, v153, v203
	v_add_f32_e32 v1, v1, v229
	s_waitcnt vmcnt(2)
	v_fma_f32 v3, v154, v204, -v4
	v_add_f32_e32 v2, v2, v5
	v_fmac_f32_e32 v231, v155, v204
	v_add_f32_e32 v1, v1, v230
	v_add_f32_e32 v2, v2, v3
	;; [unrolled: 1-line block ×3, first 2 shown]
	s_waitcnt vmcnt(1)
	v_sub_f32_e32 v2, v205, v2
	s_waitcnt vmcnt(0)
	v_sub_f32_e32 v1, v206, v1
	buffer_store_dword v2, off, s[0:3], 0 offset:176
	buffer_store_dword v1, off, s[0:3], 0 offset:180
	v_cmpx_lt_u32_e32 21, v0
	s_cbranch_execz .LBB112_265
; %bb.264:
	s_clause 0x1
	buffer_load_dword v1, off, s[0:3], 0 offset:168
	buffer_load_dword v2, off, s[0:3], 0 offset:172
	v_mov_b32_e32 v3, 0
	buffer_store_dword v3, off, s[0:3], 0 offset:168
	buffer_store_dword v3, off, s[0:3], 0 offset:172
	s_waitcnt vmcnt(0)
	ds_write_b64 v107, v[1:2]
.LBB112_265:
	s_or_b32 exec_lo, exec_lo, s4
	s_waitcnt lgkmcnt(0)
	s_waitcnt_vscnt null, 0x0
	s_barrier
	buffer_gl0_inv
	s_clause 0x37
	buffer_load_dword v8, off, s[0:3], 0 offset:180
	buffer_load_dword v156, off, s[0:3], 0 offset:188
	;; [unrolled: 1-line block ×56, first 2 shown]
	v_mov_b32_e32 v1, 0
	ds_read_b128 v[2:5], v1 offset:576
	ds_read_b128 v[108:111], v1 offset:592
	;; [unrolled: 1-line block ×13, first 2 shown]
	ds_read_b64 v[6:7], v1 offset:784
	s_mov_b32 s4, exec_lo
	s_waitcnt vmcnt(55) lgkmcnt(13)
	v_mul_f32_e32 v211, v2, v8
	v_mul_f32_e32 v8, v3, v8
	s_waitcnt vmcnt(54)
	v_mul_f32_e32 v212, v4, v156
	v_mul_f32_e32 v156, v5, v156
	s_waitcnt vmcnt(53) lgkmcnt(12)
	v_mul_f32_e32 v213, v108, v157
	s_waitcnt vmcnt(52)
	v_mul_f32_e32 v214, v110, v158
	s_waitcnt vmcnt(51) lgkmcnt(11)
	v_mul_f32_e32 v215, v112, v159
	s_waitcnt vmcnt(50)
	;; [unrolled: 4-line block ×12, first 2 shown]
	v_fma_f32 v2, v2, v182, -v8
	v_fmac_f32_e32 v211, v3, v182
	v_mul_f32_e32 v3, v109, v157
	s_waitcnt vmcnt(27)
	v_fma_f32 v4, v4, v183, -v156
	v_fmac_f32_e32 v212, v5, v183
	v_add_f32_e32 v2, 0, v2
	v_add_f32_e32 v5, 0, v211
	v_mul_f32_e32 v8, v111, v158
	s_waitcnt vmcnt(26)
	v_fma_f32 v3, v108, v184, -v3
	v_fmac_f32_e32 v213, v109, v184
	v_add_f32_e32 v2, v2, v4
	v_add_f32_e32 v4, v5, v212
	;; [unrolled: 6-line block ×23, first 2 shown]
	v_mul_f32_e32 v5, v155, v180
	s_waitcnt vmcnt(4)
	v_fma_f32 v8, v152, v206, -v8
	v_mul_f32_e32 v236, v154, v180
	v_add_f32_e32 v2, v2, v4
	v_fmac_f32_e32 v235, v153, v206
	v_add_f32_e32 v3, v3, v234
	s_waitcnt lgkmcnt(0)
	v_mul_f32_e32 v4, v7, v181
	s_waitcnt vmcnt(3)
	v_fma_f32 v5, v154, v207, -v5
	v_add_f32_e32 v2, v2, v8
	v_mul_f32_e32 v237, v6, v181
	v_fmac_f32_e32 v236, v155, v207
	v_add_f32_e32 v3, v3, v235
	s_waitcnt vmcnt(2)
	v_fma_f32 v4, v6, v208, -v4
	v_add_f32_e32 v2, v2, v5
	v_fmac_f32_e32 v237, v7, v208
	v_add_f32_e32 v3, v3, v236
	v_add_f32_e32 v2, v2, v4
	;; [unrolled: 1-line block ×3, first 2 shown]
	s_waitcnt vmcnt(1)
	v_sub_f32_e32 v2, v209, v2
	s_waitcnt vmcnt(0)
	v_sub_f32_e32 v3, v210, v3
	buffer_store_dword v2, off, s[0:3], 0 offset:168
	buffer_store_dword v3, off, s[0:3], 0 offset:172
	v_cmpx_lt_u32_e32 20, v0
	s_cbranch_execz .LBB112_267
; %bb.266:
	s_clause 0x1
	buffer_load_dword v2, off, s[0:3], 0 offset:160
	buffer_load_dword v3, off, s[0:3], 0 offset:164
	buffer_store_dword v1, off, s[0:3], 0 offset:160
	buffer_store_dword v1, off, s[0:3], 0 offset:164
	s_waitcnt vmcnt(0)
	ds_write_b64 v107, v[2:3]
.LBB112_267:
	s_or_b32 exec_lo, exec_lo, s4
	s_waitcnt lgkmcnt(0)
	s_waitcnt_vscnt null, 0x0
	s_barrier
	buffer_gl0_inv
	s_clause 0x39
	buffer_load_dword v6, off, s[0:3], 0 offset:172
	buffer_load_dword v7, off, s[0:3], 0 offset:180
	;; [unrolled: 1-line block ×58, first 2 shown]
	ds_read2_b64 v[2:5], v1 offset0:71 offset1:72
	ds_read2_b64 v[108:111], v1 offset0:73 offset1:74
	;; [unrolled: 1-line block ×14, first 2 shown]
	s_mov_b32 s4, exec_lo
	s_waitcnt vmcnt(57) lgkmcnt(13)
	v_mul_f32_e32 v1, v2, v6
	v_mul_f32_e32 v6, v3, v6
	s_waitcnt vmcnt(56)
	v_mul_f32_e32 v215, v4, v7
	v_mul_f32_e32 v7, v5, v7
	s_waitcnt vmcnt(55) lgkmcnt(12)
	v_mul_f32_e32 v216, v108, v8
	s_waitcnt vmcnt(54)
	v_mul_f32_e32 v217, v110, v160
	s_waitcnt vmcnt(53) lgkmcnt(11)
	v_mul_f32_e32 v218, v112, v161
	s_waitcnt vmcnt(52)
	v_mul_f32_e32 v219, v114, v162
	s_waitcnt vmcnt(51) lgkmcnt(10)
	v_mul_f32_e32 v220, v116, v163
	s_waitcnt vmcnt(50)
	v_mul_f32_e32 v221, v118, v164
	s_waitcnt vmcnt(49) lgkmcnt(9)
	v_mul_f32_e32 v222, v120, v165
	s_waitcnt vmcnt(48)
	v_mul_f32_e32 v223, v122, v166
	s_waitcnt vmcnt(47) lgkmcnt(8)
	v_mul_f32_e32 v224, v124, v167
	s_waitcnt vmcnt(46)
	v_mul_f32_e32 v225, v126, v168
	s_waitcnt vmcnt(45) lgkmcnt(7)
	v_mul_f32_e32 v226, v128, v169
	s_waitcnt vmcnt(44)
	v_mul_f32_e32 v227, v130, v170
	s_waitcnt vmcnt(43) lgkmcnt(6)
	v_mul_f32_e32 v228, v132, v171
	s_waitcnt vmcnt(42)
	v_mul_f32_e32 v229, v134, v172
	s_waitcnt vmcnt(41) lgkmcnt(5)
	v_mul_f32_e32 v230, v136, v173
	s_waitcnt vmcnt(40)
	v_mul_f32_e32 v231, v138, v174
	s_waitcnt vmcnt(39) lgkmcnt(4)
	v_mul_f32_e32 v232, v140, v175
	s_waitcnt vmcnt(38)
	v_mul_f32_e32 v233, v142, v176
	s_waitcnt vmcnt(37) lgkmcnt(3)
	v_mul_f32_e32 v234, v144, v177
	s_waitcnt vmcnt(36)
	v_mul_f32_e32 v235, v146, v178
	s_waitcnt vmcnt(35) lgkmcnt(2)
	v_mul_f32_e32 v236, v148, v179
	s_waitcnt vmcnt(34)
	v_mul_f32_e32 v237, v150, v180
	s_waitcnt vmcnt(33) lgkmcnt(1)
	v_mul_f32_e32 v238, v152, v181
	s_waitcnt vmcnt(32)
	v_mul_f32_e32 v239, v154, v182
	s_waitcnt vmcnt(29)
	v_fma_f32 v2, v2, v185, -v6
	v_fmac_f32_e32 v1, v3, v185
	v_mul_f32_e32 v3, v109, v8
	s_waitcnt vmcnt(28)
	v_fma_f32 v4, v4, v186, -v7
	v_fmac_f32_e32 v215, v5, v186
	v_add_f32_e32 v2, 0, v2
	v_add_f32_e32 v1, 0, v1
	v_mul_f32_e32 v5, v111, v160
	s_waitcnt vmcnt(27)
	v_fma_f32 v3, v108, v187, -v3
	v_fmac_f32_e32 v216, v109, v187
	v_add_f32_e32 v2, v2, v4
	v_add_f32_e32 v1, v1, v215
	;; [unrolled: 6-line block ×24, first 2 shown]
	s_waitcnt lgkmcnt(0)
	v_mul_f32_e32 v3, v157, v183
	s_waitcnt vmcnt(4)
	v_fma_f32 v4, v154, v210, -v4
	v_mul_f32_e32 v240, v156, v183
	v_add_f32_e32 v2, v2, v5
	v_fmac_f32_e32 v239, v155, v210
	v_add_f32_e32 v1, v1, v238
	v_mul_f32_e32 v5, v159, v184
	s_waitcnt vmcnt(3)
	v_fma_f32 v3, v156, v211, -v3
	v_add_f32_e32 v2, v2, v4
	v_mul_f32_e32 v241, v158, v184
	v_fmac_f32_e32 v240, v157, v211
	v_add_f32_e32 v1, v1, v239
	s_waitcnt vmcnt(2)
	v_fma_f32 v4, v158, v212, -v5
	v_add_f32_e32 v2, v2, v3
	v_fmac_f32_e32 v241, v159, v212
	v_add_f32_e32 v1, v1, v240
	v_add_f32_e32 v2, v2, v4
	;; [unrolled: 1-line block ×3, first 2 shown]
	s_waitcnt vmcnt(1)
	v_sub_f32_e32 v2, v213, v2
	s_waitcnt vmcnt(0)
	v_sub_f32_e32 v1, v214, v1
	buffer_store_dword v2, off, s[0:3], 0 offset:160
	buffer_store_dword v1, off, s[0:3], 0 offset:164
	v_cmpx_lt_u32_e32 19, v0
	s_cbranch_execz .LBB112_269
; %bb.268:
	s_clause 0x1
	buffer_load_dword v1, off, s[0:3], 0 offset:152
	buffer_load_dword v2, off, s[0:3], 0 offset:156
	v_mov_b32_e32 v3, 0
	buffer_store_dword v3, off, s[0:3], 0 offset:152
	buffer_store_dword v3, off, s[0:3], 0 offset:156
	s_waitcnt vmcnt(0)
	ds_write_b64 v107, v[1:2]
.LBB112_269:
	s_or_b32 exec_lo, exec_lo, s4
	s_waitcnt lgkmcnt(0)
	s_waitcnt_vscnt null, 0x0
	s_barrier
	buffer_gl0_inv
	s_clause 0x3b
	buffer_load_dword v8, off, s[0:3], 0 offset:164
	buffer_load_dword v160, off, s[0:3], 0 offset:172
	;; [unrolled: 1-line block ×60, first 2 shown]
	v_mov_b32_e32 v1, 0
	ds_read_b128 v[2:5], v1 offset:560
	ds_read_b128 v[108:111], v1 offset:576
	;; [unrolled: 1-line block ×14, first 2 shown]
	ds_read_b64 v[6:7], v1 offset:784
	s_mov_b32 s4, exec_lo
	s_waitcnt vmcnt(59) lgkmcnt(14)
	v_mul_f32_e32 v219, v2, v8
	v_mul_f32_e32 v8, v3, v8
	s_waitcnt vmcnt(58)
	v_mul_f32_e32 v220, v4, v160
	v_mul_f32_e32 v160, v5, v160
	s_waitcnt vmcnt(57) lgkmcnt(13)
	v_mul_f32_e32 v221, v108, v161
	s_waitcnt vmcnt(56)
	v_mul_f32_e32 v222, v110, v162
	s_waitcnt vmcnt(55) lgkmcnt(12)
	v_mul_f32_e32 v223, v112, v163
	s_waitcnt vmcnt(54)
	;; [unrolled: 4-line block ×13, first 2 shown]
	v_fma_f32 v2, v2, v188, -v8
	v_fmac_f32_e32 v219, v3, v188
	v_mul_f32_e32 v3, v109, v161
	s_waitcnt vmcnt(29)
	v_fma_f32 v4, v4, v189, -v160
	v_fmac_f32_e32 v220, v5, v189
	v_add_f32_e32 v2, 0, v2
	v_add_f32_e32 v5, 0, v219
	v_mul_f32_e32 v8, v111, v162
	s_waitcnt vmcnt(28)
	v_fma_f32 v3, v108, v190, -v3
	v_fmac_f32_e32 v221, v109, v190
	v_add_f32_e32 v2, v2, v4
	v_add_f32_e32 v4, v5, v220
	;; [unrolled: 6-line block ×25, first 2 shown]
	v_mul_f32_e32 v8, v159, v186
	s_waitcnt vmcnt(4)
	v_fma_f32 v4, v156, v214, -v4
	v_mul_f32_e32 v246, v158, v186
	v_add_f32_e32 v2, v2, v5
	v_fmac_f32_e32 v245, v157, v214
	v_add_f32_e32 v3, v3, v244
	s_waitcnt lgkmcnt(0)
	v_mul_f32_e32 v5, v7, v187
	s_waitcnt vmcnt(3)
	v_fma_f32 v8, v158, v215, -v8
	v_add_f32_e32 v2, v2, v4
	v_mul_f32_e32 v247, v6, v187
	v_fmac_f32_e32 v246, v159, v215
	v_add_f32_e32 v3, v3, v245
	s_waitcnt vmcnt(2)
	v_fma_f32 v4, v6, v216, -v5
	v_add_f32_e32 v2, v2, v8
	v_fmac_f32_e32 v247, v7, v216
	v_add_f32_e32 v3, v3, v246
	v_add_f32_e32 v2, v2, v4
	v_add_f32_e32 v3, v3, v247
	s_waitcnt vmcnt(1)
	v_sub_f32_e32 v2, v217, v2
	s_waitcnt vmcnt(0)
	v_sub_f32_e32 v3, v218, v3
	buffer_store_dword v2, off, s[0:3], 0 offset:152
	buffer_store_dword v3, off, s[0:3], 0 offset:156
	v_cmpx_lt_u32_e32 18, v0
	s_cbranch_execz .LBB112_271
; %bb.270:
	s_clause 0x1
	buffer_load_dword v2, off, s[0:3], 0 offset:144
	buffer_load_dword v3, off, s[0:3], 0 offset:148
	buffer_store_dword v1, off, s[0:3], 0 offset:144
	buffer_store_dword v1, off, s[0:3], 0 offset:148
	s_waitcnt vmcnt(0)
	ds_write_b64 v107, v[2:3]
.LBB112_271:
	s_or_b32 exec_lo, exec_lo, s4
	s_waitcnt lgkmcnt(0)
	s_waitcnt_vscnt null, 0x0
	s_barrier
	buffer_gl0_inv
	s_clause 0x3d
	buffer_load_dword v6, off, s[0:3], 0 offset:156
	buffer_load_dword v7, off, s[0:3], 0 offset:164
	;; [unrolled: 1-line block ×62, first 2 shown]
	ds_read2_b64 v[2:5], v1 offset0:69 offset1:70
	ds_read2_b64 v[108:111], v1 offset0:71 offset1:72
	;; [unrolled: 1-line block ×15, first 2 shown]
	s_mov_b32 s4, exec_lo
	s_waitcnt vmcnt(61) lgkmcnt(14)
	v_mul_f32_e32 v1, v2, v6
	v_mul_f32_e32 v6, v3, v6
	s_waitcnt vmcnt(60)
	v_mul_f32_e32 v223, v4, v7
	v_mul_f32_e32 v7, v5, v7
	s_waitcnt vmcnt(59) lgkmcnt(13)
	v_mul_f32_e32 v224, v108, v8
	s_waitcnt vmcnt(58)
	v_mul_f32_e32 v225, v110, v164
	s_waitcnt vmcnt(57) lgkmcnt(12)
	v_mul_f32_e32 v226, v112, v165
	s_waitcnt vmcnt(56)
	;; [unrolled: 4-line block ×13, first 2 shown]
	v_mul_f32_e32 v249, v158, v188
	s_waitcnt vmcnt(31)
	v_fma_f32 v2, v2, v191, -v6
	v_fmac_f32_e32 v1, v3, v191
	v_mul_f32_e32 v3, v109, v8
	s_waitcnt vmcnt(30)
	v_fma_f32 v4, v4, v192, -v7
	v_fmac_f32_e32 v223, v5, v192
	v_add_f32_e32 v2, 0, v2
	v_add_f32_e32 v1, 0, v1
	v_mul_f32_e32 v5, v111, v164
	s_waitcnt vmcnt(29)
	v_fma_f32 v3, v108, v193, -v3
	v_fmac_f32_e32 v224, v109, v193
	v_add_f32_e32 v2, v2, v4
	v_add_f32_e32 v1, v1, v223
	;; [unrolled: 6-line block ×26, first 2 shown]
	s_waitcnt lgkmcnt(0)
	v_mul_f32_e32 v4, v161, v189
	s_waitcnt vmcnt(4)
	v_fma_f32 v5, v158, v218, -v5
	v_mul_f32_e32 v250, v160, v189
	v_add_f32_e32 v2, v2, v3
	v_fmac_f32_e32 v249, v159, v218
	v_add_f32_e32 v1, v1, v248
	v_mul_f32_e32 v3, v163, v190
	s_waitcnt vmcnt(3)
	v_fma_f32 v4, v160, v219, -v4
	v_add_f32_e32 v2, v2, v5
	v_mul_f32_e32 v251, v162, v190
	v_fmac_f32_e32 v250, v161, v219
	v_add_f32_e32 v1, v1, v249
	s_waitcnt vmcnt(2)
	v_fma_f32 v3, v162, v220, -v3
	v_add_f32_e32 v2, v2, v4
	v_fmac_f32_e32 v251, v163, v220
	v_add_f32_e32 v1, v1, v250
	v_add_f32_e32 v2, v2, v3
	;; [unrolled: 1-line block ×3, first 2 shown]
	s_waitcnt vmcnt(1)
	v_sub_f32_e32 v2, v221, v2
	s_waitcnt vmcnt(0)
	v_sub_f32_e32 v1, v222, v1
	buffer_store_dword v2, off, s[0:3], 0 offset:144
	buffer_store_dword v1, off, s[0:3], 0 offset:148
	v_cmpx_lt_u32_e32 17, v0
	s_cbranch_execz .LBB112_273
; %bb.272:
	s_clause 0x1
	buffer_load_dword v1, off, s[0:3], 0 offset:136
	buffer_load_dword v2, off, s[0:3], 0 offset:140
	v_mov_b32_e32 v3, 0
	buffer_store_dword v3, off, s[0:3], 0 offset:136
	buffer_store_dword v3, off, s[0:3], 0 offset:140
	s_waitcnt vmcnt(0)
	ds_write_b64 v107, v[1:2]
.LBB112_273:
	s_or_b32 exec_lo, exec_lo, s4
	s_waitcnt lgkmcnt(0)
	s_waitcnt_vscnt null, 0x0
	s_barrier
	buffer_gl0_inv
	s_clause 0x23
	buffer_load_dword v3, off, s[0:3], 0 offset:148
	buffer_load_dword v4, off, s[0:3], 0 offset:156
	buffer_load_dword v2, off, s[0:3], 0 offset:160
	buffer_load_dword v5, off, s[0:3], 0 offset:152
	buffer_load_dword v108, off, s[0:3], 0 offset:144
	buffer_load_dword v8, off, s[0:3], 0 offset:164
	buffer_load_dword v6, off, s[0:3], 0 offset:172
	buffer_load_dword v7, off, s[0:3], 0 offset:180
	buffer_load_dword v109, off, s[0:3], 0 offset:192
	buffer_load_dword v110, off, s[0:3], 0 offset:184
	buffer_load_dword v113, off, s[0:3], 0 offset:176
	buffer_load_dword v115, off, s[0:3], 0 offset:168
	buffer_load_dword v114, off, s[0:3], 0 offset:188
	buffer_load_dword v111, off, s[0:3], 0 offset:196
	buffer_load_dword v112, off, s[0:3], 0 offset:204
	buffer_load_dword v116, off, s[0:3], 0 offset:212
	buffer_load_dword v117, off, s[0:3], 0 offset:224
	buffer_load_dword v118, off, s[0:3], 0 offset:216
	buffer_load_dword v120, off, s[0:3], 0 offset:208
	buffer_load_dword v123, off, s[0:3], 0 offset:200
	buffer_load_dword v122, off, s[0:3], 0 offset:220
	buffer_load_dword v121, off, s[0:3], 0 offset:228
	buffer_load_dword v119, off, s[0:3], 0 offset:236
	buffer_load_dword v124, off, s[0:3], 0 offset:256
	buffer_load_dword v125, off, s[0:3], 0 offset:248
	buffer_load_dword v126, off, s[0:3], 0 offset:240
	buffer_load_dword v131, off, s[0:3], 0 offset:232
	buffer_load_dword v130, off, s[0:3], 0 offset:244
	buffer_load_dword v129, off, s[0:3], 0 offset:252
	buffer_load_dword v127, off, s[0:3], 0 offset:260
	buffer_load_dword v128, off, s[0:3], 0 offset:268
	buffer_load_dword v148, off, s[0:3], 0 offset:288
	buffer_load_dword v149, off, s[0:3], 0 offset:292
	buffer_load_dword v150, off, s[0:3], 0 offset:280
	buffer_load_dword v151, off, s[0:3], 0 offset:272
	buffer_load_dword v152, off, s[0:3], 0 offset:264
	v_mov_b32_e32 v1, 0
	ds_read_b128 v[132:135], v1 offset:544
	ds_read_b128 v[136:139], v1 offset:560
	;; [unrolled: 1-line block ×3, first 2 shown]
	s_clause 0x3
	buffer_load_dword v153, off, s[0:3], 0 offset:276
	buffer_load_dword v154, off, s[0:3], 0 offset:284
	;; [unrolled: 1-line block ×4, first 2 shown]
	ds_read_b128 v[144:147], v1 offset:592
	s_mov_b32 s4, exec_lo
	s_waitcnt vmcnt(39) lgkmcnt(3)
	v_mul_f32_e32 v157, v132, v3
	v_mul_f32_e32 v3, v133, v3
	s_waitcnt vmcnt(38)
	v_mul_f32_e32 v158, v134, v4
	v_mul_f32_e32 v4, v135, v4
	s_waitcnt vmcnt(35)
	v_fmac_f32_e32 v157, v133, v108
	v_fma_f32 v159, v132, v108, -v3
	s_waitcnt vmcnt(34) lgkmcnt(2)
	v_mul_f32_e32 v160, v136, v8
	v_mul_f32_e32 v3, v137, v8
	v_fmac_f32_e32 v158, v135, v5
	v_fma_f32 v8, v134, v5, -v4
	ds_read_b128 v[132:135], v1 offset:608
	s_waitcnt vmcnt(33)
	v_mul_f32_e32 v4, v139, v6
	v_mul_f32_e32 v161, v138, v6
	v_fmac_f32_e32 v160, v137, v2
	v_fma_f32 v6, v136, v2, -v3
	s_waitcnt vmcnt(32) lgkmcnt(2)
	v_mul_f32_e32 v136, v140, v7
	s_waitcnt vmcnt(28)
	v_fma_f32 v137, v138, v115, -v4
	ds_read_b128 v[2:5], v1 offset:624
	v_mul_f32_e32 v7, v141, v7
	s_waitcnt vmcnt(27)
	v_mul_f32_e32 v108, v143, v114
	v_mul_f32_e32 v138, v142, v114
	v_fmac_f32_e32 v161, v139, v115
	s_waitcnt vmcnt(26) lgkmcnt(2)
	v_mul_f32_e32 v139, v144, v111
	v_fma_f32 v7, v140, v113, -v7
	v_fma_f32 v140, v142, v110, -v108
	v_mul_f32_e32 v108, v145, v111
	v_fmac_f32_e32 v138, v143, v110
	v_fmac_f32_e32 v136, v141, v113
	s_waitcnt vmcnt(25)
	v_mul_f32_e32 v141, v146, v112
	v_mul_f32_e32 v110, v147, v112
	v_fma_f32 v143, v144, v109, -v108
	s_waitcnt vmcnt(19) lgkmcnt(1)
	v_mul_f32_e32 v144, v134, v122
	v_mul_f32_e32 v122, v135, v122
	;; [unrolled: 1-line block ×4, first 2 shown]
	v_fmac_f32_e32 v139, v145, v109
	v_fmac_f32_e32 v144, v135, v118
	v_fma_f32 v118, v134, v118, -v122
	s_waitcnt vmcnt(17) lgkmcnt(0)
	v_mul_f32_e32 v122, v4, v119
	v_mul_f32_e32 v119, v5, v119
	v_fmac_f32_e32 v141, v147, v123
	v_fma_f32 v123, v146, v123, -v110
	ds_read_b128 v[108:111], v1 offset:640
	ds_read_b128 v[112:115], v1 offset:656
	v_fmac_f32_e32 v142, v133, v120
	v_fma_f32 v116, v132, v120, -v116
	s_waitcnt vmcnt(13)
	v_fmac_f32_e32 v122, v5, v131
	v_fma_f32 v119, v4, v131, -v119
	s_clause 0x6
	buffer_load_dword v131, off, s[0:3], 0 offset:296
	buffer_load_dword v132, off, s[0:3], 0 offset:308
	;; [unrolled: 1-line block ×7, first 2 shown]
	v_mul_f32_e32 v120, v2, v121
	v_mul_f32_e32 v121, v3, v121
	v_fmac_f32_e32 v120, v3, v117
	v_fma_f32 v117, v2, v117, -v121
	s_waitcnt vmcnt(19) lgkmcnt(1)
	v_mul_f32_e32 v121, v108, v130
	v_mul_f32_e32 v2, v109, v130
	s_waitcnt vmcnt(16) lgkmcnt(0)
	v_mul_f32_e32 v164, v114, v128
	v_mul_f32_e32 v130, v110, v129
	;; [unrolled: 1-line block ×3, first 2 shown]
	v_fmac_f32_e32 v121, v109, v126
	v_fma_f32 v126, v108, v126, -v2
	v_mul_f32_e32 v2, v115, v128
	s_waitcnt vmcnt(11)
	v_fmac_f32_e32 v164, v115, v152
	v_mul_f32_e32 v129, v112, v127
	v_mul_f32_e32 v4, v113, v127
	s_clause 0x3
	buffer_load_dword v127, off, s[0:3], 0 offset:332
	buffer_load_dword v147, off, s[0:3], 0 offset:340
	;; [unrolled: 1-line block ×4, first 2 shown]
	v_fma_f32 v152, v114, v152, -v2
	v_add_f32_e32 v2, 0, v157
	s_clause 0x3
	buffer_load_dword v128, off, s[0:3], 0 offset:364
	buffer_load_dword v165, off, s[0:3], 0 offset:372
	;; [unrolled: 1-line block ×4, first 2 shown]
	v_fmac_f32_e32 v130, v111, v125
	v_fma_f32 v125, v110, v125, -v3
	v_add_f32_e32 v2, v2, v158
	s_clause 0x3
	buffer_load_dword v157, off, s[0:3], 0 offset:352
	buffer_load_dword v158, off, s[0:3], 0 offset:344
	;; [unrolled: 1-line block ×4, first 2 shown]
	v_add_f32_e32 v3, 0, v159
	v_fmac_f32_e32 v129, v113, v124
	v_fma_f32 v124, v112, v124, -v4
	v_add_f32_e32 v2, v2, v160
	v_add_f32_e32 v3, v3, v8
	;; [unrolled: 1-line block ×3, first 2 shown]
	s_clause 0x3
	buffer_load_dword v8, off, s[0:3], 0 offset:384
	buffer_load_dword v159, off, s[0:3], 0 offset:376
	;; [unrolled: 1-line block ×4, first 2 shown]
	v_add_f32_e32 v3, v3, v6
	ds_read_b128 v[108:111], v1 offset:688
	v_add_f32_e32 v2, v2, v136
	v_add_f32_e32 v3, v3, v137
	buffer_load_dword v137, off, s[0:3], 0 offset:136
	v_add_f32_e32 v6, v2, v138
	v_add_f32_e32 v3, v3, v7
	;; [unrolled: 1-line block ×4, first 2 shown]
	ds_read_b128 v[2:5], v1 offset:672
	v_add_f32_e32 v6, v6, v141
	v_add_f32_e32 v7, v7, v143
	s_waitcnt vmcnt(25) lgkmcnt(1)
	v_mul_f32_e32 v141, v110, v155
	v_add_f32_e32 v6, v6, v142
	v_add_f32_e32 v7, v7, v123
	;; [unrolled: 1-line block ×5, first 2 shown]
	v_mul_f32_e32 v120, v109, v149
	v_add_f32_e32 v7, v7, v118
	s_waitcnt lgkmcnt(0)
	v_mul_f32_e32 v136, v2, v153
	v_mul_f32_e32 v112, v3, v153
	v_add_f32_e32 v6, v6, v122
	v_mul_f32_e32 v138, v4, v154
	v_mul_f32_e32 v113, v5, v154
	v_fmac_f32_e32 v136, v3, v151
	v_add_f32_e32 v3, v7, v117
	v_add_f32_e32 v6, v6, v121
	v_fma_f32 v139, v2, v151, -v112
	v_fmac_f32_e32 v138, v5, v150
	v_fma_f32 v140, v4, v150, -v113
	v_add_f32_e32 v7, v3, v119
	v_add_f32_e32 v6, v6, v130
	ds_read_b128 v[2:5], v1 offset:704
	ds_read_b128 v[112:115], v1 offset:720
	v_fma_f32 v142, v108, v148, -v120
	ds_read_b128 v[116:119], v1 offset:736
	ds_read_b128 v[120:123], v1 offset:752
	v_add_f32_e32 v7, v7, v126
	v_mul_f32_e32 v126, v108, v149
	v_add_f32_e32 v7, v7, v125
	v_mul_f32_e32 v125, v111, v155
	v_fmac_f32_e32 v126, v109, v148
	v_add_f32_e32 v7, v7, v124
	s_waitcnt vmcnt(23)
	v_fma_f32 v124, v110, v131, -v125
	v_add_f32_e32 v125, v6, v129
	v_add_f32_e32 v129, v7, v152
	s_waitcnt vmcnt(22) lgkmcnt(3)
	v_mul_f32_e32 v130, v2, v132
	v_mul_f32_e32 v132, v3, v132
	v_fmac_f32_e32 v141, v111, v131
	v_add_f32_e32 v125, v125, v164
	v_add_f32_e32 v129, v129, v139
	s_waitcnt vmcnt(21)
	v_mul_f32_e32 v131, v4, v133
	v_mul_f32_e32 v133, v5, v133
	s_waitcnt vmcnt(17)
	v_fma_f32 v2, v2, v146, -v132
	v_add_f32_e32 v125, v125, v136
	v_add_f32_e32 v129, v129, v140
	v_fmac_f32_e32 v130, v3, v146
	s_waitcnt lgkmcnt(2)
	v_mul_f32_e32 v132, v113, v134
	v_fma_f32 v4, v4, v145, -v133
	v_add_f32_e32 v125, v125, v138
	v_add_f32_e32 v129, v129, v142
	v_mul_f32_e32 v136, v112, v134
	v_fmac_f32_e32 v131, v5, v145
	v_fma_f32 v112, v112, v135, -v132
	v_add_f32_e32 v125, v125, v126
	v_add_f32_e32 v124, v129, v124
	v_fmac_f32_e32 v136, v113, v135
	ds_read_b128 v[108:111], v1 offset:768
	ds_read_b64 v[6:7], v1 offset:784
	v_add_f32_e32 v125, v125, v141
	v_add_f32_e32 v2, v124, v2
	s_waitcnt vmcnt(16)
	v_mul_f32_e32 v124, v115, v127
	v_mul_f32_e32 v139, v114, v127
	s_waitcnt vmcnt(15) lgkmcnt(3)
	v_mul_f32_e32 v140, v116, v147
	v_add_f32_e32 v5, v125, v130
	v_add_f32_e32 v2, v2, v4
	s_waitcnt vmcnt(14)
	v_mul_f32_e32 v138, v118, v162
	s_waitcnt vmcnt(13) lgkmcnt(2)
	v_mul_f32_e32 v142, v120, v163
	s_waitcnt vmcnt(12)
	v_mul_f32_e32 v3, v122, v128
	v_add_f32_e32 v4, v5, v131
	v_mul_f32_e32 v5, v117, v147
	v_add_f32_e32 v2, v2, v112
	s_waitcnt vmcnt(5)
	v_fma_f32 v113, v114, v169, -v124
	v_fmac_f32_e32 v139, v115, v169
	v_add_f32_e32 v4, v4, v136
	v_mul_f32_e32 v112, v119, v162
	v_fma_f32 v5, v116, v168, -v5
	v_add_f32_e32 v2, v2, v113
	v_fmac_f32_e32 v140, v117, v168
	v_add_f32_e32 v4, v4, v139
	v_mul_f32_e32 v113, v121, v163
	v_fma_f32 v112, v118, v158, -v112
	v_add_f32_e32 v2, v2, v5
	;; [unrolled: 5-line block ×3, first 2 shown]
	v_fmac_f32_e32 v142, v121, v157
	v_add_f32_e32 v4, v4, v138
	s_waitcnt lgkmcnt(1)
	v_mul_f32_e32 v112, v109, v165
	s_waitcnt vmcnt(1)
	v_fma_f32 v5, v122, v161, -v5
	v_add_f32_e32 v2, v2, v113
	v_mul_f32_e32 v126, v108, v165
	v_fmac_f32_e32 v3, v123, v161
	v_add_f32_e32 v4, v4, v142
	v_mul_f32_e32 v113, v111, v166
	v_fma_f32 v108, v108, v160, -v112
	v_add_f32_e32 v2, v2, v5
	v_mul_f32_e32 v129, v110, v166
	v_fmac_f32_e32 v126, v109, v160
	v_add_f32_e32 v3, v4, v3
	s_waitcnt lgkmcnt(0)
	v_mul_f32_e32 v4, v7, v167
	v_fma_f32 v5, v110, v159, -v113
	v_add_f32_e32 v2, v2, v108
	v_mul_f32_e32 v134, v6, v167
	v_fmac_f32_e32 v129, v111, v159
	v_add_f32_e32 v3, v3, v126
	v_fma_f32 v4, v6, v8, -v4
	v_add_f32_e32 v2, v2, v5
	v_fmac_f32_e32 v134, v7, v8
	v_add_f32_e32 v3, v3, v129
	v_add_f32_e32 v2, v2, v4
	;; [unrolled: 1-line block ×3, first 2 shown]
	s_waitcnt vmcnt(0)
	v_sub_f32_e32 v2, v137, v2
	v_sub_f32_e32 v3, v156, v3
	buffer_store_dword v2, off, s[0:3], 0 offset:136
	buffer_store_dword v3, off, s[0:3], 0 offset:140
	v_cmpx_lt_u32_e32 16, v0
	s_cbranch_execz .LBB112_275
; %bb.274:
	s_clause 0x1
	buffer_load_dword v2, off, s[0:3], 0 offset:128
	buffer_load_dword v3, off, s[0:3], 0 offset:132
	buffer_store_dword v1, off, s[0:3], 0 offset:128
	buffer_store_dword v1, off, s[0:3], 0 offset:132
	s_waitcnt vmcnt(0)
	ds_write_b64 v107, v[2:3]
.LBB112_275:
	s_or_b32 exec_lo, exec_lo, s4
	s_waitcnt lgkmcnt(0)
	s_waitcnt_vscnt null, 0x0
	s_barrier
	buffer_gl0_inv
	s_clause 0x23
	buffer_load_dword v3, off, s[0:3], 0 offset:140
	buffer_load_dword v4, off, s[0:3], 0 offset:148
	;; [unrolled: 1-line block ×36, first 2 shown]
	ds_read2_b64 v[132:135], v1 offset0:67 offset1:68
	ds_read2_b64 v[136:139], v1 offset0:69 offset1:70
	s_clause 0x1
	buffer_load_dword v153, off, s[0:3], 0 offset:268
	buffer_load_dword v154, off, s[0:3], 0 offset:276
	ds_read2_b64 v[140:143], v1 offset0:71 offset1:72
	ds_read2_b64 v[144:147], v1 offset0:73 offset1:74
	buffer_load_dword v155, off, s[0:3], 0 offset:132
	s_mov_b32 s4, exec_lo
	s_waitcnt vmcnt(38) lgkmcnt(3)
	v_mul_f32_e32 v156, v132, v3
	v_mul_f32_e32 v3, v133, v3
	s_waitcnt vmcnt(37)
	v_mul_f32_e32 v157, v134, v4
	v_mul_f32_e32 v4, v135, v4
	s_waitcnt vmcnt(36) lgkmcnt(2)
	v_mul_f32_e32 v158, v136, v5
	s_waitcnt vmcnt(33)
	v_fmac_f32_e32 v156, v133, v8
	v_fma_f32 v8, v132, v8, -v3
	v_mul_f32_e32 v3, v137, v5
	s_waitcnt vmcnt(32)
	v_mul_f32_e32 v5, v139, v7
	v_mul_f32_e32 v159, v138, v7
	v_fmac_f32_e32 v157, v135, v6
	v_fma_f32 v6, v134, v6, -v4
	v_fmac_f32_e32 v158, v137, v2
	v_fma_f32 v7, v136, v2, -v3
	s_waitcnt vmcnt(28)
	v_fma_f32 v136, v138, v115, -v5
	ds_read2_b64 v[2:5], v1 offset0:75 offset1:76
	ds_read2_b64 v[132:135], v1 offset0:77 offset1:78
	s_waitcnt vmcnt(27) lgkmcnt(3)
	v_mul_f32_e32 v137, v140, v114
	v_mul_f32_e32 v114, v141, v114
	v_fmac_f32_e32 v159, v139, v115
	s_waitcnt vmcnt(26)
	v_mul_f32_e32 v138, v142, v113
	v_mul_f32_e32 v113, v143, v113
	s_waitcnt vmcnt(25) lgkmcnt(2)
	v_mul_f32_e32 v139, v144, v111
	v_fmac_f32_e32 v137, v141, v110
	v_fma_f32 v140, v140, v110, -v114
	s_waitcnt vmcnt(24)
	v_mul_f32_e32 v141, v146, v112
	v_mul_f32_e32 v110, v145, v111
	;; [unrolled: 1-line block ×3, first 2 shown]
	v_fmac_f32_e32 v138, v143, v109
	v_fma_f32 v142, v142, v109, -v113
	v_fmac_f32_e32 v139, v145, v108
	s_waitcnt vmcnt(20)
	v_fmac_f32_e32 v141, v147, v123
	v_fma_f32 v143, v144, v108, -v110
	v_fma_f32 v123, v146, v123, -v111
	ds_read2_b64 v[108:111], v1 offset0:79 offset1:80
	ds_read2_b64 v[112:115], v1 offset0:81 offset1:82
	s_waitcnt vmcnt(19) lgkmcnt(3)
	v_mul_f32_e32 v144, v2, v121
	s_waitcnt vmcnt(18)
	v_mul_f32_e32 v145, v4, v122
	v_mul_f32_e32 v121, v3, v121
	;; [unrolled: 1-line block ×3, first 2 shown]
	buffer_load_dword v146, off, s[0:3], 0 offset:292
	v_fmac_f32_e32 v144, v3, v120
	v_fmac_f32_e32 v145, v5, v119
	v_fma_f32 v120, v2, v120, -v121
	v_fma_f32 v119, v4, v119, -v122
	s_clause 0x3
	buffer_load_dword v147, off, s[0:3], 0 offset:312
	buffer_load_dword v160, off, s[0:3], 0 offset:304
	;; [unrolled: 1-line block ×4, first 2 shown]
	s_waitcnt vmcnt(22) lgkmcnt(2)
	v_mul_f32_e32 v122, v132, v118
	v_mul_f32_e32 v2, v133, v118
	s_waitcnt vmcnt(21)
	v_mul_f32_e32 v3, v135, v117
	v_mul_f32_e32 v118, v134, v117
	v_fmac_f32_e32 v122, v133, v116
	v_fma_f32 v116, v132, v116, -v2
	buffer_load_dword v132, off, s[0:3], 0 offset:300
	s_waitcnt vmcnt(18)
	v_fma_f32 v117, v134, v131, -v3
	s_waitcnt vmcnt(17) lgkmcnt(1)
	v_mul_f32_e32 v134, v108, v129
	v_mul_f32_e32 v2, v109, v129
	v_fmac_f32_e32 v118, v135, v131
	s_clause 0x1
	buffer_load_dword v131, off, s[0:3], 0 offset:308
	buffer_load_dword v133, off, s[0:3], 0 offset:316
	s_waitcnt vmcnt(18)
	v_mul_f32_e32 v135, v110, v130
	v_mul_f32_e32 v3, v111, v130
	v_fmac_f32_e32 v134, v109, v127
	v_fma_f32 v127, v108, v127, -v2
	s_waitcnt vmcnt(16) lgkmcnt(0)
	v_mul_f32_e32 v2, v115, v126
	v_fmac_f32_e32 v135, v111, v125
	v_fma_f32 v125, v110, v125, -v3
	v_mul_f32_e32 v164, v114, v126
	v_add_f32_e32 v3, 0, v8
	s_waitcnt vmcnt(11)
	v_fma_f32 v126, v114, v152, -v2
	v_add_f32_e32 v2, 0, v156
	v_mul_f32_e32 v129, v112, v128
	v_mul_f32_e32 v4, v113, v128
	s_clause 0x5
	buffer_load_dword v128, off, s[0:3], 0 offset:324
	buffer_load_dword v130, off, s[0:3], 0 offset:332
	;; [unrolled: 1-line block ×6, first 2 shown]
	v_fmac_f32_e32 v164, v115, v152
	s_clause 0x2
	buffer_load_dword v152, off, s[0:3], 0 offset:372
	buffer_load_dword v167, off, s[0:3], 0 offset:380
	;; [unrolled: 1-line block ×3, first 2 shown]
	v_add_f32_e32 v2, v2, v157
	v_add_f32_e32 v3, v3, v6
	s_clause 0x3
	buffer_load_dword v6, off, s[0:3], 0 offset:344
	buffer_load_dword v156, off, s[0:3], 0 offset:336
	;; [unrolled: 1-line block ×4, first 2 shown]
	v_fmac_f32_e32 v129, v113, v124
	v_fma_f32 v124, v112, v124, -v4
	v_add_f32_e32 v2, v2, v158
	v_add_f32_e32 v3, v3, v7
	;; [unrolled: 1-line block ×4, first 2 shown]
	s_clause 0x3
	buffer_load_dword v7, off, s[0:3], 0 offset:376
	buffer_load_dword v136, off, s[0:3], 0 offset:368
	buffer_load_dword v158, off, s[0:3], 0 offset:360
	buffer_load_dword v159, off, s[0:3], 0 offset:352
	v_add_f32_e32 v2, v2, v137
	buffer_load_dword v137, off, s[0:3], 0 offset:384
	v_add_f32_e32 v3, v3, v140
	buffer_load_dword v140, off, s[0:3], 0 offset:128
	v_add_f32_e32 v2, v2, v138
	v_add_f32_e32 v3, v3, v142
	;; [unrolled: 1-line block ×4, first 2 shown]
	ds_read2_b64 v[2:5], v1 offset0:83 offset1:84
	v_add_f32_e32 v108, v108, v141
	v_add_f32_e32 v109, v109, v123
	;; [unrolled: 1-line block ×4, first 2 shown]
	ds_read2_b64 v[108:111], v1 offset0:85 offset1:86
	v_add_f32_e32 v112, v112, v145
	v_add_f32_e32 v113, v113, v119
	;; [unrolled: 1-line block ×4, first 2 shown]
	s_waitcnt vmcnt(29) lgkmcnt(1)
	v_mul_f32_e32 v138, v2, v153
	v_mul_f32_e32 v114, v3, v153
	s_waitcnt vmcnt(28)
	v_mul_f32_e32 v139, v4, v154
	v_mul_f32_e32 v115, v5, v154
	v_add_f32_e32 v118, v112, v118
	v_fmac_f32_e32 v138, v3, v151
	v_fma_f32 v141, v2, v151, -v114
	v_fmac_f32_e32 v139, v5, v150
	v_fma_f32 v142, v4, v150, -v115
	ds_read2_b64 v[2:5], v1 offset0:87 offset1:88
	ds_read2_b64 v[112:115], v1 offset0:89 offset1:90
	v_add_f32_e32 v116, v116, v117
	s_waitcnt lgkmcnt(2)
	v_mul_f32_e32 v143, v108, v149
	v_add_f32_e32 v117, v118, v134
	v_mul_f32_e32 v118, v109, v149
	v_add_f32_e32 v116, v116, v127
	v_fmac_f32_e32 v143, v109, v148
	v_add_f32_e32 v109, v117, v135
	v_fma_f32 v134, v108, v148, -v118
	v_add_f32_e32 v120, v116, v125
	v_add_f32_e32 v124, v120, v124
	s_waitcnt vmcnt(26)
	v_mul_f32_e32 v144, v110, v146
	v_mul_f32_e32 v119, v111, v146
	s_waitcnt vmcnt(22)
	v_fmac_f32_e32 v144, v111, v121
	v_fma_f32 v135, v110, v121, -v119
	v_add_f32_e32 v121, v109, v129
	ds_read2_b64 v[108:111], v1 offset0:91 offset1:92
	ds_read2_b64 v[116:119], v1 offset0:93 offset1:94
	v_add_f32_e32 v127, v121, v164
	s_waitcnt vmcnt(21) lgkmcnt(3)
	v_mul_f32_e32 v129, v2, v132
	v_mul_f32_e32 v125, v3, v132
	v_add_f32_e32 v132, v124, v126
	ds_read2_b64 v[120:123], v1 offset0:95 offset1:96
	v_fmac_f32_e32 v129, v3, v161
	v_fma_f32 v2, v2, v161, -v125
	v_add_f32_e32 v3, v127, v138
	ds_read2_b64 v[124:127], v1 offset0:97 offset1:98
	v_add_f32_e32 v1, v132, v141
	s_waitcnt vmcnt(20)
	v_mul_f32_e32 v132, v4, v131
	v_mul_f32_e32 v131, v5, v131
	v_add_f32_e32 v3, v3, v139
	s_waitcnt vmcnt(19) lgkmcnt(4)
	v_mul_f32_e32 v138, v112, v133
	v_add_f32_e32 v1, v1, v142
	v_mul_f32_e32 v133, v113, v133
	v_fma_f32 v4, v4, v160, -v131
	v_add_f32_e32 v3, v3, v143
	v_fmac_f32_e32 v132, v5, v160
	v_add_f32_e32 v1, v1, v134
	s_waitcnt vmcnt(18)
	v_mul_f32_e32 v139, v114, v128
	v_mul_f32_e32 v128, v115, v128
	v_add_f32_e32 v3, v3, v144
	v_fma_f32 v112, v112, v147, -v133
	v_add_f32_e32 v1, v1, v135
	v_fmac_f32_e32 v138, v113, v147
	s_waitcnt vmcnt(6)
	v_fma_f32 v113, v114, v168, -v128
	s_waitcnt lgkmcnt(3)
	v_mul_f32_e32 v5, v108, v130
	v_fmac_f32_e32 v139, v115, v168
	v_add_f32_e32 v1, v1, v2
	v_add_f32_e32 v2, v3, v129
	v_mul_f32_e32 v131, v110, v162
	v_fmac_f32_e32 v5, v109, v157
	s_waitcnt lgkmcnt(2)
	v_mul_f32_e32 v134, v116, v163
	v_add_f32_e32 v1, v1, v4
	v_add_f32_e32 v2, v2, v132
	v_mul_f32_e32 v4, v109, v130
	v_fmac_f32_e32 v131, v111, v156
	v_mul_f32_e32 v141, v118, v165
	v_add_f32_e32 v1, v1, v112
	v_add_f32_e32 v2, v2, v138
	v_mul_f32_e32 v112, v111, v162
	v_fma_f32 v4, v108, v157, -v4
	v_mul_f32_e32 v108, v117, v163
	v_add_f32_e32 v1, v1, v113
	v_add_f32_e32 v2, v2, v139
	v_fma_f32 v109, v110, v156, -v112
	v_fmac_f32_e32 v134, v117, v6
	s_waitcnt lgkmcnt(1)
	v_mul_f32_e32 v142, v120, v166
	v_add_f32_e32 v1, v1, v4
	v_add_f32_e32 v2, v2, v5
	v_mul_f32_e32 v4, v119, v165
	v_fma_f32 v5, v116, v6, -v108
	v_mul_f32_e32 v6, v121, v166
	v_add_f32_e32 v1, v1, v109
	v_add_f32_e32 v2, v2, v131
	s_waitcnt vmcnt(2)
	v_fma_f32 v4, v118, v159, -v4
	v_fmac_f32_e32 v141, v119, v159
	v_fma_f32 v6, v120, v158, -v6
	v_add_f32_e32 v1, v1, v5
	v_add_f32_e32 v2, v2, v134
	v_mul_f32_e32 v5, v123, v152
	v_mul_f32_e32 v135, v122, v152
	v_fmac_f32_e32 v142, v121, v158
	v_add_f32_e32 v1, v1, v4
	v_add_f32_e32 v2, v2, v141
	s_waitcnt lgkmcnt(0)
	v_mul_f32_e32 v4, v125, v167
	v_fma_f32 v5, v122, v136, -v5
	v_mul_f32_e32 v143, v124, v167
	v_add_f32_e32 v1, v1, v6
	v_fmac_f32_e32 v135, v123, v136
	v_add_f32_e32 v2, v2, v142
	v_mul_f32_e32 v6, v127, v8
	v_fma_f32 v4, v124, v7, -v4
	v_add_f32_e32 v1, v1, v5
	v_mul_f32_e32 v3, v126, v8
	v_fmac_f32_e32 v143, v125, v7
	v_add_f32_e32 v2, v2, v135
	s_waitcnt vmcnt(1)
	v_fma_f32 v5, v126, v137, -v6
	v_add_f32_e32 v1, v1, v4
	v_fmac_f32_e32 v3, v127, v137
	v_add_f32_e32 v2, v2, v143
	v_add_f32_e32 v1, v1, v5
	v_add_f32_e32 v2, v2, v3
	s_waitcnt vmcnt(0)
	v_sub_f32_e32 v1, v140, v1
	v_sub_f32_e32 v2, v155, v2
	buffer_store_dword v1, off, s[0:3], 0 offset:128
	buffer_store_dword v2, off, s[0:3], 0 offset:132
	v_cmpx_lt_u32_e32 15, v0
	s_cbranch_execz .LBB112_277
; %bb.276:
	s_clause 0x1
	buffer_load_dword v1, off, s[0:3], 0 offset:120
	buffer_load_dword v2, off, s[0:3], 0 offset:124
	v_mov_b32_e32 v3, 0
	buffer_store_dword v3, off, s[0:3], 0 offset:120
	buffer_store_dword v3, off, s[0:3], 0 offset:124
	s_waitcnt vmcnt(0)
	ds_write_b64 v107, v[1:2]
.LBB112_277:
	s_or_b32 exec_lo, exec_lo, s4
	s_waitcnt lgkmcnt(0)
	s_waitcnt_vscnt null, 0x0
	s_barrier
	buffer_gl0_inv
	s_clause 0x23
	buffer_load_dword v109, off, s[0:3], 0 offset:132
	buffer_load_dword v111, off, s[0:3], 0 offset:140
	buffer_load_dword v112, off, s[0:3], 0 offset:148
	buffer_load_dword v110, off, s[0:3], 0 offset:144
	buffer_load_dword v114, off, s[0:3], 0 offset:136
	buffer_load_dword v115, off, s[0:3], 0 offset:128
	buffer_load_dword v113, off, s[0:3], 0 offset:156
	buffer_load_dword v116, off, s[0:3], 0 offset:176
	buffer_load_dword v117, off, s[0:3], 0 offset:168
	buffer_load_dword v119, off, s[0:3], 0 offset:160
	buffer_load_dword v124, off, s[0:3], 0 offset:152
	buffer_load_dword v122, off, s[0:3], 0 offset:164
	buffer_load_dword v123, off, s[0:3], 0 offset:172
	buffer_load_dword v120, off, s[0:3], 0 offset:180
	buffer_load_dword v118, off, s[0:3], 0 offset:188
	buffer_load_dword v121, off, s[0:3], 0 offset:196
	buffer_load_dword v125, off, s[0:3], 0 offset:204
	buffer_load_dword v126, off, s[0:3], 0 offset:208
	buffer_load_dword v129, off, s[0:3], 0 offset:200
	buffer_load_dword v130, off, s[0:3], 0 offset:192
	buffer_load_dword v132, off, s[0:3], 0 offset:184
	buffer_load_dword v131, off, s[0:3], 0 offset:212
	buffer_load_dword v127, off, s[0:3], 0 offset:220
	buffer_load_dword v133, off, s[0:3], 0 offset:240
	buffer_load_dword v137, off, s[0:3], 0 offset:232
	buffer_load_dword v138, off, s[0:3], 0 offset:224
	buffer_load_dword v143, off, s[0:3], 0 offset:216
	buffer_load_dword v141, off, s[0:3], 0 offset:228
	buffer_load_dword v142, off, s[0:3], 0 offset:236
	buffer_load_dword v136, off, s[0:3], 0 offset:244
	buffer_load_dword v135, off, s[0:3], 0 offset:252
	buffer_load_dword v128, off, s[0:3], 0 offset:272
	buffer_load_dword v134, off, s[0:3], 0 offset:264
	buffer_load_dword v139, off, s[0:3], 0 offset:256
	buffer_load_dword v144, off, s[0:3], 0 offset:248
	buffer_load_dword v140, off, s[0:3], 0 offset:260
	v_mov_b32_e32 v108, 0
	ds_read_b128 v[5:8], v108 offset:528
	ds_read_b128 v[1:4], v108 offset:544
	buffer_load_dword v153, off, s[0:3], 0 offset:124
	ds_read_b128 v[145:148], v108 offset:560
	ds_read_b128 v[149:152], v108 offset:576
	s_mov_b32 s4, exec_lo
	s_waitcnt vmcnt(36) lgkmcnt(3)
	v_mul_f32_e32 v154, v5, v109
	s_waitcnt vmcnt(35)
	v_mul_f32_e32 v155, v7, v111
	v_mul_f32_e32 v109, v6, v109
	;; [unrolled: 1-line block ×3, first 2 shown]
	s_waitcnt vmcnt(34) lgkmcnt(2)
	v_mul_f32_e32 v156, v1, v112
	v_mul_f32_e32 v112, v2, v112
	s_waitcnt vmcnt(30)
	v_mul_f32_e32 v157, v3, v113
	v_mul_f32_e32 v113, v4, v113
	v_fmac_f32_e32 v154, v6, v115
	v_fmac_f32_e32 v155, v8, v114
	v_fma_f32 v115, v5, v115, -v109
	v_fma_f32 v114, v7, v114, -v111
	ds_read_b128 v[5:8], v108 offset:592
	v_fmac_f32_e32 v156, v2, v110
	v_fma_f32 v158, v1, v110, -v112
	ds_read_b128 v[109:112], v108 offset:608
	s_waitcnt vmcnt(26)
	v_fmac_f32_e32 v157, v4, v124
	v_fma_f32 v113, v3, v124, -v113
	s_waitcnt vmcnt(25) lgkmcnt(3)
	v_mul_f32_e32 v124, v145, v122
	s_waitcnt vmcnt(24)
	v_mul_f32_e32 v159, v147, v123
	v_mul_f32_e32 v1, v146, v122
	;; [unrolled: 1-line block ×3, first 2 shown]
	s_clause 0x1
	buffer_load_dword v122, off, s[0:3], 0 offset:268
	buffer_load_dword v123, off, s[0:3], 0 offset:276
	v_fmac_f32_e32 v124, v146, v119
	v_fmac_f32_e32 v159, v148, v117
	v_fma_f32 v119, v145, v119, -v1
	v_fma_f32 v117, v147, v117, -v2
	ds_read_b128 v[1:4], v108 offset:624
	s_waitcnt vmcnt(25) lgkmcnt(3)
	v_mul_f32_e32 v145, v149, v120
	v_mul_f32_e32 v120, v150, v120
	s_waitcnt vmcnt(24)
	v_mul_f32_e32 v146, v151, v118
	v_mul_f32_e32 v118, v152, v118
	s_waitcnt vmcnt(23) lgkmcnt(2)
	v_mul_f32_e32 v147, v5, v121
	v_fmac_f32_e32 v145, v150, v116
	v_fma_f32 v116, v149, v116, -v120
	s_waitcnt vmcnt(22)
	v_mul_f32_e32 v120, v7, v125
	v_mul_f32_e32 v121, v6, v121
	;; [unrolled: 1-line block ×3, first 2 shown]
	s_waitcnt vmcnt(18)
	v_fma_f32 v118, v151, v132, -v118
	v_fmac_f32_e32 v147, v6, v130
	v_fmac_f32_e32 v120, v8, v129
	v_fma_f32 v121, v5, v130, -v121
	v_fma_f32 v125, v7, v129, -v125
	s_clause 0x5
	buffer_load_dword v129, off, s[0:3], 0 offset:284
	buffer_load_dword v130, off, s[0:3], 0 offset:292
	;; [unrolled: 1-line block ×6, first 2 shown]
	v_fmac_f32_e32 v146, v152, v132
	s_waitcnt vmcnt(23) lgkmcnt(1)
	v_mul_f32_e32 v132, v109, v131
	v_mul_f32_e32 v131, v110, v131
	s_waitcnt vmcnt(22)
	v_mul_f32_e32 v152, v111, v127
	v_mul_f32_e32 v127, v112, v127
	ds_read_b128 v[5:8], v108 offset:640
	v_fmac_f32_e32 v132, v110, v126
	v_fma_f32 v109, v109, v126, -v131
	s_waitcnt vmcnt(18)
	v_fmac_f32_e32 v152, v112, v143
	v_fma_f32 v110, v111, v143, -v127
	s_waitcnt vmcnt(17) lgkmcnt(1)
	v_mul_f32_e32 v111, v1, v141
	v_mul_f32_e32 v112, v2, v141
	s_clause 0x1
	buffer_load_dword v131, off, s[0:3], 0 offset:300
	buffer_load_dword v141, off, s[0:3], 0 offset:308
	v_add_f32_e32 v115, 0, v115
	s_waitcnt vmcnt(18)
	v_mul_f32_e32 v126, v3, v142
	v_mul_f32_e32 v127, v4, v142
	v_fma_f32 v112, v1, v138, -v112
	v_add_f32_e32 v1, 0, v154
	v_add_f32_e32 v114, v115, v114
	v_fmac_f32_e32 v111, v2, v138
	v_fmac_f32_e32 v126, v4, v137
	v_fma_f32 v127, v3, v137, -v127
	v_add_f32_e32 v154, v1, v155
	s_clause 0x3
	buffer_load_dword v137, off, s[0:3], 0 offset:316
	buffer_load_dword v138, off, s[0:3], 0 offset:324
	buffer_load_dword v142, off, s[0:3], 0 offset:332
	buffer_load_dword v143, off, s[0:3], 0 offset:340
	ds_read_b128 v[1:4], v108 offset:656
	s_waitcnt vmcnt(21) lgkmcnt(1)
	v_mul_f32_e32 v155, v5, v136
	v_mul_f32_e32 v115, v6, v136
	v_add_f32_e32 v136, v154, v156
	s_waitcnt vmcnt(20)
	v_mul_f32_e32 v154, v7, v135
	v_mul_f32_e32 v135, v8, v135
	v_fmac_f32_e32 v155, v6, v133
	v_fma_f32 v133, v5, v133, -v115
	v_add_f32_e32 v5, v136, v157
	v_add_f32_e32 v114, v114, v158
	s_clause 0x3
	buffer_load_dword v136, off, s[0:3], 0 offset:348
	buffer_load_dword v156, off, s[0:3], 0 offset:356
	;; [unrolled: 1-line block ×4, first 2 shown]
	s_waitcnt vmcnt(20)
	v_fmac_f32_e32 v154, v8, v144
	v_fma_f32 v135, v7, v144, -v135
	v_add_f32_e32 v5, v5, v124
	s_clause 0x5
	buffer_load_dword v144, off, s[0:3], 0 offset:380
	buffer_load_dword v124, off, s[0:3], 0 offset:336
	;; [unrolled: 1-line block ×6, first 2 shown]
	v_add_f32_e32 v6, v114, v113
	v_add_f32_e32 v5, v5, v159
	s_waitcnt vmcnt(25) lgkmcnt(0)
	v_mul_f32_e32 v115, v2, v140
	v_add_f32_e32 v6, v6, v119
	v_add_f32_e32 v114, v5, v145
	v_mul_f32_e32 v145, v1, v140
	v_add_f32_e32 v113, v6, v117
	ds_read_b128 v[5:8], v108 offset:672
	v_add_f32_e32 v114, v114, v146
	v_fmac_f32_e32 v145, v2, v139
	v_fma_f32 v117, v1, v139, -v115
	v_add_f32_e32 v113, v113, v116
	v_add_f32_e32 v2, v114, v147
	s_clause 0x5
	buffer_load_dword v139, off, s[0:3], 0 offset:368
	buffer_load_dword v140, off, s[0:3], 0 offset:360
	;; [unrolled: 1-line block ×6, first 2 shown]
	v_add_f32_e32 v1, v113, v118
	v_add_f32_e32 v2, v2, v120
	;; [unrolled: 1-line block ×5, first 2 shown]
	buffer_load_dword v125, off, s[0:3], 0 offset:120
	v_add_f32_e32 v113, v113, v152
	v_add_f32_e32 v109, v1, v109
	;; [unrolled: 1-line block ×6, first 2 shown]
	ds_read_b128 v[109:112], v108 offset:704
	v_add_f32_e32 v119, v119, v155
	v_add_f32_e32 v118, v115, v127
	v_add_f32_e32 v118, v118, v133
	v_add_f32_e32 v118, v118, v135
	s_waitcnt vmcnt(30)
	v_mul_f32_e32 v132, v3, v122
	v_mul_f32_e32 v2, v4, v122
	s_waitcnt vmcnt(29) lgkmcnt(1)
	v_mul_f32_e32 v114, v6, v123
	v_fmac_f32_e32 v132, v4, v134
	v_fma_f32 v121, v3, v134, -v2
	ds_read_b128 v[1:4], v108 offset:688
	v_mul_f32_e32 v134, v5, v123
	v_fmac_f32_e32 v134, v6, v128
	v_fma_f32 v128, v5, v128, -v114
	s_waitcnt vmcnt(28)
	v_mul_f32_e32 v123, v7, v129
	v_mul_f32_e32 v116, v8, v129
	s_waitcnt vmcnt(23)
	v_fmac_f32_e32 v123, v8, v151
	v_fma_f32 v127, v7, v151, -v116
	ds_read_b128 v[5:8], v108 offset:720
	ds_read_b128 v[113:116], v108 offset:736
	s_waitcnt lgkmcnt(2)
	v_mul_f32_e32 v120, v2, v130
	v_mul_f32_e32 v126, v1, v130
	v_fma_f32 v130, v1, v150, -v120
	v_add_f32_e32 v1, v119, v154
	s_waitcnt vmcnt(22)
	v_mul_f32_e32 v129, v3, v131
	v_mul_f32_e32 v122, v4, v131
	v_add_f32_e32 v131, v118, v117
	v_fmac_f32_e32 v126, v2, v150
	v_add_f32_e32 v135, v1, v145
	v_fmac_f32_e32 v129, v4, v149
	v_fma_f32 v133, v3, v149, -v122
	v_add_f32_e32 v131, v131, v121
	s_waitcnt vmcnt(21)
	v_mul_f32_e32 v145, v109, v141
	v_add_f32_e32 v132, v135, v132
	s_waitcnt vmcnt(20)
	v_mul_f32_e32 v135, v111, v137
	v_mul_f32_e32 v137, v112, v137
	v_add_f32_e32 v128, v131, v128
	v_mul_f32_e32 v131, v110, v141
	v_add_f32_e32 v132, v132, v134
	v_fmac_f32_e32 v145, v110, v148
	ds_read_b128 v[117:120], v108 offset:752
	ds_read_b128 v[1:4], v108 offset:768
	v_add_f32_e32 v127, v128, v127
	v_add_f32_e32 v123, v132, v123
	v_fma_f32 v109, v109, v148, -v131
	s_waitcnt vmcnt(19) lgkmcnt(3)
	v_mul_f32_e32 v134, v5, v138
	s_waitcnt vmcnt(18)
	v_mul_f32_e32 v128, v7, v142
	v_add_f32_e32 v127, v127, v130
	v_add_f32_e32 v123, v123, v126
	s_waitcnt vmcnt(17) lgkmcnt(2)
	v_mul_f32_e32 v141, v113, v143
	s_waitcnt vmcnt(9)
	v_fmac_f32_e32 v134, v6, v161
	s_waitcnt vmcnt(8)
	v_fma_f32 v111, v111, v162, -v137
	v_add_f32_e32 v127, v127, v133
	v_add_f32_e32 v123, v123, v129
	v_mul_f32_e32 v133, v6, v138
	v_fmac_f32_e32 v135, v112, v162
	v_fmac_f32_e32 v128, v8, v160
	v_add_f32_e32 v109, v127, v109
	v_add_f32_e32 v112, v123, v145
	v_mul_f32_e32 v123, v8, v142
	v_fma_f32 v5, v5, v161, -v133
	v_mul_f32_e32 v8, v116, v136
	v_add_f32_e32 v6, v109, v111
	v_add_f32_e32 v109, v112, v135
	v_mul_f32_e32 v111, v114, v143
	v_fma_f32 v7, v7, v160, -v123
	v_mul_f32_e32 v132, v115, v136
	v_add_f32_e32 v5, v6, v5
	v_add_f32_e32 v6, v109, v134
	v_fma_f32 v109, v113, v124, -v111
	v_fmac_f32_e32 v141, v114, v124
	ds_read_b64 v[121:122], v108 offset:784
	v_add_f32_e32 v5, v5, v7
	v_add_f32_e32 v6, v6, v128
	s_waitcnt lgkmcnt(2)
	v_mul_f32_e32 v7, v118, v156
	s_waitcnt vmcnt(3)
	v_fma_f32 v8, v115, v147, -v8
	v_mul_f32_e32 v130, v117, v156
	v_add_f32_e32 v5, v5, v109
	v_fmac_f32_e32 v132, v116, v147
	v_add_f32_e32 v6, v6, v141
	v_mul_f32_e32 v109, v120, v157
	v_fma_f32 v7, v117, v146, -v7
	v_add_f32_e32 v5, v5, v8
	v_mul_f32_e32 v110, v119, v157
	v_fmac_f32_e32 v130, v118, v146
	v_add_f32_e32 v6, v6, v132
	s_waitcnt lgkmcnt(1)
	v_mul_f32_e32 v126, v1, v158
	v_mul_f32_e32 v8, v2, v158
	v_fma_f32 v109, v119, v140, -v109
	v_add_f32_e32 v5, v5, v7
	v_fmac_f32_e32 v110, v120, v140
	v_add_f32_e32 v6, v6, v130
	v_mul_f32_e32 v7, v4, v144
	v_fmac_f32_e32 v126, v2, v139
	v_fma_f32 v1, v1, v139, -v8
	v_add_f32_e32 v2, v5, v109
	v_mul_f32_e32 v131, v3, v144
	v_add_f32_e32 v5, v6, v110
	s_waitcnt lgkmcnt(0)
	v_mul_f32_e32 v6, v122, v163
	s_waitcnt vmcnt(1)
	v_fma_f32 v3, v3, v164, -v7
	v_add_f32_e32 v1, v2, v1
	v_mul_f32_e32 v129, v121, v163
	v_fmac_f32_e32 v131, v4, v164
	v_add_f32_e32 v2, v5, v126
	v_fma_f32 v4, v121, v159, -v6
	v_add_f32_e32 v1, v1, v3
	v_fmac_f32_e32 v129, v122, v159
	v_add_f32_e32 v2, v2, v131
	v_add_f32_e32 v1, v1, v4
	;; [unrolled: 1-line block ×3, first 2 shown]
	s_waitcnt vmcnt(0)
	v_sub_f32_e32 v1, v125, v1
	v_sub_f32_e32 v2, v153, v2
	buffer_store_dword v1, off, s[0:3], 0 offset:120
	buffer_store_dword v2, off, s[0:3], 0 offset:124
	v_cmpx_lt_u32_e32 14, v0
	s_cbranch_execz .LBB112_279
; %bb.278:
	s_clause 0x1
	buffer_load_dword v1, off, s[0:3], 0 offset:112
	buffer_load_dword v2, off, s[0:3], 0 offset:116
	buffer_store_dword v108, off, s[0:3], 0 offset:112
	buffer_store_dword v108, off, s[0:3], 0 offset:116
	s_waitcnt vmcnt(0)
	ds_write_b64 v107, v[1:2]
.LBB112_279:
	s_or_b32 exec_lo, exec_lo, s4
	s_waitcnt lgkmcnt(0)
	s_waitcnt_vscnt null, 0x0
	s_barrier
	buffer_gl0_inv
	s_clause 0x23
	buffer_load_dword v143, off, s[0:3], 0 offset:124
	buffer_load_dword v144, off, s[0:3], 0 offset:132
	;; [unrolled: 1-line block ×36, first 2 shown]
	ds_read2_b64 v[5:8], v108 offset0:65 offset1:66
	ds_read2_b64 v[1:4], v108 offset0:67 offset1:68
	;; [unrolled: 1-line block ×3, first 2 shown]
	s_clause 0x1
	buffer_load_dword v153, off, s[0:3], 0 offset:260
	buffer_load_dword v154, off, s[0:3], 0 offset:268
	ds_read2_b64 v[149:152], v108 offset0:71 offset1:72
	buffer_load_dword v157, off, s[0:3], 0 offset:116
	s_mov_b32 s4, exec_lo
	s_waitcnt vmcnt(38) lgkmcnt(3)
	v_mul_f32_e32 v155, v5, v143
	s_waitcnt vmcnt(37)
	v_mul_f32_e32 v156, v7, v144
	v_mul_f32_e32 v143, v6, v143
	;; [unrolled: 1-line block ×3, first 2 shown]
	s_waitcnt vmcnt(34)
	v_fmac_f32_e32 v155, v6, v115
	v_fmac_f32_e32 v156, v8, v114
	v_fma_f32 v115, v5, v115, -v143
	v_fma_f32 v114, v7, v114, -v144
	ds_read2_b64 v[5:8], v108 offset0:73 offset1:74
	s_waitcnt vmcnt(33) lgkmcnt(3)
	v_mul_f32_e32 v143, v1, v112
	v_mul_f32_e32 v112, v2, v112
	s_waitcnt vmcnt(32)
	v_mul_f32_e32 v144, v3, v111
	v_mul_f32_e32 v111, v4, v111
	s_waitcnt vmcnt(31) lgkmcnt(2)
	v_mul_f32_e32 v158, v145, v110
	v_fmac_f32_e32 v143, v2, v109
	v_fma_f32 v159, v1, v109, -v112
	s_waitcnt vmcnt(30)
	v_mul_f32_e32 v160, v147, v113
	v_mul_f32_e32 v109, v146, v110
	;; [unrolled: 1-line block ×3, first 2 shown]
	s_waitcnt vmcnt(26)
	v_fmac_f32_e32 v144, v4, v121
	v_fma_f32 v113, v3, v121, -v111
	ds_read2_b64 v[1:4], v108 offset0:75 offset1:76
	v_fmac_f32_e32 v158, v146, v120
	v_fma_f32 v120, v145, v120, -v109
	s_waitcnt vmcnt(25) lgkmcnt(2)
	v_mul_f32_e32 v121, v149, v117
	s_waitcnt vmcnt(24)
	v_mul_f32_e32 v145, v151, v118
	v_mul_f32_e32 v117, v150, v117
	;; [unrolled: 1-line block ×3, first 2 shown]
	v_fmac_f32_e32 v160, v148, v119
	v_fma_f32 v119, v147, v119, -v110
	ds_read2_b64 v[109:112], v108 offset0:77 offset1:78
	v_fmac_f32_e32 v121, v150, v116
	s_waitcnt vmcnt(19)
	v_fmac_f32_e32 v145, v152, v132
	v_fma_f32 v116, v149, v116, -v117
	v_fma_f32 v117, v151, v132, -v118
	s_clause 0x4
	buffer_load_dword v118, off, s[0:3], 0 offset:276
	buffer_load_dword v132, off, s[0:3], 0 offset:296
	;; [unrolled: 1-line block ×5, first 2 shown]
	s_waitcnt lgkmcnt(2)
	v_mul_f32_e32 v146, v5, v122
	v_mul_f32_e32 v122, v6, v122
	s_waitcnt vmcnt(23)
	v_mul_f32_e32 v150, v7, v128
	v_mul_f32_e32 v128, v8, v128
	v_fmac_f32_e32 v146, v6, v127
	v_fma_f32 v5, v5, v127, -v122
	s_waitcnt vmcnt(22) lgkmcnt(1)
	v_mul_f32_e32 v122, v1, v125
	v_fmac_f32_e32 v150, v8, v124
	v_fma_f32 v124, v7, v124, -v128
	s_waitcnt vmcnt(21)
	v_mul_f32_e32 v127, v3, v126
	v_mul_f32_e32 v6, v2, v125
	;; [unrolled: 1-line block ×3, first 2 shown]
	s_clause 0x2
	buffer_load_dword v125, off, s[0:3], 0 offset:284
	buffer_load_dword v126, off, s[0:3], 0 offset:292
	;; [unrolled: 1-line block ×3, first 2 shown]
	v_fmac_f32_e32 v122, v2, v123
	s_waitcnt vmcnt(20)
	v_fmac_f32_e32 v127, v4, v141
	v_fma_f32 v123, v1, v123, -v6
	v_fma_f32 v141, v3, v141, -v7
	ds_read2_b64 v[1:4], v108 offset0:79 offset1:80
	v_add_f32_e32 v6, 0, v155
	v_add_f32_e32 v7, 0, v115
	s_waitcnt vmcnt(19) lgkmcnt(1)
	v_mul_f32_e32 v151, v109, v138
	s_waitcnt vmcnt(18)
	v_mul_f32_e32 v152, v111, v139
	v_mul_f32_e32 v8, v110, v138
	v_add_f32_e32 v6, v6, v156
	v_mul_f32_e32 v115, v112, v139
	v_add_f32_e32 v7, v7, v114
	v_fmac_f32_e32 v151, v110, v136
	v_fmac_f32_e32 v152, v112, v135
	v_add_f32_e32 v6, v6, v143
	v_fma_f32 v109, v109, v136, -v8
	v_fma_f32 v114, v111, v135, -v115
	v_add_f32_e32 v7, v7, v159
	s_clause 0x7
	buffer_load_dword v135, off, s[0:3], 0 offset:308
	buffer_load_dword v136, off, s[0:3], 0 offset:316
	;; [unrolled: 1-line block ×8, first 2 shown]
	v_add_f32_e32 v6, v6, v144
	v_add_f32_e32 v7, v7, v113
	s_waitcnt vmcnt(25) lgkmcnt(0)
	v_mul_f32_e32 v8, v2, v133
	v_mul_f32_e32 v115, v1, v133
	s_clause 0x3
	buffer_load_dword v133, off, s[0:3], 0 offset:340
	buffer_load_dword v144, off, s[0:3], 0 offset:348
	;; [unrolled: 1-line block ×4, first 2 shown]
	v_fma_f32 v113, v1, v130, -v8
	v_add_f32_e32 v1, v6, v158
	v_fmac_f32_e32 v115, v2, v130
	v_add_f32_e32 v6, v7, v120
	s_waitcnt vmcnt(28)
	v_mul_f32_e32 v120, v3, v131
	v_mul_f32_e32 v2, v4, v131
	v_add_f32_e32 v7, v1, v160
	s_clause 0x2
	buffer_load_dword v130, off, s[0:3], 0 offset:372
	buffer_load_dword v158, off, s[0:3], 0 offset:380
	;; [unrolled: 1-line block ×3, first 2 shown]
	s_waitcnt vmcnt(27)
	v_fmac_f32_e32 v120, v4, v142
	v_fma_f32 v142, v3, v142, -v2
	ds_read2_b64 v[1:4], v108 offset0:81 offset1:82
	v_add_f32_e32 v7, v7, v121
	v_add_f32_e32 v6, v6, v119
	v_add_f32_e32 v7, v7, v145
	s_clause 0x3
	buffer_load_dword v145, off, s[0:3], 0 offset:360
	buffer_load_dword v160, off, s[0:3], 0 offset:352
	;; [unrolled: 1-line block ×4, first 2 shown]
	v_add_f32_e32 v6, v6, v116
	v_add_f32_e32 v110, v7, v146
	;; [unrolled: 1-line block ×5, first 2 shown]
	ds_read2_b64 v[5:8], v108 offset0:83 offset1:84
	s_waitcnt vmcnt(30) lgkmcnt(1)
	v_mul_f32_e32 v117, v1, v140
	v_mul_f32_e32 v112, v2, v140
	s_waitcnt vmcnt(29)
	v_mul_f32_e32 v121, v3, v153
	v_fmac_f32_e32 v117, v2, v137
	v_fma_f32 v119, v1, v137, -v112
	s_clause 0x3
	buffer_load_dword v137, off, s[0:3], 0 offset:384
	buffer_load_dword v140, off, s[0:3], 0 offset:376
	;; [unrolled: 1-line block ×4, first 2 shown]
	v_add_f32_e32 v1, v111, v124
	v_add_f32_e32 v2, v110, v122
	v_mul_f32_e32 v110, v4, v153
	v_fmac_f32_e32 v121, v4, v134
	v_add_f32_e32 v1, v1, v123
	v_add_f32_e32 v2, v2, v127
	v_fma_f32 v122, v3, v134, -v110
	v_add_f32_e32 v111, v1, v141
	v_add_f32_e32 v116, v2, v151
	ds_read2_b64 v[1:4], v108 offset0:85 offset1:86
	s_waitcnt vmcnt(32) lgkmcnt(1)
	v_mul_f32_e32 v124, v5, v154
	v_mul_f32_e32 v127, v6, v154
	v_add_f32_e32 v123, v111, v109
	ds_read2_b64 v[109:112], v108 offset0:87 offset1:88
	v_add_f32_e32 v116, v116, v152
	v_fmac_f32_e32 v124, v6, v129
	v_fma_f32 v127, v5, v129, -v127
	v_add_f32_e32 v114, v123, v114
	v_add_f32_e32 v123, v116, v115
	;; [unrolled: 1-line block ×5, first 2 shown]
	s_waitcnt vmcnt(30)
	v_mul_f32_e32 v134, v7, v118
	v_mul_f32_e32 v118, v8, v118
	s_waitcnt vmcnt(26)
	v_fmac_f32_e32 v134, v8, v149
	v_fma_f32 v129, v7, v149, -v118
	v_add_f32_e32 v118, v114, v113
	ds_read2_b64 v[5:8], v108 offset0:89 offset1:90
	ds_read2_b64 v[113:116], v108 offset0:91 offset1:92
	v_add_f32_e32 v118, v118, v142
	s_waitcnt vmcnt(25) lgkmcnt(3)
	v_mul_f32_e32 v141, v1, v125
	v_mul_f32_e32 v123, v2, v125
	s_waitcnt vmcnt(24)
	v_mul_f32_e32 v142, v3, v126
	v_mul_f32_e32 v125, v4, v126
	s_waitcnt vmcnt(23) lgkmcnt(2)
	v_mul_f32_e32 v126, v109, v128
	v_fmac_f32_e32 v141, v2, v148
	v_fma_f32 v148, v1, v148, -v123
	v_add_f32_e32 v123, v118, v119
	v_fmac_f32_e32 v142, v4, v147
	v_fma_f32 v125, v3, v147, -v125
	v_mul_f32_e32 v128, v110, v128
	ds_read2_b64 v[1:4], v108 offset0:93 offset1:94
	ds_read2_b64 v[117:120], v108 offset0:95 offset1:96
	v_add_f32_e32 v147, v123, v122
	v_fmac_f32_e32 v126, v110, v132
	v_add_f32_e32 v110, v121, v124
	ds_read2_b64 v[121:124], v108 offset0:97 offset1:98
	v_fma_f32 v109, v109, v132, -v128
	v_add_f32_e32 v108, v147, v127
	s_waitcnt vmcnt(22)
	v_mul_f32_e32 v128, v112, v135
	v_add_f32_e32 v110, v110, v134
	v_mul_f32_e32 v127, v111, v135
	s_waitcnt vmcnt(21) lgkmcnt(4)
	v_mul_f32_e32 v132, v5, v136
	v_add_f32_e32 v108, v108, v129
	v_mul_f32_e32 v134, v6, v136
	v_add_f32_e32 v110, v110, v141
	s_waitcnt vmcnt(15)
	v_fma_f32 v111, v111, v159, -v128
	v_fmac_f32_e32 v127, v112, v159
	v_add_f32_e32 v108, v108, v148
	v_fmac_f32_e32 v132, v6, v156
	v_add_f32_e32 v110, v110, v142
	v_fma_f32 v5, v5, v156, -v134
	v_mul_f32_e32 v129, v7, v138
	v_add_f32_e32 v108, v108, v125
	v_mul_f32_e32 v125, v8, v138
	s_waitcnt lgkmcnt(3)
	v_mul_f32_e32 v112, v113, v139
	s_waitcnt vmcnt(14)
	v_mul_f32_e32 v128, v115, v133
	v_fmac_f32_e32 v129, v8, v155
	v_add_f32_e32 v108, v108, v109
	v_add_f32_e32 v109, v110, v126
	v_fma_f32 v7, v7, v155, -v125
	v_mul_f32_e32 v8, v116, v133
	v_fmac_f32_e32 v112, v114, v143
	v_add_f32_e32 v6, v108, v111
	v_add_f32_e32 v108, v109, v127
	v_mul_f32_e32 v109, v114, v139
	s_waitcnt vmcnt(13) lgkmcnt(2)
	v_mul_f32_e32 v135, v1, v144
	s_waitcnt vmcnt(12)
	v_mul_f32_e32 v136, v3, v161
	v_add_f32_e32 v5, v6, v5
	v_add_f32_e32 v6, v108, v132
	v_fma_f32 v108, v113, v143, -v109
	s_waitcnt vmcnt(4)
	v_fma_f32 v8, v115, v164, -v8
	v_fmac_f32_e32 v128, v116, v164
	v_add_f32_e32 v5, v5, v7
	v_add_f32_e32 v6, v6, v129
	v_mul_f32_e32 v7, v2, v144
	v_fmac_f32_e32 v135, v2, v163
	s_waitcnt lgkmcnt(1)
	v_mul_f32_e32 v141, v117, v162
	v_add_f32_e32 v5, v5, v108
	v_add_f32_e32 v6, v6, v112
	v_mul_f32_e32 v108, v4, v161
	v_fma_f32 v1, v1, v163, -v7
	v_fmac_f32_e32 v136, v4, v160
	v_add_f32_e32 v2, v5, v8
	v_add_f32_e32 v5, v6, v128
	v_mul_f32_e32 v6, v118, v162
	v_fma_f32 v3, v3, v160, -v108
	v_mul_f32_e32 v4, v120, v130
	v_add_f32_e32 v1, v2, v1
	v_add_f32_e32 v2, v5, v135
	v_fma_f32 v5, v117, v145, -v6
	v_mul_f32_e32 v138, v119, v130
	v_fmac_f32_e32 v141, v118, v145
	v_add_f32_e32 v1, v1, v3
	v_add_f32_e32 v2, v2, v136
	s_waitcnt lgkmcnt(0)
	v_mul_f32_e32 v3, v122, v158
	s_waitcnt vmcnt(1)
	v_fma_f32 v4, v119, v146, -v4
	v_mul_f32_e32 v142, v121, v158
	v_add_f32_e32 v1, v1, v5
	v_fmac_f32_e32 v138, v120, v146
	v_add_f32_e32 v2, v2, v141
	v_mul_f32_e32 v5, v124, v131
	v_fma_f32 v3, v121, v140, -v3
	v_add_f32_e32 v1, v1, v4
	v_mul_f32_e32 v110, v123, v131
	v_fmac_f32_e32 v142, v122, v140
	v_add_f32_e32 v2, v2, v138
	v_fma_f32 v4, v123, v137, -v5
	v_add_f32_e32 v1, v1, v3
	v_fmac_f32_e32 v110, v124, v137
	v_add_f32_e32 v2, v2, v142
	v_add_f32_e32 v1, v1, v4
	;; [unrolled: 1-line block ×3, first 2 shown]
	s_waitcnt vmcnt(0)
	v_sub_f32_e32 v1, v150, v1
	v_sub_f32_e32 v2, v157, v2
	buffer_store_dword v1, off, s[0:3], 0 offset:112
	buffer_store_dword v2, off, s[0:3], 0 offset:116
	v_cmpx_lt_u32_e32 13, v0
	s_cbranch_execz .LBB112_281
; %bb.280:
	s_clause 0x1
	buffer_load_dword v1, off, s[0:3], 0 offset:104
	buffer_load_dword v2, off, s[0:3], 0 offset:108
	v_mov_b32_e32 v3, 0
	buffer_store_dword v3, off, s[0:3], 0 offset:104
	buffer_store_dword v3, off, s[0:3], 0 offset:108
	s_waitcnt vmcnt(0)
	ds_write_b64 v107, v[1:2]
.LBB112_281:
	s_or_b32 exec_lo, exec_lo, s4
	s_waitcnt lgkmcnt(0)
	s_waitcnt_vscnt null, 0x0
	s_barrier
	buffer_gl0_inv
	s_clause 0x2a
	buffer_load_dword v7, off, s[0:3], 0 offset:116
	buffer_load_dword v8, off, s[0:3], 0 offset:124
	;; [unrolled: 1-line block ×43, first 2 shown]
	v_mov_b32_e32 v1, 0
	ds_read_b128 v[140:143], v1 offset:512
	ds_read_b128 v[144:147], v1 offset:528
	;; [unrolled: 1-line block ×3, first 2 shown]
	buffer_load_dword v158, off, s[0:3], 0 offset:108
	s_mov_b32 s4, exec_lo
	s_waitcnt vmcnt(43) lgkmcnt(2)
	v_mul_f32_e32 v156, v140, v7
	s_waitcnt vmcnt(42)
	v_mul_f32_e32 v157, v142, v8
	v_mul_f32_e32 v7, v141, v7
	;; [unrolled: 1-line block ×3, first 2 shown]
	s_waitcnt vmcnt(39)
	v_fmac_f32_e32 v156, v141, v6
	v_fmac_f32_e32 v157, v143, v5
	v_fma_f32 v159, v140, v6, -v7
	v_fma_f32 v160, v142, v5, -v8
	ds_read_b128 v[5:8], v1 offset:560
	ds_read_b128 v[140:143], v1 offset:576
	s_waitcnt vmcnt(38) lgkmcnt(3)
	v_mul_f32_e32 v161, v144, v3
	v_mul_f32_e32 v3, v145, v3
	s_waitcnt vmcnt(37)
	v_mul_f32_e32 v162, v146, v4
	v_mul_f32_e32 v4, v147, v4
	s_waitcnt vmcnt(32) lgkmcnt(2)
	v_mul_f32_e32 v164, v148, v115
	v_fmac_f32_e32 v161, v145, v2
	v_fma_f32 v163, v144, v2, -v3
	v_mul_f32_e32 v2, v149, v115
	s_waitcnt vmcnt(31)
	v_mul_f32_e32 v165, v150, v114
	v_mul_f32_e32 v3, v151, v114
	v_fmac_f32_e32 v162, v147, v116
	v_fma_f32 v116, v146, v116, -v4
	v_fmac_f32_e32 v164, v149, v111
	v_fma_f32 v148, v148, v111, -v2
	;; [unrolled: 2-line block ×3, first 2 shown]
	ds_read_b128 v[144:147], v1 offset:592
	s_waitcnt vmcnt(30) lgkmcnt(2)
	v_mul_f32_e32 v149, v5, v112
	v_mul_f32_e32 v2, v6, v112
	s_waitcnt vmcnt(29)
	v_mul_f32_e32 v151, v7, v110
	v_mul_f32_e32 v3, v8, v110
	s_waitcnt vmcnt(28) lgkmcnt(1)
	v_mul_f32_e32 v166, v140, v113
	v_fmac_f32_e32 v149, v6, v108
	v_fma_f32 v6, v5, v108, -v2
	s_waitcnt vmcnt(24)
	v_fmac_f32_e32 v151, v8, v123
	v_fma_f32 v7, v7, v123, -v3
	s_waitcnt vmcnt(23)
	v_mul_f32_e32 v8, v142, v122
	v_mul_f32_e32 v108, v141, v113
	v_mul_f32_e32 v109, v143, v122
	ds_read_b128 v[2:5], v1 offset:608
	v_fmac_f32_e32 v166, v141, v121
	v_fmac_f32_e32 v8, v143, v118
	v_fma_f32 v121, v140, v121, -v108
	v_fma_f32 v118, v142, v118, -v109
	ds_read_b128 v[108:111], v1 offset:624
	s_waitcnt vmcnt(22) lgkmcnt(2)
	v_mul_f32_e32 v122, v144, v120
	v_mul_f32_e32 v112, v145, v120
	s_waitcnt vmcnt(21)
	v_mul_f32_e32 v120, v146, v119
	v_mul_f32_e32 v113, v147, v119
	buffer_load_dword v119, off, s[0:3], 0 offset:276
	v_fmac_f32_e32 v122, v145, v117
	v_fma_f32 v117, v144, v117, -v112
	s_waitcnt vmcnt(18)
	v_fmac_f32_e32 v120, v147, v131
	v_fma_f32 v123, v146, v131, -v113
	s_waitcnt vmcnt(17) lgkmcnt(1)
	v_mul_f32_e32 v131, v2, v129
	s_waitcnt vmcnt(16)
	v_mul_f32_e32 v140, v4, v130
	v_mul_f32_e32 v112, v3, v129
	;; [unrolled: 1-line block ×3, first 2 shown]
	v_fmac_f32_e32 v131, v3, v126
	v_fmac_f32_e32 v140, v5, v125
	v_fma_f32 v126, v2, v126, -v112
	v_fma_f32 v125, v4, v125, -v113
	ds_read_b128 v[2:5], v1 offset:640
	s_waitcnt vmcnt(15) lgkmcnt(1)
	v_mul_f32_e32 v129, v108, v128
	v_mul_f32_e32 v114, v109, v128
	s_waitcnt vmcnt(14)
	v_mul_f32_e32 v128, v110, v127
	v_mul_f32_e32 v127, v111, v127
	v_fmac_f32_e32 v129, v109, v124
	v_fma_f32 v124, v108, v124, -v114
	ds_read_b128 v[112:115], v1 offset:656
	s_waitcnt vmcnt(10)
	v_fmac_f32_e32 v128, v111, v139
	v_fma_f32 v127, v110, v139, -v127
	s_clause 0x1
	buffer_load_dword v130, off, s[0:3], 0 offset:284
	buffer_load_dword v139, off, s[0:3], 0 offset:292
	s_waitcnt vmcnt(11) lgkmcnt(1)
	v_mul_f32_e32 v141, v2, v138
	v_mul_f32_e32 v108, v3, v138
	s_waitcnt vmcnt(10)
	v_mul_f32_e32 v142, v4, v137
	v_mul_f32_e32 v109, v5, v137
	buffer_load_dword v138, off, s[0:3], 0 offset:300
	v_fmac_f32_e32 v141, v3, v135
	v_fma_f32 v135, v2, v135, -v108
	v_fmac_f32_e32 v142, v5, v133
	s_waitcnt vmcnt(10) lgkmcnt(0)
	v_mul_f32_e32 v137, v112, v136
	v_mul_f32_e32 v2, v113, v136
	s_waitcnt vmcnt(9)
	v_mul_f32_e32 v3, v115, v134
	s_clause 0x3
	buffer_load_dword v136, off, s[0:3], 0 offset:320
	buffer_load_dword v143, off, s[0:3], 0 offset:312
	;; [unrolled: 1-line block ×4, first 2 shown]
	v_mul_f32_e32 v146, v114, v134
	v_fmac_f32_e32 v137, v113, v132
	v_fma_f32 v132, v112, v132, -v2
	v_add_f32_e32 v2, 0, v156
	s_clause 0x1
	buffer_load_dword v134, off, s[0:3], 0 offset:308
	buffer_load_dword v156, off, s[0:3], 0 offset:324
	s_waitcnt vmcnt(11)
	v_fma_f32 v147, v114, v155, -v3
	v_add_f32_e32 v3, 0, v159
	v_add_f32_e32 v2, v2, v157
	v_fmac_f32_e32 v146, v115, v155
	s_clause 0x4
	buffer_load_dword v155, off, s[0:3], 0 offset:316
	buffer_load_dword v157, off, s[0:3], 0 offset:332
	;; [unrolled: 1-line block ×5, first 2 shown]
	v_add_f32_e32 v3, v3, v160
	v_add_f32_e32 v2, v2, v161
	s_clause 0x1
	buffer_load_dword v160, off, s[0:3], 0 offset:364
	buffer_load_dword v161, off, s[0:3], 0 offset:372
	v_fma_f32 v133, v4, v133, -v109
	v_add_f32_e32 v3, v3, v163
	v_add_f32_e32 v2, v2, v162
	s_clause 0x1
	buffer_load_dword v162, off, s[0:3], 0 offset:380
	buffer_load_dword v163, off, s[0:3], 0 offset:388
	v_add_f32_e32 v3, v3, v116
	v_add_f32_e32 v2, v2, v164
	;; [unrolled: 1-line block ×4, first 2 shown]
	s_clause 0x3
	buffer_load_dword v148, off, s[0:3], 0 offset:352
	buffer_load_dword v164, off, s[0:3], 0 offset:344
	;; [unrolled: 1-line block ×4, first 2 shown]
	v_add_f32_e32 v3, v3, v150
	v_add_f32_e32 v2, v2, v149
	;; [unrolled: 1-line block ×4, first 2 shown]
	s_clause 0x4
	buffer_load_dword v149, off, s[0:3], 0 offset:384
	buffer_load_dword v150, off, s[0:3], 0 offset:376
	;; [unrolled: 1-line block ×5, first 2 shown]
	ds_read_b128 v[108:111], v1 offset:688
	v_add_f32_e32 v3, v3, v7
	v_add_f32_e32 v2, v2, v166
	;; [unrolled: 1-line block ×5, first 2 shown]
	ds_read_b128 v[2:5], v1 offset:672
	v_add_f32_e32 v6, v6, v122
	v_add_f32_e32 v7, v7, v117
	;; [unrolled: 1-line block ×14, first 2 shown]
	s_waitcnt vmcnt(27) lgkmcnt(0)
	v_mul_f32_e32 v8, v2, v119
	v_mul_f32_e32 v112, v3, v119
	v_fmac_f32_e32 v8, v3, v154
	v_add_f32_e32 v3, v7, v124
	v_fma_f32 v124, v2, v154, -v112
	v_add_f32_e32 v8, v131, v8
	v_add_f32_e32 v7, v3, v127
	;; [unrolled: 1-line block ×5, first 2 shown]
	s_waitcnt vmcnt(26)
	v_mul_f32_e32 v125, v4, v130
	v_mul_f32_e32 v113, v5, v130
	v_add_f32_e32 v132, v7, v147
	s_waitcnt vmcnt(25)
	v_mul_f32_e32 v120, v109, v139
	v_mul_f32_e32 v127, v108, v139
	v_fmac_f32_e32 v125, v5, v153
	v_fma_f32 v126, v4, v153, -v113
	ds_read_b128 v[2:5], v1 offset:704
	ds_read_b128 v[112:115], v1 offset:720
	v_add_f32_e32 v124, v132, v124
	v_fma_f32 v130, v108, v152, -v120
	v_fmac_f32_e32 v127, v109, v152
	v_add_f32_e32 v8, v8, v125
	ds_read_b128 v[116:119], v1 offset:736
	ds_read_b128 v[120:123], v1 offset:752
	s_waitcnt vmcnt(24)
	v_mul_f32_e32 v129, v111, v138
	v_add_f32_e32 v124, v124, v126
	v_mul_f32_e32 v128, v110, v138
	v_add_f32_e32 v8, v8, v127
	v_add_f32_e32 v124, v124, v130
	s_waitcnt vmcnt(20)
	v_fma_f32 v129, v110, v145, -v129
	v_fmac_f32_e32 v128, v111, v145
	ds_read_b128 v[108:111], v1 offset:768
	ds_read_b64 v[6:7], v1 offset:784
	s_waitcnt vmcnt(19) lgkmcnt(5)
	v_mul_f32_e32 v132, v3, v134
	v_mul_f32_e32 v133, v2, v134
	v_add_f32_e32 v124, v124, v129
	v_add_f32_e32 v8, v8, v128
	s_waitcnt vmcnt(18) lgkmcnt(4)
	v_mul_f32_e32 v131, v112, v156
	v_fma_f32 v2, v2, v144, -v132
	s_waitcnt vmcnt(17)
	v_mul_f32_e32 v134, v5, v155
	v_mul_f32_e32 v135, v4, v155
	v_fmac_f32_e32 v133, v3, v144
	v_mul_f32_e32 v132, v113, v156
	v_add_f32_e32 v2, v124, v2
	v_fma_f32 v4, v4, v143, -v134
	v_fmac_f32_e32 v135, v5, v143
	v_add_f32_e32 v5, v8, v133
	s_waitcnt vmcnt(16)
	v_mul_f32_e32 v8, v115, v157
	v_fma_f32 v112, v112, v136, -v132
	v_add_f32_e32 v2, v2, v4
	v_mul_f32_e32 v126, v114, v157
	v_fmac_f32_e32 v131, v113, v136
	v_add_f32_e32 v4, v5, v135
	s_waitcnt vmcnt(15) lgkmcnt(3)
	v_mul_f32_e32 v5, v117, v159
	v_add_f32_e32 v2, v2, v112
	v_mul_f32_e32 v137, v116, v159
	s_waitcnt vmcnt(14)
	v_mul_f32_e32 v112, v119, v167
	v_add_f32_e32 v4, v4, v131
	s_waitcnt vmcnt(5)
	v_fma_f32 v8, v114, v169, -v8
	v_fmac_f32_e32 v126, v115, v169
	v_fma_f32 v5, v116, v165, -v5
	v_mul_f32_e32 v125, v118, v167
	v_fmac_f32_e32 v137, v117, v165
	v_add_f32_e32 v2, v2, v8
	v_add_f32_e32 v4, v4, v126
	s_waitcnt lgkmcnt(2)
	v_mul_f32_e32 v8, v121, v168
	v_fma_f32 v112, v118, v164, -v112
	v_mul_f32_e32 v130, v120, v168
	v_add_f32_e32 v2, v2, v5
	v_fmac_f32_e32 v125, v119, v164
	v_add_f32_e32 v4, v4, v137
	v_mul_f32_e32 v5, v123, v160
	v_fma_f32 v8, v120, v148, -v8
	v_add_f32_e32 v2, v2, v112
	v_mul_f32_e32 v3, v122, v160
	v_fmac_f32_e32 v130, v121, v148
	v_add_f32_e32 v4, v4, v125
	s_waitcnt lgkmcnt(1)
	v_mul_f32_e32 v112, v109, v161
	s_waitcnt vmcnt(1)
	v_fma_f32 v5, v122, v170, -v5
	v_add_f32_e32 v2, v2, v8
	v_mul_f32_e32 v127, v108, v161
	v_fmac_f32_e32 v3, v123, v170
	v_add_f32_e32 v4, v4, v130
	v_mul_f32_e32 v8, v111, v162
	v_fma_f32 v108, v108, v151, -v112
	v_add_f32_e32 v2, v2, v5
	v_mul_f32_e32 v129, v110, v162
	v_fmac_f32_e32 v127, v109, v151
	v_add_f32_e32 v3, v4, v3
	s_waitcnt lgkmcnt(0)
	v_mul_f32_e32 v4, v7, v163
	v_fma_f32 v5, v110, v150, -v8
	v_add_f32_e32 v2, v2, v108
	v_mul_f32_e32 v128, v6, v163
	v_fmac_f32_e32 v129, v111, v150
	v_add_f32_e32 v3, v3, v127
	v_fma_f32 v4, v6, v149, -v4
	v_add_f32_e32 v2, v2, v5
	v_fmac_f32_e32 v128, v7, v149
	v_add_f32_e32 v3, v3, v129
	v_add_f32_e32 v2, v2, v4
	;; [unrolled: 1-line block ×3, first 2 shown]
	s_waitcnt vmcnt(0)
	v_sub_f32_e32 v2, v171, v2
	v_sub_f32_e32 v3, v158, v3
	buffer_store_dword v2, off, s[0:3], 0 offset:104
	buffer_store_dword v3, off, s[0:3], 0 offset:108
	v_cmpx_lt_u32_e32 12, v0
	s_cbranch_execz .LBB112_283
; %bb.282:
	s_clause 0x1
	buffer_load_dword v2, off, s[0:3], 0 offset:96
	buffer_load_dword v3, off, s[0:3], 0 offset:100
	buffer_store_dword v1, off, s[0:3], 0 offset:96
	buffer_store_dword v1, off, s[0:3], 0 offset:100
	s_waitcnt vmcnt(0)
	ds_write_b64 v107, v[2:3]
.LBB112_283:
	s_or_b32 exec_lo, exec_lo, s4
	s_waitcnt lgkmcnt(0)
	s_waitcnt_vscnt null, 0x0
	s_barrier
	buffer_gl0_inv
	s_clause 0x2a
	buffer_load_dword v7, off, s[0:3], 0 offset:108
	buffer_load_dword v8, off, s[0:3], 0 offset:116
	;; [unrolled: 1-line block ×43, first 2 shown]
	ds_read2_b64 v[140:143], v1 offset0:63 offset1:64
	ds_read2_b64 v[144:147], v1 offset0:65 offset1:66
	;; [unrolled: 1-line block ×3, first 2 shown]
	buffer_load_dword v158, off, s[0:3], 0 offset:100
	s_mov_b32 s4, exec_lo
	s_waitcnt vmcnt(43) lgkmcnt(2)
	v_mul_f32_e32 v156, v140, v7
	s_waitcnt vmcnt(42)
	v_mul_f32_e32 v157, v142, v8
	v_mul_f32_e32 v7, v141, v7
	;; [unrolled: 1-line block ×3, first 2 shown]
	s_waitcnt vmcnt(39)
	v_fmac_f32_e32 v156, v141, v6
	v_fmac_f32_e32 v157, v143, v5
	v_fma_f32 v159, v140, v6, -v7
	v_fma_f32 v160, v142, v5, -v8
	ds_read2_b64 v[5:8], v1 offset0:69 offset1:70
	ds_read2_b64 v[140:143], v1 offset0:71 offset1:72
	s_waitcnt vmcnt(38) lgkmcnt(3)
	v_mul_f32_e32 v161, v144, v3
	s_waitcnt vmcnt(37)
	v_mul_f32_e32 v162, v146, v4
	v_mul_f32_e32 v3, v145, v3
	;; [unrolled: 1-line block ×3, first 2 shown]
	v_fmac_f32_e32 v161, v145, v2
	s_waitcnt vmcnt(33)
	v_fmac_f32_e32 v162, v147, v115
	v_fma_f32 v144, v144, v2, -v3
	v_fma_f32 v145, v146, v115, -v4
	s_waitcnt vmcnt(32) lgkmcnt(2)
	v_mul_f32_e32 v146, v148, v113
	v_mul_f32_e32 v2, v149, v113
	s_waitcnt vmcnt(31)
	v_mul_f32_e32 v3, v151, v114
	v_mul_f32_e32 v147, v150, v114
	v_fmac_f32_e32 v146, v149, v112
	v_fma_f32 v148, v148, v112, -v2
	v_fma_f32 v149, v150, v109, -v3
	ds_read2_b64 v[112:115], v1 offset0:73 offset1:74
	s_waitcnt vmcnt(30) lgkmcnt(2)
	v_mul_f32_e32 v150, v5, v110
	v_mul_f32_e32 v2, v6, v110
	s_waitcnt vmcnt(29)
	v_mul_f32_e32 v3, v8, v111
	v_fmac_f32_e32 v147, v151, v109
	v_mul_f32_e32 v151, v7, v111
	v_fmac_f32_e32 v150, v6, v108
	v_fma_f32 v6, v5, v108, -v2
	s_waitcnt vmcnt(25)
	v_fma_f32 v7, v7, v123, -v3
	ds_read2_b64 v[2:5], v1 offset0:75 offset1:76
	v_fmac_f32_e32 v151, v8, v123
	s_waitcnt vmcnt(24) lgkmcnt(2)
	v_mul_f32_e32 v8, v140, v121
	s_waitcnt vmcnt(23)
	v_mul_f32_e32 v123, v142, v122
	v_mul_f32_e32 v108, v141, v121
	v_mul_f32_e32 v109, v143, v122
	v_fmac_f32_e32 v8, v141, v120
	v_fmac_f32_e32 v123, v143, v117
	v_fma_f32 v120, v140, v120, -v108
	v_fma_f32 v117, v142, v117, -v109
	ds_read2_b64 v[108:111], v1 offset0:77 offset1:78
	s_waitcnt vmcnt(22) lgkmcnt(2)
	v_mul_f32_e32 v121, v112, v118
	s_waitcnt vmcnt(21)
	v_mul_f32_e32 v122, v114, v119
	v_mul_f32_e32 v118, v113, v118
	;; [unrolled: 1-line block ×3, first 2 shown]
	v_fmac_f32_e32 v121, v113, v116
	s_waitcnt vmcnt(17)
	v_fmac_f32_e32 v122, v115, v131
	v_fma_f32 v116, v112, v116, -v118
	v_fma_f32 v118, v114, v131, -v119
	s_waitcnt vmcnt(16) lgkmcnt(1)
	v_mul_f32_e32 v119, v2, v129
	s_waitcnt vmcnt(15)
	v_mul_f32_e32 v131, v4, v130
	v_mul_f32_e32 v129, v3, v129
	;; [unrolled: 1-line block ×3, first 2 shown]
	ds_read2_b64 v[112:115], v1 offset0:79 offset1:80
	v_fmac_f32_e32 v119, v3, v128
	v_fmac_f32_e32 v131, v5, v125
	v_fma_f32 v128, v2, v128, -v129
	v_fma_f32 v125, v4, v125, -v130
	s_clause 0x1
	buffer_load_dword v129, off, s[0:3], 0 offset:268
	buffer_load_dword v130, off, s[0:3], 0 offset:276
	s_waitcnt vmcnt(16) lgkmcnt(1)
	v_mul_f32_e32 v140, v108, v126
	v_mul_f32_e32 v2, v109, v126
	s_waitcnt vmcnt(15)
	v_mul_f32_e32 v3, v111, v127
	v_mul_f32_e32 v141, v110, v127
	buffer_load_dword v127, off, s[0:3], 0 offset:284
	v_fmac_f32_e32 v140, v109, v124
	v_fma_f32 v124, v108, v124, -v2
	s_waitcnt vmcnt(12)
	v_fma_f32 v126, v110, v139, -v3
	ds_read2_b64 v[2:5], v1 offset0:81 offset1:82
	v_fmac_f32_e32 v141, v111, v139
	s_waitcnt vmcnt(11) lgkmcnt(1)
	v_mul_f32_e32 v139, v112, v137
	s_waitcnt vmcnt(10)
	v_mul_f32_e32 v142, v114, v138
	v_mul_f32_e32 v108, v113, v137
	;; [unrolled: 1-line block ×3, first 2 shown]
	s_clause 0x5
	buffer_load_dword v137, off, s[0:3], 0 offset:292
	buffer_load_dword v138, off, s[0:3], 0 offset:312
	;; [unrolled: 1-line block ×6, first 2 shown]
	v_fmac_f32_e32 v139, v113, v136
	v_fma_f32 v136, v112, v136, -v108
	v_fmac_f32_e32 v142, v115, v135
	v_fma_f32 v135, v114, v135, -v109
	s_waitcnt vmcnt(15) lgkmcnt(0)
	v_mul_f32_e32 v165, v2, v134
	v_mul_f32_e32 v108, v3, v134
	s_waitcnt vmcnt(14)
	v_mul_f32_e32 v134, v4, v133
	v_fmac_f32_e32 v165, v3, v132
	v_add_f32_e32 v3, 0, v156
	v_fma_f32 v132, v2, v132, -v108
	v_add_f32_e32 v2, 0, v159
	v_mul_f32_e32 v108, v5, v133
	s_clause 0x1
	buffer_load_dword v133, off, s[0:3], 0 offset:308
	buffer_load_dword v156, off, s[0:3], 0 offset:316
	v_add_f32_e32 v3, v3, v157
	v_add_f32_e32 v2, v2, v160
	buffer_load_dword v157, off, s[0:3], 0 offset:324
	s_waitcnt vmcnt(13)
	v_fmac_f32_e32 v134, v5, v155
	v_fma_f32 v155, v4, v155, -v108
	v_add_f32_e32 v3, v3, v161
	v_add_f32_e32 v2, v2, v144
	s_clause 0x2
	buffer_load_dword v144, off, s[0:3], 0 offset:332
	buffer_load_dword v159, off, s[0:3], 0 offset:340
	;; [unrolled: 1-line block ×3, first 2 shown]
	v_add_f32_e32 v3, v3, v162
	v_add_f32_e32 v2, v2, v145
	s_clause 0x3
	buffer_load_dword v145, off, s[0:3], 0 offset:356
	buffer_load_dword v161, off, s[0:3], 0 offset:364
	;; [unrolled: 1-line block ×4, first 2 shown]
	v_add_f32_e32 v3, v3, v146
	v_add_f32_e32 v2, v2, v148
	buffer_load_dword v146, off, s[0:3], 0 offset:388
	v_add_f32_e32 v3, v3, v147
	v_add_f32_e32 v2, v2, v149
	s_clause 0x3
	buffer_load_dword v147, off, s[0:3], 0 offset:344
	buffer_load_dword v148, off, s[0:3], 0 offset:336
	;; [unrolled: 1-line block ×4, first 2 shown]
	v_add_f32_e32 v3, v3, v150
	v_add_f32_e32 v2, v2, v6
	;; [unrolled: 1-line block ×4, first 2 shown]
	s_clause 0x4
	buffer_load_dword v6, off, s[0:3], 0 offset:376
	buffer_load_dword v7, off, s[0:3], 0 offset:368
	;; [unrolled: 1-line block ×5, first 2 shown]
	v_add_f32_e32 v3, v3, v8
	buffer_load_dword v8, off, s[0:3], 0 offset:384
	v_add_f32_e32 v2, v2, v120
	v_add_f32_e32 v3, v3, v123
	;; [unrolled: 1-line block ×5, first 2 shown]
	ds_read2_b64 v[2:5], v1 offset0:83 offset1:84
	v_add_f32_e32 v108, v108, v122
	v_add_f32_e32 v109, v109, v118
	;; [unrolled: 1-line block ×4, first 2 shown]
	ds_read2_b64 v[108:111], v1 offset0:85 offset1:86
	v_add_f32_e32 v112, v112, v131
	v_add_f32_e32 v113, v113, v125
	;; [unrolled: 1-line block ×10, first 2 shown]
	s_waitcnt vmcnt(29) lgkmcnt(1)
	v_mul_f32_e32 v128, v2, v129
	v_mul_f32_e32 v114, v3, v129
	s_waitcnt vmcnt(28)
	v_mul_f32_e32 v129, v4, v130
	v_mul_f32_e32 v115, v5, v130
	v_fmac_f32_e32 v128, v3, v154
	v_fma_f32 v130, v2, v154, -v114
	v_fmac_f32_e32 v129, v5, v153
	v_fma_f32 v131, v4, v153, -v115
	ds_read2_b64 v[2:5], v1 offset0:87 offset1:88
	ds_read2_b64 v[112:115], v1 offset0:89 offset1:90
	s_waitcnt vmcnt(27) lgkmcnt(2)
	v_mul_f32_e32 v140, v108, v127
	v_mul_f32_e32 v118, v109, v127
	v_fmac_f32_e32 v140, v109, v152
	v_add_f32_e32 v109, v117, v142
	v_fma_f32 v136, v108, v152, -v118
	s_waitcnt vmcnt(26)
	v_mul_f32_e32 v141, v110, v137
	v_mul_f32_e32 v119, v111, v137
	v_add_f32_e32 v121, v109, v165
	s_waitcnt vmcnt(22)
	v_fmac_f32_e32 v141, v111, v164
	v_fma_f32 v135, v110, v164, -v119
	v_add_f32_e32 v126, v121, v134
	v_add_f32_e32 v134, v124, v155
	s_waitcnt vmcnt(21) lgkmcnt(1)
	v_mul_f32_e32 v132, v2, v166
	v_mul_f32_e32 v125, v3, v166
	ds_read2_b64 v[108:111], v1 offset0:91 offset1:92
	ds_read2_b64 v[116:119], v1 offset0:93 offset1:94
	;; [unrolled: 1-line block ×3, first 2 shown]
	v_fmac_f32_e32 v132, v3, v163
	v_fma_f32 v2, v2, v163, -v125
	v_add_f32_e32 v3, v126, v128
	ds_read2_b64 v[124:127], v1 offset0:97 offset1:98
	v_add_f32_e32 v1, v134, v130
	s_waitcnt vmcnt(20)
	v_mul_f32_e32 v130, v5, v133
	v_add_f32_e32 v3, v3, v129
	v_mul_f32_e32 v128, v4, v133
	v_add_f32_e32 v1, v1, v131
	s_waitcnt vmcnt(19) lgkmcnt(4)
	v_mul_f32_e32 v133, v113, v156
	v_fma_f32 v4, v4, v143, -v130
	v_add_f32_e32 v3, v3, v140
	v_mul_f32_e32 v129, v112, v156
	v_add_f32_e32 v1, v1, v136
	v_fmac_f32_e32 v128, v5, v143
	v_fma_f32 v112, v112, v138, -v133
	v_add_f32_e32 v3, v3, v141
	s_waitcnt vmcnt(18)
	v_mul_f32_e32 v131, v114, v157
	v_add_f32_e32 v1, v1, v135
	v_mul_f32_e32 v135, v115, v157
	v_fmac_f32_e32 v129, v113, v138
	s_waitcnt vmcnt(17) lgkmcnt(3)
	v_mul_f32_e32 v5, v108, v144
	s_waitcnt vmcnt(16)
	v_mul_f32_e32 v130, v110, v159
	v_add_f32_e32 v1, v1, v2
	v_add_f32_e32 v2, v3, v132
	s_waitcnt vmcnt(15) lgkmcnt(2)
	v_mul_f32_e32 v134, v116, v160
	s_waitcnt vmcnt(14)
	v_mul_f32_e32 v136, v118, v145
	s_waitcnt vmcnt(8)
	v_fmac_f32_e32 v130, v111, v148
	v_add_f32_e32 v1, v1, v4
	v_add_f32_e32 v2, v2, v128
	v_mul_f32_e32 v4, v109, v144
	s_waitcnt vmcnt(6)
	v_fma_f32 v113, v114, v168, -v135
	v_fmac_f32_e32 v131, v115, v168
	v_add_f32_e32 v1, v1, v112
	v_add_f32_e32 v2, v2, v129
	v_mul_f32_e32 v112, v111, v159
	v_fma_f32 v4, v108, v149, -v4
	v_fmac_f32_e32 v5, v109, v149
	v_add_f32_e32 v1, v1, v113
	v_add_f32_e32 v2, v2, v131
	v_mul_f32_e32 v108, v117, v160
	;; [unrolled: 5-line block ×3, first 2 shown]
	v_fma_f32 v5, v116, v147, -v108
	s_waitcnt lgkmcnt(1)
	v_mul_f32_e32 v108, v121, v161
	v_add_f32_e32 v1, v1, v109
	v_add_f32_e32 v2, v2, v130
	s_waitcnt vmcnt(2)
	v_fma_f32 v4, v118, v151, -v4
	v_mul_f32_e32 v137, v120, v161
	v_fmac_f32_e32 v136, v119, v151
	v_add_f32_e32 v1, v1, v5
	v_add_f32_e32 v2, v2, v134
	v_mul_f32_e32 v5, v123, v162
	v_fma_f32 v108, v120, v150, -v108
	v_mul_f32_e32 v139, v122, v162
	v_add_f32_e32 v1, v1, v4
	v_fmac_f32_e32 v137, v121, v150
	v_add_f32_e32 v2, v2, v136
	s_waitcnt lgkmcnt(0)
	v_mul_f32_e32 v4, v125, v167
	v_fma_f32 v5, v122, v7, -v5
	v_add_f32_e32 v1, v1, v108
	v_mul_f32_e32 v140, v124, v167
	v_fmac_f32_e32 v139, v123, v7
	v_add_f32_e32 v2, v2, v137
	v_mul_f32_e32 v7, v127, v146
	v_fma_f32 v4, v124, v6, -v4
	v_add_f32_e32 v1, v1, v5
	v_mul_f32_e32 v3, v126, v146
	v_fmac_f32_e32 v140, v125, v6
	v_add_f32_e32 v2, v2, v139
	s_waitcnt vmcnt(0)
	v_fma_f32 v5, v126, v8, -v7
	v_add_f32_e32 v1, v1, v4
	v_fmac_f32_e32 v3, v127, v8
	v_add_f32_e32 v2, v2, v140
	v_add_f32_e32 v1, v1, v5
	;; [unrolled: 1-line block ×3, first 2 shown]
	v_sub_f32_e32 v1, v169, v1
	v_sub_f32_e32 v2, v158, v2
	buffer_store_dword v1, off, s[0:3], 0 offset:96
	buffer_store_dword v2, off, s[0:3], 0 offset:100
	v_cmpx_lt_u32_e32 11, v0
	s_cbranch_execz .LBB112_285
; %bb.284:
	s_clause 0x1
	buffer_load_dword v1, off, s[0:3], 0 offset:88
	buffer_load_dword v2, off, s[0:3], 0 offset:92
	v_mov_b32_e32 v3, 0
	buffer_store_dword v3, off, s[0:3], 0 offset:88
	buffer_store_dword v3, off, s[0:3], 0 offset:92
	s_waitcnt vmcnt(0)
	ds_write_b64 v107, v[1:2]
.LBB112_285:
	s_or_b32 exec_lo, exec_lo, s4
	s_waitcnt lgkmcnt(0)
	s_waitcnt_vscnt null, 0x0
	s_barrier
	buffer_gl0_inv
	s_clause 0x2b
	buffer_load_dword v139, off, s[0:3], 0 offset:100
	buffer_load_dword v2, off, s[0:3], 0 offset:112
	;; [unrolled: 1-line block ×44, first 2 shown]
	v_mov_b32_e32 v1, 0
	ds_read_b128 v[140:143], v1 offset:496
	ds_read_b128 v[144:147], v1 offset:512
	;; [unrolled: 1-line block ×3, first 2 shown]
	buffer_load_dword v158, off, s[0:3], 0 offset:92
	s_mov_b32 s4, exec_lo
	s_waitcnt vmcnt(44) lgkmcnt(2)
	v_mul_f32_e32 v157, v140, v139
	v_mul_f32_e32 v139, v141, v139
	s_waitcnt vmcnt(40)
	v_mul_f32_e32 v160, v142, v108
	v_mul_f32_e32 v108, v143, v108
	v_fmac_f32_e32 v157, v141, v109
	v_fma_f32 v159, v140, v109, -v139
	s_waitcnt vmcnt(39) lgkmcnt(1)
	v_mul_f32_e32 v162, v144, v7
	v_fmac_f32_e32 v160, v143, v5
	v_fma_f32 v161, v142, v5, -v108
	v_mul_f32_e32 v5, v145, v7
	ds_read_b128 v[139:142], v1 offset:544
	v_fmac_f32_e32 v162, v145, v2
	s_waitcnt vmcnt(38)
	v_mul_f32_e32 v164, v146, v4
	v_fma_f32 v163, v144, v2, -v5
	v_mul_f32_e32 v2, v147, v4
	s_waitcnt vmcnt(34)
	v_fmac_f32_e32 v164, v147, v113
	s_waitcnt vmcnt(33) lgkmcnt(1)
	v_mul_f32_e32 v147, v148, v112
	v_fma_f32 v113, v146, v113, -v2
	v_mul_f32_e32 v2, v149, v112
	ds_read_b128 v[143:146], v1 offset:560
	v_fmac_f32_e32 v147, v149, v110
	v_fma_f32 v112, v148, v110, -v2
	s_waitcnt vmcnt(32)
	v_mul_f32_e32 v148, v150, v111
	v_mul_f32_e32 v2, v151, v111
	ds_read_b128 v[108:111], v1 offset:592
	v_fmac_f32_e32 v148, v151, v6
	v_fma_f32 v149, v150, v6, -v2
	s_waitcnt vmcnt(31) lgkmcnt(2)
	v_mul_f32_e32 v2, v140, v8
	ds_read_b128 v[4:7], v1 offset:576
	v_mul_f32_e32 v150, v139, v8
	v_fma_f32 v8, v139, v3, -v2
	s_waitcnt vmcnt(30)
	v_mul_f32_e32 v2, v142, v114
	v_mul_f32_e32 v139, v141, v114
	v_fmac_f32_e32 v150, v140, v3
	s_waitcnt vmcnt(24) lgkmcnt(2)
	v_mul_f32_e32 v140, v145, v119
	v_fma_f32 v114, v141, v122, -v2
	v_mul_f32_e32 v2, v144, v121
	v_fmac_f32_e32 v139, v142, v122
	v_mul_f32_e32 v122, v143, v121
	v_fmac_f32_e32 v140, v146, v116
	v_fma_f32 v121, v143, v118, -v2
	v_mul_f32_e32 v2, v146, v119
	v_fmac_f32_e32 v122, v144, v118
	s_waitcnt vmcnt(23) lgkmcnt(0)
	v_mul_f32_e32 v142, v4, v117
	s_waitcnt vmcnt(22)
	v_mul_f32_e32 v143, v6, v120
	v_fma_f32 v141, v145, v116, -v2
	v_mul_f32_e32 v2, v5, v117
	ds_read_b128 v[116:119], v1 offset:608
	v_fmac_f32_e32 v142, v5, v115
	s_waitcnt vmcnt(18)
	v_fmac_f32_e32 v143, v7, v131
	v_fma_f32 v115, v4, v115, -v2
	v_mul_f32_e32 v2, v7, v120
	s_waitcnt vmcnt(17)
	v_mul_f32_e32 v7, v108, v130
	s_waitcnt vmcnt(16)
	v_mul_f32_e32 v120, v110, v129
	v_mul_f32_e32 v129, v111, v129
	v_fma_f32 v6, v6, v131, -v2
	v_mul_f32_e32 v2, v109, v130
	v_fmac_f32_e32 v7, v109, v127
	v_fmac_f32_e32 v120, v111, v124
	v_fma_f32 v124, v110, v124, -v129
	v_add_f32_e32 v110, 0, v157
	v_fma_f32 v127, v108, v127, -v2
	ds_read_b128 v[2:5], v1 offset:624
	s_clause 0x2
	buffer_load_dword v129, off, s[0:3], 0 offset:268
	buffer_load_dword v130, off, s[0:3], 0 offset:276
	;; [unrolled: 1-line block ×3, first 2 shown]
	s_waitcnt vmcnt(18) lgkmcnt(1)
	v_mul_f32_e32 v131, v116, v125
	v_mul_f32_e32 v108, v117, v125
	s_waitcnt vmcnt(17)
	v_mul_f32_e32 v125, v118, v128
	v_mul_f32_e32 v109, v119, v128
	v_fmac_f32_e32 v131, v117, v123
	v_fma_f32 v116, v116, v123, -v108
	s_waitcnt vmcnt(13)
	v_fmac_f32_e32 v125, v119, v138
	v_fma_f32 v117, v118, v138, -v109
	v_add_f32_e32 v119, v110, v160
	ds_read_b128 v[108:111], v1 offset:640
	v_add_f32_e32 v118, 0, v159
	v_add_f32_e32 v119, v119, v162
	;; [unrolled: 1-line block ×3, first 2 shown]
	s_waitcnt vmcnt(12) lgkmcnt(1)
	v_mul_f32_e32 v123, v2, v137
	v_mul_f32_e32 v128, v3, v137
	s_clause 0x3
	buffer_load_dword v137, off, s[0:3], 0 offset:304
	buffer_load_dword v138, off, s[0:3], 0 offset:296
	;; [unrolled: 1-line block ×4, first 2 shown]
	v_fmac_f32_e32 v123, v3, v136
	v_fma_f32 v128, v2, v136, -v128
	s_clause 0x1
	buffer_load_dword v136, off, s[0:3], 0 offset:292
	buffer_load_dword v151, off, s[0:3], 0 offset:300
	v_add_f32_e32 v2, v118, v163
	v_add_f32_e32 v3, v119, v164
	s_waitcnt vmcnt(17)
	v_mul_f32_e32 v118, v4, v135
	v_mul_f32_e32 v119, v5, v135
	buffer_load_dword v135, off, s[0:3], 0 offset:308
	v_add_f32_e32 v2, v2, v113
	v_add_f32_e32 v3, v3, v147
	v_fmac_f32_e32 v118, v5, v133
	v_fma_f32 v119, v4, v133, -v119
	s_clause 0x3
	buffer_load_dword v133, off, s[0:3], 0 offset:316
	buffer_load_dword v147, off, s[0:3], 0 offset:324
	;; [unrolled: 1-line block ×4, first 2 shown]
	v_add_f32_e32 v112, v2, v112
	v_add_f32_e32 v113, v3, v148
	ds_read_b128 v[2:5], v1 offset:656
	s_waitcnt vmcnt(21) lgkmcnt(1)
	v_mul_f32_e32 v148, v108, v132
	v_mul_f32_e32 v132, v109, v132
	v_add_f32_e32 v112, v112, v149
	v_add_f32_e32 v113, v113, v150
	s_waitcnt vmcnt(20)
	v_mul_f32_e32 v149, v110, v134
	v_fmac_f32_e32 v148, v109, v126
	v_fma_f32 v126, v108, v126, -v132
	v_add_f32_e32 v8, v112, v8
	v_add_f32_e32 v108, v113, v139
	v_mul_f32_e32 v112, v111, v134
	s_clause 0x4
	buffer_load_dword v132, off, s[0:3], 0 offset:348
	buffer_load_dword v134, off, s[0:3], 0 offset:356
	;; [unrolled: 1-line block ×5, first 2 shown]
	v_add_f32_e32 v8, v8, v114
	s_clause 0x4
	buffer_load_dword v161, off, s[0:3], 0 offset:336
	buffer_load_dword v162, off, s[0:3], 0 offset:328
	;; [unrolled: 1-line block ×5, first 2 shown]
	v_add_f32_e32 v108, v108, v122
	s_waitcnt vmcnt(26)
	v_fmac_f32_e32 v149, v111, v155
	v_fma_f32 v155, v110, v155, -v112
	v_add_f32_e32 v8, v8, v121
	v_add_f32_e32 v108, v108, v140
	s_waitcnt vmcnt(25) lgkmcnt(0)
	v_mul_f32_e32 v113, v3, v156
	v_mul_f32_e32 v140, v2, v156
	v_add_f32_e32 v8, v8, v141
	v_add_f32_e32 v112, v108, v142
	ds_read_b128 v[108:111], v1 offset:672
	v_fma_f32 v121, v2, v154, -v113
	v_add_f32_e32 v8, v8, v115
	v_fmac_f32_e32 v140, v3, v154
	v_add_f32_e32 v112, v112, v143
	v_add_f32_e32 v2, v8, v6
	s_clause 0x3
	buffer_load_dword v8, off, s[0:3], 0 offset:368
	buffer_load_dword v141, off, s[0:3], 0 offset:360
	;; [unrolled: 1-line block ×4, first 2 shown]
	v_add_f32_e32 v3, v112, v7
	v_add_f32_e32 v2, v2, v127
	s_clause 0x1
	buffer_load_dword v127, off, s[0:3], 0 offset:384
	buffer_load_dword v154, off, s[0:3], 0 offset:376
	v_add_f32_e32 v3, v3, v120
	ds_read_b128 v[112:115], v1 offset:704
	v_add_f32_e32 v2, v2, v124
	buffer_load_dword v124, off, s[0:3], 0 offset:88
	v_add_f32_e32 v6, v3, v131
	v_add_f32_e32 v7, v2, v116
	;; [unrolled: 1-line block ×11, first 2 shown]
	s_waitcnt vmcnt(30)
	v_mul_f32_e32 v131, v4, v129
	v_mul_f32_e32 v3, v5, v129
	s_waitcnt vmcnt(29) lgkmcnt(1)
	v_mul_f32_e32 v116, v109, v130
	v_mul_f32_e32 v125, v108, v130
	s_waitcnt vmcnt(28)
	v_mul_f32_e32 v117, v111, v144
	v_fmac_f32_e32 v131, v5, v153
	v_fma_f32 v129, v4, v153, -v3
	ds_read_b128 v[2:5], v1 offset:688
	v_fma_f32 v128, v108, v152, -v116
	v_mul_f32_e32 v130, v110, v144
	v_fmac_f32_e32 v125, v109, v152
	s_waitcnt vmcnt(24)
	v_fma_f32 v144, v110, v146, -v117
	v_fmac_f32_e32 v130, v111, v146
	ds_read_b128 v[108:111], v1 offset:720
	ds_read_b128 v[116:119], v1 offset:736
	s_waitcnt vmcnt(23) lgkmcnt(2)
	v_mul_f32_e32 v126, v2, v136
	v_mul_f32_e32 v120, v3, v136
	s_waitcnt vmcnt(22)
	v_mul_f32_e32 v136, v4, v151
	v_mul_f32_e32 v146, v5, v151
	v_fmac_f32_e32 v126, v3, v145
	v_fma_f32 v145, v2, v145, -v120
	v_add_f32_e32 v2, v6, v149
	v_add_f32_e32 v6, v7, v121
	v_fmac_f32_e32 v136, v5, v138
	v_fma_f32 v138, v4, v138, -v146
	s_waitcnt vmcnt(21)
	v_mul_f32_e32 v146, v112, v135
	v_add_f32_e32 v140, v2, v140
	v_add_f32_e32 v129, v6, v129
	ds_read_b128 v[120:123], v1 offset:752
	ds_read_b128 v[2:5], v1 offset:768
	v_fmac_f32_e32 v146, v113, v137
	v_add_f32_e32 v131, v140, v131
	v_add_f32_e32 v128, v129, v128
	v_mul_f32_e32 v129, v113, v135
	s_waitcnt vmcnt(20)
	v_mul_f32_e32 v140, v114, v133
	v_mul_f32_e32 v133, v115, v133
	v_add_f32_e32 v125, v131, v125
	v_add_f32_e32 v128, v128, v144
	v_fma_f32 v112, v112, v137, -v129
	s_waitcnt vmcnt(19) lgkmcnt(3)
	v_mul_f32_e32 v131, v108, v147
	v_mul_f32_e32 v137, v109, v147
	v_add_f32_e32 v125, v125, v130
	v_add_f32_e32 v128, v128, v145
	s_waitcnt vmcnt(8)
	v_fma_f32 v114, v114, v164, -v133
	v_fmac_f32_e32 v140, v115, v164
	v_fmac_f32_e32 v131, v109, v163
	v_add_f32_e32 v125, v125, v126
	v_add_f32_e32 v128, v128, v138
	v_fma_f32 v108, v108, v163, -v137
	v_mul_f32_e32 v135, v110, v157
	s_waitcnt lgkmcnt(2)
	v_mul_f32_e32 v144, v116, v159
	v_add_f32_e32 v125, v125, v136
	v_add_f32_e32 v112, v128, v112
	v_mul_f32_e32 v130, v118, v132
	v_fmac_f32_e32 v135, v111, v162
	v_fmac_f32_e32 v144, v117, v161
	v_add_f32_e32 v115, v125, v146
	v_mul_f32_e32 v125, v111, v157
	v_add_f32_e32 v109, v112, v114
	v_mul_f32_e32 v114, v117, v159
	v_mul_f32_e32 v111, v119, v132
	v_add_f32_e32 v112, v115, v140
	v_fma_f32 v110, v110, v162, -v125
	v_add_f32_e32 v108, v109, v108
	ds_read_b64 v[6:7], v1 offset:784
	s_waitcnt vmcnt(3)
	v_fma_f32 v111, v118, v143, -v111
	v_add_f32_e32 v109, v112, v131
	v_fma_f32 v112, v116, v161, -v114
	v_add_f32_e32 v108, v108, v110
	s_waitcnt lgkmcnt(2)
	v_mul_f32_e32 v110, v121, v134
	v_mul_f32_e32 v145, v120, v134
	v_add_f32_e32 v109, v109, v135
	v_fmac_f32_e32 v130, v119, v143
	v_add_f32_e32 v108, v108, v112
	v_mul_f32_e32 v112, v123, v139
	v_fma_f32 v110, v120, v142, -v110
	v_add_f32_e32 v109, v109, v144
	v_mul_f32_e32 v113, v122, v139
	v_add_f32_e32 v108, v108, v111
	v_fmac_f32_e32 v145, v121, v142
	s_waitcnt lgkmcnt(1)
	v_mul_f32_e32 v126, v2, v150
	v_add_f32_e32 v109, v109, v130
	v_mul_f32_e32 v111, v3, v150
	v_fma_f32 v112, v122, v141, -v112
	v_add_f32_e32 v108, v108, v110
	v_fmac_f32_e32 v113, v123, v141
	v_add_f32_e32 v109, v109, v145
	v_mul_f32_e32 v110, v5, v160
	v_fmac_f32_e32 v126, v3, v8
	v_fma_f32 v2, v2, v8, -v111
	v_add_f32_e32 v3, v108, v112
	v_mul_f32_e32 v129, v4, v160
	v_add_f32_e32 v8, v109, v113
	s_waitcnt lgkmcnt(0)
	v_mul_f32_e32 v108, v7, v165
	s_waitcnt vmcnt(1)
	v_fma_f32 v4, v4, v154, -v110
	v_add_f32_e32 v2, v3, v2
	v_mul_f32_e32 v136, v6, v165
	v_fmac_f32_e32 v129, v5, v154
	v_add_f32_e32 v3, v8, v126
	v_fma_f32 v5, v6, v127, -v108
	v_add_f32_e32 v2, v2, v4
	v_fmac_f32_e32 v136, v7, v127
	v_add_f32_e32 v3, v3, v129
	v_add_f32_e32 v2, v2, v5
	;; [unrolled: 1-line block ×3, first 2 shown]
	s_waitcnt vmcnt(0)
	v_sub_f32_e32 v2, v124, v2
	v_sub_f32_e32 v3, v158, v3
	buffer_store_dword v2, off, s[0:3], 0 offset:88
	buffer_store_dword v3, off, s[0:3], 0 offset:92
	v_cmpx_lt_u32_e32 10, v0
	s_cbranch_execz .LBB112_287
; %bb.286:
	s_clause 0x1
	buffer_load_dword v2, off, s[0:3], 0 offset:80
	buffer_load_dword v3, off, s[0:3], 0 offset:84
	buffer_store_dword v1, off, s[0:3], 0 offset:80
	buffer_store_dword v1, off, s[0:3], 0 offset:84
	s_waitcnt vmcnt(0)
	ds_write_b64 v107, v[2:3]
.LBB112_287:
	s_or_b32 exec_lo, exec_lo, s4
	s_waitcnt lgkmcnt(0)
	s_waitcnt_vscnt null, 0x0
	s_barrier
	buffer_gl0_inv
	s_clause 0x2b
	buffer_load_dword v6, off, s[0:3], 0 offset:92
	buffer_load_dword v7, off, s[0:3], 0 offset:104
	;; [unrolled: 1-line block ×44, first 2 shown]
	ds_read2_b64 v[2:5], v1 offset0:61 offset1:62
	ds_read2_b64 v[108:111], v1 offset0:63 offset1:64
	;; [unrolled: 1-line block ×3, first 2 shown]
	buffer_load_dword v158, off, s[0:3], 0 offset:84
	s_mov_b32 s4, exec_lo
	s_waitcnt vmcnt(44) lgkmcnt(2)
	v_mul_f32_e32 v157, v3, v6
	v_mul_f32_e32 v6, v2, v6
	s_waitcnt vmcnt(41)
	v_fma_f32 v157, v2, v116, -v157
	v_fmac_f32_e32 v6, v3, v116
	s_waitcnt vmcnt(40)
	v_mul_f32_e32 v116, v4, v117
	v_mul_f32_e32 v2, v5, v117
	s_waitcnt vmcnt(39) lgkmcnt(1)
	v_mul_f32_e32 v117, v108, v118
	v_mul_f32_e32 v118, v109, v118
	v_add_f32_e32 v6, 0, v6
	v_fmac_f32_e32 v116, v5, v8
	v_fma_f32 v8, v4, v8, -v2
	ds_read2_b64 v[2:5], v1 offset0:67 offset1:68
	v_fmac_f32_e32 v117, v109, v7
	v_fma_f32 v7, v108, v7, -v118
	s_waitcnt vmcnt(38)
	v_mul_f32_e32 v118, v110, v119
	v_mul_f32_e32 v108, v111, v119
	v_add_f32_e32 v6, v6, v116
	s_waitcnt vmcnt(34)
	v_fmac_f32_e32 v118, v111, v123
	v_fma_f32 v119, v110, v123, -v108
	s_waitcnt vmcnt(33) lgkmcnt(1)
	v_mul_f32_e32 v123, v112, v124
	v_mul_f32_e32 v124, v113, v124
	ds_read2_b64 v[108:111], v1 offset0:69 offset1:70
	v_add_f32_e32 v6, v6, v117
	v_fmac_f32_e32 v123, v113, v122
	v_fma_f32 v122, v112, v122, -v124
	s_waitcnt vmcnt(32)
	v_mul_f32_e32 v124, v114, v125
	v_mul_f32_e32 v112, v115, v125
	v_add_f32_e32 v6, v6, v118
	s_waitcnt vmcnt(31) lgkmcnt(1)
	v_mul_f32_e32 v125, v2, v126
	v_mul_f32_e32 v126, v3, v126
	v_fmac_f32_e32 v124, v115, v121
	v_fma_f32 v121, v114, v121, -v112
	ds_read2_b64 v[112:115], v1 offset0:71 offset1:72
	v_fmac_f32_e32 v125, v3, v120
	v_fma_f32 v120, v2, v120, -v126
	s_waitcnt vmcnt(30)
	v_mul_f32_e32 v126, v4, v127
	v_mul_f32_e32 v2, v5, v127
	v_add_f32_e32 v6, v6, v123
	s_waitcnt vmcnt(26)
	v_fmac_f32_e32 v126, v5, v131
	v_fma_f32 v127, v4, v131, -v2
	s_waitcnt vmcnt(25) lgkmcnt(1)
	v_mul_f32_e32 v131, v108, v132
	v_mul_f32_e32 v2, v109, v132
	s_waitcnt vmcnt(24)
	v_mul_f32_e32 v132, v110, v133
	v_mul_f32_e32 v133, v111, v133
	v_add_f32_e32 v6, v6, v124
	v_fmac_f32_e32 v131, v109, v130
	v_fma_f32 v130, v108, v130, -v2
	ds_read2_b64 v[2:5], v1 offset0:73 offset1:74
	v_fmac_f32_e32 v132, v111, v129
	v_fma_f32 v129, v110, v129, -v133
	ds_read2_b64 v[108:111], v1 offset0:75 offset1:76
	s_waitcnt vmcnt(23) lgkmcnt(2)
	v_mul_f32_e32 v133, v112, v134
	v_mul_f32_e32 v134, v113, v134
	v_fmac_f32_e32 v133, v113, v128
	v_fma_f32 v112, v112, v128, -v134
	s_waitcnt vmcnt(22)
	v_mul_f32_e32 v113, v114, v135
	v_mul_f32_e32 v128, v115, v135
	s_waitcnt vmcnt(18)
	v_fmac_f32_e32 v113, v115, v139
	v_fma_f32 v114, v114, v139, -v128
	s_clause 0x1
	buffer_load_dword v115, off, s[0:3], 0 offset:260
	buffer_load_dword v128, off, s[0:3], 0 offset:268
	s_waitcnt vmcnt(19) lgkmcnt(1)
	v_mul_f32_e32 v134, v2, v140
	v_mul_f32_e32 v135, v3, v140
	s_waitcnt vmcnt(18)
	v_mul_f32_e32 v139, v4, v141
	v_mul_f32_e32 v140, v5, v141
	s_waitcnt vmcnt(17) lgkmcnt(0)
	v_mul_f32_e32 v141, v108, v142
	v_mul_f32_e32 v142, v109, v142
	v_fmac_f32_e32 v134, v3, v138
	v_fma_f32 v135, v2, v138, -v135
	v_fmac_f32_e32 v139, v5, v137
	v_fmac_f32_e32 v141, v109, v136
	v_fma_f32 v136, v108, v136, -v142
	v_add_f32_e32 v108, 0, v157
	v_fma_f32 v137, v4, v137, -v140
	ds_read2_b64 v[2:5], v1 offset0:77 offset1:78
	s_waitcnt vmcnt(16)
	v_mul_f32_e32 v138, v110, v143
	v_mul_f32_e32 v143, v111, v143
	v_add_f32_e32 v8, v108, v8
	s_waitcnt vmcnt(12)
	v_fmac_f32_e32 v138, v111, v147
	v_fma_f32 v140, v110, v147, -v143
	s_clause 0x4
	buffer_load_dword v142, off, s[0:3], 0 offset:276
	buffer_load_dword v143, off, s[0:3], 0 offset:296
	;; [unrolled: 1-line block ×5, first 2 shown]
	v_add_f32_e32 v7, v8, v7
	s_clause 0x2
	buffer_load_dword v8, off, s[0:3], 0 offset:284
	buffer_load_dword v160, off, s[0:3], 0 offset:292
	buffer_load_dword v161, off, s[0:3], 0 offset:300
	ds_read2_b64 v[108:111], v1 offset0:79 offset1:80
	v_add_f32_e32 v7, v7, v119
	v_add_f32_e32 v7, v7, v122
	s_waitcnt vmcnt(19) lgkmcnt(1)
	v_mul_f32_e32 v116, v2, v148
	v_mul_f32_e32 v117, v3, v148
	s_waitcnt vmcnt(18)
	v_mul_f32_e32 v118, v4, v149
	v_mul_f32_e32 v119, v5, v149
	v_fmac_f32_e32 v116, v3, v146
	v_add_f32_e32 v3, v7, v121
	v_fma_f32 v7, v2, v146, -v117
	v_fmac_f32_e32 v118, v5, v145
	v_fma_f32 v117, v4, v145, -v119
	v_add_f32_e32 v2, v3, v120
	v_add_f32_e32 v3, v6, v125
	s_clause 0x7
	buffer_load_dword v6, off, s[0:3], 0 offset:308
	buffer_load_dword v145, off, s[0:3], 0 offset:316
	buffer_load_dword v146, off, s[0:3], 0 offset:324
	buffer_load_dword v148, off, s[0:3], 0 offset:332
	buffer_load_dword v149, off, s[0:3], 0 offset:328
	buffer_load_dword v162, off, s[0:3], 0 offset:320
	buffer_load_dword v163, off, s[0:3], 0 offset:312
	buffer_load_dword v164, off, s[0:3], 0 offset:304
	s_waitcnt vmcnt(25) lgkmcnt(0)
	v_mul_f32_e32 v4, v109, v150
	v_mul_f32_e32 v119, v108, v150
	v_add_f32_e32 v2, v2, v127
	v_add_f32_e32 v3, v3, v126
	s_clause 0x3
	buffer_load_dword v150, off, s[0:3], 0 offset:340
	buffer_load_dword v165, off, s[0:3], 0 offset:348
	;; [unrolled: 1-line block ×4, first 2 shown]
	v_fma_f32 v120, v108, v144, -v4
	v_fmac_f32_e32 v119, v109, v144
	v_add_f32_e32 v2, v2, v130
	v_add_f32_e32 v108, v3, v131
	s_waitcnt vmcnt(28)
	v_mul_f32_e32 v3, v111, v151
	s_clause 0x1
	buffer_load_dword v130, off, s[0:3], 0 offset:372
	buffer_load_dword v144, off, s[0:3], 0 offset:380
	v_mul_f32_e32 v121, v110, v151
	v_add_f32_e32 v109, v2, v129
	v_add_f32_e32 v108, v108, v132
	s_waitcnt vmcnt(26)
	v_fma_f32 v122, v110, v155, -v3
	ds_read2_b64 v[2:5], v1 offset0:81 offset1:82
	buffer_load_dword v129, off, s[0:3], 0 offset:388
	v_add_f32_e32 v109, v109, v112
	v_add_f32_e32 v108, v108, v133
	s_clause 0x3
	buffer_load_dword v131, off, s[0:3], 0 offset:360
	buffer_load_dword v132, off, s[0:3], 0 offset:352
	;; [unrolled: 1-line block ×4, first 2 shown]
	v_fmac_f32_e32 v121, v111, v155
	v_add_f32_e32 v109, v109, v114
	v_add_f32_e32 v108, v108, v113
	;; [unrolled: 1-line block ×4, first 2 shown]
	ds_read2_b64 v[108:111], v1 offset0:83 offset1:84
	v_add_f32_e32 v112, v112, v137
	s_waitcnt vmcnt(30) lgkmcnt(1)
	v_mul_f32_e32 v123, v2, v156
	v_mul_f32_e32 v114, v3, v156
	v_fmac_f32_e32 v123, v3, v154
	v_add_f32_e32 v3, v112, v136
	s_clause 0x3
	buffer_load_dword v134, off, s[0:3], 0 offset:384
	buffer_load_dword v135, off, s[0:3], 0 offset:376
	buffer_load_dword v136, off, s[0:3], 0 offset:368
	buffer_load_dword v137, off, s[0:3], 0 offset:80
	v_fma_f32 v124, v2, v154, -v114
	v_add_f32_e32 v2, v113, v139
	v_add_f32_e32 v3, v3, v140
	;; [unrolled: 1-line block ×13, first 2 shown]
	s_waitcnt vmcnt(32)
	v_mul_f32_e32 v125, v4, v115
	v_mul_f32_e32 v112, v5, v115
	s_waitcnt vmcnt(31) lgkmcnt(0)
	v_mul_f32_e32 v138, v108, v128
	v_mul_f32_e32 v117, v109, v128
	v_fmac_f32_e32 v125, v5, v153
	v_fma_f32 v126, v4, v153, -v112
	ds_read2_b64 v[2:5], v1 offset0:85 offset1:86
	ds_read2_b64 v[112:115], v1 offset0:87 offset1:88
	v_fmac_f32_e32 v138, v109, v152
	v_fma_f32 v127, v108, v152, -v117
	v_add_f32_e32 v152, v120, v123
	v_add_f32_e32 v7, v7, v126
	;; [unrolled: 1-line block ×4, first 2 shown]
	s_waitcnt vmcnt(30)
	v_mul_f32_e32 v118, v111, v142
	v_mul_f32_e32 v128, v110, v142
	s_waitcnt vmcnt(26)
	v_fma_f32 v139, v110, v159, -v118
	v_fmac_f32_e32 v128, v111, v159
	s_waitcnt vmcnt(25) lgkmcnt(1)
	v_mul_f32_e32 v140, v2, v8
	v_mul_f32_e32 v8, v3, v8
	s_waitcnt vmcnt(24)
	v_mul_f32_e32 v141, v4, v160
	v_mul_f32_e32 v121, v5, v160
	s_waitcnt vmcnt(23) lgkmcnt(0)
	v_mul_f32_e32 v124, v113, v161
	ds_read2_b64 v[108:111], v1 offset0:89 offset1:90
	ds_read2_b64 v[116:119], v1 offset0:91 offset1:92
	v_mul_f32_e32 v142, v112, v161
	v_fmac_f32_e32 v140, v3, v157
	v_fma_f32 v8, v2, v157, -v8
	v_fmac_f32_e32 v141, v5, v147
	v_fma_f32 v147, v4, v147, -v121
	ds_read2_b64 v[2:5], v1 offset0:93 offset1:94
	ds_read2_b64 v[120:123], v1 offset0:95 offset1:96
	v_fma_f32 v112, v112, v143, -v124
	ds_read2_b64 v[124:127], v1 offset0:97 offset1:98
	v_add_f32_e32 v1, v152, v138
	v_add_f32_e32 v7, v7, v139
	v_fmac_f32_e32 v142, v113, v143
	s_waitcnt vmcnt(22)
	v_mul_f32_e32 v113, v114, v6
	v_mul_f32_e32 v6, v115, v6
	v_add_f32_e32 v1, v1, v128
	v_add_f32_e32 v7, v7, v8
	s_waitcnt vmcnt(15)
	v_fmac_f32_e32 v113, v115, v164
	v_fma_f32 v6, v114, v164, -v6
	v_add_f32_e32 v1, v1, v140
	v_add_f32_e32 v7, v7, v147
	s_waitcnt lgkmcnt(4)
	v_mul_f32_e32 v139, v109, v145
	v_mul_f32_e32 v138, v108, v145
	;; [unrolled: 1-line block ×3, first 2 shown]
	v_add_f32_e32 v1, v1, v141
	v_add_f32_e32 v7, v7, v112
	v_mul_f32_e32 v141, v111, v146
	v_fma_f32 v108, v108, v163, -v139
	v_fmac_f32_e32 v138, v109, v163
	v_add_f32_e32 v1, v1, v142
	v_add_f32_e32 v6, v7, v6
	s_waitcnt lgkmcnt(3)
	v_mul_f32_e32 v7, v117, v148
	v_fma_f32 v109, v110, v162, -v141
	v_mul_f32_e32 v114, v116, v148
	v_add_f32_e32 v1, v1, v113
	v_add_f32_e32 v6, v6, v108
	v_fmac_f32_e32 v128, v111, v162
	s_waitcnt vmcnt(14)
	v_mul_f32_e32 v108, v119, v150
	v_fma_f32 v7, v116, v149, -v7
	v_add_f32_e32 v1, v1, v138
	v_add_f32_e32 v6, v6, v109
	v_mul_f32_e32 v115, v118, v150
	v_fmac_f32_e32 v114, v117, v149
	s_waitcnt vmcnt(13) lgkmcnt(2)
	v_mul_f32_e32 v8, v2, v165
	v_add_f32_e32 v1, v1, v128
	v_mul_f32_e32 v109, v3, v165
	s_waitcnt vmcnt(4)
	v_fma_f32 v108, v118, v151, -v108
	v_add_f32_e32 v6, v6, v7
	v_fmac_f32_e32 v115, v119, v151
	v_add_f32_e32 v1, v1, v114
	v_mul_f32_e32 v7, v5, v166
	v_fmac_f32_e32 v8, v3, v133
	v_fma_f32 v2, v2, v133, -v109
	v_add_f32_e32 v3, v6, v108
	v_mul_f32_e32 v140, v4, v166
	v_add_f32_e32 v1, v1, v115
	s_waitcnt lgkmcnt(1)
	v_mul_f32_e32 v6, v121, v167
	v_fma_f32 v4, v4, v132, -v7
	v_add_f32_e32 v2, v3, v2
	v_mul_f32_e32 v143, v120, v167
	v_fmac_f32_e32 v140, v5, v132
	v_add_f32_e32 v1, v1, v8
	v_mul_f32_e32 v3, v123, v130
	v_fma_f32 v5, v120, v131, -v6
	v_add_f32_e32 v2, v2, v4
	v_mul_f32_e32 v145, v122, v130
	v_fmac_f32_e32 v143, v121, v131
	v_add_f32_e32 v1, v1, v140
	s_waitcnt lgkmcnt(0)
	v_mul_f32_e32 v4, v125, v144
	s_waitcnt vmcnt(1)
	v_fma_f32 v3, v122, v136, -v3
	v_add_f32_e32 v2, v2, v5
	v_mul_f32_e32 v146, v124, v144
	v_fmac_f32_e32 v145, v123, v136
	v_add_f32_e32 v1, v1, v143
	v_mul_f32_e32 v5, v127, v129
	v_fma_f32 v4, v124, v135, -v4
	v_add_f32_e32 v2, v2, v3
	v_mul_f32_e32 v112, v126, v129
	v_fmac_f32_e32 v146, v125, v135
	v_add_f32_e32 v1, v1, v145
	v_fma_f32 v3, v126, v134, -v5
	v_add_f32_e32 v2, v2, v4
	v_fmac_f32_e32 v112, v127, v134
	v_add_f32_e32 v1, v1, v146
	v_add_f32_e32 v2, v2, v3
	;; [unrolled: 1-line block ×3, first 2 shown]
	s_waitcnt vmcnt(0)
	v_sub_f32_e32 v2, v137, v2
	v_sub_f32_e32 v1, v158, v1
	buffer_store_dword v2, off, s[0:3], 0 offset:80
	buffer_store_dword v1, off, s[0:3], 0 offset:84
	v_cmpx_lt_u32_e32 9, v0
	s_cbranch_execz .LBB112_289
; %bb.288:
	s_clause 0x1
	buffer_load_dword v1, off, s[0:3], 0 offset:72
	buffer_load_dword v2, off, s[0:3], 0 offset:76
	v_mov_b32_e32 v3, 0
	buffer_store_dword v3, off, s[0:3], 0 offset:72
	buffer_store_dword v3, off, s[0:3], 0 offset:76
	s_waitcnt vmcnt(0)
	ds_write_b64 v107, v[1:2]
.LBB112_289:
	s_or_b32 exec_lo, exec_lo, s4
	s_waitcnt lgkmcnt(0)
	s_waitcnt_vscnt null, 0x0
	s_barrier
	buffer_gl0_inv
	s_clause 0x2c
	buffer_load_dword v6, off, s[0:3], 0 offset:84
	buffer_load_dword v7, off, s[0:3], 0 offset:92
	;; [unrolled: 1-line block ×45, first 2 shown]
	v_mov_b32_e32 v1, 0
	ds_read_b128 v[2:5], v1 offset:480
	ds_read_b128 v[108:111], v1 offset:496
	s_clause 0x2
	buffer_load_dword v156, off, s[0:3], 0 offset:76
	buffer_load_dword v157, off, s[0:3], 0 offset:260
	;; [unrolled: 1-line block ×3, first 2 shown]
	s_mov_b32 s4, exec_lo
	s_waitcnt vmcnt(47) lgkmcnt(1)
	v_mul_f32_e32 v154, v3, v6
	v_mul_f32_e32 v6, v2, v6
	s_waitcnt vmcnt(46)
	v_mul_f32_e32 v155, v4, v7
	v_mul_f32_e32 v7, v5, v7
	s_waitcnt vmcnt(43)
	v_fma_f32 v154, v2, v113, -v154
	v_fmac_f32_e32 v6, v3, v113
	v_fmac_f32_e32 v155, v5, v112
	v_fma_f32 v7, v4, v112, -v7
	ds_read_b128 v[2:5], v1 offset:512
	s_waitcnt vmcnt(42) lgkmcnt(1)
	v_mul_f32_e32 v112, v108, v114
	v_mul_f32_e32 v113, v109, v114
	s_waitcnt vmcnt(41)
	v_mul_f32_e32 v114, v110, v115
	v_mul_f32_e32 v115, v111, v115
	v_fmac_f32_e32 v112, v109, v8
	v_fma_f32 v8, v108, v8, -v113
	s_waitcnt vmcnt(37)
	v_fmac_f32_e32 v114, v111, v119
	v_fma_f32 v113, v110, v119, -v115
	ds_read_b128 v[108:111], v1 offset:528
	s_waitcnt vmcnt(36) lgkmcnt(1)
	v_mul_f32_e32 v115, v2, v120
	v_mul_f32_e32 v119, v3, v120
	s_waitcnt vmcnt(35)
	v_mul_f32_e32 v120, v4, v121
	v_mul_f32_e32 v121, v5, v121
	v_fmac_f32_e32 v115, v3, v118
	v_fma_f32 v118, v2, v118, -v119
	v_fmac_f32_e32 v120, v5, v117
	v_fma_f32 v117, v4, v117, -v121
	ds_read_b128 v[2:5], v1 offset:544
	s_waitcnt vmcnt(34) lgkmcnt(1)
	v_mul_f32_e32 v119, v108, v122
	v_mul_f32_e32 v121, v109, v122
	s_waitcnt vmcnt(33)
	v_mul_f32_e32 v122, v110, v123
	v_mul_f32_e32 v123, v111, v123
	v_fmac_f32_e32 v119, v109, v116
	v_fma_f32 v116, v108, v116, -v121
	s_waitcnt vmcnt(29)
	v_fmac_f32_e32 v122, v111, v127
	v_fma_f32 v121, v110, v127, -v123
	ds_read_b128 v[108:111], v1 offset:560
	s_waitcnt vmcnt(28) lgkmcnt(1)
	v_mul_f32_e32 v123, v2, v128
	v_mul_f32_e32 v127, v3, v128
	s_waitcnt vmcnt(27)
	v_mul_f32_e32 v128, v4, v129
	v_mul_f32_e32 v129, v5, v129
	v_fmac_f32_e32 v123, v3, v126
	v_fma_f32 v126, v2, v126, -v127
	;; [unrolled: 23-line block ×5, first 2 shown]
	v_fmac_f32_e32 v152, v5, v149
	v_fma_f32 v149, v4, v149, -v153
	s_clause 0x3
	buffer_load_dword v151, off, s[0:3], 0 offset:288
	buffer_load_dword v153, off, s[0:3], 0 offset:280
	;; [unrolled: 1-line block ×4, first 2 shown]
	s_waitcnt vmcnt(5) lgkmcnt(0)
	v_mul_f32_e32 v160, v108, v157
	v_mul_f32_e32 v3, v109, v157
	s_waitcnt vmcnt(4)
	v_mul_f32_e32 v157, v110, v158
	v_mul_f32_e32 v4, v111, v158
	s_clause 0x1
	buffer_load_dword v158, off, s[0:3], 0 offset:276
	buffer_load_dword v162, off, s[0:3], 0 offset:284
	v_fmac_f32_e32 v160, v109, v148
	v_fma_f32 v148, v108, v148, -v3
	v_add_f32_e32 v3, 0, v6
	buffer_load_dword v6, off, s[0:3], 0 offset:300
	v_add_f32_e32 v3, v3, v155
	v_add_f32_e32 v3, v3, v112
	;; [unrolled: 1-line block ×17, first 2 shown]
	s_waitcnt vmcnt(3)
	v_fmac_f32_e32 v157, v111, v2
	v_fma_f32 v161, v110, v2, -v4
	v_add_f32_e32 v2, 0, v154
	buffer_load_dword v154, off, s[0:3], 0 offset:292
	v_add_f32_e32 v2, v2, v7
	v_add_f32_e32 v2, v2, v8
	s_clause 0xa
	buffer_load_dword v8, off, s[0:3], 0 offset:320
	buffer_load_dword v155, off, s[0:3], 0 offset:312
	;; [unrolled: 1-line block ×11, first 2 shown]
	v_add_f32_e32 v2, v2, v113
	s_clause 0x3
	buffer_load_dword v171, off, s[0:3], 0 offset:364
	buffer_load_dword v172, off, s[0:3], 0 offset:372
	;; [unrolled: 1-line block ×4, first 2 shown]
	v_add_f32_e32 v2, v2, v118
	v_add_f32_e32 v2, v2, v117
	;; [unrolled: 1-line block ×9, first 2 shown]
	s_clause 0x3
	buffer_load_dword v125, off, s[0:3], 0 offset:352
	buffer_load_dword v126, off, s[0:3], 0 offset:344
	;; [unrolled: 1-line block ×4, first 2 shown]
	v_add_f32_e32 v2, v2, v124
	v_add_f32_e32 v2, v2, v129
	s_clause 0x4
	buffer_load_dword v124, off, s[0:3], 0 offset:384
	buffer_load_dword v127, off, s[0:3], 0 offset:376
	;; [unrolled: 1-line block ×5, first 2 shown]
	v_add_f32_e32 v2, v2, v134
	v_add_f32_e32 v108, v2, v133
	ds_read_b128 v[2:5], v1 offset:672
	v_add_f32_e32 v108, v108, v132
	v_add_f32_e32 v108, v108, v137
	v_add_f32_e32 v113, v108, v142
	ds_read_b128 v[108:111], v1 offset:688
	v_add_f32_e32 v113, v113, v141
	s_waitcnt vmcnt(27) lgkmcnt(1)
	v_mul_f32_e32 v131, v2, v158
	v_mul_f32_e32 v114, v3, v158
	s_waitcnt vmcnt(26)
	v_mul_f32_e32 v132, v4, v162
	v_mul_f32_e32 v115, v5, v162
	v_fmac_f32_e32 v131, v3, v159
	v_add_f32_e32 v3, v113, v140
	v_fma_f32 v133, v2, v159, -v114
	v_fmac_f32_e32 v132, v5, v153
	v_fma_f32 v134, v4, v153, -v115
	v_add_f32_e32 v120, v3, v145
	ds_read_b128 v[2:5], v1 offset:704
	ds_read_b128 v[112:115], v1 offset:720
	;; [unrolled: 1-line block ×3, first 2 shown]
	s_waitcnt vmcnt(25) lgkmcnt(3)
	v_mul_f32_e32 v136, v110, v6
	v_add_f32_e32 v120, v120, v150
	v_mul_f32_e32 v6, v111, v6
	v_add_f32_e32 v120, v120, v149
	s_waitcnt vmcnt(24)
	v_mul_f32_e32 v122, v109, v154
	v_mul_f32_e32 v135, v108, v154
	v_fma_f32 v137, v108, v151, -v122
	v_add_f32_e32 v108, v121, v152
	v_fmac_f32_e32 v135, v109, v151
	v_add_f32_e32 v109, v120, v148
	ds_read_b128 v[120:123], v1 offset:752
	s_waitcnt vmcnt(20)
	v_fma_f32 v138, v110, v7, -v6
	v_add_f32_e32 v139, v108, v160
	v_fmac_f32_e32 v136, v111, v7
	v_add_f32_e32 v140, v109, v161
	s_waitcnt vmcnt(19) lgkmcnt(3)
	v_mul_f32_e32 v141, v2, v164
	s_waitcnt vmcnt(18)
	v_mul_f32_e32 v143, v5, v165
	v_add_f32_e32 v139, v139, v157
	v_mul_f32_e32 v142, v4, v165
	v_add_f32_e32 v133, v140, v133
	v_mul_f32_e32 v140, v3, v164
	v_fmac_f32_e32 v141, v3, v163
	v_add_f32_e32 v131, v139, v131
	s_waitcnt vmcnt(17) lgkmcnt(2)
	v_mul_f32_e32 v139, v112, v166
	v_add_f32_e32 v133, v133, v134
	v_fma_f32 v2, v2, v163, -v140
	v_mul_f32_e32 v140, v113, v166
	v_add_f32_e32 v131, v131, v132
	v_fma_f32 v4, v4, v155, -v143
	v_add_f32_e32 v133, v133, v137
	v_fmac_f32_e32 v142, v5, v155
	v_fmac_f32_e32 v139, v113, v8
	v_add_f32_e32 v131, v131, v135
	v_fma_f32 v8, v112, v8, -v140
	v_add_f32_e32 v133, v133, v138
	s_waitcnt vmcnt(16)
	v_mul_f32_e32 v134, v114, v167
	ds_read_b128 v[108:111], v1 offset:768
	ds_read_b64 v[6:7], v1 offset:784
	v_add_f32_e32 v131, v131, v136
	s_waitcnt vmcnt(15) lgkmcnt(3)
	v_mul_f32_e32 v144, v116, v168
	v_add_f32_e32 v2, v133, v2
	s_waitcnt vmcnt(14)
	v_mul_f32_e32 v132, v118, v169
	s_waitcnt vmcnt(13) lgkmcnt(2)
	v_mul_f32_e32 v137, v120, v170
	v_add_f32_e32 v5, v131, v141
	v_mul_f32_e32 v131, v115, v167
	v_add_f32_e32 v2, v2, v4
	s_waitcnt vmcnt(6)
	v_fmac_f32_e32 v144, v117, v175
	s_waitcnt vmcnt(5)
	v_fmac_f32_e32 v134, v115, v176
	v_add_f32_e32 v4, v5, v142
	v_mul_f32_e32 v5, v117, v168
	v_fma_f32 v112, v114, v176, -v131
	v_add_f32_e32 v2, v2, v8
	v_mul_f32_e32 v8, v119, v169
	v_add_f32_e32 v4, v4, v139
	v_fma_f32 v5, v116, v175, -v5
	v_fmac_f32_e32 v132, v119, v126
	v_add_f32_e32 v2, v2, v112
	v_mul_f32_e32 v112, v121, v170
	v_add_f32_e32 v4, v4, v134
	v_fma_f32 v8, v118, v126, -v8
	v_mul_f32_e32 v3, v122, v171
	v_add_f32_e32 v2, v2, v5
	v_mul_f32_e32 v5, v123, v171
	v_add_f32_e32 v4, v4, v144
	v_fma_f32 v112, v120, v125, -v112
	v_fmac_f32_e32 v137, v121, v125
	v_add_f32_e32 v2, v2, v8
	s_waitcnt lgkmcnt(1)
	v_mul_f32_e32 v8, v109, v172
	v_add_f32_e32 v4, v4, v132
	s_waitcnt vmcnt(1)
	v_fma_f32 v5, v122, v129, -v5
	v_mul_f32_e32 v135, v108, v172
	v_add_f32_e32 v2, v2, v112
	v_fmac_f32_e32 v3, v123, v129
	v_add_f32_e32 v4, v4, v137
	v_mul_f32_e32 v112, v111, v173
	v_fma_f32 v8, v108, v128, -v8
	v_add_f32_e32 v2, v2, v5
	v_mul_f32_e32 v138, v110, v173
	v_fmac_f32_e32 v135, v109, v128
	v_add_f32_e32 v3, v4, v3
	s_waitcnt lgkmcnt(0)
	v_mul_f32_e32 v4, v7, v174
	v_fma_f32 v5, v110, v127, -v112
	v_add_f32_e32 v2, v2, v8
	v_mul_f32_e32 v136, v6, v174
	v_fmac_f32_e32 v138, v111, v127
	v_add_f32_e32 v3, v3, v135
	v_fma_f32 v4, v6, v124, -v4
	v_add_f32_e32 v2, v2, v5
	v_fmac_f32_e32 v136, v7, v124
	v_add_f32_e32 v3, v3, v138
	v_add_f32_e32 v2, v2, v4
	;; [unrolled: 1-line block ×3, first 2 shown]
	s_waitcnt vmcnt(0)
	v_sub_f32_e32 v2, v130, v2
	v_sub_f32_e32 v3, v156, v3
	buffer_store_dword v2, off, s[0:3], 0 offset:72
	buffer_store_dword v3, off, s[0:3], 0 offset:76
	v_cmpx_lt_u32_e32 8, v0
	s_cbranch_execz .LBB112_291
; %bb.290:
	s_clause 0x1
	buffer_load_dword v2, off, s[0:3], 0 offset:64
	buffer_load_dword v3, off, s[0:3], 0 offset:68
	buffer_store_dword v1, off, s[0:3], 0 offset:64
	buffer_store_dword v1, off, s[0:3], 0 offset:68
	s_waitcnt vmcnt(0)
	ds_write_b64 v107, v[2:3]
.LBB112_291:
	s_or_b32 exec_lo, exec_lo, s4
	s_waitcnt lgkmcnt(0)
	s_waitcnt_vscnt null, 0x0
	s_barrier
	buffer_gl0_inv
	s_clause 0x2c
	buffer_load_dword v6, off, s[0:3], 0 offset:76
	buffer_load_dword v7, off, s[0:3], 0 offset:84
	;; [unrolled: 1-line block ×45, first 2 shown]
	ds_read2_b64 v[2:5], v1 offset0:59 offset1:60
	ds_read2_b64 v[108:111], v1 offset0:61 offset1:62
	s_clause 0x2
	buffer_load_dword v156, off, s[0:3], 0 offset:68
	buffer_load_dword v157, off, s[0:3], 0 offset:252
	;; [unrolled: 1-line block ×3, first 2 shown]
	s_mov_b32 s4, exec_lo
	s_waitcnt vmcnt(47) lgkmcnt(1)
	v_mul_f32_e32 v154, v3, v6
	v_mul_f32_e32 v6, v2, v6
	s_waitcnt vmcnt(46)
	v_mul_f32_e32 v155, v4, v7
	v_mul_f32_e32 v7, v5, v7
	s_waitcnt vmcnt(43)
	v_fma_f32 v154, v2, v113, -v154
	v_fmac_f32_e32 v6, v3, v113
	v_fmac_f32_e32 v155, v5, v112
	v_fma_f32 v7, v4, v112, -v7
	ds_read2_b64 v[2:5], v1 offset0:63 offset1:64
	s_waitcnt vmcnt(42) lgkmcnt(1)
	v_mul_f32_e32 v112, v108, v114
	v_mul_f32_e32 v113, v109, v114
	s_waitcnt vmcnt(41)
	v_mul_f32_e32 v114, v110, v115
	v_mul_f32_e32 v115, v111, v115
	v_fmac_f32_e32 v112, v109, v8
	v_fma_f32 v8, v108, v8, -v113
	s_waitcnt vmcnt(37)
	v_fmac_f32_e32 v114, v111, v119
	v_fma_f32 v113, v110, v119, -v115
	ds_read2_b64 v[108:111], v1 offset0:65 offset1:66
	s_waitcnt vmcnt(36) lgkmcnt(1)
	v_mul_f32_e32 v115, v2, v120
	v_mul_f32_e32 v119, v3, v120
	s_waitcnt vmcnt(35)
	v_mul_f32_e32 v120, v4, v121
	v_mul_f32_e32 v121, v5, v121
	v_fmac_f32_e32 v115, v3, v118
	v_fma_f32 v118, v2, v118, -v119
	v_fmac_f32_e32 v120, v5, v117
	v_fma_f32 v117, v4, v117, -v121
	ds_read2_b64 v[2:5], v1 offset0:67 offset1:68
	s_waitcnt vmcnt(34) lgkmcnt(1)
	v_mul_f32_e32 v119, v108, v122
	v_mul_f32_e32 v121, v109, v122
	s_waitcnt vmcnt(33)
	v_mul_f32_e32 v122, v110, v123
	v_mul_f32_e32 v123, v111, v123
	v_fmac_f32_e32 v119, v109, v116
	v_fma_f32 v116, v108, v116, -v121
	s_waitcnt vmcnt(29)
	v_fmac_f32_e32 v122, v111, v127
	v_fma_f32 v121, v110, v127, -v123
	ds_read2_b64 v[108:111], v1 offset0:69 offset1:70
	s_waitcnt vmcnt(28) lgkmcnt(1)
	v_mul_f32_e32 v123, v2, v128
	v_mul_f32_e32 v127, v3, v128
	s_waitcnt vmcnt(27)
	v_mul_f32_e32 v128, v4, v129
	v_mul_f32_e32 v129, v5, v129
	v_fmac_f32_e32 v123, v3, v126
	v_fma_f32 v126, v2, v126, -v127
	;; [unrolled: 23-line block ×5, first 2 shown]
	v_fmac_f32_e32 v152, v5, v149
	v_fma_f32 v149, v4, v149, -v153
	s_clause 0x5
	buffer_load_dword v151, off, s[0:3], 0 offset:280
	buffer_load_dword v153, off, s[0:3], 0 offset:272
	;; [unrolled: 1-line block ×6, first 2 shown]
	v_add_f32_e32 v4, 0, v6
	buffer_load_dword v6, off, s[0:3], 0 offset:284
	v_add_f32_e32 v3, 0, v154
	s_waitcnt vmcnt(8) lgkmcnt(0)
	v_mul_f32_e32 v5, v109, v157
	s_waitcnt vmcnt(7)
	v_mul_f32_e32 v164, v110, v158
	v_add_f32_e32 v4, v4, v155
	v_add_f32_e32 v3, v3, v7
	v_mul_f32_e32 v7, v108, v157
	v_add_f32_e32 v4, v4, v112
	v_add_f32_e32 v3, v3, v8
	s_clause 0x7
	buffer_load_dword v8, off, s[0:3], 0 offset:292
	buffer_load_dword v154, off, s[0:3], 0 offset:312
	;; [unrolled: 1-line block ×8, first 2 shown]
	v_add_f32_e32 v3, v3, v113
	v_add_f32_e32 v4, v4, v114
	v_fmac_f32_e32 v7, v109, v148
	v_fma_f32 v148, v108, v148, -v5
	v_mul_f32_e32 v5, v111, v158
	v_add_f32_e32 v3, v3, v118
	v_add_f32_e32 v4, v4, v115
	s_clause 0x7
	buffer_load_dword v158, off, s[0:3], 0 offset:308
	buffer_load_dword v167, off, s[0:3], 0 offset:332
	;; [unrolled: 1-line block ×8, first 2 shown]
	v_add_f32_e32 v3, v3, v117
	v_add_f32_e32 v4, v4, v120
	buffer_load_dword v174, off, s[0:3], 0 offset:388
	s_waitcnt vmcnt(20)
	v_fmac_f32_e32 v164, v111, v2
	v_fma_f32 v120, v110, v2, -v5
	v_add_f32_e32 v2, v3, v116
	v_add_f32_e32 v3, v4, v119
	;; [unrolled: 1-line block ×8, first 2 shown]
	s_clause 0x3
	buffer_load_dword v128, off, s[0:3], 0 offset:344
	buffer_load_dword v175, off, s[0:3], 0 offset:336
	;; [unrolled: 1-line block ×4, first 2 shown]
	v_add_f32_e32 v2, v2, v124
	v_add_f32_e32 v3, v3, v127
	;; [unrolled: 1-line block ×4, first 2 shown]
	s_clause 0x3
	buffer_load_dword v129, off, s[0:3], 0 offset:376
	buffer_load_dword v130, off, s[0:3], 0 offset:368
	;; [unrolled: 1-line block ×4, first 2 shown]
	v_add_f32_e32 v2, v2, v134
	buffer_load_dword v134, off, s[0:3], 0 offset:384
	v_add_f32_e32 v3, v3, v131
	buffer_load_dword v131, off, s[0:3], 0 offset:64
	v_add_f32_e32 v2, v2, v133
	v_add_f32_e32 v3, v3, v136
	;; [unrolled: 1-line block ×4, first 2 shown]
	ds_read2_b64 v[2:5], v1 offset0:83 offset1:84
	v_add_f32_e32 v108, v108, v137
	v_add_f32_e32 v109, v109, v138
	;; [unrolled: 1-line block ×4, first 2 shown]
	ds_read2_b64 v[108:111], v1 offset0:85 offset1:86
	v_add_f32_e32 v112, v112, v141
	v_add_f32_e32 v113, v113, v144
	;; [unrolled: 1-line block ×4, first 2 shown]
	s_waitcnt vmcnt(29) lgkmcnt(1)
	v_mul_f32_e32 v132, v2, v160
	v_mul_f32_e32 v114, v3, v160
	s_waitcnt vmcnt(28)
	v_mul_f32_e32 v133, v4, v161
	v_mul_f32_e32 v115, v5, v161
	v_add_f32_e32 v117, v112, v145
	v_fmac_f32_e32 v132, v3, v159
	v_fma_f32 v124, v2, v159, -v114
	v_fmac_f32_e32 v133, v5, v153
	v_fma_f32 v135, v4, v153, -v115
	ds_read2_b64 v[2:5], v1 offset0:87 offset1:88
	ds_read2_b64 v[112:115], v1 offset0:89 offset1:90
	v_add_f32_e32 v116, v116, v146
	s_waitcnt vmcnt(27) lgkmcnt(2)
	v_mul_f32_e32 v136, v108, v6
	v_add_f32_e32 v117, v117, v150
	v_mul_f32_e32 v6, v109, v6
	s_waitcnt vmcnt(26)
	v_mul_f32_e32 v137, v110, v8
	v_add_f32_e32 v116, v116, v147
	v_fmac_f32_e32 v136, v109, v151
	v_add_f32_e32 v109, v117, v149
	v_mul_f32_e32 v8, v111, v8
	v_fma_f32 v6, v108, v151, -v6
	v_add_f32_e32 v121, v116, v152
	s_waitcnt vmcnt(22)
	v_fmac_f32_e32 v137, v111, v162
	v_add_f32_e32 v122, v109, v148
	v_fma_f32 v8, v110, v162, -v8
	ds_read2_b64 v[108:111], v1 offset0:91 offset1:92
	ds_read2_b64 v[116:119], v1 offset0:93 offset1:94
	v_add_f32_e32 v7, v121, v7
	v_add_f32_e32 v126, v122, v120
	s_waitcnt vmcnt(21) lgkmcnt(3)
	v_mul_f32_e32 v138, v2, v163
	v_mul_f32_e32 v125, v3, v163
	v_add_f32_e32 v7, v7, v164
	ds_read2_b64 v[120:123], v1 offset0:95 offset1:96
	s_waitcnt vmcnt(20) lgkmcnt(3)
	v_mul_f32_e32 v139, v113, v165
	v_fmac_f32_e32 v138, v3, v157
	v_add_f32_e32 v3, v126, v124
	v_fma_f32 v2, v2, v157, -v125
	ds_read2_b64 v[124:127], v1 offset0:97 offset1:98
	v_add_f32_e32 v1, v7, v132
	s_waitcnt vmcnt(18)
	v_mul_f32_e32 v132, v5, v158
	v_add_f32_e32 v3, v3, v135
	v_mul_f32_e32 v7, v4, v158
	v_mul_f32_e32 v135, v112, v165
	v_add_f32_e32 v1, v1, v133
	v_fma_f32 v4, v4, v155, -v132
	v_add_f32_e32 v3, v3, v6
	v_fmac_f32_e32 v7, v5, v155
	v_fma_f32 v112, v112, v154, -v139
	v_add_f32_e32 v1, v1, v136
	v_mul_f32_e32 v133, v114, v166
	v_add_f32_e32 v3, v3, v8
	v_mul_f32_e32 v8, v115, v166
	v_fmac_f32_e32 v135, v113, v154
	v_add_f32_e32 v1, v1, v137
	s_waitcnt vmcnt(17) lgkmcnt(3)
	v_mul_f32_e32 v5, v108, v167
	v_add_f32_e32 v2, v3, v2
	s_waitcnt vmcnt(16)
	v_mul_f32_e32 v132, v110, v168
	s_waitcnt vmcnt(15) lgkmcnt(2)
	v_mul_f32_e32 v6, v116, v169
	v_add_f32_e32 v1, v1, v138
	s_waitcnt vmcnt(14)
	v_mul_f32_e32 v136, v118, v170
	v_add_f32_e32 v2, v2, v4
	v_mul_f32_e32 v4, v109, v167
	s_waitcnt vmcnt(13) lgkmcnt(1)
	v_mul_f32_e32 v140, v120, v171
	v_add_f32_e32 v1, v1, v7
	s_waitcnt vmcnt(12)
	v_mul_f32_e32 v137, v122, v172
	v_add_f32_e32 v2, v2, v112
	s_waitcnt vmcnt(11) lgkmcnt(0)
	v_mul_f32_e32 v141, v124, v173
	s_waitcnt vmcnt(10)
	v_mul_f32_e32 v3, v126, v174
	v_add_f32_e32 v1, v1, v135
	s_waitcnt vmcnt(9)
	v_fmac_f32_e32 v6, v117, v128
	s_waitcnt vmcnt(8)
	v_fmac_f32_e32 v132, v111, v175
	s_waitcnt vmcnt(7)
	v_fma_f32 v4, v108, v176, -v4
	s_waitcnt vmcnt(6)
	v_fma_f32 v7, v114, v177, -v8
	v_fmac_f32_e32 v133, v115, v177
	v_mul_f32_e32 v8, v111, v168
	v_fmac_f32_e32 v5, v109, v176
	v_add_f32_e32 v2, v2, v7
	v_add_f32_e32 v1, v1, v133
	v_mul_f32_e32 v7, v117, v169
	v_fma_f32 v8, v110, v175, -v8
	s_waitcnt vmcnt(3)
	v_fmac_f32_e32 v140, v121, v178
	v_add_f32_e32 v2, v2, v4
	v_add_f32_e32 v1, v1, v5
	v_mul_f32_e32 v4, v119, v170
	v_fma_f32 v5, v116, v128, -v7
	v_mul_f32_e32 v7, v121, v171
	v_add_f32_e32 v2, v2, v8
	v_add_f32_e32 v1, v1, v132
	s_waitcnt vmcnt(2)
	v_fma_f32 v4, v118, v179, -v4
	v_fmac_f32_e32 v136, v119, v179
	v_fmac_f32_e32 v137, v123, v130
	v_add_f32_e32 v2, v2, v5
	v_add_f32_e32 v1, v1, v6
	v_mul_f32_e32 v5, v123, v172
	v_fma_f32 v6, v120, v178, -v7
	v_fmac_f32_e32 v141, v125, v129
	v_add_f32_e32 v2, v2, v4
	v_add_f32_e32 v1, v1, v136
	v_mul_f32_e32 v4, v125, v173
	v_fma_f32 v5, v122, v130, -v5
	s_waitcnt vmcnt(1)
	v_fmac_f32_e32 v3, v127, v134
	v_add_f32_e32 v2, v2, v6
	v_add_f32_e32 v1, v1, v140
	v_mul_f32_e32 v6, v127, v174
	v_fma_f32 v4, v124, v129, -v4
	v_add_f32_e32 v2, v2, v5
	v_add_f32_e32 v1, v1, v137
	v_fma_f32 v5, v126, v134, -v6
	v_add_f32_e32 v2, v2, v4
	v_add_f32_e32 v1, v1, v141
	;; [unrolled: 1-line block ×4, first 2 shown]
	s_waitcnt vmcnt(0)
	v_sub_f32_e32 v2, v131, v2
	v_sub_f32_e32 v1, v156, v1
	buffer_store_dword v2, off, s[0:3], 0 offset:64
	buffer_store_dword v1, off, s[0:3], 0 offset:68
	v_cmpx_lt_u32_e32 7, v0
	s_cbranch_execz .LBB112_293
; %bb.292:
	s_clause 0x1
	buffer_load_dword v1, off, s[0:3], 0 offset:56
	buffer_load_dword v2, off, s[0:3], 0 offset:60
	v_mov_b32_e32 v3, 0
	buffer_store_dword v3, off, s[0:3], 0 offset:56
	buffer_store_dword v3, off, s[0:3], 0 offset:60
	s_waitcnt vmcnt(0)
	ds_write_b64 v107, v[1:2]
.LBB112_293:
	s_or_b32 exec_lo, exec_lo, s4
	s_waitcnt lgkmcnt(0)
	s_waitcnt_vscnt null, 0x0
	s_barrier
	buffer_gl0_inv
	s_clause 0x24
	buffer_load_dword v2, off, s[0:3], 0 offset:68
	buffer_load_dword v3, off, s[0:3], 0 offset:76
	;; [unrolled: 1-line block ×37, first 2 shown]
	v_mov_b32_e32 v1, 0
	ds_read_b128 v[116:119], v1 offset:464
	ds_read_b128 v[120:123], v1 offset:480
	;; [unrolled: 1-line block ×3, first 2 shown]
	s_clause 0x1
	buffer_load_dword v154, off, s[0:3], 0 offset:212
	buffer_load_dword v155, off, s[0:3], 0 offset:60
	ds_read_b128 v[128:131], v1 offset:512
	s_mov_b32 s4, exec_lo
	s_waitcnt vmcnt(38) lgkmcnt(3)
	v_mul_f32_e32 v156, v117, v2
	v_mul_f32_e32 v2, v116, v2
	s_waitcnt vmcnt(37)
	v_mul_f32_e32 v157, v118, v3
	v_mul_f32_e32 v3, v119, v3
	s_waitcnt vmcnt(34)
	v_fma_f32 v156, v116, v134, -v156
	v_fmac_f32_e32 v2, v117, v134
	v_fmac_f32_e32 v157, v119, v133
	v_fma_f32 v3, v118, v133, -v3
	ds_read_b128 v[116:119], v1 offset:528
	s_waitcnt vmcnt(33) lgkmcnt(3)
	v_mul_f32_e32 v133, v120, v135
	v_mul_f32_e32 v134, v121, v135
	s_waitcnt vmcnt(32)
	v_mul_f32_e32 v135, v122, v136
	v_mul_f32_e32 v136, v123, v136
	s_waitcnt vmcnt(31) lgkmcnt(2)
	v_mul_f32_e32 v158, v124, v137
	v_fmac_f32_e32 v133, v121, v132
	v_fma_f32 v132, v120, v132, -v134
	s_waitcnt vmcnt(26)
	v_fmac_f32_e32 v135, v123, v142
	v_fma_f32 v136, v122, v142, -v136
	ds_read_b128 v[120:123], v1 offset:544
	v_mul_f32_e32 v137, v125, v137
	v_mul_f32_e32 v134, v126, v138
	;; [unrolled: 1-line block ×3, first 2 shown]
	v_fmac_f32_e32 v158, v125, v141
	s_waitcnt vmcnt(24) lgkmcnt(2)
	v_mul_f32_e32 v142, v130, v144
	v_fma_f32 v137, v124, v141, -v137
	v_fmac_f32_e32 v134, v127, v140
	v_fma_f32 v138, v126, v140, -v138
	v_mul_f32_e32 v140, v128, v143
	v_mul_f32_e32 v141, v129, v143
	;; [unrolled: 1-line block ×3, first 2 shown]
	ds_read_b128 v[124:127], v1 offset:560
	s_waitcnt vmcnt(19)
	v_fmac_f32_e32 v142, v131, v147
	v_fmac_f32_e32 v140, v129, v139
	v_fma_f32 v128, v128, v139, -v141
	v_fma_f32 v129, v130, v147, -v143
	s_clause 0x4
	buffer_load_dword v130, off, s[0:3], 0 offset:220
	buffer_load_dword v131, off, s[0:3], 0 offset:240
	;; [unrolled: 1-line block ×5, first 2 shown]
	s_waitcnt lgkmcnt(2)
	v_mul_f32_e32 v144, v116, v145
	v_mul_f32_e32 v145, v117, v145
	s_waitcnt vmcnt(23)
	v_mul_f32_e32 v147, v118, v148
	v_mul_f32_e32 v148, v119, v148
	s_waitcnt vmcnt(21) lgkmcnt(1)
	v_mul_f32_e32 v159, v122, v150
	v_fmac_f32_e32 v144, v117, v146
	v_fma_f32 v145, v116, v146, -v145
	v_mul_f32_e32 v146, v120, v149
	v_mul_f32_e32 v116, v121, v149
	buffer_load_dword v149, off, s[0:3], 0 offset:228
	v_fmac_f32_e32 v147, v119, v113
	v_fma_f32 v148, v118, v113, -v148
	v_mul_f32_e32 v113, v123, v150
	v_fmac_f32_e32 v146, v121, v8
	v_fma_f32 v8, v120, v8, -v116
	ds_read_b128 v[116:119], v1 offset:576
	s_waitcnt vmcnt(18)
	v_fmac_f32_e32 v159, v123, v151
	v_fma_f32 v150, v122, v151, -v113
	ds_read_b128 v[120:123], v1 offset:592
	s_waitcnt vmcnt(17) lgkmcnt(2)
	v_mul_f32_e32 v151, v124, v152
	v_mul_f32_e32 v113, v125, v152
	s_waitcnt vmcnt(16)
	v_mul_f32_e32 v152, v126, v153
	v_mul_f32_e32 v153, v127, v153
	v_add_f32_e32 v2, 0, v2
	v_fmac_f32_e32 v151, v125, v114
	v_fma_f32 v124, v124, v114, -v113
	v_fmac_f32_e32 v152, v127, v108
	v_fma_f32 v125, v126, v108, -v153
	s_clause 0x2
	buffer_load_dword v126, off, s[0:3], 0 offset:236
	buffer_load_dword v127, off, s[0:3], 0 offset:244
	;; [unrolled: 1-line block ×3, first 2 shown]
	s_waitcnt vmcnt(18) lgkmcnt(1)
	v_mul_f32_e32 v153, v116, v110
	v_mul_f32_e32 v108, v117, v110
	s_waitcnt vmcnt(17)
	v_mul_f32_e32 v160, v118, v109
	v_mul_f32_e32 v109, v119, v109
	v_fmac_f32_e32 v153, v117, v5
	v_fma_f32 v117, v116, v5, -v108
	s_waitcnt vmcnt(13)
	v_fmac_f32_e32 v160, v119, v115
	s_waitcnt vmcnt(12) lgkmcnt(0)
	v_mul_f32_e32 v119, v120, v112
	v_mul_f32_e32 v5, v121, v112
	s_waitcnt vmcnt(11)
	v_mul_f32_e32 v112, v122, v111
	v_mul_f32_e32 v108, v123, v111
	v_fma_f32 v118, v118, v115, -v109
	ds_read_b128 v[113:116], v1 offset:608
	v_fmac_f32_e32 v119, v121, v7
	v_fma_f32 v7, v120, v7, -v5
	v_fmac_f32_e32 v112, v123, v6
	v_fma_f32 v6, v122, v6, -v108
	s_clause 0x4
	buffer_load_dword v120, off, s[0:3], 0 offset:272
	buffer_load_dword v121, off, s[0:3], 0 offset:264
	;; [unrolled: 1-line block ×5, first 2 shown]
	v_add_f32_e32 v5, 0, v156
	v_add_f32_e32 v3, v5, v3
	;; [unrolled: 1-line block ×3, first 2 shown]
	s_waitcnt vmcnt(15) lgkmcnt(0)
	v_mul_f32_e32 v156, v113, v154
	v_mul_f32_e32 v108, v114, v154
	v_add_f32_e32 v109, v109, v136
	v_fmac_f32_e32 v156, v114, v4
	buffer_load_dword v114, off, s[0:3], 0 offset:268
	v_fma_f32 v113, v113, v4, -v108
	v_add_f32_e32 v108, v2, v157
	ds_read_b128 v[2:5], v1 offset:624
	v_add_f32_e32 v109, v109, v137
	v_add_f32_e32 v108, v108, v133
	buffer_load_dword v133, off, s[0:3], 0 offset:284
	v_add_f32_e32 v108, v108, v135
	v_add_f32_e32 v135, v109, v138
	;; [unrolled: 1-line block ×3, first 2 shown]
	s_waitcnt vmcnt(15)
	v_mul_f32_e32 v132, v115, v130
	v_mul_f32_e32 v110, v116, v130
	buffer_load_dword v130, off, s[0:3], 0 offset:276
	s_waitcnt vmcnt(12)
	v_fmac_f32_e32 v132, v116, v143
	v_add_f32_e32 v116, v108, v158
	v_fma_f32 v115, v115, v143, -v110
	ds_read_b128 v[108:111], v1 offset:640
	v_add_f32_e32 v116, v116, v134
	s_clause 0x3
	buffer_load_dword v134, off, s[0:3], 0 offset:304
	buffer_load_dword v135, off, s[0:3], 0 offset:296
	;; [unrolled: 1-line block ×4, first 2 shown]
	s_waitcnt vmcnt(15) lgkmcnt(1)
	v_mul_f32_e32 v136, v2, v149
	v_mul_f32_e32 v137, v3, v149
	v_fmac_f32_e32 v136, v3, v141
	v_fma_f32 v137, v2, v141, -v137
	v_add_f32_e32 v2, v116, v140
	s_clause 0x1
	buffer_load_dword v140, off, s[0:3], 0 offset:292
	buffer_load_dword v141, off, s[0:3], 0 offset:300
	v_add_f32_e32 v3, v128, v129
	buffer_load_dword v128, off, s[0:3], 0 offset:308
	v_add_f32_e32 v2, v2, v142
	v_add_f32_e32 v3, v3, v145
	;; [unrolled: 1-line block ×3, first 2 shown]
	s_waitcnt vmcnt(17)
	v_mul_f32_e32 v116, v4, v126
	v_add_f32_e32 v148, v3, v148
	v_mul_f32_e32 v126, v5, v126
	v_add_f32_e32 v129, v129, v147
	s_waitcnt vmcnt(16) lgkmcnt(0)
	v_mul_f32_e32 v147, v108, v127
	v_add_f32_e32 v8, v148, v8
	v_mul_f32_e32 v127, v109, v127
	v_fmac_f32_e32 v116, v5, v139
	v_add_f32_e32 v129, v129, v146
	v_fma_f32 v126, v4, v139, -v126
	s_clause 0x3
	buffer_load_dword v139, off, s[0:3], 0 offset:316
	buffer_load_dword v142, off, s[0:3], 0 offset:324
	;; [unrolled: 1-line block ×4, first 2 shown]
	ds_read_b128 v[2:5], v1 offset:656
	v_add_f32_e32 v8, v8, v150
	s_waitcnt vmcnt(19)
	v_mul_f32_e32 v148, v110, v161
	v_mul_f32_e32 v146, v111, v161
	v_fma_f32 v127, v108, v131, -v127
	v_add_f32_e32 v108, v129, v159
	v_add_f32_e32 v8, v8, v124
	v_fmac_f32_e32 v147, v109, v131
	s_clause 0x3
	buffer_load_dword v129, off, s[0:3], 0 offset:348
	buffer_load_dword v131, off, s[0:3], 0 offset:356
	;; [unrolled: 1-line block ×4, first 2 shown]
	v_add_f32_e32 v108, v108, v151
	v_add_f32_e32 v8, v8, v125
	s_waitcnt vmcnt(19)
	v_fmac_f32_e32 v148, v111, v123
	v_fma_f32 v123, v110, v123, -v146
	s_clause 0x5
	buffer_load_dword v146, off, s[0:3], 0 offset:380
	buffer_load_dword v124, off, s[0:3], 0 offset:336
	buffer_load_dword v151, off, s[0:3], 0 offset:328
	buffer_load_dword v154, off, s[0:3], 0 offset:320
	buffer_load_dword v157, off, s[0:3], 0 offset:312
	buffer_load_dword v158, off, s[0:3], 0 offset:388
	v_add_f32_e32 v125, v108, v152
	v_add_f32_e32 v8, v8, v117
	ds_read_b128 v[108:111], v1 offset:672
	s_waitcnt vmcnt(24) lgkmcnt(1)
	v_mul_f32_e32 v152, v3, v162
	v_add_f32_e32 v117, v125, v153
	v_mul_f32_e32 v125, v2, v162
	v_add_f32_e32 v8, v8, v118
	v_fmac_f32_e32 v125, v3, v122
	v_fma_f32 v122, v2, v122, -v152
	v_add_f32_e32 v3, v8, v7
	s_clause 0x3
	buffer_load_dword v8, off, s[0:3], 0 offset:368
	buffer_load_dword v152, off, s[0:3], 0 offset:360
	;; [unrolled: 1-line block ×4, first 2 shown]
	v_add_f32_e32 v2, v117, v160
	s_clause 0x2
	buffer_load_dword v160, off, s[0:3], 0 offset:384
	buffer_load_dword v161, off, s[0:3], 0 offset:376
	;; [unrolled: 1-line block ×3, first 2 shown]
	v_add_f32_e32 v3, v3, v6
	s_waitcnt vmcnt(30)
	v_mul_f32_e32 v163, v4, v114
	v_add_f32_e32 v2, v2, v119
	v_add_f32_e32 v6, v3, v113
	v_mul_f32_e32 v3, v5, v114
	v_add_f32_e32 v2, v2, v112
	v_fmac_f32_e32 v163, v5, v121
	s_waitcnt vmcnt(29) lgkmcnt(0)
	v_mul_f32_e32 v118, v111, v133
	v_add_f32_e32 v6, v6, v115
	ds_read_b128 v[112:115], v1 offset:704
	v_add_f32_e32 v7, v2, v156
	v_fma_f32 v156, v4, v121, -v3
	ds_read_b128 v[2:5], v1 offset:688
	v_add_f32_e32 v6, v6, v137
	v_add_f32_e32 v7, v7, v132
	;; [unrolled: 1-line block ×9, first 2 shown]
	s_waitcnt vmcnt(28)
	v_mul_f32_e32 v132, v108, v130
	v_mul_f32_e32 v117, v109, v130
	;; [unrolled: 1-line block ×3, first 2 shown]
	v_fmac_f32_e32 v132, v109, v120
	v_fma_f32 v133, v108, v120, -v117
	s_waitcnt vmcnt(24)
	v_fma_f32 v126, v110, v143, -v118
	v_fmac_f32_e32 v130, v111, v143
	ds_read_b128 v[108:111], v1 offset:720
	ds_read_b128 v[116:119], v1 offset:736
	s_waitcnt vmcnt(23) lgkmcnt(2)
	v_mul_f32_e32 v127, v2, v140
	v_mul_f32_e32 v120, v3, v140
	s_waitcnt vmcnt(22)
	v_mul_f32_e32 v136, v4, v141
	v_mul_f32_e32 v137, v5, v141
	s_waitcnt vmcnt(21)
	v_mul_f32_e32 v140, v112, v128
	v_fmac_f32_e32 v127, v3, v138
	v_fma_f32 v138, v2, v138, -v120
	v_add_f32_e32 v2, v7, v148
	v_fmac_f32_e32 v136, v5, v135
	v_fma_f32 v135, v4, v135, -v137
	v_add_f32_e32 v137, v6, v156
	v_mul_f32_e32 v128, v113, v128
	v_add_f32_e32 v125, v2, v125
	v_fmac_f32_e32 v140, v113, v134
	ds_read_b128 v[120:123], v1 offset:752
	ds_read_b128 v[2:5], v1 offset:768
	v_add_f32_e32 v133, v137, v133
	v_add_f32_e32 v125, v125, v163
	v_fma_f32 v112, v112, v134, -v128
	s_waitcnt vmcnt(20)
	v_mul_f32_e32 v137, v115, v139
	v_mul_f32_e32 v141, v114, v139
	v_add_f32_e32 v126, v133, v126
	v_add_f32_e32 v125, v125, v132
	s_waitcnt vmcnt(19) lgkmcnt(3)
	v_mul_f32_e32 v132, v108, v142
	v_mul_f32_e32 v134, v109, v142
	s_waitcnt vmcnt(18)
	v_mul_f32_e32 v133, v110, v144
	v_add_f32_e32 v126, v126, v138
	v_add_f32_e32 v125, v125, v130
	s_waitcnt vmcnt(17) lgkmcnt(2)
	v_mul_f32_e32 v139, v116, v145
	s_waitcnt vmcnt(16)
	v_mul_f32_e32 v130, v118, v129
	ds_read_b64 v[6:7], v1 offset:784
	v_add_f32_e32 v126, v126, v135
	v_add_f32_e32 v125, v125, v127
	s_waitcnt vmcnt(15) lgkmcnt(2)
	v_mul_f32_e32 v138, v120, v131
	s_waitcnt vmcnt(11)
	v_fmac_f32_e32 v139, v117, v124
	v_add_f32_e32 v112, v126, v112
	v_add_f32_e32 v125, v125, v136
	s_waitcnt vmcnt(8)
	v_fma_f32 v114, v114, v157, -v137
	v_fmac_f32_e32 v141, v115, v157
	v_fmac_f32_e32 v132, v109, v154
	v_fma_f32 v108, v108, v154, -v134
	v_add_f32_e32 v115, v125, v140
	v_mul_f32_e32 v125, v111, v144
	v_add_f32_e32 v109, v112, v114
	v_mul_f32_e32 v114, v117, v145
	v_fmac_f32_e32 v133, v111, v151
	v_add_f32_e32 v112, v115, v141
	v_fma_f32 v110, v110, v151, -v125
	v_add_f32_e32 v108, v109, v108
	v_mul_f32_e32 v111, v119, v129
	v_mul_f32_e32 v113, v122, v149
	v_add_f32_e32 v109, v112, v132
	v_fma_f32 v112, v116, v124, -v114
	v_add_f32_e32 v108, v108, v110
	v_mul_f32_e32 v110, v121, v131
	s_waitcnt vmcnt(3)
	v_fma_f32 v111, v118, v159, -v111
	v_add_f32_e32 v109, v109, v133
	v_fmac_f32_e32 v130, v119, v159
	v_add_f32_e32 v108, v108, v112
	v_mul_f32_e32 v112, v123, v149
	v_fma_f32 v110, v120, v153, -v110
	v_add_f32_e32 v109, v109, v139
	v_fmac_f32_e32 v138, v121, v153
	v_add_f32_e32 v108, v108, v111
	s_waitcnt lgkmcnt(1)
	v_mul_f32_e32 v127, v2, v150
	v_mul_f32_e32 v111, v3, v150
	v_add_f32_e32 v109, v109, v130
	v_fma_f32 v112, v122, v152, -v112
	v_add_f32_e32 v108, v108, v110
	v_fmac_f32_e32 v113, v123, v152
	v_mul_f32_e32 v110, v5, v146
	v_add_f32_e32 v109, v109, v138
	v_fmac_f32_e32 v127, v3, v8
	v_fma_f32 v2, v2, v8, -v111
	v_add_f32_e32 v3, v108, v112
	v_mul_f32_e32 v128, v4, v146
	v_add_f32_e32 v8, v109, v113
	s_waitcnt lgkmcnt(0)
	v_mul_f32_e32 v108, v7, v158
	s_waitcnt vmcnt(1)
	v_fma_f32 v4, v4, v161, -v110
	v_add_f32_e32 v2, v3, v2
	v_mul_f32_e32 v135, v6, v158
	v_fmac_f32_e32 v128, v5, v161
	v_add_f32_e32 v3, v8, v127
	v_fma_f32 v5, v6, v160, -v108
	v_add_f32_e32 v2, v2, v4
	v_fmac_f32_e32 v135, v7, v160
	v_add_f32_e32 v3, v3, v128
	v_add_f32_e32 v2, v2, v5
	;; [unrolled: 1-line block ×3, first 2 shown]
	s_waitcnt vmcnt(0)
	v_sub_f32_e32 v2, v162, v2
	v_sub_f32_e32 v3, v155, v3
	buffer_store_dword v2, off, s[0:3], 0 offset:56
	buffer_store_dword v3, off, s[0:3], 0 offset:60
	v_cmpx_lt_u32_e32 6, v0
	s_cbranch_execz .LBB112_295
; %bb.294:
	s_clause 0x1
	buffer_load_dword v2, off, s[0:3], 0 offset:48
	buffer_load_dword v3, off, s[0:3], 0 offset:52
	buffer_store_dword v1, off, s[0:3], 0 offset:48
	buffer_store_dword v1, off, s[0:3], 0 offset:52
	s_waitcnt vmcnt(0)
	ds_write_b64 v107, v[2:3]
.LBB112_295:
	s_or_b32 exec_lo, exec_lo, s4
	s_waitcnt lgkmcnt(0)
	s_waitcnt_vscnt null, 0x0
	s_barrier
	buffer_gl0_inv
	s_clause 0x24
	buffer_load_dword v136, off, s[0:3], 0 offset:60
	buffer_load_dword v2, off, s[0:3], 0 offset:68
	;; [unrolled: 1-line block ×37, first 2 shown]
	ds_read2_b64 v[120:123], v1 offset0:57 offset1:58
	ds_read2_b64 v[124:127], v1 offset0:59 offset1:60
	;; [unrolled: 1-line block ×3, first 2 shown]
	s_clause 0x1
	buffer_load_dword v154, off, s[0:3], 0 offset:204
	buffer_load_dword v155, off, s[0:3], 0 offset:212
	ds_read2_b64 v[132:135], v1 offset0:63 offset1:64
	buffer_load_dword v157, off, s[0:3], 0 offset:52
	s_mov_b32 s4, exec_lo
	s_waitcnt vmcnt(39) lgkmcnt(3)
	v_mul_f32_e32 v156, v121, v136
	v_mul_f32_e32 v136, v120, v136
	s_waitcnt vmcnt(38)
	v_mul_f32_e32 v158, v122, v2
	v_mul_f32_e32 v2, v123, v2
	s_waitcnt vmcnt(35)
	v_fma_f32 v156, v120, v139, -v156
	v_fmac_f32_e32 v136, v121, v139
	v_fmac_f32_e32 v158, v123, v138
	v_fma_f32 v2, v122, v138, -v2
	s_waitcnt vmcnt(33) lgkmcnt(2)
	v_mul_f32_e32 v138, v126, v141
	v_mul_f32_e32 v121, v127, v141
	;; [unrolled: 1-line block ×4, first 2 shown]
	s_waitcnt vmcnt(32) lgkmcnt(1)
	v_mul_f32_e32 v140, v128, v142
	v_mul_f32_e32 v141, v129, v142
	s_waitcnt vmcnt(28)
	v_fmac_f32_e32 v138, v127, v145
	v_fma_f32 v142, v126, v145, -v121
	s_waitcnt vmcnt(27)
	v_mul_f32_e32 v145, v130, v146
	v_mul_f32_e32 v146, v131, v146
	v_fmac_f32_e32 v139, v125, v137
	v_fma_f32 v137, v124, v137, -v120
	ds_read2_b64 v[120:123], v1 offset0:65 offset1:66
	ds_read2_b64 v[124:127], v1 offset0:67 offset1:68
	v_fmac_f32_e32 v140, v129, v144
	v_fma_f32 v141, v128, v144, -v141
	s_waitcnt vmcnt(26) lgkmcnt(2)
	v_mul_f32_e32 v144, v132, v147
	v_mul_f32_e32 v128, v133, v147
	v_fmac_f32_e32 v145, v131, v143
	v_fma_f32 v143, v130, v143, -v146
	s_waitcnt vmcnt(25)
	v_mul_f32_e32 v146, v134, v148
	v_mul_f32_e32 v129, v135, v148
	s_clause 0x3
	buffer_load_dword v147, off, s[0:3], 0 offset:232
	buffer_load_dword v148, off, s[0:3], 0 offset:224
	buffer_load_dword v159, off, s[0:3], 0 offset:216
	buffer_load_dword v160, off, s[0:3], 0 offset:208
	v_fmac_f32_e32 v144, v133, v110
	v_fma_f32 v132, v132, v110, -v128
	s_waitcnt vmcnt(25)
	v_fmac_f32_e32 v146, v135, v149
	v_fma_f32 v133, v134, v149, -v129
	ds_read2_b64 v[128:131], v1 offset0:69 offset1:70
	s_clause 0x1
	buffer_load_dword v161, off, s[0:3], 0 offset:220
	buffer_load_dword v162, off, s[0:3], 0 offset:228
	s_waitcnt vmcnt(26) lgkmcnt(2)
	v_mul_f32_e32 v134, v120, v150
	v_mul_f32_e32 v110, v121, v150
	s_waitcnt vmcnt(25)
	v_mul_f32_e32 v135, v122, v151
	v_mul_f32_e32 v149, v123, v151
	s_waitcnt vmcnt(24) lgkmcnt(1)
	v_mul_f32_e32 v151, v124, v152
	v_fmac_f32_e32 v134, v121, v117
	v_fma_f32 v150, v120, v117, -v110
	v_fmac_f32_e32 v135, v123, v111
	v_fma_f32 v149, v122, v111, -v149
	ds_read2_b64 v[120:123], v1 offset0:71 offset1:72
	v_mul_f32_e32 v110, v125, v152
	s_waitcnt vmcnt(23)
	v_mul_f32_e32 v111, v127, v116
	v_mul_f32_e32 v152, v126, v116
	v_fmac_f32_e32 v151, v125, v6
	v_fma_f32 v6, v124, v6, -v110
	s_waitcnt vmcnt(19)
	v_fma_f32 v124, v126, v153, -v111
	s_waitcnt vmcnt(18) lgkmcnt(1)
	v_mul_f32_e32 v125, v128, v119
	v_mul_f32_e32 v110, v129, v119
	s_waitcnt vmcnt(17)
	v_mul_f32_e32 v126, v130, v118
	v_mul_f32_e32 v111, v131, v118
	ds_read2_b64 v[116:119], v1 offset0:73 offset1:74
	v_fmac_f32_e32 v152, v127, v153
	v_fmac_f32_e32 v125, v129, v112
	buffer_load_dword v127, off, s[0:3], 0 offset:236
	v_fma_f32 v112, v128, v112, -v110
	v_fmac_f32_e32 v126, v131, v8
	v_fma_f32 v8, v130, v8, -v111
	s_waitcnt vmcnt(16) lgkmcnt(1)
	v_mul_f32_e32 v129, v122, v108
	v_mul_f32_e32 v108, v123, v108
	;; [unrolled: 1-line block ×4, first 2 shown]
	s_waitcnt vmcnt(12)
	v_fmac_f32_e32 v129, v123, v115
	v_fma_f32 v115, v122, v115, -v108
	buffer_load_dword v122, off, s[0:3], 0 offset:244
	v_fmac_f32_e32 v128, v121, v4
	v_fma_f32 v120, v120, v4, -v109
	ds_read2_b64 v[108:111], v1 offset0:75 offset1:76
	s_waitcnt vmcnt(12) lgkmcnt(1)
	v_mul_f32_e32 v121, v116, v114
	v_mul_f32_e32 v4, v117, v114
	s_waitcnt vmcnt(11)
	v_mul_f32_e32 v114, v118, v113
	v_mul_f32_e32 v113, v119, v113
	v_fmac_f32_e32 v121, v117, v7
	v_fma_f32 v7, v116, v7, -v4
	v_fmac_f32_e32 v114, v119, v5
	v_fma_f32 v113, v118, v5, -v113
	s_clause 0x4
	buffer_load_dword v116, off, s[0:3], 0 offset:264
	buffer_load_dword v117, off, s[0:3], 0 offset:256
	;; [unrolled: 1-line block ×5, first 2 shown]
	v_add_f32_e32 v4, 0, v156
	v_add_f32_e32 v5, 0, v136
	s_clause 0x1
	buffer_load_dword v130, off, s[0:3], 0 offset:260
	buffer_load_dword v131, off, s[0:3], 0 offset:268
	v_add_f32_e32 v2, v4, v2
	v_add_f32_e32 v4, v5, v158
	s_waitcnt vmcnt(17) lgkmcnt(0)
	v_mul_f32_e32 v136, v108, v154
	v_mul_f32_e32 v5, v109, v154
	v_add_f32_e32 v2, v2, v137
	v_add_f32_e32 v4, v4, v139
	s_waitcnt vmcnt(16)
	v_mul_f32_e32 v139, v111, v155
	v_fmac_f32_e32 v136, v109, v3
	v_fma_f32 v153, v108, v3, -v5
	v_add_f32_e32 v108, v2, v142
	v_add_f32_e32 v109, v4, v138
	ds_read2_b64 v[2:5], v1 offset0:77 offset1:78
	v_mul_f32_e32 v137, v110, v155
	v_add_f32_e32 v108, v108, v141
	v_add_f32_e32 v109, v109, v140
	;; [unrolled: 1-line block ×10, first 2 shown]
	s_waitcnt vmcnt(11)
	v_fma_f32 v138, v110, v160, -v139
	s_clause 0x7
	buffer_load_dword v139, off, s[0:3], 0 offset:276
	buffer_load_dword v140, off, s[0:3], 0 offset:296
	;; [unrolled: 1-line block ×8, first 2 shown]
	v_fmac_f32_e32 v137, v111, v160
	ds_read2_b64 v[108:111], v1 offset0:79 offset1:80
	s_waitcnt vmcnt(18) lgkmcnt(1)
	v_mul_f32_e32 v146, v2, v161
	v_mul_f32_e32 v155, v3, v161
	s_waitcnt vmcnt(17)
	v_mul_f32_e32 v145, v4, v162
	v_mul_f32_e32 v150, v5, v162
	v_fmac_f32_e32 v146, v3, v159
	v_add_f32_e32 v3, v133, v149
	v_add_f32_e32 v133, v134, v135
	v_fma_f32 v134, v2, v159, -v155
	v_fmac_f32_e32 v145, v5, v148
	v_fma_f32 v135, v4, v148, -v150
	v_add_f32_e32 v2, v3, v6
	v_add_f32_e32 v3, v133, v151
	s_clause 0x7
	buffer_load_dword v6, off, s[0:3], 0 offset:308
	buffer_load_dword v133, off, s[0:3], 0 offset:316
	;; [unrolled: 1-line block ×8, first 2 shown]
	v_add_f32_e32 v2, v2, v124
	v_add_f32_e32 v3, v3, v152
	s_clause 0x3
	buffer_load_dword v152, off, s[0:3], 0 offset:340
	buffer_load_dword v159, off, s[0:3], 0 offset:348
	;; [unrolled: 1-line block ×4, first 2 shown]
	v_add_f32_e32 v2, v2, v112
	v_add_f32_e32 v8, v2, v8
	s_waitcnt vmcnt(28) lgkmcnt(0)
	v_mul_f32_e32 v4, v109, v127
	v_mul_f32_e32 v158, v108, v127
	v_add_f32_e32 v8, v8, v120
	v_fma_f32 v124, v108, v147, -v4
	v_add_f32_e32 v108, v3, v125
	v_fmac_f32_e32 v158, v109, v147
	s_clause 0x2
	buffer_load_dword v147, off, s[0:3], 0 offset:372
	buffer_load_dword v162, off, s[0:3], 0 offset:380
	buffer_load_dword v163, off, s[0:3], 0 offset:388
	v_add_f32_e32 v8, v8, v115
	v_add_f32_e32 v108, v108, v126
	s_waitcnt vmcnt(30)
	v_mul_f32_e32 v3, v111, v122
	v_mul_f32_e32 v125, v110, v122
	v_add_f32_e32 v7, v8, v7
	v_add_f32_e32 v108, v108, v128
	;; [unrolled: 1-line block ×4, first 2 shown]
	s_waitcnt vmcnt(26)
	v_fma_f32 v122, v110, v119, -v3
	ds_read2_b64 v[2:5], v1 offset0:81 offset1:82
	s_clause 0x3
	buffer_load_dword v128, off, s[0:3], 0 offset:360
	buffer_load_dword v164, off, s[0:3], 0 offset:352
	;; [unrolled: 1-line block ×4, first 2 shown]
	v_add_f32_e32 v8, v108, v121
	v_fmac_f32_e32 v125, v111, v119
	ds_read2_b64 v[108:111], v1 offset0:83 offset1:84
	s_waitcnt vmcnt(29) lgkmcnt(1)
	v_mul_f32_e32 v120, v2, v123
	v_mul_f32_e32 v112, v3, v123
	s_waitcnt vmcnt(28)
	v_mul_f32_e32 v126, v4, v130
	s_waitcnt vmcnt(27) lgkmcnt(0)
	v_mul_f32_e32 v119, v109, v131
	v_fmac_f32_e32 v120, v3, v118
	v_fma_f32 v121, v2, v118, -v112
	v_add_f32_e32 v2, v8, v114
	v_add_f32_e32 v3, v7, v153
	s_clause 0x2
	buffer_load_dword v7, off, s[0:3], 0 offset:384
	buffer_load_dword v8, off, s[0:3], 0 offset:376
	;; [unrolled: 1-line block ×3, first 2 shown]
	v_mul_f32_e32 v112, v5, v130
	v_fmac_f32_e32 v126, v5, v117
	v_add_f32_e32 v2, v2, v136
	buffer_load_dword v136, off, s[0:3], 0 offset:48
	v_add_f32_e32 v3, v3, v138
	v_fma_f32 v123, v4, v117, -v112
	v_mul_f32_e32 v130, v108, v131
	v_add_f32_e32 v113, v2, v137
	v_add_f32_e32 v117, v3, v134
	ds_read2_b64 v[2:5], v1 offset0:85 offset1:86
	v_fma_f32 v134, v108, v116, -v119
	v_add_f32_e32 v118, v113, v146
	ds_read2_b64 v[112:115], v1 offset0:87 offset1:88
	v_add_f32_e32 v117, v117, v135
	v_fmac_f32_e32 v130, v109, v116
	v_add_f32_e32 v118, v118, v145
	v_add_f32_e32 v124, v117, v124
	;; [unrolled: 1-line block ×4, first 2 shown]
	s_waitcnt vmcnt(30)
	v_mul_f32_e32 v127, v111, v139
	v_mul_f32_e32 v131, v110, v139
	s_waitcnt vmcnt(25) lgkmcnt(1)
	v_mul_f32_e32 v137, v2, v132
	v_mul_f32_e32 v124, v3, v132
	v_fma_f32 v135, v110, v154, -v127
	v_add_f32_e32 v127, v118, v158
	s_waitcnt vmcnt(23) lgkmcnt(0)
	v_mul_f32_e32 v138, v112, v144
	v_fmac_f32_e32 v137, v3, v142
	v_fma_f32 v142, v2, v142, -v124
	v_mul_f32_e32 v132, v4, v143
	v_add_f32_e32 v125, v127, v125
	v_mul_f32_e32 v127, v5, v143
	v_mul_f32_e32 v139, v113, v144
	v_fmac_f32_e32 v138, v113, v140
	v_fmac_f32_e32 v131, v111, v154
	v_add_f32_e32 v124, v125, v120
	v_add_f32_e32 v125, v121, v123
	ds_read2_b64 v[108:111], v1 offset0:89 offset1:90
	ds_read2_b64 v[116:119], v1 offset0:91 offset1:92
	v_fmac_f32_e32 v132, v5, v141
	v_fma_f32 v141, v4, v141, -v127
	v_add_f32_e32 v143, v124, v126
	v_add_f32_e32 v113, v125, v134
	ds_read2_b64 v[2:5], v1 offset0:93 offset1:94
	ds_read2_b64 v[120:123], v1 offset0:95 offset1:96
	;; [unrolled: 1-line block ×3, first 2 shown]
	v_fma_f32 v112, v112, v140, -v139
	v_add_f32_e32 v1, v143, v130
	v_add_f32_e32 v113, v113, v135
	s_waitcnt vmcnt(22)
	v_mul_f32_e32 v130, v114, v6
	v_mul_f32_e32 v6, v115, v6
	v_add_f32_e32 v1, v1, v131
	v_add_f32_e32 v113, v113, v142
	s_waitcnt vmcnt(15)
	v_fmac_f32_e32 v130, v115, v156
	v_fma_f32 v6, v114, v156, -v6
	v_add_f32_e32 v1, v1, v137
	v_add_f32_e32 v113, v113, v141
	s_waitcnt lgkmcnt(4)
	v_mul_f32_e32 v134, v108, v133
	v_mul_f32_e32 v133, v109, v133
	;; [unrolled: 1-line block ×3, first 2 shown]
	v_add_f32_e32 v1, v1, v132
	v_add_f32_e32 v112, v113, v112
	v_mul_f32_e32 v132, v111, v148
	v_fma_f32 v108, v108, v155, -v133
	v_fmac_f32_e32 v134, v109, v155
	v_add_f32_e32 v1, v1, v138
	v_add_f32_e32 v6, v112, v6
	s_waitcnt lgkmcnt(3)
	v_mul_f32_e32 v109, v117, v149
	v_fma_f32 v110, v110, v151, -v132
	v_mul_f32_e32 v114, v116, v149
	v_add_f32_e32 v1, v1, v130
	v_add_f32_e32 v6, v6, v108
	v_fmac_f32_e32 v131, v111, v151
	s_waitcnt vmcnt(14)
	v_mul_f32_e32 v108, v119, v152
	v_fma_f32 v109, v116, v150, -v109
	v_add_f32_e32 v1, v1, v134
	v_add_f32_e32 v6, v6, v110
	v_mul_f32_e32 v115, v118, v152
	v_fmac_f32_e32 v114, v117, v150
	s_waitcnt vmcnt(13) lgkmcnt(2)
	v_mul_f32_e32 v135, v2, v159
	v_add_f32_e32 v1, v1, v131
	v_mul_f32_e32 v110, v3, v159
	v_add_f32_e32 v6, v6, v109
	s_waitcnt vmcnt(4)
	v_fma_f32 v108, v118, v166, -v108
	v_fmac_f32_e32 v115, v119, v166
	v_add_f32_e32 v1, v1, v114
	v_mul_f32_e32 v109, v5, v160
	v_fmac_f32_e32 v135, v3, v165
	v_fma_f32 v2, v2, v165, -v110
	v_add_f32_e32 v3, v6, v108
	v_mul_f32_e32 v137, v4, v160
	v_add_f32_e32 v1, v1, v115
	s_waitcnt lgkmcnt(1)
	v_mul_f32_e32 v6, v121, v161
	v_fma_f32 v4, v4, v164, -v109
	v_add_f32_e32 v2, v3, v2
	v_mul_f32_e32 v139, v120, v161
	v_fmac_f32_e32 v137, v5, v164
	v_add_f32_e32 v1, v1, v135
	v_mul_f32_e32 v3, v123, v147
	v_fma_f32 v5, v120, v128, -v6
	v_add_f32_e32 v2, v2, v4
	v_mul_f32_e32 v140, v122, v147
	v_fmac_f32_e32 v139, v121, v128
	v_add_f32_e32 v1, v1, v137
	s_waitcnt lgkmcnt(0)
	v_mul_f32_e32 v4, v125, v162
	v_add_f32_e32 v2, v2, v5
	v_mul_f32_e32 v141, v124, v162
	v_mul_f32_e32 v5, v127, v163
	v_add_f32_e32 v1, v1, v139
	v_mul_f32_e32 v113, v126, v163
	s_waitcnt vmcnt(2)
	v_fma_f32 v4, v124, v8, -v4
	s_waitcnt vmcnt(1)
	v_fma_f32 v3, v122, v129, -v3
	v_fmac_f32_e32 v140, v123, v129
	v_fmac_f32_e32 v141, v125, v8
	;; [unrolled: 1-line block ×3, first 2 shown]
	v_add_f32_e32 v2, v2, v3
	v_add_f32_e32 v1, v1, v140
	v_fma_f32 v3, v126, v7, -v5
	v_add_f32_e32 v2, v2, v4
	v_add_f32_e32 v1, v1, v141
	;; [unrolled: 1-line block ×4, first 2 shown]
	s_waitcnt vmcnt(0)
	v_sub_f32_e32 v2, v136, v2
	v_sub_f32_e32 v1, v157, v1
	buffer_store_dword v2, off, s[0:3], 0 offset:48
	buffer_store_dword v1, off, s[0:3], 0 offset:52
	v_cmpx_lt_u32_e32 5, v0
	s_cbranch_execz .LBB112_297
; %bb.296:
	s_clause 0x1
	buffer_load_dword v1, off, s[0:3], 0 offset:40
	buffer_load_dword v2, off, s[0:3], 0 offset:44
	v_mov_b32_e32 v3, 0
	buffer_store_dword v3, off, s[0:3], 0 offset:40
	buffer_store_dword v3, off, s[0:3], 0 offset:44
	s_waitcnt vmcnt(0)
	ds_write_b64 v107, v[1:2]
.LBB112_297:
	s_or_b32 exec_lo, exec_lo, s4
	s_waitcnt lgkmcnt(0)
	s_waitcnt_vscnt null, 0x0
	s_barrier
	buffer_gl0_inv
	s_clause 0x2c
	buffer_load_dword v146, off, s[0:3], 0 offset:52
	buffer_load_dword v147, off, s[0:3], 0 offset:60
	buffer_load_dword v117, off, s[0:3], 0 offset:64
	buffer_load_dword v131, off, s[0:3], 0 offset:56
	buffer_load_dword v135, off, s[0:3], 0 offset:48
	buffer_load_dword v130, off, s[0:3], 0 offset:68
	buffer_load_dword v128, off, s[0:3], 0 offset:76
	buffer_load_dword v8, off, s[0:3], 0 offset:96
	buffer_load_dword v120, off, s[0:3], 0 offset:88
	buffer_load_dword v125, off, s[0:3], 0 offset:80
	buffer_load_dword v136, off, s[0:3], 0 offset:72
	buffer_load_dword v134, off, s[0:3], 0 offset:84
	buffer_load_dword v133, off, s[0:3], 0 offset:92
	buffer_load_dword v124, off, s[0:3], 0 offset:100
	buffer_load_dword v122, off, s[0:3], 0 offset:108
	buffer_load_dword v4, off, s[0:3], 0 offset:128
	buffer_load_dword v112, off, s[0:3], 0 offset:120
	buffer_load_dword v118, off, s[0:3], 0 offset:112
	buffer_load_dword v132, off, s[0:3], 0 offset:104
	buffer_load_dword v129, off, s[0:3], 0 offset:116
	buffer_load_dword v127, off, s[0:3], 0 offset:124
	buffer_load_dword v116, off, s[0:3], 0 offset:132
	buffer_load_dword v114, off, s[0:3], 0 offset:140
	buffer_load_dword v3, off, s[0:3], 0 offset:160
	buffer_load_dword v108, off, s[0:3], 0 offset:152
	buffer_load_dword v111, off, s[0:3], 0 offset:144
	buffer_load_dword v126, off, s[0:3], 0 offset:136
	buffer_load_dword v123, off, s[0:3], 0 offset:148
	buffer_load_dword v121, off, s[0:3], 0 offset:156
	buffer_load_dword v110, off, s[0:3], 0 offset:164
	buffer_load_dword v109, off, s[0:3], 0 offset:172
	buffer_load_dword v2, off, s[0:3], 0 offset:192
	buffer_load_dword v5, off, s[0:3], 0 offset:184
	buffer_load_dword v7, off, s[0:3], 0 offset:176
	buffer_load_dword v119, off, s[0:3], 0 offset:168
	buffer_load_dword v115, off, s[0:3], 0 offset:180
	buffer_load_dword v113, off, s[0:3], 0 offset:188
	buffer_load_dword v6, off, s[0:3], 0 offset:196
	buffer_load_dword v137, off, s[0:3], 0 offset:204
	buffer_load_dword v148, off, s[0:3], 0 offset:224
	buffer_load_dword v149, off, s[0:3], 0 offset:216
	buffer_load_dword v150, off, s[0:3], 0 offset:208
	buffer_load_dword v151, off, s[0:3], 0 offset:200
	buffer_load_dword v152, off, s[0:3], 0 offset:212
	buffer_load_dword v153, off, s[0:3], 0 offset:220
	v_mov_b32_e32 v1, 0
	ds_read_b128 v[138:141], v1 offset:448
	ds_read_b128 v[142:145], v1 offset:464
	buffer_load_dword v156, off, s[0:3], 0 offset:44
	s_mov_b32 s4, exec_lo
	s_waitcnt vmcnt(45) lgkmcnt(1)
	v_mul_f32_e32 v154, v139, v146
	v_mul_f32_e32 v146, v138, v146
	s_waitcnt vmcnt(44)
	v_mul_f32_e32 v155, v140, v147
	v_mul_f32_e32 v147, v141, v147
	s_waitcnt vmcnt(41)
	v_fma_f32 v154, v138, v135, -v154
	v_fmac_f32_e32 v146, v139, v135
	v_fmac_f32_e32 v155, v141, v131
	v_fma_f32 v147, v140, v131, -v147
	ds_read_b128 v[138:141], v1 offset:480
	s_waitcnt vmcnt(40) lgkmcnt(1)
	v_mul_f32_e32 v157, v142, v130
	v_mul_f32_e32 v130, v143, v130
	s_waitcnt vmcnt(39)
	v_mul_f32_e32 v158, v144, v128
	v_mul_f32_e32 v128, v145, v128
	v_fmac_f32_e32 v157, v143, v117
	v_fma_f32 v117, v142, v117, -v130
	s_waitcnt vmcnt(35)
	v_fmac_f32_e32 v158, v145, v136
	v_fma_f32 v159, v144, v136, -v128
	ds_read_b128 v[142:145], v1 offset:496
	s_waitcnt vmcnt(34) lgkmcnt(1)
	v_mul_f32_e32 v160, v138, v134
	v_mul_f32_e32 v128, v139, v134
	s_waitcnt vmcnt(33)
	v_mul_f32_e32 v161, v140, v133
	v_mul_f32_e32 v130, v141, v133
	ds_read_b128 v[133:136], v1 offset:512
	v_fmac_f32_e32 v160, v139, v125
	v_fma_f32 v125, v138, v125, -v128
	v_fmac_f32_e32 v161, v141, v120
	v_fma_f32 v162, v140, v120, -v130
	ds_read_b128 v[138:141], v1 offset:528
	s_waitcnt vmcnt(32) lgkmcnt(2)
	v_mul_f32_e32 v163, v142, v124
	v_mul_f32_e32 v120, v143, v124
	s_waitcnt vmcnt(31)
	v_mul_f32_e32 v124, v144, v122
	v_mul_f32_e32 v122, v145, v122
	v_fmac_f32_e32 v163, v143, v8
	v_fma_f32 v8, v142, v8, -v120
	s_waitcnt vmcnt(27)
	v_fmac_f32_e32 v124, v145, v132
	v_fma_f32 v142, v144, v132, -v122
	s_waitcnt vmcnt(26) lgkmcnt(1)
	v_mul_f32_e32 v143, v133, v129
	v_mul_f32_e32 v120, v134, v129
	s_waitcnt vmcnt(25)
	v_mul_f32_e32 v144, v135, v127
	v_mul_f32_e32 v122, v136, v127
	ds_read_b128 v[127:130], v1 offset:544
	v_fmac_f32_e32 v143, v134, v118
	v_fma_f32 v118, v133, v118, -v120
	ds_read_b128 v[131:134], v1 offset:560
	v_fmac_f32_e32 v144, v136, v112
	v_fma_f32 v135, v135, v112, -v122
	s_waitcnt vmcnt(24) lgkmcnt(2)
	v_mul_f32_e32 v136, v138, v116
	v_mul_f32_e32 v112, v139, v116
	s_waitcnt vmcnt(23)
	v_mul_f32_e32 v116, v140, v114
	v_mul_f32_e32 v114, v141, v114
	v_fmac_f32_e32 v136, v139, v4
	v_fma_f32 v138, v138, v4, -v112
	s_waitcnt vmcnt(19)
	v_fmac_f32_e32 v116, v141, v126
	v_fma_f32 v126, v140, v126, -v114
	s_waitcnt vmcnt(18) lgkmcnt(1)
	v_mul_f32_e32 v139, v127, v123
	v_mul_f32_e32 v4, v128, v123
	s_waitcnt vmcnt(17)
	v_mul_f32_e32 v140, v129, v121
	v_mul_f32_e32 v112, v130, v121
	ds_read_b128 v[120:123], v1 offset:576
	v_fmac_f32_e32 v139, v128, v111
	v_fma_f32 v127, v127, v111, -v4
	v_fmac_f32_e32 v140, v130, v108
	v_fma_f32 v128, v129, v108, -v112
	s_waitcnt vmcnt(15) lgkmcnt(1)
	v_mul_f32_e32 v130, v133, v109
	v_mul_f32_e32 v108, v134, v109
	;; [unrolled: 1-line block ×4, first 2 shown]
	s_waitcnt vmcnt(11)
	v_fmac_f32_e32 v130, v134, v119
	v_fma_f32 v119, v133, v119, -v108
	ds_read_b128 v[108:111], v1 offset:592
	v_fmac_f32_e32 v129, v132, v3
	v_fma_f32 v131, v131, v3, -v4
	s_waitcnt vmcnt(10) lgkmcnt(1)
	v_mul_f32_e32 v132, v120, v115
	v_mul_f32_e32 v3, v121, v115
	s_waitcnt vmcnt(9)
	v_mul_f32_e32 v133, v122, v113
	v_mul_f32_e32 v4, v123, v113
	ds_read_b128 v[112:115], v1 offset:608
	v_fmac_f32_e32 v132, v121, v7
	v_fma_f32 v7, v120, v7, -v3
	v_fmac_f32_e32 v133, v123, v5
	v_fma_f32 v120, v122, v5, -v4
	buffer_load_dword v122, off, s[0:3], 0 offset:228
	s_waitcnt vmcnt(8) lgkmcnt(1)
	v_mul_f32_e32 v4, v111, v137
	v_mul_f32_e32 v121, v108, v6
	v_mul_f32_e32 v3, v109, v6
	v_mul_f32_e32 v6, v110, v137
	s_waitcnt vmcnt(4)
	v_fma_f32 v134, v110, v151, -v4
	buffer_load_dword v110, off, s[0:3], 0 offset:236
	v_fmac_f32_e32 v121, v109, v2
	v_fma_f32 v123, v108, v2, -v3
	ds_read_b128 v[2:5], v1 offset:624
	v_fmac_f32_e32 v6, v111, v151
	s_waitcnt vmcnt(4) lgkmcnt(1)
	v_mul_f32_e32 v137, v112, v152
	v_mul_f32_e32 v108, v113, v152
	s_waitcnt vmcnt(3)
	v_mul_f32_e32 v141, v114, v153
	v_mul_f32_e32 v109, v115, v153
	v_fmac_f32_e32 v137, v113, v150
	v_fma_f32 v112, v112, v150, -v108
	v_fmac_f32_e32 v141, v115, v149
	v_fma_f32 v113, v114, v149, -v109
	s_clause 0x4
	buffer_load_dword v114, off, s[0:3], 0 offset:256
	buffer_load_dword v115, off, s[0:3], 0 offset:248
	;; [unrolled: 1-line block ×5, first 2 shown]
	s_waitcnt vmcnt(6) lgkmcnt(0)
	v_mul_f32_e32 v150, v2, v122
	v_mul_f32_e32 v109, v3, v122
	v_fmac_f32_e32 v150, v3, v148
	v_fma_f32 v122, v2, v148, -v109
	s_waitcnt vmcnt(5)
	v_mul_f32_e32 v148, v4, v110
	v_mul_f32_e32 v2, v5, v110
	s_waitcnt vmcnt(1)
	v_fmac_f32_e32 v148, v5, v108
	v_fma_f32 v151, v4, v108, -v2
	ds_read_b128 v[2:5], v1 offset:640
	ds_read_b128 v[108:111], v1 offset:656
	s_waitcnt vmcnt(0) lgkmcnt(1)
	v_mul_f32_e32 v152, v2, v149
	v_mul_f32_e32 v149, v3, v149
	v_fmac_f32_e32 v152, v3, v145
	v_fma_f32 v145, v2, v145, -v149
	buffer_load_dword v2, off, s[0:3], 0 offset:252
	s_waitcnt vmcnt(0)
	v_mul_f32_e32 v149, v4, v2
	v_mul_f32_e32 v2, v5, v2
	v_fmac_f32_e32 v149, v5, v115
	v_fma_f32 v153, v4, v115, -v2
	buffer_load_dword v2, off, s[0:3], 0 offset:260
	s_waitcnt vmcnt(0) lgkmcnt(0)
	v_mul_f32_e32 v164, v108, v2
	v_mul_f32_e32 v2, v109, v2
	v_fmac_f32_e32 v164, v109, v114
	v_fma_f32 v165, v108, v114, -v2
	s_clause 0x4
	buffer_load_dword v2, off, s[0:3], 0 offset:268
	buffer_load_dword v166, off, s[0:3], 0 offset:288
	;; [unrolled: 1-line block ×5, first 2 shown]
	s_waitcnt vmcnt(4)
	v_mul_f32_e32 v167, v110, v2
	v_mul_f32_e32 v2, v111, v2
	s_waitcnt vmcnt(0)
	v_fmac_f32_e32 v167, v111, v3
	v_fma_f32 v168, v110, v3, -v2
	v_add_f32_e32 v2, 0, v154
	v_add_f32_e32 v3, 0, v146
	buffer_load_dword v146, off, s[0:3], 0 offset:284
	v_add_f32_e32 v2, v2, v147
	v_add_f32_e32 v3, v3, v155
	buffer_load_dword v147, off, s[0:3], 0 offset:300
	v_add_f32_e32 v2, v2, v117
	buffer_load_dword v117, off, s[0:3], 0 offset:276
	v_add_f32_e32 v3, v3, v157
	v_add_f32_e32 v2, v2, v159
	;; [unrolled: 1-line block ×4, first 2 shown]
	buffer_load_dword v125, off, s[0:3], 0 offset:292
	v_add_f32_e32 v3, v3, v160
	v_add_f32_e32 v2, v2, v162
	;; [unrolled: 1-line block ×4, first 2 shown]
	s_clause 0x3
	buffer_load_dword v8, off, s[0:3], 0 offset:320
	buffer_load_dword v154, off, s[0:3], 0 offset:312
	;; [unrolled: 1-line block ×4, first 2 shown]
	v_add_f32_e32 v3, v3, v163
	v_add_f32_e32 v2, v2, v142
	s_clause 0x1
	buffer_load_dword v142, off, s[0:3], 0 offset:308
	buffer_load_dword v158, off, s[0:3], 0 offset:316
	v_add_f32_e32 v3, v3, v124
	buffer_load_dword v124, off, s[0:3], 0 offset:324
	v_add_f32_e32 v2, v2, v118
	v_add_f32_e32 v3, v3, v143
	;; [unrolled: 1-line block ×3, first 2 shown]
	s_clause 0x3
	buffer_load_dword v135, off, s[0:3], 0 offset:332
	buffer_load_dword v143, off, s[0:3], 0 offset:340
	;; [unrolled: 1-line block ×4, first 2 shown]
	v_add_f32_e32 v3, v3, v144
	v_add_f32_e32 v2, v2, v138
	s_clause 0x1
	buffer_load_dword v138, off, s[0:3], 0 offset:364
	buffer_load_dword v144, off, s[0:3], 0 offset:372
	v_add_f32_e32 v3, v3, v136
	v_add_f32_e32 v2, v2, v126
	s_clause 0x1
	buffer_load_dword v126, off, s[0:3], 0 offset:380
	buffer_load_dword v136, off, s[0:3], 0 offset:388
	v_add_f32_e32 v3, v3, v116
	v_add_f32_e32 v2, v2, v127
	;; [unrolled: 1-line block ×4, first 2 shown]
	s_clause 0x3
	buffer_load_dword v127, off, s[0:3], 0 offset:352
	buffer_load_dword v128, off, s[0:3], 0 offset:344
	buffer_load_dword v139, off, s[0:3], 0 offset:336
	buffer_load_dword v161, off, s[0:3], 0 offset:328
	v_add_f32_e32 v3, v3, v140
	v_add_f32_e32 v2, v2, v131
	;; [unrolled: 1-line block ×3, first 2 shown]
	s_clause 0x3
	buffer_load_dword v129, off, s[0:3], 0 offset:384
	buffer_load_dword v131, off, s[0:3], 0 offset:376
	;; [unrolled: 1-line block ×4, first 2 shown]
	v_add_f32_e32 v2, v2, v119
	v_add_f32_e32 v3, v3, v130
	buffer_load_dword v130, off, s[0:3], 0 offset:40
	v_add_f32_e32 v2, v2, v7
	v_add_f32_e32 v3, v3, v132
	;; [unrolled: 1-line block ×4, first 2 shown]
	ds_read_b128 v[2:5], v1 offset:672
	v_add_f32_e32 v7, v7, v123
	v_add_f32_e32 v108, v108, v121
	;; [unrolled: 1-line block ×4, first 2 shown]
	ds_read_b128 v[108:111], v1 offset:688
	v_add_f32_e32 v7, v7, v112
	v_add_f32_e32 v6, v6, v137
	;; [unrolled: 1-line block ×8, first 2 shown]
	s_waitcnt vmcnt(27) lgkmcnt(1)
	v_mul_f32_e32 v133, v4, v146
	v_mul_f32_e32 v113, v5, v146
	v_fmac_f32_e32 v133, v5, v114
	v_fma_f32 v137, v4, v114, -v113
	s_waitcnt vmcnt(25)
	v_mul_f32_e32 v132, v2, v117
	v_mul_f32_e32 v112, v3, v117
	v_fmac_f32_e32 v132, v3, v115
	v_add_f32_e32 v3, v7, v122
	v_fma_f32 v134, v2, v115, -v112
	s_waitcnt vmcnt(24) lgkmcnt(0)
	v_mul_f32_e32 v141, v108, v125
	v_add_f32_e32 v7, v3, v151
	ds_read_b128 v[2:5], v1 offset:704
	ds_read_b128 v[112:115], v1 offset:720
	v_mul_f32_e32 v120, v109, v125
	v_mul_f32_e32 v125, v110, v147
	v_fmac_f32_e32 v141, v109, v166
	v_add_f32_e32 v7, v7, v145
	v_mul_f32_e32 v145, v111, v147
	v_add_f32_e32 v147, v6, v164
	v_fma_f32 v146, v108, v166, -v120
	ds_read_b128 v[116:119], v1 offset:736
	ds_read_b128 v[120:123], v1 offset:752
	v_add_f32_e32 v7, v7, v153
	v_add_f32_e32 v147, v147, v167
	s_waitcnt vmcnt(20)
	v_fma_f32 v145, v110, v157, -v145
	v_fmac_f32_e32 v125, v111, v157
	v_add_f32_e32 v7, v7, v165
	v_add_f32_e32 v132, v147, v132
	s_waitcnt vmcnt(19) lgkmcnt(3)
	v_mul_f32_e32 v149, v2, v142
	v_add_f32_e32 v148, v7, v168
	v_add_f32_e32 v132, v132, v133
	v_mul_f32_e32 v142, v3, v142
	s_waitcnt vmcnt(18)
	v_mul_f32_e32 v150, v4, v158
	v_fmac_f32_e32 v149, v3, v155
	v_add_f32_e32 v134, v148, v134
	v_add_f32_e32 v132, v132, v141
	v_mul_f32_e32 v148, v5, v158
	v_fma_f32 v2, v2, v155, -v142
	s_waitcnt vmcnt(17) lgkmcnt(2)
	v_mul_f32_e32 v147, v112, v124
	v_add_f32_e32 v134, v134, v137
	v_add_f32_e32 v125, v132, v125
	v_mul_f32_e32 v124, v113, v124
	v_fma_f32 v4, v4, v154, -v148
	v_fmac_f32_e32 v150, v5, v154
	v_add_f32_e32 v134, v134, v146
	v_add_f32_e32 v5, v125, v149
	s_waitcnt vmcnt(16)
	v_mul_f32_e32 v125, v115, v135
	v_fmac_f32_e32 v147, v113, v8
	v_fma_f32 v8, v112, v8, -v124
	v_add_f32_e32 v134, v134, v145
	v_mul_f32_e32 v137, v114, v135
	ds_read_b128 v[108:111], v1 offset:768
	ds_read_b64 v[6:7], v1 offset:784
	s_waitcnt vmcnt(5)
	v_fma_f32 v112, v114, v161, -v125
	s_waitcnt lgkmcnt(3)
	v_mul_f32_e32 v151, v116, v143
	v_add_f32_e32 v2, v134, v2
	v_fmac_f32_e32 v137, v115, v161
	v_mul_f32_e32 v133, v118, v159
	s_waitcnt lgkmcnt(2)
	v_mul_f32_e32 v146, v120, v160
	v_fmac_f32_e32 v151, v117, v139
	v_add_f32_e32 v2, v2, v4
	v_add_f32_e32 v4, v5, v150
	v_mul_f32_e32 v5, v117, v143
	v_fmac_f32_e32 v133, v119, v128
	v_mul_f32_e32 v3, v122, v138
	v_add_f32_e32 v2, v2, v8
	v_add_f32_e32 v4, v4, v147
	v_mul_f32_e32 v8, v119, v159
	v_fma_f32 v5, v116, v139, -v5
	v_fmac_f32_e32 v146, v121, v127
	v_add_f32_e32 v2, v2, v112
	v_add_f32_e32 v4, v4, v137
	v_mul_f32_e32 v112, v121, v160
	v_fma_f32 v8, v118, v128, -v8
	s_waitcnt lgkmcnt(1)
	v_mul_f32_e32 v141, v108, v144
	v_add_f32_e32 v2, v2, v5
	v_add_f32_e32 v4, v4, v151
	v_mul_f32_e32 v5, v123, v138
	v_fma_f32 v112, v120, v127, -v112
	s_waitcnt vmcnt(1)
	v_fmac_f32_e32 v3, v123, v162
	v_add_f32_e32 v2, v2, v8
	v_add_f32_e32 v4, v4, v133
	v_mul_f32_e32 v8, v109, v144
	v_fma_f32 v5, v122, v162, -v5
	v_mul_f32_e32 v142, v110, v126
	v_add_f32_e32 v2, v2, v112
	v_add_f32_e32 v4, v4, v146
	v_mul_f32_e32 v112, v111, v126
	v_fma_f32 v8, v108, v140, -v8
	v_fmac_f32_e32 v141, v109, v140
	v_add_f32_e32 v2, v2, v5
	v_add_f32_e32 v3, v4, v3
	s_waitcnt lgkmcnt(0)
	v_mul_f32_e32 v4, v7, v136
	v_fma_f32 v5, v110, v131, -v112
	v_mul_f32_e32 v132, v6, v136
	v_add_f32_e32 v2, v2, v8
	v_fmac_f32_e32 v142, v111, v131
	v_add_f32_e32 v3, v3, v141
	v_fma_f32 v4, v6, v129, -v4
	v_fmac_f32_e32 v132, v7, v129
	v_add_f32_e32 v2, v2, v5
	v_add_f32_e32 v3, v3, v142
	;; [unrolled: 1-line block ×4, first 2 shown]
	s_waitcnt vmcnt(0)
	v_sub_f32_e32 v2, v130, v2
	v_sub_f32_e32 v3, v156, v3
	buffer_store_dword v2, off, s[0:3], 0 offset:40
	buffer_store_dword v3, off, s[0:3], 0 offset:44
	v_cmpx_lt_u32_e32 4, v0
	s_cbranch_execz .LBB112_299
; %bb.298:
	s_clause 0x1
	buffer_load_dword v2, off, s[0:3], 0 offset:32
	buffer_load_dword v3, off, s[0:3], 0 offset:36
	buffer_store_dword v1, off, s[0:3], 0 offset:32
	buffer_store_dword v1, off, s[0:3], 0 offset:36
	s_waitcnt vmcnt(0)
	ds_write_b64 v107, v[2:3]
.LBB112_299:
	s_or_b32 exec_lo, exec_lo, s4
	s_waitcnt lgkmcnt(0)
	s_waitcnt_vscnt null, 0x0
	s_barrier
	buffer_gl0_inv
	s_clause 0x2c
	buffer_load_dword v146, off, s[0:3], 0 offset:44
	buffer_load_dword v147, off, s[0:3], 0 offset:52
	;; [unrolled: 1-line block ×45, first 2 shown]
	ds_read2_b64 v[138:141], v1 offset0:55 offset1:56
	ds_read2_b64 v[142:145], v1 offset0:57 offset1:58
	buffer_load_dword v156, off, s[0:3], 0 offset:36
	s_mov_b32 s4, exec_lo
	s_waitcnt vmcnt(45) lgkmcnt(1)
	v_mul_f32_e32 v154, v139, v146
	v_mul_f32_e32 v146, v138, v146
	s_waitcnt vmcnt(44)
	v_mul_f32_e32 v155, v140, v147
	v_mul_f32_e32 v147, v141, v147
	s_waitcnt vmcnt(41)
	v_fma_f32 v154, v138, v136, -v154
	v_fmac_f32_e32 v146, v139, v136
	v_fmac_f32_e32 v155, v141, v132
	v_fma_f32 v147, v140, v132, -v147
	ds_read2_b64 v[138:141], v1 offset0:59 offset1:60
	s_waitcnt vmcnt(40) lgkmcnt(1)
	v_mul_f32_e32 v157, v142, v131
	v_mul_f32_e32 v131, v143, v131
	s_waitcnt vmcnt(39)
	v_mul_f32_e32 v158, v144, v129
	v_mul_f32_e32 v129, v145, v129
	v_fmac_f32_e32 v157, v143, v118
	v_fma_f32 v118, v142, v118, -v131
	s_waitcnt vmcnt(35)
	v_fmac_f32_e32 v158, v145, v137
	v_fma_f32 v159, v144, v137, -v129
	ds_read2_b64 v[142:145], v1 offset0:61 offset1:62
	s_waitcnt vmcnt(34) lgkmcnt(1)
	v_mul_f32_e32 v160, v138, v135
	v_mul_f32_e32 v129, v139, v135
	s_waitcnt vmcnt(33)
	v_mul_f32_e32 v161, v140, v134
	v_mul_f32_e32 v131, v141, v134
	ds_read2_b64 v[134:137], v1 offset0:63 offset1:64
	v_fmac_f32_e32 v160, v139, v126
	v_fma_f32 v126, v138, v126, -v129
	v_fmac_f32_e32 v161, v141, v121
	v_fma_f32 v162, v140, v121, -v131
	ds_read2_b64 v[138:141], v1 offset0:65 offset1:66
	s_waitcnt vmcnt(32) lgkmcnt(2)
	v_mul_f32_e32 v163, v142, v125
	v_mul_f32_e32 v121, v143, v125
	s_waitcnt vmcnt(31)
	v_mul_f32_e32 v125, v144, v123
	v_mul_f32_e32 v123, v145, v123
	v_fmac_f32_e32 v163, v143, v108
	v_fma_f32 v142, v142, v108, -v121
	s_waitcnt vmcnt(27)
	v_fmac_f32_e32 v125, v145, v133
	v_fma_f32 v143, v144, v133, -v123
	s_waitcnt vmcnt(26) lgkmcnt(1)
	v_mul_f32_e32 v144, v134, v130
	v_mul_f32_e32 v108, v135, v130
	s_waitcnt vmcnt(25)
	v_mul_f32_e32 v145, v136, v128
	v_mul_f32_e32 v121, v137, v128
	ds_read2_b64 v[128:131], v1 offset0:67 offset1:68
	v_fmac_f32_e32 v144, v135, v119
	v_fma_f32 v119, v134, v119, -v108
	ds_read2_b64 v[132:135], v1 offset0:69 offset1:70
	v_fmac_f32_e32 v145, v137, v113
	v_fma_f32 v136, v136, v113, -v121
	s_waitcnt vmcnt(24) lgkmcnt(2)
	v_mul_f32_e32 v137, v138, v117
	v_mul_f32_e32 v108, v139, v117
	s_waitcnt vmcnt(23)
	v_mul_f32_e32 v117, v140, v115
	v_mul_f32_e32 v113, v141, v115
	v_fmac_f32_e32 v137, v139, v4
	v_fma_f32 v138, v138, v4, -v108
	s_waitcnt vmcnt(19)
	v_fmac_f32_e32 v117, v141, v127
	v_fma_f32 v127, v140, v127, -v113
	s_waitcnt vmcnt(18) lgkmcnt(1)
	v_mul_f32_e32 v139, v128, v124
	v_mul_f32_e32 v4, v129, v124
	s_waitcnt vmcnt(17)
	v_mul_f32_e32 v140, v130, v122
	v_mul_f32_e32 v108, v131, v122
	ds_read2_b64 v[121:124], v1 offset0:71 offset1:72
	v_fmac_f32_e32 v139, v129, v112
	v_fma_f32 v128, v128, v112, -v4
	v_fmac_f32_e32 v140, v131, v109
	v_fma_f32 v129, v130, v109, -v108
	s_waitcnt vmcnt(15) lgkmcnt(1)
	v_mul_f32_e32 v131, v134, v110
	v_mul_f32_e32 v108, v135, v110
	;; [unrolled: 1-line block ×4, first 2 shown]
	s_waitcnt vmcnt(11)
	v_fmac_f32_e32 v131, v135, v120
	v_fma_f32 v120, v134, v120, -v108
	ds_read2_b64 v[108:111], v1 offset0:73 offset1:74
	v_fmac_f32_e32 v130, v133, v3
	v_fma_f32 v132, v132, v3, -v4
	s_waitcnt vmcnt(10) lgkmcnt(1)
	v_mul_f32_e32 v133, v121, v116
	v_mul_f32_e32 v3, v122, v116
	s_waitcnt vmcnt(9)
	v_mul_f32_e32 v116, v123, v114
	v_mul_f32_e32 v4, v124, v114
	ds_read2_b64 v[112:115], v1 offset0:75 offset1:76
	v_fmac_f32_e32 v133, v122, v8
	v_fma_f32 v8, v121, v8, -v3
	v_fmac_f32_e32 v116, v124, v5
	v_fma_f32 v121, v123, v5, -v4
	s_waitcnt vmcnt(8) lgkmcnt(1)
	v_mul_f32_e32 v122, v108, v7
	v_mul_f32_e32 v3, v109, v7
	s_waitcnt vmcnt(7)
	v_mul_f32_e32 v7, v110, v6
	v_mul_f32_e32 v4, v111, v6
	buffer_load_dword v6, off, s[0:3], 0 offset:220
	v_fmac_f32_e32 v122, v109, v2
	v_fma_f32 v123, v108, v2, -v3
	s_waitcnt vmcnt(4)
	v_fmac_f32_e32 v7, v111, v151
	v_fma_f32 v124, v110, v151, -v4
	buffer_load_dword v110, off, s[0:3], 0 offset:228
	ds_read2_b64 v[2:5], v1 offset0:77 offset1:78
	s_waitcnt vmcnt(4) lgkmcnt(1)
	v_mul_f32_e32 v134, v112, v152
	v_mul_f32_e32 v108, v113, v152
	s_waitcnt vmcnt(3)
	v_mul_f32_e32 v135, v114, v153
	v_mul_f32_e32 v109, v115, v153
	v_fmac_f32_e32 v134, v113, v150
	v_fma_f32 v112, v112, v150, -v108
	v_fmac_f32_e32 v135, v115, v149
	v_fma_f32 v113, v114, v149, -v109
	s_clause 0x4
	buffer_load_dword v114, off, s[0:3], 0 offset:248
	buffer_load_dword v115, off, s[0:3], 0 offset:240
	;; [unrolled: 1-line block ×5, first 2 shown]
	s_waitcnt vmcnt(6) lgkmcnt(0)
	v_mul_f32_e32 v150, v2, v6
	v_mul_f32_e32 v6, v3, v6
	v_fmac_f32_e32 v150, v3, v148
	v_fma_f32 v6, v2, v148, -v6
	s_waitcnt vmcnt(5)
	v_mul_f32_e32 v148, v4, v110
	v_mul_f32_e32 v2, v5, v110
	s_waitcnt vmcnt(1)
	v_fmac_f32_e32 v148, v5, v108
	v_fma_f32 v151, v4, v108, -v2
	ds_read2_b64 v[2:5], v1 offset0:79 offset1:80
	ds_read2_b64 v[108:111], v1 offset0:81 offset1:82
	s_waitcnt vmcnt(0) lgkmcnt(1)
	v_mul_f32_e32 v152, v2, v149
	v_mul_f32_e32 v149, v3, v149
	v_fmac_f32_e32 v152, v3, v141
	v_fma_f32 v141, v2, v141, -v149
	s_clause 0x1
	buffer_load_dword v2, off, s[0:3], 0 offset:244
	buffer_load_dword v3, off, s[0:3], 0 offset:252
	s_waitcnt vmcnt(1)
	v_mul_f32_e32 v149, v4, v2
	v_mul_f32_e32 v2, v5, v2
	v_fmac_f32_e32 v149, v5, v115
	v_fma_f32 v153, v4, v115, -v2
	v_add_f32_e32 v2, 0, v154
	buffer_load_dword v5, off, s[0:3], 0 offset:260
	v_add_f32_e32 v4, 0, v146
	v_add_f32_e32 v2, v2, v147
	;; [unrolled: 1-line block ×4, first 2 shown]
	s_clause 0x3
	buffer_load_dword v118, off, s[0:3], 0 offset:280
	buffer_load_dword v115, off, s[0:3], 0 offset:272
	;; [unrolled: 1-line block ×4, first 2 shown]
	v_add_f32_e32 v4, v4, v157
	s_clause 0x1
	buffer_load_dword v154, off, s[0:3], 0 offset:276
	buffer_load_dword v155, off, s[0:3], 0 offset:284
	v_add_f32_e32 v2, v2, v159
	s_waitcnt vmcnt(7) lgkmcnt(0)
	v_mul_f32_e32 v157, v108, v3
	v_add_f32_e32 v4, v4, v158
	v_mul_f32_e32 v3, v109, v3
	v_add_f32_e32 v2, v2, v126
	buffer_load_dword v126, off, s[0:3], 0 offset:268
	v_add_f32_e32 v4, v4, v160
	v_fma_f32 v158, v108, v114, -v3
	v_fmac_f32_e32 v157, v109, v114
	v_add_f32_e32 v2, v2, v162
	v_add_f32_e32 v4, v4, v161
	;; [unrolled: 1-line block ×3, first 2 shown]
	buffer_load_dword v142, off, s[0:3], 0 offset:292
	v_add_f32_e32 v4, v4, v163
	v_add_f32_e32 v2, v2, v143
	v_add_f32_e32 v3, v4, v125
	s_clause 0x5
	buffer_load_dword v143, off, s[0:3], 0 offset:312
	buffer_load_dword v159, off, s[0:3], 0 offset:304
	buffer_load_dword v125, off, s[0:3], 0 offset:296
	buffer_load_dword v160, off, s[0:3], 0 offset:288
	buffer_load_dword v161, off, s[0:3], 0 offset:300
	buffer_load_dword v162, off, s[0:3], 0 offset:324
	v_add_f32_e32 v2, v2, v119
	v_add_f32_e32 v3, v3, v144
	v_add_f32_e32 v2, v2, v136
	v_add_f32_e32 v3, v3, v145
	s_clause 0x1
	buffer_load_dword v136, off, s[0:3], 0 offset:308
	buffer_load_dword v145, off, s[0:3], 0 offset:316
	v_add_f32_e32 v2, v2, v138
	v_add_f32_e32 v3, v3, v137
	s_clause 0x6
	buffer_load_dword v137, off, s[0:3], 0 offset:332
	buffer_load_dword v138, off, s[0:3], 0 offset:340
	;; [unrolled: 1-line block ×7, first 2 shown]
	v_add_f32_e32 v2, v2, v127
	v_add_f32_e32 v3, v3, v117
	;; [unrolled: 1-line block ×4, first 2 shown]
	buffer_load_dword v128, off, s[0:3], 0 offset:388
	v_add_f32_e32 v2, v2, v129
	v_add_f32_e32 v3, v3, v140
	s_clause 0x3
	buffer_load_dword v129, off, s[0:3], 0 offset:344
	buffer_load_dword v139, off, s[0:3], 0 offset:336
	;; [unrolled: 1-line block ×4, first 2 shown]
	v_add_f32_e32 v2, v2, v132
	v_add_f32_e32 v3, v3, v130
	;; [unrolled: 1-line block ×4, first 2 shown]
	s_clause 0x3
	buffer_load_dword v130, off, s[0:3], 0 offset:376
	buffer_load_dword v131, off, s[0:3], 0 offset:368
	;; [unrolled: 1-line block ×4, first 2 shown]
	v_add_f32_e32 v2, v2, v8
	buffer_load_dword v8, off, s[0:3], 0 offset:384
	v_add_f32_e32 v3, v3, v133
	buffer_load_dword v133, off, s[0:3], 0 offset:32
	v_add_f32_e32 v2, v2, v121
	v_add_f32_e32 v3, v3, v116
	;; [unrolled: 1-line block ×20, first 2 shown]
	s_waitcnt vmcnt(34)
	v_mul_f32_e32 v144, v110, v5
	v_mul_f32_e32 v4, v111, v5
	s_waitcnt vmcnt(30)
	v_fmac_f32_e32 v144, v111, v147
	v_fma_f32 v147, v110, v147, -v4
	ds_read2_b64 v[2:5], v1 offset0:83 offset1:84
	ds_read2_b64 v[108:111], v1 offset0:85 offset1:86
	v_add_f32_e32 v7, v7, v144
	v_add_f32_e32 v6, v6, v147
	s_waitcnt vmcnt(27) lgkmcnt(1)
	v_mul_f32_e32 v134, v2, v126
	v_mul_f32_e32 v113, v3, v126
	v_mul_f32_e32 v135, v4, v154
	v_mul_f32_e32 v114, v5, v154
	s_waitcnt lgkmcnt(0)
	v_mul_f32_e32 v150, v108, v155
	v_fmac_f32_e32 v134, v3, v146
	v_fma_f32 v124, v2, v146, -v113
	v_fmac_f32_e32 v135, v5, v115
	v_fma_f32 v146, v4, v115, -v114
	ds_read2_b64 v[2:5], v1 offset0:87 offset1:88
	ds_read2_b64 v[112:115], v1 offset0:89 offset1:90
	v_mul_f32_e32 v116, v109, v155
	s_waitcnt vmcnt(26)
	v_mul_f32_e32 v141, v110, v142
	v_mul_f32_e32 v117, v111, v142
	v_fmac_f32_e32 v150, v109, v118
	v_fma_f32 v142, v108, v118, -v116
	s_waitcnt vmcnt(22)
	v_fmac_f32_e32 v141, v111, v160
	v_fma_f32 v148, v110, v160, -v117
	ds_read2_b64 v[108:111], v1 offset0:91 offset1:92
	ds_read2_b64 v[116:119], v1 offset0:93 offset1:94
	;; [unrolled: 1-line block ×3, first 2 shown]
	s_waitcnt vmcnt(21) lgkmcnt(4)
	v_mul_f32_e32 v149, v2, v161
	v_mul_f32_e32 v126, v3, v161
	v_fmac_f32_e32 v149, v3, v125
	v_add_f32_e32 v3, v6, v124
	v_fma_f32 v2, v2, v125, -v126
	ds_read2_b64 v[124:127], v1 offset0:97 offset1:98
	v_add_f32_e32 v1, v7, v134
	s_waitcnt vmcnt(19)
	v_mul_f32_e32 v7, v5, v136
	v_add_f32_e32 v3, v3, v146
	v_mul_f32_e32 v6, v4, v136
	s_waitcnt vmcnt(18) lgkmcnt(4)
	v_mul_f32_e32 v136, v113, v145
	v_add_f32_e32 v1, v1, v135
	v_fma_f32 v4, v4, v159, -v7
	v_add_f32_e32 v3, v3, v142
	v_mul_f32_e32 v134, v112, v145
	v_fmac_f32_e32 v6, v5, v159
	v_add_f32_e32 v1, v1, v150
	v_fma_f32 v112, v112, v143, -v136
	v_add_f32_e32 v3, v3, v148
	v_mul_f32_e32 v135, v114, v162
	v_fmac_f32_e32 v134, v113, v143
	v_add_f32_e32 v1, v1, v141
	v_mul_f32_e32 v141, v115, v162
	v_add_f32_e32 v2, v3, v2
	s_waitcnt vmcnt(17) lgkmcnt(3)
	v_mul_f32_e32 v5, v108, v137
	s_waitcnt vmcnt(6)
	v_fmac_f32_e32 v135, v115, v168
	v_add_f32_e32 v1, v1, v149
	v_mul_f32_e32 v7, v110, v138
	v_add_f32_e32 v2, v2, v4
	v_mul_f32_e32 v4, v109, v137
	v_fmac_f32_e32 v5, v109, v140
	v_add_f32_e32 v1, v1, v6
	v_fma_f32 v6, v114, v168, -v141
	v_add_f32_e32 v2, v2, v112
	v_mul_f32_e32 v112, v111, v138
	v_fma_f32 v4, v108, v140, -v4
	v_add_f32_e32 v1, v1, v134
	s_waitcnt lgkmcnt(2)
	v_mul_f32_e32 v142, v116, v163
	v_add_f32_e32 v2, v2, v6
	v_mul_f32_e32 v6, v117, v163
	v_fma_f32 v108, v110, v139, -v112
	v_add_f32_e32 v1, v1, v135
	v_fmac_f32_e32 v7, v111, v139
	v_add_f32_e32 v2, v2, v4
	v_mul_f32_e32 v4, v119, v164
	v_mul_f32_e32 v144, v118, v164
	v_add_f32_e32 v1, v1, v5
	v_fma_f32 v5, v116, v129, -v6
	v_add_f32_e32 v2, v2, v108
	v_fmac_f32_e32 v142, v117, v129
	s_waitcnt lgkmcnt(1)
	v_mul_f32_e32 v6, v121, v165
	v_add_f32_e32 v1, v1, v7
	s_waitcnt vmcnt(2)
	v_fma_f32 v4, v118, v169, -v4
	v_add_f32_e32 v2, v2, v5
	v_mul_f32_e32 v145, v120, v165
	v_fmac_f32_e32 v144, v119, v169
	v_add_f32_e32 v1, v1, v142
	v_mul_f32_e32 v5, v123, v166
	v_fma_f32 v6, v120, v132, -v6
	v_add_f32_e32 v2, v2, v4
	v_mul_f32_e32 v146, v122, v166
	v_fmac_f32_e32 v145, v121, v132
	v_add_f32_e32 v1, v1, v144
	s_waitcnt lgkmcnt(0)
	v_mul_f32_e32 v4, v125, v167
	v_fma_f32 v5, v122, v131, -v5
	v_add_f32_e32 v2, v2, v6
	v_mul_f32_e32 v147, v124, v167
	v_fmac_f32_e32 v146, v123, v131
	v_add_f32_e32 v1, v1, v145
	v_mul_f32_e32 v6, v127, v128
	v_fma_f32 v4, v124, v130, -v4
	v_add_f32_e32 v2, v2, v5
	v_mul_f32_e32 v3, v126, v128
	v_fmac_f32_e32 v147, v125, v130
	v_add_f32_e32 v1, v1, v146
	s_waitcnt vmcnt(1)
	v_fma_f32 v5, v126, v8, -v6
	v_add_f32_e32 v2, v2, v4
	v_fmac_f32_e32 v3, v127, v8
	v_add_f32_e32 v1, v1, v147
	v_add_f32_e32 v2, v2, v5
	;; [unrolled: 1-line block ×3, first 2 shown]
	s_waitcnt vmcnt(0)
	v_sub_f32_e32 v2, v133, v2
	v_sub_f32_e32 v1, v156, v1
	buffer_store_dword v2, off, s[0:3], 0 offset:32
	buffer_store_dword v1, off, s[0:3], 0 offset:36
	v_cmpx_lt_u32_e32 3, v0
	s_cbranch_execz .LBB112_301
; %bb.300:
	s_clause 0x1
	buffer_load_dword v1, off, s[0:3], 0 offset:24
	buffer_load_dword v2, off, s[0:3], 0 offset:28
	v_mov_b32_e32 v3, 0
	buffer_store_dword v3, off, s[0:3], 0 offset:24
	buffer_store_dword v3, off, s[0:3], 0 offset:28
	s_waitcnt vmcnt(0)
	ds_write_b64 v107, v[1:2]
.LBB112_301:
	s_or_b32 exec_lo, exec_lo, s4
	s_waitcnt lgkmcnt(0)
	s_waitcnt_vscnt null, 0x0
	s_barrier
	buffer_gl0_inv
	s_clause 0x2c
	buffer_load_dword v146, off, s[0:3], 0 offset:36
	buffer_load_dword v147, off, s[0:3], 0 offset:44
	;; [unrolled: 1-line block ×45, first 2 shown]
	v_mov_b32_e32 v1, 0
	ds_read_b128 v[138:141], v1 offset:432
	ds_read_b128 v[142:145], v1 offset:448
	buffer_load_dword v156, off, s[0:3], 0 offset:28
	s_mov_b32 s4, exec_lo
	s_waitcnt vmcnt(45) lgkmcnt(1)
	v_mul_f32_e32 v154, v139, v146
	v_mul_f32_e32 v146, v138, v146
	s_waitcnt vmcnt(44)
	v_mul_f32_e32 v155, v140, v147
	v_mul_f32_e32 v147, v141, v147
	s_waitcnt vmcnt(41)
	v_fma_f32 v154, v138, v135, -v154
	v_fmac_f32_e32 v146, v139, v135
	v_fmac_f32_e32 v155, v141, v131
	v_fma_f32 v147, v140, v131, -v147
	ds_read_b128 v[138:141], v1 offset:464
	s_waitcnt vmcnt(40) lgkmcnt(1)
	v_mul_f32_e32 v157, v142, v130
	v_mul_f32_e32 v130, v143, v130
	s_waitcnt vmcnt(39)
	v_mul_f32_e32 v158, v144, v128
	v_mul_f32_e32 v128, v145, v128
	v_fmac_f32_e32 v157, v143, v117
	v_fma_f32 v117, v142, v117, -v130
	s_waitcnt vmcnt(35)
	v_fmac_f32_e32 v158, v145, v136
	v_fma_f32 v159, v144, v136, -v128
	ds_read_b128 v[142:145], v1 offset:480
	s_waitcnt vmcnt(34) lgkmcnt(1)
	v_mul_f32_e32 v160, v138, v134
	v_mul_f32_e32 v128, v139, v134
	s_waitcnt vmcnt(33)
	v_mul_f32_e32 v161, v140, v133
	v_mul_f32_e32 v130, v141, v133
	ds_read_b128 v[133:136], v1 offset:496
	v_fmac_f32_e32 v160, v139, v125
	v_fma_f32 v125, v138, v125, -v128
	v_fmac_f32_e32 v161, v141, v120
	v_fma_f32 v162, v140, v120, -v130
	ds_read_b128 v[138:141], v1 offset:512
	s_waitcnt vmcnt(32) lgkmcnt(2)
	v_mul_f32_e32 v163, v142, v124
	v_mul_f32_e32 v120, v143, v124
	s_waitcnt vmcnt(31)
	v_mul_f32_e32 v124, v144, v122
	v_mul_f32_e32 v122, v145, v122
	v_fmac_f32_e32 v163, v143, v8
	v_fma_f32 v8, v142, v8, -v120
	s_waitcnt vmcnt(27)
	v_fmac_f32_e32 v124, v145, v132
	v_fma_f32 v142, v144, v132, -v122
	buffer_load_dword v145, off, s[0:3], 0 offset:220
	s_waitcnt vmcnt(27) lgkmcnt(1)
	v_mul_f32_e32 v143, v133, v129
	v_mul_f32_e32 v120, v134, v129
	s_waitcnt vmcnt(26)
	v_mul_f32_e32 v144, v135, v127
	v_mul_f32_e32 v122, v136, v127
	ds_read_b128 v[127:130], v1 offset:528
	v_fmac_f32_e32 v143, v134, v118
	v_fma_f32 v118, v133, v118, -v120
	v_fmac_f32_e32 v144, v136, v112
	v_fma_f32 v135, v135, v112, -v122
	s_waitcnt vmcnt(25) lgkmcnt(1)
	v_mul_f32_e32 v136, v138, v116
	v_mul_f32_e32 v112, v139, v116
	s_waitcnt vmcnt(24)
	v_mul_f32_e32 v116, v140, v114
	v_mul_f32_e32 v114, v141, v114
	ds_read_b128 v[131:134], v1 offset:544
	v_fmac_f32_e32 v136, v139, v4
	v_fma_f32 v138, v138, v4, -v112
	s_waitcnt vmcnt(20)
	v_fmac_f32_e32 v116, v141, v126
	v_fma_f32 v126, v140, v126, -v114
	s_waitcnt vmcnt(19) lgkmcnt(1)
	v_mul_f32_e32 v139, v127, v123
	v_mul_f32_e32 v4, v128, v123
	s_waitcnt vmcnt(18)
	v_mul_f32_e32 v140, v129, v121
	v_mul_f32_e32 v112, v130, v121
	ds_read_b128 v[120:123], v1 offset:560
	v_fmac_f32_e32 v139, v128, v111
	v_fma_f32 v127, v127, v111, -v4
	v_fmac_f32_e32 v140, v130, v108
	v_fma_f32 v128, v129, v108, -v112
	s_waitcnt vmcnt(17) lgkmcnt(1)
	v_mul_f32_e32 v129, v131, v110
	s_waitcnt vmcnt(16)
	v_mul_f32_e32 v130, v133, v109
	v_mul_f32_e32 v108, v134, v109
	;; [unrolled: 1-line block ×3, first 2 shown]
	v_fmac_f32_e32 v129, v132, v3
	s_waitcnt vmcnt(12)
	v_fmac_f32_e32 v130, v134, v119
	v_fma_f32 v119, v133, v119, -v108
	ds_read_b128 v[108:111], v1 offset:576
	v_fma_f32 v131, v131, v3, -v4
	s_waitcnt vmcnt(11) lgkmcnt(1)
	v_mul_f32_e32 v132, v120, v115
	v_mul_f32_e32 v3, v121, v115
	s_waitcnt vmcnt(10)
	v_mul_f32_e32 v133, v122, v113
	v_mul_f32_e32 v4, v123, v113
	ds_read_b128 v[112:115], v1 offset:592
	v_fmac_f32_e32 v132, v121, v7
	buffer_load_dword v121, off, s[0:3], 0 offset:212
	v_fma_f32 v7, v120, v7, -v3
	v_fma_f32 v120, v122, v5, -v4
	v_fmac_f32_e32 v133, v123, v5
	s_waitcnt vmcnt(10) lgkmcnt(1)
	v_mul_f32_e32 v122, v108, v6
	v_mul_f32_e32 v3, v109, v6
	s_waitcnt vmcnt(9)
	v_mul_f32_e32 v4, v111, v137
	v_mul_f32_e32 v6, v110, v137
	v_fmac_f32_e32 v122, v109, v2
	v_fma_f32 v123, v108, v2, -v3
	s_waitcnt vmcnt(5)
	v_fma_f32 v134, v110, v151, -v4
	ds_read_b128 v[2:5], v1 offset:608
	v_fmac_f32_e32 v6, v111, v151
	s_waitcnt vmcnt(4) lgkmcnt(1)
	v_mul_f32_e32 v137, v112, v152
	v_mul_f32_e32 v108, v113, v152
	s_waitcnt vmcnt(3)
	v_mul_f32_e32 v141, v114, v153
	v_mul_f32_e32 v109, v115, v153
	v_fmac_f32_e32 v137, v113, v150
	v_fma_f32 v112, v112, v150, -v108
	v_fmac_f32_e32 v141, v115, v149
	v_fma_f32 v113, v114, v149, -v109
	s_clause 0x5
	buffer_load_dword v114, off, s[0:3], 0 offset:240
	buffer_load_dword v115, off, s[0:3], 0 offset:232
	;; [unrolled: 1-line block ×6, first 2 shown]
	v_add_f32_e32 v108, 0, v154
	v_add_f32_e32 v109, 0, v146
	buffer_load_dword v146, off, s[0:3], 0 offset:244
	v_add_f32_e32 v108, v108, v147
	buffer_load_dword v147, off, s[0:3], 0 offset:252
	v_add_f32_e32 v109, v109, v155
	v_add_f32_e32 v108, v108, v117
	s_clause 0x3
	buffer_load_dword v117, off, s[0:3], 0 offset:272
	buffer_load_dword v153, off, s[0:3], 0 offset:264
	;; [unrolled: 1-line block ×4, first 2 shown]
	v_add_f32_e32 v109, v109, v157
	v_add_f32_e32 v108, v108, v159
	;; [unrolled: 1-line block ×4, first 2 shown]
	buffer_load_dword v125, off, s[0:3], 0 offset:260
	v_add_f32_e32 v109, v109, v160
	v_add_f32_e32 v108, v108, v162
	s_waitcnt vmcnt(13) lgkmcnt(0)
	v_mul_f32_e32 v157, v2, v121
	v_mul_f32_e32 v110, v3, v121
	v_fmac_f32_e32 v157, v3, v148
	v_fma_f32 v121, v2, v148, -v110
	v_add_f32_e32 v2, v109, v161
	v_add_f32_e32 v3, v108, v8
	ds_read_b128 v[108:111], v1 offset:624
	buffer_load_dword v8, off, s[0:3], 0 offset:268
	v_add_f32_e32 v2, v2, v163
	v_add_f32_e32 v3, v3, v142
	v_mul_f32_e32 v142, v4, v145
	v_mul_f32_e32 v145, v5, v145
	v_add_f32_e32 v2, v2, v124
	v_add_f32_e32 v3, v3, v118
	s_clause 0x1
	buffer_load_dword v124, off, s[0:3], 0 offset:276
	buffer_load_dword v118, off, s[0:3], 0 offset:284
	v_add_f32_e32 v143, v2, v143
	v_add_f32_e32 v135, v3, v135
	s_waitcnt vmcnt(12)
	v_fmac_f32_e32 v142, v5, v150
	v_fma_f32 v145, v4, v150, -v145
	ds_read_b128 v[2:5], v1 offset:640
	v_add_f32_e32 v143, v143, v144
	s_waitcnt vmcnt(11) lgkmcnt(1)
	v_mul_f32_e32 v148, v108, v151
	v_mul_f32_e32 v150, v109, v151
	v_add_f32_e32 v135, v135, v138
	s_clause 0x3
	buffer_load_dword v138, off, s[0:3], 0 offset:304
	buffer_load_dword v144, off, s[0:3], 0 offset:296
	;; [unrolled: 1-line block ×4, first 2 shown]
	v_fmac_f32_e32 v148, v109, v149
	v_fma_f32 v149, v108, v149, -v150
	v_add_f32_e32 v108, v143, v136
	v_add_f32_e32 v109, v135, v126
	s_waitcnt vmcnt(14)
	v_mul_f32_e32 v126, v110, v152
	v_mul_f32_e32 v135, v111, v152
	s_clause 0x1
	buffer_load_dword v136, off, s[0:3], 0 offset:292
	buffer_load_dword v143, off, s[0:3], 0 offset:300
	v_add_f32_e32 v108, v108, v116
	v_add_f32_e32 v109, v109, v127
	v_fmac_f32_e32 v126, v111, v115
	v_fma_f32 v116, v110, v115, -v135
	buffer_load_dword v150, off, s[0:3], 0 offset:308
	v_add_f32_e32 v115, v108, v139
	v_add_f32_e32 v128, v109, v128
	s_clause 0x3
	buffer_load_dword v127, off, s[0:3], 0 offset:316
	buffer_load_dword v135, off, s[0:3], 0 offset:324
	;; [unrolled: 1-line block ×4, first 2 shown]
	ds_read_b128 v[108:111], v1 offset:656
	v_add_f32_e32 v115, v115, v140
	s_waitcnt vmcnt(20) lgkmcnt(1)
	v_mul_f32_e32 v140, v2, v146
	v_mul_f32_e32 v146, v3, v146
	v_add_f32_e32 v128, v128, v131
	s_waitcnt vmcnt(19)
	v_mul_f32_e32 v131, v4, v147
	v_add_f32_e32 v115, v115, v129
	v_mul_f32_e32 v129, v5, v147
	v_fmac_f32_e32 v140, v3, v114
	v_fma_f32 v146, v2, v114, -v146
	v_add_f32_e32 v2, v128, v119
	v_add_f32_e32 v3, v115, v130
	s_clause 0x3
	buffer_load_dword v128, off, s[0:3], 0 offset:348
	buffer_load_dword v130, off, s[0:3], 0 offset:356
	;; [unrolled: 1-line block ×4, first 2 shown]
	s_waitcnt vmcnt(19)
	v_fmac_f32_e32 v131, v5, v155
	v_fma_f32 v129, v4, v155, -v129
	buffer_load_dword v155, off, s[0:3], 0 offset:380
	v_add_f32_e32 v3, v3, v132
	s_clause 0x4
	buffer_load_dword v132, off, s[0:3], 0 offset:336
	buffer_load_dword v160, off, s[0:3], 0 offset:328
	;; [unrolled: 1-line block ×5, first 2 shown]
	v_add_f32_e32 v2, v2, v7
	s_waitcnt vmcnt(24) lgkmcnt(0)
	v_mul_f32_e32 v115, v109, v125
	v_add_f32_e32 v7, v3, v133
	v_mul_f32_e32 v133, v108, v125
	v_add_f32_e32 v2, v2, v120
	v_fma_f32 v120, v108, v154, -v115
	v_add_f32_e32 v7, v7, v122
	v_fmac_f32_e32 v133, v109, v154
	v_add_f32_e32 v114, v2, v123
	ds_read_b128 v[2:5], v1 offset:672
	v_add_f32_e32 v6, v7, v6
	v_add_f32_e32 v114, v114, v134
	s_clause 0x3
	buffer_load_dword v125, off, s[0:3], 0 offset:368
	buffer_load_dword v134, off, s[0:3], 0 offset:360
	;; [unrolled: 1-line block ×4, first 2 shown]
	v_add_f32_e32 v6, v6, v137
	s_clause 0x1
	buffer_load_dword v137, off, s[0:3], 0 offset:384
	buffer_load_dword v165, off, s[0:3], 0 offset:376
	v_add_f32_e32 v7, v114, v112
	v_add_f32_e32 v6, v6, v141
	buffer_load_dword v141, off, s[0:3], 0 offset:24
	v_add_f32_e32 v7, v7, v113
	ds_read_b128 v[112:115], v1 offset:704
	v_add_f32_e32 v6, v6, v157
	v_add_f32_e32 v7, v7, v121
	;; [unrolled: 1-line block ×14, first 2 shown]
	s_waitcnt vmcnt(30)
	v_mul_f32_e32 v166, v110, v8
	v_mul_f32_e32 v8, v111, v8
	v_fmac_f32_e32 v166, v111, v153
	v_fma_f32 v8, v110, v153, -v8
	ds_read_b128 v[108:111], v1 offset:688
	s_waitcnt vmcnt(29) lgkmcnt(2)
	v_mul_f32_e32 v119, v3, v124
	v_mul_f32_e32 v142, v2, v124
	s_waitcnt vmcnt(28)
	v_mul_f32_e32 v124, v4, v118
	v_mul_f32_e32 v118, v5, v118
	v_add_f32_e32 v8, v7, v8
	v_fma_f32 v145, v2, v117, -v119
	v_fmac_f32_e32 v142, v3, v117
	v_add_f32_e32 v131, v131, v166
	v_add_f32_e32 v8, v8, v145
	;; [unrolled: 1-line block ×3, first 2 shown]
	s_waitcnt vmcnt(24)
	v_fma_f32 v148, v4, v158, -v118
	v_fmac_f32_e32 v124, v5, v158
	ds_read_b128 v[2:5], v1 offset:720
	ds_read_b128 v[116:119], v1 offset:736
	ds_read_b64 v[6:7], v1 offset:784
	v_add_f32_e32 v8, v8, v148
	v_add_f32_e32 v124, v131, v124
	s_waitcnt vmcnt(23) lgkmcnt(3)
	v_mul_f32_e32 v121, v109, v136
	v_mul_f32_e32 v126, v108, v136
	s_waitcnt vmcnt(22)
	v_mul_f32_e32 v136, v110, v143
	v_mul_f32_e32 v129, v111, v143
	v_fma_f32 v140, v108, v151, -v121
	v_fmac_f32_e32 v126, v109, v151
	v_fmac_f32_e32 v136, v111, v144
	v_fma_f32 v129, v110, v144, -v129
	s_waitcnt vmcnt(21)
	v_mul_f32_e32 v144, v113, v150
	v_add_f32_e32 v8, v8, v140
	v_mul_f32_e32 v133, v112, v150
	v_add_f32_e32 v124, v124, v126
	s_waitcnt vmcnt(20)
	v_mul_f32_e32 v143, v114, v127
	v_mul_f32_e32 v127, v115, v127
	v_fma_f32 v112, v112, v138, -v144
	v_add_f32_e32 v8, v8, v129
	v_fmac_f32_e32 v133, v113, v138
	v_add_f32_e32 v124, v124, v136
	ds_read_b128 v[120:123], v1 offset:752
	ds_read_b128 v[108:111], v1 offset:768
	s_waitcnt vmcnt(19) lgkmcnt(4)
	v_mul_f32_e32 v142, v2, v135
	v_mul_f32_e32 v135, v3, v135
	v_add_f32_e32 v8, v8, v112
	v_add_f32_e32 v112, v124, v133
	s_waitcnt vmcnt(18)
	v_mul_f32_e32 v145, v4, v139
	s_waitcnt vmcnt(9)
	v_fmac_f32_e32 v142, v3, v161
	s_waitcnt vmcnt(8)
	v_fma_f32 v114, v114, v162, -v127
	v_fmac_f32_e32 v143, v115, v162
	v_mul_f32_e32 v115, v5, v139
	v_fma_f32 v2, v2, v161, -v135
	s_waitcnt lgkmcnt(3)
	v_mul_f32_e32 v146, v116, v152
	v_add_f32_e32 v3, v8, v114
	v_add_f32_e32 v8, v112, v143
	v_mul_f32_e32 v112, v117, v152
	v_fma_f32 v4, v4, v160, -v115
	v_fmac_f32_e32 v145, v5, v160
	v_add_f32_e32 v2, v3, v2
	v_add_f32_e32 v3, v8, v142
	v_mul_f32_e32 v5, v119, v128
	v_fma_f32 v8, v116, v132, -v112
	v_mul_f32_e32 v131, v118, v128
	v_add_f32_e32 v2, v2, v4
	v_fmac_f32_e32 v146, v117, v132
	v_add_f32_e32 v3, v3, v145
	s_waitcnt lgkmcnt(1)
	v_mul_f32_e32 v4, v121, v130
	s_waitcnt vmcnt(3)
	v_fma_f32 v5, v118, v164, -v5
	v_add_f32_e32 v2, v2, v8
	v_mul_f32_e32 v140, v120, v130
	v_fmac_f32_e32 v131, v119, v164
	v_add_f32_e32 v3, v3, v146
	v_mul_f32_e32 v8, v123, v147
	v_fma_f32 v4, v120, v154, -v4
	v_add_f32_e32 v2, v2, v5
	v_mul_f32_e32 v113, v122, v147
	v_fmac_f32_e32 v140, v121, v154
	v_add_f32_e32 v3, v3, v131
	s_waitcnt lgkmcnt(0)
	v_mul_f32_e32 v5, v109, v159
	v_fma_f32 v8, v122, v134, -v8
	v_add_f32_e32 v2, v2, v4
	v_mul_f32_e32 v126, v108, v159
	v_fmac_f32_e32 v113, v123, v134
	v_add_f32_e32 v3, v3, v140
	v_mul_f32_e32 v4, v111, v155
	v_fma_f32 v5, v108, v125, -v5
	v_add_f32_e32 v2, v2, v8
	v_mul_f32_e32 v129, v110, v155
	v_fmac_f32_e32 v126, v109, v125
	v_add_f32_e32 v3, v3, v113
	v_mul_f32_e32 v8, v7, v163
	s_waitcnt vmcnt(1)
	v_fma_f32 v4, v110, v165, -v4
	v_add_f32_e32 v2, v2, v5
	v_mul_f32_e32 v136, v6, v163
	v_fmac_f32_e32 v129, v111, v165
	v_add_f32_e32 v3, v3, v126
	v_fma_f32 v5, v6, v137, -v8
	v_add_f32_e32 v2, v2, v4
	v_fmac_f32_e32 v136, v7, v137
	v_add_f32_e32 v3, v3, v129
	v_add_f32_e32 v2, v2, v5
	;; [unrolled: 1-line block ×3, first 2 shown]
	s_waitcnt vmcnt(0)
	v_sub_f32_e32 v2, v141, v2
	v_sub_f32_e32 v3, v156, v3
	buffer_store_dword v2, off, s[0:3], 0 offset:24
	buffer_store_dword v3, off, s[0:3], 0 offset:28
	v_cmpx_lt_u32_e32 2, v0
	s_cbranch_execz .LBB112_303
; %bb.302:
	s_clause 0x1
	buffer_load_dword v2, off, s[0:3], 0 offset:16
	buffer_load_dword v3, off, s[0:3], 0 offset:20
	buffer_store_dword v1, off, s[0:3], 0 offset:16
	buffer_store_dword v1, off, s[0:3], 0 offset:20
	s_waitcnt vmcnt(0)
	ds_write_b64 v107, v[2:3]
.LBB112_303:
	s_or_b32 exec_lo, exec_lo, s4
	s_waitcnt lgkmcnt(0)
	s_waitcnt_vscnt null, 0x0
	s_barrier
	buffer_gl0_inv
	s_clause 0x2c
	buffer_load_dword v146, off, s[0:3], 0 offset:28
	buffer_load_dword v147, off, s[0:3], 0 offset:36
	;; [unrolled: 1-line block ×45, first 2 shown]
	ds_read2_b64 v[138:141], v1 offset0:53 offset1:54
	ds_read2_b64 v[142:145], v1 offset0:55 offset1:56
	buffer_load_dword v156, off, s[0:3], 0 offset:20
	s_mov_b32 s4, exec_lo
	s_waitcnt vmcnt(45) lgkmcnt(1)
	v_mul_f32_e32 v154, v139, v146
	v_mul_f32_e32 v146, v138, v146
	s_waitcnt vmcnt(44)
	v_mul_f32_e32 v155, v140, v147
	v_mul_f32_e32 v147, v141, v147
	s_waitcnt vmcnt(41)
	v_fma_f32 v154, v138, v136, -v154
	v_fmac_f32_e32 v146, v139, v136
	v_fmac_f32_e32 v155, v141, v132
	v_fma_f32 v147, v140, v132, -v147
	ds_read2_b64 v[138:141], v1 offset0:57 offset1:58
	s_waitcnt vmcnt(40) lgkmcnt(1)
	v_mul_f32_e32 v157, v142, v131
	v_mul_f32_e32 v131, v143, v131
	s_waitcnt vmcnt(39)
	v_mul_f32_e32 v158, v144, v129
	v_mul_f32_e32 v129, v145, v129
	v_fmac_f32_e32 v157, v143, v118
	v_fma_f32 v118, v142, v118, -v131
	s_waitcnt vmcnt(35)
	v_fmac_f32_e32 v158, v145, v137
	v_fma_f32 v159, v144, v137, -v129
	ds_read2_b64 v[142:145], v1 offset0:59 offset1:60
	s_waitcnt vmcnt(34) lgkmcnt(1)
	v_mul_f32_e32 v160, v138, v135
	v_mul_f32_e32 v129, v139, v135
	s_waitcnt vmcnt(33)
	v_mul_f32_e32 v161, v140, v134
	v_mul_f32_e32 v131, v141, v134
	ds_read2_b64 v[134:137], v1 offset0:61 offset1:62
	v_fmac_f32_e32 v160, v139, v126
	v_fma_f32 v126, v138, v126, -v129
	v_fmac_f32_e32 v161, v141, v121
	v_fma_f32 v162, v140, v121, -v131
	ds_read2_b64 v[138:141], v1 offset0:63 offset1:64
	s_waitcnt vmcnt(32) lgkmcnt(2)
	v_mul_f32_e32 v163, v142, v125
	v_mul_f32_e32 v121, v143, v125
	s_waitcnt vmcnt(31)
	v_mul_f32_e32 v125, v144, v123
	v_mul_f32_e32 v123, v145, v123
	v_fmac_f32_e32 v163, v143, v108
	v_fma_f32 v142, v142, v108, -v121
	s_waitcnt vmcnt(27)
	v_fmac_f32_e32 v125, v145, v133
	v_fma_f32 v143, v144, v133, -v123
	s_waitcnt vmcnt(26) lgkmcnt(1)
	v_mul_f32_e32 v144, v134, v130
	v_mul_f32_e32 v108, v135, v130
	s_waitcnt vmcnt(25)
	v_mul_f32_e32 v145, v136, v128
	v_mul_f32_e32 v121, v137, v128
	ds_read2_b64 v[128:131], v1 offset0:65 offset1:66
	v_fmac_f32_e32 v144, v135, v119
	v_fma_f32 v119, v134, v119, -v108
	ds_read2_b64 v[132:135], v1 offset0:67 offset1:68
	v_fmac_f32_e32 v145, v137, v113
	v_fma_f32 v136, v136, v113, -v121
	s_waitcnt vmcnt(24) lgkmcnt(2)
	v_mul_f32_e32 v137, v138, v117
	v_mul_f32_e32 v108, v139, v117
	s_waitcnt vmcnt(23)
	v_mul_f32_e32 v117, v140, v115
	v_mul_f32_e32 v113, v141, v115
	v_fmac_f32_e32 v137, v139, v4
	v_fma_f32 v138, v138, v4, -v108
	s_waitcnt vmcnt(19)
	v_fmac_f32_e32 v117, v141, v127
	v_fma_f32 v127, v140, v127, -v113
	s_waitcnt vmcnt(18) lgkmcnt(1)
	v_mul_f32_e32 v139, v128, v124
	s_waitcnt vmcnt(17)
	v_mul_f32_e32 v140, v130, v122
	v_mul_f32_e32 v108, v131, v122
	;; [unrolled: 1-line block ×3, first 2 shown]
	ds_read2_b64 v[121:124], v1 offset0:69 offset1:70
	v_fmac_f32_e32 v139, v129, v112
	v_fmac_f32_e32 v140, v131, v109
	v_fma_f32 v129, v130, v109, -v108
	s_waitcnt vmcnt(15) lgkmcnt(1)
	v_mul_f32_e32 v131, v134, v110
	v_mul_f32_e32 v108, v135, v110
	v_fma_f32 v128, v128, v112, -v4
	v_mul_f32_e32 v130, v132, v111
	v_mul_f32_e32 v4, v133, v111
	s_waitcnt vmcnt(11)
	v_fmac_f32_e32 v131, v135, v120
	v_fma_f32 v120, v134, v120, -v108
	ds_read2_b64 v[108:111], v1 offset0:71 offset1:72
	v_fmac_f32_e32 v130, v133, v3
	v_fma_f32 v132, v132, v3, -v4
	s_waitcnt vmcnt(10) lgkmcnt(1)
	v_mul_f32_e32 v133, v121, v116
	v_mul_f32_e32 v3, v122, v116
	s_waitcnt vmcnt(9)
	v_mul_f32_e32 v4, v124, v114
	v_mul_f32_e32 v116, v123, v114
	ds_read2_b64 v[112:115], v1 offset0:73 offset1:74
	v_fmac_f32_e32 v133, v122, v8
	v_fma_f32 v8, v121, v8, -v3
	v_fma_f32 v121, v123, v5, -v4
	v_fmac_f32_e32 v116, v124, v5
	s_waitcnt vmcnt(8) lgkmcnt(1)
	v_mul_f32_e32 v122, v108, v7
	v_mul_f32_e32 v3, v109, v7
	s_waitcnt vmcnt(7)
	v_mul_f32_e32 v7, v110, v6
	v_mul_f32_e32 v4, v111, v6
	buffer_load_dword v6, off, s[0:3], 0 offset:204
	v_fmac_f32_e32 v122, v109, v2
	v_fma_f32 v123, v108, v2, -v3
	s_waitcnt vmcnt(4)
	v_fmac_f32_e32 v7, v111, v151
	v_fma_f32 v124, v110, v151, -v4
	buffer_load_dword v110, off, s[0:3], 0 offset:212
	ds_read2_b64 v[2:5], v1 offset0:75 offset1:76
	s_waitcnt vmcnt(4) lgkmcnt(1)
	v_mul_f32_e32 v134, v112, v152
	v_mul_f32_e32 v108, v113, v152
	s_waitcnt vmcnt(3)
	v_mul_f32_e32 v135, v114, v153
	v_mul_f32_e32 v109, v115, v153
	v_fmac_f32_e32 v134, v113, v150
	v_fma_f32 v112, v112, v150, -v108
	v_fmac_f32_e32 v135, v115, v149
	v_fma_f32 v113, v114, v149, -v109
	s_clause 0x5
	buffer_load_dword v114, off, s[0:3], 0 offset:232
	buffer_load_dword v115, off, s[0:3], 0 offset:224
	;; [unrolled: 1-line block ×6, first 2 shown]
	v_add_f32_e32 v108, 0, v154
	v_add_f32_e32 v109, 0, v146
	;; [unrolled: 1-line block ×3, first 2 shown]
	buffer_load_dword v147, off, s[0:3], 0 offset:236
	v_add_f32_e32 v109, v109, v155
	v_add_f32_e32 v108, v108, v118
	s_clause 0x4
	buffer_load_dword v118, off, s[0:3], 0 offset:244
	buffer_load_dword v146, off, s[0:3], 0 offset:264
	;; [unrolled: 1-line block ×5, first 2 shown]
	v_add_f32_e32 v109, v109, v157
	v_add_f32_e32 v108, v108, v159
	v_add_f32_e32 v109, v109, v158
	v_add_f32_e32 v108, v108, v126
	s_clause 0x2
	buffer_load_dword v126, off, s[0:3], 0 offset:252
	buffer_load_dword v155, off, s[0:3], 0 offset:260
	;; [unrolled: 1-line block ×3, first 2 shown]
	v_add_f32_e32 v109, v109, v160
	v_add_f32_e32 v108, v108, v162
	;; [unrolled: 1-line block ×5, first 2 shown]
	s_waitcnt vmcnt(16) lgkmcnt(0)
	v_mul_f32_e32 v158, v2, v6
	v_mul_f32_e32 v6, v3, v6
	v_fmac_f32_e32 v158, v3, v148
	v_fma_f32 v6, v2, v148, -v6
	v_add_f32_e32 v2, v108, v143
	v_add_f32_e32 v3, v109, v125
	s_waitcnt vmcnt(15)
	v_mul_f32_e32 v142, v4, v110
	v_mul_f32_e32 v159, v5, v110
	ds_read2_b64 v[108:111], v1 offset0:77 offset1:78
	v_add_f32_e32 v2, v2, v119
	v_add_f32_e32 v3, v3, v144
	s_waitcnt vmcnt(11)
	v_fmac_f32_e32 v142, v5, v149
	v_add_f32_e32 v2, v2, v136
	v_add_f32_e32 v3, v3, v145
	v_fma_f32 v125, v4, v149, -v159
	s_clause 0x4
	buffer_load_dword v119, off, s[0:3], 0 offset:276
	buffer_load_dword v143, off, s[0:3], 0 offset:296
	;; [unrolled: 1-line block ×5, first 2 shown]
	v_add_f32_e32 v2, v2, v138
	v_add_f32_e32 v3, v3, v137
	s_clause 0x2
	buffer_load_dword v136, off, s[0:3], 0 offset:284
	buffer_load_dword v137, off, s[0:3], 0 offset:292
	;; [unrolled: 1-line block ×3, first 2 shown]
	v_add_f32_e32 v127, v2, v127
	v_add_f32_e32 v117, v3, v117
	ds_read2_b64 v[2:5], v1 offset0:79 offset1:80
	s_waitcnt vmcnt(18) lgkmcnt(1)
	v_mul_f32_e32 v145, v108, v150
	v_add_f32_e32 v127, v127, v128
	v_add_f32_e32 v117, v117, v139
	v_mul_f32_e32 v150, v109, v150
	s_waitcnt vmcnt(17)
	v_mul_f32_e32 v139, v111, v151
	v_fmac_f32_e32 v145, v109, v141
	v_add_f32_e32 v109, v127, v129
	v_add_f32_e32 v117, v117, v140
	v_mul_f32_e32 v128, v110, v151
	v_fma_f32 v127, v108, v141, -v150
	v_fma_f32 v129, v110, v115, -v139
	v_add_f32_e32 v108, v109, v132
	v_add_f32_e32 v109, v117, v130
	s_clause 0x7
	buffer_load_dword v130, off, s[0:3], 0 offset:308
	buffer_load_dword v132, off, s[0:3], 0 offset:316
	;; [unrolled: 1-line block ×8, first 2 shown]
	v_fmac_f32_e32 v128, v111, v115
	v_add_f32_e32 v108, v108, v120
	v_add_f32_e32 v109, v109, v131
	s_waitcnt vmcnt(24) lgkmcnt(0)
	v_mul_f32_e32 v117, v2, v147
	v_mul_f32_e32 v110, v3, v147
	s_clause 0x3
	buffer_load_dword v131, off, s[0:3], 0 offset:340
	buffer_load_dword v147, off, s[0:3], 0 offset:348
	;; [unrolled: 1-line block ×4, first 2 shown]
	v_fmac_f32_e32 v117, v3, v114
	v_fma_f32 v120, v2, v114, -v110
	v_add_f32_e32 v2, v108, v8
	v_add_f32_e32 v108, v109, v133
	s_waitcnt vmcnt(27)
	v_mul_f32_e32 v133, v4, v118
	v_mul_f32_e32 v3, v5, v118
	s_clause 0x1
	buffer_load_dword v8, off, s[0:3], 0 offset:372
	buffer_load_dword v162, off, s[0:3], 0 offset:380
	v_add_f32_e32 v109, v2, v121
	buffer_load_dword v163, off, s[0:3], 0 offset:388
	s_waitcnt vmcnt(26)
	v_fmac_f32_e32 v133, v5, v154
	v_fma_f32 v121, v4, v154, -v3
	ds_read2_b64 v[2:5], v1 offset0:81 offset1:82
	v_add_f32_e32 v108, v108, v116
	v_add_f32_e32 v109, v109, v123
	s_clause 0x3
	buffer_load_dword v154, off, s[0:3], 0 offset:360
	buffer_load_dword v164, off, s[0:3], 0 offset:352
	;; [unrolled: 1-line block ×4, first 2 shown]
	v_add_f32_e32 v108, v108, v122
	v_add_f32_e32 v109, v109, v124
	;; [unrolled: 1-line block ×4, first 2 shown]
	ds_read2_b64 v[108:111], v1 offset0:83 offset1:84
	v_add_f32_e32 v7, v7, v134
	v_add_f32_e32 v112, v112, v113
	s_waitcnt vmcnt(29) lgkmcnt(1)
	v_mul_f32_e32 v122, v2, v126
	v_mul_f32_e32 v113, v3, v126
	s_waitcnt vmcnt(28)
	v_mul_f32_e32 v124, v4, v155
	v_fmac_f32_e32 v122, v3, v153
	v_fma_f32 v123, v2, v153, -v113
	v_add_f32_e32 v2, v7, v135
	v_add_f32_e32 v3, v112, v6
	s_clause 0x3
	buffer_load_dword v6, off, s[0:3], 0 offset:384
	buffer_load_dword v7, off, s[0:3], 0 offset:376
	;; [unrolled: 1-line block ×4, first 2 shown]
	v_mul_f32_e32 v112, v5, v155
	v_add_f32_e32 v2, v2, v158
	v_add_f32_e32 v3, v3, v125
	v_fmac_f32_e32 v124, v5, v152
	s_waitcnt vmcnt(31) lgkmcnt(0)
	v_mul_f32_e32 v126, v109, v157
	v_fma_f32 v125, v4, v152, -v112
	v_add_f32_e32 v113, v2, v142
	v_add_f32_e32 v116, v3, v127
	ds_read2_b64 v[2:5], v1 offset0:85 offset1:86
	v_fma_f32 v126, v108, v146, -v126
	v_add_f32_e32 v118, v113, v145
	ds_read2_b64 v[112:115], v1 offset0:87 offset1:88
	v_add_f32_e32 v116, v116, v129
	v_mul_f32_e32 v129, v108, v157
	v_add_f32_e32 v118, v118, v128
	v_add_f32_e32 v120, v116, v120
	v_fmac_f32_e32 v129, v109, v146
	v_add_f32_e32 v127, v118, v117
	v_add_f32_e32 v120, v120, v121
	;; [unrolled: 1-line block ×6, first 2 shown]
	s_waitcnt vmcnt(30)
	v_mul_f32_e32 v128, v110, v119
	v_mul_f32_e32 v119, v111, v119
	s_waitcnt vmcnt(26)
	v_fmac_f32_e32 v128, v111, v149
	s_waitcnt vmcnt(25) lgkmcnt(1)
	v_mul_f32_e32 v145, v2, v136
	v_mul_f32_e32 v121, v3, v136
	s_waitcnt vmcnt(24)
	v_mul_f32_e32 v133, v4, v137
	v_mul_f32_e32 v136, v5, v137
	s_waitcnt vmcnt(23) lgkmcnt(0)
	v_mul_f32_e32 v137, v112, v138
	v_fma_f32 v142, v110, v149, -v119
	v_mul_f32_e32 v138, v113, v138
	v_fmac_f32_e32 v133, v5, v144
	v_fma_f32 v136, v4, v144, -v136
	v_add_f32_e32 v144, v127, v124
	v_fmac_f32_e32 v137, v113, v143
	v_add_f32_e32 v113, v125, v126
	ds_read2_b64 v[108:111], v1 offset0:89 offset1:90
	ds_read2_b64 v[116:119], v1 offset0:91 offset1:92
	v_fmac_f32_e32 v145, v3, v148
	v_fma_f32 v146, v2, v148, -v121
	ds_read2_b64 v[2:5], v1 offset0:93 offset1:94
	ds_read2_b64 v[120:123], v1 offset0:95 offset1:96
	;; [unrolled: 1-line block ×3, first 2 shown]
	v_add_f32_e32 v1, v144, v129
	v_add_f32_e32 v113, v113, v142
	v_fma_f32 v112, v112, v143, -v138
	s_waitcnt vmcnt(22)
	v_mul_f32_e32 v129, v114, v130
	v_mul_f32_e32 v130, v115, v130
	v_add_f32_e32 v1, v1, v128
	v_add_f32_e32 v113, v113, v146
	s_waitcnt vmcnt(15)
	v_fmac_f32_e32 v129, v115, v159
	v_fma_f32 v114, v114, v159, -v130
	v_add_f32_e32 v1, v1, v145
	v_add_f32_e32 v113, v113, v136
	s_waitcnt lgkmcnt(4)
	v_mul_f32_e32 v138, v108, v132
	v_add_f32_e32 v1, v1, v133
	v_mul_f32_e32 v132, v109, v132
	v_add_f32_e32 v112, v113, v112
	v_mul_f32_e32 v133, v111, v139
	v_fmac_f32_e32 v138, v109, v151
	v_add_f32_e32 v1, v1, v137
	v_fma_f32 v108, v108, v151, -v132
	v_add_f32_e32 v109, v112, v114
	v_mul_f32_e32 v128, v110, v139
	s_waitcnt lgkmcnt(3)
	v_mul_f32_e32 v112, v117, v140
	v_add_f32_e32 v1, v1, v129
	v_fma_f32 v110, v110, v150, -v133
	v_add_f32_e32 v108, v109, v108
	v_mul_f32_e32 v115, v116, v140
	v_fmac_f32_e32 v128, v111, v150
	v_add_f32_e32 v1, v1, v138
	s_waitcnt vmcnt(14)
	v_mul_f32_e32 v109, v119, v131
	v_fma_f32 v111, v116, v141, -v112
	v_add_f32_e32 v108, v108, v110
	v_mul_f32_e32 v130, v118, v131
	v_fmac_f32_e32 v115, v117, v141
	v_add_f32_e32 v1, v1, v128
	s_waitcnt vmcnt(13) lgkmcnt(2)
	v_mul_f32_e32 v142, v2, v147
	v_mul_f32_e32 v110, v3, v147
	s_waitcnt vmcnt(4)
	v_fma_f32 v109, v118, v166, -v109
	v_add_f32_e32 v108, v108, v111
	v_fmac_f32_e32 v130, v119, v166
	v_add_f32_e32 v1, v1, v115
	v_mul_f32_e32 v111, v5, v160
	v_fmac_f32_e32 v142, v3, v165
	v_fma_f32 v2, v2, v165, -v110
	v_add_f32_e32 v3, v108, v109
	v_mul_f32_e32 v143, v4, v160
	v_add_f32_e32 v1, v1, v130
	s_waitcnt lgkmcnt(1)
	v_mul_f32_e32 v108, v121, v161
	v_fma_f32 v4, v4, v164, -v111
	v_add_f32_e32 v2, v3, v2
	v_mul_f32_e32 v144, v120, v161
	v_fmac_f32_e32 v143, v5, v164
	v_add_f32_e32 v1, v1, v142
	v_mul_f32_e32 v3, v123, v8
	v_fma_f32 v5, v120, v154, -v108
	v_add_f32_e32 v2, v2, v4
	v_mul_f32_e32 v136, v122, v8
	v_fmac_f32_e32 v144, v121, v154
	v_add_f32_e32 v1, v1, v143
	s_waitcnt lgkmcnt(0)
	v_mul_f32_e32 v4, v125, v162
	s_waitcnt vmcnt(1)
	v_fma_f32 v3, v122, v134, -v3
	v_add_f32_e32 v2, v2, v5
	v_mul_f32_e32 v139, v124, v162
	v_fmac_f32_e32 v136, v123, v134
	v_add_f32_e32 v1, v1, v144
	v_mul_f32_e32 v5, v127, v163
	v_fma_f32 v4, v124, v7, -v4
	v_add_f32_e32 v2, v2, v3
	v_mul_f32_e32 v113, v126, v163
	v_fmac_f32_e32 v139, v125, v7
	v_add_f32_e32 v1, v1, v136
	v_fma_f32 v3, v126, v6, -v5
	v_add_f32_e32 v2, v2, v4
	v_fmac_f32_e32 v113, v127, v6
	v_add_f32_e32 v1, v1, v139
	v_add_f32_e32 v2, v2, v3
	;; [unrolled: 1-line block ×3, first 2 shown]
	s_waitcnt vmcnt(0)
	v_sub_f32_e32 v2, v135, v2
	v_sub_f32_e32 v1, v156, v1
	buffer_store_dword v2, off, s[0:3], 0 offset:16
	buffer_store_dword v1, off, s[0:3], 0 offset:20
	v_cmpx_lt_u32_e32 1, v0
	s_cbranch_execz .LBB112_305
; %bb.304:
	s_clause 0x1
	buffer_load_dword v1, off, s[0:3], 0 offset:8
	buffer_load_dword v2, off, s[0:3], 0 offset:12
	v_mov_b32_e32 v3, 0
	buffer_store_dword v3, off, s[0:3], 0 offset:8
	buffer_store_dword v3, off, s[0:3], 0 offset:12
	s_waitcnt vmcnt(0)
	ds_write_b64 v107, v[1:2]
.LBB112_305:
	s_or_b32 exec_lo, exec_lo, s4
	s_waitcnt lgkmcnt(0)
	s_waitcnt_vscnt null, 0x0
	s_barrier
	buffer_gl0_inv
	s_clause 0x2c
	buffer_load_dword v138, off, s[0:3], 0 offset:20
	buffer_load_dword v139, off, s[0:3], 0 offset:28
	;; [unrolled: 1-line block ×45, first 2 shown]
	v_mov_b32_e32 v1, 0
	ds_read_b128 v[147:150], v1 offset:416
	ds_read_b128 v[151:154], v1 offset:432
	buffer_load_dword v156, off, s[0:3], 0 offset:12
	s_mov_b32 s4, exec_lo
	s_waitcnt vmcnt(45) lgkmcnt(1)
	v_mul_f32_e32 v140, v147, v138
	v_mul_f32_e32 v155, v148, v138
	s_waitcnt vmcnt(44)
	v_mul_f32_e32 v138, v149, v139
	v_mul_f32_e32 v139, v150, v139
	s_waitcnt vmcnt(41)
	v_fmac_f32_e32 v140, v148, v109
	v_fma_f32 v155, v147, v109, -v155
	v_fmac_f32_e32 v138, v150, v7
	v_fma_f32 v139, v149, v7, -v139
	ds_read_b128 v[147:150], v1 offset:448
	s_waitcnt vmcnt(40) lgkmcnt(1)
	v_mul_f32_e32 v157, v151, v4
	s_waitcnt vmcnt(39)
	v_mul_f32_e32 v158, v153, v5
	v_mul_f32_e32 v4, v152, v4
	;; [unrolled: 1-line block ×3, first 2 shown]
	v_fmac_f32_e32 v157, v152, v2
	s_waitcnt vmcnt(35)
	v_fmac_f32_e32 v158, v154, v112
	v_fma_f32 v159, v151, v2, -v4
	v_fma_f32 v112, v153, v112, -v5
	ds_read_b128 v[151:154], v1 offset:464
	s_waitcnt vmcnt(34) lgkmcnt(1)
	v_mul_f32_e32 v160, v147, v111
	s_waitcnt vmcnt(33)
	v_mul_f32_e32 v161, v149, v110
	v_mul_f32_e32 v4, v150, v110
	;; [unrolled: 1-line block ×3, first 2 shown]
	v_fmac_f32_e32 v160, v148, v108
	v_fmac_f32_e32 v161, v150, v6
	v_fma_f32 v148, v149, v6, -v4
	ds_read_b128 v[4:7], v1 offset:480
	v_fma_f32 v147, v147, v108, -v2
	s_waitcnt vmcnt(32) lgkmcnt(1)
	v_mul_f32_e32 v149, v151, v8
	v_mul_f32_e32 v2, v152, v8
	s_waitcnt vmcnt(31)
	v_mul_f32_e32 v8, v153, v113
	v_mul_f32_e32 v108, v154, v113
	v_fmac_f32_e32 v149, v152, v3
	v_fma_f32 v113, v151, v3, -v2
	s_waitcnt vmcnt(27)
	v_fmac_f32_e32 v8, v154, v121
	v_fma_f32 v121, v153, v121, -v108
	ds_read_b128 v[108:111], v1 offset:496
	buffer_load_dword v151, off, s[0:3], 0 offset:204
	s_waitcnt vmcnt(27) lgkmcnt(1)
	v_mul_f32_e32 v150, v4, v119
	v_mul_f32_e32 v2, v5, v119
	s_waitcnt vmcnt(26)
	v_mul_f32_e32 v3, v7, v118
	v_mul_f32_e32 v119, v6, v118
	v_fmac_f32_e32 v150, v5, v117
	v_fma_f32 v117, v4, v117, -v2
	v_fma_f32 v6, v6, v115, -v3
	ds_read_b128 v[2:5], v1 offset:512
	v_fmac_f32_e32 v119, v7, v115
	s_waitcnt vmcnt(25) lgkmcnt(1)
	v_mul_f32_e32 v7, v108, v116
	v_mul_f32_e32 v115, v109, v116
	s_waitcnt vmcnt(24)
	v_mul_f32_e32 v116, v110, v120
	v_mul_f32_e32 v118, v111, v120
	v_fmac_f32_e32 v7, v109, v114
	v_fma_f32 v114, v108, v114, -v115
	s_waitcnt vmcnt(20)
	v_fmac_f32_e32 v116, v111, v129
	v_fma_f32 v115, v110, v129, -v118
	ds_read_b128 v[108:111], v1 offset:528
	s_waitcnt vmcnt(19) lgkmcnt(1)
	v_mul_f32_e32 v118, v2, v127
	v_mul_f32_e32 v120, v3, v127
	s_waitcnt vmcnt(18)
	v_mul_f32_e32 v127, v4, v126
	v_mul_f32_e32 v126, v5, v126
	v_fmac_f32_e32 v118, v3, v125
	v_fma_f32 v120, v2, v125, -v120
	v_fmac_f32_e32 v127, v5, v123
	v_fma_f32 v123, v4, v123, -v126
	ds_read_b128 v[2:5], v1 offset:544
	s_waitcnt vmcnt(17) lgkmcnt(1)
	v_mul_f32_e32 v125, v108, v124
	v_mul_f32_e32 v124, v109, v124
	s_waitcnt vmcnt(16)
	v_mul_f32_e32 v126, v110, v128
	v_mul_f32_e32 v128, v111, v128
	v_fmac_f32_e32 v125, v109, v122
	v_fma_f32 v122, v108, v122, -v124
	s_waitcnt vmcnt(12)
	v_fmac_f32_e32 v126, v111, v136
	v_fma_f32 v124, v110, v136, -v128
	ds_read_b128 v[108:111], v1 offset:560
	s_waitcnt vmcnt(11) lgkmcnt(1)
	v_mul_f32_e32 v128, v2, v135
	v_mul_f32_e32 v129, v3, v135
	s_waitcnt vmcnt(10)
	v_mul_f32_e32 v135, v4, v134
	v_mul_f32_e32 v134, v5, v134
	v_fmac_f32_e32 v128, v3, v133
	v_fma_f32 v129, v2, v133, -v129
	v_fmac_f32_e32 v135, v5, v131
	v_fma_f32 v131, v4, v131, -v134
	ds_read_b128 v[2:5], v1 offset:576
	s_waitcnt vmcnt(8) lgkmcnt(1)
	v_mul_f32_e32 v134, v110, v137
	v_mul_f32_e32 v136, v111, v137
	buffer_load_dword v137, off, s[0:3], 0 offset:196
	v_mul_f32_e32 v133, v108, v132
	v_mul_f32_e32 v132, v109, v132
	s_waitcnt vmcnt(5)
	v_fmac_f32_e32 v134, v111, v146
	v_fmac_f32_e32 v133, v109, v130
	v_fma_f32 v130, v108, v130, -v132
	v_fma_f32 v132, v110, v146, -v136
	ds_read_b128 v[108:111], v1 offset:592
	s_waitcnt vmcnt(4) lgkmcnt(1)
	v_mul_f32_e32 v136, v2, v145
	v_mul_f32_e32 v145, v3, v145
	s_waitcnt vmcnt(3)
	v_mul_f32_e32 v146, v4, v144
	v_mul_f32_e32 v144, v5, v144
	v_fmac_f32_e32 v136, v3, v143
	v_fma_f32 v143, v2, v143, -v145
	v_fmac_f32_e32 v146, v5, v142
	v_fma_f32 v142, v4, v142, -v144
	s_clause 0x4
	buffer_load_dword v144, off, s[0:3], 0 offset:224
	buffer_load_dword v145, off, s[0:3], 0 offset:216
	;; [unrolled: 1-line block ×5, first 2 shown]
	s_waitcnt vmcnt(5) lgkmcnt(0)
	v_mul_f32_e32 v154, v108, v137
	v_mul_f32_e32 v3, v109, v137
	v_fmac_f32_e32 v154, v109, v141
	v_fma_f32 v137, v108, v141, -v3
	v_mul_f32_e32 v141, v110, v151
	v_mul_f32_e32 v3, v111, v151
	s_waitcnt vmcnt(1)
	v_fmac_f32_e32 v141, v111, v2
	v_fma_f32 v151, v110, v2, -v3
	ds_read_b128 v[2:5], v1 offset:608
	ds_read_b128 v[108:111], v1 offset:624
	s_waitcnt vmcnt(0) lgkmcnt(1)
	v_mul_f32_e32 v162, v2, v153
	v_mul_f32_e32 v153, v3, v153
	v_fmac_f32_e32 v162, v3, v152
	v_fma_f32 v152, v2, v152, -v153
	buffer_load_dword v2, off, s[0:3], 0 offset:220
	s_waitcnt vmcnt(0)
	v_mul_f32_e32 v153, v4, v2
	v_mul_f32_e32 v2, v5, v2
	v_fmac_f32_e32 v153, v5, v145
	v_fma_f32 v145, v4, v145, -v2
	buffer_load_dword v2, off, s[0:3], 0 offset:228
	s_waitcnt vmcnt(0) lgkmcnt(0)
	v_mul_f32_e32 v163, v108, v2
	v_mul_f32_e32 v2, v109, v2
	v_fmac_f32_e32 v163, v109, v144
	v_fma_f32 v144, v108, v144, -v2
	s_clause 0x5
	buffer_load_dword v2, off, s[0:3], 0 offset:236
	buffer_load_dword v164, off, s[0:3], 0 offset:256
	;; [unrolled: 1-line block ×6, first 2 shown]
	s_waitcnt vmcnt(5)
	v_mul_f32_e32 v167, v110, v2
	v_mul_f32_e32 v2, v111, v2
	s_waitcnt vmcnt(1)
	v_fmac_f32_e32 v167, v111, v3
	v_fma_f32 v168, v110, v3, -v2
	ds_read_b128 v[2:5], v1 offset:640
	ds_read_b128 v[108:111], v1 offset:656
	s_waitcnt vmcnt(0) lgkmcnt(1)
	v_mul_f32_e32 v170, v2, v169
	v_mul_f32_e32 v169, v3, v169
	v_fmac_f32_e32 v170, v3, v166
	v_fma_f32 v166, v2, v166, -v169
	buffer_load_dword v2, off, s[0:3], 0 offset:252
	s_waitcnt vmcnt(0)
	v_mul_f32_e32 v169, v4, v2
	v_mul_f32_e32 v2, v5, v2
	v_fmac_f32_e32 v169, v5, v165
	v_fma_f32 v165, v4, v165, -v2
	buffer_load_dword v2, off, s[0:3], 0 offset:260
	s_waitcnt vmcnt(0) lgkmcnt(0)
	v_mul_f32_e32 v171, v108, v2
	v_mul_f32_e32 v2, v109, v2
	v_fmac_f32_e32 v171, v109, v164
	v_fma_f32 v164, v108, v164, -v2
	s_clause 0x4
	buffer_load_dword v2, off, s[0:3], 0 offset:268
	buffer_load_dword v172, off, s[0:3], 0 offset:288
	;; [unrolled: 1-line block ×5, first 2 shown]
	s_waitcnt vmcnt(4)
	v_mul_f32_e32 v175, v110, v2
	v_mul_f32_e32 v2, v111, v2
	s_waitcnt vmcnt(0)
	v_fmac_f32_e32 v175, v111, v3
	v_fma_f32 v176, v110, v3, -v2
	v_add_f32_e32 v2, 0, v140
	v_add_f32_e32 v3, 0, v155
	;; [unrolled: 1-line block ×8, first 2 shown]
	buffer_load_dword v112, off, s[0:3], 0 offset:276
	v_add_f32_e32 v2, v2, v160
	v_add_f32_e32 v3, v3, v147
	;; [unrolled: 1-line block ×6, first 2 shown]
	buffer_load_dword v113, off, s[0:3], 0 offset:284
	v_add_f32_e32 v2, v2, v8
	v_add_f32_e32 v3, v3, v121
	s_clause 0x1
	buffer_load_dword v8, off, s[0:3], 0 offset:292
	buffer_load_dword v121, off, s[0:3], 0 offset:300
	v_add_f32_e32 v2, v2, v150
	v_add_f32_e32 v3, v3, v117
	;; [unrolled: 1-line block ×4, first 2 shown]
	s_clause 0x6
	buffer_load_dword v138, off, s[0:3], 0 offset:320
	buffer_load_dword v139, off, s[0:3], 0 offset:312
	;; [unrolled: 1-line block ×7, first 2 shown]
	v_add_f32_e32 v2, v2, v7
	v_add_f32_e32 v3, v3, v114
	;; [unrolled: 1-line block ×8, first 2 shown]
	s_clause 0x3
	buffer_load_dword v127, off, s[0:3], 0 offset:332
	buffer_load_dword v150, off, s[0:3], 0 offset:340
	;; [unrolled: 1-line block ×4, first 2 shown]
	v_add_f32_e32 v2, v2, v125
	v_add_f32_e32 v3, v3, v122
	s_clause 0x1
	buffer_load_dword v125, off, s[0:3], 0 offset:364
	buffer_load_dword v158, off, s[0:3], 0 offset:372
	v_add_f32_e32 v2, v2, v126
	v_add_f32_e32 v3, v3, v124
	s_clause 0x1
	buffer_load_dword v126, off, s[0:3], 0 offset:380
	buffer_load_dword v159, off, s[0:3], 0 offset:388
	v_add_f32_e32 v2, v2, v128
	v_add_f32_e32 v3, v3, v129
	;; [unrolled: 1-line block ×3, first 2 shown]
	s_clause 0x3
	buffer_load_dword v124, off, s[0:3], 0 offset:352
	buffer_load_dword v128, off, s[0:3], 0 offset:344
	;; [unrolled: 1-line block ×4, first 2 shown]
	v_add_f32_e32 v3, v3, v131
	v_add_f32_e32 v2, v2, v133
	;; [unrolled: 1-line block ×4, first 2 shown]
	s_clause 0x3
	buffer_load_dword v130, off, s[0:3], 0 offset:384
	buffer_load_dword v131, off, s[0:3], 0 offset:376
	;; [unrolled: 1-line block ×4, first 2 shown]
	v_add_f32_e32 v3, v3, v132
	buffer_load_dword v132, off, s[0:3], 0 offset:8
	v_add_f32_e32 v2, v2, v136
	v_add_f32_e32 v3, v3, v143
	;; [unrolled: 1-line block ×4, first 2 shown]
	ds_read_b128 v[2:5], v1 offset:672
	v_add_f32_e32 v7, v7, v154
	v_add_f32_e32 v108, v108, v137
	;; [unrolled: 1-line block ×6, first 2 shown]
	ds_read_b128 v[108:111], v1 offset:688
	v_add_f32_e32 v7, v7, v153
	v_add_f32_e32 v114, v114, v145
	;; [unrolled: 1-line block ×8, first 2 shown]
	s_waitcnt vmcnt(27) lgkmcnt(1)
	v_mul_f32_e32 v136, v2, v112
	v_mul_f32_e32 v112, v3, v112
	v_fmac_f32_e32 v136, v3, v174
	v_add_f32_e32 v3, v114, v144
	v_fma_f32 v141, v2, v174, -v112
	v_add_f32_e32 v136, v146, v136
	v_add_f32_e32 v120, v3, v168
	s_waitcnt vmcnt(26)
	v_mul_f32_e32 v137, v4, v113
	v_add_f32_e32 v120, v120, v166
	v_mul_f32_e32 v113, v5, v113
	s_waitcnt vmcnt(25) lgkmcnt(0)
	v_mul_f32_e32 v143, v108, v8
	v_mul_f32_e32 v8, v109, v8
	v_add_f32_e32 v120, v120, v165
	v_fmac_f32_e32 v137, v5, v173
	v_fma_f32 v142, v4, v173, -v113
	ds_read_b128 v[2:5], v1 offset:704
	ds_read_b128 v[112:115], v1 offset:720
	v_fma_f32 v8, v108, v172, -v8
	v_add_f32_e32 v108, v120, v164
	s_waitcnt vmcnt(24)
	v_mul_f32_e32 v145, v111, v121
	v_mul_f32_e32 v144, v110, v121
	v_fmac_f32_e32 v143, v109, v172
	v_add_f32_e32 v136, v136, v137
	v_add_f32_e32 v151, v108, v176
	ds_read_b128 v[116:119], v1 offset:736
	ds_read_b128 v[120:123], v1 offset:752
	s_waitcnt vmcnt(20)
	v_fma_f32 v145, v110, v6, -v145
	v_fmac_f32_e32 v144, v111, v6
	v_add_f32_e32 v141, v151, v141
	v_add_f32_e32 v136, v136, v143
	ds_read_b128 v[108:111], v1 offset:768
	ds_read_b64 v[6:7], v1 offset:784
	v_add_f32_e32 v141, v141, v142
	v_add_f32_e32 v136, v136, v144
	s_waitcnt vmcnt(19) lgkmcnt(5)
	v_mul_f32_e32 v152, v2, v147
	v_mul_f32_e32 v147, v3, v147
	s_waitcnt vmcnt(18)
	v_mul_f32_e32 v153, v4, v148
	v_add_f32_e32 v8, v141, v8
	v_mul_f32_e32 v148, v5, v148
	v_fmac_f32_e32 v152, v3, v140
	v_fma_f32 v2, v2, v140, -v147
	s_waitcnt vmcnt(17) lgkmcnt(4)
	v_mul_f32_e32 v146, v112, v149
	v_add_f32_e32 v8, v8, v145
	v_mul_f32_e32 v145, v113, v149
	v_fma_f32 v4, v4, v139, -v148
	v_fmac_f32_e32 v153, v5, v139
	v_add_f32_e32 v5, v136, v152
	v_add_f32_e32 v2, v8, v2
	s_waitcnt vmcnt(16)
	v_mul_f32_e32 v8, v115, v127
	v_fma_f32 v112, v112, v138, -v145
	v_mul_f32_e32 v142, v114, v127
	v_fmac_f32_e32 v146, v113, v138
	v_add_f32_e32 v2, v2, v4
	v_add_f32_e32 v4, v5, v153
	s_waitcnt vmcnt(15) lgkmcnt(3)
	v_mul_f32_e32 v5, v117, v150
	v_mul_f32_e32 v151, v116, v150
	s_waitcnt vmcnt(14)
	v_mul_f32_e32 v137, v118, v155
	v_add_f32_e32 v2, v2, v112
	v_add_f32_e32 v4, v4, v146
	s_waitcnt vmcnt(5)
	v_fma_f32 v8, v114, v135, -v8
	v_fmac_f32_e32 v142, v115, v135
	v_mul_f32_e32 v112, v119, v155
	v_fma_f32 v5, v116, v129, -v5
	v_fmac_f32_e32 v151, v117, v129
	v_add_f32_e32 v2, v2, v8
	v_add_f32_e32 v4, v4, v142
	s_waitcnt lgkmcnt(2)
	v_mul_f32_e32 v8, v121, v157
	v_fma_f32 v112, v118, v128, -v112
	v_mul_f32_e32 v141, v120, v157
	v_add_f32_e32 v2, v2, v5
	v_fmac_f32_e32 v137, v119, v128
	v_add_f32_e32 v4, v4, v151
	v_mul_f32_e32 v5, v123, v125
	v_fma_f32 v8, v120, v124, -v8
	v_add_f32_e32 v2, v2, v112
	v_mul_f32_e32 v3, v122, v125
	v_fmac_f32_e32 v141, v121, v124
	v_add_f32_e32 v4, v4, v137
	s_waitcnt lgkmcnt(1)
	v_mul_f32_e32 v112, v109, v158
	s_waitcnt vmcnt(1)
	v_fma_f32 v5, v122, v134, -v5
	v_add_f32_e32 v2, v2, v8
	v_mul_f32_e32 v140, v108, v158
	v_fmac_f32_e32 v3, v123, v134
	v_add_f32_e32 v4, v4, v141
	v_mul_f32_e32 v8, v111, v126
	v_fma_f32 v108, v108, v133, -v112
	v_add_f32_e32 v2, v2, v5
	v_mul_f32_e32 v143, v110, v126
	v_fmac_f32_e32 v140, v109, v133
	v_add_f32_e32 v3, v4, v3
	s_waitcnt lgkmcnt(0)
	v_mul_f32_e32 v4, v7, v159
	v_fma_f32 v5, v110, v131, -v8
	v_add_f32_e32 v2, v2, v108
	v_mul_f32_e32 v144, v6, v159
	v_fmac_f32_e32 v143, v111, v131
	v_add_f32_e32 v3, v3, v140
	v_fma_f32 v4, v6, v130, -v4
	v_add_f32_e32 v2, v2, v5
	v_fmac_f32_e32 v144, v7, v130
	v_add_f32_e32 v3, v3, v143
	v_add_f32_e32 v2, v2, v4
	v_add_f32_e32 v3, v3, v144
	s_waitcnt vmcnt(0)
	v_sub_f32_e32 v2, v132, v2
	v_sub_f32_e32 v3, v156, v3
	buffer_store_dword v2, off, s[0:3], 0 offset:8
	buffer_store_dword v3, off, s[0:3], 0 offset:12
	v_cmpx_ne_u32_e32 0, v0
	s_cbranch_execz .LBB112_307
; %bb.306:
	s_clause 0x1
	buffer_load_dword v2, off, s[0:3], 0
	buffer_load_dword v3, off, s[0:3], 0 offset:4
	buffer_store_dword v1, off, s[0:3], 0
	buffer_store_dword v1, off, s[0:3], 0 offset:4
	s_waitcnt vmcnt(0)
	ds_write_b64 v107, v[2:3]
.LBB112_307:
	s_or_b32 exec_lo, exec_lo, s4
	s_waitcnt lgkmcnt(0)
	s_waitcnt_vscnt null, 0x0
	s_barrier
	buffer_gl0_inv
	s_clause 0x2c
	buffer_load_dword v137, off, s[0:3], 0 offset:12
	buffer_load_dword v0, off, s[0:3], 0 offset:24
	buffer_load_dword v4, off, s[0:3], 0 offset:16
	buffer_load_dword v107, off, s[0:3], 0 offset:8
	buffer_load_dword v8, off, s[0:3], 0 offset:20
	buffer_load_dword v6, off, s[0:3], 0 offset:28
	buffer_load_dword v3, off, s[0:3], 0 offset:36
	buffer_load_dword v2, off, s[0:3], 0 offset:56
	buffer_load_dword v5, off, s[0:3], 0 offset:48
	buffer_load_dword v108, off, s[0:3], 0 offset:40
	buffer_load_dword v111, off, s[0:3], 0 offset:32
	buffer_load_dword v110, off, s[0:3], 0 offset:44
	buffer_load_dword v109, off, s[0:3], 0 offset:52
	buffer_load_dword v7, off, s[0:3], 0 offset:60
	buffer_load_dword v112, off, s[0:3], 0 offset:68
	buffer_load_dword v113, off, s[0:3], 0 offset:88
	buffer_load_dword v114, off, s[0:3], 0 offset:80
	buffer_load_dword v116, off, s[0:3], 0 offset:72
	buffer_load_dword v120, off, s[0:3], 0 offset:64
	buffer_load_dword v119, off, s[0:3], 0 offset:76
	buffer_load_dword v117, off, s[0:3], 0 offset:84
	buffer_load_dword v115, off, s[0:3], 0 offset:92
	buffer_load_dword v118, off, s[0:3], 0 offset:100
	buffer_load_dword v121, off, s[0:3], 0 offset:120
	buffer_load_dword v122, off, s[0:3], 0 offset:112
	buffer_load_dword v124, off, s[0:3], 0 offset:104
	buffer_load_dword v128, off, s[0:3], 0 offset:96
	buffer_load_dword v127, off, s[0:3], 0 offset:108
	buffer_load_dword v125, off, s[0:3], 0 offset:116
	buffer_load_dword v123, off, s[0:3], 0 offset:124
	buffer_load_dword v126, off, s[0:3], 0 offset:132
	buffer_load_dword v129, off, s[0:3], 0 offset:152
	buffer_load_dword v130, off, s[0:3], 0 offset:144
	buffer_load_dword v132, off, s[0:3], 0 offset:136
	buffer_load_dword v135, off, s[0:3], 0 offset:128
	buffer_load_dword v134, off, s[0:3], 0 offset:140
	buffer_load_dword v133, off, s[0:3], 0 offset:148
	buffer_load_dword v131, off, s[0:3], 0 offset:156
	buffer_load_dword v136, off, s[0:3], 0 offset:164
	buffer_load_dword v138, off, s[0:3], 0 offset:184
	buffer_load_dword v140, off, s[0:3], 0 offset:176
	buffer_load_dword v141, off, s[0:3], 0 offset:168
	buffer_load_dword v144, off, s[0:3], 0 offset:160
	buffer_load_dword v143, off, s[0:3], 0 offset:172
	buffer_load_dword v142, off, s[0:3], 0 offset:180
	ds_read2_b64 v[145:148], v1 offset0:51 offset1:52
	ds_read2_b64 v[149:152], v1 offset0:53 offset1:54
	;; [unrolled: 1-line block ×3, first 2 shown]
	s_and_b32 vcc_lo, exec_lo, s16
	s_waitcnt vmcnt(44) lgkmcnt(2)
	v_mul_f32_e32 v139, v145, v137
	v_mul_f32_e32 v157, v146, v137
	buffer_load_dword v137, off, s[0:3], 0 offset:4
	s_waitcnt vmcnt(41)
	v_mul_f32_e32 v158, v147, v8
	v_mul_f32_e32 v8, v148, v8
	v_fmac_f32_e32 v139, v146, v107
	v_fma_f32 v157, v145, v107, -v157
	s_waitcnt vmcnt(40) lgkmcnt(1)
	v_mul_f32_e32 v159, v149, v6
	v_fmac_f32_e32 v158, v148, v4
	v_fma_f32 v8, v147, v4, -v8
	ds_read2_b64 v[145:148], v1 offset0:57 offset1:58
	v_mul_f32_e32 v4, v150, v6
	s_waitcnt vmcnt(39)
	v_mul_f32_e32 v160, v151, v3
	v_mul_f32_e32 v3, v152, v3
	v_fmac_f32_e32 v159, v150, v0
	s_waitcnt vmcnt(34) lgkmcnt(1)
	v_mul_f32_e32 v162, v153, v110
	v_fma_f32 v0, v149, v0, -v4
	v_fmac_f32_e32 v160, v152, v111
	v_fma_f32 v161, v151, v111, -v3
	v_mul_f32_e32 v3, v154, v110
	ds_read2_b64 v[149:152], v1 offset0:59 offset1:60
	v_fmac_f32_e32 v162, v154, v108
	s_waitcnt vmcnt(33)
	v_mul_f32_e32 v154, v155, v109
	v_fma_f32 v153, v153, v108, -v3
	v_mul_f32_e32 v3, v156, v109
	ds_read2_b64 v[107:110], v1 offset0:63 offset1:64
	v_fmac_f32_e32 v154, v156, v5
	v_fma_f32 v155, v155, v5, -v3
	s_waitcnt vmcnt(32) lgkmcnt(2)
	v_mul_f32_e32 v156, v145, v7
	v_mul_f32_e32 v7, v146, v7
	ds_read2_b64 v[3:6], v1 offset0:61 offset1:62
	v_fmac_f32_e32 v156, v146, v2
	v_fma_f32 v7, v145, v2, -v7
	s_waitcnt vmcnt(31)
	v_mul_f32_e32 v145, v147, v112
	v_mul_f32_e32 v2, v148, v112
	s_waitcnt vmcnt(26) lgkmcnt(2)
	v_mul_f32_e32 v146, v149, v119
	v_fmac_f32_e32 v145, v148, v120
	v_fma_f32 v120, v147, v120, -v2
	v_mul_f32_e32 v2, v150, v119
	s_waitcnt vmcnt(25)
	v_mul_f32_e32 v147, v151, v117
	v_fmac_f32_e32 v146, v150, v116
	v_fma_f32 v119, v149, v116, -v2
	v_mul_f32_e32 v2, v152, v117
	v_fmac_f32_e32 v147, v152, v114
	s_waitcnt vmcnt(24) lgkmcnt(0)
	v_mul_f32_e32 v149, v3, v115
	v_fma_f32 v148, v151, v114, -v2
	v_mul_f32_e32 v2, v4, v115
	ds_read2_b64 v[114:117], v1 offset0:65 offset1:66
	s_waitcnt vmcnt(23)
	v_mul_f32_e32 v151, v5, v118
	s_waitcnt vmcnt(18)
	v_mul_f32_e32 v111, v108, v127
	v_fmac_f32_e32 v149, v4, v113
	v_fma_f32 v150, v3, v113, -v2
	v_mul_f32_e32 v2, v6, v118
	v_mul_f32_e32 v118, v107, v127
	v_fmac_f32_e32 v151, v6, v128
	s_waitcnt vmcnt(17)
	v_mul_f32_e32 v127, v109, v125
	v_fma_f32 v6, v5, v128, -v2
	ds_read2_b64 v[2:5], v1 offset0:67 offset1:68
	v_fmac_f32_e32 v118, v108, v124
	v_fma_f32 v124, v107, v124, -v111
	v_mul_f32_e32 v107, v110, v125
	v_fmac_f32_e32 v127, v110, v122
	v_fma_f32 v122, v109, v122, -v107
	s_waitcnt vmcnt(16) lgkmcnt(1)
	v_mul_f32_e32 v125, v114, v123
	v_mul_f32_e32 v111, v115, v123
	ds_read2_b64 v[107:110], v1 offset0:69 offset1:70
	v_fmac_f32_e32 v125, v115, v121
	v_fma_f32 v115, v114, v121, -v111
	s_waitcnt vmcnt(15)
	v_mul_f32_e32 v111, v117, v126
	v_mul_f32_e32 v121, v116, v126
	s_waitcnt vmcnt(10) lgkmcnt(1)
	v_mul_f32_e32 v123, v3, v134
	v_fma_f32 v116, v116, v135, -v111
	ds_read2_b64 v[111:114], v1 offset0:71 offset1:72
	v_fmac_f32_e32 v121, v117, v135
	v_mul_f32_e32 v117, v2, v134
	v_fma_f32 v123, v2, v132, -v123
	s_waitcnt vmcnt(9)
	v_mul_f32_e32 v126, v4, v133
	v_mul_f32_e32 v2, v5, v133
	v_fmac_f32_e32 v117, v3, v132
	buffer_load_dword v132, off, s[0:3], 0 offset:188
	s_waitcnt vmcnt(8) lgkmcnt(1)
	v_mul_f32_e32 v3, v110, v136
	v_fmac_f32_e32 v126, v5, v130
	v_fma_f32 v128, v4, v130, -v2
	v_mul_f32_e32 v130, v107, v131
	v_mul_f32_e32 v2, v108, v131
	;; [unrolled: 1-line block ×3, first 2 shown]
	s_waitcnt vmcnt(4)
	v_fma_f32 v133, v109, v144, -v3
	buffer_load_dword v109, off, s[0:3], 0 offset:196
	v_fmac_f32_e32 v130, v108, v129
	v_fma_f32 v129, v107, v129, -v2
	ds_read2_b64 v[2:5], v1 offset0:73 offset1:74
	s_waitcnt vmcnt(4) lgkmcnt(1)
	v_mul_f32_e32 v134, v111, v143
	v_mul_f32_e32 v107, v112, v143
	s_waitcnt vmcnt(3)
	v_mul_f32_e32 v135, v113, v142
	v_mul_f32_e32 v108, v114, v142
	v_fmac_f32_e32 v131, v110, v144
	v_fmac_f32_e32 v134, v112, v141
	v_fma_f32 v111, v111, v141, -v107
	v_fmac_f32_e32 v135, v114, v140
	v_fma_f32 v112, v113, v140, -v108
	s_clause 0x7
	buffer_load_dword v113, off, s[0:3], 0 offset:216
	buffer_load_dword v114, off, s[0:3], 0 offset:208
	;; [unrolled: 1-line block ×8, first 2 shown]
	s_waitcnt vmcnt(9) lgkmcnt(0)
	v_mul_f32_e32 v108, v3, v132
	v_mul_f32_e32 v142, v2, v132
	v_fma_f32 v132, v2, v138, -v108
	v_fmac_f32_e32 v142, v3, v138
	v_add_f32_e32 v3, 0, v157
	s_waitcnt vmcnt(8)
	v_mul_f32_e32 v2, v5, v109
	v_mul_f32_e32 v138, v4, v109
	v_add_f32_e32 v3, v3, v8
	v_add_f32_e32 v0, v3, v0
	s_waitcnt vmcnt(4)
	v_fma_f32 v143, v4, v107, -v2
	v_add_f32_e32 v2, 0, v139
	v_fmac_f32_e32 v138, v5, v107
	v_add_f32_e32 v0, v0, v161
	v_add_f32_e32 v2, v2, v158
	s_clause 0x4
	buffer_load_dword v139, off, s[0:3], 0 offset:248
	buffer_load_dword v157, off, s[0:3], 0 offset:240
	;; [unrolled: 1-line block ×5, first 2 shown]
	v_add_f32_e32 v0, v0, v153
	v_add_f32_e32 v2, v2, v159
	buffer_load_dword v159, off, s[0:3], 0 offset:244
	v_add_f32_e32 v0, v0, v155
	v_add_f32_e32 v2, v2, v160
	;; [unrolled: 1-line block ×4, first 2 shown]
	ds_read2_b64 v[2:5], v1 offset0:75 offset1:76
	v_add_f32_e32 v0, v0, v120
	v_add_f32_e32 v107, v107, v154
	buffer_load_dword v154, off, s[0:3], 0 offset:252
	v_add_f32_e32 v0, v0, v119
	v_add_f32_e32 v153, v107, v156
	ds_read2_b64 v[107:110], v1 offset0:77 offset1:78
	v_add_f32_e32 v0, v0, v148
	v_add_f32_e32 v7, v153, v145
	;; [unrolled: 1-line block ×4, first 2 shown]
	s_waitcnt vmcnt(10) lgkmcnt(1)
	v_mul_f32_e32 v145, v2, v140
	v_mul_f32_e32 v140, v3, v140
	s_waitcnt vmcnt(9)
	v_mul_f32_e32 v120, v4, v141
	v_mul_f32_e32 v141, v5, v141
	v_add_f32_e32 v7, v7, v147
	v_fmac_f32_e32 v145, v3, v136
	v_fma_f32 v136, v2, v136, -v140
	v_fmac_f32_e32 v120, v5, v114
	v_fma_f32 v114, v4, v114, -v141
	ds_read2_b64 v[2:5], v1 offset0:79 offset1:80
	s_clause 0x5
	buffer_load_dword v119, off, s[0:3], 0 offset:260
	buffer_load_dword v140, off, s[0:3], 0 offset:268
	;; [unrolled: 1-line block ×6, first 2 shown]
	v_add_f32_e32 v7, v7, v149
	v_add_f32_e32 v0, v0, v6
	s_waitcnt vmcnt(14) lgkmcnt(1)
	v_mul_f32_e32 v149, v107, v144
	v_mul_f32_e32 v144, v108, v144
	s_waitcnt vmcnt(13)
	v_mul_f32_e32 v150, v109, v152
	v_add_f32_e32 v7, v7, v151
	s_clause 0x1
	buffer_load_dword v151, off, s[0:3], 0 offset:276
	buffer_load_dword v153, off, s[0:3], 0 offset:284
	v_mul_f32_e32 v152, v110, v152
	buffer_load_dword v6, off, s[0:3], 0 offset:292
	v_add_f32_e32 v0, v0, v124
	v_add_f32_e32 v7, v7, v118
	v_fmac_f32_e32 v149, v108, v113
	v_fma_f32 v144, v107, v113, -v144
	v_add_f32_e32 v0, v0, v122
	v_add_f32_e32 v7, v7, v127
	;; [unrolled: 1-line block ×15, first 2 shown]
	s_waitcnt vmcnt(12)
	v_fmac_f32_e32 v150, v110, v163
	s_waitcnt vmcnt(11) lgkmcnt(0)
	v_mul_f32_e32 v118, v2, v8
	v_mul_f32_e32 v8, v3, v8
	v_fma_f32 v152, v109, v163, -v152
	ds_read2_b64 v[107:110], v1 offset0:81 offset1:82
	s_clause 0x3
	buffer_load_dword v127, off, s[0:3], 0 offset:312
	buffer_load_dword v155, off, s[0:3], 0 offset:304
	;; [unrolled: 1-line block ×4, first 2 shown]
	v_fmac_f32_e32 v118, v3, v158
	v_fma_f32 v8, v2, v158, -v8
	v_add_f32_e32 v2, v7, v125
	s_clause 0x1
	buffer_load_dword v7, off, s[0:3], 0 offset:300
	buffer_load_dword v158, off, s[0:3], 0 offset:308
	s_waitcnt vmcnt(16)
	v_mul_f32_e32 v122, v4, v159
	v_mul_f32_e32 v3, v5, v159
	buffer_load_dword v159, off, s[0:3], 0 offset:316
	v_add_f32_e32 v2, v2, v121
	v_add_f32_e32 v0, v0, v152
	v_fmac_f32_e32 v122, v5, v157
	v_fma_f32 v121, v4, v157, -v3
	s_clause 0x1
	buffer_load_dword v157, off, s[0:3], 0 offset:324
	buffer_load_dword v160, off, s[0:3], 0 offset:332
	v_add_f32_e32 v2, v2, v117
	s_clause 0x6
	buffer_load_dword v161, off, s[0:3], 0 offset:340
	buffer_load_dword v162, off, s[0:3], 0 offset:348
	;; [unrolled: 1-line block ×7, first 2 shown]
	v_add_f32_e32 v0, v0, v8
	v_add_f32_e32 v2, v2, v126
	s_waitcnt vmcnt(25) lgkmcnt(0)
	v_mul_f32_e32 v112, v108, v154
	v_mul_f32_e32 v123, v107, v154
	v_add_f32_e32 v0, v0, v121
	v_add_f32_e32 v2, v2, v130
	v_fmac_f32_e32 v123, v108, v139
	v_add_f32_e32 v2, v2, v131
	s_clause 0x3
	buffer_load_dword v129, off, s[0:3], 0 offset:344
	buffer_load_dword v130, off, s[0:3], 0 offset:336
	;; [unrolled: 1-line block ×4, first 2 shown]
	v_add_f32_e32 v2, v2, v134
	s_waitcnt vmcnt(28)
	v_mul_f32_e32 v108, v110, v119
	v_mul_f32_e32 v125, v109, v119
	v_add_f32_e32 v2, v2, v135
	s_clause 0x4
	buffer_load_dword v133, off, s[0:3], 0 offset:376
	buffer_load_dword v134, off, s[0:3], 0 offset:368
	;; [unrolled: 1-line block ×5, first 2 shown]
	s_waitcnt vmcnt(28)
	v_fma_f32 v126, v109, v148, -v108
	v_fmac_f32_e32 v125, v110, v148
	v_add_f32_e32 v2, v2, v142
	buffer_load_dword v142, off, s[0:3], 0
	v_add_f32_e32 v2, v2, v138
	v_add_f32_e32 v111, v2, v145
	ds_read2_b64 v[2:5], v1 offset0:83 offset1:84
	v_add_f32_e32 v111, v111, v120
	v_fma_f32 v120, v107, v139, -v112
	v_add_f32_e32 v107, v111, v149
	ds_read2_b64 v[111:114], v1 offset0:85 offset1:86
	v_add_f32_e32 v0, v0, v120
	v_add_f32_e32 v107, v107, v150
	;; [unrolled: 1-line block ×3, first 2 shown]
	s_waitcnt lgkmcnt(1)
	v_mul_f32_e32 v115, v3, v140
	v_mul_f32_e32 v132, v2, v140
	s_waitcnt vmcnt(28)
	v_mul_f32_e32 v8, v4, v151
	v_fma_f32 v136, v2, v147, -v115
	v_add_f32_e32 v2, v107, v118
	ds_read2_b64 v[107:110], v1 offset0:87 offset1:88
	ds_read2_b64 v[115:118], v1 offset0:89 offset1:90
	v_fmac_f32_e32 v132, v3, v147
	v_mul_f32_e32 v3, v5, v151
	s_waitcnt vmcnt(27) lgkmcnt(2)
	v_mul_f32_e32 v138, v111, v153
	v_add_f32_e32 v2, v2, v122
	v_mul_f32_e32 v119, v112, v153
	s_waitcnt vmcnt(26)
	v_mul_f32_e32 v139, v113, v6
	v_mul_f32_e32 v6, v114, v6
	v_fmac_f32_e32 v138, v112, v141
	v_fma_f32 v140, v4, v146, -v3
	v_fma_f32 v141, v111, v141, -v119
	v_add_f32_e32 v111, v2, v123
	v_add_f32_e32 v0, v0, v136
	v_fmac_f32_e32 v8, v5, v146
	ds_read2_b64 v[2:5], v1 offset0:91 offset1:92
	ds_read2_b64 v[119:122], v1 offset0:93 offset1:94
	v_add_f32_e32 v143, v111, v125
	v_add_f32_e32 v0, v0, v140
	;; [unrolled: 1-line block ×3, first 2 shown]
	s_waitcnt vmcnt(22)
	v_fmac_f32_e32 v139, v114, v124
	v_fma_f32 v6, v113, v124, -v6
	ds_read2_b64 v[111:114], v1 offset0:95 offset1:96
	ds_read2_b64 v[123:126], v1 offset0:97 offset1:98
	v_add_f32_e32 v1, v143, v132
	s_waitcnt vmcnt(21) lgkmcnt(5)
	v_mul_f32_e32 v132, v107, v7
	v_mul_f32_e32 v7, v108, v7
	s_waitcnt vmcnt(20)
	v_mul_f32_e32 v143, v110, v158
	v_add_f32_e32 v0, v0, v6
	v_add_f32_e32 v1, v1, v8
	v_mul_f32_e32 v136, v109, v158
	v_fma_f32 v7, v107, v156, -v7
	v_fmac_f32_e32 v132, v108, v156
	s_waitcnt vmcnt(19) lgkmcnt(4)
	v_mul_f32_e32 v140, v116, v159
	v_add_f32_e32 v1, v1, v138
	v_fma_f32 v109, v109, v155, -v143
	v_add_f32_e32 v0, v0, v7
	v_mul_f32_e32 v8, v115, v159
	v_fmac_f32_e32 v136, v110, v155
	v_add_f32_e32 v1, v1, v139
	s_waitcnt vmcnt(18)
	v_mul_f32_e32 v144, v118, v157
	v_fma_f32 v115, v115, v127, -v140
	v_add_f32_e32 v0, v0, v109
	v_mul_f32_e32 v107, v117, v157
	v_add_f32_e32 v1, v1, v132
	v_fmac_f32_e32 v8, v116, v127
	s_waitcnt vmcnt(17) lgkmcnt(3)
	v_mul_f32_e32 v109, v3, v160
	v_add_f32_e32 v0, v0, v115
	v_mul_f32_e32 v108, v2, v160
	v_add_f32_e32 v1, v1, v136
	s_waitcnt vmcnt(6)
	v_fma_f32 v116, v117, v167, -v144
	v_fmac_f32_e32 v107, v118, v167
	v_fma_f32 v2, v2, v131, -v109
	v_mul_f32_e32 v138, v4, v161
	v_add_f32_e32 v1, v1, v8
	v_mul_f32_e32 v8, v5, v161
	v_add_f32_e32 v0, v0, v116
	v_fmac_f32_e32 v108, v3, v131
	s_waitcnt lgkmcnt(2)
	v_mul_f32_e32 v3, v120, v162
	v_add_f32_e32 v1, v1, v107
	v_fma_f32 v4, v4, v130, -v8
	v_add_f32_e32 v0, v0, v2
	v_mul_f32_e32 v141, v119, v162
	v_fmac_f32_e32 v138, v5, v130
	v_add_f32_e32 v1, v1, v108
	v_mul_f32_e32 v2, v122, v163
	v_fma_f32 v3, v119, v129, -v3
	v_add_f32_e32 v0, v0, v4
	v_mul_f32_e32 v110, v121, v163
	v_fmac_f32_e32 v141, v120, v129
	v_add_f32_e32 v1, v1, v138
	s_waitcnt lgkmcnt(1)
	v_mul_f32_e32 v4, v112, v164
	s_waitcnt vmcnt(2)
	v_fma_f32 v2, v121, v168, -v2
	v_add_f32_e32 v0, v0, v3
	v_mul_f32_e32 v143, v111, v164
	v_fmac_f32_e32 v110, v122, v168
	v_add_f32_e32 v1, v1, v141
	v_mul_f32_e32 v3, v114, v165
	v_fma_f32 v4, v111, v135, -v4
	v_add_f32_e32 v0, v0, v2
	v_mul_f32_e32 v6, v113, v165
	v_fmac_f32_e32 v143, v112, v135
	v_add_f32_e32 v1, v1, v110
	s_waitcnt lgkmcnt(0)
	v_mul_f32_e32 v2, v124, v166
	v_fma_f32 v3, v113, v134, -v3
	v_add_f32_e32 v0, v0, v4
	v_mul_f32_e32 v139, v123, v166
	v_fmac_f32_e32 v6, v114, v134
	v_add_f32_e32 v1, v1, v143
	v_mul_f32_e32 v4, v126, v128
	v_fma_f32 v2, v123, v133, -v2
	v_add_f32_e32 v0, v0, v3
	v_mul_f32_e32 v7, v125, v128
	v_fmac_f32_e32 v139, v124, v133
	v_add_f32_e32 v1, v1, v6
	s_waitcnt vmcnt(1)
	v_fma_f32 v3, v125, v169, -v4
	v_add_f32_e32 v0, v0, v2
	v_fmac_f32_e32 v7, v126, v169
	v_add_f32_e32 v1, v1, v139
	v_add_f32_e32 v0, v0, v3
	;; [unrolled: 1-line block ×3, first 2 shown]
	s_waitcnt vmcnt(0)
	v_sub_f32_e32 v0, v142, v0
	v_sub_f32_e32 v1, v137, v1
	buffer_store_dword v0, off, s[0:3], 0
	buffer_store_dword v1, off, s[0:3], 0 offset:4
	s_cbranch_vccz .LBB112_404
; %bb.308:
	v_mov_b32_e32 v0, 0
	global_load_dword v1, v0, s[12:13] offset:188
	s_waitcnt vmcnt(0)
	v_add_nc_u32_e32 v1, -1, v1
	v_cmp_ne_u32_e32 vcc_lo, 47, v1
	s_cbranch_vccz .LBB112_310
; %bb.309:
	v_lshlrev_b32_e32 v1, 3, v1
	s_clause 0x3
	buffer_load_dword v2, v1, s[0:3], 0 offen
	buffer_load_dword v3, v1, s[0:3], 0 offen offset:4
	buffer_load_dword v4, off, s[0:3], 0 offset:376
	buffer_load_dword v5, off, s[0:3], 0 offset:380
	s_waitcnt vmcnt(3)
	buffer_store_dword v2, off, s[0:3], 0 offset:376
	s_waitcnt vmcnt(2)
	buffer_store_dword v3, off, s[0:3], 0 offset:380
	s_waitcnt vmcnt(1)
	buffer_store_dword v4, v1, s[0:3], 0 offen
	s_waitcnt vmcnt(0)
	buffer_store_dword v5, v1, s[0:3], 0 offen offset:4
.LBB112_310:
	global_load_dword v0, v0, s[12:13] offset:184
	s_waitcnt vmcnt(0)
	v_add_nc_u32_e32 v0, -1, v0
	v_cmp_eq_u32_e32 vcc_lo, 46, v0
	s_cbranch_vccnz .LBB112_312
; %bb.311:
	v_lshlrev_b32_e32 v0, 3, v0
	s_clause 0x3
	buffer_load_dword v1, v0, s[0:3], 0 offen
	buffer_load_dword v2, v0, s[0:3], 0 offen offset:4
	buffer_load_dword v3, off, s[0:3], 0 offset:372
	buffer_load_dword v4, off, s[0:3], 0 offset:368
	s_waitcnt vmcnt(3)
	buffer_store_dword v1, off, s[0:3], 0 offset:368
	s_waitcnt vmcnt(2)
	buffer_store_dword v2, off, s[0:3], 0 offset:372
	s_waitcnt vmcnt(1)
	buffer_store_dword v3, v0, s[0:3], 0 offen offset:4
	s_waitcnt vmcnt(0)
	buffer_store_dword v4, v0, s[0:3], 0 offen
.LBB112_312:
	v_mov_b32_e32 v0, 0
	global_load_dword v1, v0, s[12:13] offset:180
	s_waitcnt vmcnt(0)
	v_add_nc_u32_e32 v1, -1, v1
	v_cmp_eq_u32_e32 vcc_lo, 45, v1
	s_cbranch_vccnz .LBB112_314
; %bb.313:
	v_lshlrev_b32_e32 v1, 3, v1
	s_clause 0x3
	buffer_load_dword v2, v1, s[0:3], 0 offen
	buffer_load_dword v3, v1, s[0:3], 0 offen offset:4
	buffer_load_dword v4, off, s[0:3], 0 offset:360
	buffer_load_dword v5, off, s[0:3], 0 offset:364
	s_waitcnt vmcnt(3)
	buffer_store_dword v2, off, s[0:3], 0 offset:360
	s_waitcnt vmcnt(2)
	buffer_store_dword v3, off, s[0:3], 0 offset:364
	s_waitcnt vmcnt(1)
	buffer_store_dword v4, v1, s[0:3], 0 offen
	s_waitcnt vmcnt(0)
	buffer_store_dword v5, v1, s[0:3], 0 offen offset:4
.LBB112_314:
	global_load_dword v0, v0, s[12:13] offset:176
	s_waitcnt vmcnt(0)
	v_add_nc_u32_e32 v0, -1, v0
	v_cmp_eq_u32_e32 vcc_lo, 44, v0
	s_cbranch_vccnz .LBB112_316
; %bb.315:
	v_lshlrev_b32_e32 v0, 3, v0
	s_clause 0x3
	buffer_load_dword v1, v0, s[0:3], 0 offen
	buffer_load_dword v2, v0, s[0:3], 0 offen offset:4
	buffer_load_dword v3, off, s[0:3], 0 offset:356
	buffer_load_dword v4, off, s[0:3], 0 offset:352
	s_waitcnt vmcnt(3)
	buffer_store_dword v1, off, s[0:3], 0 offset:352
	s_waitcnt vmcnt(2)
	buffer_store_dword v2, off, s[0:3], 0 offset:356
	s_waitcnt vmcnt(1)
	buffer_store_dword v3, v0, s[0:3], 0 offen offset:4
	s_waitcnt vmcnt(0)
	buffer_store_dword v4, v0, s[0:3], 0 offen
.LBB112_316:
	v_mov_b32_e32 v0, 0
	global_load_dword v1, v0, s[12:13] offset:172
	s_waitcnt vmcnt(0)
	v_add_nc_u32_e32 v1, -1, v1
	v_cmp_eq_u32_e32 vcc_lo, 43, v1
	s_cbranch_vccnz .LBB112_318
; %bb.317:
	v_lshlrev_b32_e32 v1, 3, v1
	s_clause 0x3
	buffer_load_dword v2, v1, s[0:3], 0 offen
	buffer_load_dword v3, v1, s[0:3], 0 offen offset:4
	buffer_load_dword v4, off, s[0:3], 0 offset:344
	buffer_load_dword v5, off, s[0:3], 0 offset:348
	s_waitcnt vmcnt(3)
	buffer_store_dword v2, off, s[0:3], 0 offset:344
	s_waitcnt vmcnt(2)
	buffer_store_dword v3, off, s[0:3], 0 offset:348
	s_waitcnt vmcnt(1)
	buffer_store_dword v4, v1, s[0:3], 0 offen
	s_waitcnt vmcnt(0)
	buffer_store_dword v5, v1, s[0:3], 0 offen offset:4
.LBB112_318:
	global_load_dword v0, v0, s[12:13] offset:168
	s_waitcnt vmcnt(0)
	v_add_nc_u32_e32 v0, -1, v0
	v_cmp_eq_u32_e32 vcc_lo, 42, v0
	s_cbranch_vccnz .LBB112_320
; %bb.319:
	v_lshlrev_b32_e32 v0, 3, v0
	s_clause 0x3
	buffer_load_dword v1, v0, s[0:3], 0 offen
	buffer_load_dword v2, v0, s[0:3], 0 offen offset:4
	buffer_load_dword v3, off, s[0:3], 0 offset:340
	buffer_load_dword v4, off, s[0:3], 0 offset:336
	s_waitcnt vmcnt(3)
	buffer_store_dword v1, off, s[0:3], 0 offset:336
	s_waitcnt vmcnt(2)
	buffer_store_dword v2, off, s[0:3], 0 offset:340
	s_waitcnt vmcnt(1)
	buffer_store_dword v3, v0, s[0:3], 0 offen offset:4
	s_waitcnt vmcnt(0)
	buffer_store_dword v4, v0, s[0:3], 0 offen
.LBB112_320:
	v_mov_b32_e32 v0, 0
	global_load_dword v1, v0, s[12:13] offset:164
	s_waitcnt vmcnt(0)
	v_add_nc_u32_e32 v1, -1, v1
	v_cmp_eq_u32_e32 vcc_lo, 41, v1
	s_cbranch_vccnz .LBB112_322
; %bb.321:
	v_lshlrev_b32_e32 v1, 3, v1
	s_clause 0x3
	buffer_load_dword v2, v1, s[0:3], 0 offen
	buffer_load_dword v3, v1, s[0:3], 0 offen offset:4
	buffer_load_dword v4, off, s[0:3], 0 offset:328
	buffer_load_dword v5, off, s[0:3], 0 offset:332
	s_waitcnt vmcnt(3)
	buffer_store_dword v2, off, s[0:3], 0 offset:328
	s_waitcnt vmcnt(2)
	buffer_store_dword v3, off, s[0:3], 0 offset:332
	s_waitcnt vmcnt(1)
	buffer_store_dword v4, v1, s[0:3], 0 offen
	s_waitcnt vmcnt(0)
	buffer_store_dword v5, v1, s[0:3], 0 offen offset:4
.LBB112_322:
	global_load_dword v0, v0, s[12:13] offset:160
	s_waitcnt vmcnt(0)
	v_add_nc_u32_e32 v0, -1, v0
	v_cmp_eq_u32_e32 vcc_lo, 40, v0
	s_cbranch_vccnz .LBB112_324
; %bb.323:
	v_lshlrev_b32_e32 v0, 3, v0
	s_clause 0x3
	buffer_load_dword v1, v0, s[0:3], 0 offen
	buffer_load_dword v2, v0, s[0:3], 0 offen offset:4
	buffer_load_dword v3, off, s[0:3], 0 offset:324
	buffer_load_dword v4, off, s[0:3], 0 offset:320
	s_waitcnt vmcnt(3)
	buffer_store_dword v1, off, s[0:3], 0 offset:320
	s_waitcnt vmcnt(2)
	buffer_store_dword v2, off, s[0:3], 0 offset:324
	s_waitcnt vmcnt(1)
	buffer_store_dword v3, v0, s[0:3], 0 offen offset:4
	s_waitcnt vmcnt(0)
	buffer_store_dword v4, v0, s[0:3], 0 offen
.LBB112_324:
	v_mov_b32_e32 v0, 0
	global_load_dword v1, v0, s[12:13] offset:156
	s_waitcnt vmcnt(0)
	v_add_nc_u32_e32 v1, -1, v1
	v_cmp_eq_u32_e32 vcc_lo, 39, v1
	s_cbranch_vccnz .LBB112_326
; %bb.325:
	v_lshlrev_b32_e32 v1, 3, v1
	s_clause 0x3
	buffer_load_dword v2, v1, s[0:3], 0 offen
	buffer_load_dword v3, v1, s[0:3], 0 offen offset:4
	buffer_load_dword v4, off, s[0:3], 0 offset:312
	buffer_load_dword v5, off, s[0:3], 0 offset:316
	s_waitcnt vmcnt(3)
	buffer_store_dword v2, off, s[0:3], 0 offset:312
	s_waitcnt vmcnt(2)
	buffer_store_dword v3, off, s[0:3], 0 offset:316
	s_waitcnt vmcnt(1)
	buffer_store_dword v4, v1, s[0:3], 0 offen
	s_waitcnt vmcnt(0)
	buffer_store_dword v5, v1, s[0:3], 0 offen offset:4
.LBB112_326:
	global_load_dword v0, v0, s[12:13] offset:152
	s_waitcnt vmcnt(0)
	v_add_nc_u32_e32 v0, -1, v0
	v_cmp_eq_u32_e32 vcc_lo, 38, v0
	s_cbranch_vccnz .LBB112_328
; %bb.327:
	v_lshlrev_b32_e32 v0, 3, v0
	s_clause 0x3
	buffer_load_dword v1, v0, s[0:3], 0 offen
	buffer_load_dword v2, v0, s[0:3], 0 offen offset:4
	buffer_load_dword v3, off, s[0:3], 0 offset:308
	buffer_load_dword v4, off, s[0:3], 0 offset:304
	s_waitcnt vmcnt(3)
	buffer_store_dword v1, off, s[0:3], 0 offset:304
	s_waitcnt vmcnt(2)
	buffer_store_dword v2, off, s[0:3], 0 offset:308
	s_waitcnt vmcnt(1)
	buffer_store_dword v3, v0, s[0:3], 0 offen offset:4
	s_waitcnt vmcnt(0)
	buffer_store_dword v4, v0, s[0:3], 0 offen
.LBB112_328:
	v_mov_b32_e32 v0, 0
	global_load_dword v1, v0, s[12:13] offset:148
	s_waitcnt vmcnt(0)
	v_add_nc_u32_e32 v1, -1, v1
	v_cmp_eq_u32_e32 vcc_lo, 37, v1
	s_cbranch_vccnz .LBB112_330
; %bb.329:
	v_lshlrev_b32_e32 v1, 3, v1
	s_clause 0x3
	buffer_load_dword v2, v1, s[0:3], 0 offen
	buffer_load_dword v3, v1, s[0:3], 0 offen offset:4
	buffer_load_dword v4, off, s[0:3], 0 offset:296
	buffer_load_dword v5, off, s[0:3], 0 offset:300
	s_waitcnt vmcnt(3)
	buffer_store_dword v2, off, s[0:3], 0 offset:296
	s_waitcnt vmcnt(2)
	buffer_store_dword v3, off, s[0:3], 0 offset:300
	s_waitcnt vmcnt(1)
	buffer_store_dword v4, v1, s[0:3], 0 offen
	s_waitcnt vmcnt(0)
	buffer_store_dword v5, v1, s[0:3], 0 offen offset:4
.LBB112_330:
	global_load_dword v0, v0, s[12:13] offset:144
	s_waitcnt vmcnt(0)
	v_add_nc_u32_e32 v0, -1, v0
	v_cmp_eq_u32_e32 vcc_lo, 36, v0
	s_cbranch_vccnz .LBB112_332
; %bb.331:
	v_lshlrev_b32_e32 v0, 3, v0
	s_clause 0x3
	buffer_load_dword v1, v0, s[0:3], 0 offen
	buffer_load_dword v2, v0, s[0:3], 0 offen offset:4
	buffer_load_dword v3, off, s[0:3], 0 offset:292
	buffer_load_dword v4, off, s[0:3], 0 offset:288
	s_waitcnt vmcnt(3)
	buffer_store_dword v1, off, s[0:3], 0 offset:288
	s_waitcnt vmcnt(2)
	buffer_store_dword v2, off, s[0:3], 0 offset:292
	s_waitcnt vmcnt(1)
	buffer_store_dword v3, v0, s[0:3], 0 offen offset:4
	s_waitcnt vmcnt(0)
	buffer_store_dword v4, v0, s[0:3], 0 offen
.LBB112_332:
	v_mov_b32_e32 v0, 0
	global_load_dword v1, v0, s[12:13] offset:140
	s_waitcnt vmcnt(0)
	v_add_nc_u32_e32 v1, -1, v1
	v_cmp_eq_u32_e32 vcc_lo, 35, v1
	s_cbranch_vccnz .LBB112_334
; %bb.333:
	v_lshlrev_b32_e32 v1, 3, v1
	s_clause 0x3
	buffer_load_dword v2, v1, s[0:3], 0 offen
	buffer_load_dword v3, v1, s[0:3], 0 offen offset:4
	buffer_load_dword v4, off, s[0:3], 0 offset:280
	buffer_load_dword v5, off, s[0:3], 0 offset:284
	s_waitcnt vmcnt(3)
	buffer_store_dword v2, off, s[0:3], 0 offset:280
	s_waitcnt vmcnt(2)
	buffer_store_dword v3, off, s[0:3], 0 offset:284
	s_waitcnt vmcnt(1)
	buffer_store_dword v4, v1, s[0:3], 0 offen
	s_waitcnt vmcnt(0)
	buffer_store_dword v5, v1, s[0:3], 0 offen offset:4
.LBB112_334:
	global_load_dword v0, v0, s[12:13] offset:136
	s_waitcnt vmcnt(0)
	v_add_nc_u32_e32 v0, -1, v0
	v_cmp_eq_u32_e32 vcc_lo, 34, v0
	s_cbranch_vccnz .LBB112_336
; %bb.335:
	v_lshlrev_b32_e32 v0, 3, v0
	s_clause 0x3
	buffer_load_dword v1, v0, s[0:3], 0 offen
	buffer_load_dword v2, v0, s[0:3], 0 offen offset:4
	buffer_load_dword v3, off, s[0:3], 0 offset:276
	buffer_load_dword v4, off, s[0:3], 0 offset:272
	s_waitcnt vmcnt(3)
	buffer_store_dword v1, off, s[0:3], 0 offset:272
	s_waitcnt vmcnt(2)
	buffer_store_dword v2, off, s[0:3], 0 offset:276
	s_waitcnt vmcnt(1)
	buffer_store_dword v3, v0, s[0:3], 0 offen offset:4
	s_waitcnt vmcnt(0)
	buffer_store_dword v4, v0, s[0:3], 0 offen
.LBB112_336:
	v_mov_b32_e32 v0, 0
	global_load_dword v1, v0, s[12:13] offset:132
	s_waitcnt vmcnt(0)
	v_add_nc_u32_e32 v1, -1, v1
	v_cmp_eq_u32_e32 vcc_lo, 33, v1
	s_cbranch_vccnz .LBB112_338
; %bb.337:
	v_lshlrev_b32_e32 v1, 3, v1
	s_clause 0x3
	buffer_load_dword v2, v1, s[0:3], 0 offen
	buffer_load_dword v3, v1, s[0:3], 0 offen offset:4
	buffer_load_dword v4, off, s[0:3], 0 offset:264
	buffer_load_dword v5, off, s[0:3], 0 offset:268
	s_waitcnt vmcnt(3)
	buffer_store_dword v2, off, s[0:3], 0 offset:264
	s_waitcnt vmcnt(2)
	buffer_store_dword v3, off, s[0:3], 0 offset:268
	s_waitcnt vmcnt(1)
	buffer_store_dword v4, v1, s[0:3], 0 offen
	s_waitcnt vmcnt(0)
	buffer_store_dword v5, v1, s[0:3], 0 offen offset:4
.LBB112_338:
	global_load_dword v0, v0, s[12:13] offset:128
	s_waitcnt vmcnt(0)
	v_add_nc_u32_e32 v0, -1, v0
	v_cmp_eq_u32_e32 vcc_lo, 32, v0
	s_cbranch_vccnz .LBB112_340
; %bb.339:
	v_lshlrev_b32_e32 v0, 3, v0
	s_clause 0x3
	buffer_load_dword v1, v0, s[0:3], 0 offen
	buffer_load_dword v2, v0, s[0:3], 0 offen offset:4
	buffer_load_dword v3, off, s[0:3], 0 offset:260
	buffer_load_dword v4, off, s[0:3], 0 offset:256
	s_waitcnt vmcnt(3)
	buffer_store_dword v1, off, s[0:3], 0 offset:256
	s_waitcnt vmcnt(2)
	buffer_store_dword v2, off, s[0:3], 0 offset:260
	s_waitcnt vmcnt(1)
	buffer_store_dword v3, v0, s[0:3], 0 offen offset:4
	s_waitcnt vmcnt(0)
	buffer_store_dword v4, v0, s[0:3], 0 offen
.LBB112_340:
	v_mov_b32_e32 v0, 0
	global_load_dword v1, v0, s[12:13] offset:124
	s_waitcnt vmcnt(0)
	v_add_nc_u32_e32 v1, -1, v1
	v_cmp_eq_u32_e32 vcc_lo, 31, v1
	s_cbranch_vccnz .LBB112_342
; %bb.341:
	v_lshlrev_b32_e32 v1, 3, v1
	s_clause 0x3
	buffer_load_dword v2, v1, s[0:3], 0 offen
	buffer_load_dword v3, v1, s[0:3], 0 offen offset:4
	buffer_load_dword v4, off, s[0:3], 0 offset:248
	buffer_load_dword v5, off, s[0:3], 0 offset:252
	s_waitcnt vmcnt(3)
	buffer_store_dword v2, off, s[0:3], 0 offset:248
	s_waitcnt vmcnt(2)
	buffer_store_dword v3, off, s[0:3], 0 offset:252
	s_waitcnt vmcnt(1)
	buffer_store_dword v4, v1, s[0:3], 0 offen
	s_waitcnt vmcnt(0)
	buffer_store_dword v5, v1, s[0:3], 0 offen offset:4
.LBB112_342:
	global_load_dword v0, v0, s[12:13] offset:120
	s_waitcnt vmcnt(0)
	v_add_nc_u32_e32 v0, -1, v0
	v_cmp_eq_u32_e32 vcc_lo, 30, v0
	s_cbranch_vccnz .LBB112_344
; %bb.343:
	v_lshlrev_b32_e32 v0, 3, v0
	s_clause 0x3
	buffer_load_dword v1, v0, s[0:3], 0 offen
	buffer_load_dword v2, v0, s[0:3], 0 offen offset:4
	buffer_load_dword v3, off, s[0:3], 0 offset:244
	buffer_load_dword v4, off, s[0:3], 0 offset:240
	s_waitcnt vmcnt(3)
	buffer_store_dword v1, off, s[0:3], 0 offset:240
	s_waitcnt vmcnt(2)
	buffer_store_dword v2, off, s[0:3], 0 offset:244
	s_waitcnt vmcnt(1)
	buffer_store_dword v3, v0, s[0:3], 0 offen offset:4
	s_waitcnt vmcnt(0)
	buffer_store_dword v4, v0, s[0:3], 0 offen
.LBB112_344:
	v_mov_b32_e32 v0, 0
	global_load_dword v1, v0, s[12:13] offset:116
	s_waitcnt vmcnt(0)
	v_add_nc_u32_e32 v1, -1, v1
	v_cmp_eq_u32_e32 vcc_lo, 29, v1
	s_cbranch_vccnz .LBB112_346
; %bb.345:
	v_lshlrev_b32_e32 v1, 3, v1
	s_clause 0x3
	buffer_load_dword v2, v1, s[0:3], 0 offen
	buffer_load_dword v3, v1, s[0:3], 0 offen offset:4
	buffer_load_dword v4, off, s[0:3], 0 offset:232
	buffer_load_dword v5, off, s[0:3], 0 offset:236
	s_waitcnt vmcnt(3)
	buffer_store_dword v2, off, s[0:3], 0 offset:232
	s_waitcnt vmcnt(2)
	buffer_store_dword v3, off, s[0:3], 0 offset:236
	s_waitcnt vmcnt(1)
	buffer_store_dword v4, v1, s[0:3], 0 offen
	s_waitcnt vmcnt(0)
	buffer_store_dword v5, v1, s[0:3], 0 offen offset:4
.LBB112_346:
	global_load_dword v0, v0, s[12:13] offset:112
	s_waitcnt vmcnt(0)
	v_add_nc_u32_e32 v0, -1, v0
	v_cmp_eq_u32_e32 vcc_lo, 28, v0
	s_cbranch_vccnz .LBB112_348
; %bb.347:
	v_lshlrev_b32_e32 v0, 3, v0
	s_clause 0x3
	buffer_load_dword v1, v0, s[0:3], 0 offen
	buffer_load_dword v2, v0, s[0:3], 0 offen offset:4
	buffer_load_dword v3, off, s[0:3], 0 offset:228
	buffer_load_dword v4, off, s[0:3], 0 offset:224
	s_waitcnt vmcnt(3)
	buffer_store_dword v1, off, s[0:3], 0 offset:224
	s_waitcnt vmcnt(2)
	buffer_store_dword v2, off, s[0:3], 0 offset:228
	s_waitcnt vmcnt(1)
	buffer_store_dword v3, v0, s[0:3], 0 offen offset:4
	s_waitcnt vmcnt(0)
	buffer_store_dword v4, v0, s[0:3], 0 offen
.LBB112_348:
	v_mov_b32_e32 v0, 0
	global_load_dword v1, v0, s[12:13] offset:108
	s_waitcnt vmcnt(0)
	v_add_nc_u32_e32 v1, -1, v1
	v_cmp_eq_u32_e32 vcc_lo, 27, v1
	s_cbranch_vccnz .LBB112_350
; %bb.349:
	v_lshlrev_b32_e32 v1, 3, v1
	s_clause 0x3
	buffer_load_dword v2, v1, s[0:3], 0 offen
	buffer_load_dword v3, v1, s[0:3], 0 offen offset:4
	buffer_load_dword v4, off, s[0:3], 0 offset:216
	buffer_load_dword v5, off, s[0:3], 0 offset:220
	s_waitcnt vmcnt(3)
	buffer_store_dword v2, off, s[0:3], 0 offset:216
	s_waitcnt vmcnt(2)
	buffer_store_dword v3, off, s[0:3], 0 offset:220
	s_waitcnt vmcnt(1)
	buffer_store_dword v4, v1, s[0:3], 0 offen
	s_waitcnt vmcnt(0)
	buffer_store_dword v5, v1, s[0:3], 0 offen offset:4
.LBB112_350:
	global_load_dword v0, v0, s[12:13] offset:104
	s_waitcnt vmcnt(0)
	v_add_nc_u32_e32 v0, -1, v0
	v_cmp_eq_u32_e32 vcc_lo, 26, v0
	s_cbranch_vccnz .LBB112_352
; %bb.351:
	v_lshlrev_b32_e32 v0, 3, v0
	s_clause 0x3
	buffer_load_dword v1, v0, s[0:3], 0 offen
	buffer_load_dword v2, v0, s[0:3], 0 offen offset:4
	buffer_load_dword v3, off, s[0:3], 0 offset:212
	buffer_load_dword v4, off, s[0:3], 0 offset:208
	s_waitcnt vmcnt(3)
	buffer_store_dword v1, off, s[0:3], 0 offset:208
	s_waitcnt vmcnt(2)
	buffer_store_dword v2, off, s[0:3], 0 offset:212
	s_waitcnt vmcnt(1)
	buffer_store_dword v3, v0, s[0:3], 0 offen offset:4
	s_waitcnt vmcnt(0)
	buffer_store_dword v4, v0, s[0:3], 0 offen
.LBB112_352:
	v_mov_b32_e32 v0, 0
	global_load_dword v1, v0, s[12:13] offset:100
	s_waitcnt vmcnt(0)
	v_add_nc_u32_e32 v1, -1, v1
	v_cmp_eq_u32_e32 vcc_lo, 25, v1
	s_cbranch_vccnz .LBB112_354
; %bb.353:
	v_lshlrev_b32_e32 v1, 3, v1
	s_clause 0x3
	buffer_load_dword v2, v1, s[0:3], 0 offen
	buffer_load_dword v3, v1, s[0:3], 0 offen offset:4
	buffer_load_dword v4, off, s[0:3], 0 offset:200
	buffer_load_dword v5, off, s[0:3], 0 offset:204
	s_waitcnt vmcnt(3)
	buffer_store_dword v2, off, s[0:3], 0 offset:200
	s_waitcnt vmcnt(2)
	buffer_store_dword v3, off, s[0:3], 0 offset:204
	s_waitcnt vmcnt(1)
	buffer_store_dword v4, v1, s[0:3], 0 offen
	s_waitcnt vmcnt(0)
	buffer_store_dword v5, v1, s[0:3], 0 offen offset:4
.LBB112_354:
	global_load_dword v0, v0, s[12:13] offset:96
	s_waitcnt vmcnt(0)
	v_add_nc_u32_e32 v0, -1, v0
	v_cmp_eq_u32_e32 vcc_lo, 24, v0
	s_cbranch_vccnz .LBB112_356
; %bb.355:
	v_lshlrev_b32_e32 v0, 3, v0
	s_clause 0x3
	buffer_load_dword v1, v0, s[0:3], 0 offen
	buffer_load_dword v2, v0, s[0:3], 0 offen offset:4
	buffer_load_dword v3, off, s[0:3], 0 offset:196
	buffer_load_dword v4, off, s[0:3], 0 offset:192
	s_waitcnt vmcnt(3)
	buffer_store_dword v1, off, s[0:3], 0 offset:192
	s_waitcnt vmcnt(2)
	buffer_store_dword v2, off, s[0:3], 0 offset:196
	s_waitcnt vmcnt(1)
	buffer_store_dword v3, v0, s[0:3], 0 offen offset:4
	s_waitcnt vmcnt(0)
	buffer_store_dword v4, v0, s[0:3], 0 offen
.LBB112_356:
	v_mov_b32_e32 v0, 0
	global_load_dword v1, v0, s[12:13] offset:92
	s_waitcnt vmcnt(0)
	v_add_nc_u32_e32 v1, -1, v1
	v_cmp_eq_u32_e32 vcc_lo, 23, v1
	s_cbranch_vccnz .LBB112_358
; %bb.357:
	v_lshlrev_b32_e32 v1, 3, v1
	s_clause 0x3
	buffer_load_dword v2, v1, s[0:3], 0 offen
	buffer_load_dword v3, v1, s[0:3], 0 offen offset:4
	buffer_load_dword v4, off, s[0:3], 0 offset:184
	buffer_load_dword v5, off, s[0:3], 0 offset:188
	s_waitcnt vmcnt(3)
	buffer_store_dword v2, off, s[0:3], 0 offset:184
	s_waitcnt vmcnt(2)
	buffer_store_dword v3, off, s[0:3], 0 offset:188
	s_waitcnt vmcnt(1)
	buffer_store_dword v4, v1, s[0:3], 0 offen
	s_waitcnt vmcnt(0)
	buffer_store_dword v5, v1, s[0:3], 0 offen offset:4
.LBB112_358:
	global_load_dword v0, v0, s[12:13] offset:88
	s_waitcnt vmcnt(0)
	v_add_nc_u32_e32 v0, -1, v0
	v_cmp_eq_u32_e32 vcc_lo, 22, v0
	s_cbranch_vccnz .LBB112_360
; %bb.359:
	v_lshlrev_b32_e32 v0, 3, v0
	s_clause 0x3
	buffer_load_dword v1, v0, s[0:3], 0 offen
	buffer_load_dword v2, v0, s[0:3], 0 offen offset:4
	buffer_load_dword v3, off, s[0:3], 0 offset:180
	buffer_load_dword v4, off, s[0:3], 0 offset:176
	s_waitcnt vmcnt(3)
	buffer_store_dword v1, off, s[0:3], 0 offset:176
	s_waitcnt vmcnt(2)
	buffer_store_dword v2, off, s[0:3], 0 offset:180
	s_waitcnt vmcnt(1)
	buffer_store_dword v3, v0, s[0:3], 0 offen offset:4
	s_waitcnt vmcnt(0)
	buffer_store_dword v4, v0, s[0:3], 0 offen
.LBB112_360:
	v_mov_b32_e32 v0, 0
	global_load_dword v1, v0, s[12:13] offset:84
	s_waitcnt vmcnt(0)
	v_add_nc_u32_e32 v1, -1, v1
	v_cmp_eq_u32_e32 vcc_lo, 21, v1
	s_cbranch_vccnz .LBB112_362
; %bb.361:
	v_lshlrev_b32_e32 v1, 3, v1
	s_clause 0x3
	buffer_load_dword v2, v1, s[0:3], 0 offen
	buffer_load_dword v3, v1, s[0:3], 0 offen offset:4
	buffer_load_dword v4, off, s[0:3], 0 offset:168
	buffer_load_dword v5, off, s[0:3], 0 offset:172
	s_waitcnt vmcnt(3)
	buffer_store_dword v2, off, s[0:3], 0 offset:168
	s_waitcnt vmcnt(2)
	buffer_store_dword v3, off, s[0:3], 0 offset:172
	s_waitcnt vmcnt(1)
	buffer_store_dword v4, v1, s[0:3], 0 offen
	s_waitcnt vmcnt(0)
	buffer_store_dword v5, v1, s[0:3], 0 offen offset:4
.LBB112_362:
	global_load_dword v0, v0, s[12:13] offset:80
	s_waitcnt vmcnt(0)
	v_add_nc_u32_e32 v0, -1, v0
	v_cmp_eq_u32_e32 vcc_lo, 20, v0
	s_cbranch_vccnz .LBB112_364
; %bb.363:
	v_lshlrev_b32_e32 v0, 3, v0
	s_clause 0x3
	buffer_load_dword v1, v0, s[0:3], 0 offen
	buffer_load_dword v2, v0, s[0:3], 0 offen offset:4
	buffer_load_dword v3, off, s[0:3], 0 offset:164
	buffer_load_dword v4, off, s[0:3], 0 offset:160
	s_waitcnt vmcnt(3)
	buffer_store_dword v1, off, s[0:3], 0 offset:160
	s_waitcnt vmcnt(2)
	buffer_store_dword v2, off, s[0:3], 0 offset:164
	s_waitcnt vmcnt(1)
	buffer_store_dword v3, v0, s[0:3], 0 offen offset:4
	s_waitcnt vmcnt(0)
	buffer_store_dword v4, v0, s[0:3], 0 offen
.LBB112_364:
	v_mov_b32_e32 v0, 0
	global_load_dword v1, v0, s[12:13] offset:76
	s_waitcnt vmcnt(0)
	v_add_nc_u32_e32 v1, -1, v1
	v_cmp_eq_u32_e32 vcc_lo, 19, v1
	s_cbranch_vccnz .LBB112_366
; %bb.365:
	v_lshlrev_b32_e32 v1, 3, v1
	s_clause 0x3
	buffer_load_dword v2, v1, s[0:3], 0 offen
	buffer_load_dword v3, v1, s[0:3], 0 offen offset:4
	buffer_load_dword v4, off, s[0:3], 0 offset:152
	buffer_load_dword v5, off, s[0:3], 0 offset:156
	s_waitcnt vmcnt(3)
	buffer_store_dword v2, off, s[0:3], 0 offset:152
	s_waitcnt vmcnt(2)
	buffer_store_dword v3, off, s[0:3], 0 offset:156
	s_waitcnt vmcnt(1)
	buffer_store_dword v4, v1, s[0:3], 0 offen
	s_waitcnt vmcnt(0)
	buffer_store_dword v5, v1, s[0:3], 0 offen offset:4
.LBB112_366:
	global_load_dword v0, v0, s[12:13] offset:72
	s_waitcnt vmcnt(0)
	v_add_nc_u32_e32 v0, -1, v0
	v_cmp_eq_u32_e32 vcc_lo, 18, v0
	s_cbranch_vccnz .LBB112_368
; %bb.367:
	v_lshlrev_b32_e32 v0, 3, v0
	s_clause 0x3
	buffer_load_dword v1, v0, s[0:3], 0 offen
	buffer_load_dword v2, v0, s[0:3], 0 offen offset:4
	buffer_load_dword v3, off, s[0:3], 0 offset:148
	buffer_load_dword v4, off, s[0:3], 0 offset:144
	s_waitcnt vmcnt(3)
	buffer_store_dword v1, off, s[0:3], 0 offset:144
	s_waitcnt vmcnt(2)
	buffer_store_dword v2, off, s[0:3], 0 offset:148
	s_waitcnt vmcnt(1)
	buffer_store_dword v3, v0, s[0:3], 0 offen offset:4
	s_waitcnt vmcnt(0)
	buffer_store_dword v4, v0, s[0:3], 0 offen
.LBB112_368:
	v_mov_b32_e32 v0, 0
	global_load_dword v1, v0, s[12:13] offset:68
	s_waitcnt vmcnt(0)
	v_add_nc_u32_e32 v1, -1, v1
	v_cmp_eq_u32_e32 vcc_lo, 17, v1
	s_cbranch_vccnz .LBB112_370
; %bb.369:
	v_lshlrev_b32_e32 v1, 3, v1
	s_clause 0x3
	buffer_load_dword v2, v1, s[0:3], 0 offen
	buffer_load_dword v3, v1, s[0:3], 0 offen offset:4
	buffer_load_dword v4, off, s[0:3], 0 offset:136
	buffer_load_dword v5, off, s[0:3], 0 offset:140
	s_waitcnt vmcnt(3)
	buffer_store_dword v2, off, s[0:3], 0 offset:136
	s_waitcnt vmcnt(2)
	buffer_store_dword v3, off, s[0:3], 0 offset:140
	s_waitcnt vmcnt(1)
	buffer_store_dword v4, v1, s[0:3], 0 offen
	s_waitcnt vmcnt(0)
	buffer_store_dword v5, v1, s[0:3], 0 offen offset:4
.LBB112_370:
	global_load_dword v0, v0, s[12:13] offset:64
	s_waitcnt vmcnt(0)
	v_add_nc_u32_e32 v0, -1, v0
	v_cmp_eq_u32_e32 vcc_lo, 16, v0
	s_cbranch_vccnz .LBB112_372
; %bb.371:
	v_lshlrev_b32_e32 v0, 3, v0
	s_clause 0x3
	buffer_load_dword v1, v0, s[0:3], 0 offen
	buffer_load_dword v2, v0, s[0:3], 0 offen offset:4
	buffer_load_dword v3, off, s[0:3], 0 offset:132
	buffer_load_dword v4, off, s[0:3], 0 offset:128
	s_waitcnt vmcnt(3)
	buffer_store_dword v1, off, s[0:3], 0 offset:128
	s_waitcnt vmcnt(2)
	buffer_store_dword v2, off, s[0:3], 0 offset:132
	s_waitcnt vmcnt(1)
	buffer_store_dword v3, v0, s[0:3], 0 offen offset:4
	s_waitcnt vmcnt(0)
	buffer_store_dword v4, v0, s[0:3], 0 offen
.LBB112_372:
	v_mov_b32_e32 v0, 0
	global_load_dword v1, v0, s[12:13] offset:60
	s_waitcnt vmcnt(0)
	v_add_nc_u32_e32 v1, -1, v1
	v_cmp_eq_u32_e32 vcc_lo, 15, v1
	s_cbranch_vccnz .LBB112_374
; %bb.373:
	v_lshlrev_b32_e32 v1, 3, v1
	s_clause 0x3
	buffer_load_dword v2, v1, s[0:3], 0 offen
	buffer_load_dword v3, v1, s[0:3], 0 offen offset:4
	buffer_load_dword v4, off, s[0:3], 0 offset:120
	buffer_load_dword v5, off, s[0:3], 0 offset:124
	s_waitcnt vmcnt(3)
	buffer_store_dword v2, off, s[0:3], 0 offset:120
	s_waitcnt vmcnt(2)
	buffer_store_dword v3, off, s[0:3], 0 offset:124
	s_waitcnt vmcnt(1)
	buffer_store_dword v4, v1, s[0:3], 0 offen
	s_waitcnt vmcnt(0)
	buffer_store_dword v5, v1, s[0:3], 0 offen offset:4
.LBB112_374:
	global_load_dword v0, v0, s[12:13] offset:56
	s_waitcnt vmcnt(0)
	v_add_nc_u32_e32 v0, -1, v0
	v_cmp_eq_u32_e32 vcc_lo, 14, v0
	s_cbranch_vccnz .LBB112_376
; %bb.375:
	v_lshlrev_b32_e32 v0, 3, v0
	s_clause 0x3
	buffer_load_dword v1, v0, s[0:3], 0 offen
	buffer_load_dword v2, v0, s[0:3], 0 offen offset:4
	buffer_load_dword v3, off, s[0:3], 0 offset:116
	buffer_load_dword v4, off, s[0:3], 0 offset:112
	s_waitcnt vmcnt(3)
	buffer_store_dword v1, off, s[0:3], 0 offset:112
	s_waitcnt vmcnt(2)
	buffer_store_dword v2, off, s[0:3], 0 offset:116
	s_waitcnt vmcnt(1)
	buffer_store_dword v3, v0, s[0:3], 0 offen offset:4
	s_waitcnt vmcnt(0)
	buffer_store_dword v4, v0, s[0:3], 0 offen
.LBB112_376:
	v_mov_b32_e32 v0, 0
	global_load_dword v1, v0, s[12:13] offset:52
	s_waitcnt vmcnt(0)
	v_add_nc_u32_e32 v1, -1, v1
	v_cmp_eq_u32_e32 vcc_lo, 13, v1
	s_cbranch_vccnz .LBB112_378
; %bb.377:
	v_lshlrev_b32_e32 v1, 3, v1
	s_clause 0x3
	buffer_load_dword v2, v1, s[0:3], 0 offen
	buffer_load_dword v3, v1, s[0:3], 0 offen offset:4
	buffer_load_dword v4, off, s[0:3], 0 offset:104
	buffer_load_dword v5, off, s[0:3], 0 offset:108
	s_waitcnt vmcnt(3)
	buffer_store_dword v2, off, s[0:3], 0 offset:104
	s_waitcnt vmcnt(2)
	buffer_store_dword v3, off, s[0:3], 0 offset:108
	s_waitcnt vmcnt(1)
	buffer_store_dword v4, v1, s[0:3], 0 offen
	s_waitcnt vmcnt(0)
	buffer_store_dword v5, v1, s[0:3], 0 offen offset:4
.LBB112_378:
	global_load_dword v0, v0, s[12:13] offset:48
	s_waitcnt vmcnt(0)
	v_add_nc_u32_e32 v0, -1, v0
	v_cmp_eq_u32_e32 vcc_lo, 12, v0
	s_cbranch_vccnz .LBB112_380
; %bb.379:
	v_lshlrev_b32_e32 v0, 3, v0
	s_clause 0x3
	buffer_load_dword v1, v0, s[0:3], 0 offen
	buffer_load_dword v2, v0, s[0:3], 0 offen offset:4
	buffer_load_dword v3, off, s[0:3], 0 offset:100
	buffer_load_dword v4, off, s[0:3], 0 offset:96
	s_waitcnt vmcnt(3)
	buffer_store_dword v1, off, s[0:3], 0 offset:96
	s_waitcnt vmcnt(2)
	buffer_store_dword v2, off, s[0:3], 0 offset:100
	s_waitcnt vmcnt(1)
	buffer_store_dword v3, v0, s[0:3], 0 offen offset:4
	s_waitcnt vmcnt(0)
	buffer_store_dword v4, v0, s[0:3], 0 offen
.LBB112_380:
	v_mov_b32_e32 v0, 0
	global_load_dword v1, v0, s[12:13] offset:44
	s_waitcnt vmcnt(0)
	v_add_nc_u32_e32 v1, -1, v1
	v_cmp_eq_u32_e32 vcc_lo, 11, v1
	s_cbranch_vccnz .LBB112_382
; %bb.381:
	v_lshlrev_b32_e32 v1, 3, v1
	s_clause 0x3
	buffer_load_dword v2, v1, s[0:3], 0 offen
	buffer_load_dword v3, v1, s[0:3], 0 offen offset:4
	buffer_load_dword v4, off, s[0:3], 0 offset:88
	buffer_load_dword v5, off, s[0:3], 0 offset:92
	s_waitcnt vmcnt(3)
	buffer_store_dword v2, off, s[0:3], 0 offset:88
	s_waitcnt vmcnt(2)
	buffer_store_dword v3, off, s[0:3], 0 offset:92
	s_waitcnt vmcnt(1)
	buffer_store_dword v4, v1, s[0:3], 0 offen
	s_waitcnt vmcnt(0)
	buffer_store_dword v5, v1, s[0:3], 0 offen offset:4
.LBB112_382:
	global_load_dword v0, v0, s[12:13] offset:40
	s_waitcnt vmcnt(0)
	v_add_nc_u32_e32 v0, -1, v0
	v_cmp_eq_u32_e32 vcc_lo, 10, v0
	s_cbranch_vccnz .LBB112_384
; %bb.383:
	v_lshlrev_b32_e32 v0, 3, v0
	s_clause 0x3
	buffer_load_dword v1, v0, s[0:3], 0 offen
	buffer_load_dword v2, v0, s[0:3], 0 offen offset:4
	buffer_load_dword v3, off, s[0:3], 0 offset:84
	buffer_load_dword v4, off, s[0:3], 0 offset:80
	s_waitcnt vmcnt(3)
	buffer_store_dword v1, off, s[0:3], 0 offset:80
	s_waitcnt vmcnt(2)
	buffer_store_dword v2, off, s[0:3], 0 offset:84
	s_waitcnt vmcnt(1)
	buffer_store_dword v3, v0, s[0:3], 0 offen offset:4
	s_waitcnt vmcnt(0)
	buffer_store_dword v4, v0, s[0:3], 0 offen
.LBB112_384:
	v_mov_b32_e32 v0, 0
	global_load_dword v1, v0, s[12:13] offset:36
	s_waitcnt vmcnt(0)
	v_add_nc_u32_e32 v1, -1, v1
	v_cmp_eq_u32_e32 vcc_lo, 9, v1
	s_cbranch_vccnz .LBB112_386
; %bb.385:
	v_lshlrev_b32_e32 v1, 3, v1
	s_clause 0x3
	buffer_load_dword v2, v1, s[0:3], 0 offen
	buffer_load_dword v3, v1, s[0:3], 0 offen offset:4
	buffer_load_dword v4, off, s[0:3], 0 offset:72
	buffer_load_dword v5, off, s[0:3], 0 offset:76
	s_waitcnt vmcnt(3)
	buffer_store_dword v2, off, s[0:3], 0 offset:72
	s_waitcnt vmcnt(2)
	buffer_store_dword v3, off, s[0:3], 0 offset:76
	s_waitcnt vmcnt(1)
	buffer_store_dword v4, v1, s[0:3], 0 offen
	s_waitcnt vmcnt(0)
	buffer_store_dword v5, v1, s[0:3], 0 offen offset:4
.LBB112_386:
	global_load_dword v0, v0, s[12:13] offset:32
	s_waitcnt vmcnt(0)
	v_add_nc_u32_e32 v0, -1, v0
	v_cmp_eq_u32_e32 vcc_lo, 8, v0
	s_cbranch_vccnz .LBB112_388
; %bb.387:
	v_lshlrev_b32_e32 v0, 3, v0
	s_clause 0x3
	buffer_load_dword v1, v0, s[0:3], 0 offen
	buffer_load_dword v2, v0, s[0:3], 0 offen offset:4
	buffer_load_dword v3, off, s[0:3], 0 offset:68
	buffer_load_dword v4, off, s[0:3], 0 offset:64
	s_waitcnt vmcnt(3)
	buffer_store_dword v1, off, s[0:3], 0 offset:64
	s_waitcnt vmcnt(2)
	buffer_store_dword v2, off, s[0:3], 0 offset:68
	s_waitcnt vmcnt(1)
	buffer_store_dword v3, v0, s[0:3], 0 offen offset:4
	s_waitcnt vmcnt(0)
	buffer_store_dword v4, v0, s[0:3], 0 offen
.LBB112_388:
	v_mov_b32_e32 v0, 0
	global_load_dword v1, v0, s[12:13] offset:28
	s_waitcnt vmcnt(0)
	v_add_nc_u32_e32 v1, -1, v1
	v_cmp_eq_u32_e32 vcc_lo, 7, v1
	s_cbranch_vccnz .LBB112_390
; %bb.389:
	v_lshlrev_b32_e32 v1, 3, v1
	s_clause 0x3
	buffer_load_dword v2, v1, s[0:3], 0 offen
	buffer_load_dword v3, v1, s[0:3], 0 offen offset:4
	buffer_load_dword v4, off, s[0:3], 0 offset:56
	buffer_load_dword v5, off, s[0:3], 0 offset:60
	s_waitcnt vmcnt(3)
	buffer_store_dword v2, off, s[0:3], 0 offset:56
	s_waitcnt vmcnt(2)
	buffer_store_dword v3, off, s[0:3], 0 offset:60
	s_waitcnt vmcnt(1)
	buffer_store_dword v4, v1, s[0:3], 0 offen
	s_waitcnt vmcnt(0)
	buffer_store_dword v5, v1, s[0:3], 0 offen offset:4
.LBB112_390:
	global_load_dword v0, v0, s[12:13] offset:24
	s_waitcnt vmcnt(0)
	v_add_nc_u32_e32 v0, -1, v0
	v_cmp_eq_u32_e32 vcc_lo, 6, v0
	s_cbranch_vccnz .LBB112_392
; %bb.391:
	v_lshlrev_b32_e32 v0, 3, v0
	s_clause 0x3
	buffer_load_dword v1, v0, s[0:3], 0 offen
	buffer_load_dword v2, v0, s[0:3], 0 offen offset:4
	buffer_load_dword v3, off, s[0:3], 0 offset:52
	buffer_load_dword v4, off, s[0:3], 0 offset:48
	s_waitcnt vmcnt(3)
	buffer_store_dword v1, off, s[0:3], 0 offset:48
	s_waitcnt vmcnt(2)
	buffer_store_dword v2, off, s[0:3], 0 offset:52
	s_waitcnt vmcnt(1)
	buffer_store_dword v3, v0, s[0:3], 0 offen offset:4
	s_waitcnt vmcnt(0)
	buffer_store_dword v4, v0, s[0:3], 0 offen
.LBB112_392:
	v_mov_b32_e32 v0, 0
	global_load_dword v1, v0, s[12:13] offset:20
	s_waitcnt vmcnt(0)
	v_add_nc_u32_e32 v1, -1, v1
	v_cmp_eq_u32_e32 vcc_lo, 5, v1
	s_cbranch_vccnz .LBB112_394
; %bb.393:
	v_lshlrev_b32_e32 v1, 3, v1
	s_clause 0x3
	buffer_load_dword v2, v1, s[0:3], 0 offen
	buffer_load_dword v3, v1, s[0:3], 0 offen offset:4
	buffer_load_dword v4, off, s[0:3], 0 offset:40
	buffer_load_dword v5, off, s[0:3], 0 offset:44
	s_waitcnt vmcnt(3)
	buffer_store_dword v2, off, s[0:3], 0 offset:40
	s_waitcnt vmcnt(2)
	buffer_store_dword v3, off, s[0:3], 0 offset:44
	s_waitcnt vmcnt(1)
	buffer_store_dword v4, v1, s[0:3], 0 offen
	s_waitcnt vmcnt(0)
	buffer_store_dword v5, v1, s[0:3], 0 offen offset:4
.LBB112_394:
	global_load_dword v0, v0, s[12:13] offset:16
	s_waitcnt vmcnt(0)
	v_add_nc_u32_e32 v0, -1, v0
	v_cmp_eq_u32_e32 vcc_lo, 4, v0
	s_cbranch_vccnz .LBB112_396
; %bb.395:
	v_lshlrev_b32_e32 v0, 3, v0
	s_clause 0x3
	buffer_load_dword v1, v0, s[0:3], 0 offen
	buffer_load_dword v2, v0, s[0:3], 0 offen offset:4
	buffer_load_dword v3, off, s[0:3], 0 offset:36
	buffer_load_dword v4, off, s[0:3], 0 offset:32
	s_waitcnt vmcnt(3)
	buffer_store_dword v1, off, s[0:3], 0 offset:32
	s_waitcnt vmcnt(2)
	buffer_store_dword v2, off, s[0:3], 0 offset:36
	s_waitcnt vmcnt(1)
	buffer_store_dword v3, v0, s[0:3], 0 offen offset:4
	s_waitcnt vmcnt(0)
	buffer_store_dword v4, v0, s[0:3], 0 offen
.LBB112_396:
	v_mov_b32_e32 v0, 0
	global_load_dword v1, v0, s[12:13] offset:12
	s_waitcnt vmcnt(0)
	v_add_nc_u32_e32 v1, -1, v1
	v_cmp_eq_u32_e32 vcc_lo, 3, v1
	s_cbranch_vccnz .LBB112_398
; %bb.397:
	v_lshlrev_b32_e32 v1, 3, v1
	s_clause 0x3
	buffer_load_dword v2, v1, s[0:3], 0 offen
	buffer_load_dword v3, v1, s[0:3], 0 offen offset:4
	buffer_load_dword v4, off, s[0:3], 0 offset:24
	buffer_load_dword v5, off, s[0:3], 0 offset:28
	s_waitcnt vmcnt(3)
	buffer_store_dword v2, off, s[0:3], 0 offset:24
	s_waitcnt vmcnt(2)
	buffer_store_dword v3, off, s[0:3], 0 offset:28
	s_waitcnt vmcnt(1)
	buffer_store_dword v4, v1, s[0:3], 0 offen
	s_waitcnt vmcnt(0)
	buffer_store_dword v5, v1, s[0:3], 0 offen offset:4
.LBB112_398:
	global_load_dword v0, v0, s[12:13] offset:8
	s_waitcnt vmcnt(0)
	v_add_nc_u32_e32 v0, -1, v0
	v_cmp_eq_u32_e32 vcc_lo, 2, v0
	s_cbranch_vccnz .LBB112_400
; %bb.399:
	v_lshlrev_b32_e32 v0, 3, v0
	s_clause 0x3
	buffer_load_dword v1, v0, s[0:3], 0 offen
	buffer_load_dword v2, v0, s[0:3], 0 offen offset:4
	buffer_load_dword v3, off, s[0:3], 0 offset:20
	buffer_load_dword v4, off, s[0:3], 0 offset:16
	s_waitcnt vmcnt(3)
	buffer_store_dword v1, off, s[0:3], 0 offset:16
	s_waitcnt vmcnt(2)
	buffer_store_dword v2, off, s[0:3], 0 offset:20
	s_waitcnt vmcnt(1)
	buffer_store_dword v3, v0, s[0:3], 0 offen offset:4
	s_waitcnt vmcnt(0)
	buffer_store_dword v4, v0, s[0:3], 0 offen
.LBB112_400:
	v_mov_b32_e32 v0, 0
	global_load_dword v1, v0, s[12:13] offset:4
	s_waitcnt vmcnt(0)
	v_add_nc_u32_e32 v1, -1, v1
	v_cmp_eq_u32_e32 vcc_lo, 1, v1
	s_cbranch_vccnz .LBB112_402
; %bb.401:
	v_lshlrev_b32_e32 v1, 3, v1
	s_clause 0x3
	buffer_load_dword v2, v1, s[0:3], 0 offen
	buffer_load_dword v3, v1, s[0:3], 0 offen offset:4
	buffer_load_dword v4, off, s[0:3], 0 offset:8
	buffer_load_dword v5, off, s[0:3], 0 offset:12
	s_waitcnt vmcnt(3)
	buffer_store_dword v2, off, s[0:3], 0 offset:8
	s_waitcnt vmcnt(2)
	buffer_store_dword v3, off, s[0:3], 0 offset:12
	s_waitcnt vmcnt(1)
	buffer_store_dword v4, v1, s[0:3], 0 offen
	s_waitcnt vmcnt(0)
	buffer_store_dword v5, v1, s[0:3], 0 offen offset:4
.LBB112_402:
	global_load_dword v0, v0, s[12:13]
	s_waitcnt vmcnt(0)
	v_add_nc_u32_e32 v0, -1, v0
	v_cmp_eq_u32_e32 vcc_lo, 0, v0
	s_cbranch_vccnz .LBB112_404
; %bb.403:
	v_lshlrev_b32_e32 v0, 3, v0
	s_clause 0x3
	buffer_load_dword v1, v0, s[0:3], 0 offen
	buffer_load_dword v2, v0, s[0:3], 0 offen offset:4
	buffer_load_dword v3, off, s[0:3], 0 offset:4
	buffer_load_dword v4, off, s[0:3], 0
	s_waitcnt vmcnt(3)
	buffer_store_dword v1, off, s[0:3], 0
	s_waitcnt vmcnt(2)
	buffer_store_dword v2, off, s[0:3], 0 offset:4
	s_waitcnt vmcnt(1)
	buffer_store_dword v3, v0, s[0:3], 0 offen offset:4
	s_waitcnt vmcnt(0)
	buffer_store_dword v4, v0, s[0:3], 0 offen
.LBB112_404:
	s_clause 0x1
	buffer_load_dword v0, off, s[0:3], 0
	buffer_load_dword v1, off, s[0:3], 0 offset:4
	s_waitcnt vmcnt(0)
	flat_store_dwordx2 v[9:10], v[0:1]
	s_clause 0x1
	buffer_load_dword v0, off, s[0:3], 0 offset:8
	buffer_load_dword v1, off, s[0:3], 0 offset:12
	s_waitcnt vmcnt(0)
	flat_store_dwordx2 v[11:12], v[0:1]
	s_clause 0x1
	buffer_load_dword v0, off, s[0:3], 0 offset:16
	;; [unrolled: 5-line block ×48, first 2 shown]
	buffer_load_dword v1, off, s[0:3], 0 offset:388
	s_waitcnt vmcnt(0)
	flat_store_dwordx2 v[105:106], v[0:1]
	s_endpgm
	.section	.rodata,"a",@progbits
	.p2align	6, 0x0
	.amdhsa_kernel _ZN9rocsolver6v33100L18getri_kernel_smallILi49E19rocblas_complex_numIfEPKPS3_EEvT1_iilPiilS8_bb
		.amdhsa_group_segment_fixed_size 792
		.amdhsa_private_segment_fixed_size 400
		.amdhsa_kernarg_size 60
		.amdhsa_user_sgpr_count 6
		.amdhsa_user_sgpr_private_segment_buffer 1
		.amdhsa_user_sgpr_dispatch_ptr 0
		.amdhsa_user_sgpr_queue_ptr 0
		.amdhsa_user_sgpr_kernarg_segment_ptr 1
		.amdhsa_user_sgpr_dispatch_id 0
		.amdhsa_user_sgpr_flat_scratch_init 0
		.amdhsa_user_sgpr_private_segment_size 0
		.amdhsa_wavefront_size32 1
		.amdhsa_uses_dynamic_stack 0
		.amdhsa_system_sgpr_private_segment_wavefront_offset 1
		.amdhsa_system_sgpr_workgroup_id_x 1
		.amdhsa_system_sgpr_workgroup_id_y 0
		.amdhsa_system_sgpr_workgroup_id_z 0
		.amdhsa_system_sgpr_workgroup_info 0
		.amdhsa_system_vgpr_workitem_id 0
		.amdhsa_next_free_vgpr 252
		.amdhsa_next_free_sgpr 20
		.amdhsa_reserve_vcc 1
		.amdhsa_reserve_flat_scratch 0
		.amdhsa_float_round_mode_32 0
		.amdhsa_float_round_mode_16_64 0
		.amdhsa_float_denorm_mode_32 3
		.amdhsa_float_denorm_mode_16_64 3
		.amdhsa_dx10_clamp 1
		.amdhsa_ieee_mode 1
		.amdhsa_fp16_overflow 0
		.amdhsa_workgroup_processor_mode 1
		.amdhsa_memory_ordered 1
		.amdhsa_forward_progress 1
		.amdhsa_shared_vgpr_count 0
		.amdhsa_exception_fp_ieee_invalid_op 0
		.amdhsa_exception_fp_denorm_src 0
		.amdhsa_exception_fp_ieee_div_zero 0
		.amdhsa_exception_fp_ieee_overflow 0
		.amdhsa_exception_fp_ieee_underflow 0
		.amdhsa_exception_fp_ieee_inexact 0
		.amdhsa_exception_int_div_zero 0
	.end_amdhsa_kernel
	.section	.text._ZN9rocsolver6v33100L18getri_kernel_smallILi49E19rocblas_complex_numIfEPKPS3_EEvT1_iilPiilS8_bb,"axG",@progbits,_ZN9rocsolver6v33100L18getri_kernel_smallILi49E19rocblas_complex_numIfEPKPS3_EEvT1_iilPiilS8_bb,comdat
.Lfunc_end112:
	.size	_ZN9rocsolver6v33100L18getri_kernel_smallILi49E19rocblas_complex_numIfEPKPS3_EEvT1_iilPiilS8_bb, .Lfunc_end112-_ZN9rocsolver6v33100L18getri_kernel_smallILi49E19rocblas_complex_numIfEPKPS3_EEvT1_iilPiilS8_bb
                                        ; -- End function
	.set _ZN9rocsolver6v33100L18getri_kernel_smallILi49E19rocblas_complex_numIfEPKPS3_EEvT1_iilPiilS8_bb.num_vgpr, 252
	.set _ZN9rocsolver6v33100L18getri_kernel_smallILi49E19rocblas_complex_numIfEPKPS3_EEvT1_iilPiilS8_bb.num_agpr, 0
	.set _ZN9rocsolver6v33100L18getri_kernel_smallILi49E19rocblas_complex_numIfEPKPS3_EEvT1_iilPiilS8_bb.numbered_sgpr, 20
	.set _ZN9rocsolver6v33100L18getri_kernel_smallILi49E19rocblas_complex_numIfEPKPS3_EEvT1_iilPiilS8_bb.num_named_barrier, 0
	.set _ZN9rocsolver6v33100L18getri_kernel_smallILi49E19rocblas_complex_numIfEPKPS3_EEvT1_iilPiilS8_bb.private_seg_size, 400
	.set _ZN9rocsolver6v33100L18getri_kernel_smallILi49E19rocblas_complex_numIfEPKPS3_EEvT1_iilPiilS8_bb.uses_vcc, 1
	.set _ZN9rocsolver6v33100L18getri_kernel_smallILi49E19rocblas_complex_numIfEPKPS3_EEvT1_iilPiilS8_bb.uses_flat_scratch, 0
	.set _ZN9rocsolver6v33100L18getri_kernel_smallILi49E19rocblas_complex_numIfEPKPS3_EEvT1_iilPiilS8_bb.has_dyn_sized_stack, 0
	.set _ZN9rocsolver6v33100L18getri_kernel_smallILi49E19rocblas_complex_numIfEPKPS3_EEvT1_iilPiilS8_bb.has_recursion, 0
	.set _ZN9rocsolver6v33100L18getri_kernel_smallILi49E19rocblas_complex_numIfEPKPS3_EEvT1_iilPiilS8_bb.has_indirect_call, 0
	.section	.AMDGPU.csdata,"",@progbits
; Kernel info:
; codeLenInByte = 93980
; TotalNumSgprs: 22
; NumVgprs: 252
; ScratchSize: 400
; MemoryBound: 0
; FloatMode: 240
; IeeeMode: 1
; LDSByteSize: 792 bytes/workgroup (compile time only)
; SGPRBlocks: 0
; VGPRBlocks: 31
; NumSGPRsForWavesPerEU: 22
; NumVGPRsForWavesPerEU: 252
; Occupancy: 4
; WaveLimiterHint : 1
; COMPUTE_PGM_RSRC2:SCRATCH_EN: 1
; COMPUTE_PGM_RSRC2:USER_SGPR: 6
; COMPUTE_PGM_RSRC2:TRAP_HANDLER: 0
; COMPUTE_PGM_RSRC2:TGID_X_EN: 1
; COMPUTE_PGM_RSRC2:TGID_Y_EN: 0
; COMPUTE_PGM_RSRC2:TGID_Z_EN: 0
; COMPUTE_PGM_RSRC2:TIDIG_COMP_CNT: 0
	.section	.text._ZN9rocsolver6v33100L18getri_kernel_smallILi50E19rocblas_complex_numIfEPKPS3_EEvT1_iilPiilS8_bb,"axG",@progbits,_ZN9rocsolver6v33100L18getri_kernel_smallILi50E19rocblas_complex_numIfEPKPS3_EEvT1_iilPiilS8_bb,comdat
	.globl	_ZN9rocsolver6v33100L18getri_kernel_smallILi50E19rocblas_complex_numIfEPKPS3_EEvT1_iilPiilS8_bb ; -- Begin function _ZN9rocsolver6v33100L18getri_kernel_smallILi50E19rocblas_complex_numIfEPKPS3_EEvT1_iilPiilS8_bb
	.p2align	8
	.type	_ZN9rocsolver6v33100L18getri_kernel_smallILi50E19rocblas_complex_numIfEPKPS3_EEvT1_iilPiilS8_bb,@function
_ZN9rocsolver6v33100L18getri_kernel_smallILi50E19rocblas_complex_numIfEPKPS3_EEvT1_iilPiilS8_bb: ; @_ZN9rocsolver6v33100L18getri_kernel_smallILi50E19rocblas_complex_numIfEPKPS3_EEvT1_iilPiilS8_bb
; %bb.0:
	s_add_u32 s0, s0, s7
	s_addc_u32 s1, s1, 0
	s_mov_b32 s7, exec_lo
	v_cmpx_gt_u32_e32 50, v0
	s_cbranch_execz .LBB113_214
; %bb.1:
	s_clause 0x2
	s_load_dword s17, s[4:5], 0x38
	s_load_dwordx2 s[12:13], s[4:5], 0x0
	s_load_dwordx4 s[8:11], s[4:5], 0x28
	s_waitcnt lgkmcnt(0)
	s_bitcmp1_b32 s17, 8
	s_cselect_b32 s16, -1, 0
	s_ashr_i32 s7, s6, 31
	s_lshl_b64 s[14:15], s[6:7], 3
	s_add_u32 s12, s12, s14
	s_addc_u32 s13, s13, s15
	s_load_dwordx2 s[14:15], s[12:13], 0x0
	s_bfe_u32 s12, s17, 0x10008
	s_cmp_eq_u32 s12, 0
                                        ; implicit-def: $sgpr12_sgpr13
	s_cbranch_scc1 .LBB113_3
; %bb.2:
	s_clause 0x1
	s_load_dword s12, s[4:5], 0x20
	s_load_dwordx2 s[18:19], s[4:5], 0x18
	s_mul_i32 s13, s8, s7
	s_mul_hi_u32 s17, s8, s6
	s_mul_i32 s9, s9, s6
	s_add_i32 s13, s17, s13
	s_mul_i32 s8, s8, s6
	s_add_i32 s9, s13, s9
	s_lshl_b64 s[8:9], s[8:9], 2
	s_waitcnt lgkmcnt(0)
	s_ashr_i32 s13, s12, 31
	s_add_u32 s17, s18, s8
	s_addc_u32 s18, s19, s9
	s_lshl_b64 s[8:9], s[12:13], 2
	s_add_u32 s12, s17, s8
	s_addc_u32 s13, s18, s9
.LBB113_3:
	s_clause 0x1
	s_load_dwordx2 s[8:9], s[4:5], 0x8
	s_load_dword s17, s[4:5], 0x38
	v_lshlrev_b32_e32 v3, 3, v0
	s_waitcnt lgkmcnt(0)
	s_ashr_i32 s5, s8, 31
	s_mov_b32 s4, s8
	v_add3_u32 v4, s9, s9, v0
	s_lshl_b64 s[4:5], s[4:5], 3
	s_add_u32 s4, s14, s4
	s_addc_u32 s5, s15, s5
	v_add_co_u32 v9, s8, s4, v3
	v_add_co_ci_u32_e64 v10, null, s5, 0, s8
	s_mov_b32 s14, s9
	s_ashr_i32 s15, s9, 31
	v_ashrrev_i32_e32 v5, 31, v4
	flat_load_dwordx2 v[1:2], v[9:10]
	s_lshl_b64 s[14:15], s[14:15], 3
	s_bitcmp0_b32 s17, 0
	v_add_co_u32 v11, vcc_lo, v9, s14
	v_add_co_ci_u32_e64 v12, null, s15, v10, vcc_lo
	v_lshlrev_b64 v[5:6], 3, v[4:5]
	v_add_nc_u32_e32 v4, s9, v4
	s_waitcnt vmcnt(0) lgkmcnt(0)
	buffer_store_dword v2, off, s[0:3], 0 offset:4
	buffer_store_dword v1, off, s[0:3], 0
	flat_load_dwordx2 v[1:2], v[11:12]
	v_add_co_u32 v13, vcc_lo, s4, v5
	v_add_co_ci_u32_e64 v14, null, s5, v6, vcc_lo
	v_ashrrev_i32_e32 v5, 31, v4
	s_waitcnt vmcnt(0) lgkmcnt(0)
	buffer_store_dword v2, off, s[0:3], 0 offset:12
	buffer_store_dword v1, off, s[0:3], 0 offset:8
	flat_load_dwordx2 v[1:2], v[13:14]
	v_lshlrev_b64 v[5:6], 3, v[4:5]
	v_add_nc_u32_e32 v4, s9, v4
	s_waitcnt vmcnt(0) lgkmcnt(0)
	buffer_store_dword v2, off, s[0:3], 0 offset:20
	buffer_store_dword v1, off, s[0:3], 0 offset:16
	v_add_co_u32 v15, vcc_lo, s4, v5
	v_add_co_ci_u32_e64 v16, null, s5, v6, vcc_lo
	v_ashrrev_i32_e32 v5, 31, v4
	flat_load_dwordx2 v[1:2], v[15:16]
	s_waitcnt vmcnt(0) lgkmcnt(0)
	buffer_store_dword v2, off, s[0:3], 0 offset:28
	buffer_store_dword v1, off, s[0:3], 0 offset:24
	v_lshlrev_b64 v[5:6], 3, v[4:5]
	v_add_nc_u32_e32 v4, s9, v4
	v_add_co_u32 v17, vcc_lo, s4, v5
	v_add_co_ci_u32_e64 v18, null, s5, v6, vcc_lo
	v_ashrrev_i32_e32 v5, 31, v4
	flat_load_dwordx2 v[1:2], v[17:18]
	s_waitcnt vmcnt(0) lgkmcnt(0)
	buffer_store_dword v2, off, s[0:3], 0 offset:36
	buffer_store_dword v1, off, s[0:3], 0 offset:32
	v_lshlrev_b64 v[5:6], 3, v[4:5]
	v_add_nc_u32_e32 v4, s9, v4
	;; [unrolled: 9-line block ×45, first 2 shown]
	v_add_co_u32 v105, vcc_lo, s4, v5
	v_add_co_ci_u32_e64 v106, null, s5, v6, vcc_lo
	v_ashrrev_i32_e32 v5, 31, v4
	flat_load_dwordx2 v[1:2], v[105:106]
	s_waitcnt vmcnt(0) lgkmcnt(0)
	buffer_store_dword v2, off, s[0:3], 0 offset:388
	buffer_store_dword v1, off, s[0:3], 0 offset:384
	v_lshlrev_b64 v[4:5], 3, v[4:5]
	v_add_co_u32 v107, vcc_lo, s4, v4
	v_add_co_ci_u32_e64 v108, null, s5, v5, vcc_lo
	s_mov_b32 s5, -1
	flat_load_dwordx2 v[1:2], v[107:108]
	s_waitcnt vmcnt(0) lgkmcnt(0)
	buffer_store_dword v2, off, s[0:3], 0 offset:396
	buffer_store_dword v1, off, s[0:3], 0 offset:392
	s_cbranch_scc1 .LBB113_212
; %bb.4:
	v_cmp_eq_u32_e64 s4, 0, v0
	s_and_saveexec_b32 s5, s4
; %bb.5:
	v_mov_b32_e32 v1, 0
	ds_write_b32 v1, v1 offset:800
; %bb.6:
	s_or_b32 exec_lo, exec_lo, s5
	v_lshl_add_u32 v5, v0, 3, 0
	s_waitcnt lgkmcnt(0)
	s_waitcnt_vscnt null, 0x0
	s_barrier
	buffer_gl0_inv
	s_clause 0x1
	buffer_load_dword v1, v5, s[0:3], 0 offen
	buffer_load_dword v2, v5, s[0:3], 0 offen offset:4
	s_waitcnt vmcnt(1)
	v_cmp_eq_f32_e32 vcc_lo, 0, v1
	s_waitcnt vmcnt(0)
	v_cmp_eq_f32_e64 s5, 0, v2
	s_and_b32 s5, vcc_lo, s5
	s_and_saveexec_b32 s8, s5
	s_cbranch_execz .LBB113_10
; %bb.7:
	v_mov_b32_e32 v1, 0
	s_mov_b32 s9, 0
	ds_read_b32 v2, v1 offset:800
	s_waitcnt lgkmcnt(0)
	v_readfirstlane_b32 s5, v2
	v_add_nc_u32_e32 v2, 1, v0
	s_cmp_eq_u32 s5, 0
	v_cmp_gt_i32_e32 vcc_lo, s5, v2
	s_cselect_b32 s14, -1, 0
	s_or_b32 s14, s14, vcc_lo
	s_and_b32 exec_lo, exec_lo, s14
	s_cbranch_execz .LBB113_10
; %bb.8:
	v_mov_b32_e32 v4, s5
.LBB113_9:                              ; =>This Inner Loop Header: Depth=1
	ds_cmpst_rtn_b32 v4, v1, v4, v2 offset:800
	s_waitcnt lgkmcnt(0)
	v_cmp_ne_u32_e32 vcc_lo, 0, v4
	v_cmp_le_i32_e64 s5, v4, v2
	s_and_b32 s5, vcc_lo, s5
	s_and_b32 s5, exec_lo, s5
	s_or_b32 s9, s5, s9
	s_andn2_b32 exec_lo, exec_lo, s9
	s_cbranch_execnz .LBB113_9
.LBB113_10:
	s_or_b32 exec_lo, exec_lo, s8
	v_mov_b32_e32 v1, 0
	s_barrier
	buffer_gl0_inv
	ds_read_b32 v2, v1 offset:800
	s_and_saveexec_b32 s5, s4
	s_cbranch_execz .LBB113_12
; %bb.11:
	s_lshl_b64 s[8:9], s[6:7], 2
	s_add_u32 s8, s10, s8
	s_addc_u32 s9, s11, s9
	s_waitcnt lgkmcnt(0)
	global_store_dword v1, v2, s[8:9]
.LBB113_12:
	s_or_b32 exec_lo, exec_lo, s5
	s_waitcnt lgkmcnt(0)
	v_cmp_ne_u32_e32 vcc_lo, 0, v2
	s_mov_b32 s5, 0
	s_cbranch_vccnz .LBB113_212
; %bb.13:
	s_clause 0x1
	buffer_load_dword v2, v5, s[0:3], 0 offen
	buffer_load_dword v4, v5, s[0:3], 0 offen offset:4
                                        ; implicit-def: $vgpr7
                                        ; implicit-def: $vgpr6
                                        ; implicit-def: $vgpr1
	s_waitcnt vmcnt(0)
	v_cmp_ngt_f32_e64 s5, |v2|, |v4|
	s_and_saveexec_b32 s8, s5
	s_xor_b32 s5, exec_lo, s8
	s_cbranch_execz .LBB113_15
; %bb.14:
	v_div_scale_f32 v1, null, v4, v4, v2
	v_div_scale_f32 v8, vcc_lo, v2, v4, v2
	v_rcp_f32_e32 v6, v1
	v_fma_f32 v7, -v1, v6, 1.0
	v_fmac_f32_e32 v6, v7, v6
	v_mul_f32_e32 v7, v8, v6
	v_fma_f32 v109, -v1, v7, v8
	v_fmac_f32_e32 v7, v109, v6
	v_fma_f32 v1, -v1, v7, v8
	v_div_fmas_f32 v1, v1, v6, v7
	v_div_fixup_f32 v1, v1, v4, v2
	v_fmac_f32_e32 v4, v2, v1
	v_div_scale_f32 v2, null, v4, v4, 1.0
	v_rcp_f32_e32 v6, v2
	v_fma_f32 v7, -v2, v6, 1.0
	v_fmac_f32_e32 v6, v7, v6
	v_div_scale_f32 v7, vcc_lo, 1.0, v4, 1.0
	v_mul_f32_e32 v8, v7, v6
	v_fma_f32 v109, -v2, v8, v7
	v_fmac_f32_e32 v8, v109, v6
	v_fma_f32 v2, -v2, v8, v7
	v_div_fmas_f32 v2, v2, v6, v8
	v_div_fixup_f32 v2, v2, v4, 1.0
                                        ; implicit-def: $vgpr4
	v_mul_f32_e32 v7, v1, v2
	v_xor_b32_e32 v6, 0x80000000, v2
                                        ; implicit-def: $vgpr2
	v_xor_b32_e32 v1, 0x80000000, v7
.LBB113_15:
	s_andn2_saveexec_b32 s5, s5
	s_cbranch_execz .LBB113_17
; %bb.16:
	v_div_scale_f32 v1, null, v2, v2, v4
	v_div_scale_f32 v8, vcc_lo, v4, v2, v4
	v_rcp_f32_e32 v6, v1
	v_fma_f32 v7, -v1, v6, 1.0
	v_fmac_f32_e32 v6, v7, v6
	v_mul_f32_e32 v7, v8, v6
	v_fma_f32 v109, -v1, v7, v8
	v_fmac_f32_e32 v7, v109, v6
	v_fma_f32 v1, -v1, v7, v8
	v_div_fmas_f32 v1, v1, v6, v7
	v_div_fixup_f32 v6, v1, v2, v4
	v_fmac_f32_e32 v2, v4, v6
	v_div_scale_f32 v1, null, v2, v2, 1.0
	v_div_scale_f32 v8, vcc_lo, 1.0, v2, 1.0
	v_rcp_f32_e32 v4, v1
	v_fma_f32 v7, -v1, v4, 1.0
	v_fmac_f32_e32 v4, v7, v4
	v_mul_f32_e32 v7, v8, v4
	v_fma_f32 v109, -v1, v7, v8
	v_fmac_f32_e32 v7, v109, v4
	v_fma_f32 v1, -v1, v7, v8
	v_div_fmas_f32 v1, v1, v4, v7
	v_div_fixup_f32 v7, v1, v2, 1.0
	v_xor_b32_e32 v1, 0x80000000, v7
	v_mul_f32_e64 v6, v6, -v7
.LBB113_17:
	s_or_b32 exec_lo, exec_lo, s5
	buffer_store_dword v7, v5, s[0:3], 0 offen
	buffer_store_dword v6, v5, s[0:3], 0 offen offset:4
	s_clause 0x1
	buffer_load_dword v8, off, s[0:3], 0 offset:12
	buffer_load_dword v7, off, s[0:3], 0 offset:8
	v_xor_b32_e32 v2, 0x80000000, v6
	v_add_nc_u32_e32 v4, 0x190, v3
	s_waitcnt vmcnt(0)
	ds_write2_b64 v3, v[1:2], v[7:8] offset1:50
	s_waitcnt lgkmcnt(0)
	s_waitcnt_vscnt null, 0x0
	s_barrier
	buffer_gl0_inv
	s_and_saveexec_b32 s5, s4
	s_cbranch_execz .LBB113_19
; %bb.18:
	s_clause 0x1
	buffer_load_dword v8, v5, s[0:3], 0 offen offset:4
	buffer_load_dword v109, v5, s[0:3], 0 offen
	ds_read_b64 v[1:2], v4
	v_mov_b32_e32 v6, 0
	ds_read_b64 v[6:7], v6 offset:8
	s_waitcnt vmcnt(1) lgkmcnt(1)
	v_mul_f32_e32 v110, v1, v8
	v_mul_f32_e32 v8, v2, v8
	s_waitcnt vmcnt(0)
	v_fmac_f32_e32 v110, v2, v109
	v_fma_f32 v1, v1, v109, -v8
	v_add_f32_e32 v2, 0, v110
	v_add_f32_e32 v1, 0, v1
	s_waitcnt lgkmcnt(0)
	v_mul_f32_e32 v8, v2, v7
	v_mul_f32_e32 v7, v1, v7
	v_fma_f32 v1, v1, v6, -v8
	v_fmac_f32_e32 v7, v2, v6
	buffer_store_dword v1, off, s[0:3], 0 offset:8
	buffer_store_dword v7, off, s[0:3], 0 offset:12
.LBB113_19:
	s_or_b32 exec_lo, exec_lo, s5
	s_waitcnt_vscnt null, 0x0
	s_barrier
	buffer_gl0_inv
	s_clause 0x1
	buffer_load_dword v1, off, s[0:3], 0 offset:16
	buffer_load_dword v2, off, s[0:3], 0 offset:20
	s_mov_b32 s5, exec_lo
	s_waitcnt vmcnt(0)
	ds_write_b64 v4, v[1:2]
	s_waitcnt lgkmcnt(0)
	s_barrier
	buffer_gl0_inv
	v_cmpx_gt_u32_e32 2, v0
	s_cbranch_execz .LBB113_23
; %bb.20:
	s_clause 0x1
	buffer_load_dword v6, v5, s[0:3], 0 offen offset:4
	buffer_load_dword v5, v5, s[0:3], 0 offen
	ds_read_b64 v[1:2], v4
	s_waitcnt vmcnt(1) lgkmcnt(0)
	v_mul_f32_e32 v7, v2, v6
	v_mul_f32_e32 v6, v1, v6
	s_waitcnt vmcnt(0)
	v_fma_f32 v1, v1, v5, -v7
	v_fmac_f32_e32 v6, v2, v5
	v_add_f32_e32 v2, 0, v1
	v_add_f32_e32 v1, 0, v6
	s_and_saveexec_b32 s8, s4
	s_cbranch_execz .LBB113_22
; %bb.21:
	s_clause 0x1
	buffer_load_dword v7, off, s[0:3], 0 offset:12
	buffer_load_dword v8, off, s[0:3], 0 offset:8
	v_mov_b32_e32 v5, 0
	ds_read_b64 v[5:6], v5 offset:408
	s_waitcnt vmcnt(1) lgkmcnt(0)
	v_mul_f32_e32 v109, v5, v7
	v_mul_f32_e32 v7, v6, v7
	s_waitcnt vmcnt(0)
	v_fmac_f32_e32 v109, v6, v8
	v_fma_f32 v5, v5, v8, -v7
	v_add_f32_e32 v1, v1, v109
	v_add_f32_e32 v2, v2, v5
.LBB113_22:
	s_or_b32 exec_lo, exec_lo, s8
	v_mov_b32_e32 v5, 0
	ds_read_b64 v[5:6], v5 offset:16
	s_waitcnt lgkmcnt(0)
	v_mul_f32_e32 v7, v1, v6
	v_mul_f32_e32 v6, v2, v6
	v_fma_f32 v2, v2, v5, -v7
	v_fmac_f32_e32 v6, v1, v5
	buffer_store_dword v2, off, s[0:3], 0 offset:16
	buffer_store_dword v6, off, s[0:3], 0 offset:20
.LBB113_23:
	s_or_b32 exec_lo, exec_lo, s5
	s_waitcnt_vscnt null, 0x0
	s_barrier
	buffer_gl0_inv
	s_clause 0x1
	buffer_load_dword v5, off, s[0:3], 0 offset:24
	buffer_load_dword v6, off, s[0:3], 0 offset:28
	v_add_nc_u32_e32 v1, -1, v0
	s_mov_b32 s4, exec_lo
	s_waitcnt vmcnt(0)
	ds_write_b64 v4, v[5:6]
	s_waitcnt lgkmcnt(0)
	s_barrier
	buffer_gl0_inv
	v_cmpx_gt_u32_e32 3, v0
	s_cbranch_execz .LBB113_27
; %bb.24:
	v_add_nc_u32_e32 v5, -1, v0
	v_add_nc_u32_e32 v6, 0x190, v3
	v_mov_b32_e32 v7, v3
	v_mov_b32_e32 v2, 0
	;; [unrolled: 1-line block ×3, first 2 shown]
	s_mov_b32 s5, 0
	.p2align	6
.LBB113_25:                             ; =>This Inner Loop Header: Depth=1
	s_clause 0x1
	buffer_load_dword v111, v7, s[0:3], 0 offen offset:4
	buffer_load_dword v112, v7, s[0:3], 0 offen
	ds_read_b64 v[109:110], v6
	v_add_nc_u32_e32 v5, 1, v5
	v_add_nc_u32_e32 v6, 8, v6
	;; [unrolled: 1-line block ×3, first 2 shown]
	v_cmp_lt_u32_e32 vcc_lo, 1, v5
	s_or_b32 s5, vcc_lo, s5
	s_waitcnt vmcnt(1) lgkmcnt(0)
	v_mul_f32_e32 v113, v110, v111
	v_mul_f32_e32 v111, v109, v111
	s_waitcnt vmcnt(0)
	v_fma_f32 v109, v109, v112, -v113
	v_fmac_f32_e32 v111, v110, v112
	v_add_f32_e32 v8, v8, v109
	v_add_f32_e32 v2, v2, v111
	s_andn2_b32 exec_lo, exec_lo, s5
	s_cbranch_execnz .LBB113_25
; %bb.26:
	s_or_b32 exec_lo, exec_lo, s5
	v_mov_b32_e32 v5, 0
	ds_read_b64 v[5:6], v5 offset:24
	s_waitcnt lgkmcnt(0)
	v_mul_f32_e32 v7, v2, v6
	v_mul_f32_e32 v6, v8, v6
	v_fma_f32 v7, v8, v5, -v7
	v_fmac_f32_e32 v6, v2, v5
	buffer_store_dword v7, off, s[0:3], 0 offset:24
	buffer_store_dword v6, off, s[0:3], 0 offset:28
.LBB113_27:
	s_or_b32 exec_lo, exec_lo, s4
	s_waitcnt_vscnt null, 0x0
	s_barrier
	buffer_gl0_inv
	s_clause 0x1
	buffer_load_dword v5, off, s[0:3], 0 offset:32
	buffer_load_dword v6, off, s[0:3], 0 offset:36
	s_mov_b32 s4, exec_lo
	s_waitcnt vmcnt(0)
	ds_write_b64 v4, v[5:6]
	s_waitcnt lgkmcnt(0)
	s_barrier
	buffer_gl0_inv
	v_cmpx_gt_u32_e32 4, v0
	s_cbranch_execz .LBB113_31
; %bb.28:
	v_add_nc_u32_e32 v5, -1, v0
	v_add_nc_u32_e32 v6, 0x190, v3
	v_mov_b32_e32 v7, v3
	v_mov_b32_e32 v2, 0
	;; [unrolled: 1-line block ×3, first 2 shown]
	s_mov_b32 s5, 0
	.p2align	6
.LBB113_29:                             ; =>This Inner Loop Header: Depth=1
	s_clause 0x1
	buffer_load_dword v111, v7, s[0:3], 0 offen offset:4
	buffer_load_dword v112, v7, s[0:3], 0 offen
	ds_read_b64 v[109:110], v6
	v_add_nc_u32_e32 v5, 1, v5
	v_add_nc_u32_e32 v6, 8, v6
	;; [unrolled: 1-line block ×3, first 2 shown]
	v_cmp_lt_u32_e32 vcc_lo, 2, v5
	s_or_b32 s5, vcc_lo, s5
	s_waitcnt vmcnt(1) lgkmcnt(0)
	v_mul_f32_e32 v113, v110, v111
	v_mul_f32_e32 v111, v109, v111
	s_waitcnt vmcnt(0)
	v_fma_f32 v109, v109, v112, -v113
	v_fmac_f32_e32 v111, v110, v112
	v_add_f32_e32 v8, v8, v109
	v_add_f32_e32 v2, v2, v111
	s_andn2_b32 exec_lo, exec_lo, s5
	s_cbranch_execnz .LBB113_29
; %bb.30:
	s_or_b32 exec_lo, exec_lo, s5
	v_mov_b32_e32 v5, 0
	ds_read_b64 v[5:6], v5 offset:32
	s_waitcnt lgkmcnt(0)
	v_mul_f32_e32 v7, v2, v6
	v_mul_f32_e32 v6, v8, v6
	v_fma_f32 v7, v8, v5, -v7
	v_fmac_f32_e32 v6, v2, v5
	buffer_store_dword v7, off, s[0:3], 0 offset:32
	buffer_store_dword v6, off, s[0:3], 0 offset:36
.LBB113_31:
	s_or_b32 exec_lo, exec_lo, s4
	s_waitcnt_vscnt null, 0x0
	s_barrier
	buffer_gl0_inv
	s_clause 0x1
	buffer_load_dword v5, off, s[0:3], 0 offset:40
	buffer_load_dword v6, off, s[0:3], 0 offset:44
	s_mov_b32 s4, exec_lo
	s_waitcnt vmcnt(0)
	ds_write_b64 v4, v[5:6]
	s_waitcnt lgkmcnt(0)
	s_barrier
	buffer_gl0_inv
	v_cmpx_gt_u32_e32 5, v0
	s_cbranch_execz .LBB113_35
; %bb.32:
	v_add_nc_u32_e32 v5, -1, v0
	v_add_nc_u32_e32 v6, 0x190, v3
	v_mov_b32_e32 v7, v3
	v_mov_b32_e32 v2, 0
	;; [unrolled: 1-line block ×3, first 2 shown]
	s_mov_b32 s5, 0
	.p2align	6
.LBB113_33:                             ; =>This Inner Loop Header: Depth=1
	s_clause 0x1
	buffer_load_dword v111, v7, s[0:3], 0 offen offset:4
	buffer_load_dword v112, v7, s[0:3], 0 offen
	ds_read_b64 v[109:110], v6
	v_add_nc_u32_e32 v5, 1, v5
	v_add_nc_u32_e32 v6, 8, v6
	;; [unrolled: 1-line block ×3, first 2 shown]
	v_cmp_lt_u32_e32 vcc_lo, 3, v5
	s_or_b32 s5, vcc_lo, s5
	s_waitcnt vmcnt(1) lgkmcnt(0)
	v_mul_f32_e32 v113, v110, v111
	v_mul_f32_e32 v111, v109, v111
	s_waitcnt vmcnt(0)
	v_fma_f32 v109, v109, v112, -v113
	v_fmac_f32_e32 v111, v110, v112
	v_add_f32_e32 v8, v8, v109
	v_add_f32_e32 v2, v2, v111
	s_andn2_b32 exec_lo, exec_lo, s5
	s_cbranch_execnz .LBB113_33
; %bb.34:
	s_or_b32 exec_lo, exec_lo, s5
	v_mov_b32_e32 v5, 0
	ds_read_b64 v[5:6], v5 offset:40
	s_waitcnt lgkmcnt(0)
	v_mul_f32_e32 v7, v2, v6
	v_mul_f32_e32 v6, v8, v6
	v_fma_f32 v7, v8, v5, -v7
	v_fmac_f32_e32 v6, v2, v5
	buffer_store_dword v7, off, s[0:3], 0 offset:40
	buffer_store_dword v6, off, s[0:3], 0 offset:44
.LBB113_35:
	s_or_b32 exec_lo, exec_lo, s4
	s_waitcnt_vscnt null, 0x0
	s_barrier
	buffer_gl0_inv
	s_clause 0x1
	buffer_load_dword v5, off, s[0:3], 0 offset:48
	buffer_load_dword v6, off, s[0:3], 0 offset:52
	s_mov_b32 s4, exec_lo
	s_waitcnt vmcnt(0)
	ds_write_b64 v4, v[5:6]
	s_waitcnt lgkmcnt(0)
	s_barrier
	buffer_gl0_inv
	v_cmpx_gt_u32_e32 6, v0
	s_cbranch_execz .LBB113_39
; %bb.36:
	v_add_nc_u32_e32 v5, -1, v0
	v_add_nc_u32_e32 v6, 0x190, v3
	v_mov_b32_e32 v7, v3
	v_mov_b32_e32 v2, 0
	;; [unrolled: 1-line block ×3, first 2 shown]
	s_mov_b32 s5, 0
	.p2align	6
.LBB113_37:                             ; =>This Inner Loop Header: Depth=1
	s_clause 0x1
	buffer_load_dword v111, v7, s[0:3], 0 offen offset:4
	buffer_load_dword v112, v7, s[0:3], 0 offen
	ds_read_b64 v[109:110], v6
	v_add_nc_u32_e32 v5, 1, v5
	v_add_nc_u32_e32 v6, 8, v6
	;; [unrolled: 1-line block ×3, first 2 shown]
	v_cmp_lt_u32_e32 vcc_lo, 4, v5
	s_or_b32 s5, vcc_lo, s5
	s_waitcnt vmcnt(1) lgkmcnt(0)
	v_mul_f32_e32 v113, v110, v111
	v_mul_f32_e32 v111, v109, v111
	s_waitcnt vmcnt(0)
	v_fma_f32 v109, v109, v112, -v113
	v_fmac_f32_e32 v111, v110, v112
	v_add_f32_e32 v8, v8, v109
	v_add_f32_e32 v2, v2, v111
	s_andn2_b32 exec_lo, exec_lo, s5
	s_cbranch_execnz .LBB113_37
; %bb.38:
	s_or_b32 exec_lo, exec_lo, s5
	v_mov_b32_e32 v5, 0
	ds_read_b64 v[5:6], v5 offset:48
	s_waitcnt lgkmcnt(0)
	v_mul_f32_e32 v7, v2, v6
	v_mul_f32_e32 v6, v8, v6
	v_fma_f32 v7, v8, v5, -v7
	v_fmac_f32_e32 v6, v2, v5
	buffer_store_dword v7, off, s[0:3], 0 offset:48
	buffer_store_dword v6, off, s[0:3], 0 offset:52
.LBB113_39:
	s_or_b32 exec_lo, exec_lo, s4
	s_waitcnt_vscnt null, 0x0
	s_barrier
	buffer_gl0_inv
	s_clause 0x1
	buffer_load_dword v5, off, s[0:3], 0 offset:56
	buffer_load_dword v6, off, s[0:3], 0 offset:60
	s_mov_b32 s4, exec_lo
	s_waitcnt vmcnt(0)
	ds_write_b64 v4, v[5:6]
	s_waitcnt lgkmcnt(0)
	s_barrier
	buffer_gl0_inv
	v_cmpx_gt_u32_e32 7, v0
	s_cbranch_execz .LBB113_43
; %bb.40:
	v_add_nc_u32_e32 v5, -1, v0
	v_add_nc_u32_e32 v6, 0x190, v3
	v_mov_b32_e32 v7, v3
	v_mov_b32_e32 v2, 0
	;; [unrolled: 1-line block ×3, first 2 shown]
	s_mov_b32 s5, 0
	.p2align	6
.LBB113_41:                             ; =>This Inner Loop Header: Depth=1
	s_clause 0x1
	buffer_load_dword v111, v7, s[0:3], 0 offen offset:4
	buffer_load_dword v112, v7, s[0:3], 0 offen
	ds_read_b64 v[109:110], v6
	v_add_nc_u32_e32 v5, 1, v5
	v_add_nc_u32_e32 v6, 8, v6
	;; [unrolled: 1-line block ×3, first 2 shown]
	v_cmp_lt_u32_e32 vcc_lo, 5, v5
	s_or_b32 s5, vcc_lo, s5
	s_waitcnt vmcnt(1) lgkmcnt(0)
	v_mul_f32_e32 v113, v110, v111
	v_mul_f32_e32 v111, v109, v111
	s_waitcnt vmcnt(0)
	v_fma_f32 v109, v109, v112, -v113
	v_fmac_f32_e32 v111, v110, v112
	v_add_f32_e32 v8, v8, v109
	v_add_f32_e32 v2, v2, v111
	s_andn2_b32 exec_lo, exec_lo, s5
	s_cbranch_execnz .LBB113_41
; %bb.42:
	s_or_b32 exec_lo, exec_lo, s5
	v_mov_b32_e32 v5, 0
	ds_read_b64 v[5:6], v5 offset:56
	s_waitcnt lgkmcnt(0)
	v_mul_f32_e32 v7, v2, v6
	v_mul_f32_e32 v6, v8, v6
	v_fma_f32 v7, v8, v5, -v7
	v_fmac_f32_e32 v6, v2, v5
	buffer_store_dword v7, off, s[0:3], 0 offset:56
	buffer_store_dword v6, off, s[0:3], 0 offset:60
.LBB113_43:
	s_or_b32 exec_lo, exec_lo, s4
	s_waitcnt_vscnt null, 0x0
	s_barrier
	buffer_gl0_inv
	s_clause 0x1
	buffer_load_dword v5, off, s[0:3], 0 offset:64
	buffer_load_dword v6, off, s[0:3], 0 offset:68
	s_mov_b32 s4, exec_lo
	s_waitcnt vmcnt(0)
	ds_write_b64 v4, v[5:6]
	s_waitcnt lgkmcnt(0)
	s_barrier
	buffer_gl0_inv
	v_cmpx_gt_u32_e32 8, v0
	s_cbranch_execz .LBB113_47
; %bb.44:
	v_add_nc_u32_e32 v5, -1, v0
	v_add_nc_u32_e32 v6, 0x190, v3
	v_mov_b32_e32 v7, v3
	v_mov_b32_e32 v2, 0
	;; [unrolled: 1-line block ×3, first 2 shown]
	s_mov_b32 s5, 0
	.p2align	6
.LBB113_45:                             ; =>This Inner Loop Header: Depth=1
	s_clause 0x1
	buffer_load_dword v111, v7, s[0:3], 0 offen offset:4
	buffer_load_dword v112, v7, s[0:3], 0 offen
	ds_read_b64 v[109:110], v6
	v_add_nc_u32_e32 v5, 1, v5
	v_add_nc_u32_e32 v6, 8, v6
	;; [unrolled: 1-line block ×3, first 2 shown]
	v_cmp_lt_u32_e32 vcc_lo, 6, v5
	s_or_b32 s5, vcc_lo, s5
	s_waitcnt vmcnt(1) lgkmcnt(0)
	v_mul_f32_e32 v113, v110, v111
	v_mul_f32_e32 v111, v109, v111
	s_waitcnt vmcnt(0)
	v_fma_f32 v109, v109, v112, -v113
	v_fmac_f32_e32 v111, v110, v112
	v_add_f32_e32 v8, v8, v109
	v_add_f32_e32 v2, v2, v111
	s_andn2_b32 exec_lo, exec_lo, s5
	s_cbranch_execnz .LBB113_45
; %bb.46:
	s_or_b32 exec_lo, exec_lo, s5
	v_mov_b32_e32 v5, 0
	ds_read_b64 v[5:6], v5 offset:64
	s_waitcnt lgkmcnt(0)
	v_mul_f32_e32 v7, v2, v6
	v_mul_f32_e32 v6, v8, v6
	v_fma_f32 v7, v8, v5, -v7
	v_fmac_f32_e32 v6, v2, v5
	buffer_store_dword v7, off, s[0:3], 0 offset:64
	buffer_store_dword v6, off, s[0:3], 0 offset:68
.LBB113_47:
	s_or_b32 exec_lo, exec_lo, s4
	s_waitcnt_vscnt null, 0x0
	s_barrier
	buffer_gl0_inv
	s_clause 0x1
	buffer_load_dword v5, off, s[0:3], 0 offset:72
	buffer_load_dword v6, off, s[0:3], 0 offset:76
	s_mov_b32 s4, exec_lo
	s_waitcnt vmcnt(0)
	ds_write_b64 v4, v[5:6]
	s_waitcnt lgkmcnt(0)
	s_barrier
	buffer_gl0_inv
	v_cmpx_gt_u32_e32 9, v0
	s_cbranch_execz .LBB113_51
; %bb.48:
	v_add_nc_u32_e32 v5, -1, v0
	v_add_nc_u32_e32 v6, 0x190, v3
	v_mov_b32_e32 v7, v3
	v_mov_b32_e32 v2, 0
	;; [unrolled: 1-line block ×3, first 2 shown]
	s_mov_b32 s5, 0
	.p2align	6
.LBB113_49:                             ; =>This Inner Loop Header: Depth=1
	s_clause 0x1
	buffer_load_dword v111, v7, s[0:3], 0 offen offset:4
	buffer_load_dword v112, v7, s[0:3], 0 offen
	ds_read_b64 v[109:110], v6
	v_add_nc_u32_e32 v5, 1, v5
	v_add_nc_u32_e32 v6, 8, v6
	;; [unrolled: 1-line block ×3, first 2 shown]
	v_cmp_lt_u32_e32 vcc_lo, 7, v5
	s_or_b32 s5, vcc_lo, s5
	s_waitcnt vmcnt(1) lgkmcnt(0)
	v_mul_f32_e32 v113, v110, v111
	v_mul_f32_e32 v111, v109, v111
	s_waitcnt vmcnt(0)
	v_fma_f32 v109, v109, v112, -v113
	v_fmac_f32_e32 v111, v110, v112
	v_add_f32_e32 v8, v8, v109
	v_add_f32_e32 v2, v2, v111
	s_andn2_b32 exec_lo, exec_lo, s5
	s_cbranch_execnz .LBB113_49
; %bb.50:
	s_or_b32 exec_lo, exec_lo, s5
	v_mov_b32_e32 v5, 0
	ds_read_b64 v[5:6], v5 offset:72
	s_waitcnt lgkmcnt(0)
	v_mul_f32_e32 v7, v2, v6
	v_mul_f32_e32 v6, v8, v6
	v_fma_f32 v7, v8, v5, -v7
	v_fmac_f32_e32 v6, v2, v5
	buffer_store_dword v7, off, s[0:3], 0 offset:72
	buffer_store_dword v6, off, s[0:3], 0 offset:76
.LBB113_51:
	s_or_b32 exec_lo, exec_lo, s4
	s_waitcnt_vscnt null, 0x0
	s_barrier
	buffer_gl0_inv
	s_clause 0x1
	buffer_load_dword v5, off, s[0:3], 0 offset:80
	buffer_load_dword v6, off, s[0:3], 0 offset:84
	s_mov_b32 s4, exec_lo
	s_waitcnt vmcnt(0)
	ds_write_b64 v4, v[5:6]
	s_waitcnt lgkmcnt(0)
	s_barrier
	buffer_gl0_inv
	v_cmpx_gt_u32_e32 10, v0
	s_cbranch_execz .LBB113_55
; %bb.52:
	v_add_nc_u32_e32 v5, -1, v0
	v_add_nc_u32_e32 v6, 0x190, v3
	v_mov_b32_e32 v7, v3
	v_mov_b32_e32 v2, 0
	;; [unrolled: 1-line block ×3, first 2 shown]
	s_mov_b32 s5, 0
	.p2align	6
.LBB113_53:                             ; =>This Inner Loop Header: Depth=1
	s_clause 0x1
	buffer_load_dword v111, v7, s[0:3], 0 offen offset:4
	buffer_load_dword v112, v7, s[0:3], 0 offen
	ds_read_b64 v[109:110], v6
	v_add_nc_u32_e32 v5, 1, v5
	v_add_nc_u32_e32 v6, 8, v6
	;; [unrolled: 1-line block ×3, first 2 shown]
	v_cmp_lt_u32_e32 vcc_lo, 8, v5
	s_or_b32 s5, vcc_lo, s5
	s_waitcnt vmcnt(1) lgkmcnt(0)
	v_mul_f32_e32 v113, v110, v111
	v_mul_f32_e32 v111, v109, v111
	s_waitcnt vmcnt(0)
	v_fma_f32 v109, v109, v112, -v113
	v_fmac_f32_e32 v111, v110, v112
	v_add_f32_e32 v8, v8, v109
	v_add_f32_e32 v2, v2, v111
	s_andn2_b32 exec_lo, exec_lo, s5
	s_cbranch_execnz .LBB113_53
; %bb.54:
	s_or_b32 exec_lo, exec_lo, s5
	v_mov_b32_e32 v5, 0
	ds_read_b64 v[5:6], v5 offset:80
	s_waitcnt lgkmcnt(0)
	v_mul_f32_e32 v7, v2, v6
	v_mul_f32_e32 v6, v8, v6
	v_fma_f32 v7, v8, v5, -v7
	v_fmac_f32_e32 v6, v2, v5
	buffer_store_dword v7, off, s[0:3], 0 offset:80
	buffer_store_dword v6, off, s[0:3], 0 offset:84
.LBB113_55:
	s_or_b32 exec_lo, exec_lo, s4
	s_waitcnt_vscnt null, 0x0
	s_barrier
	buffer_gl0_inv
	s_clause 0x1
	buffer_load_dword v5, off, s[0:3], 0 offset:88
	buffer_load_dword v6, off, s[0:3], 0 offset:92
	s_mov_b32 s4, exec_lo
	s_waitcnt vmcnt(0)
	ds_write_b64 v4, v[5:6]
	s_waitcnt lgkmcnt(0)
	s_barrier
	buffer_gl0_inv
	v_cmpx_gt_u32_e32 11, v0
	s_cbranch_execz .LBB113_59
; %bb.56:
	v_add_nc_u32_e32 v5, -1, v0
	v_add_nc_u32_e32 v6, 0x190, v3
	v_mov_b32_e32 v7, v3
	v_mov_b32_e32 v2, 0
	;; [unrolled: 1-line block ×3, first 2 shown]
	s_mov_b32 s5, 0
	.p2align	6
.LBB113_57:                             ; =>This Inner Loop Header: Depth=1
	s_clause 0x1
	buffer_load_dword v111, v7, s[0:3], 0 offen offset:4
	buffer_load_dword v112, v7, s[0:3], 0 offen
	ds_read_b64 v[109:110], v6
	v_add_nc_u32_e32 v5, 1, v5
	v_add_nc_u32_e32 v6, 8, v6
	;; [unrolled: 1-line block ×3, first 2 shown]
	v_cmp_lt_u32_e32 vcc_lo, 9, v5
	s_or_b32 s5, vcc_lo, s5
	s_waitcnt vmcnt(1) lgkmcnt(0)
	v_mul_f32_e32 v113, v110, v111
	v_mul_f32_e32 v111, v109, v111
	s_waitcnt vmcnt(0)
	v_fma_f32 v109, v109, v112, -v113
	v_fmac_f32_e32 v111, v110, v112
	v_add_f32_e32 v8, v8, v109
	v_add_f32_e32 v2, v2, v111
	s_andn2_b32 exec_lo, exec_lo, s5
	s_cbranch_execnz .LBB113_57
; %bb.58:
	s_or_b32 exec_lo, exec_lo, s5
	v_mov_b32_e32 v5, 0
	ds_read_b64 v[5:6], v5 offset:88
	s_waitcnt lgkmcnt(0)
	v_mul_f32_e32 v7, v2, v6
	v_mul_f32_e32 v6, v8, v6
	v_fma_f32 v7, v8, v5, -v7
	v_fmac_f32_e32 v6, v2, v5
	buffer_store_dword v7, off, s[0:3], 0 offset:88
	buffer_store_dword v6, off, s[0:3], 0 offset:92
.LBB113_59:
	s_or_b32 exec_lo, exec_lo, s4
	s_waitcnt_vscnt null, 0x0
	s_barrier
	buffer_gl0_inv
	s_clause 0x1
	buffer_load_dword v5, off, s[0:3], 0 offset:96
	buffer_load_dword v6, off, s[0:3], 0 offset:100
	s_mov_b32 s4, exec_lo
	s_waitcnt vmcnt(0)
	ds_write_b64 v4, v[5:6]
	s_waitcnt lgkmcnt(0)
	s_barrier
	buffer_gl0_inv
	v_cmpx_gt_u32_e32 12, v0
	s_cbranch_execz .LBB113_63
; %bb.60:
	v_add_nc_u32_e32 v5, -1, v0
	v_add_nc_u32_e32 v6, 0x190, v3
	v_mov_b32_e32 v7, v3
	v_mov_b32_e32 v2, 0
	;; [unrolled: 1-line block ×3, first 2 shown]
	s_mov_b32 s5, 0
	.p2align	6
.LBB113_61:                             ; =>This Inner Loop Header: Depth=1
	s_clause 0x1
	buffer_load_dword v111, v7, s[0:3], 0 offen offset:4
	buffer_load_dword v112, v7, s[0:3], 0 offen
	ds_read_b64 v[109:110], v6
	v_add_nc_u32_e32 v5, 1, v5
	v_add_nc_u32_e32 v6, 8, v6
	;; [unrolled: 1-line block ×3, first 2 shown]
	v_cmp_lt_u32_e32 vcc_lo, 10, v5
	s_or_b32 s5, vcc_lo, s5
	s_waitcnt vmcnt(1) lgkmcnt(0)
	v_mul_f32_e32 v113, v110, v111
	v_mul_f32_e32 v111, v109, v111
	s_waitcnt vmcnt(0)
	v_fma_f32 v109, v109, v112, -v113
	v_fmac_f32_e32 v111, v110, v112
	v_add_f32_e32 v8, v8, v109
	v_add_f32_e32 v2, v2, v111
	s_andn2_b32 exec_lo, exec_lo, s5
	s_cbranch_execnz .LBB113_61
; %bb.62:
	s_or_b32 exec_lo, exec_lo, s5
	v_mov_b32_e32 v5, 0
	ds_read_b64 v[5:6], v5 offset:96
	s_waitcnt lgkmcnt(0)
	v_mul_f32_e32 v7, v2, v6
	v_mul_f32_e32 v6, v8, v6
	v_fma_f32 v7, v8, v5, -v7
	v_fmac_f32_e32 v6, v2, v5
	buffer_store_dword v7, off, s[0:3], 0 offset:96
	buffer_store_dword v6, off, s[0:3], 0 offset:100
.LBB113_63:
	s_or_b32 exec_lo, exec_lo, s4
	s_waitcnt_vscnt null, 0x0
	s_barrier
	buffer_gl0_inv
	s_clause 0x1
	buffer_load_dword v5, off, s[0:3], 0 offset:104
	buffer_load_dword v6, off, s[0:3], 0 offset:108
	s_mov_b32 s4, exec_lo
	s_waitcnt vmcnt(0)
	ds_write_b64 v4, v[5:6]
	s_waitcnt lgkmcnt(0)
	s_barrier
	buffer_gl0_inv
	v_cmpx_gt_u32_e32 13, v0
	s_cbranch_execz .LBB113_67
; %bb.64:
	v_add_nc_u32_e32 v5, -1, v0
	v_add_nc_u32_e32 v6, 0x190, v3
	v_mov_b32_e32 v7, v3
	v_mov_b32_e32 v2, 0
	;; [unrolled: 1-line block ×3, first 2 shown]
	s_mov_b32 s5, 0
	.p2align	6
.LBB113_65:                             ; =>This Inner Loop Header: Depth=1
	s_clause 0x1
	buffer_load_dword v111, v7, s[0:3], 0 offen offset:4
	buffer_load_dword v112, v7, s[0:3], 0 offen
	ds_read_b64 v[109:110], v6
	v_add_nc_u32_e32 v5, 1, v5
	v_add_nc_u32_e32 v6, 8, v6
	;; [unrolled: 1-line block ×3, first 2 shown]
	v_cmp_lt_u32_e32 vcc_lo, 11, v5
	s_or_b32 s5, vcc_lo, s5
	s_waitcnt vmcnt(1) lgkmcnt(0)
	v_mul_f32_e32 v113, v110, v111
	v_mul_f32_e32 v111, v109, v111
	s_waitcnt vmcnt(0)
	v_fma_f32 v109, v109, v112, -v113
	v_fmac_f32_e32 v111, v110, v112
	v_add_f32_e32 v8, v8, v109
	v_add_f32_e32 v2, v2, v111
	s_andn2_b32 exec_lo, exec_lo, s5
	s_cbranch_execnz .LBB113_65
; %bb.66:
	s_or_b32 exec_lo, exec_lo, s5
	v_mov_b32_e32 v5, 0
	ds_read_b64 v[5:6], v5 offset:104
	s_waitcnt lgkmcnt(0)
	v_mul_f32_e32 v7, v2, v6
	v_mul_f32_e32 v6, v8, v6
	v_fma_f32 v7, v8, v5, -v7
	v_fmac_f32_e32 v6, v2, v5
	buffer_store_dword v7, off, s[0:3], 0 offset:104
	buffer_store_dword v6, off, s[0:3], 0 offset:108
.LBB113_67:
	s_or_b32 exec_lo, exec_lo, s4
	s_waitcnt_vscnt null, 0x0
	s_barrier
	buffer_gl0_inv
	s_clause 0x1
	buffer_load_dword v5, off, s[0:3], 0 offset:112
	buffer_load_dword v6, off, s[0:3], 0 offset:116
	s_mov_b32 s4, exec_lo
	s_waitcnt vmcnt(0)
	ds_write_b64 v4, v[5:6]
	s_waitcnt lgkmcnt(0)
	s_barrier
	buffer_gl0_inv
	v_cmpx_gt_u32_e32 14, v0
	s_cbranch_execz .LBB113_71
; %bb.68:
	v_add_nc_u32_e32 v5, -1, v0
	v_add_nc_u32_e32 v6, 0x190, v3
	v_mov_b32_e32 v7, v3
	v_mov_b32_e32 v2, 0
	;; [unrolled: 1-line block ×3, first 2 shown]
	s_mov_b32 s5, 0
	.p2align	6
.LBB113_69:                             ; =>This Inner Loop Header: Depth=1
	s_clause 0x1
	buffer_load_dword v111, v7, s[0:3], 0 offen offset:4
	buffer_load_dword v112, v7, s[0:3], 0 offen
	ds_read_b64 v[109:110], v6
	v_add_nc_u32_e32 v5, 1, v5
	v_add_nc_u32_e32 v6, 8, v6
	;; [unrolled: 1-line block ×3, first 2 shown]
	v_cmp_lt_u32_e32 vcc_lo, 12, v5
	s_or_b32 s5, vcc_lo, s5
	s_waitcnt vmcnt(1) lgkmcnt(0)
	v_mul_f32_e32 v113, v110, v111
	v_mul_f32_e32 v111, v109, v111
	s_waitcnt vmcnt(0)
	v_fma_f32 v109, v109, v112, -v113
	v_fmac_f32_e32 v111, v110, v112
	v_add_f32_e32 v8, v8, v109
	v_add_f32_e32 v2, v2, v111
	s_andn2_b32 exec_lo, exec_lo, s5
	s_cbranch_execnz .LBB113_69
; %bb.70:
	s_or_b32 exec_lo, exec_lo, s5
	v_mov_b32_e32 v5, 0
	ds_read_b64 v[5:6], v5 offset:112
	s_waitcnt lgkmcnt(0)
	v_mul_f32_e32 v7, v2, v6
	v_mul_f32_e32 v6, v8, v6
	v_fma_f32 v7, v8, v5, -v7
	v_fmac_f32_e32 v6, v2, v5
	buffer_store_dword v7, off, s[0:3], 0 offset:112
	buffer_store_dword v6, off, s[0:3], 0 offset:116
.LBB113_71:
	s_or_b32 exec_lo, exec_lo, s4
	s_waitcnt_vscnt null, 0x0
	s_barrier
	buffer_gl0_inv
	s_clause 0x1
	buffer_load_dword v5, off, s[0:3], 0 offset:120
	buffer_load_dword v6, off, s[0:3], 0 offset:124
	s_mov_b32 s4, exec_lo
	s_waitcnt vmcnt(0)
	ds_write_b64 v4, v[5:6]
	s_waitcnt lgkmcnt(0)
	s_barrier
	buffer_gl0_inv
	v_cmpx_gt_u32_e32 15, v0
	s_cbranch_execz .LBB113_75
; %bb.72:
	v_add_nc_u32_e32 v5, -1, v0
	v_add_nc_u32_e32 v6, 0x190, v3
	v_mov_b32_e32 v7, v3
	v_mov_b32_e32 v2, 0
	v_mov_b32_e32 v8, 0
	s_mov_b32 s5, 0
	.p2align	6
.LBB113_73:                             ; =>This Inner Loop Header: Depth=1
	s_clause 0x1
	buffer_load_dword v111, v7, s[0:3], 0 offen offset:4
	buffer_load_dword v112, v7, s[0:3], 0 offen
	ds_read_b64 v[109:110], v6
	v_add_nc_u32_e32 v5, 1, v5
	v_add_nc_u32_e32 v6, 8, v6
	;; [unrolled: 1-line block ×3, first 2 shown]
	v_cmp_lt_u32_e32 vcc_lo, 13, v5
	s_or_b32 s5, vcc_lo, s5
	s_waitcnt vmcnt(1) lgkmcnt(0)
	v_mul_f32_e32 v113, v110, v111
	v_mul_f32_e32 v111, v109, v111
	s_waitcnt vmcnt(0)
	v_fma_f32 v109, v109, v112, -v113
	v_fmac_f32_e32 v111, v110, v112
	v_add_f32_e32 v8, v8, v109
	v_add_f32_e32 v2, v2, v111
	s_andn2_b32 exec_lo, exec_lo, s5
	s_cbranch_execnz .LBB113_73
; %bb.74:
	s_or_b32 exec_lo, exec_lo, s5
	v_mov_b32_e32 v5, 0
	ds_read_b64 v[5:6], v5 offset:120
	s_waitcnt lgkmcnt(0)
	v_mul_f32_e32 v7, v2, v6
	v_mul_f32_e32 v6, v8, v6
	v_fma_f32 v7, v8, v5, -v7
	v_fmac_f32_e32 v6, v2, v5
	buffer_store_dword v7, off, s[0:3], 0 offset:120
	buffer_store_dword v6, off, s[0:3], 0 offset:124
.LBB113_75:
	s_or_b32 exec_lo, exec_lo, s4
	s_waitcnt_vscnt null, 0x0
	s_barrier
	buffer_gl0_inv
	s_clause 0x1
	buffer_load_dword v5, off, s[0:3], 0 offset:128
	buffer_load_dword v6, off, s[0:3], 0 offset:132
	s_mov_b32 s4, exec_lo
	s_waitcnt vmcnt(0)
	ds_write_b64 v4, v[5:6]
	s_waitcnt lgkmcnt(0)
	s_barrier
	buffer_gl0_inv
	v_cmpx_gt_u32_e32 16, v0
	s_cbranch_execz .LBB113_79
; %bb.76:
	v_add_nc_u32_e32 v5, -1, v0
	v_add_nc_u32_e32 v6, 0x190, v3
	v_mov_b32_e32 v7, v3
	v_mov_b32_e32 v2, 0
	v_mov_b32_e32 v8, 0
	s_mov_b32 s5, 0
	.p2align	6
.LBB113_77:                             ; =>This Inner Loop Header: Depth=1
	s_clause 0x1
	buffer_load_dword v111, v7, s[0:3], 0 offen offset:4
	buffer_load_dword v112, v7, s[0:3], 0 offen
	ds_read_b64 v[109:110], v6
	v_add_nc_u32_e32 v5, 1, v5
	v_add_nc_u32_e32 v6, 8, v6
	;; [unrolled: 1-line block ×3, first 2 shown]
	v_cmp_lt_u32_e32 vcc_lo, 14, v5
	s_or_b32 s5, vcc_lo, s5
	s_waitcnt vmcnt(1) lgkmcnt(0)
	v_mul_f32_e32 v113, v110, v111
	v_mul_f32_e32 v111, v109, v111
	s_waitcnt vmcnt(0)
	v_fma_f32 v109, v109, v112, -v113
	v_fmac_f32_e32 v111, v110, v112
	v_add_f32_e32 v8, v8, v109
	v_add_f32_e32 v2, v2, v111
	s_andn2_b32 exec_lo, exec_lo, s5
	s_cbranch_execnz .LBB113_77
; %bb.78:
	s_or_b32 exec_lo, exec_lo, s5
	v_mov_b32_e32 v5, 0
	ds_read_b64 v[5:6], v5 offset:128
	s_waitcnt lgkmcnt(0)
	v_mul_f32_e32 v7, v2, v6
	v_mul_f32_e32 v6, v8, v6
	v_fma_f32 v7, v8, v5, -v7
	v_fmac_f32_e32 v6, v2, v5
	buffer_store_dword v7, off, s[0:3], 0 offset:128
	buffer_store_dword v6, off, s[0:3], 0 offset:132
.LBB113_79:
	s_or_b32 exec_lo, exec_lo, s4
	s_waitcnt_vscnt null, 0x0
	s_barrier
	buffer_gl0_inv
	s_clause 0x1
	buffer_load_dword v5, off, s[0:3], 0 offset:136
	buffer_load_dword v6, off, s[0:3], 0 offset:140
	s_mov_b32 s4, exec_lo
	s_waitcnt vmcnt(0)
	ds_write_b64 v4, v[5:6]
	s_waitcnt lgkmcnt(0)
	s_barrier
	buffer_gl0_inv
	v_cmpx_gt_u32_e32 17, v0
	s_cbranch_execz .LBB113_83
; %bb.80:
	v_add_nc_u32_e32 v5, -1, v0
	v_add_nc_u32_e32 v6, 0x190, v3
	v_mov_b32_e32 v7, v3
	v_mov_b32_e32 v2, 0
	;; [unrolled: 1-line block ×3, first 2 shown]
	s_mov_b32 s5, 0
	.p2align	6
.LBB113_81:                             ; =>This Inner Loop Header: Depth=1
	s_clause 0x1
	buffer_load_dword v111, v7, s[0:3], 0 offen offset:4
	buffer_load_dword v112, v7, s[0:3], 0 offen
	ds_read_b64 v[109:110], v6
	v_add_nc_u32_e32 v5, 1, v5
	v_add_nc_u32_e32 v6, 8, v6
	;; [unrolled: 1-line block ×3, first 2 shown]
	v_cmp_lt_u32_e32 vcc_lo, 15, v5
	s_or_b32 s5, vcc_lo, s5
	s_waitcnt vmcnt(1) lgkmcnt(0)
	v_mul_f32_e32 v113, v110, v111
	v_mul_f32_e32 v111, v109, v111
	s_waitcnt vmcnt(0)
	v_fma_f32 v109, v109, v112, -v113
	v_fmac_f32_e32 v111, v110, v112
	v_add_f32_e32 v8, v8, v109
	v_add_f32_e32 v2, v2, v111
	s_andn2_b32 exec_lo, exec_lo, s5
	s_cbranch_execnz .LBB113_81
; %bb.82:
	s_or_b32 exec_lo, exec_lo, s5
	v_mov_b32_e32 v5, 0
	ds_read_b64 v[5:6], v5 offset:136
	s_waitcnt lgkmcnt(0)
	v_mul_f32_e32 v7, v2, v6
	v_mul_f32_e32 v6, v8, v6
	v_fma_f32 v7, v8, v5, -v7
	v_fmac_f32_e32 v6, v2, v5
	buffer_store_dword v7, off, s[0:3], 0 offset:136
	buffer_store_dword v6, off, s[0:3], 0 offset:140
.LBB113_83:
	s_or_b32 exec_lo, exec_lo, s4
	s_waitcnt_vscnt null, 0x0
	s_barrier
	buffer_gl0_inv
	s_clause 0x1
	buffer_load_dword v5, off, s[0:3], 0 offset:144
	buffer_load_dword v6, off, s[0:3], 0 offset:148
	s_mov_b32 s4, exec_lo
	s_waitcnt vmcnt(0)
	ds_write_b64 v4, v[5:6]
	s_waitcnt lgkmcnt(0)
	s_barrier
	buffer_gl0_inv
	v_cmpx_gt_u32_e32 18, v0
	s_cbranch_execz .LBB113_87
; %bb.84:
	v_add_nc_u32_e32 v5, -1, v0
	v_add_nc_u32_e32 v6, 0x190, v3
	v_mov_b32_e32 v7, v3
	v_mov_b32_e32 v2, 0
	;; [unrolled: 1-line block ×3, first 2 shown]
	s_mov_b32 s5, 0
	.p2align	6
.LBB113_85:                             ; =>This Inner Loop Header: Depth=1
	s_clause 0x1
	buffer_load_dword v111, v7, s[0:3], 0 offen offset:4
	buffer_load_dword v112, v7, s[0:3], 0 offen
	ds_read_b64 v[109:110], v6
	v_add_nc_u32_e32 v5, 1, v5
	v_add_nc_u32_e32 v6, 8, v6
	v_add_nc_u32_e32 v7, 8, v7
	v_cmp_lt_u32_e32 vcc_lo, 16, v5
	s_or_b32 s5, vcc_lo, s5
	s_waitcnt vmcnt(1) lgkmcnt(0)
	v_mul_f32_e32 v113, v110, v111
	v_mul_f32_e32 v111, v109, v111
	s_waitcnt vmcnt(0)
	v_fma_f32 v109, v109, v112, -v113
	v_fmac_f32_e32 v111, v110, v112
	v_add_f32_e32 v8, v8, v109
	v_add_f32_e32 v2, v2, v111
	s_andn2_b32 exec_lo, exec_lo, s5
	s_cbranch_execnz .LBB113_85
; %bb.86:
	s_or_b32 exec_lo, exec_lo, s5
	v_mov_b32_e32 v5, 0
	ds_read_b64 v[5:6], v5 offset:144
	s_waitcnt lgkmcnt(0)
	v_mul_f32_e32 v7, v2, v6
	v_mul_f32_e32 v6, v8, v6
	v_fma_f32 v7, v8, v5, -v7
	v_fmac_f32_e32 v6, v2, v5
	buffer_store_dword v7, off, s[0:3], 0 offset:144
	buffer_store_dword v6, off, s[0:3], 0 offset:148
.LBB113_87:
	s_or_b32 exec_lo, exec_lo, s4
	s_waitcnt_vscnt null, 0x0
	s_barrier
	buffer_gl0_inv
	s_clause 0x1
	buffer_load_dword v5, off, s[0:3], 0 offset:152
	buffer_load_dword v6, off, s[0:3], 0 offset:156
	s_mov_b32 s4, exec_lo
	s_waitcnt vmcnt(0)
	ds_write_b64 v4, v[5:6]
	s_waitcnt lgkmcnt(0)
	s_barrier
	buffer_gl0_inv
	v_cmpx_gt_u32_e32 19, v0
	s_cbranch_execz .LBB113_91
; %bb.88:
	v_add_nc_u32_e32 v5, -1, v0
	v_add_nc_u32_e32 v6, 0x190, v3
	v_mov_b32_e32 v7, v3
	v_mov_b32_e32 v2, 0
	;; [unrolled: 1-line block ×3, first 2 shown]
	s_mov_b32 s5, 0
	.p2align	6
.LBB113_89:                             ; =>This Inner Loop Header: Depth=1
	s_clause 0x1
	buffer_load_dword v111, v7, s[0:3], 0 offen offset:4
	buffer_load_dword v112, v7, s[0:3], 0 offen
	ds_read_b64 v[109:110], v6
	v_add_nc_u32_e32 v5, 1, v5
	v_add_nc_u32_e32 v6, 8, v6
	;; [unrolled: 1-line block ×3, first 2 shown]
	v_cmp_lt_u32_e32 vcc_lo, 17, v5
	s_or_b32 s5, vcc_lo, s5
	s_waitcnt vmcnt(1) lgkmcnt(0)
	v_mul_f32_e32 v113, v110, v111
	v_mul_f32_e32 v111, v109, v111
	s_waitcnt vmcnt(0)
	v_fma_f32 v109, v109, v112, -v113
	v_fmac_f32_e32 v111, v110, v112
	v_add_f32_e32 v8, v8, v109
	v_add_f32_e32 v2, v2, v111
	s_andn2_b32 exec_lo, exec_lo, s5
	s_cbranch_execnz .LBB113_89
; %bb.90:
	s_or_b32 exec_lo, exec_lo, s5
	v_mov_b32_e32 v5, 0
	ds_read_b64 v[5:6], v5 offset:152
	s_waitcnt lgkmcnt(0)
	v_mul_f32_e32 v7, v2, v6
	v_mul_f32_e32 v6, v8, v6
	v_fma_f32 v7, v8, v5, -v7
	v_fmac_f32_e32 v6, v2, v5
	buffer_store_dword v7, off, s[0:3], 0 offset:152
	buffer_store_dword v6, off, s[0:3], 0 offset:156
.LBB113_91:
	s_or_b32 exec_lo, exec_lo, s4
	s_waitcnt_vscnt null, 0x0
	s_barrier
	buffer_gl0_inv
	s_clause 0x1
	buffer_load_dword v5, off, s[0:3], 0 offset:160
	buffer_load_dword v6, off, s[0:3], 0 offset:164
	s_mov_b32 s4, exec_lo
	s_waitcnt vmcnt(0)
	ds_write_b64 v4, v[5:6]
	s_waitcnt lgkmcnt(0)
	s_barrier
	buffer_gl0_inv
	v_cmpx_gt_u32_e32 20, v0
	s_cbranch_execz .LBB113_95
; %bb.92:
	v_add_nc_u32_e32 v5, -1, v0
	v_add_nc_u32_e32 v6, 0x190, v3
	v_mov_b32_e32 v7, v3
	v_mov_b32_e32 v2, 0
	;; [unrolled: 1-line block ×3, first 2 shown]
	s_mov_b32 s5, 0
	.p2align	6
.LBB113_93:                             ; =>This Inner Loop Header: Depth=1
	s_clause 0x1
	buffer_load_dword v111, v7, s[0:3], 0 offen offset:4
	buffer_load_dword v112, v7, s[0:3], 0 offen
	ds_read_b64 v[109:110], v6
	v_add_nc_u32_e32 v5, 1, v5
	v_add_nc_u32_e32 v6, 8, v6
	;; [unrolled: 1-line block ×3, first 2 shown]
	v_cmp_lt_u32_e32 vcc_lo, 18, v5
	s_or_b32 s5, vcc_lo, s5
	s_waitcnt vmcnt(1) lgkmcnt(0)
	v_mul_f32_e32 v113, v110, v111
	v_mul_f32_e32 v111, v109, v111
	s_waitcnt vmcnt(0)
	v_fma_f32 v109, v109, v112, -v113
	v_fmac_f32_e32 v111, v110, v112
	v_add_f32_e32 v8, v8, v109
	v_add_f32_e32 v2, v2, v111
	s_andn2_b32 exec_lo, exec_lo, s5
	s_cbranch_execnz .LBB113_93
; %bb.94:
	s_or_b32 exec_lo, exec_lo, s5
	v_mov_b32_e32 v5, 0
	ds_read_b64 v[5:6], v5 offset:160
	s_waitcnt lgkmcnt(0)
	v_mul_f32_e32 v7, v2, v6
	v_mul_f32_e32 v6, v8, v6
	v_fma_f32 v7, v8, v5, -v7
	v_fmac_f32_e32 v6, v2, v5
	buffer_store_dword v7, off, s[0:3], 0 offset:160
	buffer_store_dword v6, off, s[0:3], 0 offset:164
.LBB113_95:
	s_or_b32 exec_lo, exec_lo, s4
	s_waitcnt_vscnt null, 0x0
	s_barrier
	buffer_gl0_inv
	s_clause 0x1
	buffer_load_dword v5, off, s[0:3], 0 offset:168
	buffer_load_dword v6, off, s[0:3], 0 offset:172
	s_mov_b32 s4, exec_lo
	s_waitcnt vmcnt(0)
	ds_write_b64 v4, v[5:6]
	s_waitcnt lgkmcnt(0)
	s_barrier
	buffer_gl0_inv
	v_cmpx_gt_u32_e32 21, v0
	s_cbranch_execz .LBB113_99
; %bb.96:
	v_add_nc_u32_e32 v5, -1, v0
	v_add_nc_u32_e32 v6, 0x190, v3
	v_mov_b32_e32 v7, v3
	v_mov_b32_e32 v2, 0
	;; [unrolled: 1-line block ×3, first 2 shown]
	s_mov_b32 s5, 0
	.p2align	6
.LBB113_97:                             ; =>This Inner Loop Header: Depth=1
	s_clause 0x1
	buffer_load_dword v111, v7, s[0:3], 0 offen offset:4
	buffer_load_dword v112, v7, s[0:3], 0 offen
	ds_read_b64 v[109:110], v6
	v_add_nc_u32_e32 v5, 1, v5
	v_add_nc_u32_e32 v6, 8, v6
	;; [unrolled: 1-line block ×3, first 2 shown]
	v_cmp_lt_u32_e32 vcc_lo, 19, v5
	s_or_b32 s5, vcc_lo, s5
	s_waitcnt vmcnt(1) lgkmcnt(0)
	v_mul_f32_e32 v113, v110, v111
	v_mul_f32_e32 v111, v109, v111
	s_waitcnt vmcnt(0)
	v_fma_f32 v109, v109, v112, -v113
	v_fmac_f32_e32 v111, v110, v112
	v_add_f32_e32 v8, v8, v109
	v_add_f32_e32 v2, v2, v111
	s_andn2_b32 exec_lo, exec_lo, s5
	s_cbranch_execnz .LBB113_97
; %bb.98:
	s_or_b32 exec_lo, exec_lo, s5
	v_mov_b32_e32 v5, 0
	ds_read_b64 v[5:6], v5 offset:168
	s_waitcnt lgkmcnt(0)
	v_mul_f32_e32 v7, v2, v6
	v_mul_f32_e32 v6, v8, v6
	v_fma_f32 v7, v8, v5, -v7
	v_fmac_f32_e32 v6, v2, v5
	buffer_store_dword v7, off, s[0:3], 0 offset:168
	buffer_store_dword v6, off, s[0:3], 0 offset:172
.LBB113_99:
	s_or_b32 exec_lo, exec_lo, s4
	s_waitcnt_vscnt null, 0x0
	s_barrier
	buffer_gl0_inv
	s_clause 0x1
	buffer_load_dword v5, off, s[0:3], 0 offset:176
	buffer_load_dword v6, off, s[0:3], 0 offset:180
	s_mov_b32 s4, exec_lo
	s_waitcnt vmcnt(0)
	ds_write_b64 v4, v[5:6]
	s_waitcnt lgkmcnt(0)
	s_barrier
	buffer_gl0_inv
	v_cmpx_gt_u32_e32 22, v0
	s_cbranch_execz .LBB113_103
; %bb.100:
	v_add_nc_u32_e32 v5, -1, v0
	v_add_nc_u32_e32 v6, 0x190, v3
	v_mov_b32_e32 v7, v3
	v_mov_b32_e32 v2, 0
	;; [unrolled: 1-line block ×3, first 2 shown]
	s_mov_b32 s5, 0
	.p2align	6
.LBB113_101:                            ; =>This Inner Loop Header: Depth=1
	s_clause 0x1
	buffer_load_dword v111, v7, s[0:3], 0 offen offset:4
	buffer_load_dword v112, v7, s[0:3], 0 offen
	ds_read_b64 v[109:110], v6
	v_add_nc_u32_e32 v5, 1, v5
	v_add_nc_u32_e32 v6, 8, v6
	;; [unrolled: 1-line block ×3, first 2 shown]
	v_cmp_lt_u32_e32 vcc_lo, 20, v5
	s_or_b32 s5, vcc_lo, s5
	s_waitcnt vmcnt(1) lgkmcnt(0)
	v_mul_f32_e32 v113, v110, v111
	v_mul_f32_e32 v111, v109, v111
	s_waitcnt vmcnt(0)
	v_fma_f32 v109, v109, v112, -v113
	v_fmac_f32_e32 v111, v110, v112
	v_add_f32_e32 v8, v8, v109
	v_add_f32_e32 v2, v2, v111
	s_andn2_b32 exec_lo, exec_lo, s5
	s_cbranch_execnz .LBB113_101
; %bb.102:
	s_or_b32 exec_lo, exec_lo, s5
	v_mov_b32_e32 v5, 0
	ds_read_b64 v[5:6], v5 offset:176
	s_waitcnt lgkmcnt(0)
	v_mul_f32_e32 v7, v2, v6
	v_mul_f32_e32 v6, v8, v6
	v_fma_f32 v7, v8, v5, -v7
	v_fmac_f32_e32 v6, v2, v5
	buffer_store_dword v7, off, s[0:3], 0 offset:176
	buffer_store_dword v6, off, s[0:3], 0 offset:180
.LBB113_103:
	s_or_b32 exec_lo, exec_lo, s4
	s_waitcnt_vscnt null, 0x0
	s_barrier
	buffer_gl0_inv
	s_clause 0x1
	buffer_load_dword v5, off, s[0:3], 0 offset:184
	buffer_load_dword v6, off, s[0:3], 0 offset:188
	s_mov_b32 s4, exec_lo
	s_waitcnt vmcnt(0)
	ds_write_b64 v4, v[5:6]
	s_waitcnt lgkmcnt(0)
	s_barrier
	buffer_gl0_inv
	v_cmpx_gt_u32_e32 23, v0
	s_cbranch_execz .LBB113_107
; %bb.104:
	v_add_nc_u32_e32 v5, -1, v0
	v_add_nc_u32_e32 v6, 0x190, v3
	v_mov_b32_e32 v7, v3
	v_mov_b32_e32 v2, 0
	;; [unrolled: 1-line block ×3, first 2 shown]
	s_mov_b32 s5, 0
	.p2align	6
.LBB113_105:                            ; =>This Inner Loop Header: Depth=1
	s_clause 0x1
	buffer_load_dword v111, v7, s[0:3], 0 offen offset:4
	buffer_load_dword v112, v7, s[0:3], 0 offen
	ds_read_b64 v[109:110], v6
	v_add_nc_u32_e32 v5, 1, v5
	v_add_nc_u32_e32 v6, 8, v6
	;; [unrolled: 1-line block ×3, first 2 shown]
	v_cmp_lt_u32_e32 vcc_lo, 21, v5
	s_or_b32 s5, vcc_lo, s5
	s_waitcnt vmcnt(1) lgkmcnt(0)
	v_mul_f32_e32 v113, v110, v111
	v_mul_f32_e32 v111, v109, v111
	s_waitcnt vmcnt(0)
	v_fma_f32 v109, v109, v112, -v113
	v_fmac_f32_e32 v111, v110, v112
	v_add_f32_e32 v8, v8, v109
	v_add_f32_e32 v2, v2, v111
	s_andn2_b32 exec_lo, exec_lo, s5
	s_cbranch_execnz .LBB113_105
; %bb.106:
	s_or_b32 exec_lo, exec_lo, s5
	v_mov_b32_e32 v5, 0
	ds_read_b64 v[5:6], v5 offset:184
	s_waitcnt lgkmcnt(0)
	v_mul_f32_e32 v7, v2, v6
	v_mul_f32_e32 v6, v8, v6
	v_fma_f32 v7, v8, v5, -v7
	v_fmac_f32_e32 v6, v2, v5
	buffer_store_dword v7, off, s[0:3], 0 offset:184
	buffer_store_dword v6, off, s[0:3], 0 offset:188
.LBB113_107:
	s_or_b32 exec_lo, exec_lo, s4
	s_waitcnt_vscnt null, 0x0
	s_barrier
	buffer_gl0_inv
	s_clause 0x1
	buffer_load_dword v5, off, s[0:3], 0 offset:192
	buffer_load_dword v6, off, s[0:3], 0 offset:196
	s_mov_b32 s4, exec_lo
	s_waitcnt vmcnt(0)
	ds_write_b64 v4, v[5:6]
	s_waitcnt lgkmcnt(0)
	s_barrier
	buffer_gl0_inv
	v_cmpx_gt_u32_e32 24, v0
	s_cbranch_execz .LBB113_111
; %bb.108:
	v_add_nc_u32_e32 v5, -1, v0
	v_add_nc_u32_e32 v6, 0x190, v3
	v_mov_b32_e32 v7, v3
	v_mov_b32_e32 v2, 0
	v_mov_b32_e32 v8, 0
	s_mov_b32 s5, 0
	.p2align	6
.LBB113_109:                            ; =>This Inner Loop Header: Depth=1
	s_clause 0x1
	buffer_load_dword v111, v7, s[0:3], 0 offen offset:4
	buffer_load_dword v112, v7, s[0:3], 0 offen
	ds_read_b64 v[109:110], v6
	v_add_nc_u32_e32 v5, 1, v5
	v_add_nc_u32_e32 v6, 8, v6
	;; [unrolled: 1-line block ×3, first 2 shown]
	v_cmp_lt_u32_e32 vcc_lo, 22, v5
	s_or_b32 s5, vcc_lo, s5
	s_waitcnt vmcnt(1) lgkmcnt(0)
	v_mul_f32_e32 v113, v110, v111
	v_mul_f32_e32 v111, v109, v111
	s_waitcnt vmcnt(0)
	v_fma_f32 v109, v109, v112, -v113
	v_fmac_f32_e32 v111, v110, v112
	v_add_f32_e32 v8, v8, v109
	v_add_f32_e32 v2, v2, v111
	s_andn2_b32 exec_lo, exec_lo, s5
	s_cbranch_execnz .LBB113_109
; %bb.110:
	s_or_b32 exec_lo, exec_lo, s5
	v_mov_b32_e32 v5, 0
	ds_read_b64 v[5:6], v5 offset:192
	s_waitcnt lgkmcnt(0)
	v_mul_f32_e32 v7, v2, v6
	v_mul_f32_e32 v6, v8, v6
	v_fma_f32 v7, v8, v5, -v7
	v_fmac_f32_e32 v6, v2, v5
	buffer_store_dword v7, off, s[0:3], 0 offset:192
	buffer_store_dword v6, off, s[0:3], 0 offset:196
.LBB113_111:
	s_or_b32 exec_lo, exec_lo, s4
	s_waitcnt_vscnt null, 0x0
	s_barrier
	buffer_gl0_inv
	s_clause 0x1
	buffer_load_dword v5, off, s[0:3], 0 offset:200
	buffer_load_dword v6, off, s[0:3], 0 offset:204
	s_mov_b32 s4, exec_lo
	s_waitcnt vmcnt(0)
	ds_write_b64 v4, v[5:6]
	s_waitcnt lgkmcnt(0)
	s_barrier
	buffer_gl0_inv
	v_cmpx_gt_u32_e32 25, v0
	s_cbranch_execz .LBB113_115
; %bb.112:
	v_add_nc_u32_e32 v5, -1, v0
	v_add_nc_u32_e32 v6, 0x190, v3
	v_mov_b32_e32 v7, v3
	v_mov_b32_e32 v2, 0
	;; [unrolled: 1-line block ×3, first 2 shown]
	s_mov_b32 s5, 0
	.p2align	6
.LBB113_113:                            ; =>This Inner Loop Header: Depth=1
	s_clause 0x1
	buffer_load_dword v111, v7, s[0:3], 0 offen offset:4
	buffer_load_dword v112, v7, s[0:3], 0 offen
	ds_read_b64 v[109:110], v6
	v_add_nc_u32_e32 v5, 1, v5
	v_add_nc_u32_e32 v6, 8, v6
	;; [unrolled: 1-line block ×3, first 2 shown]
	v_cmp_lt_u32_e32 vcc_lo, 23, v5
	s_or_b32 s5, vcc_lo, s5
	s_waitcnt vmcnt(1) lgkmcnt(0)
	v_mul_f32_e32 v113, v110, v111
	v_mul_f32_e32 v111, v109, v111
	s_waitcnt vmcnt(0)
	v_fma_f32 v109, v109, v112, -v113
	v_fmac_f32_e32 v111, v110, v112
	v_add_f32_e32 v8, v8, v109
	v_add_f32_e32 v2, v2, v111
	s_andn2_b32 exec_lo, exec_lo, s5
	s_cbranch_execnz .LBB113_113
; %bb.114:
	s_or_b32 exec_lo, exec_lo, s5
	v_mov_b32_e32 v5, 0
	ds_read_b64 v[5:6], v5 offset:200
	s_waitcnt lgkmcnt(0)
	v_mul_f32_e32 v7, v2, v6
	v_mul_f32_e32 v6, v8, v6
	v_fma_f32 v7, v8, v5, -v7
	v_fmac_f32_e32 v6, v2, v5
	buffer_store_dword v7, off, s[0:3], 0 offset:200
	buffer_store_dword v6, off, s[0:3], 0 offset:204
.LBB113_115:
	s_or_b32 exec_lo, exec_lo, s4
	s_waitcnt_vscnt null, 0x0
	s_barrier
	buffer_gl0_inv
	s_clause 0x1
	buffer_load_dword v5, off, s[0:3], 0 offset:208
	buffer_load_dword v6, off, s[0:3], 0 offset:212
	s_mov_b32 s4, exec_lo
	s_waitcnt vmcnt(0)
	ds_write_b64 v4, v[5:6]
	s_waitcnt lgkmcnt(0)
	s_barrier
	buffer_gl0_inv
	v_cmpx_gt_u32_e32 26, v0
	s_cbranch_execz .LBB113_119
; %bb.116:
	v_add_nc_u32_e32 v5, -1, v0
	v_add_nc_u32_e32 v6, 0x190, v3
	v_mov_b32_e32 v7, v3
	v_mov_b32_e32 v2, 0
	;; [unrolled: 1-line block ×3, first 2 shown]
	s_mov_b32 s5, 0
	.p2align	6
.LBB113_117:                            ; =>This Inner Loop Header: Depth=1
	s_clause 0x1
	buffer_load_dword v111, v7, s[0:3], 0 offen offset:4
	buffer_load_dword v112, v7, s[0:3], 0 offen
	ds_read_b64 v[109:110], v6
	v_add_nc_u32_e32 v5, 1, v5
	v_add_nc_u32_e32 v6, 8, v6
	;; [unrolled: 1-line block ×3, first 2 shown]
	v_cmp_lt_u32_e32 vcc_lo, 24, v5
	s_or_b32 s5, vcc_lo, s5
	s_waitcnt vmcnt(1) lgkmcnt(0)
	v_mul_f32_e32 v113, v110, v111
	v_mul_f32_e32 v111, v109, v111
	s_waitcnt vmcnt(0)
	v_fma_f32 v109, v109, v112, -v113
	v_fmac_f32_e32 v111, v110, v112
	v_add_f32_e32 v8, v8, v109
	v_add_f32_e32 v2, v2, v111
	s_andn2_b32 exec_lo, exec_lo, s5
	s_cbranch_execnz .LBB113_117
; %bb.118:
	s_or_b32 exec_lo, exec_lo, s5
	v_mov_b32_e32 v5, 0
	ds_read_b64 v[5:6], v5 offset:208
	s_waitcnt lgkmcnt(0)
	v_mul_f32_e32 v7, v2, v6
	v_mul_f32_e32 v6, v8, v6
	v_fma_f32 v7, v8, v5, -v7
	v_fmac_f32_e32 v6, v2, v5
	buffer_store_dword v7, off, s[0:3], 0 offset:208
	buffer_store_dword v6, off, s[0:3], 0 offset:212
.LBB113_119:
	s_or_b32 exec_lo, exec_lo, s4
	s_waitcnt_vscnt null, 0x0
	s_barrier
	buffer_gl0_inv
	s_clause 0x1
	buffer_load_dword v5, off, s[0:3], 0 offset:216
	buffer_load_dword v6, off, s[0:3], 0 offset:220
	s_mov_b32 s4, exec_lo
	s_waitcnt vmcnt(0)
	ds_write_b64 v4, v[5:6]
	s_waitcnt lgkmcnt(0)
	s_barrier
	buffer_gl0_inv
	v_cmpx_gt_u32_e32 27, v0
	s_cbranch_execz .LBB113_123
; %bb.120:
	v_add_nc_u32_e32 v5, -1, v0
	v_add_nc_u32_e32 v6, 0x190, v3
	v_mov_b32_e32 v7, v3
	v_mov_b32_e32 v2, 0
	;; [unrolled: 1-line block ×3, first 2 shown]
	s_mov_b32 s5, 0
	.p2align	6
.LBB113_121:                            ; =>This Inner Loop Header: Depth=1
	s_clause 0x1
	buffer_load_dword v111, v7, s[0:3], 0 offen offset:4
	buffer_load_dword v112, v7, s[0:3], 0 offen
	ds_read_b64 v[109:110], v6
	v_add_nc_u32_e32 v5, 1, v5
	v_add_nc_u32_e32 v6, 8, v6
	;; [unrolled: 1-line block ×3, first 2 shown]
	v_cmp_lt_u32_e32 vcc_lo, 25, v5
	s_or_b32 s5, vcc_lo, s5
	s_waitcnt vmcnt(1) lgkmcnt(0)
	v_mul_f32_e32 v113, v110, v111
	v_mul_f32_e32 v111, v109, v111
	s_waitcnt vmcnt(0)
	v_fma_f32 v109, v109, v112, -v113
	v_fmac_f32_e32 v111, v110, v112
	v_add_f32_e32 v8, v8, v109
	v_add_f32_e32 v2, v2, v111
	s_andn2_b32 exec_lo, exec_lo, s5
	s_cbranch_execnz .LBB113_121
; %bb.122:
	s_or_b32 exec_lo, exec_lo, s5
	v_mov_b32_e32 v5, 0
	ds_read_b64 v[5:6], v5 offset:216
	s_waitcnt lgkmcnt(0)
	v_mul_f32_e32 v7, v2, v6
	v_mul_f32_e32 v6, v8, v6
	v_fma_f32 v7, v8, v5, -v7
	v_fmac_f32_e32 v6, v2, v5
	buffer_store_dword v7, off, s[0:3], 0 offset:216
	buffer_store_dword v6, off, s[0:3], 0 offset:220
.LBB113_123:
	s_or_b32 exec_lo, exec_lo, s4
	s_waitcnt_vscnt null, 0x0
	s_barrier
	buffer_gl0_inv
	s_clause 0x1
	buffer_load_dword v5, off, s[0:3], 0 offset:224
	buffer_load_dword v6, off, s[0:3], 0 offset:228
	s_mov_b32 s4, exec_lo
	s_waitcnt vmcnt(0)
	ds_write_b64 v4, v[5:6]
	s_waitcnt lgkmcnt(0)
	s_barrier
	buffer_gl0_inv
	v_cmpx_gt_u32_e32 28, v0
	s_cbranch_execz .LBB113_127
; %bb.124:
	v_add_nc_u32_e32 v5, -1, v0
	v_add_nc_u32_e32 v6, 0x190, v3
	v_mov_b32_e32 v7, v3
	v_mov_b32_e32 v2, 0
	;; [unrolled: 1-line block ×3, first 2 shown]
	s_mov_b32 s5, 0
	.p2align	6
.LBB113_125:                            ; =>This Inner Loop Header: Depth=1
	s_clause 0x1
	buffer_load_dword v111, v7, s[0:3], 0 offen offset:4
	buffer_load_dword v112, v7, s[0:3], 0 offen
	ds_read_b64 v[109:110], v6
	v_add_nc_u32_e32 v5, 1, v5
	v_add_nc_u32_e32 v6, 8, v6
	;; [unrolled: 1-line block ×3, first 2 shown]
	v_cmp_lt_u32_e32 vcc_lo, 26, v5
	s_or_b32 s5, vcc_lo, s5
	s_waitcnt vmcnt(1) lgkmcnt(0)
	v_mul_f32_e32 v113, v110, v111
	v_mul_f32_e32 v111, v109, v111
	s_waitcnt vmcnt(0)
	v_fma_f32 v109, v109, v112, -v113
	v_fmac_f32_e32 v111, v110, v112
	v_add_f32_e32 v8, v8, v109
	v_add_f32_e32 v2, v2, v111
	s_andn2_b32 exec_lo, exec_lo, s5
	s_cbranch_execnz .LBB113_125
; %bb.126:
	s_or_b32 exec_lo, exec_lo, s5
	v_mov_b32_e32 v5, 0
	ds_read_b64 v[5:6], v5 offset:224
	s_waitcnt lgkmcnt(0)
	v_mul_f32_e32 v7, v2, v6
	v_mul_f32_e32 v6, v8, v6
	v_fma_f32 v7, v8, v5, -v7
	v_fmac_f32_e32 v6, v2, v5
	buffer_store_dword v7, off, s[0:3], 0 offset:224
	buffer_store_dword v6, off, s[0:3], 0 offset:228
.LBB113_127:
	s_or_b32 exec_lo, exec_lo, s4
	s_waitcnt_vscnt null, 0x0
	s_barrier
	buffer_gl0_inv
	s_clause 0x1
	buffer_load_dword v5, off, s[0:3], 0 offset:232
	buffer_load_dword v6, off, s[0:3], 0 offset:236
	s_mov_b32 s4, exec_lo
	s_waitcnt vmcnt(0)
	ds_write_b64 v4, v[5:6]
	s_waitcnt lgkmcnt(0)
	s_barrier
	buffer_gl0_inv
	v_cmpx_gt_u32_e32 29, v0
	s_cbranch_execz .LBB113_131
; %bb.128:
	v_add_nc_u32_e32 v5, -1, v0
	v_add_nc_u32_e32 v6, 0x190, v3
	v_mov_b32_e32 v7, v3
	v_mov_b32_e32 v2, 0
	;; [unrolled: 1-line block ×3, first 2 shown]
	s_mov_b32 s5, 0
	.p2align	6
.LBB113_129:                            ; =>This Inner Loop Header: Depth=1
	s_clause 0x1
	buffer_load_dword v111, v7, s[0:3], 0 offen offset:4
	buffer_load_dword v112, v7, s[0:3], 0 offen
	ds_read_b64 v[109:110], v6
	v_add_nc_u32_e32 v5, 1, v5
	v_add_nc_u32_e32 v6, 8, v6
	;; [unrolled: 1-line block ×3, first 2 shown]
	v_cmp_lt_u32_e32 vcc_lo, 27, v5
	s_or_b32 s5, vcc_lo, s5
	s_waitcnt vmcnt(1) lgkmcnt(0)
	v_mul_f32_e32 v113, v110, v111
	v_mul_f32_e32 v111, v109, v111
	s_waitcnt vmcnt(0)
	v_fma_f32 v109, v109, v112, -v113
	v_fmac_f32_e32 v111, v110, v112
	v_add_f32_e32 v8, v8, v109
	v_add_f32_e32 v2, v2, v111
	s_andn2_b32 exec_lo, exec_lo, s5
	s_cbranch_execnz .LBB113_129
; %bb.130:
	s_or_b32 exec_lo, exec_lo, s5
	v_mov_b32_e32 v5, 0
	ds_read_b64 v[5:6], v5 offset:232
	s_waitcnt lgkmcnt(0)
	v_mul_f32_e32 v7, v2, v6
	v_mul_f32_e32 v6, v8, v6
	v_fma_f32 v7, v8, v5, -v7
	v_fmac_f32_e32 v6, v2, v5
	buffer_store_dword v7, off, s[0:3], 0 offset:232
	buffer_store_dword v6, off, s[0:3], 0 offset:236
.LBB113_131:
	s_or_b32 exec_lo, exec_lo, s4
	s_waitcnt_vscnt null, 0x0
	s_barrier
	buffer_gl0_inv
	s_clause 0x1
	buffer_load_dword v5, off, s[0:3], 0 offset:240
	buffer_load_dword v6, off, s[0:3], 0 offset:244
	s_mov_b32 s4, exec_lo
	s_waitcnt vmcnt(0)
	ds_write_b64 v4, v[5:6]
	s_waitcnt lgkmcnt(0)
	s_barrier
	buffer_gl0_inv
	v_cmpx_gt_u32_e32 30, v0
	s_cbranch_execz .LBB113_135
; %bb.132:
	v_add_nc_u32_e32 v5, -1, v0
	v_add_nc_u32_e32 v6, 0x190, v3
	v_mov_b32_e32 v7, v3
	v_mov_b32_e32 v2, 0
	;; [unrolled: 1-line block ×3, first 2 shown]
	s_mov_b32 s5, 0
	.p2align	6
.LBB113_133:                            ; =>This Inner Loop Header: Depth=1
	s_clause 0x1
	buffer_load_dword v111, v7, s[0:3], 0 offen offset:4
	buffer_load_dword v112, v7, s[0:3], 0 offen
	ds_read_b64 v[109:110], v6
	v_add_nc_u32_e32 v5, 1, v5
	v_add_nc_u32_e32 v6, 8, v6
	v_add_nc_u32_e32 v7, 8, v7
	v_cmp_lt_u32_e32 vcc_lo, 28, v5
	s_or_b32 s5, vcc_lo, s5
	s_waitcnt vmcnt(1) lgkmcnt(0)
	v_mul_f32_e32 v113, v110, v111
	v_mul_f32_e32 v111, v109, v111
	s_waitcnt vmcnt(0)
	v_fma_f32 v109, v109, v112, -v113
	v_fmac_f32_e32 v111, v110, v112
	v_add_f32_e32 v8, v8, v109
	v_add_f32_e32 v2, v2, v111
	s_andn2_b32 exec_lo, exec_lo, s5
	s_cbranch_execnz .LBB113_133
; %bb.134:
	s_or_b32 exec_lo, exec_lo, s5
	v_mov_b32_e32 v5, 0
	ds_read_b64 v[5:6], v5 offset:240
	s_waitcnt lgkmcnt(0)
	v_mul_f32_e32 v7, v2, v6
	v_mul_f32_e32 v6, v8, v6
	v_fma_f32 v7, v8, v5, -v7
	v_fmac_f32_e32 v6, v2, v5
	buffer_store_dword v7, off, s[0:3], 0 offset:240
	buffer_store_dword v6, off, s[0:3], 0 offset:244
.LBB113_135:
	s_or_b32 exec_lo, exec_lo, s4
	s_waitcnt_vscnt null, 0x0
	s_barrier
	buffer_gl0_inv
	s_clause 0x1
	buffer_load_dword v5, off, s[0:3], 0 offset:248
	buffer_load_dword v6, off, s[0:3], 0 offset:252
	s_mov_b32 s4, exec_lo
	s_waitcnt vmcnt(0)
	ds_write_b64 v4, v[5:6]
	s_waitcnt lgkmcnt(0)
	s_barrier
	buffer_gl0_inv
	v_cmpx_gt_u32_e32 31, v0
	s_cbranch_execz .LBB113_139
; %bb.136:
	v_add_nc_u32_e32 v5, -1, v0
	v_add_nc_u32_e32 v6, 0x190, v3
	v_mov_b32_e32 v7, v3
	v_mov_b32_e32 v2, 0
	v_mov_b32_e32 v8, 0
	s_mov_b32 s5, 0
	.p2align	6
.LBB113_137:                            ; =>This Inner Loop Header: Depth=1
	s_clause 0x1
	buffer_load_dword v111, v7, s[0:3], 0 offen offset:4
	buffer_load_dword v112, v7, s[0:3], 0 offen
	ds_read_b64 v[109:110], v6
	v_add_nc_u32_e32 v5, 1, v5
	v_add_nc_u32_e32 v6, 8, v6
	;; [unrolled: 1-line block ×3, first 2 shown]
	v_cmp_lt_u32_e32 vcc_lo, 29, v5
	s_or_b32 s5, vcc_lo, s5
	s_waitcnt vmcnt(1) lgkmcnt(0)
	v_mul_f32_e32 v113, v110, v111
	v_mul_f32_e32 v111, v109, v111
	s_waitcnt vmcnt(0)
	v_fma_f32 v109, v109, v112, -v113
	v_fmac_f32_e32 v111, v110, v112
	v_add_f32_e32 v8, v8, v109
	v_add_f32_e32 v2, v2, v111
	s_andn2_b32 exec_lo, exec_lo, s5
	s_cbranch_execnz .LBB113_137
; %bb.138:
	s_or_b32 exec_lo, exec_lo, s5
	v_mov_b32_e32 v5, 0
	ds_read_b64 v[5:6], v5 offset:248
	s_waitcnt lgkmcnt(0)
	v_mul_f32_e32 v7, v2, v6
	v_mul_f32_e32 v6, v8, v6
	v_fma_f32 v7, v8, v5, -v7
	v_fmac_f32_e32 v6, v2, v5
	buffer_store_dword v7, off, s[0:3], 0 offset:248
	buffer_store_dword v6, off, s[0:3], 0 offset:252
.LBB113_139:
	s_or_b32 exec_lo, exec_lo, s4
	s_waitcnt_vscnt null, 0x0
	s_barrier
	buffer_gl0_inv
	s_clause 0x1
	buffer_load_dword v5, off, s[0:3], 0 offset:256
	buffer_load_dword v6, off, s[0:3], 0 offset:260
	s_mov_b32 s4, exec_lo
	s_waitcnt vmcnt(0)
	ds_write_b64 v4, v[5:6]
	s_waitcnt lgkmcnt(0)
	s_barrier
	buffer_gl0_inv
	v_cmpx_gt_u32_e32 32, v0
	s_cbranch_execz .LBB113_143
; %bb.140:
	v_add_nc_u32_e32 v5, -1, v0
	v_add_nc_u32_e32 v6, 0x190, v3
	v_mov_b32_e32 v7, v3
	v_mov_b32_e32 v2, 0
	;; [unrolled: 1-line block ×3, first 2 shown]
	s_mov_b32 s5, 0
	.p2align	6
.LBB113_141:                            ; =>This Inner Loop Header: Depth=1
	s_clause 0x1
	buffer_load_dword v111, v7, s[0:3], 0 offen offset:4
	buffer_load_dword v112, v7, s[0:3], 0 offen
	ds_read_b64 v[109:110], v6
	v_add_nc_u32_e32 v5, 1, v5
	v_add_nc_u32_e32 v6, 8, v6
	;; [unrolled: 1-line block ×3, first 2 shown]
	v_cmp_lt_u32_e32 vcc_lo, 30, v5
	s_or_b32 s5, vcc_lo, s5
	s_waitcnt vmcnt(1) lgkmcnt(0)
	v_mul_f32_e32 v113, v110, v111
	v_mul_f32_e32 v111, v109, v111
	s_waitcnt vmcnt(0)
	v_fma_f32 v109, v109, v112, -v113
	v_fmac_f32_e32 v111, v110, v112
	v_add_f32_e32 v8, v8, v109
	v_add_f32_e32 v2, v2, v111
	s_andn2_b32 exec_lo, exec_lo, s5
	s_cbranch_execnz .LBB113_141
; %bb.142:
	s_or_b32 exec_lo, exec_lo, s5
	v_mov_b32_e32 v5, 0
	ds_read_b64 v[5:6], v5 offset:256
	s_waitcnt lgkmcnt(0)
	v_mul_f32_e32 v7, v2, v6
	v_mul_f32_e32 v6, v8, v6
	v_fma_f32 v7, v8, v5, -v7
	v_fmac_f32_e32 v6, v2, v5
	buffer_store_dword v7, off, s[0:3], 0 offset:256
	buffer_store_dword v6, off, s[0:3], 0 offset:260
.LBB113_143:
	s_or_b32 exec_lo, exec_lo, s4
	s_waitcnt_vscnt null, 0x0
	s_barrier
	buffer_gl0_inv
	s_clause 0x1
	buffer_load_dword v5, off, s[0:3], 0 offset:264
	buffer_load_dword v6, off, s[0:3], 0 offset:268
	s_mov_b32 s4, exec_lo
	s_waitcnt vmcnt(0)
	ds_write_b64 v4, v[5:6]
	s_waitcnt lgkmcnt(0)
	s_barrier
	buffer_gl0_inv
	v_cmpx_gt_u32_e32 33, v0
	s_cbranch_execz .LBB113_147
; %bb.144:
	v_add_nc_u32_e32 v5, -1, v0
	v_add_nc_u32_e32 v6, 0x190, v3
	v_mov_b32_e32 v7, v3
	v_mov_b32_e32 v2, 0
	;; [unrolled: 1-line block ×3, first 2 shown]
	s_mov_b32 s5, 0
	.p2align	6
.LBB113_145:                            ; =>This Inner Loop Header: Depth=1
	s_clause 0x1
	buffer_load_dword v111, v7, s[0:3], 0 offen offset:4
	buffer_load_dword v112, v7, s[0:3], 0 offen
	ds_read_b64 v[109:110], v6
	v_add_nc_u32_e32 v5, 1, v5
	v_add_nc_u32_e32 v6, 8, v6
	;; [unrolled: 1-line block ×3, first 2 shown]
	v_cmp_lt_u32_e32 vcc_lo, 31, v5
	s_or_b32 s5, vcc_lo, s5
	s_waitcnt vmcnt(1) lgkmcnt(0)
	v_mul_f32_e32 v113, v110, v111
	v_mul_f32_e32 v111, v109, v111
	s_waitcnt vmcnt(0)
	v_fma_f32 v109, v109, v112, -v113
	v_fmac_f32_e32 v111, v110, v112
	v_add_f32_e32 v8, v8, v109
	v_add_f32_e32 v2, v2, v111
	s_andn2_b32 exec_lo, exec_lo, s5
	s_cbranch_execnz .LBB113_145
; %bb.146:
	s_or_b32 exec_lo, exec_lo, s5
	v_mov_b32_e32 v5, 0
	ds_read_b64 v[5:6], v5 offset:264
	s_waitcnt lgkmcnt(0)
	v_mul_f32_e32 v7, v2, v6
	v_mul_f32_e32 v6, v8, v6
	v_fma_f32 v7, v8, v5, -v7
	v_fmac_f32_e32 v6, v2, v5
	buffer_store_dword v7, off, s[0:3], 0 offset:264
	buffer_store_dword v6, off, s[0:3], 0 offset:268
.LBB113_147:
	s_or_b32 exec_lo, exec_lo, s4
	s_waitcnt_vscnt null, 0x0
	s_barrier
	buffer_gl0_inv
	s_clause 0x1
	buffer_load_dword v5, off, s[0:3], 0 offset:272
	buffer_load_dword v6, off, s[0:3], 0 offset:276
	s_mov_b32 s4, exec_lo
	s_waitcnt vmcnt(0)
	ds_write_b64 v4, v[5:6]
	s_waitcnt lgkmcnt(0)
	s_barrier
	buffer_gl0_inv
	v_cmpx_gt_u32_e32 34, v0
	s_cbranch_execz .LBB113_151
; %bb.148:
	v_add_nc_u32_e32 v5, -1, v0
	v_add_nc_u32_e32 v6, 0x190, v3
	v_mov_b32_e32 v7, v3
	v_mov_b32_e32 v2, 0
	v_mov_b32_e32 v8, 0
	s_mov_b32 s5, 0
	.p2align	6
.LBB113_149:                            ; =>This Inner Loop Header: Depth=1
	s_clause 0x1
	buffer_load_dword v111, v7, s[0:3], 0 offen offset:4
	buffer_load_dword v112, v7, s[0:3], 0 offen
	ds_read_b64 v[109:110], v6
	v_add_nc_u32_e32 v5, 1, v5
	v_add_nc_u32_e32 v6, 8, v6
	;; [unrolled: 1-line block ×3, first 2 shown]
	v_cmp_lt_u32_e32 vcc_lo, 32, v5
	s_or_b32 s5, vcc_lo, s5
	s_waitcnt vmcnt(1) lgkmcnt(0)
	v_mul_f32_e32 v113, v110, v111
	v_mul_f32_e32 v111, v109, v111
	s_waitcnt vmcnt(0)
	v_fma_f32 v109, v109, v112, -v113
	v_fmac_f32_e32 v111, v110, v112
	v_add_f32_e32 v8, v8, v109
	v_add_f32_e32 v2, v2, v111
	s_andn2_b32 exec_lo, exec_lo, s5
	s_cbranch_execnz .LBB113_149
; %bb.150:
	s_or_b32 exec_lo, exec_lo, s5
	v_mov_b32_e32 v5, 0
	ds_read_b64 v[5:6], v5 offset:272
	s_waitcnt lgkmcnt(0)
	v_mul_f32_e32 v7, v2, v6
	v_mul_f32_e32 v6, v8, v6
	v_fma_f32 v7, v8, v5, -v7
	v_fmac_f32_e32 v6, v2, v5
	buffer_store_dword v7, off, s[0:3], 0 offset:272
	buffer_store_dword v6, off, s[0:3], 0 offset:276
.LBB113_151:
	s_or_b32 exec_lo, exec_lo, s4
	s_waitcnt_vscnt null, 0x0
	s_barrier
	buffer_gl0_inv
	s_clause 0x1
	buffer_load_dword v5, off, s[0:3], 0 offset:280
	buffer_load_dword v6, off, s[0:3], 0 offset:284
	s_mov_b32 s4, exec_lo
	s_waitcnt vmcnt(0)
	ds_write_b64 v4, v[5:6]
	s_waitcnt lgkmcnt(0)
	s_barrier
	buffer_gl0_inv
	v_cmpx_gt_u32_e32 35, v0
	s_cbranch_execz .LBB113_155
; %bb.152:
	v_add_nc_u32_e32 v5, -1, v0
	v_add_nc_u32_e32 v6, 0x190, v3
	v_mov_b32_e32 v7, v3
	v_mov_b32_e32 v2, 0
	;; [unrolled: 1-line block ×3, first 2 shown]
	s_mov_b32 s5, 0
	.p2align	6
.LBB113_153:                            ; =>This Inner Loop Header: Depth=1
	s_clause 0x1
	buffer_load_dword v111, v7, s[0:3], 0 offen offset:4
	buffer_load_dword v112, v7, s[0:3], 0 offen
	ds_read_b64 v[109:110], v6
	v_add_nc_u32_e32 v5, 1, v5
	v_add_nc_u32_e32 v6, 8, v6
	;; [unrolled: 1-line block ×3, first 2 shown]
	v_cmp_lt_u32_e32 vcc_lo, 33, v5
	s_or_b32 s5, vcc_lo, s5
	s_waitcnt vmcnt(1) lgkmcnt(0)
	v_mul_f32_e32 v113, v110, v111
	v_mul_f32_e32 v111, v109, v111
	s_waitcnt vmcnt(0)
	v_fma_f32 v109, v109, v112, -v113
	v_fmac_f32_e32 v111, v110, v112
	v_add_f32_e32 v8, v8, v109
	v_add_f32_e32 v2, v2, v111
	s_andn2_b32 exec_lo, exec_lo, s5
	s_cbranch_execnz .LBB113_153
; %bb.154:
	s_or_b32 exec_lo, exec_lo, s5
	v_mov_b32_e32 v5, 0
	ds_read_b64 v[5:6], v5 offset:280
	s_waitcnt lgkmcnt(0)
	v_mul_f32_e32 v7, v2, v6
	v_mul_f32_e32 v6, v8, v6
	v_fma_f32 v7, v8, v5, -v7
	v_fmac_f32_e32 v6, v2, v5
	buffer_store_dword v7, off, s[0:3], 0 offset:280
	buffer_store_dword v6, off, s[0:3], 0 offset:284
.LBB113_155:
	s_or_b32 exec_lo, exec_lo, s4
	s_waitcnt_vscnt null, 0x0
	s_barrier
	buffer_gl0_inv
	s_clause 0x1
	buffer_load_dword v5, off, s[0:3], 0 offset:288
	buffer_load_dword v6, off, s[0:3], 0 offset:292
	s_mov_b32 s4, exec_lo
	s_waitcnt vmcnt(0)
	ds_write_b64 v4, v[5:6]
	s_waitcnt lgkmcnt(0)
	s_barrier
	buffer_gl0_inv
	v_cmpx_gt_u32_e32 36, v0
	s_cbranch_execz .LBB113_159
; %bb.156:
	v_add_nc_u32_e32 v5, -1, v0
	v_add_nc_u32_e32 v6, 0x190, v3
	v_mov_b32_e32 v7, v3
	v_mov_b32_e32 v2, 0
	;; [unrolled: 1-line block ×3, first 2 shown]
	s_mov_b32 s5, 0
	.p2align	6
.LBB113_157:                            ; =>This Inner Loop Header: Depth=1
	s_clause 0x1
	buffer_load_dword v111, v7, s[0:3], 0 offen offset:4
	buffer_load_dword v112, v7, s[0:3], 0 offen
	ds_read_b64 v[109:110], v6
	v_add_nc_u32_e32 v5, 1, v5
	v_add_nc_u32_e32 v6, 8, v6
	;; [unrolled: 1-line block ×3, first 2 shown]
	v_cmp_lt_u32_e32 vcc_lo, 34, v5
	s_or_b32 s5, vcc_lo, s5
	s_waitcnt vmcnt(1) lgkmcnt(0)
	v_mul_f32_e32 v113, v110, v111
	v_mul_f32_e32 v111, v109, v111
	s_waitcnt vmcnt(0)
	v_fma_f32 v109, v109, v112, -v113
	v_fmac_f32_e32 v111, v110, v112
	v_add_f32_e32 v8, v8, v109
	v_add_f32_e32 v2, v2, v111
	s_andn2_b32 exec_lo, exec_lo, s5
	s_cbranch_execnz .LBB113_157
; %bb.158:
	s_or_b32 exec_lo, exec_lo, s5
	v_mov_b32_e32 v5, 0
	ds_read_b64 v[5:6], v5 offset:288
	s_waitcnt lgkmcnt(0)
	v_mul_f32_e32 v7, v2, v6
	v_mul_f32_e32 v6, v8, v6
	v_fma_f32 v7, v8, v5, -v7
	v_fmac_f32_e32 v6, v2, v5
	buffer_store_dword v7, off, s[0:3], 0 offset:288
	buffer_store_dword v6, off, s[0:3], 0 offset:292
.LBB113_159:
	s_or_b32 exec_lo, exec_lo, s4
	s_waitcnt_vscnt null, 0x0
	s_barrier
	buffer_gl0_inv
	s_clause 0x1
	buffer_load_dword v5, off, s[0:3], 0 offset:296
	buffer_load_dword v6, off, s[0:3], 0 offset:300
	s_mov_b32 s4, exec_lo
	s_waitcnt vmcnt(0)
	ds_write_b64 v4, v[5:6]
	s_waitcnt lgkmcnt(0)
	s_barrier
	buffer_gl0_inv
	v_cmpx_gt_u32_e32 37, v0
	s_cbranch_execz .LBB113_163
; %bb.160:
	v_add_nc_u32_e32 v5, -1, v0
	v_add_nc_u32_e32 v6, 0x190, v3
	v_mov_b32_e32 v7, v3
	v_mov_b32_e32 v2, 0
	;; [unrolled: 1-line block ×3, first 2 shown]
	s_mov_b32 s5, 0
	.p2align	6
.LBB113_161:                            ; =>This Inner Loop Header: Depth=1
	s_clause 0x1
	buffer_load_dword v111, v7, s[0:3], 0 offen offset:4
	buffer_load_dword v112, v7, s[0:3], 0 offen
	ds_read_b64 v[109:110], v6
	v_add_nc_u32_e32 v5, 1, v5
	v_add_nc_u32_e32 v6, 8, v6
	;; [unrolled: 1-line block ×3, first 2 shown]
	v_cmp_lt_u32_e32 vcc_lo, 35, v5
	s_or_b32 s5, vcc_lo, s5
	s_waitcnt vmcnt(1) lgkmcnt(0)
	v_mul_f32_e32 v113, v110, v111
	v_mul_f32_e32 v111, v109, v111
	s_waitcnt vmcnt(0)
	v_fma_f32 v109, v109, v112, -v113
	v_fmac_f32_e32 v111, v110, v112
	v_add_f32_e32 v8, v8, v109
	v_add_f32_e32 v2, v2, v111
	s_andn2_b32 exec_lo, exec_lo, s5
	s_cbranch_execnz .LBB113_161
; %bb.162:
	s_or_b32 exec_lo, exec_lo, s5
	v_mov_b32_e32 v5, 0
	ds_read_b64 v[5:6], v5 offset:296
	s_waitcnt lgkmcnt(0)
	v_mul_f32_e32 v7, v2, v6
	v_mul_f32_e32 v6, v8, v6
	v_fma_f32 v7, v8, v5, -v7
	v_fmac_f32_e32 v6, v2, v5
	buffer_store_dword v7, off, s[0:3], 0 offset:296
	buffer_store_dword v6, off, s[0:3], 0 offset:300
.LBB113_163:
	s_or_b32 exec_lo, exec_lo, s4
	s_waitcnt_vscnt null, 0x0
	s_barrier
	buffer_gl0_inv
	s_clause 0x1
	buffer_load_dword v5, off, s[0:3], 0 offset:304
	buffer_load_dword v6, off, s[0:3], 0 offset:308
	s_mov_b32 s4, exec_lo
	s_waitcnt vmcnt(0)
	ds_write_b64 v4, v[5:6]
	s_waitcnt lgkmcnt(0)
	s_barrier
	buffer_gl0_inv
	v_cmpx_gt_u32_e32 38, v0
	s_cbranch_execz .LBB113_167
; %bb.164:
	v_add_nc_u32_e32 v5, -1, v0
	v_add_nc_u32_e32 v6, 0x190, v3
	v_mov_b32_e32 v7, v3
	v_mov_b32_e32 v2, 0
	;; [unrolled: 1-line block ×3, first 2 shown]
	s_mov_b32 s5, 0
	.p2align	6
.LBB113_165:                            ; =>This Inner Loop Header: Depth=1
	s_clause 0x1
	buffer_load_dword v111, v7, s[0:3], 0 offen offset:4
	buffer_load_dword v112, v7, s[0:3], 0 offen
	ds_read_b64 v[109:110], v6
	v_add_nc_u32_e32 v5, 1, v5
	v_add_nc_u32_e32 v6, 8, v6
	;; [unrolled: 1-line block ×3, first 2 shown]
	v_cmp_lt_u32_e32 vcc_lo, 36, v5
	s_or_b32 s5, vcc_lo, s5
	s_waitcnt vmcnt(1) lgkmcnt(0)
	v_mul_f32_e32 v113, v110, v111
	v_mul_f32_e32 v111, v109, v111
	s_waitcnt vmcnt(0)
	v_fma_f32 v109, v109, v112, -v113
	v_fmac_f32_e32 v111, v110, v112
	v_add_f32_e32 v8, v8, v109
	v_add_f32_e32 v2, v2, v111
	s_andn2_b32 exec_lo, exec_lo, s5
	s_cbranch_execnz .LBB113_165
; %bb.166:
	s_or_b32 exec_lo, exec_lo, s5
	v_mov_b32_e32 v5, 0
	ds_read_b64 v[5:6], v5 offset:304
	s_waitcnt lgkmcnt(0)
	v_mul_f32_e32 v7, v2, v6
	v_mul_f32_e32 v6, v8, v6
	v_fma_f32 v7, v8, v5, -v7
	v_fmac_f32_e32 v6, v2, v5
	buffer_store_dword v7, off, s[0:3], 0 offset:304
	buffer_store_dword v6, off, s[0:3], 0 offset:308
.LBB113_167:
	s_or_b32 exec_lo, exec_lo, s4
	s_waitcnt_vscnt null, 0x0
	s_barrier
	buffer_gl0_inv
	s_clause 0x1
	buffer_load_dword v5, off, s[0:3], 0 offset:312
	buffer_load_dword v6, off, s[0:3], 0 offset:316
	s_mov_b32 s4, exec_lo
	s_waitcnt vmcnt(0)
	ds_write_b64 v4, v[5:6]
	s_waitcnt lgkmcnt(0)
	s_barrier
	buffer_gl0_inv
	v_cmpx_gt_u32_e32 39, v0
	s_cbranch_execz .LBB113_171
; %bb.168:
	v_add_nc_u32_e32 v5, -1, v0
	v_add_nc_u32_e32 v6, 0x190, v3
	v_mov_b32_e32 v7, v3
	v_mov_b32_e32 v2, 0
	;; [unrolled: 1-line block ×3, first 2 shown]
	s_mov_b32 s5, 0
	.p2align	6
.LBB113_169:                            ; =>This Inner Loop Header: Depth=1
	s_clause 0x1
	buffer_load_dword v111, v7, s[0:3], 0 offen offset:4
	buffer_load_dword v112, v7, s[0:3], 0 offen
	ds_read_b64 v[109:110], v6
	v_add_nc_u32_e32 v5, 1, v5
	v_add_nc_u32_e32 v6, 8, v6
	;; [unrolled: 1-line block ×3, first 2 shown]
	v_cmp_lt_u32_e32 vcc_lo, 37, v5
	s_or_b32 s5, vcc_lo, s5
	s_waitcnt vmcnt(1) lgkmcnt(0)
	v_mul_f32_e32 v113, v110, v111
	v_mul_f32_e32 v111, v109, v111
	s_waitcnt vmcnt(0)
	v_fma_f32 v109, v109, v112, -v113
	v_fmac_f32_e32 v111, v110, v112
	v_add_f32_e32 v8, v8, v109
	v_add_f32_e32 v2, v2, v111
	s_andn2_b32 exec_lo, exec_lo, s5
	s_cbranch_execnz .LBB113_169
; %bb.170:
	s_or_b32 exec_lo, exec_lo, s5
	v_mov_b32_e32 v5, 0
	ds_read_b64 v[5:6], v5 offset:312
	s_waitcnt lgkmcnt(0)
	v_mul_f32_e32 v7, v2, v6
	v_mul_f32_e32 v6, v8, v6
	v_fma_f32 v7, v8, v5, -v7
	v_fmac_f32_e32 v6, v2, v5
	buffer_store_dword v7, off, s[0:3], 0 offset:312
	buffer_store_dword v6, off, s[0:3], 0 offset:316
.LBB113_171:
	s_or_b32 exec_lo, exec_lo, s4
	s_waitcnt_vscnt null, 0x0
	s_barrier
	buffer_gl0_inv
	s_clause 0x1
	buffer_load_dword v5, off, s[0:3], 0 offset:320
	buffer_load_dword v6, off, s[0:3], 0 offset:324
	s_mov_b32 s4, exec_lo
	s_waitcnt vmcnt(0)
	ds_write_b64 v4, v[5:6]
	s_waitcnt lgkmcnt(0)
	s_barrier
	buffer_gl0_inv
	v_cmpx_gt_u32_e32 40, v0
	s_cbranch_execz .LBB113_175
; %bb.172:
	v_add_nc_u32_e32 v5, -1, v0
	v_add_nc_u32_e32 v6, 0x190, v3
	v_mov_b32_e32 v7, v3
	v_mov_b32_e32 v2, 0
	;; [unrolled: 1-line block ×3, first 2 shown]
	s_mov_b32 s5, 0
	.p2align	6
.LBB113_173:                            ; =>This Inner Loop Header: Depth=1
	s_clause 0x1
	buffer_load_dword v111, v7, s[0:3], 0 offen offset:4
	buffer_load_dword v112, v7, s[0:3], 0 offen
	ds_read_b64 v[109:110], v6
	v_add_nc_u32_e32 v5, 1, v5
	v_add_nc_u32_e32 v6, 8, v6
	;; [unrolled: 1-line block ×3, first 2 shown]
	v_cmp_lt_u32_e32 vcc_lo, 38, v5
	s_or_b32 s5, vcc_lo, s5
	s_waitcnt vmcnt(1) lgkmcnt(0)
	v_mul_f32_e32 v113, v110, v111
	v_mul_f32_e32 v111, v109, v111
	s_waitcnt vmcnt(0)
	v_fma_f32 v109, v109, v112, -v113
	v_fmac_f32_e32 v111, v110, v112
	v_add_f32_e32 v8, v8, v109
	v_add_f32_e32 v2, v2, v111
	s_andn2_b32 exec_lo, exec_lo, s5
	s_cbranch_execnz .LBB113_173
; %bb.174:
	s_or_b32 exec_lo, exec_lo, s5
	v_mov_b32_e32 v5, 0
	ds_read_b64 v[5:6], v5 offset:320
	s_waitcnt lgkmcnt(0)
	v_mul_f32_e32 v7, v2, v6
	v_mul_f32_e32 v6, v8, v6
	v_fma_f32 v7, v8, v5, -v7
	v_fmac_f32_e32 v6, v2, v5
	buffer_store_dword v7, off, s[0:3], 0 offset:320
	buffer_store_dword v6, off, s[0:3], 0 offset:324
.LBB113_175:
	s_or_b32 exec_lo, exec_lo, s4
	s_waitcnt_vscnt null, 0x0
	s_barrier
	buffer_gl0_inv
	s_clause 0x1
	buffer_load_dword v5, off, s[0:3], 0 offset:328
	buffer_load_dword v6, off, s[0:3], 0 offset:332
	s_mov_b32 s4, exec_lo
	s_waitcnt vmcnt(0)
	ds_write_b64 v4, v[5:6]
	s_waitcnt lgkmcnt(0)
	s_barrier
	buffer_gl0_inv
	v_cmpx_gt_u32_e32 41, v0
	s_cbranch_execz .LBB113_179
; %bb.176:
	v_add_nc_u32_e32 v5, -1, v0
	v_add_nc_u32_e32 v6, 0x190, v3
	v_mov_b32_e32 v7, v3
	v_mov_b32_e32 v2, 0
	;; [unrolled: 1-line block ×3, first 2 shown]
	s_mov_b32 s5, 0
	.p2align	6
.LBB113_177:                            ; =>This Inner Loop Header: Depth=1
	s_clause 0x1
	buffer_load_dword v111, v7, s[0:3], 0 offen offset:4
	buffer_load_dword v112, v7, s[0:3], 0 offen
	ds_read_b64 v[109:110], v6
	v_add_nc_u32_e32 v5, 1, v5
	v_add_nc_u32_e32 v6, 8, v6
	;; [unrolled: 1-line block ×3, first 2 shown]
	v_cmp_lt_u32_e32 vcc_lo, 39, v5
	s_or_b32 s5, vcc_lo, s5
	s_waitcnt vmcnt(1) lgkmcnt(0)
	v_mul_f32_e32 v113, v110, v111
	v_mul_f32_e32 v111, v109, v111
	s_waitcnt vmcnt(0)
	v_fma_f32 v109, v109, v112, -v113
	v_fmac_f32_e32 v111, v110, v112
	v_add_f32_e32 v8, v8, v109
	v_add_f32_e32 v2, v2, v111
	s_andn2_b32 exec_lo, exec_lo, s5
	s_cbranch_execnz .LBB113_177
; %bb.178:
	s_or_b32 exec_lo, exec_lo, s5
	v_mov_b32_e32 v5, 0
	ds_read_b64 v[5:6], v5 offset:328
	s_waitcnt lgkmcnt(0)
	v_mul_f32_e32 v7, v2, v6
	v_mul_f32_e32 v6, v8, v6
	v_fma_f32 v7, v8, v5, -v7
	v_fmac_f32_e32 v6, v2, v5
	buffer_store_dword v7, off, s[0:3], 0 offset:328
	buffer_store_dword v6, off, s[0:3], 0 offset:332
.LBB113_179:
	s_or_b32 exec_lo, exec_lo, s4
	s_waitcnt_vscnt null, 0x0
	s_barrier
	buffer_gl0_inv
	s_clause 0x1
	buffer_load_dword v5, off, s[0:3], 0 offset:336
	buffer_load_dword v6, off, s[0:3], 0 offset:340
	s_mov_b32 s4, exec_lo
	s_waitcnt vmcnt(0)
	ds_write_b64 v4, v[5:6]
	s_waitcnt lgkmcnt(0)
	s_barrier
	buffer_gl0_inv
	v_cmpx_gt_u32_e32 42, v0
	s_cbranch_execz .LBB113_183
; %bb.180:
	v_add_nc_u32_e32 v5, -1, v0
	v_add_nc_u32_e32 v6, 0x190, v3
	v_mov_b32_e32 v7, v3
	v_mov_b32_e32 v2, 0
	;; [unrolled: 1-line block ×3, first 2 shown]
	s_mov_b32 s5, 0
	.p2align	6
.LBB113_181:                            ; =>This Inner Loop Header: Depth=1
	s_clause 0x1
	buffer_load_dword v111, v7, s[0:3], 0 offen offset:4
	buffer_load_dword v112, v7, s[0:3], 0 offen
	ds_read_b64 v[109:110], v6
	v_add_nc_u32_e32 v5, 1, v5
	v_add_nc_u32_e32 v6, 8, v6
	;; [unrolled: 1-line block ×3, first 2 shown]
	v_cmp_lt_u32_e32 vcc_lo, 40, v5
	s_or_b32 s5, vcc_lo, s5
	s_waitcnt vmcnt(1) lgkmcnt(0)
	v_mul_f32_e32 v113, v110, v111
	v_mul_f32_e32 v111, v109, v111
	s_waitcnt vmcnt(0)
	v_fma_f32 v109, v109, v112, -v113
	v_fmac_f32_e32 v111, v110, v112
	v_add_f32_e32 v8, v8, v109
	v_add_f32_e32 v2, v2, v111
	s_andn2_b32 exec_lo, exec_lo, s5
	s_cbranch_execnz .LBB113_181
; %bb.182:
	s_or_b32 exec_lo, exec_lo, s5
	v_mov_b32_e32 v5, 0
	ds_read_b64 v[5:6], v5 offset:336
	s_waitcnt lgkmcnt(0)
	v_mul_f32_e32 v7, v2, v6
	v_mul_f32_e32 v6, v8, v6
	v_fma_f32 v7, v8, v5, -v7
	v_fmac_f32_e32 v6, v2, v5
	buffer_store_dword v7, off, s[0:3], 0 offset:336
	buffer_store_dword v6, off, s[0:3], 0 offset:340
.LBB113_183:
	s_or_b32 exec_lo, exec_lo, s4
	s_waitcnt_vscnt null, 0x0
	s_barrier
	buffer_gl0_inv
	s_clause 0x1
	buffer_load_dword v5, off, s[0:3], 0 offset:344
	buffer_load_dword v6, off, s[0:3], 0 offset:348
	s_mov_b32 s4, exec_lo
	s_waitcnt vmcnt(0)
	ds_write_b64 v4, v[5:6]
	s_waitcnt lgkmcnt(0)
	s_barrier
	buffer_gl0_inv
	v_cmpx_gt_u32_e32 43, v0
	s_cbranch_execz .LBB113_187
; %bb.184:
	v_add_nc_u32_e32 v5, -1, v0
	v_add_nc_u32_e32 v6, 0x190, v3
	v_mov_b32_e32 v7, v3
	v_mov_b32_e32 v2, 0
	;; [unrolled: 1-line block ×3, first 2 shown]
	s_mov_b32 s5, 0
	.p2align	6
.LBB113_185:                            ; =>This Inner Loop Header: Depth=1
	s_clause 0x1
	buffer_load_dword v111, v7, s[0:3], 0 offen offset:4
	buffer_load_dword v112, v7, s[0:3], 0 offen
	ds_read_b64 v[109:110], v6
	v_add_nc_u32_e32 v5, 1, v5
	v_add_nc_u32_e32 v6, 8, v6
	;; [unrolled: 1-line block ×3, first 2 shown]
	v_cmp_lt_u32_e32 vcc_lo, 41, v5
	s_or_b32 s5, vcc_lo, s5
	s_waitcnt vmcnt(1) lgkmcnt(0)
	v_mul_f32_e32 v113, v110, v111
	v_mul_f32_e32 v111, v109, v111
	s_waitcnt vmcnt(0)
	v_fma_f32 v109, v109, v112, -v113
	v_fmac_f32_e32 v111, v110, v112
	v_add_f32_e32 v8, v8, v109
	v_add_f32_e32 v2, v2, v111
	s_andn2_b32 exec_lo, exec_lo, s5
	s_cbranch_execnz .LBB113_185
; %bb.186:
	s_or_b32 exec_lo, exec_lo, s5
	v_mov_b32_e32 v5, 0
	ds_read_b64 v[5:6], v5 offset:344
	s_waitcnt lgkmcnt(0)
	v_mul_f32_e32 v7, v2, v6
	v_mul_f32_e32 v6, v8, v6
	v_fma_f32 v7, v8, v5, -v7
	v_fmac_f32_e32 v6, v2, v5
	buffer_store_dword v7, off, s[0:3], 0 offset:344
	buffer_store_dword v6, off, s[0:3], 0 offset:348
.LBB113_187:
	s_or_b32 exec_lo, exec_lo, s4
	s_waitcnt_vscnt null, 0x0
	s_barrier
	buffer_gl0_inv
	s_clause 0x1
	buffer_load_dword v5, off, s[0:3], 0 offset:352
	buffer_load_dword v6, off, s[0:3], 0 offset:356
	s_mov_b32 s4, exec_lo
	s_waitcnt vmcnt(0)
	ds_write_b64 v4, v[5:6]
	s_waitcnt lgkmcnt(0)
	s_barrier
	buffer_gl0_inv
	v_cmpx_gt_u32_e32 44, v0
	s_cbranch_execz .LBB113_191
; %bb.188:
	v_add_nc_u32_e32 v5, -1, v0
	v_add_nc_u32_e32 v6, 0x190, v3
	v_mov_b32_e32 v7, v3
	v_mov_b32_e32 v2, 0
	;; [unrolled: 1-line block ×3, first 2 shown]
	s_mov_b32 s5, 0
	.p2align	6
.LBB113_189:                            ; =>This Inner Loop Header: Depth=1
	s_clause 0x1
	buffer_load_dword v111, v7, s[0:3], 0 offen offset:4
	buffer_load_dword v112, v7, s[0:3], 0 offen
	ds_read_b64 v[109:110], v6
	v_add_nc_u32_e32 v5, 1, v5
	v_add_nc_u32_e32 v6, 8, v6
	;; [unrolled: 1-line block ×3, first 2 shown]
	v_cmp_lt_u32_e32 vcc_lo, 42, v5
	s_or_b32 s5, vcc_lo, s5
	s_waitcnt vmcnt(1) lgkmcnt(0)
	v_mul_f32_e32 v113, v110, v111
	v_mul_f32_e32 v111, v109, v111
	s_waitcnt vmcnt(0)
	v_fma_f32 v109, v109, v112, -v113
	v_fmac_f32_e32 v111, v110, v112
	v_add_f32_e32 v8, v8, v109
	v_add_f32_e32 v2, v2, v111
	s_andn2_b32 exec_lo, exec_lo, s5
	s_cbranch_execnz .LBB113_189
; %bb.190:
	s_or_b32 exec_lo, exec_lo, s5
	v_mov_b32_e32 v5, 0
	ds_read_b64 v[5:6], v5 offset:352
	s_waitcnt lgkmcnt(0)
	v_mul_f32_e32 v7, v2, v6
	v_mul_f32_e32 v6, v8, v6
	v_fma_f32 v7, v8, v5, -v7
	v_fmac_f32_e32 v6, v2, v5
	buffer_store_dword v7, off, s[0:3], 0 offset:352
	buffer_store_dword v6, off, s[0:3], 0 offset:356
.LBB113_191:
	s_or_b32 exec_lo, exec_lo, s4
	s_waitcnt_vscnt null, 0x0
	s_barrier
	buffer_gl0_inv
	s_clause 0x1
	buffer_load_dword v5, off, s[0:3], 0 offset:360
	buffer_load_dword v6, off, s[0:3], 0 offset:364
	s_mov_b32 s4, exec_lo
	s_waitcnt vmcnt(0)
	ds_write_b64 v4, v[5:6]
	s_waitcnt lgkmcnt(0)
	s_barrier
	buffer_gl0_inv
	v_cmpx_gt_u32_e32 45, v0
	s_cbranch_execz .LBB113_195
; %bb.192:
	v_add_nc_u32_e32 v5, -1, v0
	v_add_nc_u32_e32 v6, 0x190, v3
	v_mov_b32_e32 v7, v3
	v_mov_b32_e32 v2, 0
	;; [unrolled: 1-line block ×3, first 2 shown]
	s_mov_b32 s5, 0
	.p2align	6
.LBB113_193:                            ; =>This Inner Loop Header: Depth=1
	s_clause 0x1
	buffer_load_dword v111, v7, s[0:3], 0 offen offset:4
	buffer_load_dword v112, v7, s[0:3], 0 offen
	ds_read_b64 v[109:110], v6
	v_add_nc_u32_e32 v5, 1, v5
	v_add_nc_u32_e32 v6, 8, v6
	;; [unrolled: 1-line block ×3, first 2 shown]
	v_cmp_lt_u32_e32 vcc_lo, 43, v5
	s_or_b32 s5, vcc_lo, s5
	s_waitcnt vmcnt(1) lgkmcnt(0)
	v_mul_f32_e32 v113, v110, v111
	v_mul_f32_e32 v111, v109, v111
	s_waitcnt vmcnt(0)
	v_fma_f32 v109, v109, v112, -v113
	v_fmac_f32_e32 v111, v110, v112
	v_add_f32_e32 v8, v8, v109
	v_add_f32_e32 v2, v2, v111
	s_andn2_b32 exec_lo, exec_lo, s5
	s_cbranch_execnz .LBB113_193
; %bb.194:
	s_or_b32 exec_lo, exec_lo, s5
	v_mov_b32_e32 v5, 0
	ds_read_b64 v[5:6], v5 offset:360
	s_waitcnt lgkmcnt(0)
	v_mul_f32_e32 v7, v2, v6
	v_mul_f32_e32 v6, v8, v6
	v_fma_f32 v7, v8, v5, -v7
	v_fmac_f32_e32 v6, v2, v5
	buffer_store_dword v7, off, s[0:3], 0 offset:360
	buffer_store_dword v6, off, s[0:3], 0 offset:364
.LBB113_195:
	s_or_b32 exec_lo, exec_lo, s4
	s_waitcnt_vscnt null, 0x0
	s_barrier
	buffer_gl0_inv
	s_clause 0x1
	buffer_load_dword v5, off, s[0:3], 0 offset:368
	buffer_load_dword v6, off, s[0:3], 0 offset:372
	s_mov_b32 s4, exec_lo
	s_waitcnt vmcnt(0)
	ds_write_b64 v4, v[5:6]
	s_waitcnt lgkmcnt(0)
	s_barrier
	buffer_gl0_inv
	v_cmpx_gt_u32_e32 46, v0
	s_cbranch_execz .LBB113_199
; %bb.196:
	v_add_nc_u32_e32 v5, -1, v0
	v_add_nc_u32_e32 v6, 0x190, v3
	v_mov_b32_e32 v7, v3
	v_mov_b32_e32 v2, 0
	;; [unrolled: 1-line block ×3, first 2 shown]
	s_mov_b32 s5, 0
	.p2align	6
.LBB113_197:                            ; =>This Inner Loop Header: Depth=1
	s_clause 0x1
	buffer_load_dword v111, v7, s[0:3], 0 offen offset:4
	buffer_load_dword v112, v7, s[0:3], 0 offen
	ds_read_b64 v[109:110], v6
	v_add_nc_u32_e32 v5, 1, v5
	v_add_nc_u32_e32 v6, 8, v6
	;; [unrolled: 1-line block ×3, first 2 shown]
	v_cmp_lt_u32_e32 vcc_lo, 44, v5
	s_or_b32 s5, vcc_lo, s5
	s_waitcnt vmcnt(1) lgkmcnt(0)
	v_mul_f32_e32 v113, v110, v111
	v_mul_f32_e32 v111, v109, v111
	s_waitcnt vmcnt(0)
	v_fma_f32 v109, v109, v112, -v113
	v_fmac_f32_e32 v111, v110, v112
	v_add_f32_e32 v8, v8, v109
	v_add_f32_e32 v2, v2, v111
	s_andn2_b32 exec_lo, exec_lo, s5
	s_cbranch_execnz .LBB113_197
; %bb.198:
	s_or_b32 exec_lo, exec_lo, s5
	v_mov_b32_e32 v5, 0
	ds_read_b64 v[5:6], v5 offset:368
	s_waitcnt lgkmcnt(0)
	v_mul_f32_e32 v7, v2, v6
	v_mul_f32_e32 v6, v8, v6
	v_fma_f32 v7, v8, v5, -v7
	v_fmac_f32_e32 v6, v2, v5
	buffer_store_dword v7, off, s[0:3], 0 offset:368
	buffer_store_dword v6, off, s[0:3], 0 offset:372
.LBB113_199:
	s_or_b32 exec_lo, exec_lo, s4
	s_waitcnt_vscnt null, 0x0
	s_barrier
	buffer_gl0_inv
	s_clause 0x1
	buffer_load_dword v5, off, s[0:3], 0 offset:376
	buffer_load_dword v6, off, s[0:3], 0 offset:380
	s_mov_b32 s4, exec_lo
	s_waitcnt vmcnt(0)
	ds_write_b64 v4, v[5:6]
	s_waitcnt lgkmcnt(0)
	s_barrier
	buffer_gl0_inv
	v_cmpx_gt_u32_e32 47, v0
	s_cbranch_execz .LBB113_203
; %bb.200:
	v_add_nc_u32_e32 v5, -1, v0
	v_add_nc_u32_e32 v6, 0x190, v3
	v_mov_b32_e32 v7, v3
	v_mov_b32_e32 v2, 0
	;; [unrolled: 1-line block ×3, first 2 shown]
	s_mov_b32 s5, 0
	.p2align	6
.LBB113_201:                            ; =>This Inner Loop Header: Depth=1
	s_clause 0x1
	buffer_load_dword v111, v7, s[0:3], 0 offen offset:4
	buffer_load_dword v112, v7, s[0:3], 0 offen
	ds_read_b64 v[109:110], v6
	v_add_nc_u32_e32 v5, 1, v5
	v_add_nc_u32_e32 v6, 8, v6
	;; [unrolled: 1-line block ×3, first 2 shown]
	v_cmp_lt_u32_e32 vcc_lo, 45, v5
	s_or_b32 s5, vcc_lo, s5
	s_waitcnt vmcnt(1) lgkmcnt(0)
	v_mul_f32_e32 v113, v110, v111
	v_mul_f32_e32 v111, v109, v111
	s_waitcnt vmcnt(0)
	v_fma_f32 v109, v109, v112, -v113
	v_fmac_f32_e32 v111, v110, v112
	v_add_f32_e32 v8, v8, v109
	v_add_f32_e32 v2, v2, v111
	s_andn2_b32 exec_lo, exec_lo, s5
	s_cbranch_execnz .LBB113_201
; %bb.202:
	s_or_b32 exec_lo, exec_lo, s5
	v_mov_b32_e32 v5, 0
	ds_read_b64 v[5:6], v5 offset:376
	s_waitcnt lgkmcnt(0)
	v_mul_f32_e32 v7, v2, v6
	v_mul_f32_e32 v6, v8, v6
	v_fma_f32 v7, v8, v5, -v7
	v_fmac_f32_e32 v6, v2, v5
	buffer_store_dword v7, off, s[0:3], 0 offset:376
	buffer_store_dword v6, off, s[0:3], 0 offset:380
.LBB113_203:
	s_or_b32 exec_lo, exec_lo, s4
	s_waitcnt_vscnt null, 0x0
	s_barrier
	buffer_gl0_inv
	s_clause 0x1
	buffer_load_dword v5, off, s[0:3], 0 offset:384
	buffer_load_dword v6, off, s[0:3], 0 offset:388
	s_mov_b32 s4, exec_lo
	s_waitcnt vmcnt(0)
	ds_write_b64 v4, v[5:6]
	s_waitcnt lgkmcnt(0)
	s_barrier
	buffer_gl0_inv
	v_cmpx_gt_u32_e32 48, v0
	s_cbranch_execz .LBB113_207
; %bb.204:
	v_add_nc_u32_e32 v5, -1, v0
	v_add_nc_u32_e32 v6, 0x190, v3
	v_mov_b32_e32 v7, v3
	v_mov_b32_e32 v2, 0
	;; [unrolled: 1-line block ×3, first 2 shown]
	s_mov_b32 s5, 0
	.p2align	6
.LBB113_205:                            ; =>This Inner Loop Header: Depth=1
	s_clause 0x1
	buffer_load_dword v111, v7, s[0:3], 0 offen offset:4
	buffer_load_dword v112, v7, s[0:3], 0 offen
	ds_read_b64 v[109:110], v6
	v_add_nc_u32_e32 v5, 1, v5
	v_add_nc_u32_e32 v6, 8, v6
	;; [unrolled: 1-line block ×3, first 2 shown]
	v_cmp_lt_u32_e32 vcc_lo, 46, v5
	s_or_b32 s5, vcc_lo, s5
	s_waitcnt vmcnt(1) lgkmcnt(0)
	v_mul_f32_e32 v113, v110, v111
	v_mul_f32_e32 v111, v109, v111
	s_waitcnt vmcnt(0)
	v_fma_f32 v109, v109, v112, -v113
	v_fmac_f32_e32 v111, v110, v112
	v_add_f32_e32 v8, v8, v109
	v_add_f32_e32 v2, v2, v111
	s_andn2_b32 exec_lo, exec_lo, s5
	s_cbranch_execnz .LBB113_205
; %bb.206:
	s_or_b32 exec_lo, exec_lo, s5
	v_mov_b32_e32 v5, 0
	ds_read_b64 v[5:6], v5 offset:384
	s_waitcnt lgkmcnt(0)
	v_mul_f32_e32 v7, v2, v6
	v_mul_f32_e32 v6, v8, v6
	v_fma_f32 v7, v8, v5, -v7
	v_fmac_f32_e32 v6, v2, v5
	buffer_store_dword v7, off, s[0:3], 0 offset:384
	buffer_store_dword v6, off, s[0:3], 0 offset:388
.LBB113_207:
	s_or_b32 exec_lo, exec_lo, s4
	s_waitcnt_vscnt null, 0x0
	s_barrier
	buffer_gl0_inv
	s_clause 0x1
	buffer_load_dword v5, off, s[0:3], 0 offset:392
	buffer_load_dword v6, off, s[0:3], 0 offset:396
	s_mov_b32 s4, exec_lo
	s_waitcnt vmcnt(0)
	ds_write_b64 v4, v[5:6]
	s_waitcnt lgkmcnt(0)
	s_barrier
	buffer_gl0_inv
	v_cmpx_ne_u32_e32 49, v0
	s_cbranch_execz .LBB113_211
; %bb.208:
	v_mov_b32_e32 v2, 0
	v_mov_b32_e32 v5, 0
	s_mov_b32 s5, 0
	.p2align	6
.LBB113_209:                            ; =>This Inner Loop Header: Depth=1
	s_clause 0x1
	buffer_load_dword v8, v3, s[0:3], 0 offen offset:4
	buffer_load_dword v109, v3, s[0:3], 0 offen
	ds_read_b64 v[6:7], v4
	v_add_nc_u32_e32 v1, 1, v1
	v_add_nc_u32_e32 v4, 8, v4
	;; [unrolled: 1-line block ×3, first 2 shown]
	v_cmp_lt_u32_e32 vcc_lo, 47, v1
	s_or_b32 s5, vcc_lo, s5
	s_waitcnt vmcnt(1) lgkmcnt(0)
	v_mul_f32_e32 v110, v7, v8
	v_mul_f32_e32 v8, v6, v8
	s_waitcnt vmcnt(0)
	v_fma_f32 v6, v6, v109, -v110
	v_fmac_f32_e32 v8, v7, v109
	v_add_f32_e32 v5, v5, v6
	v_add_f32_e32 v2, v2, v8
	s_andn2_b32 exec_lo, exec_lo, s5
	s_cbranch_execnz .LBB113_209
; %bb.210:
	s_or_b32 exec_lo, exec_lo, s5
	v_mov_b32_e32 v1, 0
	ds_read_b64 v[3:4], v1 offset:392
	s_waitcnt lgkmcnt(0)
	v_mul_f32_e32 v1, v2, v4
	v_mul_f32_e32 v4, v5, v4
	v_fma_f32 v1, v5, v3, -v1
	v_fmac_f32_e32 v4, v2, v3
	buffer_store_dword v1, off, s[0:3], 0 offset:392
	buffer_store_dword v4, off, s[0:3], 0 offset:396
.LBB113_211:
	s_or_b32 exec_lo, exec_lo, s4
	s_mov_b32 s5, -1
	s_waitcnt_vscnt null, 0x0
	s_barrier
	buffer_gl0_inv
.LBB113_212:
	s_and_b32 vcc_lo, exec_lo, s5
	s_cbranch_vccz .LBB113_214
; %bb.213:
	s_lshl_b64 s[4:5], s[6:7], 2
	v_mov_b32_e32 v1, 0
	s_add_u32 s4, s10, s4
	s_addc_u32 s5, s11, s5
	global_load_dword v1, v1, s[4:5]
	s_waitcnt vmcnt(0)
	v_cmp_ne_u32_e32 vcc_lo, 0, v1
	s_cbranch_vccz .LBB113_215
.LBB113_214:
	s_endpgm
.LBB113_215:
	v_lshl_add_u32 v109, v0, 3, 0x190
	s_mov_b32 s4, exec_lo
	v_cmpx_eq_u32_e32 49, v0
	s_cbranch_execz .LBB113_217
; %bb.216:
	s_clause 0x1
	buffer_load_dword v1, off, s[0:3], 0 offset:384
	buffer_load_dword v2, off, s[0:3], 0 offset:388
	v_mov_b32_e32 v3, 0
	buffer_store_dword v3, off, s[0:3], 0 offset:384
	buffer_store_dword v3, off, s[0:3], 0 offset:388
	s_waitcnt vmcnt(0)
	ds_write_b64 v109, v[1:2]
.LBB113_217:
	s_or_b32 exec_lo, exec_lo, s4
	s_waitcnt lgkmcnt(0)
	s_waitcnt_vscnt null, 0x0
	s_barrier
	buffer_gl0_inv
	s_clause 0x3
	buffer_load_dword v4, off, s[0:3], 0 offset:396
	buffer_load_dword v5, off, s[0:3], 0 offset:392
	;; [unrolled: 1-line block ×4, first 2 shown]
	v_mov_b32_e32 v1, 0
	s_mov_b32 s4, exec_lo
	ds_read_b64 v[2:3], v1 offset:792
	s_waitcnt vmcnt(3) lgkmcnt(0)
	v_mul_f32_e32 v8, v3, v4
	v_mul_f32_e32 v4, v2, v4
	s_waitcnt vmcnt(2)
	v_fma_f32 v2, v2, v5, -v8
	v_fmac_f32_e32 v4, v3, v5
	v_add_f32_e32 v2, 0, v2
	v_add_f32_e32 v3, 0, v4
	s_waitcnt vmcnt(1)
	v_sub_f32_e32 v2, v6, v2
	s_waitcnt vmcnt(0)
	v_sub_f32_e32 v3, v7, v3
	buffer_store_dword v2, off, s[0:3], 0 offset:384
	buffer_store_dword v3, off, s[0:3], 0 offset:388
	v_cmpx_lt_u32_e32 47, v0
	s_cbranch_execz .LBB113_219
; %bb.218:
	s_clause 0x1
	buffer_load_dword v2, off, s[0:3], 0 offset:376
	buffer_load_dword v3, off, s[0:3], 0 offset:380
	buffer_store_dword v1, off, s[0:3], 0 offset:376
	buffer_store_dword v1, off, s[0:3], 0 offset:380
	s_waitcnt vmcnt(0)
	ds_write_b64 v109, v[2:3]
.LBB113_219:
	s_or_b32 exec_lo, exec_lo, s4
	s_waitcnt lgkmcnt(0)
	s_waitcnt_vscnt null, 0x0
	s_barrier
	buffer_gl0_inv
	s_clause 0x5
	buffer_load_dword v5, off, s[0:3], 0 offset:388
	buffer_load_dword v6, off, s[0:3], 0 offset:396
	;; [unrolled: 1-line block ×6, first 2 shown]
	ds_read_b128 v[1:4], v1 offset:784
	s_mov_b32 s4, exec_lo
	s_waitcnt vmcnt(5) lgkmcnt(0)
	v_mul_f32_e32 v112, v2, v5
	v_mul_f32_e32 v5, v1, v5
	s_waitcnt vmcnt(4)
	v_mul_f32_e32 v113, v3, v6
	v_mul_f32_e32 v6, v4, v6
	s_waitcnt vmcnt(3)
	v_fma_f32 v1, v1, v7, -v112
	v_fmac_f32_e32 v5, v2, v7
	s_waitcnt vmcnt(2)
	v_fmac_f32_e32 v113, v4, v8
	v_fma_f32 v2, v3, v8, -v6
	v_add_f32_e32 v1, 0, v1
	v_add_f32_e32 v3, 0, v5
	;; [unrolled: 1-line block ×4, first 2 shown]
	s_waitcnt vmcnt(1)
	v_sub_f32_e32 v1, v110, v1
	s_waitcnt vmcnt(0)
	v_sub_f32_e32 v2, v111, v2
	buffer_store_dword v1, off, s[0:3], 0 offset:376
	buffer_store_dword v2, off, s[0:3], 0 offset:380
	v_cmpx_lt_u32_e32 46, v0
	s_cbranch_execz .LBB113_221
; %bb.220:
	s_clause 0x1
	buffer_load_dword v1, off, s[0:3], 0 offset:368
	buffer_load_dword v2, off, s[0:3], 0 offset:372
	v_mov_b32_e32 v3, 0
	buffer_store_dword v3, off, s[0:3], 0 offset:368
	buffer_store_dword v3, off, s[0:3], 0 offset:372
	s_waitcnt vmcnt(0)
	ds_write_b64 v109, v[1:2]
.LBB113_221:
	s_or_b32 exec_lo, exec_lo, s4
	s_waitcnt lgkmcnt(0)
	s_waitcnt_vscnt null, 0x0
	s_barrier
	buffer_gl0_inv
	s_clause 0x7
	buffer_load_dword v8, off, s[0:3], 0 offset:380
	buffer_load_dword v110, off, s[0:3], 0 offset:388
	;; [unrolled: 1-line block ×8, first 2 shown]
	v_mov_b32_e32 v1, 0
	ds_read2_b64 v[2:5], v1 offset0:97 offset1:98
	ds_read_b64 v[6:7], v1 offset:792
	s_mov_b32 s4, exec_lo
	s_waitcnt vmcnt(7) lgkmcnt(1)
	v_mul_f32_e32 v117, v3, v8
	v_mul_f32_e32 v8, v2, v8
	s_waitcnt vmcnt(6)
	v_mul_f32_e32 v118, v4, v110
	v_mul_f32_e32 v110, v5, v110
	s_waitcnt vmcnt(5) lgkmcnt(0)
	v_mul_f32_e32 v119, v6, v111
	s_waitcnt vmcnt(4)
	v_fma_f32 v2, v2, v112, -v117
	v_fmac_f32_e32 v8, v3, v112
	v_mul_f32_e32 v3, v7, v111
	s_waitcnt vmcnt(3)
	v_fma_f32 v4, v4, v113, -v110
	v_fmac_f32_e32 v118, v5, v113
	v_add_f32_e32 v2, 0, v2
	v_add_f32_e32 v5, 0, v8
	s_waitcnt vmcnt(2)
	v_fma_f32 v3, v6, v114, -v3
	v_fmac_f32_e32 v119, v7, v114
	v_add_f32_e32 v2, v2, v4
	v_add_f32_e32 v4, v5, v118
	;; [unrolled: 1-line block ×4, first 2 shown]
	s_waitcnt vmcnt(1)
	v_sub_f32_e32 v2, v115, v2
	s_waitcnt vmcnt(0)
	v_sub_f32_e32 v3, v116, v3
	buffer_store_dword v2, off, s[0:3], 0 offset:368
	buffer_store_dword v3, off, s[0:3], 0 offset:372
	v_cmpx_lt_u32_e32 45, v0
	s_cbranch_execz .LBB113_223
; %bb.222:
	s_clause 0x1
	buffer_load_dword v2, off, s[0:3], 0 offset:360
	buffer_load_dword v3, off, s[0:3], 0 offset:364
	buffer_store_dword v1, off, s[0:3], 0 offset:360
	buffer_store_dword v1, off, s[0:3], 0 offset:364
	s_waitcnt vmcnt(0)
	ds_write_b64 v109, v[2:3]
.LBB113_223:
	s_or_b32 exec_lo, exec_lo, s4
	s_waitcnt lgkmcnt(0)
	s_waitcnt_vscnt null, 0x0
	s_barrier
	buffer_gl0_inv
	s_clause 0x9
	buffer_load_dword v6, off, s[0:3], 0 offset:372
	buffer_load_dword v7, off, s[0:3], 0 offset:380
	buffer_load_dword v8, off, s[0:3], 0 offset:388
	buffer_load_dword v114, off, s[0:3], 0 offset:396
	buffer_load_dword v115, off, s[0:3], 0 offset:368
	buffer_load_dword v116, off, s[0:3], 0 offset:376
	buffer_load_dword v117, off, s[0:3], 0 offset:384
	buffer_load_dword v118, off, s[0:3], 0 offset:392
	buffer_load_dword v119, off, s[0:3], 0 offset:360
	buffer_load_dword v120, off, s[0:3], 0 offset:364
	ds_read_b128 v[2:5], v1 offset:768
	ds_read_b128 v[110:113], v1 offset:784
	s_mov_b32 s4, exec_lo
	s_waitcnt vmcnt(9) lgkmcnt(1)
	v_mul_f32_e32 v1, v2, v6
	v_mul_f32_e32 v6, v3, v6
	s_waitcnt vmcnt(8)
	v_mul_f32_e32 v121, v4, v7
	v_mul_f32_e32 v7, v5, v7
	s_waitcnt vmcnt(7) lgkmcnt(0)
	v_mul_f32_e32 v122, v110, v8
	s_waitcnt vmcnt(5)
	v_fmac_f32_e32 v1, v3, v115
	v_fma_f32 v2, v2, v115, -v6
	v_mul_f32_e32 v3, v111, v8
	s_waitcnt vmcnt(4)
	v_fma_f32 v4, v4, v116, -v7
	v_fmac_f32_e32 v121, v5, v116
	v_add_f32_e32 v1, 0, v1
	v_add_f32_e32 v2, 0, v2
	v_mul_f32_e32 v5, v113, v114
	s_waitcnt vmcnt(3)
	v_fma_f32 v3, v110, v117, -v3
	v_mul_f32_e32 v123, v112, v114
	v_fmac_f32_e32 v122, v111, v117
	v_add_f32_e32 v2, v2, v4
	v_add_f32_e32 v1, v1, v121
	s_waitcnt vmcnt(2)
	v_fma_f32 v4, v112, v118, -v5
	v_fmac_f32_e32 v123, v113, v118
	v_add_f32_e32 v2, v2, v3
	v_add_f32_e32 v1, v1, v122
	;; [unrolled: 1-line block ×4, first 2 shown]
	s_waitcnt vmcnt(1)
	v_sub_f32_e32 v2, v119, v2
	s_waitcnt vmcnt(0)
	v_sub_f32_e32 v1, v120, v1
	buffer_store_dword v2, off, s[0:3], 0 offset:360
	buffer_store_dword v1, off, s[0:3], 0 offset:364
	v_cmpx_lt_u32_e32 44, v0
	s_cbranch_execz .LBB113_225
; %bb.224:
	s_clause 0x1
	buffer_load_dword v1, off, s[0:3], 0 offset:352
	buffer_load_dword v2, off, s[0:3], 0 offset:356
	v_mov_b32_e32 v3, 0
	buffer_store_dword v3, off, s[0:3], 0 offset:352
	buffer_store_dword v3, off, s[0:3], 0 offset:356
	s_waitcnt vmcnt(0)
	ds_write_b64 v109, v[1:2]
.LBB113_225:
	s_or_b32 exec_lo, exec_lo, s4
	s_waitcnt lgkmcnt(0)
	s_waitcnt_vscnt null, 0x0
	s_barrier
	buffer_gl0_inv
	s_clause 0xb
	buffer_load_dword v8, off, s[0:3], 0 offset:364
	buffer_load_dword v114, off, s[0:3], 0 offset:372
	buffer_load_dword v115, off, s[0:3], 0 offset:380
	buffer_load_dword v116, off, s[0:3], 0 offset:388
	buffer_load_dword v117, off, s[0:3], 0 offset:396
	buffer_load_dword v118, off, s[0:3], 0 offset:360
	buffer_load_dword v119, off, s[0:3], 0 offset:368
	buffer_load_dword v120, off, s[0:3], 0 offset:376
	buffer_load_dword v121, off, s[0:3], 0 offset:384
	buffer_load_dword v122, off, s[0:3], 0 offset:392
	buffer_load_dword v123, off, s[0:3], 0 offset:352
	buffer_load_dword v124, off, s[0:3], 0 offset:356
	v_mov_b32_e32 v1, 0
	ds_read2_b64 v[2:5], v1 offset0:95 offset1:96
	ds_read2_b64 v[110:113], v1 offset0:97 offset1:98
	ds_read_b64 v[6:7], v1 offset:792
	s_mov_b32 s4, exec_lo
	s_waitcnt vmcnt(11) lgkmcnt(2)
	v_mul_f32_e32 v125, v2, v8
	v_mul_f32_e32 v8, v3, v8
	s_waitcnt vmcnt(10)
	v_mul_f32_e32 v126, v4, v114
	v_mul_f32_e32 v114, v5, v114
	s_waitcnt vmcnt(9) lgkmcnt(1)
	v_mul_f32_e32 v127, v110, v115
	s_waitcnt vmcnt(6)
	v_fmac_f32_e32 v125, v3, v118
	v_fma_f32 v2, v2, v118, -v8
	v_mul_f32_e32 v3, v111, v115
	s_waitcnt vmcnt(5)
	v_fma_f32 v4, v4, v119, -v114
	v_fmac_f32_e32 v126, v5, v119
	v_add_f32_e32 v5, 0, v125
	v_add_f32_e32 v2, 0, v2
	v_mul_f32_e32 v8, v113, v116
	s_waitcnt vmcnt(4)
	v_fma_f32 v3, v110, v120, -v3
	v_mul_f32_e32 v128, v112, v116
	v_fmac_f32_e32 v127, v111, v120
	v_add_f32_e32 v2, v2, v4
	v_add_f32_e32 v4, v5, v126
	s_waitcnt lgkmcnt(0)
	v_mul_f32_e32 v5, v7, v117
	s_waitcnt vmcnt(3)
	v_fma_f32 v8, v112, v121, -v8
	v_mul_f32_e32 v129, v6, v117
	v_add_f32_e32 v2, v2, v3
	v_fmac_f32_e32 v128, v113, v121
	v_add_f32_e32 v3, v4, v127
	s_waitcnt vmcnt(2)
	v_fma_f32 v4, v6, v122, -v5
	v_fmac_f32_e32 v129, v7, v122
	v_add_f32_e32 v2, v2, v8
	v_add_f32_e32 v3, v3, v128
	;; [unrolled: 1-line block ×4, first 2 shown]
	s_waitcnt vmcnt(1)
	v_sub_f32_e32 v2, v123, v2
	s_waitcnt vmcnt(0)
	v_sub_f32_e32 v3, v124, v3
	buffer_store_dword v2, off, s[0:3], 0 offset:352
	buffer_store_dword v3, off, s[0:3], 0 offset:356
	v_cmpx_lt_u32_e32 43, v0
	s_cbranch_execz .LBB113_227
; %bb.226:
	s_clause 0x1
	buffer_load_dword v2, off, s[0:3], 0 offset:344
	buffer_load_dword v3, off, s[0:3], 0 offset:348
	buffer_store_dword v1, off, s[0:3], 0 offset:344
	buffer_store_dword v1, off, s[0:3], 0 offset:348
	s_waitcnt vmcnt(0)
	ds_write_b64 v109, v[2:3]
.LBB113_227:
	s_or_b32 exec_lo, exec_lo, s4
	s_waitcnt lgkmcnt(0)
	s_waitcnt_vscnt null, 0x0
	s_barrier
	buffer_gl0_inv
	s_clause 0xd
	buffer_load_dword v6, off, s[0:3], 0 offset:356
	buffer_load_dword v7, off, s[0:3], 0 offset:364
	;; [unrolled: 1-line block ×14, first 2 shown]
	ds_read_b128 v[2:5], v1 offset:752
	ds_read_b128 v[110:113], v1 offset:768
	;; [unrolled: 1-line block ×3, first 2 shown]
	s_mov_b32 s4, exec_lo
	s_waitcnt vmcnt(13) lgkmcnt(2)
	v_mul_f32_e32 v1, v2, v6
	v_mul_f32_e32 v6, v3, v6
	s_waitcnt vmcnt(12)
	v_mul_f32_e32 v129, v4, v7
	v_mul_f32_e32 v7, v5, v7
	s_waitcnt vmcnt(11) lgkmcnt(1)
	v_mul_f32_e32 v130, v110, v8
	s_waitcnt vmcnt(10)
	v_mul_f32_e32 v131, v112, v118
	s_waitcnt vmcnt(7)
	v_fma_f32 v2, v2, v121, -v6
	v_fmac_f32_e32 v1, v3, v121
	v_mul_f32_e32 v3, v111, v8
	s_waitcnt vmcnt(6)
	v_fma_f32 v4, v4, v122, -v7
	v_fmac_f32_e32 v129, v5, v122
	v_add_f32_e32 v2, 0, v2
	v_add_f32_e32 v1, 0, v1
	v_mul_f32_e32 v5, v113, v118
	s_waitcnt vmcnt(5)
	v_fma_f32 v3, v110, v123, -v3
	v_fmac_f32_e32 v130, v111, v123
	v_add_f32_e32 v2, v2, v4
	v_add_f32_e32 v1, v1, v129
	s_waitcnt lgkmcnt(0)
	v_mul_f32_e32 v4, v115, v119
	s_waitcnt vmcnt(4)
	v_fma_f32 v5, v112, v124, -v5
	v_mul_f32_e32 v132, v114, v119
	v_add_f32_e32 v2, v2, v3
	v_fmac_f32_e32 v131, v113, v124
	v_add_f32_e32 v1, v1, v130
	v_mul_f32_e32 v3, v117, v120
	s_waitcnt vmcnt(3)
	v_fma_f32 v4, v114, v125, -v4
	v_add_f32_e32 v2, v2, v5
	v_mul_f32_e32 v133, v116, v120
	v_fmac_f32_e32 v132, v115, v125
	v_add_f32_e32 v1, v1, v131
	s_waitcnt vmcnt(2)
	v_fma_f32 v3, v116, v126, -v3
	v_add_f32_e32 v2, v2, v4
	v_fmac_f32_e32 v133, v117, v126
	v_add_f32_e32 v1, v1, v132
	v_add_f32_e32 v2, v2, v3
	;; [unrolled: 1-line block ×3, first 2 shown]
	s_waitcnt vmcnt(1)
	v_sub_f32_e32 v2, v127, v2
	s_waitcnt vmcnt(0)
	v_sub_f32_e32 v1, v128, v1
	buffer_store_dword v2, off, s[0:3], 0 offset:344
	buffer_store_dword v1, off, s[0:3], 0 offset:348
	v_cmpx_lt_u32_e32 42, v0
	s_cbranch_execz .LBB113_229
; %bb.228:
	s_clause 0x1
	buffer_load_dword v1, off, s[0:3], 0 offset:336
	buffer_load_dword v2, off, s[0:3], 0 offset:340
	v_mov_b32_e32 v3, 0
	buffer_store_dword v3, off, s[0:3], 0 offset:336
	buffer_store_dword v3, off, s[0:3], 0 offset:340
	s_waitcnt vmcnt(0)
	ds_write_b64 v109, v[1:2]
.LBB113_229:
	s_or_b32 exec_lo, exec_lo, s4
	s_waitcnt lgkmcnt(0)
	s_waitcnt_vscnt null, 0x0
	s_barrier
	buffer_gl0_inv
	s_clause 0xf
	buffer_load_dword v8, off, s[0:3], 0 offset:348
	buffer_load_dword v118, off, s[0:3], 0 offset:356
	;; [unrolled: 1-line block ×16, first 2 shown]
	v_mov_b32_e32 v1, 0
	ds_read2_b64 v[2:5], v1 offset0:93 offset1:94
	ds_read2_b64 v[110:113], v1 offset0:95 offset1:96
	ds_read2_b64 v[114:117], v1 offset0:97 offset1:98
	ds_read_b64 v[6:7], v1 offset:792
	s_mov_b32 s4, exec_lo
	s_waitcnt vmcnt(15) lgkmcnt(3)
	v_mul_f32_e32 v133, v2, v8
	v_mul_f32_e32 v8, v3, v8
	s_waitcnt vmcnt(14)
	v_mul_f32_e32 v134, v4, v118
	v_mul_f32_e32 v118, v5, v118
	s_waitcnt vmcnt(13) lgkmcnt(2)
	v_mul_f32_e32 v135, v110, v119
	s_waitcnt vmcnt(12)
	v_mul_f32_e32 v136, v112, v120
	s_waitcnt vmcnt(11) lgkmcnt(1)
	v_mul_f32_e32 v137, v114, v121
	s_waitcnt vmcnt(8)
	v_fma_f32 v2, v2, v124, -v8
	v_fmac_f32_e32 v133, v3, v124
	v_mul_f32_e32 v3, v111, v119
	s_waitcnt vmcnt(7)
	v_fma_f32 v4, v4, v125, -v118
	v_fmac_f32_e32 v134, v5, v125
	v_add_f32_e32 v2, 0, v2
	v_add_f32_e32 v5, 0, v133
	v_mul_f32_e32 v8, v113, v120
	s_waitcnt vmcnt(6)
	v_fma_f32 v3, v110, v126, -v3
	v_fmac_f32_e32 v135, v111, v126
	v_add_f32_e32 v2, v2, v4
	v_add_f32_e32 v4, v5, v134
	;; [unrolled: 6-line block ×3, first 2 shown]
	v_mul_f32_e32 v4, v117, v122
	s_waitcnt vmcnt(4)
	v_fma_f32 v5, v114, v128, -v5
	v_mul_f32_e32 v138, v116, v122
	v_add_f32_e32 v2, v2, v8
	v_fmac_f32_e32 v137, v115, v128
	v_add_f32_e32 v3, v3, v136
	s_waitcnt lgkmcnt(0)
	v_mul_f32_e32 v8, v7, v123
	s_waitcnt vmcnt(3)
	v_fma_f32 v4, v116, v129, -v4
	v_add_f32_e32 v2, v2, v5
	v_mul_f32_e32 v139, v6, v123
	v_fmac_f32_e32 v138, v117, v129
	v_add_f32_e32 v3, v3, v137
	s_waitcnt vmcnt(2)
	v_fma_f32 v5, v6, v130, -v8
	v_add_f32_e32 v2, v2, v4
	v_fmac_f32_e32 v139, v7, v130
	v_add_f32_e32 v3, v3, v138
	v_add_f32_e32 v2, v2, v5
	;; [unrolled: 1-line block ×3, first 2 shown]
	s_waitcnt vmcnt(1)
	v_sub_f32_e32 v2, v131, v2
	s_waitcnt vmcnt(0)
	v_sub_f32_e32 v3, v132, v3
	buffer_store_dword v2, off, s[0:3], 0 offset:336
	buffer_store_dword v3, off, s[0:3], 0 offset:340
	v_cmpx_lt_u32_e32 41, v0
	s_cbranch_execz .LBB113_231
; %bb.230:
	s_clause 0x1
	buffer_load_dword v2, off, s[0:3], 0 offset:328
	buffer_load_dword v3, off, s[0:3], 0 offset:332
	buffer_store_dword v1, off, s[0:3], 0 offset:328
	buffer_store_dword v1, off, s[0:3], 0 offset:332
	s_waitcnt vmcnt(0)
	ds_write_b64 v109, v[2:3]
.LBB113_231:
	s_or_b32 exec_lo, exec_lo, s4
	s_waitcnt lgkmcnt(0)
	s_waitcnt_vscnt null, 0x0
	s_barrier
	buffer_gl0_inv
	s_clause 0x11
	buffer_load_dword v6, off, s[0:3], 0 offset:340
	buffer_load_dword v7, off, s[0:3], 0 offset:348
	;; [unrolled: 1-line block ×18, first 2 shown]
	ds_read_b128 v[2:5], v1 offset:736
	ds_read_b128 v[110:113], v1 offset:752
	;; [unrolled: 1-line block ×4, first 2 shown]
	s_mov_b32 s4, exec_lo
	s_waitcnt vmcnt(17) lgkmcnt(3)
	v_mul_f32_e32 v1, v2, v6
	v_mul_f32_e32 v6, v3, v6
	s_waitcnt vmcnt(16)
	v_mul_f32_e32 v137, v4, v7
	v_mul_f32_e32 v7, v5, v7
	s_waitcnt vmcnt(15) lgkmcnt(2)
	v_mul_f32_e32 v138, v110, v8
	s_waitcnt vmcnt(14)
	v_mul_f32_e32 v139, v112, v122
	s_waitcnt vmcnt(13) lgkmcnt(1)
	v_mul_f32_e32 v140, v114, v123
	s_waitcnt vmcnt(12)
	v_mul_f32_e32 v141, v116, v124
	s_waitcnt vmcnt(9)
	v_fma_f32 v2, v2, v127, -v6
	v_fmac_f32_e32 v1, v3, v127
	v_mul_f32_e32 v3, v111, v8
	s_waitcnt vmcnt(8)
	v_fma_f32 v4, v4, v128, -v7
	v_fmac_f32_e32 v137, v5, v128
	v_add_f32_e32 v2, 0, v2
	v_add_f32_e32 v1, 0, v1
	v_mul_f32_e32 v5, v113, v122
	s_waitcnt vmcnt(7)
	v_fma_f32 v3, v110, v129, -v3
	v_fmac_f32_e32 v138, v111, v129
	v_add_f32_e32 v2, v2, v4
	v_add_f32_e32 v1, v1, v137
	;; [unrolled: 6-line block ×4, first 2 shown]
	s_waitcnt lgkmcnt(0)
	v_mul_f32_e32 v5, v119, v125
	s_waitcnt vmcnt(4)
	v_fma_f32 v3, v116, v132, -v3
	v_mul_f32_e32 v142, v118, v125
	v_add_f32_e32 v2, v2, v4
	v_fmac_f32_e32 v141, v117, v132
	v_add_f32_e32 v1, v1, v140
	v_mul_f32_e32 v4, v121, v126
	s_waitcnt vmcnt(3)
	v_fma_f32 v5, v118, v133, -v5
	v_add_f32_e32 v2, v2, v3
	v_mul_f32_e32 v143, v120, v126
	v_fmac_f32_e32 v142, v119, v133
	v_add_f32_e32 v1, v1, v141
	s_waitcnt vmcnt(2)
	v_fma_f32 v3, v120, v134, -v4
	v_add_f32_e32 v2, v2, v5
	v_fmac_f32_e32 v143, v121, v134
	v_add_f32_e32 v1, v1, v142
	v_add_f32_e32 v2, v2, v3
	;; [unrolled: 1-line block ×3, first 2 shown]
	s_waitcnt vmcnt(1)
	v_sub_f32_e32 v2, v135, v2
	s_waitcnt vmcnt(0)
	v_sub_f32_e32 v1, v136, v1
	buffer_store_dword v2, off, s[0:3], 0 offset:328
	buffer_store_dword v1, off, s[0:3], 0 offset:332
	v_cmpx_lt_u32_e32 40, v0
	s_cbranch_execz .LBB113_233
; %bb.232:
	s_clause 0x1
	buffer_load_dword v1, off, s[0:3], 0 offset:320
	buffer_load_dword v2, off, s[0:3], 0 offset:324
	v_mov_b32_e32 v3, 0
	buffer_store_dword v3, off, s[0:3], 0 offset:320
	buffer_store_dword v3, off, s[0:3], 0 offset:324
	s_waitcnt vmcnt(0)
	ds_write_b64 v109, v[1:2]
.LBB113_233:
	s_or_b32 exec_lo, exec_lo, s4
	s_waitcnt lgkmcnt(0)
	s_waitcnt_vscnt null, 0x0
	s_barrier
	buffer_gl0_inv
	s_clause 0x13
	buffer_load_dword v8, off, s[0:3], 0 offset:332
	buffer_load_dword v122, off, s[0:3], 0 offset:340
	;; [unrolled: 1-line block ×20, first 2 shown]
	v_mov_b32_e32 v1, 0
	ds_read2_b64 v[2:5], v1 offset0:91 offset1:92
	ds_read2_b64 v[110:113], v1 offset0:93 offset1:94
	;; [unrolled: 1-line block ×4, first 2 shown]
	ds_read_b64 v[6:7], v1 offset:792
	s_mov_b32 s4, exec_lo
	s_waitcnt vmcnt(19) lgkmcnt(4)
	v_mul_f32_e32 v141, v2, v8
	v_mul_f32_e32 v8, v3, v8
	s_waitcnt vmcnt(18)
	v_mul_f32_e32 v142, v4, v122
	v_mul_f32_e32 v122, v5, v122
	s_waitcnt vmcnt(17) lgkmcnt(3)
	v_mul_f32_e32 v143, v110, v123
	s_waitcnt vmcnt(16)
	v_mul_f32_e32 v144, v112, v124
	s_waitcnt vmcnt(15) lgkmcnt(2)
	v_mul_f32_e32 v145, v114, v125
	s_waitcnt vmcnt(14)
	;; [unrolled: 4-line block ×3, first 2 shown]
	v_fma_f32 v2, v2, v130, -v8
	v_fmac_f32_e32 v141, v3, v130
	v_mul_f32_e32 v3, v111, v123
	s_waitcnt vmcnt(9)
	v_fma_f32 v4, v4, v131, -v122
	v_fmac_f32_e32 v142, v5, v131
	v_add_f32_e32 v2, 0, v2
	v_add_f32_e32 v5, 0, v141
	v_mul_f32_e32 v8, v113, v124
	s_waitcnt vmcnt(8)
	v_fma_f32 v3, v110, v132, -v3
	v_fmac_f32_e32 v143, v111, v132
	v_add_f32_e32 v2, v2, v4
	v_add_f32_e32 v4, v5, v142
	;; [unrolled: 6-line block ×5, first 2 shown]
	v_mul_f32_e32 v5, v121, v128
	s_waitcnt vmcnt(4)
	v_fma_f32 v8, v118, v136, -v8
	v_mul_f32_e32 v148, v120, v128
	v_add_f32_e32 v2, v2, v4
	v_fmac_f32_e32 v147, v119, v136
	v_add_f32_e32 v3, v3, v146
	s_waitcnt lgkmcnt(0)
	v_mul_f32_e32 v4, v7, v129
	s_waitcnt vmcnt(3)
	v_fma_f32 v5, v120, v137, -v5
	v_add_f32_e32 v2, v2, v8
	v_mul_f32_e32 v149, v6, v129
	v_fmac_f32_e32 v148, v121, v137
	v_add_f32_e32 v3, v3, v147
	s_waitcnt vmcnt(2)
	v_fma_f32 v4, v6, v138, -v4
	v_add_f32_e32 v2, v2, v5
	v_fmac_f32_e32 v149, v7, v138
	v_add_f32_e32 v3, v3, v148
	v_add_f32_e32 v2, v2, v4
	;; [unrolled: 1-line block ×3, first 2 shown]
	s_waitcnt vmcnt(1)
	v_sub_f32_e32 v2, v139, v2
	s_waitcnt vmcnt(0)
	v_sub_f32_e32 v3, v140, v3
	buffer_store_dword v2, off, s[0:3], 0 offset:320
	buffer_store_dword v3, off, s[0:3], 0 offset:324
	v_cmpx_lt_u32_e32 39, v0
	s_cbranch_execz .LBB113_235
; %bb.234:
	s_clause 0x1
	buffer_load_dword v2, off, s[0:3], 0 offset:312
	buffer_load_dword v3, off, s[0:3], 0 offset:316
	buffer_store_dword v1, off, s[0:3], 0 offset:312
	buffer_store_dword v1, off, s[0:3], 0 offset:316
	s_waitcnt vmcnt(0)
	ds_write_b64 v109, v[2:3]
.LBB113_235:
	s_or_b32 exec_lo, exec_lo, s4
	s_waitcnt lgkmcnt(0)
	s_waitcnt_vscnt null, 0x0
	s_barrier
	buffer_gl0_inv
	s_clause 0x15
	buffer_load_dword v6, off, s[0:3], 0 offset:324
	buffer_load_dword v7, off, s[0:3], 0 offset:332
	;; [unrolled: 1-line block ×22, first 2 shown]
	ds_read_b128 v[2:5], v1 offset:720
	ds_read_b128 v[110:113], v1 offset:736
	;; [unrolled: 1-line block ×5, first 2 shown]
	s_mov_b32 s4, exec_lo
	s_waitcnt vmcnt(21) lgkmcnt(4)
	v_mul_f32_e32 v1, v2, v6
	v_mul_f32_e32 v6, v3, v6
	s_waitcnt vmcnt(20)
	v_mul_f32_e32 v145, v4, v7
	v_mul_f32_e32 v7, v5, v7
	s_waitcnt vmcnt(19) lgkmcnt(3)
	v_mul_f32_e32 v146, v110, v8
	s_waitcnt vmcnt(18)
	v_mul_f32_e32 v147, v112, v126
	s_waitcnt vmcnt(17) lgkmcnt(2)
	v_mul_f32_e32 v148, v114, v127
	s_waitcnt vmcnt(16)
	;; [unrolled: 4-line block ×3, first 2 shown]
	v_mul_f32_e32 v151, v120, v130
	s_waitcnt vmcnt(11)
	v_fma_f32 v2, v2, v133, -v6
	v_fmac_f32_e32 v1, v3, v133
	v_mul_f32_e32 v3, v111, v8
	s_waitcnt vmcnt(10)
	v_fma_f32 v4, v4, v134, -v7
	v_fmac_f32_e32 v145, v5, v134
	v_add_f32_e32 v2, 0, v2
	v_add_f32_e32 v1, 0, v1
	v_mul_f32_e32 v5, v113, v126
	s_waitcnt vmcnt(9)
	v_fma_f32 v3, v110, v135, -v3
	v_fmac_f32_e32 v146, v111, v135
	v_add_f32_e32 v2, v2, v4
	v_add_f32_e32 v1, v1, v145
	;; [unrolled: 6-line block ×6, first 2 shown]
	s_waitcnt lgkmcnt(0)
	v_mul_f32_e32 v3, v123, v131
	s_waitcnt vmcnt(4)
	v_fma_f32 v4, v120, v140, -v4
	v_mul_f32_e32 v152, v122, v131
	v_add_f32_e32 v2, v2, v5
	v_fmac_f32_e32 v151, v121, v140
	v_add_f32_e32 v1, v1, v150
	v_mul_f32_e32 v5, v125, v132
	s_waitcnt vmcnt(3)
	v_fma_f32 v3, v122, v141, -v3
	v_add_f32_e32 v2, v2, v4
	v_mul_f32_e32 v153, v124, v132
	v_fmac_f32_e32 v152, v123, v141
	v_add_f32_e32 v1, v1, v151
	s_waitcnt vmcnt(2)
	v_fma_f32 v4, v124, v142, -v5
	v_add_f32_e32 v2, v2, v3
	v_fmac_f32_e32 v153, v125, v142
	v_add_f32_e32 v1, v1, v152
	v_add_f32_e32 v2, v2, v4
	;; [unrolled: 1-line block ×3, first 2 shown]
	s_waitcnt vmcnt(1)
	v_sub_f32_e32 v2, v143, v2
	s_waitcnt vmcnt(0)
	v_sub_f32_e32 v1, v144, v1
	buffer_store_dword v2, off, s[0:3], 0 offset:312
	buffer_store_dword v1, off, s[0:3], 0 offset:316
	v_cmpx_lt_u32_e32 38, v0
	s_cbranch_execz .LBB113_237
; %bb.236:
	s_clause 0x1
	buffer_load_dword v1, off, s[0:3], 0 offset:304
	buffer_load_dword v2, off, s[0:3], 0 offset:308
	v_mov_b32_e32 v3, 0
	buffer_store_dword v3, off, s[0:3], 0 offset:304
	buffer_store_dword v3, off, s[0:3], 0 offset:308
	s_waitcnt vmcnt(0)
	ds_write_b64 v109, v[1:2]
.LBB113_237:
	s_or_b32 exec_lo, exec_lo, s4
	s_waitcnt lgkmcnt(0)
	s_waitcnt_vscnt null, 0x0
	s_barrier
	buffer_gl0_inv
	s_clause 0x17
	buffer_load_dword v8, off, s[0:3], 0 offset:316
	buffer_load_dword v126, off, s[0:3], 0 offset:324
	;; [unrolled: 1-line block ×24, first 2 shown]
	v_mov_b32_e32 v1, 0
	ds_read2_b64 v[2:5], v1 offset0:89 offset1:90
	ds_read2_b64 v[110:113], v1 offset0:91 offset1:92
	;; [unrolled: 1-line block ×5, first 2 shown]
	ds_read_b64 v[6:7], v1 offset:792
	s_mov_b32 s4, exec_lo
	s_waitcnt vmcnt(23) lgkmcnt(5)
	v_mul_f32_e32 v149, v2, v8
	v_mul_f32_e32 v8, v3, v8
	s_waitcnt vmcnt(22)
	v_mul_f32_e32 v150, v4, v126
	v_mul_f32_e32 v126, v5, v126
	s_waitcnt vmcnt(21) lgkmcnt(4)
	v_mul_f32_e32 v151, v110, v127
	s_waitcnt vmcnt(20)
	v_mul_f32_e32 v152, v112, v128
	s_waitcnt vmcnt(19) lgkmcnt(3)
	v_mul_f32_e32 v153, v114, v129
	s_waitcnt vmcnt(18)
	;; [unrolled: 4-line block ×4, first 2 shown]
	v_fma_f32 v2, v2, v136, -v8
	v_fmac_f32_e32 v149, v3, v136
	v_mul_f32_e32 v3, v111, v127
	s_waitcnt vmcnt(11)
	v_fma_f32 v4, v4, v137, -v126
	v_fmac_f32_e32 v150, v5, v137
	v_add_f32_e32 v2, 0, v2
	v_add_f32_e32 v5, 0, v149
	v_mul_f32_e32 v8, v113, v128
	s_waitcnt vmcnt(10)
	v_fma_f32 v3, v110, v138, -v3
	v_fmac_f32_e32 v151, v111, v138
	v_add_f32_e32 v2, v2, v4
	v_add_f32_e32 v4, v5, v150
	;; [unrolled: 6-line block ×7, first 2 shown]
	v_mul_f32_e32 v8, v125, v134
	s_waitcnt vmcnt(4)
	v_fma_f32 v4, v122, v144, -v4
	v_mul_f32_e32 v158, v124, v134
	v_add_f32_e32 v2, v2, v5
	v_fmac_f32_e32 v157, v123, v144
	v_add_f32_e32 v3, v3, v156
	s_waitcnt lgkmcnt(0)
	v_mul_f32_e32 v5, v7, v135
	s_waitcnt vmcnt(3)
	v_fma_f32 v8, v124, v145, -v8
	v_add_f32_e32 v2, v2, v4
	v_mul_f32_e32 v159, v6, v135
	v_fmac_f32_e32 v158, v125, v145
	v_add_f32_e32 v3, v3, v157
	s_waitcnt vmcnt(2)
	v_fma_f32 v4, v6, v146, -v5
	v_add_f32_e32 v2, v2, v8
	v_fmac_f32_e32 v159, v7, v146
	v_add_f32_e32 v3, v3, v158
	v_add_f32_e32 v2, v2, v4
	;; [unrolled: 1-line block ×3, first 2 shown]
	s_waitcnt vmcnt(1)
	v_sub_f32_e32 v2, v147, v2
	s_waitcnt vmcnt(0)
	v_sub_f32_e32 v3, v148, v3
	buffer_store_dword v2, off, s[0:3], 0 offset:304
	buffer_store_dword v3, off, s[0:3], 0 offset:308
	v_cmpx_lt_u32_e32 37, v0
	s_cbranch_execz .LBB113_239
; %bb.238:
	s_clause 0x1
	buffer_load_dword v2, off, s[0:3], 0 offset:296
	buffer_load_dword v3, off, s[0:3], 0 offset:300
	buffer_store_dword v1, off, s[0:3], 0 offset:296
	buffer_store_dword v1, off, s[0:3], 0 offset:300
	s_waitcnt vmcnt(0)
	ds_write_b64 v109, v[2:3]
.LBB113_239:
	s_or_b32 exec_lo, exec_lo, s4
	s_waitcnt lgkmcnt(0)
	s_waitcnt_vscnt null, 0x0
	s_barrier
	buffer_gl0_inv
	s_clause 0x19
	buffer_load_dword v6, off, s[0:3], 0 offset:308
	buffer_load_dword v7, off, s[0:3], 0 offset:316
	;; [unrolled: 1-line block ×26, first 2 shown]
	ds_read_b128 v[2:5], v1 offset:704
	ds_read_b128 v[110:113], v1 offset:720
	;; [unrolled: 1-line block ×6, first 2 shown]
	s_mov_b32 s4, exec_lo
	s_waitcnt vmcnt(25) lgkmcnt(5)
	v_mul_f32_e32 v1, v2, v6
	v_mul_f32_e32 v6, v3, v6
	s_waitcnt vmcnt(24)
	v_mul_f32_e32 v153, v4, v7
	v_mul_f32_e32 v7, v5, v7
	s_waitcnt vmcnt(23) lgkmcnt(4)
	v_mul_f32_e32 v154, v110, v8
	s_waitcnt vmcnt(22)
	v_mul_f32_e32 v155, v112, v130
	s_waitcnt vmcnt(21) lgkmcnt(3)
	v_mul_f32_e32 v156, v114, v131
	s_waitcnt vmcnt(20)
	;; [unrolled: 4-line block ×4, first 2 shown]
	v_mul_f32_e32 v161, v124, v136
	s_waitcnt vmcnt(13)
	v_fma_f32 v2, v2, v139, -v6
	v_fmac_f32_e32 v1, v3, v139
	v_mul_f32_e32 v3, v111, v8
	s_waitcnt vmcnt(12)
	v_fma_f32 v4, v4, v140, -v7
	v_fmac_f32_e32 v153, v5, v140
	v_add_f32_e32 v2, 0, v2
	v_add_f32_e32 v1, 0, v1
	v_mul_f32_e32 v5, v113, v130
	s_waitcnt vmcnt(11)
	v_fma_f32 v3, v110, v141, -v3
	v_fmac_f32_e32 v154, v111, v141
	v_add_f32_e32 v2, v2, v4
	v_add_f32_e32 v1, v1, v153
	;; [unrolled: 6-line block ×8, first 2 shown]
	s_waitcnt lgkmcnt(0)
	v_mul_f32_e32 v4, v127, v137
	s_waitcnt vmcnt(4)
	v_fma_f32 v5, v124, v148, -v5
	v_mul_f32_e32 v162, v126, v137
	v_add_f32_e32 v2, v2, v3
	v_fmac_f32_e32 v161, v125, v148
	v_add_f32_e32 v1, v1, v160
	v_mul_f32_e32 v3, v129, v138
	s_waitcnt vmcnt(3)
	v_fma_f32 v4, v126, v149, -v4
	v_add_f32_e32 v2, v2, v5
	v_mul_f32_e32 v163, v128, v138
	v_fmac_f32_e32 v162, v127, v149
	v_add_f32_e32 v1, v1, v161
	s_waitcnt vmcnt(2)
	v_fma_f32 v3, v128, v150, -v3
	v_add_f32_e32 v2, v2, v4
	v_fmac_f32_e32 v163, v129, v150
	v_add_f32_e32 v1, v1, v162
	v_add_f32_e32 v2, v2, v3
	;; [unrolled: 1-line block ×3, first 2 shown]
	s_waitcnt vmcnt(1)
	v_sub_f32_e32 v2, v151, v2
	s_waitcnt vmcnt(0)
	v_sub_f32_e32 v1, v152, v1
	buffer_store_dword v2, off, s[0:3], 0 offset:296
	buffer_store_dword v1, off, s[0:3], 0 offset:300
	v_cmpx_lt_u32_e32 36, v0
	s_cbranch_execz .LBB113_241
; %bb.240:
	s_clause 0x1
	buffer_load_dword v1, off, s[0:3], 0 offset:288
	buffer_load_dword v2, off, s[0:3], 0 offset:292
	v_mov_b32_e32 v3, 0
	buffer_store_dword v3, off, s[0:3], 0 offset:288
	buffer_store_dword v3, off, s[0:3], 0 offset:292
	s_waitcnt vmcnt(0)
	ds_write_b64 v109, v[1:2]
.LBB113_241:
	s_or_b32 exec_lo, exec_lo, s4
	s_waitcnt lgkmcnt(0)
	s_waitcnt_vscnt null, 0x0
	s_barrier
	buffer_gl0_inv
	s_clause 0x1b
	buffer_load_dword v8, off, s[0:3], 0 offset:300
	buffer_load_dword v130, off, s[0:3], 0 offset:308
	;; [unrolled: 1-line block ×28, first 2 shown]
	v_mov_b32_e32 v1, 0
	ds_read2_b64 v[2:5], v1 offset0:87 offset1:88
	ds_read2_b64 v[110:113], v1 offset0:89 offset1:90
	;; [unrolled: 1-line block ×6, first 2 shown]
	ds_read_b64 v[6:7], v1 offset:792
	s_mov_b32 s4, exec_lo
	s_waitcnt vmcnt(27) lgkmcnt(6)
	v_mul_f32_e32 v157, v2, v8
	v_mul_f32_e32 v8, v3, v8
	s_waitcnt vmcnt(26)
	v_mul_f32_e32 v158, v4, v130
	v_mul_f32_e32 v130, v5, v130
	s_waitcnt vmcnt(25) lgkmcnt(5)
	v_mul_f32_e32 v159, v110, v131
	s_waitcnt vmcnt(24)
	v_mul_f32_e32 v160, v112, v132
	s_waitcnt vmcnt(23) lgkmcnt(4)
	v_mul_f32_e32 v161, v114, v133
	s_waitcnt vmcnt(22)
	;; [unrolled: 4-line block ×5, first 2 shown]
	v_fma_f32 v2, v2, v142, -v8
	v_fmac_f32_e32 v157, v3, v142
	v_mul_f32_e32 v3, v111, v131
	s_waitcnt vmcnt(13)
	v_fma_f32 v4, v4, v143, -v130
	v_fmac_f32_e32 v158, v5, v143
	v_add_f32_e32 v2, 0, v2
	v_add_f32_e32 v5, 0, v157
	v_mul_f32_e32 v8, v113, v132
	s_waitcnt vmcnt(12)
	v_fma_f32 v3, v110, v144, -v3
	v_fmac_f32_e32 v159, v111, v144
	v_add_f32_e32 v2, v2, v4
	v_add_f32_e32 v4, v5, v158
	;; [unrolled: 6-line block ×9, first 2 shown]
	v_mul_f32_e32 v4, v129, v140
	s_waitcnt vmcnt(4)
	v_fma_f32 v5, v126, v152, -v5
	v_mul_f32_e32 v168, v128, v140
	v_add_f32_e32 v2, v2, v8
	v_fmac_f32_e32 v167, v127, v152
	v_add_f32_e32 v3, v3, v166
	s_waitcnt lgkmcnt(0)
	v_mul_f32_e32 v8, v7, v141
	s_waitcnt vmcnt(3)
	v_fma_f32 v4, v128, v153, -v4
	v_add_f32_e32 v2, v2, v5
	v_mul_f32_e32 v169, v6, v141
	v_fmac_f32_e32 v168, v129, v153
	v_add_f32_e32 v3, v3, v167
	s_waitcnt vmcnt(2)
	v_fma_f32 v5, v6, v154, -v8
	v_add_f32_e32 v2, v2, v4
	v_fmac_f32_e32 v169, v7, v154
	v_add_f32_e32 v3, v3, v168
	v_add_f32_e32 v2, v2, v5
	;; [unrolled: 1-line block ×3, first 2 shown]
	s_waitcnt vmcnt(1)
	v_sub_f32_e32 v2, v155, v2
	s_waitcnt vmcnt(0)
	v_sub_f32_e32 v3, v156, v3
	buffer_store_dword v2, off, s[0:3], 0 offset:288
	buffer_store_dword v3, off, s[0:3], 0 offset:292
	v_cmpx_lt_u32_e32 35, v0
	s_cbranch_execz .LBB113_243
; %bb.242:
	s_clause 0x1
	buffer_load_dword v2, off, s[0:3], 0 offset:280
	buffer_load_dword v3, off, s[0:3], 0 offset:284
	buffer_store_dword v1, off, s[0:3], 0 offset:280
	buffer_store_dword v1, off, s[0:3], 0 offset:284
	s_waitcnt vmcnt(0)
	ds_write_b64 v109, v[2:3]
.LBB113_243:
	s_or_b32 exec_lo, exec_lo, s4
	s_waitcnt lgkmcnt(0)
	s_waitcnt_vscnt null, 0x0
	s_barrier
	buffer_gl0_inv
	s_clause 0x1d
	buffer_load_dword v6, off, s[0:3], 0 offset:292
	buffer_load_dword v7, off, s[0:3], 0 offset:300
	;; [unrolled: 1-line block ×30, first 2 shown]
	ds_read_b128 v[2:5], v1 offset:688
	ds_read_b128 v[110:113], v1 offset:704
	;; [unrolled: 1-line block ×7, first 2 shown]
	s_mov_b32 s4, exec_lo
	s_waitcnt vmcnt(29) lgkmcnt(6)
	v_mul_f32_e32 v1, v2, v6
	v_mul_f32_e32 v6, v3, v6
	s_waitcnt vmcnt(28)
	v_mul_f32_e32 v161, v4, v7
	v_mul_f32_e32 v7, v5, v7
	s_waitcnt vmcnt(27) lgkmcnt(5)
	v_mul_f32_e32 v162, v110, v8
	s_waitcnt vmcnt(26)
	v_mul_f32_e32 v163, v112, v134
	s_waitcnt vmcnt(25) lgkmcnt(4)
	v_mul_f32_e32 v164, v114, v135
	s_waitcnt vmcnt(24)
	;; [unrolled: 4-line block ×5, first 2 shown]
	v_mul_f32_e32 v171, v128, v142
	s_waitcnt vmcnt(15)
	v_fma_f32 v2, v2, v145, -v6
	v_fmac_f32_e32 v1, v3, v145
	v_mul_f32_e32 v3, v111, v8
	s_waitcnt vmcnt(14)
	v_fma_f32 v4, v4, v146, -v7
	v_fmac_f32_e32 v161, v5, v146
	v_add_f32_e32 v2, 0, v2
	v_add_f32_e32 v1, 0, v1
	v_mul_f32_e32 v5, v113, v134
	s_waitcnt vmcnt(13)
	v_fma_f32 v3, v110, v147, -v3
	v_fmac_f32_e32 v162, v111, v147
	v_add_f32_e32 v2, v2, v4
	v_add_f32_e32 v1, v1, v161
	;; [unrolled: 6-line block ×10, first 2 shown]
	s_waitcnt lgkmcnt(0)
	v_mul_f32_e32 v5, v131, v143
	s_waitcnt vmcnt(4)
	v_fma_f32 v3, v128, v156, -v3
	v_mul_f32_e32 v172, v130, v143
	v_add_f32_e32 v2, v2, v4
	v_fmac_f32_e32 v171, v129, v156
	v_add_f32_e32 v1, v1, v170
	v_mul_f32_e32 v4, v133, v144
	s_waitcnt vmcnt(3)
	v_fma_f32 v5, v130, v157, -v5
	v_add_f32_e32 v2, v2, v3
	v_mul_f32_e32 v173, v132, v144
	v_fmac_f32_e32 v172, v131, v157
	v_add_f32_e32 v1, v1, v171
	s_waitcnt vmcnt(2)
	v_fma_f32 v3, v132, v158, -v4
	v_add_f32_e32 v2, v2, v5
	v_fmac_f32_e32 v173, v133, v158
	v_add_f32_e32 v1, v1, v172
	v_add_f32_e32 v2, v2, v3
	;; [unrolled: 1-line block ×3, first 2 shown]
	s_waitcnt vmcnt(1)
	v_sub_f32_e32 v2, v159, v2
	s_waitcnt vmcnt(0)
	v_sub_f32_e32 v1, v160, v1
	buffer_store_dword v2, off, s[0:3], 0 offset:280
	buffer_store_dword v1, off, s[0:3], 0 offset:284
	v_cmpx_lt_u32_e32 34, v0
	s_cbranch_execz .LBB113_245
; %bb.244:
	s_clause 0x1
	buffer_load_dword v1, off, s[0:3], 0 offset:272
	buffer_load_dword v2, off, s[0:3], 0 offset:276
	v_mov_b32_e32 v3, 0
	buffer_store_dword v3, off, s[0:3], 0 offset:272
	buffer_store_dword v3, off, s[0:3], 0 offset:276
	s_waitcnt vmcnt(0)
	ds_write_b64 v109, v[1:2]
.LBB113_245:
	s_or_b32 exec_lo, exec_lo, s4
	s_waitcnt lgkmcnt(0)
	s_waitcnt_vscnt null, 0x0
	s_barrier
	buffer_gl0_inv
	s_clause 0x1f
	buffer_load_dword v8, off, s[0:3], 0 offset:284
	buffer_load_dword v134, off, s[0:3], 0 offset:292
	;; [unrolled: 1-line block ×32, first 2 shown]
	v_mov_b32_e32 v1, 0
	ds_read2_b64 v[2:5], v1 offset0:85 offset1:86
	ds_read2_b64 v[110:113], v1 offset0:87 offset1:88
	;; [unrolled: 1-line block ×7, first 2 shown]
	ds_read_b64 v[6:7], v1 offset:792
	s_mov_b32 s4, exec_lo
	s_waitcnt vmcnt(31) lgkmcnt(7)
	v_mul_f32_e32 v165, v2, v8
	v_mul_f32_e32 v8, v3, v8
	s_waitcnt vmcnt(30)
	v_mul_f32_e32 v166, v4, v134
	v_mul_f32_e32 v134, v5, v134
	s_waitcnt vmcnt(29) lgkmcnt(6)
	v_mul_f32_e32 v167, v110, v135
	s_waitcnt vmcnt(28)
	v_mul_f32_e32 v168, v112, v136
	s_waitcnt vmcnt(27) lgkmcnt(5)
	v_mul_f32_e32 v169, v114, v137
	s_waitcnt vmcnt(26)
	;; [unrolled: 4-line block ×6, first 2 shown]
	v_fma_f32 v2, v2, v148, -v8
	v_fmac_f32_e32 v165, v3, v148
	v_mul_f32_e32 v3, v111, v135
	s_waitcnt vmcnt(15)
	v_fma_f32 v4, v4, v149, -v134
	v_fmac_f32_e32 v166, v5, v149
	v_add_f32_e32 v2, 0, v2
	v_add_f32_e32 v5, 0, v165
	v_mul_f32_e32 v8, v113, v136
	s_waitcnt vmcnt(14)
	v_fma_f32 v3, v110, v150, -v3
	v_fmac_f32_e32 v167, v111, v150
	v_add_f32_e32 v2, v2, v4
	v_add_f32_e32 v4, v5, v166
	;; [unrolled: 6-line block ×11, first 2 shown]
	v_mul_f32_e32 v5, v133, v146
	s_waitcnt vmcnt(4)
	v_fma_f32 v8, v130, v160, -v8
	v_mul_f32_e32 v178, v132, v146
	v_add_f32_e32 v2, v2, v4
	v_fmac_f32_e32 v177, v131, v160
	v_add_f32_e32 v3, v3, v176
	s_waitcnt lgkmcnt(0)
	v_mul_f32_e32 v4, v7, v147
	s_waitcnt vmcnt(3)
	v_fma_f32 v5, v132, v161, -v5
	v_add_f32_e32 v2, v2, v8
	v_mul_f32_e32 v179, v6, v147
	v_fmac_f32_e32 v178, v133, v161
	v_add_f32_e32 v3, v3, v177
	s_waitcnt vmcnt(2)
	v_fma_f32 v4, v6, v162, -v4
	v_add_f32_e32 v2, v2, v5
	v_fmac_f32_e32 v179, v7, v162
	v_add_f32_e32 v3, v3, v178
	v_add_f32_e32 v2, v2, v4
	v_add_f32_e32 v3, v3, v179
	s_waitcnt vmcnt(1)
	v_sub_f32_e32 v2, v163, v2
	s_waitcnt vmcnt(0)
	v_sub_f32_e32 v3, v164, v3
	buffer_store_dword v2, off, s[0:3], 0 offset:272
	buffer_store_dword v3, off, s[0:3], 0 offset:276
	v_cmpx_lt_u32_e32 33, v0
	s_cbranch_execz .LBB113_247
; %bb.246:
	s_clause 0x1
	buffer_load_dword v2, off, s[0:3], 0 offset:264
	buffer_load_dword v3, off, s[0:3], 0 offset:268
	buffer_store_dword v1, off, s[0:3], 0 offset:264
	buffer_store_dword v1, off, s[0:3], 0 offset:268
	s_waitcnt vmcnt(0)
	ds_write_b64 v109, v[2:3]
.LBB113_247:
	s_or_b32 exec_lo, exec_lo, s4
	s_waitcnt lgkmcnt(0)
	s_waitcnt_vscnt null, 0x0
	s_barrier
	buffer_gl0_inv
	s_clause 0x21
	buffer_load_dword v6, off, s[0:3], 0 offset:276
	buffer_load_dword v7, off, s[0:3], 0 offset:284
	;; [unrolled: 1-line block ×34, first 2 shown]
	ds_read_b128 v[2:5], v1 offset:672
	ds_read_b128 v[110:113], v1 offset:688
	;; [unrolled: 1-line block ×8, first 2 shown]
	s_mov_b32 s4, exec_lo
	s_waitcnt vmcnt(33) lgkmcnt(7)
	v_mul_f32_e32 v1, v2, v6
	v_mul_f32_e32 v6, v3, v6
	s_waitcnt vmcnt(32)
	v_mul_f32_e32 v169, v4, v7
	v_mul_f32_e32 v7, v5, v7
	s_waitcnt vmcnt(31) lgkmcnt(6)
	v_mul_f32_e32 v170, v110, v8
	s_waitcnt vmcnt(30)
	v_mul_f32_e32 v171, v112, v138
	s_waitcnt vmcnt(29) lgkmcnt(5)
	v_mul_f32_e32 v172, v114, v139
	s_waitcnt vmcnt(28)
	;; [unrolled: 4-line block ×6, first 2 shown]
	v_mul_f32_e32 v181, v132, v148
	s_waitcnt vmcnt(17)
	v_fma_f32 v2, v2, v151, -v6
	v_fmac_f32_e32 v1, v3, v151
	v_mul_f32_e32 v3, v111, v8
	s_waitcnt vmcnt(16)
	v_fma_f32 v4, v4, v152, -v7
	v_fmac_f32_e32 v169, v5, v152
	v_add_f32_e32 v2, 0, v2
	v_add_f32_e32 v1, 0, v1
	v_mul_f32_e32 v5, v113, v138
	s_waitcnt vmcnt(15)
	v_fma_f32 v3, v110, v153, -v3
	v_fmac_f32_e32 v170, v111, v153
	v_add_f32_e32 v2, v2, v4
	v_add_f32_e32 v1, v1, v169
	;; [unrolled: 6-line block ×12, first 2 shown]
	s_waitcnt lgkmcnt(0)
	v_mul_f32_e32 v3, v135, v149
	s_waitcnt vmcnt(4)
	v_fma_f32 v4, v132, v164, -v4
	v_mul_f32_e32 v182, v134, v149
	v_add_f32_e32 v2, v2, v5
	v_fmac_f32_e32 v181, v133, v164
	v_add_f32_e32 v1, v1, v180
	v_mul_f32_e32 v5, v137, v150
	s_waitcnt vmcnt(3)
	v_fma_f32 v3, v134, v165, -v3
	v_add_f32_e32 v2, v2, v4
	v_mul_f32_e32 v183, v136, v150
	v_fmac_f32_e32 v182, v135, v165
	v_add_f32_e32 v1, v1, v181
	s_waitcnt vmcnt(2)
	v_fma_f32 v4, v136, v166, -v5
	v_add_f32_e32 v2, v2, v3
	v_fmac_f32_e32 v183, v137, v166
	v_add_f32_e32 v1, v1, v182
	v_add_f32_e32 v2, v2, v4
	;; [unrolled: 1-line block ×3, first 2 shown]
	s_waitcnt vmcnt(1)
	v_sub_f32_e32 v2, v167, v2
	s_waitcnt vmcnt(0)
	v_sub_f32_e32 v1, v168, v1
	buffer_store_dword v2, off, s[0:3], 0 offset:264
	buffer_store_dword v1, off, s[0:3], 0 offset:268
	v_cmpx_lt_u32_e32 32, v0
	s_cbranch_execz .LBB113_249
; %bb.248:
	s_clause 0x1
	buffer_load_dword v1, off, s[0:3], 0 offset:256
	buffer_load_dword v2, off, s[0:3], 0 offset:260
	v_mov_b32_e32 v3, 0
	buffer_store_dword v3, off, s[0:3], 0 offset:256
	buffer_store_dword v3, off, s[0:3], 0 offset:260
	s_waitcnt vmcnt(0)
	ds_write_b64 v109, v[1:2]
.LBB113_249:
	s_or_b32 exec_lo, exec_lo, s4
	s_waitcnt lgkmcnt(0)
	s_waitcnt_vscnt null, 0x0
	s_barrier
	buffer_gl0_inv
	s_clause 0x23
	buffer_load_dword v8, off, s[0:3], 0 offset:268
	buffer_load_dword v138, off, s[0:3], 0 offset:276
	;; [unrolled: 1-line block ×36, first 2 shown]
	v_mov_b32_e32 v1, 0
	ds_read2_b64 v[2:5], v1 offset0:83 offset1:84
	ds_read2_b64 v[110:113], v1 offset0:85 offset1:86
	;; [unrolled: 1-line block ×8, first 2 shown]
	ds_read_b64 v[6:7], v1 offset:792
	s_mov_b32 s4, exec_lo
	s_waitcnt vmcnt(35) lgkmcnt(8)
	v_mul_f32_e32 v173, v2, v8
	v_mul_f32_e32 v8, v3, v8
	s_waitcnt vmcnt(34)
	v_mul_f32_e32 v174, v4, v138
	v_mul_f32_e32 v138, v5, v138
	s_waitcnt vmcnt(33) lgkmcnt(7)
	v_mul_f32_e32 v175, v110, v139
	s_waitcnt vmcnt(32)
	v_mul_f32_e32 v176, v112, v140
	s_waitcnt vmcnt(31) lgkmcnt(6)
	v_mul_f32_e32 v177, v114, v141
	s_waitcnt vmcnt(30)
	;; [unrolled: 4-line block ×7, first 2 shown]
	v_fma_f32 v2, v2, v154, -v8
	v_fmac_f32_e32 v173, v3, v154
	v_mul_f32_e32 v3, v111, v139
	s_waitcnt vmcnt(17)
	v_fma_f32 v4, v4, v155, -v138
	v_fmac_f32_e32 v174, v5, v155
	v_add_f32_e32 v2, 0, v2
	v_add_f32_e32 v5, 0, v173
	v_mul_f32_e32 v8, v113, v140
	s_waitcnt vmcnt(16)
	v_fma_f32 v3, v110, v156, -v3
	v_fmac_f32_e32 v175, v111, v156
	v_add_f32_e32 v2, v2, v4
	v_add_f32_e32 v4, v5, v174
	;; [unrolled: 6-line block ×13, first 2 shown]
	v_mul_f32_e32 v8, v137, v152
	s_waitcnt vmcnt(4)
	v_fma_f32 v4, v134, v168, -v4
	v_mul_f32_e32 v188, v136, v152
	v_add_f32_e32 v2, v2, v5
	v_fmac_f32_e32 v187, v135, v168
	v_add_f32_e32 v3, v3, v186
	s_waitcnt lgkmcnt(0)
	v_mul_f32_e32 v5, v7, v153
	s_waitcnt vmcnt(3)
	v_fma_f32 v8, v136, v169, -v8
	v_add_f32_e32 v2, v2, v4
	v_mul_f32_e32 v189, v6, v153
	v_fmac_f32_e32 v188, v137, v169
	v_add_f32_e32 v3, v3, v187
	s_waitcnt vmcnt(2)
	v_fma_f32 v4, v6, v170, -v5
	v_add_f32_e32 v2, v2, v8
	v_fmac_f32_e32 v189, v7, v170
	v_add_f32_e32 v3, v3, v188
	v_add_f32_e32 v2, v2, v4
	;; [unrolled: 1-line block ×3, first 2 shown]
	s_waitcnt vmcnt(1)
	v_sub_f32_e32 v2, v171, v2
	s_waitcnt vmcnt(0)
	v_sub_f32_e32 v3, v172, v3
	buffer_store_dword v2, off, s[0:3], 0 offset:256
	buffer_store_dword v3, off, s[0:3], 0 offset:260
	v_cmpx_lt_u32_e32 31, v0
	s_cbranch_execz .LBB113_251
; %bb.250:
	s_clause 0x1
	buffer_load_dword v2, off, s[0:3], 0 offset:248
	buffer_load_dword v3, off, s[0:3], 0 offset:252
	buffer_store_dword v1, off, s[0:3], 0 offset:248
	buffer_store_dword v1, off, s[0:3], 0 offset:252
	s_waitcnt vmcnt(0)
	ds_write_b64 v109, v[2:3]
.LBB113_251:
	s_or_b32 exec_lo, exec_lo, s4
	s_waitcnt lgkmcnt(0)
	s_waitcnt_vscnt null, 0x0
	s_barrier
	buffer_gl0_inv
	s_clause 0x25
	buffer_load_dword v6, off, s[0:3], 0 offset:260
	buffer_load_dword v7, off, s[0:3], 0 offset:268
	;; [unrolled: 1-line block ×38, first 2 shown]
	ds_read_b128 v[2:5], v1 offset:656
	ds_read_b128 v[110:113], v1 offset:672
	;; [unrolled: 1-line block ×9, first 2 shown]
	s_mov_b32 s4, exec_lo
	s_waitcnt vmcnt(37) lgkmcnt(8)
	v_mul_f32_e32 v1, v2, v6
	v_mul_f32_e32 v6, v3, v6
	s_waitcnt vmcnt(36)
	v_mul_f32_e32 v177, v4, v7
	v_mul_f32_e32 v7, v5, v7
	s_waitcnt vmcnt(35) lgkmcnt(7)
	v_mul_f32_e32 v178, v110, v8
	s_waitcnt vmcnt(34)
	v_mul_f32_e32 v179, v112, v142
	s_waitcnt vmcnt(33) lgkmcnt(6)
	v_mul_f32_e32 v180, v114, v143
	s_waitcnt vmcnt(32)
	;; [unrolled: 4-line block ×7, first 2 shown]
	v_mul_f32_e32 v191, v136, v154
	s_waitcnt vmcnt(19)
	v_fma_f32 v2, v2, v157, -v6
	v_fmac_f32_e32 v1, v3, v157
	v_mul_f32_e32 v3, v111, v8
	s_waitcnt vmcnt(18)
	v_fma_f32 v4, v4, v158, -v7
	v_fmac_f32_e32 v177, v5, v158
	v_add_f32_e32 v2, 0, v2
	v_add_f32_e32 v1, 0, v1
	v_mul_f32_e32 v5, v113, v142
	s_waitcnt vmcnt(17)
	v_fma_f32 v3, v110, v159, -v3
	v_fmac_f32_e32 v178, v111, v159
	v_add_f32_e32 v2, v2, v4
	v_add_f32_e32 v1, v1, v177
	;; [unrolled: 6-line block ×14, first 2 shown]
	s_waitcnt lgkmcnt(0)
	v_mul_f32_e32 v4, v139, v155
	s_waitcnt vmcnt(4)
	v_fma_f32 v5, v136, v172, -v5
	v_mul_f32_e32 v192, v138, v155
	v_add_f32_e32 v2, v2, v3
	v_fmac_f32_e32 v191, v137, v172
	v_add_f32_e32 v1, v1, v190
	v_mul_f32_e32 v3, v141, v156
	s_waitcnt vmcnt(3)
	v_fma_f32 v4, v138, v173, -v4
	v_add_f32_e32 v2, v2, v5
	v_mul_f32_e32 v193, v140, v156
	v_fmac_f32_e32 v192, v139, v173
	v_add_f32_e32 v1, v1, v191
	s_waitcnt vmcnt(2)
	v_fma_f32 v3, v140, v174, -v3
	v_add_f32_e32 v2, v2, v4
	v_fmac_f32_e32 v193, v141, v174
	v_add_f32_e32 v1, v1, v192
	v_add_f32_e32 v2, v2, v3
	;; [unrolled: 1-line block ×3, first 2 shown]
	s_waitcnt vmcnt(1)
	v_sub_f32_e32 v2, v175, v2
	s_waitcnt vmcnt(0)
	v_sub_f32_e32 v1, v176, v1
	buffer_store_dword v2, off, s[0:3], 0 offset:248
	buffer_store_dword v1, off, s[0:3], 0 offset:252
	v_cmpx_lt_u32_e32 30, v0
	s_cbranch_execz .LBB113_253
; %bb.252:
	s_clause 0x1
	buffer_load_dword v1, off, s[0:3], 0 offset:240
	buffer_load_dword v2, off, s[0:3], 0 offset:244
	v_mov_b32_e32 v3, 0
	buffer_store_dword v3, off, s[0:3], 0 offset:240
	buffer_store_dword v3, off, s[0:3], 0 offset:244
	s_waitcnt vmcnt(0)
	ds_write_b64 v109, v[1:2]
.LBB113_253:
	s_or_b32 exec_lo, exec_lo, s4
	s_waitcnt lgkmcnt(0)
	s_waitcnt_vscnt null, 0x0
	s_barrier
	buffer_gl0_inv
	s_clause 0x27
	buffer_load_dword v8, off, s[0:3], 0 offset:252
	buffer_load_dword v142, off, s[0:3], 0 offset:260
	buffer_load_dword v143, off, s[0:3], 0 offset:268
	buffer_load_dword v144, off, s[0:3], 0 offset:276
	buffer_load_dword v145, off, s[0:3], 0 offset:284
	buffer_load_dword v146, off, s[0:3], 0 offset:292
	buffer_load_dword v147, off, s[0:3], 0 offset:300
	buffer_load_dword v148, off, s[0:3], 0 offset:308
	buffer_load_dword v149, off, s[0:3], 0 offset:316
	buffer_load_dword v150, off, s[0:3], 0 offset:324
	buffer_load_dword v151, off, s[0:3], 0 offset:332
	buffer_load_dword v152, off, s[0:3], 0 offset:340
	buffer_load_dword v153, off, s[0:3], 0 offset:348
	buffer_load_dword v154, off, s[0:3], 0 offset:356
	buffer_load_dword v155, off, s[0:3], 0 offset:364
	buffer_load_dword v156, off, s[0:3], 0 offset:372
	buffer_load_dword v157, off, s[0:3], 0 offset:380
	buffer_load_dword v158, off, s[0:3], 0 offset:388
	buffer_load_dword v159, off, s[0:3], 0 offset:396
	buffer_load_dword v160, off, s[0:3], 0 offset:248
	buffer_load_dword v161, off, s[0:3], 0 offset:256
	buffer_load_dword v162, off, s[0:3], 0 offset:264
	buffer_load_dword v163, off, s[0:3], 0 offset:272
	buffer_load_dword v164, off, s[0:3], 0 offset:280
	buffer_load_dword v165, off, s[0:3], 0 offset:288
	buffer_load_dword v166, off, s[0:3], 0 offset:296
	buffer_load_dword v167, off, s[0:3], 0 offset:304
	buffer_load_dword v168, off, s[0:3], 0 offset:312
	buffer_load_dword v169, off, s[0:3], 0 offset:320
	buffer_load_dword v170, off, s[0:3], 0 offset:328
	buffer_load_dword v171, off, s[0:3], 0 offset:336
	buffer_load_dword v172, off, s[0:3], 0 offset:344
	buffer_load_dword v173, off, s[0:3], 0 offset:352
	buffer_load_dword v174, off, s[0:3], 0 offset:360
	buffer_load_dword v175, off, s[0:3], 0 offset:368
	buffer_load_dword v176, off, s[0:3], 0 offset:376
	buffer_load_dword v177, off, s[0:3], 0 offset:384
	buffer_load_dword v178, off, s[0:3], 0 offset:392
	buffer_load_dword v179, off, s[0:3], 0 offset:240
	buffer_load_dword v180, off, s[0:3], 0 offset:244
	v_mov_b32_e32 v1, 0
	ds_read2_b64 v[2:5], v1 offset0:81 offset1:82
	ds_read2_b64 v[110:113], v1 offset0:83 offset1:84
	;; [unrolled: 1-line block ×9, first 2 shown]
	ds_read_b64 v[6:7], v1 offset:792
	s_mov_b32 s4, exec_lo
	s_waitcnt vmcnt(39) lgkmcnt(9)
	v_mul_f32_e32 v181, v2, v8
	v_mul_f32_e32 v8, v3, v8
	s_waitcnt vmcnt(38)
	v_mul_f32_e32 v182, v4, v142
	v_mul_f32_e32 v142, v5, v142
	s_waitcnt vmcnt(37) lgkmcnt(8)
	v_mul_f32_e32 v183, v110, v143
	s_waitcnt vmcnt(36)
	v_mul_f32_e32 v184, v112, v144
	s_waitcnt vmcnt(35) lgkmcnt(7)
	v_mul_f32_e32 v185, v114, v145
	s_waitcnt vmcnt(34)
	;; [unrolled: 4-line block ×8, first 2 shown]
	v_fma_f32 v2, v2, v160, -v8
	v_fmac_f32_e32 v181, v3, v160
	v_mul_f32_e32 v3, v111, v143
	s_waitcnt vmcnt(19)
	v_fma_f32 v4, v4, v161, -v142
	v_fmac_f32_e32 v182, v5, v161
	v_add_f32_e32 v2, 0, v2
	v_add_f32_e32 v5, 0, v181
	v_mul_f32_e32 v8, v113, v144
	s_waitcnt vmcnt(18)
	v_fma_f32 v3, v110, v162, -v3
	v_fmac_f32_e32 v183, v111, v162
	v_add_f32_e32 v2, v2, v4
	v_add_f32_e32 v4, v5, v182
	;; [unrolled: 6-line block ×15, first 2 shown]
	v_mul_f32_e32 v4, v141, v158
	s_waitcnt vmcnt(4)
	v_fma_f32 v5, v138, v176, -v5
	v_mul_f32_e32 v198, v140, v158
	v_add_f32_e32 v2, v2, v8
	v_fmac_f32_e32 v197, v139, v176
	v_add_f32_e32 v3, v3, v196
	s_waitcnt lgkmcnt(0)
	v_mul_f32_e32 v8, v7, v159
	s_waitcnt vmcnt(3)
	v_fma_f32 v4, v140, v177, -v4
	v_add_f32_e32 v2, v2, v5
	v_mul_f32_e32 v199, v6, v159
	v_fmac_f32_e32 v198, v141, v177
	v_add_f32_e32 v3, v3, v197
	s_waitcnt vmcnt(2)
	v_fma_f32 v5, v6, v178, -v8
	v_add_f32_e32 v2, v2, v4
	v_fmac_f32_e32 v199, v7, v178
	v_add_f32_e32 v3, v3, v198
	v_add_f32_e32 v2, v2, v5
	;; [unrolled: 1-line block ×3, first 2 shown]
	s_waitcnt vmcnt(1)
	v_sub_f32_e32 v2, v179, v2
	s_waitcnt vmcnt(0)
	v_sub_f32_e32 v3, v180, v3
	buffer_store_dword v2, off, s[0:3], 0 offset:240
	buffer_store_dword v3, off, s[0:3], 0 offset:244
	v_cmpx_lt_u32_e32 29, v0
	s_cbranch_execz .LBB113_255
; %bb.254:
	s_clause 0x1
	buffer_load_dword v2, off, s[0:3], 0 offset:232
	buffer_load_dword v3, off, s[0:3], 0 offset:236
	buffer_store_dword v1, off, s[0:3], 0 offset:232
	buffer_store_dword v1, off, s[0:3], 0 offset:236
	s_waitcnt vmcnt(0)
	ds_write_b64 v109, v[2:3]
.LBB113_255:
	s_or_b32 exec_lo, exec_lo, s4
	s_waitcnt lgkmcnt(0)
	s_waitcnt_vscnt null, 0x0
	s_barrier
	buffer_gl0_inv
	s_clause 0x29
	buffer_load_dword v6, off, s[0:3], 0 offset:244
	buffer_load_dword v7, off, s[0:3], 0 offset:252
	;; [unrolled: 1-line block ×42, first 2 shown]
	ds_read_b128 v[2:5], v1 offset:640
	ds_read_b128 v[110:113], v1 offset:656
	;; [unrolled: 1-line block ×10, first 2 shown]
	s_mov_b32 s4, exec_lo
	s_waitcnt vmcnt(41) lgkmcnt(9)
	v_mul_f32_e32 v1, v2, v6
	v_mul_f32_e32 v6, v3, v6
	s_waitcnt vmcnt(40)
	v_mul_f32_e32 v185, v4, v7
	v_mul_f32_e32 v7, v5, v7
	s_waitcnt vmcnt(39) lgkmcnt(8)
	v_mul_f32_e32 v186, v110, v8
	s_waitcnt vmcnt(38)
	v_mul_f32_e32 v187, v112, v146
	s_waitcnt vmcnt(37) lgkmcnt(7)
	v_mul_f32_e32 v188, v114, v147
	s_waitcnt vmcnt(36)
	;; [unrolled: 4-line block ×8, first 2 shown]
	v_mul_f32_e32 v201, v140, v160
	s_waitcnt vmcnt(21)
	v_fma_f32 v2, v2, v163, -v6
	v_fmac_f32_e32 v1, v3, v163
	v_mul_f32_e32 v3, v111, v8
	s_waitcnt vmcnt(20)
	v_fma_f32 v4, v4, v164, -v7
	v_fmac_f32_e32 v185, v5, v164
	v_add_f32_e32 v2, 0, v2
	v_add_f32_e32 v1, 0, v1
	v_mul_f32_e32 v5, v113, v146
	s_waitcnt vmcnt(19)
	v_fma_f32 v3, v110, v165, -v3
	v_fmac_f32_e32 v186, v111, v165
	v_add_f32_e32 v2, v2, v4
	v_add_f32_e32 v1, v1, v185
	;; [unrolled: 6-line block ×16, first 2 shown]
	s_waitcnt lgkmcnt(0)
	v_mul_f32_e32 v5, v143, v161
	s_waitcnt vmcnt(4)
	v_fma_f32 v3, v140, v180, -v3
	v_mul_f32_e32 v202, v142, v161
	v_add_f32_e32 v2, v2, v4
	v_fmac_f32_e32 v201, v141, v180
	v_add_f32_e32 v1, v1, v200
	v_mul_f32_e32 v4, v145, v162
	s_waitcnt vmcnt(3)
	v_fma_f32 v5, v142, v181, -v5
	v_add_f32_e32 v2, v2, v3
	v_mul_f32_e32 v203, v144, v162
	v_fmac_f32_e32 v202, v143, v181
	v_add_f32_e32 v1, v1, v201
	s_waitcnt vmcnt(2)
	v_fma_f32 v3, v144, v182, -v4
	v_add_f32_e32 v2, v2, v5
	v_fmac_f32_e32 v203, v145, v182
	v_add_f32_e32 v1, v1, v202
	v_add_f32_e32 v2, v2, v3
	;; [unrolled: 1-line block ×3, first 2 shown]
	s_waitcnt vmcnt(1)
	v_sub_f32_e32 v2, v183, v2
	s_waitcnt vmcnt(0)
	v_sub_f32_e32 v1, v184, v1
	buffer_store_dword v2, off, s[0:3], 0 offset:232
	buffer_store_dword v1, off, s[0:3], 0 offset:236
	v_cmpx_lt_u32_e32 28, v0
	s_cbranch_execz .LBB113_257
; %bb.256:
	s_clause 0x1
	buffer_load_dword v1, off, s[0:3], 0 offset:224
	buffer_load_dword v2, off, s[0:3], 0 offset:228
	v_mov_b32_e32 v3, 0
	buffer_store_dword v3, off, s[0:3], 0 offset:224
	buffer_store_dword v3, off, s[0:3], 0 offset:228
	s_waitcnt vmcnt(0)
	ds_write_b64 v109, v[1:2]
.LBB113_257:
	s_or_b32 exec_lo, exec_lo, s4
	s_waitcnt lgkmcnt(0)
	s_waitcnt_vscnt null, 0x0
	s_barrier
	buffer_gl0_inv
	s_clause 0x2b
	buffer_load_dword v8, off, s[0:3], 0 offset:236
	buffer_load_dword v146, off, s[0:3], 0 offset:244
	;; [unrolled: 1-line block ×44, first 2 shown]
	v_mov_b32_e32 v1, 0
	ds_read2_b64 v[2:5], v1 offset0:79 offset1:80
	ds_read2_b64 v[110:113], v1 offset0:81 offset1:82
	ds_read2_b64 v[114:117], v1 offset0:83 offset1:84
	ds_read2_b64 v[118:121], v1 offset0:85 offset1:86
	ds_read2_b64 v[122:125], v1 offset0:87 offset1:88
	ds_read2_b64 v[126:129], v1 offset0:89 offset1:90
	ds_read2_b64 v[130:133], v1 offset0:91 offset1:92
	ds_read2_b64 v[134:137], v1 offset0:93 offset1:94
	ds_read2_b64 v[138:141], v1 offset0:95 offset1:96
	ds_read2_b64 v[142:145], v1 offset0:97 offset1:98
	ds_read_b64 v[6:7], v1 offset:792
	s_mov_b32 s4, exec_lo
	s_waitcnt vmcnt(43) lgkmcnt(10)
	v_mul_f32_e32 v189, v2, v8
	v_mul_f32_e32 v8, v3, v8
	s_waitcnt vmcnt(42)
	v_mul_f32_e32 v190, v4, v146
	v_mul_f32_e32 v146, v5, v146
	s_waitcnt vmcnt(41) lgkmcnt(9)
	v_mul_f32_e32 v191, v110, v147
	s_waitcnt vmcnt(40)
	v_mul_f32_e32 v192, v112, v148
	s_waitcnt vmcnt(39) lgkmcnt(8)
	v_mul_f32_e32 v193, v114, v149
	s_waitcnt vmcnt(38)
	;; [unrolled: 4-line block ×9, first 2 shown]
	v_fma_f32 v2, v2, v166, -v8
	v_fmac_f32_e32 v189, v3, v166
	v_mul_f32_e32 v3, v111, v147
	s_waitcnt vmcnt(21)
	v_fma_f32 v4, v4, v167, -v146
	v_fmac_f32_e32 v190, v5, v167
	v_add_f32_e32 v2, 0, v2
	v_add_f32_e32 v5, 0, v189
	v_mul_f32_e32 v8, v113, v148
	s_waitcnt vmcnt(20)
	v_fma_f32 v3, v110, v168, -v3
	v_fmac_f32_e32 v191, v111, v168
	v_add_f32_e32 v2, v2, v4
	v_add_f32_e32 v4, v5, v190
	v_mul_f32_e32 v5, v115, v149
	s_waitcnt vmcnt(19)
	v_fma_f32 v8, v112, v169, -v8
	v_fmac_f32_e32 v192, v113, v169
	v_add_f32_e32 v2, v2, v3
	v_add_f32_e32 v3, v4, v191
	v_mul_f32_e32 v4, v117, v150
	s_waitcnt vmcnt(18)
	v_fma_f32 v5, v114, v170, -v5
	v_fmac_f32_e32 v193, v115, v170
	v_add_f32_e32 v2, v2, v8
	v_add_f32_e32 v3, v3, v192
	v_mul_f32_e32 v8, v119, v151
	s_waitcnt vmcnt(17)
	v_fma_f32 v4, v116, v171, -v4
	v_fmac_f32_e32 v194, v117, v171
	v_add_f32_e32 v2, v2, v5
	v_add_f32_e32 v3, v3, v193
	v_mul_f32_e32 v5, v121, v152
	s_waitcnt vmcnt(16)
	v_fma_f32 v8, v118, v172, -v8
	v_fmac_f32_e32 v195, v119, v172
	v_add_f32_e32 v2, v2, v4
	v_add_f32_e32 v3, v3, v194
	v_mul_f32_e32 v4, v123, v153
	s_waitcnt vmcnt(15)
	v_fma_f32 v5, v120, v173, -v5
	v_fmac_f32_e32 v196, v121, v173
	v_add_f32_e32 v2, v2, v8
	v_add_f32_e32 v3, v3, v195
	v_mul_f32_e32 v8, v125, v154
	s_waitcnt vmcnt(14)
	v_fma_f32 v4, v122, v174, -v4
	v_fmac_f32_e32 v197, v123, v174
	v_add_f32_e32 v2, v2, v5
	v_add_f32_e32 v3, v3, v196
	v_mul_f32_e32 v5, v127, v155
	s_waitcnt vmcnt(13)
	v_fma_f32 v8, v124, v175, -v8
	v_fmac_f32_e32 v198, v125, v175
	v_add_f32_e32 v2, v2, v4
	v_add_f32_e32 v3, v3, v197
	v_mul_f32_e32 v4, v129, v156
	s_waitcnt vmcnt(12)
	v_fma_f32 v5, v126, v176, -v5
	v_fmac_f32_e32 v199, v127, v176
	v_add_f32_e32 v2, v2, v8
	v_add_f32_e32 v3, v3, v198
	v_mul_f32_e32 v8, v131, v157
	s_waitcnt vmcnt(11)
	v_fma_f32 v4, v128, v177, -v4
	v_fmac_f32_e32 v200, v129, v177
	v_add_f32_e32 v2, v2, v5
	v_add_f32_e32 v3, v3, v199
	v_mul_f32_e32 v5, v133, v158
	s_waitcnt vmcnt(10)
	v_fma_f32 v8, v130, v178, -v8
	v_fmac_f32_e32 v201, v131, v178
	v_add_f32_e32 v2, v2, v4
	v_add_f32_e32 v3, v3, v200
	v_mul_f32_e32 v4, v135, v159
	s_waitcnt vmcnt(9)
	v_fma_f32 v5, v132, v179, -v5
	v_fmac_f32_e32 v202, v133, v179
	v_add_f32_e32 v2, v2, v8
	v_add_f32_e32 v3, v3, v201
	v_mul_f32_e32 v8, v137, v160
	s_waitcnt vmcnt(8)
	v_fma_f32 v4, v134, v180, -v4
	v_fmac_f32_e32 v203, v135, v180
	v_add_f32_e32 v2, v2, v5
	v_add_f32_e32 v3, v3, v202
	v_mul_f32_e32 v5, v139, v161
	s_waitcnt vmcnt(7)
	v_fma_f32 v8, v136, v181, -v8
	v_fmac_f32_e32 v204, v137, v181
	v_add_f32_e32 v2, v2, v4
	v_add_f32_e32 v3, v3, v203
	v_mul_f32_e32 v4, v141, v162
	s_waitcnt vmcnt(6)
	v_fma_f32 v5, v138, v182, -v5
	v_fmac_f32_e32 v205, v139, v182
	v_add_f32_e32 v2, v2, v8
	v_add_f32_e32 v3, v3, v204
	v_mul_f32_e32 v8, v143, v163
	s_waitcnt vmcnt(5)
	v_fma_f32 v4, v140, v183, -v4
	v_fmac_f32_e32 v206, v141, v183
	v_add_f32_e32 v2, v2, v5
	v_add_f32_e32 v3, v3, v205
	v_mul_f32_e32 v5, v145, v164
	s_waitcnt vmcnt(4)
	v_fma_f32 v8, v142, v184, -v8
	v_mul_f32_e32 v208, v144, v164
	v_add_f32_e32 v2, v2, v4
	v_fmac_f32_e32 v207, v143, v184
	v_add_f32_e32 v3, v3, v206
	s_waitcnt lgkmcnt(0)
	v_mul_f32_e32 v4, v7, v165
	s_waitcnt vmcnt(3)
	v_fma_f32 v5, v144, v185, -v5
	v_add_f32_e32 v2, v2, v8
	v_mul_f32_e32 v209, v6, v165
	v_fmac_f32_e32 v208, v145, v185
	v_add_f32_e32 v3, v3, v207
	s_waitcnt vmcnt(2)
	v_fma_f32 v4, v6, v186, -v4
	v_add_f32_e32 v2, v2, v5
	v_fmac_f32_e32 v209, v7, v186
	v_add_f32_e32 v3, v3, v208
	v_add_f32_e32 v2, v2, v4
	v_add_f32_e32 v3, v3, v209
	s_waitcnt vmcnt(1)
	v_sub_f32_e32 v2, v187, v2
	s_waitcnt vmcnt(0)
	v_sub_f32_e32 v3, v188, v3
	buffer_store_dword v2, off, s[0:3], 0 offset:224
	buffer_store_dword v3, off, s[0:3], 0 offset:228
	v_cmpx_lt_u32_e32 27, v0
	s_cbranch_execz .LBB113_259
; %bb.258:
	s_clause 0x1
	buffer_load_dword v2, off, s[0:3], 0 offset:216
	buffer_load_dword v3, off, s[0:3], 0 offset:220
	buffer_store_dword v1, off, s[0:3], 0 offset:216
	buffer_store_dword v1, off, s[0:3], 0 offset:220
	s_waitcnt vmcnt(0)
	ds_write_b64 v109, v[2:3]
.LBB113_259:
	s_or_b32 exec_lo, exec_lo, s4
	s_waitcnt lgkmcnt(0)
	s_waitcnt_vscnt null, 0x0
	s_barrier
	buffer_gl0_inv
	s_clause 0x2d
	buffer_load_dword v6, off, s[0:3], 0 offset:228
	buffer_load_dword v7, off, s[0:3], 0 offset:236
	;; [unrolled: 1-line block ×46, first 2 shown]
	ds_read_b128 v[2:5], v1 offset:624
	ds_read_b128 v[110:113], v1 offset:640
	;; [unrolled: 1-line block ×11, first 2 shown]
	s_mov_b32 s4, exec_lo
	s_waitcnt vmcnt(45) lgkmcnt(10)
	v_mul_f32_e32 v1, v2, v6
	v_mul_f32_e32 v6, v3, v6
	s_waitcnt vmcnt(44)
	v_mul_f32_e32 v193, v4, v7
	v_mul_f32_e32 v7, v5, v7
	s_waitcnt vmcnt(43) lgkmcnt(9)
	v_mul_f32_e32 v194, v110, v8
	s_waitcnt vmcnt(42)
	v_mul_f32_e32 v195, v112, v150
	s_waitcnt vmcnt(41) lgkmcnt(8)
	v_mul_f32_e32 v196, v114, v151
	s_waitcnt vmcnt(40)
	;; [unrolled: 4-line block ×9, first 2 shown]
	v_mul_f32_e32 v211, v144, v166
	s_waitcnt vmcnt(23)
	v_fma_f32 v2, v2, v169, -v6
	v_fmac_f32_e32 v1, v3, v169
	v_mul_f32_e32 v3, v111, v8
	s_waitcnt vmcnt(22)
	v_fma_f32 v4, v4, v170, -v7
	v_fmac_f32_e32 v193, v5, v170
	v_add_f32_e32 v2, 0, v2
	v_add_f32_e32 v1, 0, v1
	v_mul_f32_e32 v5, v113, v150
	s_waitcnt vmcnt(21)
	v_fma_f32 v3, v110, v171, -v3
	v_fmac_f32_e32 v194, v111, v171
	v_add_f32_e32 v2, v2, v4
	v_add_f32_e32 v1, v1, v193
	;; [unrolled: 6-line block ×18, first 2 shown]
	s_waitcnt lgkmcnt(0)
	v_mul_f32_e32 v3, v147, v167
	s_waitcnt vmcnt(4)
	v_fma_f32 v4, v144, v188, -v4
	v_mul_f32_e32 v212, v146, v167
	v_add_f32_e32 v2, v2, v5
	v_fmac_f32_e32 v211, v145, v188
	v_add_f32_e32 v1, v1, v210
	v_mul_f32_e32 v5, v149, v168
	s_waitcnt vmcnt(3)
	v_fma_f32 v3, v146, v189, -v3
	v_add_f32_e32 v2, v2, v4
	v_mul_f32_e32 v213, v148, v168
	v_fmac_f32_e32 v212, v147, v189
	v_add_f32_e32 v1, v1, v211
	s_waitcnt vmcnt(2)
	v_fma_f32 v4, v148, v190, -v5
	v_add_f32_e32 v2, v2, v3
	v_fmac_f32_e32 v213, v149, v190
	v_add_f32_e32 v1, v1, v212
	v_add_f32_e32 v2, v2, v4
	v_add_f32_e32 v1, v1, v213
	s_waitcnt vmcnt(1)
	v_sub_f32_e32 v2, v191, v2
	s_waitcnt vmcnt(0)
	v_sub_f32_e32 v1, v192, v1
	buffer_store_dword v2, off, s[0:3], 0 offset:216
	buffer_store_dword v1, off, s[0:3], 0 offset:220
	v_cmpx_lt_u32_e32 26, v0
	s_cbranch_execz .LBB113_261
; %bb.260:
	s_clause 0x1
	buffer_load_dword v1, off, s[0:3], 0 offset:208
	buffer_load_dword v2, off, s[0:3], 0 offset:212
	v_mov_b32_e32 v3, 0
	buffer_store_dword v3, off, s[0:3], 0 offset:208
	buffer_store_dword v3, off, s[0:3], 0 offset:212
	s_waitcnt vmcnt(0)
	ds_write_b64 v109, v[1:2]
.LBB113_261:
	s_or_b32 exec_lo, exec_lo, s4
	s_waitcnt lgkmcnt(0)
	s_waitcnt_vscnt null, 0x0
	s_barrier
	buffer_gl0_inv
	s_clause 0x2f
	buffer_load_dword v8, off, s[0:3], 0 offset:220
	buffer_load_dword v150, off, s[0:3], 0 offset:228
	;; [unrolled: 1-line block ×48, first 2 shown]
	v_mov_b32_e32 v1, 0
	ds_read2_b64 v[2:5], v1 offset0:77 offset1:78
	ds_read2_b64 v[110:113], v1 offset0:79 offset1:80
	;; [unrolled: 1-line block ×11, first 2 shown]
	ds_read_b64 v[6:7], v1 offset:792
	s_mov_b32 s4, exec_lo
	s_waitcnt vmcnt(47) lgkmcnt(11)
	v_mul_f32_e32 v197, v2, v8
	v_mul_f32_e32 v8, v3, v8
	s_waitcnt vmcnt(46)
	v_mul_f32_e32 v198, v4, v150
	v_mul_f32_e32 v150, v5, v150
	s_waitcnt vmcnt(45) lgkmcnt(10)
	v_mul_f32_e32 v199, v110, v151
	s_waitcnt vmcnt(44)
	v_mul_f32_e32 v200, v112, v152
	s_waitcnt vmcnt(43) lgkmcnt(9)
	v_mul_f32_e32 v201, v114, v153
	s_waitcnt vmcnt(42)
	;; [unrolled: 4-line block ×10, first 2 shown]
	v_fma_f32 v2, v2, v172, -v8
	v_fmac_f32_e32 v197, v3, v172
	v_mul_f32_e32 v3, v111, v151
	s_waitcnt vmcnt(23)
	v_fma_f32 v4, v4, v173, -v150
	v_fmac_f32_e32 v198, v5, v173
	v_add_f32_e32 v2, 0, v2
	v_add_f32_e32 v5, 0, v197
	v_mul_f32_e32 v8, v113, v152
	s_waitcnt vmcnt(22)
	v_fma_f32 v3, v110, v174, -v3
	v_fmac_f32_e32 v199, v111, v174
	v_add_f32_e32 v2, v2, v4
	v_add_f32_e32 v4, v5, v198
	;; [unrolled: 6-line block ×19, first 2 shown]
	v_mul_f32_e32 v8, v149, v170
	s_waitcnt vmcnt(4)
	v_fma_f32 v4, v146, v192, -v4
	v_mul_f32_e32 v218, v148, v170
	v_add_f32_e32 v2, v2, v5
	v_fmac_f32_e32 v217, v147, v192
	v_add_f32_e32 v3, v3, v216
	s_waitcnt lgkmcnt(0)
	v_mul_f32_e32 v5, v7, v171
	s_waitcnt vmcnt(3)
	v_fma_f32 v8, v148, v193, -v8
	v_add_f32_e32 v2, v2, v4
	v_mul_f32_e32 v219, v6, v171
	v_fmac_f32_e32 v218, v149, v193
	v_add_f32_e32 v3, v3, v217
	s_waitcnt vmcnt(2)
	v_fma_f32 v4, v6, v194, -v5
	v_add_f32_e32 v2, v2, v8
	v_fmac_f32_e32 v219, v7, v194
	v_add_f32_e32 v3, v3, v218
	v_add_f32_e32 v2, v2, v4
	;; [unrolled: 1-line block ×3, first 2 shown]
	s_waitcnt vmcnt(1)
	v_sub_f32_e32 v2, v195, v2
	s_waitcnt vmcnt(0)
	v_sub_f32_e32 v3, v196, v3
	buffer_store_dword v2, off, s[0:3], 0 offset:208
	buffer_store_dword v3, off, s[0:3], 0 offset:212
	v_cmpx_lt_u32_e32 25, v0
	s_cbranch_execz .LBB113_263
; %bb.262:
	s_clause 0x1
	buffer_load_dword v2, off, s[0:3], 0 offset:200
	buffer_load_dword v3, off, s[0:3], 0 offset:204
	buffer_store_dword v1, off, s[0:3], 0 offset:200
	buffer_store_dword v1, off, s[0:3], 0 offset:204
	s_waitcnt vmcnt(0)
	ds_write_b64 v109, v[2:3]
.LBB113_263:
	s_or_b32 exec_lo, exec_lo, s4
	s_waitcnt lgkmcnt(0)
	s_waitcnt_vscnt null, 0x0
	s_barrier
	buffer_gl0_inv
	s_clause 0x31
	buffer_load_dword v6, off, s[0:3], 0 offset:212
	buffer_load_dword v7, off, s[0:3], 0 offset:220
	buffer_load_dword v8, off, s[0:3], 0 offset:228
	buffer_load_dword v154, off, s[0:3], 0 offset:236
	buffer_load_dword v155, off, s[0:3], 0 offset:244
	buffer_load_dword v156, off, s[0:3], 0 offset:252
	buffer_load_dword v157, off, s[0:3], 0 offset:260
	buffer_load_dword v158, off, s[0:3], 0 offset:268
	buffer_load_dword v159, off, s[0:3], 0 offset:276
	buffer_load_dword v160, off, s[0:3], 0 offset:284
	buffer_load_dword v161, off, s[0:3], 0 offset:292
	buffer_load_dword v162, off, s[0:3], 0 offset:300
	buffer_load_dword v163, off, s[0:3], 0 offset:308
	buffer_load_dword v164, off, s[0:3], 0 offset:316
	buffer_load_dword v165, off, s[0:3], 0 offset:324
	buffer_load_dword v166, off, s[0:3], 0 offset:332
	buffer_load_dword v167, off, s[0:3], 0 offset:340
	buffer_load_dword v168, off, s[0:3], 0 offset:348
	buffer_load_dword v169, off, s[0:3], 0 offset:356
	buffer_load_dword v170, off, s[0:3], 0 offset:364
	buffer_load_dword v171, off, s[0:3], 0 offset:372
	buffer_load_dword v172, off, s[0:3], 0 offset:380
	buffer_load_dword v173, off, s[0:3], 0 offset:388
	buffer_load_dword v174, off, s[0:3], 0 offset:396
	buffer_load_dword v175, off, s[0:3], 0 offset:208
	buffer_load_dword v176, off, s[0:3], 0 offset:216
	buffer_load_dword v177, off, s[0:3], 0 offset:224
	buffer_load_dword v178, off, s[0:3], 0 offset:232
	buffer_load_dword v179, off, s[0:3], 0 offset:240
	buffer_load_dword v180, off, s[0:3], 0 offset:248
	buffer_load_dword v181, off, s[0:3], 0 offset:256
	buffer_load_dword v182, off, s[0:3], 0 offset:264
	buffer_load_dword v183, off, s[0:3], 0 offset:272
	buffer_load_dword v184, off, s[0:3], 0 offset:280
	buffer_load_dword v185, off, s[0:3], 0 offset:288
	buffer_load_dword v186, off, s[0:3], 0 offset:296
	buffer_load_dword v187, off, s[0:3], 0 offset:304
	buffer_load_dword v188, off, s[0:3], 0 offset:312
	buffer_load_dword v189, off, s[0:3], 0 offset:320
	buffer_load_dword v190, off, s[0:3], 0 offset:328
	buffer_load_dword v191, off, s[0:3], 0 offset:336
	buffer_load_dword v192, off, s[0:3], 0 offset:344
	buffer_load_dword v193, off, s[0:3], 0 offset:352
	buffer_load_dword v194, off, s[0:3], 0 offset:360
	buffer_load_dword v195, off, s[0:3], 0 offset:368
	buffer_load_dword v196, off, s[0:3], 0 offset:376
	buffer_load_dword v197, off, s[0:3], 0 offset:384
	buffer_load_dword v198, off, s[0:3], 0 offset:392
	buffer_load_dword v199, off, s[0:3], 0 offset:200
	buffer_load_dword v200, off, s[0:3], 0 offset:204
	ds_read_b128 v[2:5], v1 offset:608
	ds_read_b128 v[110:113], v1 offset:624
	;; [unrolled: 1-line block ×12, first 2 shown]
	s_mov_b32 s4, exec_lo
	s_waitcnt vmcnt(49) lgkmcnt(11)
	v_mul_f32_e32 v1, v2, v6
	v_mul_f32_e32 v6, v3, v6
	s_waitcnt vmcnt(48)
	v_mul_f32_e32 v201, v4, v7
	v_mul_f32_e32 v7, v5, v7
	s_waitcnt vmcnt(47) lgkmcnt(10)
	v_mul_f32_e32 v202, v110, v8
	s_waitcnt vmcnt(46)
	v_mul_f32_e32 v203, v112, v154
	s_waitcnt vmcnt(45) lgkmcnt(9)
	v_mul_f32_e32 v204, v114, v155
	s_waitcnt vmcnt(44)
	;; [unrolled: 4-line block ×10, first 2 shown]
	v_mul_f32_e32 v221, v148, v172
	s_waitcnt vmcnt(25)
	v_fma_f32 v2, v2, v175, -v6
	v_fmac_f32_e32 v1, v3, v175
	v_mul_f32_e32 v3, v111, v8
	s_waitcnt vmcnt(24)
	v_fma_f32 v4, v4, v176, -v7
	v_fmac_f32_e32 v201, v5, v176
	v_add_f32_e32 v2, 0, v2
	v_add_f32_e32 v1, 0, v1
	v_mul_f32_e32 v5, v113, v154
	s_waitcnt vmcnt(23)
	v_fma_f32 v3, v110, v177, -v3
	v_fmac_f32_e32 v202, v111, v177
	v_add_f32_e32 v2, v2, v4
	v_add_f32_e32 v1, v1, v201
	;; [unrolled: 6-line block ×20, first 2 shown]
	s_waitcnt lgkmcnt(0)
	v_mul_f32_e32 v4, v151, v173
	s_waitcnt vmcnt(4)
	v_fma_f32 v5, v148, v196, -v5
	v_mul_f32_e32 v222, v150, v173
	v_add_f32_e32 v2, v2, v3
	v_fmac_f32_e32 v221, v149, v196
	v_add_f32_e32 v1, v1, v220
	v_mul_f32_e32 v3, v153, v174
	s_waitcnt vmcnt(3)
	v_fma_f32 v4, v150, v197, -v4
	v_add_f32_e32 v2, v2, v5
	v_mul_f32_e32 v223, v152, v174
	v_fmac_f32_e32 v222, v151, v197
	v_add_f32_e32 v1, v1, v221
	s_waitcnt vmcnt(2)
	v_fma_f32 v3, v152, v198, -v3
	v_add_f32_e32 v2, v2, v4
	v_fmac_f32_e32 v223, v153, v198
	v_add_f32_e32 v1, v1, v222
	v_add_f32_e32 v2, v2, v3
	;; [unrolled: 1-line block ×3, first 2 shown]
	s_waitcnt vmcnt(1)
	v_sub_f32_e32 v2, v199, v2
	s_waitcnt vmcnt(0)
	v_sub_f32_e32 v1, v200, v1
	buffer_store_dword v2, off, s[0:3], 0 offset:200
	buffer_store_dword v1, off, s[0:3], 0 offset:204
	v_cmpx_lt_u32_e32 24, v0
	s_cbranch_execz .LBB113_265
; %bb.264:
	s_clause 0x1
	buffer_load_dword v1, off, s[0:3], 0 offset:192
	buffer_load_dword v2, off, s[0:3], 0 offset:196
	v_mov_b32_e32 v3, 0
	buffer_store_dword v3, off, s[0:3], 0 offset:192
	buffer_store_dword v3, off, s[0:3], 0 offset:196
	s_waitcnt vmcnt(0)
	ds_write_b64 v109, v[1:2]
.LBB113_265:
	s_or_b32 exec_lo, exec_lo, s4
	s_waitcnt lgkmcnt(0)
	s_waitcnt_vscnt null, 0x0
	s_barrier
	buffer_gl0_inv
	s_clause 0x33
	buffer_load_dword v8, off, s[0:3], 0 offset:204
	buffer_load_dword v154, off, s[0:3], 0 offset:212
	;; [unrolled: 1-line block ×52, first 2 shown]
	v_mov_b32_e32 v1, 0
	ds_read2_b64 v[2:5], v1 offset0:75 offset1:76
	ds_read2_b64 v[110:113], v1 offset0:77 offset1:78
	;; [unrolled: 1-line block ×12, first 2 shown]
	ds_read_b64 v[6:7], v1 offset:792
	s_mov_b32 s4, exec_lo
	s_waitcnt vmcnt(51) lgkmcnt(12)
	v_mul_f32_e32 v205, v2, v8
	v_mul_f32_e32 v8, v3, v8
	s_waitcnt vmcnt(50)
	v_mul_f32_e32 v206, v4, v154
	v_mul_f32_e32 v154, v5, v154
	s_waitcnt vmcnt(49) lgkmcnt(11)
	v_mul_f32_e32 v207, v110, v155
	s_waitcnt vmcnt(48)
	v_mul_f32_e32 v208, v112, v156
	s_waitcnt vmcnt(47) lgkmcnt(10)
	v_mul_f32_e32 v209, v114, v157
	s_waitcnt vmcnt(46)
	;; [unrolled: 4-line block ×11, first 2 shown]
	v_fma_f32 v2, v2, v178, -v8
	v_fmac_f32_e32 v205, v3, v178
	v_mul_f32_e32 v3, v111, v155
	s_waitcnt vmcnt(25)
	v_fma_f32 v4, v4, v179, -v154
	v_fmac_f32_e32 v206, v5, v179
	v_add_f32_e32 v2, 0, v2
	v_add_f32_e32 v5, 0, v205
	v_mul_f32_e32 v8, v113, v156
	s_waitcnt vmcnt(24)
	v_fma_f32 v3, v110, v180, -v3
	v_fmac_f32_e32 v207, v111, v180
	v_add_f32_e32 v2, v2, v4
	v_add_f32_e32 v4, v5, v206
	;; [unrolled: 6-line block ×21, first 2 shown]
	v_mul_f32_e32 v4, v153, v176
	s_waitcnt vmcnt(4)
	v_fma_f32 v5, v150, v200, -v5
	v_mul_f32_e32 v228, v152, v176
	v_add_f32_e32 v2, v2, v8
	v_fmac_f32_e32 v227, v151, v200
	v_add_f32_e32 v3, v3, v226
	s_waitcnt lgkmcnt(0)
	v_mul_f32_e32 v8, v7, v177
	s_waitcnt vmcnt(3)
	v_fma_f32 v4, v152, v201, -v4
	v_add_f32_e32 v2, v2, v5
	v_mul_f32_e32 v229, v6, v177
	v_fmac_f32_e32 v228, v153, v201
	v_add_f32_e32 v3, v3, v227
	s_waitcnt vmcnt(2)
	v_fma_f32 v5, v6, v202, -v8
	v_add_f32_e32 v2, v2, v4
	v_fmac_f32_e32 v229, v7, v202
	v_add_f32_e32 v3, v3, v228
	v_add_f32_e32 v2, v2, v5
	;; [unrolled: 1-line block ×3, first 2 shown]
	s_waitcnt vmcnt(1)
	v_sub_f32_e32 v2, v203, v2
	s_waitcnt vmcnt(0)
	v_sub_f32_e32 v3, v204, v3
	buffer_store_dword v2, off, s[0:3], 0 offset:192
	buffer_store_dword v3, off, s[0:3], 0 offset:196
	v_cmpx_lt_u32_e32 23, v0
	s_cbranch_execz .LBB113_267
; %bb.266:
	s_clause 0x1
	buffer_load_dword v2, off, s[0:3], 0 offset:184
	buffer_load_dword v3, off, s[0:3], 0 offset:188
	buffer_store_dword v1, off, s[0:3], 0 offset:184
	buffer_store_dword v1, off, s[0:3], 0 offset:188
	s_waitcnt vmcnt(0)
	ds_write_b64 v109, v[2:3]
.LBB113_267:
	s_or_b32 exec_lo, exec_lo, s4
	s_waitcnt lgkmcnt(0)
	s_waitcnt_vscnt null, 0x0
	s_barrier
	buffer_gl0_inv
	s_clause 0x35
	buffer_load_dword v6, off, s[0:3], 0 offset:196
	buffer_load_dword v7, off, s[0:3], 0 offset:204
	;; [unrolled: 1-line block ×54, first 2 shown]
	ds_read_b128 v[2:5], v1 offset:592
	ds_read_b128 v[110:113], v1 offset:608
	ds_read_b128 v[114:117], v1 offset:624
	ds_read_b128 v[118:121], v1 offset:640
	ds_read_b128 v[122:125], v1 offset:656
	ds_read_b128 v[126:129], v1 offset:672
	ds_read_b128 v[130:133], v1 offset:688
	ds_read_b128 v[134:137], v1 offset:704
	ds_read_b128 v[138:141], v1 offset:720
	ds_read_b128 v[142:145], v1 offset:736
	ds_read_b128 v[146:149], v1 offset:752
	ds_read_b128 v[150:153], v1 offset:768
	ds_read_b128 v[154:157], v1 offset:784
	s_mov_b32 s4, exec_lo
	s_waitcnt vmcnt(53) lgkmcnt(12)
	v_mul_f32_e32 v1, v2, v6
	v_mul_f32_e32 v6, v3, v6
	s_waitcnt vmcnt(52)
	v_mul_f32_e32 v209, v4, v7
	v_mul_f32_e32 v7, v5, v7
	s_waitcnt vmcnt(51) lgkmcnt(11)
	v_mul_f32_e32 v210, v110, v8
	s_waitcnt vmcnt(50)
	v_mul_f32_e32 v211, v112, v158
	s_waitcnt vmcnt(49) lgkmcnt(10)
	v_mul_f32_e32 v212, v114, v159
	s_waitcnt vmcnt(48)
	;; [unrolled: 4-line block ×11, first 2 shown]
	v_mul_f32_e32 v231, v152, v178
	s_waitcnt vmcnt(27)
	v_fma_f32 v2, v2, v181, -v6
	v_fmac_f32_e32 v1, v3, v181
	v_mul_f32_e32 v3, v111, v8
	s_waitcnt vmcnt(26)
	v_fma_f32 v4, v4, v182, -v7
	v_fmac_f32_e32 v209, v5, v182
	v_add_f32_e32 v2, 0, v2
	v_add_f32_e32 v1, 0, v1
	v_mul_f32_e32 v5, v113, v158
	s_waitcnt vmcnt(25)
	v_fma_f32 v3, v110, v183, -v3
	v_fmac_f32_e32 v210, v111, v183
	v_add_f32_e32 v2, v2, v4
	v_add_f32_e32 v1, v1, v209
	;; [unrolled: 6-line block ×22, first 2 shown]
	s_waitcnt lgkmcnt(0)
	v_mul_f32_e32 v5, v155, v179
	s_waitcnt vmcnt(4)
	v_fma_f32 v3, v152, v204, -v3
	v_mul_f32_e32 v232, v154, v179
	v_add_f32_e32 v2, v2, v4
	v_fmac_f32_e32 v231, v153, v204
	v_add_f32_e32 v1, v1, v230
	v_mul_f32_e32 v4, v157, v180
	s_waitcnt vmcnt(3)
	v_fma_f32 v5, v154, v205, -v5
	v_add_f32_e32 v2, v2, v3
	v_mul_f32_e32 v233, v156, v180
	v_fmac_f32_e32 v232, v155, v205
	v_add_f32_e32 v1, v1, v231
	s_waitcnt vmcnt(2)
	v_fma_f32 v3, v156, v206, -v4
	v_add_f32_e32 v2, v2, v5
	v_fmac_f32_e32 v233, v157, v206
	v_add_f32_e32 v1, v1, v232
	v_add_f32_e32 v2, v2, v3
	;; [unrolled: 1-line block ×3, first 2 shown]
	s_waitcnt vmcnt(1)
	v_sub_f32_e32 v2, v207, v2
	s_waitcnt vmcnt(0)
	v_sub_f32_e32 v1, v208, v1
	buffer_store_dword v2, off, s[0:3], 0 offset:184
	buffer_store_dword v1, off, s[0:3], 0 offset:188
	v_cmpx_lt_u32_e32 22, v0
	s_cbranch_execz .LBB113_269
; %bb.268:
	s_clause 0x1
	buffer_load_dword v1, off, s[0:3], 0 offset:176
	buffer_load_dword v2, off, s[0:3], 0 offset:180
	v_mov_b32_e32 v3, 0
	buffer_store_dword v3, off, s[0:3], 0 offset:176
	buffer_store_dword v3, off, s[0:3], 0 offset:180
	s_waitcnt vmcnt(0)
	ds_write_b64 v109, v[1:2]
.LBB113_269:
	s_or_b32 exec_lo, exec_lo, s4
	s_waitcnt lgkmcnt(0)
	s_waitcnt_vscnt null, 0x0
	s_barrier
	buffer_gl0_inv
	s_clause 0x37
	buffer_load_dword v8, off, s[0:3], 0 offset:188
	buffer_load_dword v158, off, s[0:3], 0 offset:196
	;; [unrolled: 1-line block ×56, first 2 shown]
	v_mov_b32_e32 v1, 0
	ds_read2_b64 v[2:5], v1 offset0:73 offset1:74
	ds_read2_b64 v[110:113], v1 offset0:75 offset1:76
	;; [unrolled: 1-line block ×13, first 2 shown]
	ds_read_b64 v[6:7], v1 offset:792
	s_mov_b32 s4, exec_lo
	s_waitcnt vmcnt(55) lgkmcnt(13)
	v_mul_f32_e32 v213, v2, v8
	v_mul_f32_e32 v8, v3, v8
	s_waitcnt vmcnt(54)
	v_mul_f32_e32 v214, v4, v158
	v_mul_f32_e32 v158, v5, v158
	s_waitcnt vmcnt(53) lgkmcnt(12)
	v_mul_f32_e32 v215, v110, v159
	s_waitcnt vmcnt(52)
	v_mul_f32_e32 v216, v112, v160
	s_waitcnt vmcnt(51) lgkmcnt(11)
	v_mul_f32_e32 v217, v114, v161
	s_waitcnt vmcnt(50)
	;; [unrolled: 4-line block ×12, first 2 shown]
	v_fma_f32 v2, v2, v184, -v8
	v_fmac_f32_e32 v213, v3, v184
	v_mul_f32_e32 v3, v111, v159
	s_waitcnt vmcnt(27)
	v_fma_f32 v4, v4, v185, -v158
	v_fmac_f32_e32 v214, v5, v185
	v_add_f32_e32 v2, 0, v2
	v_add_f32_e32 v5, 0, v213
	v_mul_f32_e32 v8, v113, v160
	s_waitcnt vmcnt(26)
	v_fma_f32 v3, v110, v186, -v3
	v_fmac_f32_e32 v215, v111, v186
	v_add_f32_e32 v2, v2, v4
	v_add_f32_e32 v4, v5, v214
	;; [unrolled: 6-line block ×23, first 2 shown]
	v_mul_f32_e32 v5, v157, v182
	s_waitcnt vmcnt(4)
	v_fma_f32 v8, v154, v208, -v8
	v_mul_f32_e32 v238, v156, v182
	v_add_f32_e32 v2, v2, v4
	v_fmac_f32_e32 v237, v155, v208
	v_add_f32_e32 v3, v3, v236
	s_waitcnt lgkmcnt(0)
	v_mul_f32_e32 v4, v7, v183
	s_waitcnt vmcnt(3)
	v_fma_f32 v5, v156, v209, -v5
	v_add_f32_e32 v2, v2, v8
	v_mul_f32_e32 v239, v6, v183
	v_fmac_f32_e32 v238, v157, v209
	v_add_f32_e32 v3, v3, v237
	s_waitcnt vmcnt(2)
	v_fma_f32 v4, v6, v210, -v4
	v_add_f32_e32 v2, v2, v5
	v_fmac_f32_e32 v239, v7, v210
	v_add_f32_e32 v3, v3, v238
	v_add_f32_e32 v2, v2, v4
	;; [unrolled: 1-line block ×3, first 2 shown]
	s_waitcnt vmcnt(1)
	v_sub_f32_e32 v2, v211, v2
	s_waitcnt vmcnt(0)
	v_sub_f32_e32 v3, v212, v3
	buffer_store_dword v2, off, s[0:3], 0 offset:176
	buffer_store_dword v3, off, s[0:3], 0 offset:180
	v_cmpx_lt_u32_e32 21, v0
	s_cbranch_execz .LBB113_271
; %bb.270:
	s_clause 0x1
	buffer_load_dword v2, off, s[0:3], 0 offset:168
	buffer_load_dword v3, off, s[0:3], 0 offset:172
	buffer_store_dword v1, off, s[0:3], 0 offset:168
	buffer_store_dword v1, off, s[0:3], 0 offset:172
	s_waitcnt vmcnt(0)
	ds_write_b64 v109, v[2:3]
.LBB113_271:
	s_or_b32 exec_lo, exec_lo, s4
	s_waitcnt lgkmcnt(0)
	s_waitcnt_vscnt null, 0x0
	s_barrier
	buffer_gl0_inv
	s_clause 0x39
	buffer_load_dword v6, off, s[0:3], 0 offset:180
	buffer_load_dword v7, off, s[0:3], 0 offset:188
	;; [unrolled: 1-line block ×58, first 2 shown]
	ds_read_b128 v[2:5], v1 offset:576
	ds_read_b128 v[110:113], v1 offset:592
	;; [unrolled: 1-line block ×14, first 2 shown]
	s_mov_b32 s4, exec_lo
	s_waitcnt vmcnt(57) lgkmcnt(13)
	v_mul_f32_e32 v1, v2, v6
	v_mul_f32_e32 v6, v3, v6
	s_waitcnt vmcnt(56)
	v_mul_f32_e32 v217, v4, v7
	v_mul_f32_e32 v7, v5, v7
	s_waitcnt vmcnt(55) lgkmcnt(12)
	v_mul_f32_e32 v218, v110, v8
	s_waitcnt vmcnt(54)
	v_mul_f32_e32 v219, v112, v162
	s_waitcnt vmcnt(53) lgkmcnt(11)
	v_mul_f32_e32 v220, v114, v163
	s_waitcnt vmcnt(52)
	;; [unrolled: 4-line block ×12, first 2 shown]
	v_mul_f32_e32 v241, v156, v184
	s_waitcnt vmcnt(29)
	v_fma_f32 v2, v2, v187, -v6
	v_fmac_f32_e32 v1, v3, v187
	v_mul_f32_e32 v3, v111, v8
	s_waitcnt vmcnt(28)
	v_fma_f32 v4, v4, v188, -v7
	v_fmac_f32_e32 v217, v5, v188
	v_add_f32_e32 v2, 0, v2
	v_add_f32_e32 v1, 0, v1
	v_mul_f32_e32 v5, v113, v162
	s_waitcnt vmcnt(27)
	v_fma_f32 v3, v110, v189, -v3
	v_fmac_f32_e32 v218, v111, v189
	v_add_f32_e32 v2, v2, v4
	v_add_f32_e32 v1, v1, v217
	;; [unrolled: 6-line block ×24, first 2 shown]
	s_waitcnt lgkmcnt(0)
	v_mul_f32_e32 v3, v159, v185
	s_waitcnt vmcnt(4)
	v_fma_f32 v4, v156, v212, -v4
	v_mul_f32_e32 v242, v158, v185
	v_add_f32_e32 v2, v2, v5
	v_fmac_f32_e32 v241, v157, v212
	v_add_f32_e32 v1, v1, v240
	v_mul_f32_e32 v5, v161, v186
	s_waitcnt vmcnt(3)
	v_fma_f32 v3, v158, v213, -v3
	v_add_f32_e32 v2, v2, v4
	v_mul_f32_e32 v243, v160, v186
	v_fmac_f32_e32 v242, v159, v213
	v_add_f32_e32 v1, v1, v241
	s_waitcnt vmcnt(2)
	v_fma_f32 v4, v160, v214, -v5
	v_add_f32_e32 v2, v2, v3
	v_fmac_f32_e32 v243, v161, v214
	v_add_f32_e32 v1, v1, v242
	v_add_f32_e32 v2, v2, v4
	;; [unrolled: 1-line block ×3, first 2 shown]
	s_waitcnt vmcnt(1)
	v_sub_f32_e32 v2, v215, v2
	s_waitcnt vmcnt(0)
	v_sub_f32_e32 v1, v216, v1
	buffer_store_dword v2, off, s[0:3], 0 offset:168
	buffer_store_dword v1, off, s[0:3], 0 offset:172
	v_cmpx_lt_u32_e32 20, v0
	s_cbranch_execz .LBB113_273
; %bb.272:
	s_clause 0x1
	buffer_load_dword v1, off, s[0:3], 0 offset:160
	buffer_load_dword v2, off, s[0:3], 0 offset:164
	v_mov_b32_e32 v3, 0
	buffer_store_dword v3, off, s[0:3], 0 offset:160
	buffer_store_dword v3, off, s[0:3], 0 offset:164
	s_waitcnt vmcnt(0)
	ds_write_b64 v109, v[1:2]
.LBB113_273:
	s_or_b32 exec_lo, exec_lo, s4
	s_waitcnt lgkmcnt(0)
	s_waitcnt_vscnt null, 0x0
	s_barrier
	buffer_gl0_inv
	s_clause 0x3b
	buffer_load_dword v8, off, s[0:3], 0 offset:172
	buffer_load_dword v162, off, s[0:3], 0 offset:180
	;; [unrolled: 1-line block ×60, first 2 shown]
	v_mov_b32_e32 v1, 0
	ds_read2_b64 v[2:5], v1 offset0:71 offset1:72
	ds_read2_b64 v[110:113], v1 offset0:73 offset1:74
	;; [unrolled: 1-line block ×14, first 2 shown]
	ds_read_b64 v[6:7], v1 offset:792
	s_mov_b32 s4, exec_lo
	s_waitcnt vmcnt(59) lgkmcnt(14)
	v_mul_f32_e32 v221, v2, v8
	v_mul_f32_e32 v8, v3, v8
	s_waitcnt vmcnt(58)
	v_mul_f32_e32 v222, v4, v162
	v_mul_f32_e32 v162, v5, v162
	s_waitcnt vmcnt(57) lgkmcnt(13)
	v_mul_f32_e32 v223, v110, v163
	s_waitcnt vmcnt(56)
	v_mul_f32_e32 v224, v112, v164
	s_waitcnt vmcnt(55) lgkmcnt(12)
	v_mul_f32_e32 v225, v114, v165
	s_waitcnt vmcnt(54)
	v_mul_f32_e32 v226, v116, v166
	s_waitcnt vmcnt(53) lgkmcnt(11)
	v_mul_f32_e32 v227, v118, v167
	s_waitcnt vmcnt(52)
	v_mul_f32_e32 v228, v120, v168
	s_waitcnt vmcnt(51) lgkmcnt(10)
	v_mul_f32_e32 v229, v122, v169
	s_waitcnt vmcnt(50)
	v_mul_f32_e32 v230, v124, v170
	s_waitcnt vmcnt(49) lgkmcnt(9)
	v_mul_f32_e32 v231, v126, v171
	s_waitcnt vmcnt(48)
	v_mul_f32_e32 v232, v128, v172
	s_waitcnt vmcnt(47) lgkmcnt(8)
	v_mul_f32_e32 v233, v130, v173
	s_waitcnt vmcnt(46)
	v_mul_f32_e32 v234, v132, v174
	s_waitcnt vmcnt(45) lgkmcnt(7)
	v_mul_f32_e32 v235, v134, v175
	s_waitcnt vmcnt(44)
	v_mul_f32_e32 v236, v136, v176
	s_waitcnt vmcnt(43) lgkmcnt(6)
	v_mul_f32_e32 v237, v138, v177
	s_waitcnt vmcnt(42)
	v_mul_f32_e32 v238, v140, v178
	s_waitcnt vmcnt(41) lgkmcnt(5)
	v_mul_f32_e32 v239, v142, v179
	s_waitcnt vmcnt(40)
	v_mul_f32_e32 v240, v144, v180
	s_waitcnt vmcnt(39) lgkmcnt(4)
	v_mul_f32_e32 v241, v146, v181
	s_waitcnt vmcnt(38)
	v_mul_f32_e32 v242, v148, v182
	s_waitcnt vmcnt(37) lgkmcnt(3)
	v_mul_f32_e32 v243, v150, v183
	s_waitcnt vmcnt(36)
	v_mul_f32_e32 v244, v152, v184
	s_waitcnt vmcnt(35) lgkmcnt(2)
	v_mul_f32_e32 v245, v154, v185
	s_waitcnt vmcnt(34)
	v_mul_f32_e32 v246, v156, v186
	s_waitcnt vmcnt(33) lgkmcnt(1)
	v_mul_f32_e32 v247, v158, v187
	s_waitcnt vmcnt(30)
	v_fma_f32 v2, v2, v190, -v8
	v_fmac_f32_e32 v221, v3, v190
	v_mul_f32_e32 v3, v111, v163
	s_waitcnt vmcnt(29)
	v_fma_f32 v4, v4, v191, -v162
	v_fmac_f32_e32 v222, v5, v191
	v_add_f32_e32 v2, 0, v2
	v_add_f32_e32 v5, 0, v221
	v_mul_f32_e32 v8, v113, v164
	s_waitcnt vmcnt(28)
	v_fma_f32 v3, v110, v192, -v3
	v_fmac_f32_e32 v223, v111, v192
	v_add_f32_e32 v2, v2, v4
	v_add_f32_e32 v4, v5, v222
	;; [unrolled: 6-line block ×25, first 2 shown]
	v_mul_f32_e32 v8, v161, v188
	s_waitcnt vmcnt(4)
	v_fma_f32 v4, v158, v216, -v4
	v_mul_f32_e32 v248, v160, v188
	v_add_f32_e32 v2, v2, v5
	v_fmac_f32_e32 v247, v159, v216
	v_add_f32_e32 v3, v3, v246
	s_waitcnt lgkmcnt(0)
	v_mul_f32_e32 v5, v7, v189
	s_waitcnt vmcnt(3)
	v_fma_f32 v8, v160, v217, -v8
	v_add_f32_e32 v2, v2, v4
	v_mul_f32_e32 v249, v6, v189
	v_fmac_f32_e32 v248, v161, v217
	v_add_f32_e32 v3, v3, v247
	s_waitcnt vmcnt(2)
	v_fma_f32 v4, v6, v218, -v5
	v_add_f32_e32 v2, v2, v8
	v_fmac_f32_e32 v249, v7, v218
	v_add_f32_e32 v3, v3, v248
	v_add_f32_e32 v2, v2, v4
	;; [unrolled: 1-line block ×3, first 2 shown]
	s_waitcnt vmcnt(1)
	v_sub_f32_e32 v2, v219, v2
	s_waitcnt vmcnt(0)
	v_sub_f32_e32 v3, v220, v3
	buffer_store_dword v2, off, s[0:3], 0 offset:160
	buffer_store_dword v3, off, s[0:3], 0 offset:164
	v_cmpx_lt_u32_e32 19, v0
	s_cbranch_execz .LBB113_275
; %bb.274:
	s_clause 0x1
	buffer_load_dword v2, off, s[0:3], 0 offset:152
	buffer_load_dword v3, off, s[0:3], 0 offset:156
	buffer_store_dword v1, off, s[0:3], 0 offset:152
	buffer_store_dword v1, off, s[0:3], 0 offset:156
	s_waitcnt vmcnt(0)
	ds_write_b64 v109, v[2:3]
.LBB113_275:
	s_or_b32 exec_lo, exec_lo, s4
	s_waitcnt lgkmcnt(0)
	s_waitcnt_vscnt null, 0x0
	s_barrier
	buffer_gl0_inv
	s_clause 0x3d
	buffer_load_dword v6, off, s[0:3], 0 offset:164
	buffer_load_dword v7, off, s[0:3], 0 offset:172
	;; [unrolled: 1-line block ×62, first 2 shown]
	ds_read_b128 v[2:5], v1 offset:560
	ds_read_b128 v[110:113], v1 offset:576
	;; [unrolled: 1-line block ×15, first 2 shown]
	s_mov_b32 s4, exec_lo
	s_waitcnt vmcnt(61) lgkmcnt(14)
	v_mul_f32_e32 v1, v2, v6
	v_mul_f32_e32 v6, v3, v6
	s_waitcnt vmcnt(60)
	v_mul_f32_e32 v225, v4, v7
	v_mul_f32_e32 v7, v5, v7
	s_waitcnt vmcnt(59) lgkmcnt(13)
	v_mul_f32_e32 v226, v110, v8
	s_waitcnt vmcnt(58)
	v_mul_f32_e32 v227, v112, v166
	s_waitcnt vmcnt(57) lgkmcnt(12)
	v_mul_f32_e32 v228, v114, v167
	s_waitcnt vmcnt(56)
	v_mul_f32_e32 v229, v116, v168
	s_waitcnt vmcnt(55) lgkmcnt(11)
	v_mul_f32_e32 v230, v118, v169
	s_waitcnt vmcnt(54)
	v_mul_f32_e32 v231, v120, v170
	s_waitcnt vmcnt(53) lgkmcnt(10)
	v_mul_f32_e32 v232, v122, v171
	s_waitcnt vmcnt(52)
	v_mul_f32_e32 v233, v124, v172
	s_waitcnt vmcnt(51) lgkmcnt(9)
	v_mul_f32_e32 v234, v126, v173
	s_waitcnt vmcnt(50)
	v_mul_f32_e32 v235, v128, v174
	s_waitcnt vmcnt(49) lgkmcnt(8)
	v_mul_f32_e32 v236, v130, v175
	s_waitcnt vmcnt(48)
	v_mul_f32_e32 v237, v132, v176
	s_waitcnt vmcnt(47) lgkmcnt(7)
	v_mul_f32_e32 v238, v134, v177
	s_waitcnt vmcnt(46)
	v_mul_f32_e32 v239, v136, v178
	s_waitcnt vmcnt(45) lgkmcnt(6)
	v_mul_f32_e32 v240, v138, v179
	s_waitcnt vmcnt(44)
	v_mul_f32_e32 v241, v140, v180
	s_waitcnt vmcnt(43) lgkmcnt(5)
	v_mul_f32_e32 v242, v142, v181
	s_waitcnt vmcnt(42)
	v_mul_f32_e32 v243, v144, v182
	s_waitcnt vmcnt(41) lgkmcnt(4)
	v_mul_f32_e32 v244, v146, v183
	s_waitcnt vmcnt(40)
	v_mul_f32_e32 v245, v148, v184
	s_waitcnt vmcnt(39) lgkmcnt(3)
	v_mul_f32_e32 v246, v150, v185
	s_waitcnt vmcnt(38)
	v_mul_f32_e32 v247, v152, v186
	s_waitcnt vmcnt(37) lgkmcnt(2)
	v_mul_f32_e32 v248, v154, v187
	s_waitcnt vmcnt(36)
	v_mul_f32_e32 v249, v156, v188
	s_waitcnt vmcnt(35) lgkmcnt(1)
	v_mul_f32_e32 v250, v158, v189
	s_waitcnt vmcnt(34)
	v_mul_f32_e32 v251, v160, v190
	s_waitcnt vmcnt(31)
	v_fma_f32 v2, v2, v193, -v6
	v_fmac_f32_e32 v1, v3, v193
	v_mul_f32_e32 v3, v111, v8
	s_waitcnt vmcnt(30)
	v_fma_f32 v4, v4, v194, -v7
	v_fmac_f32_e32 v225, v5, v194
	v_add_f32_e32 v2, 0, v2
	v_add_f32_e32 v1, 0, v1
	v_mul_f32_e32 v5, v113, v166
	s_waitcnt vmcnt(29)
	v_fma_f32 v3, v110, v195, -v3
	v_fmac_f32_e32 v226, v111, v195
	v_add_f32_e32 v2, v2, v4
	v_add_f32_e32 v1, v1, v225
	;; [unrolled: 6-line block ×26, first 2 shown]
	s_waitcnt lgkmcnt(0)
	v_mul_f32_e32 v4, v163, v191
	s_waitcnt vmcnt(4)
	v_fma_f32 v5, v160, v220, -v5
	v_mul_f32_e32 v252, v162, v191
	v_add_f32_e32 v2, v2, v3
	v_fmac_f32_e32 v251, v161, v220
	v_add_f32_e32 v1, v1, v250
	v_mul_f32_e32 v3, v165, v192
	s_waitcnt vmcnt(3)
	v_fma_f32 v4, v162, v221, -v4
	v_add_f32_e32 v2, v2, v5
	v_mul_f32_e32 v253, v164, v192
	v_fmac_f32_e32 v252, v163, v221
	v_add_f32_e32 v1, v1, v251
	s_waitcnt vmcnt(2)
	v_fma_f32 v3, v164, v222, -v3
	v_add_f32_e32 v2, v2, v4
	v_fmac_f32_e32 v253, v165, v222
	v_add_f32_e32 v1, v1, v252
	v_add_f32_e32 v2, v2, v3
	;; [unrolled: 1-line block ×3, first 2 shown]
	s_waitcnt vmcnt(1)
	v_sub_f32_e32 v2, v223, v2
	s_waitcnt vmcnt(0)
	v_sub_f32_e32 v1, v224, v1
	buffer_store_dword v2, off, s[0:3], 0 offset:152
	buffer_store_dword v1, off, s[0:3], 0 offset:156
	v_cmpx_lt_u32_e32 18, v0
	s_cbranch_execz .LBB113_277
; %bb.276:
	s_clause 0x1
	buffer_load_dword v1, off, s[0:3], 0 offset:144
	buffer_load_dword v2, off, s[0:3], 0 offset:148
	v_mov_b32_e32 v3, 0
	buffer_store_dword v3, off, s[0:3], 0 offset:144
	buffer_store_dword v3, off, s[0:3], 0 offset:148
	s_waitcnt vmcnt(0)
	ds_write_b64 v109, v[1:2]
.LBB113_277:
	s_or_b32 exec_lo, exec_lo, s4
	s_waitcnt lgkmcnt(0)
	s_waitcnt_vscnt null, 0x0
	s_barrier
	buffer_gl0_inv
	s_clause 0x23
	buffer_load_dword v3, off, s[0:3], 0 offset:156
	buffer_load_dword v4, off, s[0:3], 0 offset:164
	buffer_load_dword v2, off, s[0:3], 0 offset:168
	buffer_load_dword v5, off, s[0:3], 0 offset:160
	buffer_load_dword v110, off, s[0:3], 0 offset:152
	buffer_load_dword v8, off, s[0:3], 0 offset:172
	buffer_load_dword v6, off, s[0:3], 0 offset:180
	buffer_load_dword v7, off, s[0:3], 0 offset:188
	buffer_load_dword v111, off, s[0:3], 0 offset:200
	buffer_load_dword v112, off, s[0:3], 0 offset:192
	buffer_load_dword v115, off, s[0:3], 0 offset:184
	buffer_load_dword v117, off, s[0:3], 0 offset:176
	buffer_load_dword v116, off, s[0:3], 0 offset:196
	buffer_load_dword v113, off, s[0:3], 0 offset:204
	buffer_load_dword v114, off, s[0:3], 0 offset:212
	buffer_load_dword v118, off, s[0:3], 0 offset:220
	buffer_load_dword v119, off, s[0:3], 0 offset:232
	buffer_load_dword v120, off, s[0:3], 0 offset:224
	buffer_load_dword v122, off, s[0:3], 0 offset:216
	buffer_load_dword v125, off, s[0:3], 0 offset:208
	buffer_load_dword v124, off, s[0:3], 0 offset:228
	buffer_load_dword v123, off, s[0:3], 0 offset:236
	buffer_load_dword v121, off, s[0:3], 0 offset:244
	buffer_load_dword v126, off, s[0:3], 0 offset:264
	buffer_load_dword v127, off, s[0:3], 0 offset:256
	buffer_load_dword v128, off, s[0:3], 0 offset:248
	buffer_load_dword v133, off, s[0:3], 0 offset:240
	buffer_load_dword v132, off, s[0:3], 0 offset:252
	buffer_load_dword v131, off, s[0:3], 0 offset:260
	buffer_load_dword v129, off, s[0:3], 0 offset:268
	buffer_load_dword v130, off, s[0:3], 0 offset:276
	buffer_load_dword v150, off, s[0:3], 0 offset:296
	buffer_load_dword v151, off, s[0:3], 0 offset:300
	buffer_load_dword v152, off, s[0:3], 0 offset:288
	buffer_load_dword v153, off, s[0:3], 0 offset:280
	buffer_load_dword v154, off, s[0:3], 0 offset:272
	v_mov_b32_e32 v1, 0
	ds_read2_b64 v[134:137], v1 offset0:69 offset1:70
	ds_read2_b64 v[138:141], v1 offset0:71 offset1:72
	;; [unrolled: 1-line block ×3, first 2 shown]
	s_clause 0x3
	buffer_load_dword v155, off, s[0:3], 0 offset:284
	buffer_load_dword v156, off, s[0:3], 0 offset:292
	buffer_load_dword v157, off, s[0:3], 0 offset:308
	buffer_load_dword v158, off, s[0:3], 0 offset:148
	ds_read2_b64 v[146:149], v1 offset0:75 offset1:76
	s_mov_b32 s4, exec_lo
	s_waitcnt vmcnt(39) lgkmcnt(3)
	v_mul_f32_e32 v159, v134, v3
	v_mul_f32_e32 v3, v135, v3
	s_waitcnt vmcnt(38)
	v_mul_f32_e32 v160, v136, v4
	v_mul_f32_e32 v4, v137, v4
	s_waitcnt vmcnt(35)
	v_fmac_f32_e32 v159, v135, v110
	v_fma_f32 v161, v134, v110, -v3
	s_waitcnt vmcnt(34) lgkmcnt(2)
	v_mul_f32_e32 v162, v138, v8
	v_mul_f32_e32 v3, v139, v8
	v_fmac_f32_e32 v160, v137, v5
	v_fma_f32 v8, v136, v5, -v4
	ds_read2_b64 v[134:137], v1 offset0:77 offset1:78
	s_waitcnt vmcnt(33)
	v_mul_f32_e32 v4, v141, v6
	v_mul_f32_e32 v163, v140, v6
	v_fmac_f32_e32 v162, v139, v2
	v_fma_f32 v6, v138, v2, -v3
	s_waitcnt vmcnt(32) lgkmcnt(2)
	v_mul_f32_e32 v138, v142, v7
	s_waitcnt vmcnt(28)
	v_fma_f32 v139, v140, v117, -v4
	ds_read2_b64 v[2:5], v1 offset0:79 offset1:80
	v_mul_f32_e32 v7, v143, v7
	s_waitcnt vmcnt(27)
	v_mul_f32_e32 v110, v145, v116
	v_mul_f32_e32 v140, v144, v116
	v_fmac_f32_e32 v163, v141, v117
	s_waitcnt vmcnt(26) lgkmcnt(2)
	v_mul_f32_e32 v141, v146, v113
	v_fma_f32 v7, v142, v115, -v7
	v_fma_f32 v142, v144, v112, -v110
	v_mul_f32_e32 v110, v147, v113
	v_fmac_f32_e32 v140, v145, v112
	v_fmac_f32_e32 v138, v143, v115
	s_waitcnt vmcnt(25)
	v_mul_f32_e32 v143, v148, v114
	v_mul_f32_e32 v112, v149, v114
	v_fma_f32 v145, v146, v111, -v110
	s_waitcnt vmcnt(19) lgkmcnt(1)
	v_mul_f32_e32 v146, v136, v124
	v_mul_f32_e32 v124, v137, v124
	;; [unrolled: 1-line block ×4, first 2 shown]
	v_fmac_f32_e32 v141, v147, v111
	v_fmac_f32_e32 v146, v137, v120
	v_fma_f32 v120, v136, v120, -v124
	s_waitcnt vmcnt(17) lgkmcnt(0)
	v_mul_f32_e32 v124, v4, v121
	v_mul_f32_e32 v121, v5, v121
	v_fmac_f32_e32 v143, v149, v125
	v_fma_f32 v125, v148, v125, -v112
	ds_read2_b64 v[110:113], v1 offset0:81 offset1:82
	ds_read2_b64 v[114:117], v1 offset0:83 offset1:84
	v_fmac_f32_e32 v144, v135, v122
	v_fma_f32 v118, v134, v122, -v118
	s_waitcnt vmcnt(13)
	v_fmac_f32_e32 v124, v5, v133
	v_fma_f32 v121, v4, v133, -v121
	s_clause 0x6
	buffer_load_dword v133, off, s[0:3], 0 offset:304
	buffer_load_dword v134, off, s[0:3], 0 offset:316
	;; [unrolled: 1-line block ×7, first 2 shown]
	v_mul_f32_e32 v122, v2, v123
	v_mul_f32_e32 v123, v3, v123
	v_fmac_f32_e32 v122, v3, v119
	v_fma_f32 v119, v2, v119, -v123
	s_waitcnt vmcnt(19) lgkmcnt(1)
	v_mul_f32_e32 v123, v110, v132
	v_mul_f32_e32 v2, v111, v132
	s_waitcnt vmcnt(16) lgkmcnt(0)
	v_mul_f32_e32 v166, v116, v130
	v_mul_f32_e32 v132, v112, v131
	;; [unrolled: 1-line block ×3, first 2 shown]
	v_fmac_f32_e32 v123, v111, v128
	v_fma_f32 v128, v110, v128, -v2
	v_mul_f32_e32 v2, v117, v130
	s_waitcnt vmcnt(11)
	v_fmac_f32_e32 v166, v117, v154
	v_mul_f32_e32 v131, v114, v129
	v_mul_f32_e32 v4, v115, v129
	s_clause 0x3
	buffer_load_dword v129, off, s[0:3], 0 offset:340
	buffer_load_dword v149, off, s[0:3], 0 offset:348
	buffer_load_dword v164, off, s[0:3], 0 offset:356
	buffer_load_dword v165, off, s[0:3], 0 offset:364
	v_fma_f32 v154, v116, v154, -v2
	v_add_f32_e32 v2, 0, v159
	s_clause 0x3
	buffer_load_dword v130, off, s[0:3], 0 offset:372
	buffer_load_dword v167, off, s[0:3], 0 offset:380
	;; [unrolled: 1-line block ×4, first 2 shown]
	v_fmac_f32_e32 v132, v113, v127
	v_fma_f32 v127, v112, v127, -v3
	v_add_f32_e32 v2, v2, v160
	s_clause 0x3
	buffer_load_dword v159, off, s[0:3], 0 offset:360
	buffer_load_dword v160, off, s[0:3], 0 offset:352
	;; [unrolled: 1-line block ×4, first 2 shown]
	v_add_f32_e32 v3, 0, v161
	v_fmac_f32_e32 v131, v115, v126
	v_fma_f32 v126, v114, v126, -v4
	v_add_f32_e32 v2, v2, v162
	v_add_f32_e32 v3, v3, v8
	;; [unrolled: 1-line block ×3, first 2 shown]
	s_clause 0x3
	buffer_load_dword v8, off, s[0:3], 0 offset:392
	buffer_load_dword v161, off, s[0:3], 0 offset:384
	;; [unrolled: 1-line block ×4, first 2 shown]
	v_add_f32_e32 v3, v3, v6
	ds_read2_b64 v[110:113], v1 offset0:87 offset1:88
	v_add_f32_e32 v2, v2, v138
	v_add_f32_e32 v3, v3, v139
	buffer_load_dword v139, off, s[0:3], 0 offset:144
	v_add_f32_e32 v6, v2, v140
	v_add_f32_e32 v3, v3, v7
	;; [unrolled: 1-line block ×4, first 2 shown]
	ds_read2_b64 v[2:5], v1 offset0:85 offset1:86
	v_add_f32_e32 v6, v6, v143
	v_add_f32_e32 v7, v7, v145
	s_waitcnt vmcnt(25) lgkmcnt(1)
	v_mul_f32_e32 v143, v112, v157
	v_add_f32_e32 v6, v6, v144
	v_add_f32_e32 v7, v7, v125
	v_add_f32_e32 v6, v6, v146
	v_add_f32_e32 v7, v7, v118
	v_add_f32_e32 v6, v6, v122
	v_mul_f32_e32 v122, v111, v151
	v_add_f32_e32 v7, v7, v120
	s_waitcnt lgkmcnt(0)
	v_mul_f32_e32 v138, v2, v155
	v_mul_f32_e32 v114, v3, v155
	v_add_f32_e32 v6, v6, v124
	v_mul_f32_e32 v140, v4, v156
	v_mul_f32_e32 v115, v5, v156
	v_fmac_f32_e32 v138, v3, v153
	v_add_f32_e32 v3, v7, v119
	v_add_f32_e32 v6, v6, v123
	v_fma_f32 v141, v2, v153, -v114
	v_fmac_f32_e32 v140, v5, v152
	v_fma_f32 v142, v4, v152, -v115
	v_add_f32_e32 v7, v3, v121
	v_add_f32_e32 v6, v6, v132
	ds_read2_b64 v[2:5], v1 offset0:89 offset1:90
	ds_read2_b64 v[114:117], v1 offset0:91 offset1:92
	v_fma_f32 v144, v110, v150, -v122
	ds_read2_b64 v[118:121], v1 offset0:93 offset1:94
	ds_read2_b64 v[122:125], v1 offset0:95 offset1:96
	v_add_f32_e32 v7, v7, v128
	v_mul_f32_e32 v128, v110, v151
	v_add_f32_e32 v7, v7, v127
	v_mul_f32_e32 v127, v113, v157
	v_fmac_f32_e32 v128, v111, v150
	v_add_f32_e32 v7, v7, v126
	s_waitcnt vmcnt(23)
	v_fma_f32 v126, v112, v133, -v127
	v_add_f32_e32 v127, v6, v131
	v_add_f32_e32 v131, v7, v154
	s_waitcnt vmcnt(22) lgkmcnt(3)
	v_mul_f32_e32 v132, v2, v134
	v_mul_f32_e32 v134, v3, v134
	v_fmac_f32_e32 v143, v113, v133
	v_add_f32_e32 v127, v127, v166
	v_add_f32_e32 v131, v131, v141
	s_waitcnt vmcnt(21)
	v_mul_f32_e32 v133, v4, v135
	v_mul_f32_e32 v135, v5, v135
	s_waitcnt vmcnt(17)
	v_fma_f32 v2, v2, v148, -v134
	v_add_f32_e32 v127, v127, v138
	v_add_f32_e32 v131, v131, v142
	v_fmac_f32_e32 v132, v3, v148
	s_waitcnt lgkmcnt(2)
	v_mul_f32_e32 v134, v115, v136
	v_fma_f32 v4, v4, v147, -v135
	v_add_f32_e32 v127, v127, v140
	v_add_f32_e32 v131, v131, v144
	v_mul_f32_e32 v138, v114, v136
	v_fmac_f32_e32 v133, v5, v147
	v_fma_f32 v114, v114, v137, -v134
	v_add_f32_e32 v127, v127, v128
	v_add_f32_e32 v126, v131, v126
	v_fmac_f32_e32 v138, v115, v137
	ds_read2_b64 v[110:113], v1 offset0:97 offset1:98
	ds_read_b64 v[6:7], v1 offset:792
	v_add_f32_e32 v127, v127, v143
	v_add_f32_e32 v2, v126, v2
	s_waitcnt vmcnt(16)
	v_mul_f32_e32 v126, v117, v129
	v_mul_f32_e32 v141, v116, v129
	s_waitcnt vmcnt(15) lgkmcnt(3)
	v_mul_f32_e32 v142, v118, v149
	v_add_f32_e32 v5, v127, v132
	v_add_f32_e32 v2, v2, v4
	s_waitcnt vmcnt(14)
	v_mul_f32_e32 v140, v120, v164
	s_waitcnt vmcnt(13) lgkmcnt(2)
	v_mul_f32_e32 v144, v122, v165
	s_waitcnt vmcnt(12)
	v_mul_f32_e32 v3, v124, v130
	v_add_f32_e32 v4, v5, v133
	v_mul_f32_e32 v5, v119, v149
	v_add_f32_e32 v2, v2, v114
	s_waitcnt vmcnt(5)
	v_fma_f32 v115, v116, v171, -v126
	v_fmac_f32_e32 v141, v117, v171
	v_add_f32_e32 v4, v4, v138
	v_mul_f32_e32 v114, v121, v164
	v_fma_f32 v5, v118, v170, -v5
	v_add_f32_e32 v2, v2, v115
	v_fmac_f32_e32 v142, v119, v170
	v_add_f32_e32 v4, v4, v141
	v_mul_f32_e32 v115, v123, v165
	v_fma_f32 v114, v120, v160, -v114
	v_add_f32_e32 v2, v2, v5
	;; [unrolled: 5-line block ×3, first 2 shown]
	v_fmac_f32_e32 v144, v123, v159
	v_add_f32_e32 v4, v4, v140
	s_waitcnt lgkmcnt(1)
	v_mul_f32_e32 v114, v111, v167
	s_waitcnt vmcnt(1)
	v_fma_f32 v5, v124, v163, -v5
	v_add_f32_e32 v2, v2, v115
	v_mul_f32_e32 v128, v110, v167
	v_fmac_f32_e32 v3, v125, v163
	v_add_f32_e32 v4, v4, v144
	v_mul_f32_e32 v115, v113, v168
	v_fma_f32 v110, v110, v162, -v114
	v_add_f32_e32 v2, v2, v5
	v_mul_f32_e32 v131, v112, v168
	v_fmac_f32_e32 v128, v111, v162
	v_add_f32_e32 v3, v4, v3
	s_waitcnt lgkmcnt(0)
	v_mul_f32_e32 v4, v7, v169
	v_fma_f32 v5, v112, v161, -v115
	v_add_f32_e32 v2, v2, v110
	v_mul_f32_e32 v136, v6, v169
	v_fmac_f32_e32 v131, v113, v161
	v_add_f32_e32 v3, v3, v128
	v_fma_f32 v4, v6, v8, -v4
	v_add_f32_e32 v2, v2, v5
	v_fmac_f32_e32 v136, v7, v8
	v_add_f32_e32 v3, v3, v131
	v_add_f32_e32 v2, v2, v4
	;; [unrolled: 1-line block ×3, first 2 shown]
	s_waitcnt vmcnt(0)
	v_sub_f32_e32 v2, v139, v2
	v_sub_f32_e32 v3, v158, v3
	buffer_store_dword v2, off, s[0:3], 0 offset:144
	buffer_store_dword v3, off, s[0:3], 0 offset:148
	v_cmpx_lt_u32_e32 17, v0
	s_cbranch_execz .LBB113_279
; %bb.278:
	s_clause 0x1
	buffer_load_dword v2, off, s[0:3], 0 offset:136
	buffer_load_dword v3, off, s[0:3], 0 offset:140
	buffer_store_dword v1, off, s[0:3], 0 offset:136
	buffer_store_dword v1, off, s[0:3], 0 offset:140
	s_waitcnt vmcnt(0)
	ds_write_b64 v109, v[2:3]
.LBB113_279:
	s_or_b32 exec_lo, exec_lo, s4
	s_waitcnt lgkmcnt(0)
	s_waitcnt_vscnt null, 0x0
	s_barrier
	buffer_gl0_inv
	s_clause 0x23
	buffer_load_dword v3, off, s[0:3], 0 offset:148
	buffer_load_dword v4, off, s[0:3], 0 offset:156
	;; [unrolled: 1-line block ×36, first 2 shown]
	ds_read_b128 v[134:137], v1 offset:544
	ds_read_b128 v[138:141], v1 offset:560
	s_clause 0x1
	buffer_load_dword v155, off, s[0:3], 0 offset:276
	buffer_load_dword v156, off, s[0:3], 0 offset:284
	ds_read_b128 v[142:145], v1 offset:576
	ds_read_b128 v[146:149], v1 offset:592
	buffer_load_dword v157, off, s[0:3], 0 offset:140
	s_mov_b32 s4, exec_lo
	s_waitcnt vmcnt(38) lgkmcnt(3)
	v_mul_f32_e32 v158, v134, v3
	v_mul_f32_e32 v3, v135, v3
	s_waitcnt vmcnt(37)
	v_mul_f32_e32 v159, v136, v4
	v_mul_f32_e32 v4, v137, v4
	s_waitcnt vmcnt(36) lgkmcnt(2)
	v_mul_f32_e32 v160, v138, v5
	s_waitcnt vmcnt(33)
	v_fmac_f32_e32 v158, v135, v8
	v_fma_f32 v8, v134, v8, -v3
	v_mul_f32_e32 v3, v139, v5
	s_waitcnt vmcnt(32)
	v_mul_f32_e32 v5, v141, v7
	v_mul_f32_e32 v161, v140, v7
	v_fmac_f32_e32 v159, v137, v6
	v_fma_f32 v6, v136, v6, -v4
	v_fmac_f32_e32 v160, v139, v2
	v_fma_f32 v7, v138, v2, -v3
	s_waitcnt vmcnt(28)
	v_fma_f32 v138, v140, v117, -v5
	ds_read_b128 v[2:5], v1 offset:608
	ds_read_b128 v[134:137], v1 offset:624
	s_waitcnt vmcnt(27) lgkmcnt(3)
	v_mul_f32_e32 v139, v142, v116
	v_mul_f32_e32 v116, v143, v116
	v_fmac_f32_e32 v161, v141, v117
	s_waitcnt vmcnt(26)
	v_mul_f32_e32 v140, v144, v115
	v_mul_f32_e32 v115, v145, v115
	s_waitcnt vmcnt(25) lgkmcnt(2)
	v_mul_f32_e32 v141, v146, v113
	v_fmac_f32_e32 v139, v143, v112
	v_fma_f32 v142, v142, v112, -v116
	s_waitcnt vmcnt(24)
	v_mul_f32_e32 v143, v148, v114
	v_mul_f32_e32 v112, v147, v113
	;; [unrolled: 1-line block ×3, first 2 shown]
	v_fmac_f32_e32 v140, v145, v111
	v_fma_f32 v144, v144, v111, -v115
	v_fmac_f32_e32 v141, v147, v110
	s_waitcnt vmcnt(20)
	v_fmac_f32_e32 v143, v149, v125
	v_fma_f32 v145, v146, v110, -v112
	v_fma_f32 v125, v148, v125, -v113
	ds_read_b128 v[110:113], v1 offset:640
	ds_read_b128 v[114:117], v1 offset:656
	s_waitcnt vmcnt(19) lgkmcnt(3)
	v_mul_f32_e32 v146, v2, v123
	s_waitcnt vmcnt(18)
	v_mul_f32_e32 v147, v4, v124
	v_mul_f32_e32 v123, v3, v123
	;; [unrolled: 1-line block ×3, first 2 shown]
	buffer_load_dword v148, off, s[0:3], 0 offset:300
	v_fmac_f32_e32 v146, v3, v122
	v_fmac_f32_e32 v147, v5, v121
	v_fma_f32 v122, v2, v122, -v123
	v_fma_f32 v121, v4, v121, -v124
	s_clause 0x3
	buffer_load_dword v149, off, s[0:3], 0 offset:320
	buffer_load_dword v162, off, s[0:3], 0 offset:312
	;; [unrolled: 1-line block ×4, first 2 shown]
	s_waitcnt vmcnt(22) lgkmcnt(2)
	v_mul_f32_e32 v124, v134, v120
	v_mul_f32_e32 v2, v135, v120
	s_waitcnt vmcnt(21)
	v_mul_f32_e32 v3, v137, v119
	v_mul_f32_e32 v120, v136, v119
	v_fmac_f32_e32 v124, v135, v118
	v_fma_f32 v118, v134, v118, -v2
	buffer_load_dword v134, off, s[0:3], 0 offset:308
	s_waitcnt vmcnt(18)
	v_fma_f32 v119, v136, v133, -v3
	s_waitcnt vmcnt(17) lgkmcnt(1)
	v_mul_f32_e32 v136, v110, v131
	v_mul_f32_e32 v2, v111, v131
	v_fmac_f32_e32 v120, v137, v133
	s_clause 0x1
	buffer_load_dword v133, off, s[0:3], 0 offset:316
	buffer_load_dword v135, off, s[0:3], 0 offset:324
	s_waitcnt vmcnt(18)
	v_mul_f32_e32 v137, v112, v132
	v_mul_f32_e32 v3, v113, v132
	v_fmac_f32_e32 v136, v111, v129
	v_fma_f32 v129, v110, v129, -v2
	s_waitcnt vmcnt(16) lgkmcnt(0)
	v_mul_f32_e32 v2, v117, v128
	v_fmac_f32_e32 v137, v113, v127
	v_fma_f32 v127, v112, v127, -v3
	v_mul_f32_e32 v166, v116, v128
	v_add_f32_e32 v3, 0, v8
	s_waitcnt vmcnt(11)
	v_fma_f32 v128, v116, v154, -v2
	v_add_f32_e32 v2, 0, v158
	v_mul_f32_e32 v131, v114, v130
	v_mul_f32_e32 v4, v115, v130
	s_clause 0x5
	buffer_load_dword v130, off, s[0:3], 0 offset:332
	buffer_load_dword v132, off, s[0:3], 0 offset:340
	;; [unrolled: 1-line block ×6, first 2 shown]
	v_fmac_f32_e32 v166, v117, v154
	s_clause 0x2
	buffer_load_dword v154, off, s[0:3], 0 offset:380
	buffer_load_dword v169, off, s[0:3], 0 offset:388
	;; [unrolled: 1-line block ×3, first 2 shown]
	v_add_f32_e32 v2, v2, v159
	v_add_f32_e32 v3, v3, v6
	s_clause 0x3
	buffer_load_dword v6, off, s[0:3], 0 offset:352
	buffer_load_dword v158, off, s[0:3], 0 offset:344
	;; [unrolled: 1-line block ×4, first 2 shown]
	v_fmac_f32_e32 v131, v115, v126
	v_fma_f32 v126, v114, v126, -v4
	v_add_f32_e32 v2, v2, v160
	v_add_f32_e32 v3, v3, v7
	;; [unrolled: 1-line block ×4, first 2 shown]
	s_clause 0x3
	buffer_load_dword v7, off, s[0:3], 0 offset:384
	buffer_load_dword v138, off, s[0:3], 0 offset:376
	;; [unrolled: 1-line block ×4, first 2 shown]
	v_add_f32_e32 v2, v2, v139
	buffer_load_dword v139, off, s[0:3], 0 offset:392
	v_add_f32_e32 v3, v3, v142
	buffer_load_dword v142, off, s[0:3], 0 offset:136
	v_add_f32_e32 v2, v2, v140
	v_add_f32_e32 v3, v3, v144
	;; [unrolled: 1-line block ×4, first 2 shown]
	ds_read_b128 v[2:5], v1 offset:672
	v_add_f32_e32 v110, v110, v143
	v_add_f32_e32 v111, v111, v125
	;; [unrolled: 1-line block ×4, first 2 shown]
	ds_read_b128 v[110:113], v1 offset:688
	v_add_f32_e32 v114, v114, v147
	v_add_f32_e32 v115, v115, v121
	;; [unrolled: 1-line block ×4, first 2 shown]
	s_waitcnt vmcnt(29) lgkmcnt(1)
	v_mul_f32_e32 v140, v2, v155
	v_mul_f32_e32 v116, v3, v155
	s_waitcnt vmcnt(28)
	v_mul_f32_e32 v141, v4, v156
	v_mul_f32_e32 v117, v5, v156
	v_add_f32_e32 v120, v114, v120
	v_fmac_f32_e32 v140, v3, v153
	v_fma_f32 v143, v2, v153, -v116
	v_fmac_f32_e32 v141, v5, v152
	v_fma_f32 v144, v4, v152, -v117
	ds_read_b128 v[2:5], v1 offset:704
	ds_read_b128 v[114:117], v1 offset:720
	v_add_f32_e32 v118, v118, v119
	s_waitcnt lgkmcnt(2)
	v_mul_f32_e32 v145, v110, v151
	v_add_f32_e32 v119, v120, v136
	v_mul_f32_e32 v120, v111, v151
	v_add_f32_e32 v118, v118, v129
	v_fmac_f32_e32 v145, v111, v150
	v_add_f32_e32 v111, v119, v137
	v_fma_f32 v136, v110, v150, -v120
	v_add_f32_e32 v122, v118, v127
	v_add_f32_e32 v126, v122, v126
	s_waitcnt vmcnt(26)
	v_mul_f32_e32 v146, v112, v148
	v_mul_f32_e32 v121, v113, v148
	s_waitcnt vmcnt(22)
	v_fmac_f32_e32 v146, v113, v123
	v_fma_f32 v137, v112, v123, -v121
	v_add_f32_e32 v123, v111, v131
	ds_read_b128 v[110:113], v1 offset:736
	ds_read_b128 v[118:121], v1 offset:752
	v_add_f32_e32 v129, v123, v166
	s_waitcnt vmcnt(21) lgkmcnt(3)
	v_mul_f32_e32 v131, v2, v134
	v_mul_f32_e32 v127, v3, v134
	v_add_f32_e32 v134, v126, v128
	ds_read_b128 v[122:125], v1 offset:768
	v_fmac_f32_e32 v131, v3, v163
	v_fma_f32 v2, v2, v163, -v127
	v_add_f32_e32 v3, v129, v140
	ds_read_b128 v[126:129], v1 offset:784
	v_add_f32_e32 v1, v134, v143
	s_waitcnt vmcnt(20)
	v_mul_f32_e32 v134, v4, v133
	v_mul_f32_e32 v133, v5, v133
	v_add_f32_e32 v3, v3, v141
	s_waitcnt vmcnt(19) lgkmcnt(4)
	v_mul_f32_e32 v140, v114, v135
	v_add_f32_e32 v1, v1, v144
	v_mul_f32_e32 v135, v115, v135
	v_fma_f32 v4, v4, v162, -v133
	v_add_f32_e32 v3, v3, v145
	v_fmac_f32_e32 v134, v5, v162
	v_add_f32_e32 v1, v1, v136
	s_waitcnt vmcnt(18)
	v_mul_f32_e32 v141, v116, v130
	v_mul_f32_e32 v130, v117, v130
	v_add_f32_e32 v3, v3, v146
	v_fma_f32 v114, v114, v149, -v135
	v_add_f32_e32 v1, v1, v137
	v_fmac_f32_e32 v140, v115, v149
	s_waitcnt vmcnt(6)
	v_fma_f32 v115, v116, v170, -v130
	s_waitcnt lgkmcnt(3)
	v_mul_f32_e32 v5, v110, v132
	v_fmac_f32_e32 v141, v117, v170
	v_add_f32_e32 v1, v1, v2
	v_add_f32_e32 v2, v3, v131
	v_mul_f32_e32 v133, v112, v164
	v_fmac_f32_e32 v5, v111, v159
	s_waitcnt lgkmcnt(2)
	v_mul_f32_e32 v136, v118, v165
	v_add_f32_e32 v1, v1, v4
	v_add_f32_e32 v2, v2, v134
	v_mul_f32_e32 v4, v111, v132
	v_fmac_f32_e32 v133, v113, v158
	v_mul_f32_e32 v143, v120, v167
	v_add_f32_e32 v1, v1, v114
	v_add_f32_e32 v2, v2, v140
	v_mul_f32_e32 v114, v113, v164
	v_fma_f32 v4, v110, v159, -v4
	v_mul_f32_e32 v110, v119, v165
	v_add_f32_e32 v1, v1, v115
	v_add_f32_e32 v2, v2, v141
	v_fma_f32 v111, v112, v158, -v114
	v_fmac_f32_e32 v136, v119, v6
	s_waitcnt lgkmcnt(1)
	v_mul_f32_e32 v144, v122, v168
	v_add_f32_e32 v1, v1, v4
	v_add_f32_e32 v2, v2, v5
	v_mul_f32_e32 v4, v121, v167
	v_fma_f32 v5, v118, v6, -v110
	v_mul_f32_e32 v6, v123, v168
	v_add_f32_e32 v1, v1, v111
	v_add_f32_e32 v2, v2, v133
	s_waitcnt vmcnt(2)
	v_fma_f32 v4, v120, v161, -v4
	v_fmac_f32_e32 v143, v121, v161
	v_fma_f32 v6, v122, v160, -v6
	v_add_f32_e32 v1, v1, v5
	v_add_f32_e32 v2, v2, v136
	v_mul_f32_e32 v5, v125, v154
	v_mul_f32_e32 v137, v124, v154
	v_fmac_f32_e32 v144, v123, v160
	v_add_f32_e32 v1, v1, v4
	v_add_f32_e32 v2, v2, v143
	s_waitcnt lgkmcnt(0)
	v_mul_f32_e32 v4, v127, v169
	v_fma_f32 v5, v124, v138, -v5
	v_mul_f32_e32 v145, v126, v169
	v_add_f32_e32 v1, v1, v6
	v_fmac_f32_e32 v137, v125, v138
	v_add_f32_e32 v2, v2, v144
	v_mul_f32_e32 v6, v129, v8
	v_fma_f32 v4, v126, v7, -v4
	v_add_f32_e32 v1, v1, v5
	v_mul_f32_e32 v3, v128, v8
	v_fmac_f32_e32 v145, v127, v7
	v_add_f32_e32 v2, v2, v137
	s_waitcnt vmcnt(1)
	v_fma_f32 v5, v128, v139, -v6
	v_add_f32_e32 v1, v1, v4
	v_fmac_f32_e32 v3, v129, v139
	v_add_f32_e32 v2, v2, v145
	v_add_f32_e32 v1, v1, v5
	;; [unrolled: 1-line block ×3, first 2 shown]
	s_waitcnt vmcnt(0)
	v_sub_f32_e32 v1, v142, v1
	v_sub_f32_e32 v2, v157, v2
	buffer_store_dword v1, off, s[0:3], 0 offset:136
	buffer_store_dword v2, off, s[0:3], 0 offset:140
	v_cmpx_lt_u32_e32 16, v0
	s_cbranch_execz .LBB113_281
; %bb.280:
	s_clause 0x1
	buffer_load_dword v1, off, s[0:3], 0 offset:128
	buffer_load_dword v2, off, s[0:3], 0 offset:132
	v_mov_b32_e32 v3, 0
	buffer_store_dword v3, off, s[0:3], 0 offset:128
	buffer_store_dword v3, off, s[0:3], 0 offset:132
	s_waitcnt vmcnt(0)
	ds_write_b64 v109, v[1:2]
.LBB113_281:
	s_or_b32 exec_lo, exec_lo, s4
	s_waitcnt lgkmcnt(0)
	s_waitcnt_vscnt null, 0x0
	s_barrier
	buffer_gl0_inv
	s_clause 0x23
	buffer_load_dword v111, off, s[0:3], 0 offset:140
	buffer_load_dword v113, off, s[0:3], 0 offset:148
	;; [unrolled: 1-line block ×36, first 2 shown]
	v_mov_b32_e32 v110, 0
	ds_read2_b64 v[5:8], v110 offset0:67 offset1:68
	ds_read2_b64 v[1:4], v110 offset0:69 offset1:70
	buffer_load_dword v155, off, s[0:3], 0 offset:132
	ds_read2_b64 v[147:150], v110 offset0:71 offset1:72
	ds_read2_b64 v[151:154], v110 offset0:73 offset1:74
	s_mov_b32 s4, exec_lo
	s_waitcnt vmcnt(36) lgkmcnt(3)
	v_mul_f32_e32 v156, v5, v111
	s_waitcnt vmcnt(35)
	v_mul_f32_e32 v157, v7, v113
	v_mul_f32_e32 v111, v6, v111
	v_mul_f32_e32 v113, v8, v113
	s_waitcnt vmcnt(34) lgkmcnt(2)
	v_mul_f32_e32 v158, v1, v114
	v_mul_f32_e32 v114, v2, v114
	s_waitcnt vmcnt(30)
	v_mul_f32_e32 v159, v3, v115
	v_mul_f32_e32 v115, v4, v115
	v_fmac_f32_e32 v156, v6, v117
	v_fmac_f32_e32 v157, v8, v116
	v_fma_f32 v117, v5, v117, -v111
	v_fma_f32 v116, v7, v116, -v113
	ds_read2_b64 v[5:8], v110 offset0:75 offset1:76
	v_fmac_f32_e32 v158, v2, v112
	v_fma_f32 v160, v1, v112, -v114
	ds_read2_b64 v[111:114], v110 offset0:77 offset1:78
	s_waitcnt vmcnt(26)
	v_fmac_f32_e32 v159, v4, v126
	v_fma_f32 v115, v3, v126, -v115
	s_waitcnt vmcnt(25) lgkmcnt(3)
	v_mul_f32_e32 v126, v147, v124
	s_waitcnt vmcnt(24)
	v_mul_f32_e32 v161, v149, v125
	v_mul_f32_e32 v1, v148, v124
	;; [unrolled: 1-line block ×3, first 2 shown]
	s_clause 0x1
	buffer_load_dword v124, off, s[0:3], 0 offset:276
	buffer_load_dword v125, off, s[0:3], 0 offset:284
	v_fmac_f32_e32 v126, v148, v121
	v_fmac_f32_e32 v161, v150, v119
	v_fma_f32 v121, v147, v121, -v1
	v_fma_f32 v119, v149, v119, -v2
	ds_read2_b64 v[1:4], v110 offset0:79 offset1:80
	s_waitcnt vmcnt(25) lgkmcnt(3)
	v_mul_f32_e32 v147, v151, v122
	v_mul_f32_e32 v122, v152, v122
	s_waitcnt vmcnt(24)
	v_mul_f32_e32 v148, v153, v120
	v_mul_f32_e32 v120, v154, v120
	s_waitcnt vmcnt(23) lgkmcnt(2)
	v_mul_f32_e32 v149, v5, v123
	v_fmac_f32_e32 v147, v152, v118
	v_fma_f32 v118, v151, v118, -v122
	s_waitcnt vmcnt(22)
	v_mul_f32_e32 v122, v7, v127
	v_mul_f32_e32 v123, v6, v123
	;; [unrolled: 1-line block ×3, first 2 shown]
	s_waitcnt vmcnt(18)
	v_fma_f32 v120, v153, v134, -v120
	v_fmac_f32_e32 v149, v6, v132
	v_fmac_f32_e32 v122, v8, v131
	v_fma_f32 v123, v5, v132, -v123
	v_fma_f32 v127, v7, v131, -v127
	s_clause 0x5
	buffer_load_dword v131, off, s[0:3], 0 offset:292
	buffer_load_dword v132, off, s[0:3], 0 offset:300
	;; [unrolled: 1-line block ×6, first 2 shown]
	v_fmac_f32_e32 v148, v154, v134
	s_waitcnt vmcnt(23) lgkmcnt(1)
	v_mul_f32_e32 v134, v111, v133
	v_mul_f32_e32 v133, v112, v133
	s_waitcnt vmcnt(22)
	v_mul_f32_e32 v154, v113, v129
	v_mul_f32_e32 v129, v114, v129
	ds_read2_b64 v[5:8], v110 offset0:81 offset1:82
	v_fmac_f32_e32 v134, v112, v128
	v_fma_f32 v111, v111, v128, -v133
	s_waitcnt vmcnt(18)
	v_fmac_f32_e32 v154, v114, v145
	v_fma_f32 v112, v113, v145, -v129
	s_waitcnt vmcnt(17) lgkmcnt(1)
	v_mul_f32_e32 v113, v1, v143
	v_mul_f32_e32 v114, v2, v143
	s_clause 0x1
	buffer_load_dword v133, off, s[0:3], 0 offset:308
	buffer_load_dword v143, off, s[0:3], 0 offset:316
	v_add_f32_e32 v117, 0, v117
	s_waitcnt vmcnt(18)
	v_mul_f32_e32 v128, v3, v144
	v_mul_f32_e32 v129, v4, v144
	v_fma_f32 v114, v1, v140, -v114
	v_add_f32_e32 v1, 0, v156
	v_add_f32_e32 v116, v117, v116
	v_fmac_f32_e32 v113, v2, v140
	v_fmac_f32_e32 v128, v4, v139
	v_fma_f32 v129, v3, v139, -v129
	v_add_f32_e32 v156, v1, v157
	s_clause 0x3
	buffer_load_dword v139, off, s[0:3], 0 offset:324
	buffer_load_dword v140, off, s[0:3], 0 offset:332
	;; [unrolled: 1-line block ×4, first 2 shown]
	ds_read2_b64 v[1:4], v110 offset0:83 offset1:84
	s_waitcnt vmcnt(21) lgkmcnt(1)
	v_mul_f32_e32 v157, v5, v138
	v_mul_f32_e32 v117, v6, v138
	v_add_f32_e32 v138, v156, v158
	s_waitcnt vmcnt(20)
	v_mul_f32_e32 v156, v7, v137
	v_mul_f32_e32 v137, v8, v137
	v_fmac_f32_e32 v157, v6, v135
	v_fma_f32 v135, v5, v135, -v117
	v_add_f32_e32 v5, v138, v159
	v_add_f32_e32 v116, v116, v160
	s_clause 0x3
	buffer_load_dword v138, off, s[0:3], 0 offset:356
	buffer_load_dword v158, off, s[0:3], 0 offset:364
	;; [unrolled: 1-line block ×4, first 2 shown]
	s_waitcnt vmcnt(20)
	v_fmac_f32_e32 v156, v8, v146
	v_fma_f32 v137, v7, v146, -v137
	v_add_f32_e32 v5, v5, v126
	s_clause 0x5
	buffer_load_dword v146, off, s[0:3], 0 offset:388
	buffer_load_dword v126, off, s[0:3], 0 offset:344
	;; [unrolled: 1-line block ×6, first 2 shown]
	v_add_f32_e32 v6, v116, v115
	v_add_f32_e32 v5, v5, v161
	s_waitcnt vmcnt(25) lgkmcnt(0)
	v_mul_f32_e32 v117, v2, v142
	v_add_f32_e32 v6, v6, v121
	v_add_f32_e32 v116, v5, v147
	v_mul_f32_e32 v147, v1, v142
	v_add_f32_e32 v115, v6, v119
	ds_read2_b64 v[5:8], v110 offset0:85 offset1:86
	v_add_f32_e32 v116, v116, v148
	v_fmac_f32_e32 v147, v2, v141
	v_fma_f32 v119, v1, v141, -v117
	v_add_f32_e32 v115, v115, v118
	v_add_f32_e32 v2, v116, v149
	s_clause 0x5
	buffer_load_dword v141, off, s[0:3], 0 offset:376
	buffer_load_dword v142, off, s[0:3], 0 offset:368
	;; [unrolled: 1-line block ×6, first 2 shown]
	v_add_f32_e32 v1, v115, v120
	v_add_f32_e32 v2, v2, v122
	v_add_f32_e32 v1, v1, v123
	v_add_f32_e32 v115, v2, v134
	v_add_f32_e32 v1, v1, v127
	buffer_load_dword v127, off, s[0:3], 0 offset:128
	v_add_f32_e32 v115, v115, v154
	v_add_f32_e32 v111, v1, v111
	;; [unrolled: 1-line block ×6, first 2 shown]
	ds_read2_b64 v[111:114], v110 offset0:89 offset1:90
	v_add_f32_e32 v121, v121, v157
	v_add_f32_e32 v120, v117, v129
	;; [unrolled: 1-line block ×4, first 2 shown]
	s_waitcnt vmcnt(30)
	v_mul_f32_e32 v134, v3, v124
	v_mul_f32_e32 v2, v4, v124
	s_waitcnt vmcnt(29) lgkmcnt(1)
	v_mul_f32_e32 v116, v6, v125
	v_fmac_f32_e32 v134, v4, v136
	v_fma_f32 v123, v3, v136, -v2
	ds_read2_b64 v[1:4], v110 offset0:87 offset1:88
	v_mul_f32_e32 v136, v5, v125
	v_fmac_f32_e32 v136, v6, v130
	v_fma_f32 v130, v5, v130, -v116
	s_waitcnt vmcnt(28)
	v_mul_f32_e32 v125, v7, v131
	v_mul_f32_e32 v118, v8, v131
	s_waitcnt vmcnt(23)
	v_fmac_f32_e32 v125, v8, v153
	v_fma_f32 v129, v7, v153, -v118
	ds_read2_b64 v[5:8], v110 offset0:91 offset1:92
	ds_read2_b64 v[115:118], v110 offset0:93 offset1:94
	s_waitcnt lgkmcnt(2)
	v_mul_f32_e32 v122, v2, v132
	v_mul_f32_e32 v128, v1, v132
	v_fma_f32 v132, v1, v152, -v122
	v_add_f32_e32 v1, v121, v156
	s_waitcnt vmcnt(22)
	v_mul_f32_e32 v131, v3, v133
	v_mul_f32_e32 v124, v4, v133
	v_add_f32_e32 v133, v120, v119
	v_fmac_f32_e32 v128, v2, v152
	v_add_f32_e32 v137, v1, v147
	v_fmac_f32_e32 v131, v4, v151
	v_fma_f32 v135, v3, v151, -v124
	v_add_f32_e32 v133, v133, v123
	s_waitcnt vmcnt(21)
	v_mul_f32_e32 v147, v111, v143
	v_add_f32_e32 v134, v137, v134
	s_waitcnt vmcnt(20)
	v_mul_f32_e32 v137, v113, v139
	v_mul_f32_e32 v139, v114, v139
	v_add_f32_e32 v130, v133, v130
	v_mul_f32_e32 v133, v112, v143
	v_add_f32_e32 v134, v134, v136
	v_fmac_f32_e32 v147, v112, v150
	ds_read2_b64 v[119:122], v110 offset0:95 offset1:96
	ds_read2_b64 v[1:4], v110 offset0:97 offset1:98
	v_add_f32_e32 v129, v130, v129
	v_add_f32_e32 v125, v134, v125
	v_fma_f32 v111, v111, v150, -v133
	s_waitcnt vmcnt(19) lgkmcnt(3)
	v_mul_f32_e32 v136, v5, v140
	s_waitcnt vmcnt(18)
	v_mul_f32_e32 v130, v7, v144
	v_add_f32_e32 v129, v129, v132
	v_add_f32_e32 v125, v125, v128
	s_waitcnt vmcnt(17) lgkmcnt(2)
	v_mul_f32_e32 v143, v115, v145
	s_waitcnt vmcnt(9)
	v_fmac_f32_e32 v136, v6, v163
	s_waitcnt vmcnt(8)
	v_fma_f32 v113, v113, v164, -v139
	v_add_f32_e32 v129, v129, v135
	v_add_f32_e32 v125, v125, v131
	v_mul_f32_e32 v135, v6, v140
	v_fmac_f32_e32 v137, v114, v164
	v_fmac_f32_e32 v130, v8, v162
	v_add_f32_e32 v111, v129, v111
	v_add_f32_e32 v114, v125, v147
	v_mul_f32_e32 v125, v8, v144
	v_fma_f32 v5, v5, v163, -v135
	v_mul_f32_e32 v8, v118, v138
	v_add_f32_e32 v6, v111, v113
	v_add_f32_e32 v111, v114, v137
	v_mul_f32_e32 v113, v116, v145
	v_fma_f32 v7, v7, v162, -v125
	v_mul_f32_e32 v134, v117, v138
	v_add_f32_e32 v5, v6, v5
	v_add_f32_e32 v6, v111, v136
	v_fma_f32 v111, v115, v126, -v113
	v_fmac_f32_e32 v143, v116, v126
	ds_read_b64 v[123:124], v110 offset:792
	v_add_f32_e32 v5, v5, v7
	v_add_f32_e32 v6, v6, v130
	s_waitcnt lgkmcnt(2)
	v_mul_f32_e32 v7, v120, v158
	s_waitcnt vmcnt(3)
	v_fma_f32 v8, v117, v149, -v8
	v_mul_f32_e32 v132, v119, v158
	v_add_f32_e32 v5, v5, v111
	v_fmac_f32_e32 v134, v118, v149
	v_add_f32_e32 v6, v6, v143
	v_mul_f32_e32 v111, v122, v159
	v_fma_f32 v7, v119, v148, -v7
	v_add_f32_e32 v5, v5, v8
	v_mul_f32_e32 v112, v121, v159
	v_fmac_f32_e32 v132, v120, v148
	v_add_f32_e32 v6, v6, v134
	s_waitcnt lgkmcnt(1)
	v_mul_f32_e32 v128, v1, v160
	v_mul_f32_e32 v8, v2, v160
	v_fma_f32 v111, v121, v142, -v111
	v_add_f32_e32 v5, v5, v7
	v_fmac_f32_e32 v112, v122, v142
	v_add_f32_e32 v6, v6, v132
	v_mul_f32_e32 v7, v4, v146
	v_fmac_f32_e32 v128, v2, v141
	v_fma_f32 v1, v1, v141, -v8
	v_add_f32_e32 v2, v5, v111
	v_mul_f32_e32 v133, v3, v146
	v_add_f32_e32 v5, v6, v112
	s_waitcnt lgkmcnt(0)
	v_mul_f32_e32 v6, v124, v165
	s_waitcnt vmcnt(1)
	v_fma_f32 v3, v3, v166, -v7
	v_add_f32_e32 v1, v2, v1
	v_mul_f32_e32 v131, v123, v165
	v_fmac_f32_e32 v133, v4, v166
	v_add_f32_e32 v2, v5, v128
	v_fma_f32 v4, v123, v161, -v6
	v_add_f32_e32 v1, v1, v3
	v_fmac_f32_e32 v131, v124, v161
	v_add_f32_e32 v2, v2, v133
	v_add_f32_e32 v1, v1, v4
	;; [unrolled: 1-line block ×3, first 2 shown]
	s_waitcnt vmcnt(0)
	v_sub_f32_e32 v1, v127, v1
	v_sub_f32_e32 v2, v155, v2
	buffer_store_dword v1, off, s[0:3], 0 offset:128
	buffer_store_dword v2, off, s[0:3], 0 offset:132
	v_cmpx_lt_u32_e32 15, v0
	s_cbranch_execz .LBB113_283
; %bb.282:
	s_clause 0x1
	buffer_load_dword v1, off, s[0:3], 0 offset:120
	buffer_load_dword v2, off, s[0:3], 0 offset:124
	buffer_store_dword v110, off, s[0:3], 0 offset:120
	buffer_store_dword v110, off, s[0:3], 0 offset:124
	s_waitcnt vmcnt(0)
	ds_write_b64 v109, v[1:2]
.LBB113_283:
	s_or_b32 exec_lo, exec_lo, s4
	s_waitcnt lgkmcnt(0)
	s_waitcnt_vscnt null, 0x0
	s_barrier
	buffer_gl0_inv
	s_clause 0x23
	buffer_load_dword v145, off, s[0:3], 0 offset:132
	buffer_load_dword v146, off, s[0:3], 0 offset:140
	;; [unrolled: 1-line block ×36, first 2 shown]
	ds_read_b128 v[5:8], v110 offset:528
	ds_read_b128 v[1:4], v110 offset:544
	;; [unrolled: 1-line block ×3, first 2 shown]
	s_clause 0x1
	buffer_load_dword v155, off, s[0:3], 0 offset:268
	buffer_load_dword v156, off, s[0:3], 0 offset:276
	ds_read_b128 v[151:154], v110 offset:576
	buffer_load_dword v159, off, s[0:3], 0 offset:124
	s_mov_b32 s4, exec_lo
	s_waitcnt vmcnt(38) lgkmcnt(3)
	v_mul_f32_e32 v157, v5, v145
	s_waitcnt vmcnt(37)
	v_mul_f32_e32 v158, v7, v146
	v_mul_f32_e32 v145, v6, v145
	;; [unrolled: 1-line block ×3, first 2 shown]
	s_waitcnt vmcnt(34)
	v_fmac_f32_e32 v157, v6, v117
	v_fmac_f32_e32 v158, v8, v116
	v_fma_f32 v117, v5, v117, -v145
	v_fma_f32 v116, v7, v116, -v146
	ds_read_b128 v[5:8], v110 offset:592
	s_waitcnt vmcnt(33) lgkmcnt(3)
	v_mul_f32_e32 v145, v1, v114
	v_mul_f32_e32 v114, v2, v114
	s_waitcnt vmcnt(32)
	v_mul_f32_e32 v146, v3, v113
	v_mul_f32_e32 v113, v4, v113
	s_waitcnt vmcnt(31) lgkmcnt(2)
	v_mul_f32_e32 v160, v147, v112
	v_fmac_f32_e32 v145, v2, v111
	v_fma_f32 v161, v1, v111, -v114
	s_waitcnt vmcnt(30)
	v_mul_f32_e32 v162, v149, v115
	v_mul_f32_e32 v111, v148, v112
	;; [unrolled: 1-line block ×3, first 2 shown]
	s_waitcnt vmcnt(26)
	v_fmac_f32_e32 v146, v4, v123
	v_fma_f32 v115, v3, v123, -v113
	ds_read_b128 v[1:4], v110 offset:608
	v_fmac_f32_e32 v160, v148, v122
	v_fma_f32 v122, v147, v122, -v111
	s_waitcnt vmcnt(25) lgkmcnt(2)
	v_mul_f32_e32 v123, v151, v119
	s_waitcnt vmcnt(24)
	v_mul_f32_e32 v147, v153, v120
	v_mul_f32_e32 v119, v152, v119
	;; [unrolled: 1-line block ×3, first 2 shown]
	v_fmac_f32_e32 v162, v150, v121
	v_fma_f32 v121, v149, v121, -v112
	ds_read_b128 v[111:114], v110 offset:624
	v_fmac_f32_e32 v123, v152, v118
	s_waitcnt vmcnt(19)
	v_fmac_f32_e32 v147, v154, v134
	v_fma_f32 v118, v151, v118, -v119
	v_fma_f32 v119, v153, v134, -v120
	s_clause 0x4
	buffer_load_dword v120, off, s[0:3], 0 offset:284
	buffer_load_dword v134, off, s[0:3], 0 offset:304
	;; [unrolled: 1-line block ×5, first 2 shown]
	s_waitcnt lgkmcnt(2)
	v_mul_f32_e32 v148, v5, v124
	v_mul_f32_e32 v124, v6, v124
	s_waitcnt vmcnt(23)
	v_mul_f32_e32 v152, v7, v130
	v_mul_f32_e32 v130, v8, v130
	v_fmac_f32_e32 v148, v6, v129
	v_fma_f32 v5, v5, v129, -v124
	s_waitcnt vmcnt(22) lgkmcnt(1)
	v_mul_f32_e32 v124, v1, v127
	v_fmac_f32_e32 v152, v8, v126
	v_fma_f32 v126, v7, v126, -v130
	s_waitcnt vmcnt(21)
	v_mul_f32_e32 v129, v3, v128
	v_mul_f32_e32 v6, v2, v127
	;; [unrolled: 1-line block ×3, first 2 shown]
	s_clause 0x2
	buffer_load_dword v127, off, s[0:3], 0 offset:292
	buffer_load_dword v128, off, s[0:3], 0 offset:300
	;; [unrolled: 1-line block ×3, first 2 shown]
	v_fmac_f32_e32 v124, v2, v125
	s_waitcnt vmcnt(20)
	v_fmac_f32_e32 v129, v4, v143
	v_fma_f32 v125, v1, v125, -v6
	v_fma_f32 v143, v3, v143, -v7
	ds_read_b128 v[1:4], v110 offset:640
	v_add_f32_e32 v6, 0, v157
	v_add_f32_e32 v7, 0, v117
	s_waitcnt vmcnt(19) lgkmcnt(1)
	v_mul_f32_e32 v153, v111, v140
	s_waitcnt vmcnt(18)
	v_mul_f32_e32 v154, v113, v141
	v_mul_f32_e32 v8, v112, v140
	v_add_f32_e32 v6, v6, v158
	v_mul_f32_e32 v117, v114, v141
	v_add_f32_e32 v7, v7, v116
	v_fmac_f32_e32 v153, v112, v138
	v_fmac_f32_e32 v154, v114, v137
	v_add_f32_e32 v6, v6, v145
	v_fma_f32 v111, v111, v138, -v8
	v_fma_f32 v116, v113, v137, -v117
	v_add_f32_e32 v7, v7, v161
	s_clause 0x7
	buffer_load_dword v137, off, s[0:3], 0 offset:316
	buffer_load_dword v138, off, s[0:3], 0 offset:324
	;; [unrolled: 1-line block ×8, first 2 shown]
	v_add_f32_e32 v6, v6, v146
	v_add_f32_e32 v7, v7, v115
	s_waitcnt vmcnt(25) lgkmcnt(0)
	v_mul_f32_e32 v8, v2, v135
	v_mul_f32_e32 v117, v1, v135
	s_clause 0x3
	buffer_load_dword v135, off, s[0:3], 0 offset:348
	buffer_load_dword v146, off, s[0:3], 0 offset:356
	;; [unrolled: 1-line block ×4, first 2 shown]
	v_fma_f32 v115, v1, v132, -v8
	v_add_f32_e32 v1, v6, v160
	v_fmac_f32_e32 v117, v2, v132
	v_add_f32_e32 v6, v7, v122
	s_waitcnt vmcnt(28)
	v_mul_f32_e32 v122, v3, v133
	v_mul_f32_e32 v2, v4, v133
	v_add_f32_e32 v7, v1, v162
	s_clause 0x2
	buffer_load_dword v132, off, s[0:3], 0 offset:380
	buffer_load_dword v160, off, s[0:3], 0 offset:388
	;; [unrolled: 1-line block ×3, first 2 shown]
	s_waitcnt vmcnt(27)
	v_fmac_f32_e32 v122, v4, v144
	v_fma_f32 v144, v3, v144, -v2
	ds_read_b128 v[1:4], v110 offset:656
	v_add_f32_e32 v7, v7, v123
	v_add_f32_e32 v6, v6, v121
	;; [unrolled: 1-line block ×3, first 2 shown]
	s_clause 0x3
	buffer_load_dword v147, off, s[0:3], 0 offset:368
	buffer_load_dword v162, off, s[0:3], 0 offset:360
	;; [unrolled: 1-line block ×4, first 2 shown]
	v_add_f32_e32 v6, v6, v118
	v_add_f32_e32 v112, v7, v148
	;; [unrolled: 1-line block ×5, first 2 shown]
	ds_read_b128 v[5:8], v110 offset:672
	s_waitcnt vmcnt(30) lgkmcnt(1)
	v_mul_f32_e32 v119, v1, v142
	v_mul_f32_e32 v114, v2, v142
	s_waitcnt vmcnt(29)
	v_mul_f32_e32 v123, v3, v155
	v_fmac_f32_e32 v119, v2, v139
	v_fma_f32 v121, v1, v139, -v114
	s_clause 0x3
	buffer_load_dword v139, off, s[0:3], 0 offset:392
	buffer_load_dword v142, off, s[0:3], 0 offset:384
	buffer_load_dword v148, off, s[0:3], 0 offset:376
	buffer_load_dword v152, off, s[0:3], 0 offset:120
	v_add_f32_e32 v1, v113, v126
	v_add_f32_e32 v2, v112, v124
	v_mul_f32_e32 v112, v4, v155
	v_fmac_f32_e32 v123, v4, v136
	v_add_f32_e32 v1, v1, v125
	v_add_f32_e32 v2, v2, v129
	v_fma_f32 v124, v3, v136, -v112
	v_add_f32_e32 v113, v1, v143
	v_add_f32_e32 v118, v2, v153
	ds_read_b128 v[1:4], v110 offset:688
	s_waitcnt vmcnt(32) lgkmcnt(1)
	v_mul_f32_e32 v126, v5, v156
	v_mul_f32_e32 v129, v6, v156
	v_add_f32_e32 v125, v113, v111
	ds_read_b128 v[111:114], v110 offset:704
	v_add_f32_e32 v118, v118, v154
	v_fmac_f32_e32 v126, v6, v131
	v_fma_f32 v129, v5, v131, -v129
	v_add_f32_e32 v116, v125, v116
	v_add_f32_e32 v125, v118, v117
	;; [unrolled: 1-line block ×5, first 2 shown]
	s_waitcnt vmcnt(30)
	v_mul_f32_e32 v136, v7, v120
	v_mul_f32_e32 v120, v8, v120
	s_waitcnt vmcnt(26)
	v_fmac_f32_e32 v136, v8, v151
	v_fma_f32 v131, v7, v151, -v120
	v_add_f32_e32 v120, v116, v115
	ds_read_b128 v[5:8], v110 offset:720
	ds_read_b128 v[115:118], v110 offset:736
	v_add_f32_e32 v120, v120, v144
	s_waitcnt vmcnt(25) lgkmcnt(3)
	v_mul_f32_e32 v143, v1, v127
	v_mul_f32_e32 v125, v2, v127
	s_waitcnt vmcnt(24)
	v_mul_f32_e32 v144, v3, v128
	v_mul_f32_e32 v127, v4, v128
	s_waitcnt vmcnt(23) lgkmcnt(2)
	v_mul_f32_e32 v128, v111, v130
	v_fmac_f32_e32 v143, v2, v150
	v_fma_f32 v150, v1, v150, -v125
	v_add_f32_e32 v125, v120, v121
	v_fmac_f32_e32 v144, v4, v149
	v_fma_f32 v127, v3, v149, -v127
	v_mul_f32_e32 v130, v112, v130
	ds_read_b128 v[1:4], v110 offset:752
	ds_read_b128 v[119:122], v110 offset:768
	v_add_f32_e32 v149, v125, v124
	v_fmac_f32_e32 v128, v112, v134
	v_add_f32_e32 v112, v123, v126
	ds_read_b128 v[123:126], v110 offset:784
	v_fma_f32 v111, v111, v134, -v130
	v_add_f32_e32 v110, v149, v129
	s_waitcnt vmcnt(22)
	v_mul_f32_e32 v130, v114, v137
	v_add_f32_e32 v112, v112, v136
	v_mul_f32_e32 v129, v113, v137
	s_waitcnt vmcnt(21) lgkmcnt(4)
	v_mul_f32_e32 v134, v5, v138
	v_add_f32_e32 v110, v110, v131
	v_mul_f32_e32 v136, v6, v138
	v_add_f32_e32 v112, v112, v143
	s_waitcnt vmcnt(15)
	v_fma_f32 v113, v113, v161, -v130
	v_fmac_f32_e32 v129, v114, v161
	v_add_f32_e32 v110, v110, v150
	v_fmac_f32_e32 v134, v6, v158
	v_add_f32_e32 v112, v112, v144
	v_fma_f32 v5, v5, v158, -v136
	v_mul_f32_e32 v131, v7, v140
	v_add_f32_e32 v110, v110, v127
	v_mul_f32_e32 v127, v8, v140
	s_waitcnt lgkmcnt(3)
	v_mul_f32_e32 v114, v115, v141
	s_waitcnt vmcnt(14)
	v_mul_f32_e32 v130, v117, v135
	v_fmac_f32_e32 v131, v8, v157
	v_add_f32_e32 v110, v110, v111
	v_add_f32_e32 v111, v112, v128
	v_fma_f32 v7, v7, v157, -v127
	v_mul_f32_e32 v8, v118, v135
	v_fmac_f32_e32 v114, v116, v145
	v_add_f32_e32 v6, v110, v113
	v_add_f32_e32 v110, v111, v129
	v_mul_f32_e32 v111, v116, v141
	s_waitcnt vmcnt(13) lgkmcnt(2)
	v_mul_f32_e32 v137, v1, v146
	s_waitcnt vmcnt(12)
	v_mul_f32_e32 v138, v3, v163
	v_add_f32_e32 v5, v6, v5
	v_add_f32_e32 v6, v110, v134
	v_fma_f32 v110, v115, v145, -v111
	s_waitcnt vmcnt(4)
	v_fma_f32 v8, v117, v166, -v8
	v_fmac_f32_e32 v130, v118, v166
	v_add_f32_e32 v5, v5, v7
	v_add_f32_e32 v6, v6, v131
	v_mul_f32_e32 v7, v2, v146
	v_fmac_f32_e32 v137, v2, v165
	s_waitcnt lgkmcnt(1)
	v_mul_f32_e32 v143, v119, v164
	v_add_f32_e32 v5, v5, v110
	v_add_f32_e32 v6, v6, v114
	v_mul_f32_e32 v110, v4, v163
	v_fma_f32 v1, v1, v165, -v7
	v_fmac_f32_e32 v138, v4, v162
	v_add_f32_e32 v2, v5, v8
	v_add_f32_e32 v5, v6, v130
	v_mul_f32_e32 v6, v120, v164
	v_fma_f32 v3, v3, v162, -v110
	v_mul_f32_e32 v4, v122, v132
	v_add_f32_e32 v1, v2, v1
	v_add_f32_e32 v2, v5, v137
	v_fma_f32 v5, v119, v147, -v6
	v_mul_f32_e32 v140, v121, v132
	v_fmac_f32_e32 v143, v120, v147
	v_add_f32_e32 v1, v1, v3
	v_add_f32_e32 v2, v2, v138
	s_waitcnt lgkmcnt(0)
	v_mul_f32_e32 v3, v124, v160
	s_waitcnt vmcnt(1)
	v_fma_f32 v4, v121, v148, -v4
	v_mul_f32_e32 v144, v123, v160
	v_add_f32_e32 v1, v1, v5
	v_fmac_f32_e32 v140, v122, v148
	v_add_f32_e32 v2, v2, v143
	v_mul_f32_e32 v5, v126, v133
	v_fma_f32 v3, v123, v142, -v3
	v_add_f32_e32 v1, v1, v4
	v_mul_f32_e32 v112, v125, v133
	v_fmac_f32_e32 v144, v124, v142
	v_add_f32_e32 v2, v2, v140
	v_fma_f32 v4, v125, v139, -v5
	v_add_f32_e32 v1, v1, v3
	v_fmac_f32_e32 v112, v126, v139
	v_add_f32_e32 v2, v2, v144
	v_add_f32_e32 v1, v1, v4
	;; [unrolled: 1-line block ×3, first 2 shown]
	s_waitcnt vmcnt(0)
	v_sub_f32_e32 v1, v152, v1
	v_sub_f32_e32 v2, v159, v2
	buffer_store_dword v1, off, s[0:3], 0 offset:120
	buffer_store_dword v2, off, s[0:3], 0 offset:124
	v_cmpx_lt_u32_e32 14, v0
	s_cbranch_execz .LBB113_285
; %bb.284:
	s_clause 0x1
	buffer_load_dword v1, off, s[0:3], 0 offset:112
	buffer_load_dword v2, off, s[0:3], 0 offset:116
	v_mov_b32_e32 v3, 0
	buffer_store_dword v3, off, s[0:3], 0 offset:112
	buffer_store_dword v3, off, s[0:3], 0 offset:116
	s_waitcnt vmcnt(0)
	ds_write_b64 v109, v[1:2]
.LBB113_285:
	s_or_b32 exec_lo, exec_lo, s4
	s_waitcnt lgkmcnt(0)
	s_waitcnt_vscnt null, 0x0
	s_barrier
	buffer_gl0_inv
	s_clause 0x2a
	buffer_load_dword v7, off, s[0:3], 0 offset:124
	buffer_load_dword v8, off, s[0:3], 0 offset:132
	;; [unrolled: 1-line block ×43, first 2 shown]
	v_mov_b32_e32 v1, 0
	ds_read2_b64 v[142:145], v1 offset0:65 offset1:66
	ds_read2_b64 v[146:149], v1 offset0:67 offset1:68
	;; [unrolled: 1-line block ×3, first 2 shown]
	buffer_load_dword v160, off, s[0:3], 0 offset:116
	s_mov_b32 s4, exec_lo
	s_waitcnt vmcnt(43) lgkmcnt(2)
	v_mul_f32_e32 v158, v142, v7
	s_waitcnt vmcnt(42)
	v_mul_f32_e32 v159, v144, v8
	v_mul_f32_e32 v7, v143, v7
	;; [unrolled: 1-line block ×3, first 2 shown]
	s_waitcnt vmcnt(39)
	v_fmac_f32_e32 v158, v143, v6
	v_fmac_f32_e32 v159, v145, v5
	v_fma_f32 v161, v142, v6, -v7
	v_fma_f32 v162, v144, v5, -v8
	ds_read2_b64 v[5:8], v1 offset0:71 offset1:72
	ds_read2_b64 v[142:145], v1 offset0:73 offset1:74
	s_waitcnt vmcnt(38) lgkmcnt(3)
	v_mul_f32_e32 v163, v146, v3
	v_mul_f32_e32 v3, v147, v3
	s_waitcnt vmcnt(37)
	v_mul_f32_e32 v164, v148, v4
	v_mul_f32_e32 v4, v149, v4
	s_waitcnt vmcnt(32) lgkmcnt(2)
	v_mul_f32_e32 v166, v150, v117
	v_fmac_f32_e32 v163, v147, v2
	v_fma_f32 v165, v146, v2, -v3
	v_mul_f32_e32 v2, v151, v117
	s_waitcnt vmcnt(31)
	v_mul_f32_e32 v167, v152, v116
	v_mul_f32_e32 v3, v153, v116
	v_fmac_f32_e32 v164, v149, v118
	v_fma_f32 v118, v148, v118, -v4
	v_fmac_f32_e32 v166, v151, v113
	v_fma_f32 v150, v150, v113, -v2
	;; [unrolled: 2-line block ×3, first 2 shown]
	ds_read2_b64 v[146:149], v1 offset0:75 offset1:76
	s_waitcnt vmcnt(30) lgkmcnt(2)
	v_mul_f32_e32 v151, v5, v114
	v_mul_f32_e32 v2, v6, v114
	s_waitcnt vmcnt(29)
	v_mul_f32_e32 v153, v7, v112
	v_mul_f32_e32 v3, v8, v112
	s_waitcnt vmcnt(28) lgkmcnt(1)
	v_mul_f32_e32 v168, v142, v115
	v_fmac_f32_e32 v151, v6, v110
	v_fma_f32 v6, v5, v110, -v2
	s_waitcnt vmcnt(24)
	v_fmac_f32_e32 v153, v8, v125
	v_fma_f32 v7, v7, v125, -v3
	s_waitcnt vmcnt(23)
	v_mul_f32_e32 v8, v144, v124
	v_mul_f32_e32 v110, v143, v115
	;; [unrolled: 1-line block ×3, first 2 shown]
	ds_read2_b64 v[2:5], v1 offset0:77 offset1:78
	v_fmac_f32_e32 v168, v143, v123
	v_fmac_f32_e32 v8, v145, v120
	v_fma_f32 v123, v142, v123, -v110
	v_fma_f32 v120, v144, v120, -v111
	ds_read2_b64 v[110:113], v1 offset0:79 offset1:80
	s_waitcnt vmcnt(22) lgkmcnt(2)
	v_mul_f32_e32 v124, v146, v122
	v_mul_f32_e32 v114, v147, v122
	s_waitcnt vmcnt(21)
	v_mul_f32_e32 v122, v148, v121
	v_mul_f32_e32 v115, v149, v121
	buffer_load_dword v121, off, s[0:3], 0 offset:284
	v_fmac_f32_e32 v124, v147, v119
	v_fma_f32 v119, v146, v119, -v114
	s_waitcnt vmcnt(18)
	v_fmac_f32_e32 v122, v149, v133
	v_fma_f32 v125, v148, v133, -v115
	s_waitcnt vmcnt(17) lgkmcnt(1)
	v_mul_f32_e32 v133, v2, v131
	s_waitcnt vmcnt(16)
	v_mul_f32_e32 v142, v4, v132
	v_mul_f32_e32 v114, v3, v131
	;; [unrolled: 1-line block ×3, first 2 shown]
	v_fmac_f32_e32 v133, v3, v128
	v_fmac_f32_e32 v142, v5, v127
	v_fma_f32 v128, v2, v128, -v114
	v_fma_f32 v127, v4, v127, -v115
	ds_read2_b64 v[2:5], v1 offset0:81 offset1:82
	s_waitcnt vmcnt(15) lgkmcnt(1)
	v_mul_f32_e32 v131, v110, v130
	v_mul_f32_e32 v116, v111, v130
	s_waitcnt vmcnt(14)
	v_mul_f32_e32 v130, v112, v129
	v_mul_f32_e32 v129, v113, v129
	v_fmac_f32_e32 v131, v111, v126
	v_fma_f32 v126, v110, v126, -v116
	ds_read2_b64 v[114:117], v1 offset0:83 offset1:84
	s_waitcnt vmcnt(10)
	v_fmac_f32_e32 v130, v113, v141
	v_fma_f32 v129, v112, v141, -v129
	s_clause 0x1
	buffer_load_dword v132, off, s[0:3], 0 offset:292
	buffer_load_dword v141, off, s[0:3], 0 offset:300
	s_waitcnt vmcnt(11) lgkmcnt(1)
	v_mul_f32_e32 v143, v2, v140
	v_mul_f32_e32 v110, v3, v140
	s_waitcnt vmcnt(10)
	v_mul_f32_e32 v144, v4, v139
	v_mul_f32_e32 v111, v5, v139
	buffer_load_dword v140, off, s[0:3], 0 offset:308
	v_fmac_f32_e32 v143, v3, v137
	v_fma_f32 v137, v2, v137, -v110
	v_fmac_f32_e32 v144, v5, v135
	s_waitcnt vmcnt(10) lgkmcnt(0)
	v_mul_f32_e32 v139, v114, v138
	v_mul_f32_e32 v2, v115, v138
	s_waitcnt vmcnt(9)
	v_mul_f32_e32 v3, v117, v136
	s_clause 0x3
	buffer_load_dword v138, off, s[0:3], 0 offset:328
	buffer_load_dword v145, off, s[0:3], 0 offset:320
	;; [unrolled: 1-line block ×4, first 2 shown]
	v_mul_f32_e32 v148, v116, v136
	v_fmac_f32_e32 v139, v115, v134
	v_fma_f32 v134, v114, v134, -v2
	v_add_f32_e32 v2, 0, v158
	s_clause 0x1
	buffer_load_dword v136, off, s[0:3], 0 offset:316
	buffer_load_dword v158, off, s[0:3], 0 offset:332
	s_waitcnt vmcnt(11)
	v_fma_f32 v149, v116, v157, -v3
	v_add_f32_e32 v3, 0, v161
	v_add_f32_e32 v2, v2, v159
	v_fmac_f32_e32 v148, v117, v157
	s_clause 0x4
	buffer_load_dword v157, off, s[0:3], 0 offset:324
	buffer_load_dword v159, off, s[0:3], 0 offset:340
	;; [unrolled: 1-line block ×5, first 2 shown]
	v_add_f32_e32 v3, v3, v162
	v_add_f32_e32 v2, v2, v163
	s_clause 0x1
	buffer_load_dword v162, off, s[0:3], 0 offset:372
	buffer_load_dword v163, off, s[0:3], 0 offset:380
	v_fma_f32 v135, v4, v135, -v111
	v_add_f32_e32 v3, v3, v165
	v_add_f32_e32 v2, v2, v164
	s_clause 0x1
	buffer_load_dword v164, off, s[0:3], 0 offset:388
	buffer_load_dword v165, off, s[0:3], 0 offset:396
	v_add_f32_e32 v3, v3, v118
	v_add_f32_e32 v2, v2, v166
	;; [unrolled: 1-line block ×4, first 2 shown]
	s_clause 0x3
	buffer_load_dword v150, off, s[0:3], 0 offset:360
	buffer_load_dword v166, off, s[0:3], 0 offset:352
	;; [unrolled: 1-line block ×4, first 2 shown]
	v_add_f32_e32 v3, v3, v152
	v_add_f32_e32 v2, v2, v151
	;; [unrolled: 1-line block ×4, first 2 shown]
	s_clause 0x4
	buffer_load_dword v151, off, s[0:3], 0 offset:392
	buffer_load_dword v152, off, s[0:3], 0 offset:384
	;; [unrolled: 1-line block ×5, first 2 shown]
	ds_read2_b64 v[110:113], v1 offset0:87 offset1:88
	v_add_f32_e32 v3, v3, v7
	v_add_f32_e32 v2, v2, v168
	;; [unrolled: 1-line block ×5, first 2 shown]
	ds_read2_b64 v[2:5], v1 offset0:85 offset1:86
	v_add_f32_e32 v6, v6, v124
	v_add_f32_e32 v7, v7, v119
	;; [unrolled: 1-line block ×14, first 2 shown]
	s_waitcnt vmcnt(27) lgkmcnt(0)
	v_mul_f32_e32 v8, v2, v121
	v_mul_f32_e32 v114, v3, v121
	v_fmac_f32_e32 v8, v3, v156
	v_add_f32_e32 v3, v7, v126
	v_fma_f32 v126, v2, v156, -v114
	v_add_f32_e32 v8, v133, v8
	v_add_f32_e32 v7, v3, v129
	;; [unrolled: 1-line block ×5, first 2 shown]
	s_waitcnt vmcnt(26)
	v_mul_f32_e32 v127, v4, v132
	v_mul_f32_e32 v115, v5, v132
	v_add_f32_e32 v134, v7, v149
	s_waitcnt vmcnt(25)
	v_mul_f32_e32 v122, v111, v141
	v_mul_f32_e32 v129, v110, v141
	v_fmac_f32_e32 v127, v5, v155
	v_fma_f32 v128, v4, v155, -v115
	ds_read2_b64 v[2:5], v1 offset0:89 offset1:90
	ds_read2_b64 v[114:117], v1 offset0:91 offset1:92
	v_add_f32_e32 v126, v134, v126
	v_fma_f32 v132, v110, v154, -v122
	v_fmac_f32_e32 v129, v111, v154
	v_add_f32_e32 v8, v8, v127
	ds_read2_b64 v[118:121], v1 offset0:93 offset1:94
	ds_read2_b64 v[122:125], v1 offset0:95 offset1:96
	s_waitcnt vmcnt(24)
	v_mul_f32_e32 v131, v113, v140
	v_add_f32_e32 v126, v126, v128
	v_mul_f32_e32 v130, v112, v140
	v_add_f32_e32 v8, v8, v129
	v_add_f32_e32 v126, v126, v132
	s_waitcnt vmcnt(20)
	v_fma_f32 v131, v112, v147, -v131
	v_fmac_f32_e32 v130, v113, v147
	ds_read2_b64 v[110:113], v1 offset0:97 offset1:98
	ds_read_b64 v[6:7], v1 offset:792
	s_waitcnt vmcnt(19) lgkmcnt(5)
	v_mul_f32_e32 v134, v3, v136
	v_mul_f32_e32 v135, v2, v136
	v_add_f32_e32 v126, v126, v131
	v_add_f32_e32 v8, v8, v130
	s_waitcnt vmcnt(18) lgkmcnt(4)
	v_mul_f32_e32 v133, v114, v158
	v_fma_f32 v2, v2, v146, -v134
	s_waitcnt vmcnt(17)
	v_mul_f32_e32 v136, v5, v157
	v_mul_f32_e32 v137, v4, v157
	v_fmac_f32_e32 v135, v3, v146
	v_mul_f32_e32 v134, v115, v158
	v_add_f32_e32 v2, v126, v2
	v_fma_f32 v4, v4, v145, -v136
	v_fmac_f32_e32 v137, v5, v145
	v_add_f32_e32 v5, v8, v135
	s_waitcnt vmcnt(16)
	v_mul_f32_e32 v8, v117, v159
	v_fma_f32 v114, v114, v138, -v134
	v_add_f32_e32 v2, v2, v4
	v_mul_f32_e32 v128, v116, v159
	v_fmac_f32_e32 v133, v115, v138
	v_add_f32_e32 v4, v5, v137
	s_waitcnt vmcnt(15) lgkmcnt(3)
	v_mul_f32_e32 v5, v119, v161
	v_add_f32_e32 v2, v2, v114
	v_mul_f32_e32 v139, v118, v161
	s_waitcnt vmcnt(14)
	v_mul_f32_e32 v114, v121, v169
	v_add_f32_e32 v4, v4, v133
	s_waitcnt vmcnt(5)
	v_fma_f32 v8, v116, v171, -v8
	v_fmac_f32_e32 v128, v117, v171
	v_fma_f32 v5, v118, v167, -v5
	v_mul_f32_e32 v127, v120, v169
	v_fmac_f32_e32 v139, v119, v167
	v_add_f32_e32 v2, v2, v8
	v_add_f32_e32 v4, v4, v128
	s_waitcnt lgkmcnt(2)
	v_mul_f32_e32 v8, v123, v170
	v_fma_f32 v114, v120, v166, -v114
	v_mul_f32_e32 v132, v122, v170
	v_add_f32_e32 v2, v2, v5
	v_fmac_f32_e32 v127, v121, v166
	v_add_f32_e32 v4, v4, v139
	v_mul_f32_e32 v5, v125, v162
	v_fma_f32 v8, v122, v150, -v8
	v_add_f32_e32 v2, v2, v114
	v_mul_f32_e32 v3, v124, v162
	v_fmac_f32_e32 v132, v123, v150
	v_add_f32_e32 v4, v4, v127
	s_waitcnt lgkmcnt(1)
	v_mul_f32_e32 v114, v111, v163
	s_waitcnt vmcnt(1)
	v_fma_f32 v5, v124, v172, -v5
	v_add_f32_e32 v2, v2, v8
	v_mul_f32_e32 v129, v110, v163
	v_fmac_f32_e32 v3, v125, v172
	v_add_f32_e32 v4, v4, v132
	v_mul_f32_e32 v8, v113, v164
	v_fma_f32 v110, v110, v153, -v114
	v_add_f32_e32 v2, v2, v5
	v_mul_f32_e32 v131, v112, v164
	v_fmac_f32_e32 v129, v111, v153
	v_add_f32_e32 v3, v4, v3
	s_waitcnt lgkmcnt(0)
	v_mul_f32_e32 v4, v7, v165
	v_fma_f32 v5, v112, v152, -v8
	v_add_f32_e32 v2, v2, v110
	v_mul_f32_e32 v130, v6, v165
	v_fmac_f32_e32 v131, v113, v152
	v_add_f32_e32 v3, v3, v129
	v_fma_f32 v4, v6, v151, -v4
	v_add_f32_e32 v2, v2, v5
	v_fmac_f32_e32 v130, v7, v151
	v_add_f32_e32 v3, v3, v131
	v_add_f32_e32 v2, v2, v4
	v_add_f32_e32 v3, v3, v130
	s_waitcnt vmcnt(0)
	v_sub_f32_e32 v2, v173, v2
	v_sub_f32_e32 v3, v160, v3
	buffer_store_dword v2, off, s[0:3], 0 offset:112
	buffer_store_dword v3, off, s[0:3], 0 offset:116
	v_cmpx_lt_u32_e32 13, v0
	s_cbranch_execz .LBB113_287
; %bb.286:
	s_clause 0x1
	buffer_load_dword v2, off, s[0:3], 0 offset:104
	buffer_load_dword v3, off, s[0:3], 0 offset:108
	buffer_store_dword v1, off, s[0:3], 0 offset:104
	buffer_store_dword v1, off, s[0:3], 0 offset:108
	s_waitcnt vmcnt(0)
	ds_write_b64 v109, v[2:3]
.LBB113_287:
	s_or_b32 exec_lo, exec_lo, s4
	s_waitcnt lgkmcnt(0)
	s_waitcnt_vscnt null, 0x0
	s_barrier
	buffer_gl0_inv
	s_clause 0x2a
	buffer_load_dword v8, off, s[0:3], 0 offset:116
	buffer_load_dword v110, off, s[0:3], 0 offset:124
	;; [unrolled: 1-line block ×43, first 2 shown]
	ds_read_b128 v[142:145], v1 offset:512
	ds_read_b128 v[146:149], v1 offset:528
	;; [unrolled: 1-line block ×3, first 2 shown]
	buffer_load_dword v160, off, s[0:3], 0 offset:108
	s_mov_b32 s4, exec_lo
	s_waitcnt vmcnt(43) lgkmcnt(2)
	v_mul_f32_e32 v158, v142, v8
	s_waitcnt vmcnt(42)
	v_mul_f32_e32 v159, v144, v110
	v_mul_f32_e32 v8, v143, v8
	;; [unrolled: 1-line block ×3, first 2 shown]
	s_waitcnt vmcnt(39)
	v_fmac_f32_e32 v158, v143, v6
	v_fmac_f32_e32 v159, v145, v5
	v_fma_f32 v6, v142, v6, -v8
	v_fma_f32 v8, v144, v5, -v110
	ds_read_b128 v[142:145], v1 offset:560
	s_waitcnt vmcnt(38) lgkmcnt(2)
	v_mul_f32_e32 v161, v146, v3
	s_waitcnt vmcnt(37)
	v_mul_f32_e32 v162, v148, v4
	v_mul_f32_e32 v3, v147, v3
	;; [unrolled: 1-line block ×3, first 2 shown]
	s_waitcnt vmcnt(32) lgkmcnt(1)
	v_mul_f32_e32 v110, v151, v115
	v_fmac_f32_e32 v161, v147, v2
	v_fmac_f32_e32 v162, v149, v117
	v_fma_f32 v146, v146, v2, -v3
	v_fma_f32 v147, v148, v117, -v4
	ds_read_b128 v[2:5], v1 offset:576
	v_mul_f32_e32 v148, v150, v115
	s_waitcnt vmcnt(31)
	v_mul_f32_e32 v149, v152, v116
	v_mul_f32_e32 v115, v153, v116
	v_fma_f32 v150, v150, v114, -v110
	v_fmac_f32_e32 v148, v151, v114
	v_fmac_f32_e32 v149, v153, v111
	v_fma_f32 v151, v152, v111, -v115
	ds_read_b128 v[114:117], v1 offset:592
	s_waitcnt vmcnt(30) lgkmcnt(2)
	v_mul_f32_e32 v152, v142, v112
	s_waitcnt vmcnt(29)
	v_mul_f32_e32 v153, v144, v113
	v_mul_f32_e32 v110, v143, v112
	;; [unrolled: 1-line block ×3, first 2 shown]
	v_fmac_f32_e32 v152, v143, v7
	s_waitcnt vmcnt(25)
	v_fmac_f32_e32 v153, v145, v125
	v_fma_f32 v7, v142, v7, -v110
	v_fma_f32 v125, v144, v125, -v111
	ds_read_b128 v[110:113], v1 offset:608
	s_waitcnt vmcnt(24) lgkmcnt(2)
	v_mul_f32_e32 v142, v2, v123
	s_waitcnt vmcnt(23)
	v_mul_f32_e32 v143, v4, v124
	v_mul_f32_e32 v123, v3, v123
	;; [unrolled: 1-line block ×3, first 2 shown]
	v_fmac_f32_e32 v142, v3, v122
	v_fmac_f32_e32 v143, v5, v119
	v_fma_f32 v122, v2, v122, -v123
	v_fma_f32 v119, v4, v119, -v124
	ds_read_b128 v[2:5], v1 offset:624
	s_waitcnt vmcnt(22) lgkmcnt(2)
	v_mul_f32_e32 v123, v114, v120
	s_waitcnt vmcnt(21)
	v_mul_f32_e32 v124, v116, v121
	v_mul_f32_e32 v120, v115, v120
	;; [unrolled: 1-line block ×3, first 2 shown]
	v_fmac_f32_e32 v123, v115, v118
	s_waitcnt vmcnt(17)
	v_fmac_f32_e32 v124, v117, v133
	v_fma_f32 v118, v114, v118, -v120
	v_fma_f32 v120, v116, v133, -v121
	s_waitcnt vmcnt(16) lgkmcnt(1)
	v_mul_f32_e32 v121, v110, v131
	v_mul_f32_e32 v131, v111, v131
	ds_read_b128 v[114:117], v1 offset:640
	s_waitcnt vmcnt(15)
	v_mul_f32_e32 v133, v112, v132
	v_mul_f32_e32 v132, v113, v132
	v_fmac_f32_e32 v121, v111, v130
	v_fma_f32 v110, v110, v130, -v131
	s_clause 0x1
	buffer_load_dword v130, off, s[0:3], 0 offset:276
	buffer_load_dword v131, off, s[0:3], 0 offset:284
	v_fmac_f32_e32 v133, v113, v127
	v_fma_f32 v127, v112, v127, -v132
	s_waitcnt vmcnt(16) lgkmcnt(1)
	v_mul_f32_e32 v132, v2, v128
	s_waitcnt vmcnt(15)
	v_mul_f32_e32 v144, v4, v129
	v_mul_f32_e32 v111, v3, v128
	;; [unrolled: 1-line block ×3, first 2 shown]
	buffer_load_dword v129, off, s[0:3], 0 offset:292
	v_fmac_f32_e32 v132, v3, v126
	s_waitcnt vmcnt(12)
	v_fmac_f32_e32 v144, v5, v141
	v_fma_f32 v126, v2, v126, -v111
	v_fma_f32 v128, v4, v141, -v112
	ds_read_b128 v[2:5], v1 offset:656
	s_waitcnt vmcnt(11) lgkmcnt(1)
	v_mul_f32_e32 v141, v114, v139
	s_waitcnt vmcnt(10)
	v_mul_f32_e32 v145, v116, v140
	v_mul_f32_e32 v111, v115, v139
	;; [unrolled: 1-line block ×3, first 2 shown]
	s_clause 0x5
	buffer_load_dword v139, off, s[0:3], 0 offset:300
	buffer_load_dword v140, off, s[0:3], 0 offset:320
	;; [unrolled: 1-line block ×6, first 2 shown]
	v_fmac_f32_e32 v141, v115, v138
	v_fma_f32 v138, v114, v138, -v111
	v_fmac_f32_e32 v145, v117, v137
	v_fma_f32 v137, v116, v137, -v112
	s_waitcnt vmcnt(15) lgkmcnt(0)
	v_mul_f32_e32 v166, v2, v136
	v_mul_f32_e32 v111, v3, v136
	v_fmac_f32_e32 v166, v3, v134
	v_add_f32_e32 v3, 0, v158
	v_fma_f32 v134, v2, v134, -v111
	v_add_f32_e32 v2, 0, v6
	s_waitcnt vmcnt(14)
	v_mul_f32_e32 v6, v4, v135
	v_mul_f32_e32 v111, v5, v135
	v_add_f32_e32 v3, v3, v159
	buffer_load_dword v135, off, s[0:3], 0 offset:316
	v_add_f32_e32 v2, v2, v8
	buffer_load_dword v8, off, s[0:3], 0 offset:324
	s_waitcnt vmcnt(12)
	v_fmac_f32_e32 v6, v5, v157
	v_add_f32_e32 v3, v3, v161
	v_fma_f32 v136, v4, v157, -v111
	v_add_f32_e32 v2, v2, v146
	s_clause 0x3
	buffer_load_dword v157, off, s[0:3], 0 offset:332
	buffer_load_dword v146, off, s[0:3], 0 offset:340
	;; [unrolled: 1-line block ×4, first 2 shown]
	v_add_f32_e32 v3, v3, v162
	v_add_f32_e32 v2, v2, v147
	s_clause 0x3
	buffer_load_dword v147, off, s[0:3], 0 offset:364
	buffer_load_dword v161, off, s[0:3], 0 offset:372
	;; [unrolled: 1-line block ×4, first 2 shown]
	v_add_f32_e32 v3, v3, v148
	buffer_load_dword v148, off, s[0:3], 0 offset:396
	v_add_f32_e32 v2, v2, v150
	v_add_f32_e32 v3, v3, v149
	;; [unrolled: 1-line block ×3, first 2 shown]
	s_clause 0x3
	buffer_load_dword v149, off, s[0:3], 0 offset:352
	buffer_load_dword v150, off, s[0:3], 0 offset:344
	;; [unrolled: 1-line block ×4, first 2 shown]
	v_add_f32_e32 v3, v3, v152
	v_add_f32_e32 v2, v2, v7
	v_add_f32_e32 v3, v3, v153
	s_clause 0x4
	buffer_load_dword v7, off, s[0:3], 0 offset:384
	buffer_load_dword v152, off, s[0:3], 0 offset:376
	;; [unrolled: 1-line block ×5, first 2 shown]
	v_add_f32_e32 v2, v2, v125
	v_add_f32_e32 v3, v3, v142
	buffer_load_dword v142, off, s[0:3], 0 offset:392
	v_add_f32_e32 v2, v2, v122
	v_add_f32_e32 v3, v3, v143
	;; [unrolled: 1-line block ×5, first 2 shown]
	ds_read_b128 v[2:5], v1 offset:672
	v_add_f32_e32 v111, v111, v124
	v_add_f32_e32 v112, v112, v120
	;; [unrolled: 1-line block ×4, first 2 shown]
	ds_read_b128 v[110:113], v1 offset:688
	v_add_f32_e32 v114, v114, v133
	v_add_f32_e32 v115, v115, v127
	;; [unrolled: 1-line block ×11, first 2 shown]
	s_waitcnt vmcnt(29) lgkmcnt(1)
	v_mul_f32_e32 v133, v2, v130
	v_mul_f32_e32 v116, v3, v130
	s_waitcnt vmcnt(28)
	v_mul_f32_e32 v130, v4, v131
	v_mul_f32_e32 v117, v5, v131
	v_fmac_f32_e32 v133, v3, v156
	v_fma_f32 v131, v2, v156, -v116
	v_fmac_f32_e32 v130, v5, v155
	v_fma_f32 v132, v4, v155, -v117
	ds_read_b128 v[2:5], v1 offset:704
	ds_read_b128 v[114:117], v1 offset:720
	s_waitcnt vmcnt(27) lgkmcnt(2)
	v_mul_f32_e32 v143, v110, v129
	v_mul_f32_e32 v120, v111, v129
	v_fmac_f32_e32 v143, v111, v154
	v_add_f32_e32 v111, v119, v145
	v_fma_f32 v138, v110, v154, -v120
	s_waitcnt vmcnt(26)
	v_mul_f32_e32 v144, v112, v139
	v_mul_f32_e32 v121, v113, v139
	v_add_f32_e32 v123, v111, v166
	s_waitcnt vmcnt(22)
	v_fmac_f32_e32 v144, v113, v165
	v_fma_f32 v137, v112, v165, -v121
	v_add_f32_e32 v6, v123, v6
	ds_read_b128 v[110:113], v1 offset:736
	ds_read_b128 v[118:121], v1 offset:752
	s_waitcnt vmcnt(21) lgkmcnt(3)
	v_mul_f32_e32 v127, v3, v167
	v_mul_f32_e32 v134, v2, v167
	ds_read_b128 v[122:125], v1 offset:768
	v_fma_f32 v2, v2, v164, -v127
	ds_read_b128 v[126:129], v1 offset:784
	v_add_f32_e32 v1, v136, v131
	v_fmac_f32_e32 v134, v3, v164
	v_add_f32_e32 v3, v6, v133
	v_add_f32_e32 v1, v1, v132
	;; [unrolled: 1-line block ×3, first 2 shown]
	s_waitcnt vmcnt(20)
	v_mul_f32_e32 v131, v5, v135
	v_add_f32_e32 v1, v1, v138
	v_mul_f32_e32 v6, v4, v135
	v_add_f32_e32 v3, v3, v143
	s_waitcnt vmcnt(19) lgkmcnt(4)
	v_mul_f32_e32 v130, v114, v8
	v_mul_f32_e32 v8, v115, v8
	v_add_f32_e32 v1, v1, v137
	v_fma_f32 v4, v4, v163, -v131
	v_add_f32_e32 v3, v3, v144
	v_fmac_f32_e32 v6, v5, v163
	s_waitcnt vmcnt(18)
	v_mul_f32_e32 v137, v117, v157
	v_add_f32_e32 v1, v1, v2
	v_fma_f32 v8, v114, v140, -v8
	v_add_f32_e32 v2, v3, v134
	v_mul_f32_e32 v132, v116, v157
	v_fmac_f32_e32 v130, v115, v140
	v_add_f32_e32 v1, v1, v4
	s_waitcnt vmcnt(17) lgkmcnt(3)
	v_mul_f32_e32 v4, v111, v146
	v_add_f32_e32 v2, v2, v6
	v_mul_f32_e32 v5, v110, v146
	s_waitcnt vmcnt(16)
	v_mul_f32_e32 v131, v112, v158
	v_add_f32_e32 v1, v1, v8
	s_waitcnt vmcnt(6)
	v_fma_f32 v6, v116, v169, -v137
	v_fmac_f32_e32 v132, v117, v169
	v_add_f32_e32 v2, v2, v130
	v_mul_f32_e32 v8, v113, v158
	v_fma_f32 v4, v110, v151, -v4
	v_add_f32_e32 v1, v1, v6
	v_fmac_f32_e32 v5, v111, v151
	v_add_f32_e32 v2, v2, v132
	s_waitcnt lgkmcnt(2)
	v_mul_f32_e32 v6, v119, v159
	v_fma_f32 v8, v112, v150, -v8
	v_add_f32_e32 v1, v1, v4
	v_mul_f32_e32 v133, v118, v159
	v_fmac_f32_e32 v131, v113, v150
	v_add_f32_e32 v2, v2, v5
	v_mul_f32_e32 v4, v121, v147
	v_fma_f32 v5, v118, v149, -v6
	v_add_f32_e32 v1, v1, v8
	v_mul_f32_e32 v135, v120, v147
	v_fmac_f32_e32 v133, v119, v149
	v_add_f32_e32 v2, v2, v131
	s_waitcnt lgkmcnt(1)
	v_mul_f32_e32 v6, v123, v161
	s_waitcnt vmcnt(2)
	v_fma_f32 v4, v120, v170, -v4
	v_add_f32_e32 v1, v1, v5
	v_mul_f32_e32 v136, v122, v161
	v_fmac_f32_e32 v135, v121, v170
	v_add_f32_e32 v2, v2, v133
	v_mul_f32_e32 v5, v125, v162
	v_fma_f32 v6, v122, v153, -v6
	v_add_f32_e32 v1, v1, v4
	v_mul_f32_e32 v138, v124, v162
	v_fmac_f32_e32 v136, v123, v153
	v_add_f32_e32 v2, v2, v135
	s_waitcnt lgkmcnt(0)
	v_mul_f32_e32 v4, v127, v168
	v_fma_f32 v5, v124, v152, -v5
	v_add_f32_e32 v1, v1, v6
	v_mul_f32_e32 v139, v126, v168
	v_fmac_f32_e32 v138, v125, v152
	v_add_f32_e32 v2, v2, v136
	v_mul_f32_e32 v6, v129, v148
	v_fma_f32 v4, v126, v7, -v4
	v_add_f32_e32 v1, v1, v5
	v_mul_f32_e32 v3, v128, v148
	v_fmac_f32_e32 v139, v127, v7
	v_add_f32_e32 v2, v2, v138
	s_waitcnt vmcnt(0)
	v_fma_f32 v5, v128, v142, -v6
	v_add_f32_e32 v1, v1, v4
	v_fmac_f32_e32 v3, v129, v142
	v_add_f32_e32 v2, v2, v139
	v_add_f32_e32 v1, v1, v5
	;; [unrolled: 1-line block ×3, first 2 shown]
	v_sub_f32_e32 v1, v171, v1
	v_sub_f32_e32 v2, v160, v2
	buffer_store_dword v1, off, s[0:3], 0 offset:104
	buffer_store_dword v2, off, s[0:3], 0 offset:108
	v_cmpx_lt_u32_e32 12, v0
	s_cbranch_execz .LBB113_289
; %bb.288:
	s_clause 0x1
	buffer_load_dword v1, off, s[0:3], 0 offset:96
	buffer_load_dword v2, off, s[0:3], 0 offset:100
	v_mov_b32_e32 v3, 0
	buffer_store_dword v3, off, s[0:3], 0 offset:96
	buffer_store_dword v3, off, s[0:3], 0 offset:100
	s_waitcnt vmcnt(0)
	ds_write_b64 v109, v[1:2]
.LBB113_289:
	s_or_b32 exec_lo, exec_lo, s4
	s_waitcnt lgkmcnt(0)
	s_waitcnt_vscnt null, 0x0
	s_barrier
	buffer_gl0_inv
	s_clause 0x2b
	buffer_load_dword v141, off, s[0:3], 0 offset:108
	buffer_load_dword v2, off, s[0:3], 0 offset:120
	;; [unrolled: 1-line block ×44, first 2 shown]
	v_mov_b32_e32 v1, 0
	ds_read2_b64 v[142:145], v1 offset0:63 offset1:64
	ds_read2_b64 v[146:149], v1 offset0:65 offset1:66
	ds_read2_b64 v[150:153], v1 offset0:67 offset1:68
	buffer_load_dword v160, off, s[0:3], 0 offset:100
	s_mov_b32 s4, exec_lo
	s_waitcnt vmcnt(44) lgkmcnt(2)
	v_mul_f32_e32 v159, v142, v141
	v_mul_f32_e32 v141, v143, v141
	s_waitcnt vmcnt(40)
	v_mul_f32_e32 v162, v144, v110
	v_mul_f32_e32 v110, v145, v110
	v_fmac_f32_e32 v159, v143, v111
	v_fma_f32 v161, v142, v111, -v141
	s_waitcnt vmcnt(39) lgkmcnt(1)
	v_mul_f32_e32 v164, v146, v7
	v_fmac_f32_e32 v162, v145, v5
	v_fma_f32 v163, v144, v5, -v110
	v_mul_f32_e32 v5, v147, v7
	ds_read2_b64 v[141:144], v1 offset0:69 offset1:70
	v_fmac_f32_e32 v164, v147, v2
	s_waitcnt vmcnt(38)
	v_mul_f32_e32 v166, v148, v4
	v_fma_f32 v165, v146, v2, -v5
	v_mul_f32_e32 v2, v149, v4
	s_waitcnt vmcnt(34)
	v_fmac_f32_e32 v166, v149, v115
	s_waitcnt vmcnt(33) lgkmcnt(1)
	v_mul_f32_e32 v149, v150, v114
	v_fma_f32 v115, v148, v115, -v2
	v_mul_f32_e32 v2, v151, v114
	ds_read2_b64 v[145:148], v1 offset0:71 offset1:72
	v_fmac_f32_e32 v149, v151, v112
	v_fma_f32 v114, v150, v112, -v2
	s_waitcnt vmcnt(32)
	v_mul_f32_e32 v150, v152, v113
	v_mul_f32_e32 v2, v153, v113
	ds_read2_b64 v[110:113], v1 offset0:75 offset1:76
	v_fmac_f32_e32 v150, v153, v6
	v_fma_f32 v151, v152, v6, -v2
	s_waitcnt vmcnt(31) lgkmcnt(2)
	v_mul_f32_e32 v2, v142, v8
	ds_read2_b64 v[4:7], v1 offset0:73 offset1:74
	v_mul_f32_e32 v152, v141, v8
	v_fma_f32 v8, v141, v3, -v2
	s_waitcnt vmcnt(30)
	v_mul_f32_e32 v2, v144, v116
	v_mul_f32_e32 v141, v143, v116
	v_fmac_f32_e32 v152, v142, v3
	s_waitcnt vmcnt(24) lgkmcnt(2)
	v_mul_f32_e32 v142, v147, v121
	v_fma_f32 v116, v143, v124, -v2
	v_mul_f32_e32 v2, v146, v123
	v_fmac_f32_e32 v141, v144, v124
	v_mul_f32_e32 v124, v145, v123
	v_fmac_f32_e32 v142, v148, v118
	v_fma_f32 v123, v145, v120, -v2
	v_mul_f32_e32 v2, v148, v121
	v_fmac_f32_e32 v124, v146, v120
	s_waitcnt vmcnt(23) lgkmcnt(0)
	v_mul_f32_e32 v144, v4, v119
	s_waitcnt vmcnt(22)
	v_mul_f32_e32 v145, v6, v122
	v_fma_f32 v143, v147, v118, -v2
	v_mul_f32_e32 v2, v5, v119
	ds_read2_b64 v[118:121], v1 offset0:77 offset1:78
	v_fmac_f32_e32 v144, v5, v117
	s_waitcnt vmcnt(18)
	v_fmac_f32_e32 v145, v7, v133
	v_fma_f32 v117, v4, v117, -v2
	v_mul_f32_e32 v2, v7, v122
	s_waitcnt vmcnt(17)
	v_mul_f32_e32 v7, v110, v132
	s_waitcnt vmcnt(16)
	v_mul_f32_e32 v122, v112, v131
	v_mul_f32_e32 v131, v113, v131
	v_fma_f32 v6, v6, v133, -v2
	v_mul_f32_e32 v2, v111, v132
	v_fmac_f32_e32 v7, v111, v129
	v_fmac_f32_e32 v122, v113, v126
	v_fma_f32 v126, v112, v126, -v131
	v_add_f32_e32 v112, 0, v159
	v_fma_f32 v129, v110, v129, -v2
	ds_read2_b64 v[2:5], v1 offset0:79 offset1:80
	s_clause 0x2
	buffer_load_dword v131, off, s[0:3], 0 offset:276
	buffer_load_dword v132, off, s[0:3], 0 offset:284
	;; [unrolled: 1-line block ×3, first 2 shown]
	s_waitcnt vmcnt(18) lgkmcnt(1)
	v_mul_f32_e32 v133, v118, v127
	v_mul_f32_e32 v110, v119, v127
	s_waitcnt vmcnt(17)
	v_mul_f32_e32 v127, v120, v130
	v_mul_f32_e32 v111, v121, v130
	v_fmac_f32_e32 v133, v119, v125
	v_fma_f32 v118, v118, v125, -v110
	s_waitcnt vmcnt(13)
	v_fmac_f32_e32 v127, v121, v140
	v_fma_f32 v119, v120, v140, -v111
	v_add_f32_e32 v121, v112, v162
	ds_read2_b64 v[110:113], v1 offset0:81 offset1:82
	v_add_f32_e32 v120, 0, v161
	v_add_f32_e32 v121, v121, v164
	;; [unrolled: 1-line block ×3, first 2 shown]
	s_waitcnt vmcnt(12) lgkmcnt(1)
	v_mul_f32_e32 v125, v2, v139
	v_mul_f32_e32 v130, v3, v139
	s_clause 0x3
	buffer_load_dword v139, off, s[0:3], 0 offset:312
	buffer_load_dword v140, off, s[0:3], 0 offset:304
	;; [unrolled: 1-line block ×4, first 2 shown]
	v_fmac_f32_e32 v125, v3, v138
	v_fma_f32 v130, v2, v138, -v130
	s_clause 0x1
	buffer_load_dword v138, off, s[0:3], 0 offset:300
	buffer_load_dword v153, off, s[0:3], 0 offset:308
	v_add_f32_e32 v2, v120, v165
	v_add_f32_e32 v3, v121, v166
	s_waitcnt vmcnt(17)
	v_mul_f32_e32 v120, v4, v137
	v_mul_f32_e32 v121, v5, v137
	buffer_load_dword v137, off, s[0:3], 0 offset:316
	v_add_f32_e32 v2, v2, v115
	v_add_f32_e32 v3, v3, v149
	v_fmac_f32_e32 v120, v5, v135
	v_fma_f32 v121, v4, v135, -v121
	s_clause 0x3
	buffer_load_dword v135, off, s[0:3], 0 offset:324
	buffer_load_dword v149, off, s[0:3], 0 offset:332
	buffer_load_dword v159, off, s[0:3], 0 offset:340
	buffer_load_dword v161, off, s[0:3], 0 offset:348
	v_add_f32_e32 v114, v2, v114
	v_add_f32_e32 v115, v3, v150
	ds_read2_b64 v[2:5], v1 offset0:83 offset1:84
	s_waitcnt vmcnt(21) lgkmcnt(1)
	v_mul_f32_e32 v150, v110, v134
	v_mul_f32_e32 v134, v111, v134
	v_add_f32_e32 v114, v114, v151
	v_add_f32_e32 v115, v115, v152
	s_waitcnt vmcnt(20)
	v_mul_f32_e32 v151, v112, v136
	v_fmac_f32_e32 v150, v111, v128
	v_fma_f32 v128, v110, v128, -v134
	v_add_f32_e32 v8, v114, v8
	v_add_f32_e32 v110, v115, v141
	v_mul_f32_e32 v114, v113, v136
	s_clause 0x4
	buffer_load_dword v134, off, s[0:3], 0 offset:356
	buffer_load_dword v136, off, s[0:3], 0 offset:364
	;; [unrolled: 1-line block ×5, first 2 shown]
	v_add_f32_e32 v8, v8, v116
	s_clause 0x4
	buffer_load_dword v163, off, s[0:3], 0 offset:344
	buffer_load_dword v164, off, s[0:3], 0 offset:336
	;; [unrolled: 1-line block ×5, first 2 shown]
	v_add_f32_e32 v110, v110, v124
	s_waitcnt vmcnt(26)
	v_fmac_f32_e32 v151, v113, v157
	v_fma_f32 v157, v112, v157, -v114
	v_add_f32_e32 v8, v8, v123
	v_add_f32_e32 v110, v110, v142
	s_waitcnt vmcnt(25) lgkmcnt(0)
	v_mul_f32_e32 v115, v3, v158
	v_mul_f32_e32 v142, v2, v158
	v_add_f32_e32 v8, v8, v143
	v_add_f32_e32 v114, v110, v144
	ds_read2_b64 v[110:113], v1 offset0:85 offset1:86
	v_fma_f32 v123, v2, v156, -v115
	v_add_f32_e32 v8, v8, v117
	v_fmac_f32_e32 v142, v3, v156
	v_add_f32_e32 v114, v114, v145
	v_add_f32_e32 v2, v8, v6
	s_clause 0x3
	buffer_load_dword v8, off, s[0:3], 0 offset:376
	buffer_load_dword v143, off, s[0:3], 0 offset:368
	;; [unrolled: 1-line block ×4, first 2 shown]
	v_add_f32_e32 v3, v114, v7
	v_add_f32_e32 v2, v2, v129
	s_clause 0x1
	buffer_load_dword v129, off, s[0:3], 0 offset:392
	buffer_load_dword v156, off, s[0:3], 0 offset:384
	v_add_f32_e32 v3, v3, v122
	ds_read2_b64 v[114:117], v1 offset0:89 offset1:90
	v_add_f32_e32 v2, v2, v126
	buffer_load_dword v126, off, s[0:3], 0 offset:96
	v_add_f32_e32 v6, v3, v133
	v_add_f32_e32 v7, v2, v118
	;; [unrolled: 1-line block ×11, first 2 shown]
	s_waitcnt vmcnt(30)
	v_mul_f32_e32 v133, v4, v131
	v_mul_f32_e32 v3, v5, v131
	s_waitcnt vmcnt(29) lgkmcnt(1)
	v_mul_f32_e32 v118, v111, v132
	v_mul_f32_e32 v127, v110, v132
	s_waitcnt vmcnt(28)
	v_mul_f32_e32 v119, v113, v146
	v_fmac_f32_e32 v133, v5, v155
	v_fma_f32 v131, v4, v155, -v3
	ds_read2_b64 v[2:5], v1 offset0:87 offset1:88
	v_fma_f32 v130, v110, v154, -v118
	v_mul_f32_e32 v132, v112, v146
	v_fmac_f32_e32 v127, v111, v154
	s_waitcnt vmcnt(24)
	v_fma_f32 v146, v112, v148, -v119
	v_fmac_f32_e32 v132, v113, v148
	ds_read2_b64 v[110:113], v1 offset0:91 offset1:92
	ds_read2_b64 v[118:121], v1 offset0:93 offset1:94
	s_waitcnt vmcnt(23) lgkmcnt(2)
	v_mul_f32_e32 v128, v2, v138
	v_mul_f32_e32 v122, v3, v138
	s_waitcnt vmcnt(22)
	v_mul_f32_e32 v138, v4, v153
	v_mul_f32_e32 v148, v5, v153
	v_fmac_f32_e32 v128, v3, v147
	v_fma_f32 v147, v2, v147, -v122
	v_add_f32_e32 v2, v6, v151
	v_add_f32_e32 v6, v7, v123
	v_fmac_f32_e32 v138, v5, v140
	v_fma_f32 v140, v4, v140, -v148
	s_waitcnt vmcnt(21)
	v_mul_f32_e32 v148, v114, v137
	v_add_f32_e32 v142, v2, v142
	v_add_f32_e32 v131, v6, v131
	ds_read2_b64 v[122:125], v1 offset0:95 offset1:96
	ds_read2_b64 v[2:5], v1 offset0:97 offset1:98
	v_fmac_f32_e32 v148, v115, v139
	v_add_f32_e32 v133, v142, v133
	v_add_f32_e32 v130, v131, v130
	v_mul_f32_e32 v131, v115, v137
	s_waitcnt vmcnt(20)
	v_mul_f32_e32 v142, v116, v135
	v_mul_f32_e32 v135, v117, v135
	v_add_f32_e32 v127, v133, v127
	v_add_f32_e32 v130, v130, v146
	v_fma_f32 v114, v114, v139, -v131
	s_waitcnt vmcnt(19) lgkmcnt(3)
	v_mul_f32_e32 v133, v110, v149
	v_mul_f32_e32 v139, v111, v149
	v_add_f32_e32 v127, v127, v132
	v_add_f32_e32 v130, v130, v147
	s_waitcnt vmcnt(8)
	v_fma_f32 v116, v116, v166, -v135
	v_fmac_f32_e32 v142, v117, v166
	v_fmac_f32_e32 v133, v111, v165
	v_add_f32_e32 v127, v127, v128
	v_add_f32_e32 v130, v130, v140
	v_fma_f32 v110, v110, v165, -v139
	v_mul_f32_e32 v137, v112, v159
	s_waitcnt lgkmcnt(2)
	v_mul_f32_e32 v146, v118, v161
	v_add_f32_e32 v127, v127, v138
	v_add_f32_e32 v114, v130, v114
	v_mul_f32_e32 v132, v120, v134
	v_fmac_f32_e32 v137, v113, v164
	v_fmac_f32_e32 v146, v119, v163
	v_add_f32_e32 v117, v127, v148
	v_mul_f32_e32 v127, v113, v159
	v_add_f32_e32 v111, v114, v116
	v_mul_f32_e32 v116, v119, v161
	v_mul_f32_e32 v113, v121, v134
	v_add_f32_e32 v114, v117, v142
	v_fma_f32 v112, v112, v164, -v127
	v_add_f32_e32 v110, v111, v110
	ds_read_b64 v[6:7], v1 offset:792
	s_waitcnt vmcnt(3)
	v_fma_f32 v113, v120, v145, -v113
	v_add_f32_e32 v111, v114, v133
	v_fma_f32 v114, v118, v163, -v116
	v_add_f32_e32 v110, v110, v112
	s_waitcnt lgkmcnt(2)
	v_mul_f32_e32 v112, v123, v136
	v_mul_f32_e32 v147, v122, v136
	v_add_f32_e32 v111, v111, v137
	v_fmac_f32_e32 v132, v121, v145
	v_add_f32_e32 v110, v110, v114
	v_mul_f32_e32 v114, v125, v141
	v_fma_f32 v112, v122, v144, -v112
	v_add_f32_e32 v111, v111, v146
	v_mul_f32_e32 v115, v124, v141
	v_add_f32_e32 v110, v110, v113
	v_fmac_f32_e32 v147, v123, v144
	s_waitcnt lgkmcnt(1)
	v_mul_f32_e32 v128, v2, v152
	v_add_f32_e32 v111, v111, v132
	v_mul_f32_e32 v113, v3, v152
	v_fma_f32 v114, v124, v143, -v114
	v_add_f32_e32 v110, v110, v112
	v_fmac_f32_e32 v115, v125, v143
	v_add_f32_e32 v111, v111, v147
	v_mul_f32_e32 v112, v5, v162
	v_fmac_f32_e32 v128, v3, v8
	v_fma_f32 v2, v2, v8, -v113
	v_add_f32_e32 v3, v110, v114
	v_mul_f32_e32 v131, v4, v162
	v_add_f32_e32 v8, v111, v115
	s_waitcnt lgkmcnt(0)
	v_mul_f32_e32 v110, v7, v167
	s_waitcnt vmcnt(1)
	v_fma_f32 v4, v4, v156, -v112
	v_add_f32_e32 v2, v3, v2
	v_mul_f32_e32 v138, v6, v167
	v_fmac_f32_e32 v131, v5, v156
	v_add_f32_e32 v3, v8, v128
	v_fma_f32 v5, v6, v129, -v110
	v_add_f32_e32 v2, v2, v4
	v_fmac_f32_e32 v138, v7, v129
	v_add_f32_e32 v3, v3, v131
	v_add_f32_e32 v2, v2, v5
	;; [unrolled: 1-line block ×3, first 2 shown]
	s_waitcnt vmcnt(0)
	v_sub_f32_e32 v2, v126, v2
	v_sub_f32_e32 v3, v160, v3
	buffer_store_dword v2, off, s[0:3], 0 offset:96
	buffer_store_dword v3, off, s[0:3], 0 offset:100
	v_cmpx_lt_u32_e32 11, v0
	s_cbranch_execz .LBB113_291
; %bb.290:
	s_clause 0x1
	buffer_load_dword v2, off, s[0:3], 0 offset:88
	buffer_load_dword v3, off, s[0:3], 0 offset:92
	buffer_store_dword v1, off, s[0:3], 0 offset:88
	buffer_store_dword v1, off, s[0:3], 0 offset:92
	s_waitcnt vmcnt(0)
	ds_write_b64 v109, v[2:3]
.LBB113_291:
	s_or_b32 exec_lo, exec_lo, s4
	s_waitcnt lgkmcnt(0)
	s_waitcnt_vscnt null, 0x0
	s_barrier
	buffer_gl0_inv
	s_clause 0x2b
	buffer_load_dword v6, off, s[0:3], 0 offset:100
	buffer_load_dword v7, off, s[0:3], 0 offset:112
	;; [unrolled: 1-line block ×44, first 2 shown]
	ds_read_b128 v[2:5], v1 offset:496
	ds_read_b128 v[110:113], v1 offset:512
	;; [unrolled: 1-line block ×3, first 2 shown]
	buffer_load_dword v160, off, s[0:3], 0 offset:92
	s_mov_b32 s4, exec_lo
	s_waitcnt vmcnt(44) lgkmcnt(2)
	v_mul_f32_e32 v159, v3, v6
	v_mul_f32_e32 v6, v2, v6
	s_waitcnt vmcnt(41)
	v_fma_f32 v159, v2, v118, -v159
	v_fmac_f32_e32 v6, v3, v118
	s_waitcnt vmcnt(40)
	v_mul_f32_e32 v118, v4, v119
	v_mul_f32_e32 v2, v5, v119
	s_waitcnt vmcnt(39) lgkmcnt(1)
	v_mul_f32_e32 v119, v110, v120
	v_mul_f32_e32 v120, v111, v120
	v_add_f32_e32 v6, 0, v6
	v_fmac_f32_e32 v118, v5, v8
	v_fma_f32 v8, v4, v8, -v2
	ds_read_b128 v[2:5], v1 offset:544
	v_fmac_f32_e32 v119, v111, v7
	v_fma_f32 v7, v110, v7, -v120
	s_waitcnt vmcnt(38)
	v_mul_f32_e32 v120, v112, v121
	v_mul_f32_e32 v110, v113, v121
	v_add_f32_e32 v6, v6, v118
	s_waitcnt vmcnt(34)
	v_fmac_f32_e32 v120, v113, v125
	v_fma_f32 v121, v112, v125, -v110
	s_waitcnt vmcnt(33) lgkmcnt(1)
	v_mul_f32_e32 v125, v114, v126
	v_mul_f32_e32 v126, v115, v126
	ds_read_b128 v[110:113], v1 offset:560
	v_add_f32_e32 v6, v6, v119
	v_fmac_f32_e32 v125, v115, v124
	v_fma_f32 v124, v114, v124, -v126
	s_waitcnt vmcnt(32)
	v_mul_f32_e32 v126, v116, v127
	v_mul_f32_e32 v114, v117, v127
	v_add_f32_e32 v6, v6, v120
	s_waitcnt vmcnt(31) lgkmcnt(1)
	v_mul_f32_e32 v127, v2, v128
	v_mul_f32_e32 v128, v3, v128
	v_fmac_f32_e32 v126, v117, v123
	v_fma_f32 v123, v116, v123, -v114
	ds_read_b128 v[114:117], v1 offset:576
	v_fmac_f32_e32 v127, v3, v122
	v_fma_f32 v122, v2, v122, -v128
	s_waitcnt vmcnt(30)
	v_mul_f32_e32 v128, v4, v129
	v_mul_f32_e32 v2, v5, v129
	v_add_f32_e32 v6, v6, v125
	s_waitcnt vmcnt(26)
	v_fmac_f32_e32 v128, v5, v133
	v_fma_f32 v129, v4, v133, -v2
	s_waitcnt vmcnt(25) lgkmcnt(1)
	v_mul_f32_e32 v133, v110, v134
	v_mul_f32_e32 v2, v111, v134
	s_waitcnt vmcnt(24)
	v_mul_f32_e32 v134, v112, v135
	v_mul_f32_e32 v135, v113, v135
	v_add_f32_e32 v6, v6, v126
	v_fmac_f32_e32 v133, v111, v132
	v_fma_f32 v132, v110, v132, -v2
	ds_read_b128 v[2:5], v1 offset:592
	v_fmac_f32_e32 v134, v113, v131
	v_fma_f32 v131, v112, v131, -v135
	ds_read_b128 v[110:113], v1 offset:608
	s_waitcnt vmcnt(23) lgkmcnt(2)
	v_mul_f32_e32 v135, v114, v136
	v_mul_f32_e32 v136, v115, v136
	v_fmac_f32_e32 v135, v115, v130
	v_fma_f32 v114, v114, v130, -v136
	s_waitcnt vmcnt(22)
	v_mul_f32_e32 v115, v116, v137
	v_mul_f32_e32 v130, v117, v137
	s_waitcnt vmcnt(18)
	v_fmac_f32_e32 v115, v117, v141
	v_fma_f32 v116, v116, v141, -v130
	s_clause 0x1
	buffer_load_dword v117, off, s[0:3], 0 offset:268
	buffer_load_dword v130, off, s[0:3], 0 offset:276
	s_waitcnt vmcnt(19) lgkmcnt(1)
	v_mul_f32_e32 v136, v2, v142
	v_mul_f32_e32 v137, v3, v142
	s_waitcnt vmcnt(18)
	v_mul_f32_e32 v141, v4, v143
	v_mul_f32_e32 v142, v5, v143
	s_waitcnt vmcnt(17) lgkmcnt(0)
	v_mul_f32_e32 v143, v110, v144
	v_mul_f32_e32 v144, v111, v144
	v_fmac_f32_e32 v136, v3, v140
	v_fma_f32 v137, v2, v140, -v137
	v_fmac_f32_e32 v141, v5, v139
	v_fmac_f32_e32 v143, v111, v138
	v_fma_f32 v138, v110, v138, -v144
	v_add_f32_e32 v110, 0, v159
	v_fma_f32 v139, v4, v139, -v142
	ds_read_b128 v[2:5], v1 offset:624
	s_waitcnt vmcnt(16)
	v_mul_f32_e32 v140, v112, v145
	v_mul_f32_e32 v145, v113, v145
	v_add_f32_e32 v8, v110, v8
	s_waitcnt vmcnt(12)
	v_fmac_f32_e32 v140, v113, v149
	v_fma_f32 v142, v112, v149, -v145
	s_clause 0x4
	buffer_load_dword v144, off, s[0:3], 0 offset:284
	buffer_load_dword v145, off, s[0:3], 0 offset:304
	;; [unrolled: 1-line block ×5, first 2 shown]
	v_add_f32_e32 v7, v8, v7
	s_clause 0x2
	buffer_load_dword v8, off, s[0:3], 0 offset:292
	buffer_load_dword v162, off, s[0:3], 0 offset:300
	buffer_load_dword v163, off, s[0:3], 0 offset:308
	ds_read_b128 v[110:113], v1 offset:640
	v_add_f32_e32 v7, v7, v121
	v_add_f32_e32 v7, v7, v124
	s_waitcnt vmcnt(19) lgkmcnt(1)
	v_mul_f32_e32 v118, v2, v150
	v_mul_f32_e32 v119, v3, v150
	s_waitcnt vmcnt(18)
	v_mul_f32_e32 v120, v4, v151
	v_mul_f32_e32 v121, v5, v151
	v_fmac_f32_e32 v118, v3, v148
	v_add_f32_e32 v3, v7, v123
	v_fma_f32 v7, v2, v148, -v119
	v_fmac_f32_e32 v120, v5, v147
	v_fma_f32 v119, v4, v147, -v121
	v_add_f32_e32 v2, v3, v122
	v_add_f32_e32 v3, v6, v127
	s_clause 0x7
	buffer_load_dword v6, off, s[0:3], 0 offset:316
	buffer_load_dword v147, off, s[0:3], 0 offset:324
	;; [unrolled: 1-line block ×8, first 2 shown]
	s_waitcnt vmcnt(25) lgkmcnt(0)
	v_mul_f32_e32 v4, v111, v152
	v_mul_f32_e32 v121, v110, v152
	v_add_f32_e32 v2, v2, v129
	v_add_f32_e32 v3, v3, v128
	s_clause 0x3
	buffer_load_dword v152, off, s[0:3], 0 offset:348
	buffer_load_dword v167, off, s[0:3], 0 offset:356
	;; [unrolled: 1-line block ×4, first 2 shown]
	v_fma_f32 v122, v110, v146, -v4
	v_fmac_f32_e32 v121, v111, v146
	v_add_f32_e32 v2, v2, v132
	v_add_f32_e32 v110, v3, v133
	s_waitcnt vmcnt(28)
	v_mul_f32_e32 v3, v113, v153
	s_clause 0x1
	buffer_load_dword v132, off, s[0:3], 0 offset:380
	buffer_load_dword v146, off, s[0:3], 0 offset:388
	v_mul_f32_e32 v123, v112, v153
	v_add_f32_e32 v111, v2, v131
	v_add_f32_e32 v110, v110, v134
	s_waitcnt vmcnt(26)
	v_fma_f32 v124, v112, v157, -v3
	ds_read_b128 v[2:5], v1 offset:656
	buffer_load_dword v131, off, s[0:3], 0 offset:396
	v_add_f32_e32 v111, v111, v114
	v_add_f32_e32 v110, v110, v135
	s_clause 0x3
	buffer_load_dword v133, off, s[0:3], 0 offset:368
	buffer_load_dword v134, off, s[0:3], 0 offset:360
	;; [unrolled: 1-line block ×4, first 2 shown]
	v_fmac_f32_e32 v123, v113, v157
	v_add_f32_e32 v111, v111, v116
	v_add_f32_e32 v110, v110, v115
	;; [unrolled: 1-line block ×4, first 2 shown]
	ds_read_b128 v[110:113], v1 offset:672
	v_add_f32_e32 v114, v114, v139
	s_waitcnt vmcnt(30) lgkmcnt(1)
	v_mul_f32_e32 v125, v2, v158
	v_mul_f32_e32 v116, v3, v158
	v_fmac_f32_e32 v125, v3, v156
	v_add_f32_e32 v3, v114, v138
	s_clause 0x3
	buffer_load_dword v136, off, s[0:3], 0 offset:392
	buffer_load_dword v137, off, s[0:3], 0 offset:384
	;; [unrolled: 1-line block ×4, first 2 shown]
	v_fma_f32 v126, v2, v156, -v116
	v_add_f32_e32 v2, v115, v141
	v_add_f32_e32 v3, v3, v142
	;; [unrolled: 1-line block ×13, first 2 shown]
	s_waitcnt vmcnt(32)
	v_mul_f32_e32 v127, v4, v117
	v_mul_f32_e32 v114, v5, v117
	s_waitcnt vmcnt(31) lgkmcnt(0)
	v_mul_f32_e32 v140, v110, v130
	v_mul_f32_e32 v119, v111, v130
	v_fmac_f32_e32 v127, v5, v155
	v_fma_f32 v128, v4, v155, -v114
	ds_read_b128 v[2:5], v1 offset:688
	ds_read_b128 v[114:117], v1 offset:704
	v_fmac_f32_e32 v140, v111, v154
	v_fma_f32 v129, v110, v154, -v119
	v_add_f32_e32 v154, v122, v125
	v_add_f32_e32 v7, v7, v128
	;; [unrolled: 1-line block ×4, first 2 shown]
	s_waitcnt vmcnt(30)
	v_mul_f32_e32 v120, v113, v144
	v_mul_f32_e32 v130, v112, v144
	s_waitcnt vmcnt(26)
	v_fma_f32 v141, v112, v161, -v120
	v_fmac_f32_e32 v130, v113, v161
	s_waitcnt vmcnt(25) lgkmcnt(1)
	v_mul_f32_e32 v142, v2, v8
	v_mul_f32_e32 v8, v3, v8
	s_waitcnt vmcnt(24)
	v_mul_f32_e32 v143, v4, v162
	v_mul_f32_e32 v123, v5, v162
	s_waitcnt vmcnt(23) lgkmcnt(0)
	v_mul_f32_e32 v126, v115, v163
	ds_read_b128 v[110:113], v1 offset:720
	ds_read_b128 v[118:121], v1 offset:736
	v_mul_f32_e32 v144, v114, v163
	v_fmac_f32_e32 v142, v3, v159
	v_fma_f32 v8, v2, v159, -v8
	v_fmac_f32_e32 v143, v5, v149
	v_fma_f32 v149, v4, v149, -v123
	ds_read_b128 v[2:5], v1 offset:752
	ds_read_b128 v[122:125], v1 offset:768
	v_fma_f32 v114, v114, v145, -v126
	ds_read_b128 v[126:129], v1 offset:784
	v_add_f32_e32 v1, v154, v140
	v_add_f32_e32 v7, v7, v141
	v_fmac_f32_e32 v144, v115, v145
	s_waitcnt vmcnt(22)
	v_mul_f32_e32 v115, v116, v6
	v_mul_f32_e32 v6, v117, v6
	v_add_f32_e32 v1, v1, v130
	v_add_f32_e32 v7, v7, v8
	s_waitcnt vmcnt(15)
	v_fmac_f32_e32 v115, v117, v166
	v_fma_f32 v6, v116, v166, -v6
	v_add_f32_e32 v1, v1, v142
	v_add_f32_e32 v7, v7, v149
	s_waitcnt lgkmcnt(4)
	v_mul_f32_e32 v141, v111, v147
	v_mul_f32_e32 v140, v110, v147
	;; [unrolled: 1-line block ×3, first 2 shown]
	v_add_f32_e32 v1, v1, v143
	v_add_f32_e32 v7, v7, v114
	v_mul_f32_e32 v143, v113, v148
	v_fma_f32 v110, v110, v165, -v141
	v_fmac_f32_e32 v140, v111, v165
	v_add_f32_e32 v1, v1, v144
	v_add_f32_e32 v6, v7, v6
	s_waitcnt lgkmcnt(3)
	v_mul_f32_e32 v7, v119, v150
	v_fma_f32 v111, v112, v164, -v143
	v_mul_f32_e32 v116, v118, v150
	v_add_f32_e32 v1, v1, v115
	v_add_f32_e32 v6, v6, v110
	v_fmac_f32_e32 v130, v113, v164
	s_waitcnt vmcnt(14)
	v_mul_f32_e32 v110, v121, v152
	v_fma_f32 v7, v118, v151, -v7
	v_add_f32_e32 v1, v1, v140
	v_add_f32_e32 v6, v6, v111
	v_mul_f32_e32 v117, v120, v152
	v_fmac_f32_e32 v116, v119, v151
	s_waitcnt vmcnt(13) lgkmcnt(2)
	v_mul_f32_e32 v8, v2, v167
	v_add_f32_e32 v1, v1, v130
	v_mul_f32_e32 v111, v3, v167
	s_waitcnt vmcnt(4)
	v_fma_f32 v110, v120, v153, -v110
	v_add_f32_e32 v6, v6, v7
	v_fmac_f32_e32 v117, v121, v153
	v_add_f32_e32 v1, v1, v116
	v_mul_f32_e32 v7, v5, v168
	v_fmac_f32_e32 v8, v3, v135
	v_fma_f32 v2, v2, v135, -v111
	v_add_f32_e32 v3, v6, v110
	v_mul_f32_e32 v142, v4, v168
	v_add_f32_e32 v1, v1, v117
	s_waitcnt lgkmcnt(1)
	v_mul_f32_e32 v6, v123, v169
	v_fma_f32 v4, v4, v134, -v7
	v_add_f32_e32 v2, v3, v2
	v_mul_f32_e32 v145, v122, v169
	v_fmac_f32_e32 v142, v5, v134
	v_add_f32_e32 v1, v1, v8
	v_mul_f32_e32 v3, v125, v132
	v_fma_f32 v5, v122, v133, -v6
	v_add_f32_e32 v2, v2, v4
	v_mul_f32_e32 v147, v124, v132
	v_fmac_f32_e32 v145, v123, v133
	v_add_f32_e32 v1, v1, v142
	s_waitcnt lgkmcnt(0)
	v_mul_f32_e32 v4, v127, v146
	s_waitcnt vmcnt(1)
	v_fma_f32 v3, v124, v138, -v3
	v_add_f32_e32 v2, v2, v5
	v_mul_f32_e32 v148, v126, v146
	v_fmac_f32_e32 v147, v125, v138
	v_add_f32_e32 v1, v1, v145
	v_mul_f32_e32 v5, v129, v131
	v_fma_f32 v4, v126, v137, -v4
	v_add_f32_e32 v2, v2, v3
	v_mul_f32_e32 v114, v128, v131
	v_fmac_f32_e32 v148, v127, v137
	v_add_f32_e32 v1, v1, v147
	v_fma_f32 v3, v128, v136, -v5
	v_add_f32_e32 v2, v2, v4
	v_fmac_f32_e32 v114, v129, v136
	v_add_f32_e32 v1, v1, v148
	v_add_f32_e32 v2, v2, v3
	;; [unrolled: 1-line block ×3, first 2 shown]
	s_waitcnt vmcnt(0)
	v_sub_f32_e32 v2, v139, v2
	v_sub_f32_e32 v1, v160, v1
	buffer_store_dword v2, off, s[0:3], 0 offset:88
	buffer_store_dword v1, off, s[0:3], 0 offset:92
	v_cmpx_lt_u32_e32 10, v0
	s_cbranch_execz .LBB113_293
; %bb.292:
	s_clause 0x1
	buffer_load_dword v1, off, s[0:3], 0 offset:80
	buffer_load_dword v2, off, s[0:3], 0 offset:84
	v_mov_b32_e32 v3, 0
	buffer_store_dword v3, off, s[0:3], 0 offset:80
	buffer_store_dword v3, off, s[0:3], 0 offset:84
	s_waitcnt vmcnt(0)
	ds_write_b64 v109, v[1:2]
.LBB113_293:
	s_or_b32 exec_lo, exec_lo, s4
	s_waitcnt lgkmcnt(0)
	s_waitcnt_vscnt null, 0x0
	s_barrier
	buffer_gl0_inv
	s_clause 0x2c
	buffer_load_dword v6, off, s[0:3], 0 offset:92
	buffer_load_dword v7, off, s[0:3], 0 offset:100
	;; [unrolled: 1-line block ×45, first 2 shown]
	v_mov_b32_e32 v1, 0
	ds_read2_b64 v[2:5], v1 offset0:61 offset1:62
	ds_read2_b64 v[110:113], v1 offset0:63 offset1:64
	s_clause 0x2
	buffer_load_dword v158, off, s[0:3], 0 offset:84
	buffer_load_dword v159, off, s[0:3], 0 offset:268
	;; [unrolled: 1-line block ×3, first 2 shown]
	s_mov_b32 s4, exec_lo
	s_waitcnt vmcnt(47) lgkmcnt(1)
	v_mul_f32_e32 v156, v3, v6
	v_mul_f32_e32 v6, v2, v6
	s_waitcnt vmcnt(46)
	v_mul_f32_e32 v157, v4, v7
	v_mul_f32_e32 v7, v5, v7
	s_waitcnt vmcnt(43)
	v_fma_f32 v156, v2, v115, -v156
	v_fmac_f32_e32 v6, v3, v115
	v_fmac_f32_e32 v157, v5, v114
	v_fma_f32 v7, v4, v114, -v7
	ds_read2_b64 v[2:5], v1 offset0:65 offset1:66
	s_waitcnt vmcnt(42) lgkmcnt(1)
	v_mul_f32_e32 v114, v110, v116
	v_mul_f32_e32 v115, v111, v116
	s_waitcnt vmcnt(41)
	v_mul_f32_e32 v116, v112, v117
	v_mul_f32_e32 v117, v113, v117
	v_fmac_f32_e32 v114, v111, v8
	v_fma_f32 v8, v110, v8, -v115
	s_waitcnt vmcnt(37)
	v_fmac_f32_e32 v116, v113, v121
	v_fma_f32 v115, v112, v121, -v117
	ds_read2_b64 v[110:113], v1 offset0:67 offset1:68
	s_waitcnt vmcnt(36) lgkmcnt(1)
	v_mul_f32_e32 v117, v2, v122
	v_mul_f32_e32 v121, v3, v122
	s_waitcnt vmcnt(35)
	v_mul_f32_e32 v122, v4, v123
	v_mul_f32_e32 v123, v5, v123
	v_fmac_f32_e32 v117, v3, v120
	v_fma_f32 v120, v2, v120, -v121
	v_fmac_f32_e32 v122, v5, v119
	v_fma_f32 v119, v4, v119, -v123
	ds_read2_b64 v[2:5], v1 offset0:69 offset1:70
	s_waitcnt vmcnt(34) lgkmcnt(1)
	v_mul_f32_e32 v121, v110, v124
	v_mul_f32_e32 v123, v111, v124
	s_waitcnt vmcnt(33)
	v_mul_f32_e32 v124, v112, v125
	v_mul_f32_e32 v125, v113, v125
	v_fmac_f32_e32 v121, v111, v118
	v_fma_f32 v118, v110, v118, -v123
	s_waitcnt vmcnt(29)
	v_fmac_f32_e32 v124, v113, v129
	v_fma_f32 v123, v112, v129, -v125
	ds_read2_b64 v[110:113], v1 offset0:71 offset1:72
	s_waitcnt vmcnt(28) lgkmcnt(1)
	v_mul_f32_e32 v125, v2, v130
	v_mul_f32_e32 v129, v3, v130
	s_waitcnt vmcnt(27)
	v_mul_f32_e32 v130, v4, v131
	v_mul_f32_e32 v131, v5, v131
	v_fmac_f32_e32 v125, v3, v128
	v_fma_f32 v128, v2, v128, -v129
	;; [unrolled: 23-line block ×5, first 2 shown]
	v_fmac_f32_e32 v154, v5, v151
	v_fma_f32 v151, v4, v151, -v155
	s_clause 0x3
	buffer_load_dword v153, off, s[0:3], 0 offset:296
	buffer_load_dword v155, off, s[0:3], 0 offset:288
	;; [unrolled: 1-line block ×4, first 2 shown]
	s_waitcnt vmcnt(5) lgkmcnt(0)
	v_mul_f32_e32 v162, v110, v159
	v_mul_f32_e32 v3, v111, v159
	s_waitcnt vmcnt(4)
	v_mul_f32_e32 v159, v112, v160
	v_mul_f32_e32 v4, v113, v160
	s_clause 0x1
	buffer_load_dword v160, off, s[0:3], 0 offset:284
	buffer_load_dword v164, off, s[0:3], 0 offset:292
	v_fmac_f32_e32 v162, v111, v150
	v_fma_f32 v150, v110, v150, -v3
	v_add_f32_e32 v3, 0, v6
	buffer_load_dword v6, off, s[0:3], 0 offset:308
	v_add_f32_e32 v3, v3, v157
	v_add_f32_e32 v3, v3, v114
	v_add_f32_e32 v3, v3, v116
	v_add_f32_e32 v3, v3, v117
	v_add_f32_e32 v3, v3, v122
	v_add_f32_e32 v3, v3, v121
	v_add_f32_e32 v3, v3, v124
	v_add_f32_e32 v3, v3, v125
	v_add_f32_e32 v3, v3, v130
	v_add_f32_e32 v3, v3, v129
	v_add_f32_e32 v3, v3, v132
	v_add_f32_e32 v3, v3, v133
	v_add_f32_e32 v111, v3, v138
	v_add_f32_e32 v111, v111, v137
	v_add_f32_e32 v114, v111, v140
	v_add_f32_e32 v114, v114, v141
	v_add_f32_e32 v114, v114, v146
	s_waitcnt vmcnt(3)
	v_fmac_f32_e32 v159, v113, v2
	v_fma_f32 v163, v112, v2, -v4
	v_add_f32_e32 v2, 0, v156
	buffer_load_dword v156, off, s[0:3], 0 offset:300
	v_add_f32_e32 v2, v2, v7
	v_add_f32_e32 v2, v2, v8
	s_clause 0xa
	buffer_load_dword v8, off, s[0:3], 0 offset:328
	buffer_load_dword v157, off, s[0:3], 0 offset:320
	;; [unrolled: 1-line block ×11, first 2 shown]
	v_add_f32_e32 v2, v2, v115
	s_clause 0x3
	buffer_load_dword v173, off, s[0:3], 0 offset:372
	buffer_load_dword v174, off, s[0:3], 0 offset:380
	;; [unrolled: 1-line block ×4, first 2 shown]
	v_add_f32_e32 v2, v2, v120
	v_add_f32_e32 v2, v2, v119
	;; [unrolled: 1-line block ×9, first 2 shown]
	s_clause 0x3
	buffer_load_dword v127, off, s[0:3], 0 offset:360
	buffer_load_dword v128, off, s[0:3], 0 offset:352
	;; [unrolled: 1-line block ×4, first 2 shown]
	v_add_f32_e32 v2, v2, v126
	v_add_f32_e32 v2, v2, v131
	s_clause 0x4
	buffer_load_dword v126, off, s[0:3], 0 offset:392
	buffer_load_dword v129, off, s[0:3], 0 offset:384
	;; [unrolled: 1-line block ×5, first 2 shown]
	v_add_f32_e32 v2, v2, v136
	v_add_f32_e32 v110, v2, v135
	ds_read2_b64 v[2:5], v1 offset0:85 offset1:86
	v_add_f32_e32 v110, v110, v134
	v_add_f32_e32 v110, v110, v139
	;; [unrolled: 1-line block ×3, first 2 shown]
	ds_read2_b64 v[110:113], v1 offset0:87 offset1:88
	v_add_f32_e32 v115, v115, v143
	s_waitcnt vmcnt(27) lgkmcnt(1)
	v_mul_f32_e32 v133, v2, v160
	v_mul_f32_e32 v116, v3, v160
	s_waitcnt vmcnt(26)
	v_mul_f32_e32 v134, v4, v164
	v_mul_f32_e32 v117, v5, v164
	v_fmac_f32_e32 v133, v3, v161
	v_add_f32_e32 v3, v115, v142
	v_fma_f32 v135, v2, v161, -v116
	v_fmac_f32_e32 v134, v5, v155
	v_fma_f32 v136, v4, v155, -v117
	v_add_f32_e32 v122, v3, v147
	ds_read2_b64 v[2:5], v1 offset0:89 offset1:90
	ds_read2_b64 v[114:117], v1 offset0:91 offset1:92
	;; [unrolled: 1-line block ×3, first 2 shown]
	s_waitcnt vmcnt(25) lgkmcnt(3)
	v_mul_f32_e32 v138, v112, v6
	v_add_f32_e32 v122, v122, v152
	v_mul_f32_e32 v6, v113, v6
	v_add_f32_e32 v122, v122, v151
	s_waitcnt vmcnt(24)
	v_mul_f32_e32 v124, v111, v156
	v_mul_f32_e32 v137, v110, v156
	v_fma_f32 v139, v110, v153, -v124
	v_add_f32_e32 v110, v123, v154
	v_fmac_f32_e32 v137, v111, v153
	v_add_f32_e32 v111, v122, v150
	ds_read2_b64 v[122:125], v1 offset0:95 offset1:96
	s_waitcnt vmcnt(20)
	v_fma_f32 v140, v112, v7, -v6
	v_add_f32_e32 v141, v110, v162
	v_fmac_f32_e32 v138, v113, v7
	v_add_f32_e32 v142, v111, v163
	s_waitcnt vmcnt(19) lgkmcnt(3)
	v_mul_f32_e32 v143, v2, v166
	s_waitcnt vmcnt(18)
	v_mul_f32_e32 v145, v5, v167
	v_add_f32_e32 v141, v141, v159
	v_mul_f32_e32 v144, v4, v167
	v_add_f32_e32 v135, v142, v135
	v_mul_f32_e32 v142, v3, v166
	v_fmac_f32_e32 v143, v3, v165
	v_add_f32_e32 v133, v141, v133
	s_waitcnt vmcnt(17) lgkmcnt(2)
	v_mul_f32_e32 v141, v114, v168
	v_add_f32_e32 v135, v135, v136
	v_fma_f32 v2, v2, v165, -v142
	v_mul_f32_e32 v142, v115, v168
	v_add_f32_e32 v133, v133, v134
	v_fma_f32 v4, v4, v157, -v145
	v_add_f32_e32 v135, v135, v139
	v_fmac_f32_e32 v144, v5, v157
	v_fmac_f32_e32 v141, v115, v8
	v_add_f32_e32 v133, v133, v137
	v_fma_f32 v8, v114, v8, -v142
	v_add_f32_e32 v135, v135, v140
	s_waitcnt vmcnt(16)
	v_mul_f32_e32 v136, v116, v169
	ds_read2_b64 v[110:113], v1 offset0:97 offset1:98
	ds_read_b64 v[6:7], v1 offset:792
	v_add_f32_e32 v133, v133, v138
	s_waitcnt vmcnt(15) lgkmcnt(3)
	v_mul_f32_e32 v146, v118, v170
	v_add_f32_e32 v2, v135, v2
	s_waitcnt vmcnt(14)
	v_mul_f32_e32 v134, v120, v171
	s_waitcnt vmcnt(13) lgkmcnt(2)
	v_mul_f32_e32 v139, v122, v172
	v_add_f32_e32 v5, v133, v143
	v_mul_f32_e32 v133, v117, v169
	v_add_f32_e32 v2, v2, v4
	s_waitcnt vmcnt(6)
	v_fmac_f32_e32 v146, v119, v177
	s_waitcnt vmcnt(5)
	v_fmac_f32_e32 v136, v117, v178
	v_add_f32_e32 v4, v5, v144
	v_mul_f32_e32 v5, v119, v170
	v_fma_f32 v114, v116, v178, -v133
	v_add_f32_e32 v2, v2, v8
	v_mul_f32_e32 v8, v121, v171
	v_add_f32_e32 v4, v4, v141
	v_fma_f32 v5, v118, v177, -v5
	v_fmac_f32_e32 v134, v121, v128
	v_add_f32_e32 v2, v2, v114
	v_mul_f32_e32 v114, v123, v172
	v_add_f32_e32 v4, v4, v136
	v_fma_f32 v8, v120, v128, -v8
	v_mul_f32_e32 v3, v124, v173
	v_add_f32_e32 v2, v2, v5
	v_mul_f32_e32 v5, v125, v173
	v_add_f32_e32 v4, v4, v146
	v_fma_f32 v114, v122, v127, -v114
	v_fmac_f32_e32 v139, v123, v127
	v_add_f32_e32 v2, v2, v8
	s_waitcnt lgkmcnt(1)
	v_mul_f32_e32 v8, v111, v174
	v_add_f32_e32 v4, v4, v134
	s_waitcnt vmcnt(1)
	v_fma_f32 v5, v124, v131, -v5
	v_mul_f32_e32 v137, v110, v174
	v_add_f32_e32 v2, v2, v114
	v_fmac_f32_e32 v3, v125, v131
	v_add_f32_e32 v4, v4, v139
	v_mul_f32_e32 v114, v113, v175
	v_fma_f32 v8, v110, v130, -v8
	v_add_f32_e32 v2, v2, v5
	v_mul_f32_e32 v140, v112, v175
	v_fmac_f32_e32 v137, v111, v130
	v_add_f32_e32 v3, v4, v3
	s_waitcnt lgkmcnt(0)
	v_mul_f32_e32 v4, v7, v176
	v_fma_f32 v5, v112, v129, -v114
	v_add_f32_e32 v2, v2, v8
	v_mul_f32_e32 v138, v6, v176
	v_fmac_f32_e32 v140, v113, v129
	v_add_f32_e32 v3, v3, v137
	v_fma_f32 v4, v6, v126, -v4
	v_add_f32_e32 v2, v2, v5
	v_fmac_f32_e32 v138, v7, v126
	v_add_f32_e32 v3, v3, v140
	v_add_f32_e32 v2, v2, v4
	;; [unrolled: 1-line block ×3, first 2 shown]
	s_waitcnt vmcnt(0)
	v_sub_f32_e32 v2, v132, v2
	v_sub_f32_e32 v3, v158, v3
	buffer_store_dword v2, off, s[0:3], 0 offset:80
	buffer_store_dword v3, off, s[0:3], 0 offset:84
	v_cmpx_lt_u32_e32 9, v0
	s_cbranch_execz .LBB113_295
; %bb.294:
	s_clause 0x1
	buffer_load_dword v2, off, s[0:3], 0 offset:72
	buffer_load_dword v3, off, s[0:3], 0 offset:76
	buffer_store_dword v1, off, s[0:3], 0 offset:72
	buffer_store_dword v1, off, s[0:3], 0 offset:76
	s_waitcnt vmcnt(0)
	ds_write_b64 v109, v[2:3]
.LBB113_295:
	s_or_b32 exec_lo, exec_lo, s4
	s_waitcnt lgkmcnt(0)
	s_waitcnt_vscnt null, 0x0
	s_barrier
	buffer_gl0_inv
	s_clause 0x2c
	buffer_load_dword v6, off, s[0:3], 0 offset:84
	buffer_load_dword v7, off, s[0:3], 0 offset:92
	;; [unrolled: 1-line block ×45, first 2 shown]
	ds_read_b128 v[2:5], v1 offset:480
	ds_read_b128 v[110:113], v1 offset:496
	s_clause 0x2
	buffer_load_dword v158, off, s[0:3], 0 offset:76
	buffer_load_dword v159, off, s[0:3], 0 offset:260
	;; [unrolled: 1-line block ×3, first 2 shown]
	s_mov_b32 s4, exec_lo
	s_waitcnt vmcnt(47) lgkmcnt(1)
	v_mul_f32_e32 v156, v3, v6
	v_mul_f32_e32 v6, v2, v6
	s_waitcnt vmcnt(46)
	v_mul_f32_e32 v157, v4, v7
	v_mul_f32_e32 v7, v5, v7
	s_waitcnt vmcnt(43)
	v_fma_f32 v156, v2, v115, -v156
	v_fmac_f32_e32 v6, v3, v115
	v_fmac_f32_e32 v157, v5, v114
	v_fma_f32 v7, v4, v114, -v7
	ds_read_b128 v[2:5], v1 offset:512
	s_waitcnt vmcnt(42) lgkmcnt(1)
	v_mul_f32_e32 v114, v110, v116
	v_mul_f32_e32 v115, v111, v116
	s_waitcnt vmcnt(41)
	v_mul_f32_e32 v116, v112, v117
	v_mul_f32_e32 v117, v113, v117
	v_fmac_f32_e32 v114, v111, v8
	v_fma_f32 v8, v110, v8, -v115
	s_waitcnt vmcnt(37)
	v_fmac_f32_e32 v116, v113, v121
	v_fma_f32 v115, v112, v121, -v117
	ds_read_b128 v[110:113], v1 offset:528
	s_waitcnt vmcnt(36) lgkmcnt(1)
	v_mul_f32_e32 v117, v2, v122
	v_mul_f32_e32 v121, v3, v122
	s_waitcnt vmcnt(35)
	v_mul_f32_e32 v122, v4, v123
	v_mul_f32_e32 v123, v5, v123
	v_fmac_f32_e32 v117, v3, v120
	v_fma_f32 v120, v2, v120, -v121
	v_fmac_f32_e32 v122, v5, v119
	v_fma_f32 v119, v4, v119, -v123
	ds_read_b128 v[2:5], v1 offset:544
	s_waitcnt vmcnt(34) lgkmcnt(1)
	v_mul_f32_e32 v121, v110, v124
	v_mul_f32_e32 v123, v111, v124
	s_waitcnt vmcnt(33)
	v_mul_f32_e32 v124, v112, v125
	v_mul_f32_e32 v125, v113, v125
	v_fmac_f32_e32 v121, v111, v118
	v_fma_f32 v118, v110, v118, -v123
	s_waitcnt vmcnt(29)
	v_fmac_f32_e32 v124, v113, v129
	v_fma_f32 v123, v112, v129, -v125
	ds_read_b128 v[110:113], v1 offset:560
	s_waitcnt vmcnt(28) lgkmcnt(1)
	v_mul_f32_e32 v125, v2, v130
	v_mul_f32_e32 v129, v3, v130
	s_waitcnt vmcnt(27)
	v_mul_f32_e32 v130, v4, v131
	v_mul_f32_e32 v131, v5, v131
	v_fmac_f32_e32 v125, v3, v128
	v_fma_f32 v128, v2, v128, -v129
	;; [unrolled: 23-line block ×5, first 2 shown]
	v_fmac_f32_e32 v154, v5, v151
	v_fma_f32 v151, v4, v151, -v155
	s_clause 0x5
	buffer_load_dword v153, off, s[0:3], 0 offset:288
	buffer_load_dword v155, off, s[0:3], 0 offset:280
	;; [unrolled: 1-line block ×6, first 2 shown]
	v_add_f32_e32 v4, 0, v6
	buffer_load_dword v6, off, s[0:3], 0 offset:292
	v_add_f32_e32 v3, 0, v156
	s_waitcnt vmcnt(8) lgkmcnt(0)
	v_mul_f32_e32 v5, v111, v159
	s_waitcnt vmcnt(7)
	v_mul_f32_e32 v166, v112, v160
	v_add_f32_e32 v4, v4, v157
	v_add_f32_e32 v3, v3, v7
	v_mul_f32_e32 v7, v110, v159
	v_add_f32_e32 v4, v4, v114
	v_add_f32_e32 v3, v3, v8
	s_clause 0x7
	buffer_load_dword v8, off, s[0:3], 0 offset:300
	buffer_load_dword v156, off, s[0:3], 0 offset:320
	buffer_load_dword v157, off, s[0:3], 0 offset:312
	buffer_load_dword v159, off, s[0:3], 0 offset:304
	buffer_load_dword v164, off, s[0:3], 0 offset:296
	buffer_load_dword v165, off, s[0:3], 0 offset:308
	buffer_load_dword v167, off, s[0:3], 0 offset:324
	buffer_load_dword v168, off, s[0:3], 0 offset:332
	v_add_f32_e32 v3, v3, v115
	v_add_f32_e32 v4, v4, v116
	v_fmac_f32_e32 v7, v111, v150
	v_fma_f32 v150, v110, v150, -v5
	v_mul_f32_e32 v5, v113, v160
	v_add_f32_e32 v3, v3, v120
	v_add_f32_e32 v4, v4, v117
	s_clause 0x7
	buffer_load_dword v160, off, s[0:3], 0 offset:316
	buffer_load_dword v169, off, s[0:3], 0 offset:340
	;; [unrolled: 1-line block ×8, first 2 shown]
	v_add_f32_e32 v3, v3, v119
	v_add_f32_e32 v4, v4, v122
	buffer_load_dword v176, off, s[0:3], 0 offset:396
	s_waitcnt vmcnt(20)
	v_fmac_f32_e32 v166, v113, v2
	v_fma_f32 v122, v112, v2, -v5
	v_add_f32_e32 v2, v3, v118
	v_add_f32_e32 v3, v4, v121
	;; [unrolled: 1-line block ×8, first 2 shown]
	s_clause 0x3
	buffer_load_dword v130, off, s[0:3], 0 offset:352
	buffer_load_dword v177, off, s[0:3], 0 offset:344
	;; [unrolled: 1-line block ×4, first 2 shown]
	v_add_f32_e32 v2, v2, v126
	v_add_f32_e32 v3, v3, v129
	v_add_f32_e32 v2, v2, v131
	v_add_f32_e32 v3, v3, v132
	s_clause 0x3
	buffer_load_dword v131, off, s[0:3], 0 offset:384
	buffer_load_dword v132, off, s[0:3], 0 offset:376
	;; [unrolled: 1-line block ×4, first 2 shown]
	v_add_f32_e32 v2, v2, v136
	buffer_load_dword v136, off, s[0:3], 0 offset:392
	v_add_f32_e32 v3, v3, v133
	buffer_load_dword v133, off, s[0:3], 0 offset:72
	v_add_f32_e32 v2, v2, v135
	v_add_f32_e32 v3, v3, v138
	;; [unrolled: 1-line block ×4, first 2 shown]
	ds_read_b128 v[2:5], v1 offset:672
	v_add_f32_e32 v110, v110, v139
	v_add_f32_e32 v111, v111, v140
	;; [unrolled: 1-line block ×4, first 2 shown]
	ds_read_b128 v[110:113], v1 offset:688
	v_add_f32_e32 v114, v114, v143
	v_add_f32_e32 v115, v115, v146
	;; [unrolled: 1-line block ×4, first 2 shown]
	s_waitcnt vmcnt(29) lgkmcnt(1)
	v_mul_f32_e32 v134, v2, v162
	v_mul_f32_e32 v116, v3, v162
	s_waitcnt vmcnt(28)
	v_mul_f32_e32 v135, v4, v163
	v_mul_f32_e32 v117, v5, v163
	v_add_f32_e32 v119, v114, v147
	v_fmac_f32_e32 v134, v3, v161
	v_fma_f32 v126, v2, v161, -v116
	v_fmac_f32_e32 v135, v5, v155
	v_fma_f32 v137, v4, v155, -v117
	ds_read_b128 v[2:5], v1 offset:704
	ds_read_b128 v[114:117], v1 offset:720
	v_add_f32_e32 v118, v118, v148
	s_waitcnt vmcnt(27) lgkmcnt(2)
	v_mul_f32_e32 v138, v110, v6
	v_add_f32_e32 v119, v119, v152
	v_mul_f32_e32 v6, v111, v6
	s_waitcnt vmcnt(26)
	v_mul_f32_e32 v139, v112, v8
	v_add_f32_e32 v118, v118, v149
	v_fmac_f32_e32 v138, v111, v153
	v_add_f32_e32 v111, v119, v151
	v_mul_f32_e32 v8, v113, v8
	v_fma_f32 v6, v110, v153, -v6
	v_add_f32_e32 v123, v118, v154
	s_waitcnt vmcnt(22)
	v_fmac_f32_e32 v139, v113, v164
	v_add_f32_e32 v124, v111, v150
	v_fma_f32 v8, v112, v164, -v8
	ds_read_b128 v[110:113], v1 offset:736
	ds_read_b128 v[118:121], v1 offset:752
	v_add_f32_e32 v7, v123, v7
	v_add_f32_e32 v128, v124, v122
	s_waitcnt vmcnt(21) lgkmcnt(3)
	v_mul_f32_e32 v140, v2, v165
	v_mul_f32_e32 v127, v3, v165
	v_add_f32_e32 v7, v7, v166
	ds_read_b128 v[122:125], v1 offset:768
	s_waitcnt vmcnt(20) lgkmcnt(3)
	v_mul_f32_e32 v141, v115, v167
	v_fmac_f32_e32 v140, v3, v159
	v_add_f32_e32 v3, v128, v126
	v_fma_f32 v2, v2, v159, -v127
	ds_read_b128 v[126:129], v1 offset:784
	v_add_f32_e32 v1, v7, v134
	s_waitcnt vmcnt(18)
	v_mul_f32_e32 v134, v5, v160
	v_add_f32_e32 v3, v3, v137
	v_mul_f32_e32 v7, v4, v160
	v_mul_f32_e32 v137, v114, v167
	v_add_f32_e32 v1, v1, v135
	v_fma_f32 v4, v4, v157, -v134
	v_add_f32_e32 v3, v3, v6
	v_fmac_f32_e32 v7, v5, v157
	v_fma_f32 v114, v114, v156, -v141
	v_add_f32_e32 v1, v1, v138
	v_mul_f32_e32 v135, v116, v168
	v_add_f32_e32 v3, v3, v8
	v_mul_f32_e32 v8, v117, v168
	v_fmac_f32_e32 v137, v115, v156
	v_add_f32_e32 v1, v1, v139
	s_waitcnt vmcnt(17) lgkmcnt(3)
	v_mul_f32_e32 v5, v110, v169
	v_add_f32_e32 v2, v3, v2
	s_waitcnt vmcnt(16)
	v_mul_f32_e32 v134, v112, v170
	s_waitcnt vmcnt(15) lgkmcnt(2)
	v_mul_f32_e32 v6, v118, v171
	v_add_f32_e32 v1, v1, v140
	s_waitcnt vmcnt(14)
	v_mul_f32_e32 v138, v120, v172
	v_add_f32_e32 v2, v2, v4
	v_mul_f32_e32 v4, v111, v169
	s_waitcnt vmcnt(13) lgkmcnt(1)
	v_mul_f32_e32 v142, v122, v173
	v_add_f32_e32 v1, v1, v7
	s_waitcnt vmcnt(12)
	v_mul_f32_e32 v139, v124, v174
	v_add_f32_e32 v2, v2, v114
	s_waitcnt vmcnt(11) lgkmcnt(0)
	v_mul_f32_e32 v143, v126, v175
	s_waitcnt vmcnt(10)
	v_mul_f32_e32 v3, v128, v176
	v_add_f32_e32 v1, v1, v137
	s_waitcnt vmcnt(9)
	v_fmac_f32_e32 v6, v119, v130
	s_waitcnt vmcnt(8)
	v_fmac_f32_e32 v134, v113, v177
	s_waitcnt vmcnt(7)
	v_fma_f32 v4, v110, v178, -v4
	s_waitcnt vmcnt(6)
	v_fma_f32 v7, v116, v179, -v8
	v_fmac_f32_e32 v135, v117, v179
	v_mul_f32_e32 v8, v113, v170
	v_fmac_f32_e32 v5, v111, v178
	v_add_f32_e32 v2, v2, v7
	v_add_f32_e32 v1, v1, v135
	v_mul_f32_e32 v7, v119, v171
	v_fma_f32 v8, v112, v177, -v8
	s_waitcnt vmcnt(3)
	v_fmac_f32_e32 v142, v123, v180
	v_add_f32_e32 v2, v2, v4
	v_add_f32_e32 v1, v1, v5
	v_mul_f32_e32 v4, v121, v172
	v_fma_f32 v5, v118, v130, -v7
	v_mul_f32_e32 v7, v123, v173
	v_add_f32_e32 v2, v2, v8
	v_add_f32_e32 v1, v1, v134
	s_waitcnt vmcnt(2)
	v_fma_f32 v4, v120, v181, -v4
	v_fmac_f32_e32 v138, v121, v181
	v_fmac_f32_e32 v139, v125, v132
	v_add_f32_e32 v2, v2, v5
	v_add_f32_e32 v1, v1, v6
	v_mul_f32_e32 v5, v125, v174
	v_fma_f32 v6, v122, v180, -v7
	v_fmac_f32_e32 v143, v127, v131
	v_add_f32_e32 v2, v2, v4
	v_add_f32_e32 v1, v1, v138
	v_mul_f32_e32 v4, v127, v175
	v_fma_f32 v5, v124, v132, -v5
	s_waitcnt vmcnt(1)
	v_fmac_f32_e32 v3, v129, v136
	v_add_f32_e32 v2, v2, v6
	v_add_f32_e32 v1, v1, v142
	v_mul_f32_e32 v6, v129, v176
	v_fma_f32 v4, v126, v131, -v4
	v_add_f32_e32 v2, v2, v5
	v_add_f32_e32 v1, v1, v139
	v_fma_f32 v5, v128, v136, -v6
	v_add_f32_e32 v2, v2, v4
	v_add_f32_e32 v1, v1, v143
	;; [unrolled: 1-line block ×4, first 2 shown]
	s_waitcnt vmcnt(0)
	v_sub_f32_e32 v2, v133, v2
	v_sub_f32_e32 v1, v158, v1
	buffer_store_dword v2, off, s[0:3], 0 offset:72
	buffer_store_dword v1, off, s[0:3], 0 offset:76
	v_cmpx_lt_u32_e32 8, v0
	s_cbranch_execz .LBB113_297
; %bb.296:
	s_clause 0x1
	buffer_load_dword v1, off, s[0:3], 0 offset:64
	buffer_load_dword v2, off, s[0:3], 0 offset:68
	v_mov_b32_e32 v3, 0
	buffer_store_dword v3, off, s[0:3], 0 offset:64
	buffer_store_dword v3, off, s[0:3], 0 offset:68
	s_waitcnt vmcnt(0)
	ds_write_b64 v109, v[1:2]
.LBB113_297:
	s_or_b32 exec_lo, exec_lo, s4
	s_waitcnt lgkmcnt(0)
	s_waitcnt_vscnt null, 0x0
	s_barrier
	buffer_gl0_inv
	s_clause 0x24
	buffer_load_dword v2, off, s[0:3], 0 offset:76
	buffer_load_dword v3, off, s[0:3], 0 offset:84
	;; [unrolled: 1-line block ×37, first 2 shown]
	v_mov_b32_e32 v1, 0
	ds_read2_b64 v[118:121], v1 offset0:59 offset1:60
	ds_read2_b64 v[122:125], v1 offset0:61 offset1:62
	;; [unrolled: 1-line block ×3, first 2 shown]
	s_clause 0x1
	buffer_load_dword v156, off, s[0:3], 0 offset:220
	buffer_load_dword v157, off, s[0:3], 0 offset:68
	ds_read2_b64 v[130:133], v1 offset0:65 offset1:66
	s_mov_b32 s4, exec_lo
	s_waitcnt vmcnt(38) lgkmcnt(3)
	v_mul_f32_e32 v158, v119, v2
	v_mul_f32_e32 v2, v118, v2
	s_waitcnt vmcnt(37)
	v_mul_f32_e32 v159, v120, v3
	v_mul_f32_e32 v3, v121, v3
	s_waitcnt vmcnt(34)
	v_fma_f32 v158, v118, v136, -v158
	v_fmac_f32_e32 v2, v119, v136
	v_fmac_f32_e32 v159, v121, v135
	v_fma_f32 v3, v120, v135, -v3
	ds_read2_b64 v[118:121], v1 offset0:67 offset1:68
	s_waitcnt vmcnt(33) lgkmcnt(3)
	v_mul_f32_e32 v135, v122, v137
	v_mul_f32_e32 v136, v123, v137
	s_waitcnt vmcnt(32)
	v_mul_f32_e32 v137, v124, v138
	v_mul_f32_e32 v138, v125, v138
	s_waitcnt vmcnt(31) lgkmcnt(2)
	v_mul_f32_e32 v160, v126, v139
	v_fmac_f32_e32 v135, v123, v134
	v_fma_f32 v134, v122, v134, -v136
	s_waitcnt vmcnt(26)
	v_fmac_f32_e32 v137, v125, v144
	v_fma_f32 v138, v124, v144, -v138
	ds_read2_b64 v[122:125], v1 offset0:69 offset1:70
	v_mul_f32_e32 v139, v127, v139
	v_mul_f32_e32 v136, v128, v140
	;; [unrolled: 1-line block ×3, first 2 shown]
	v_fmac_f32_e32 v160, v127, v143
	s_waitcnt vmcnt(24) lgkmcnt(2)
	v_mul_f32_e32 v144, v132, v146
	v_fma_f32 v139, v126, v143, -v139
	v_fmac_f32_e32 v136, v129, v142
	v_fma_f32 v140, v128, v142, -v140
	v_mul_f32_e32 v142, v130, v145
	v_mul_f32_e32 v143, v131, v145
	;; [unrolled: 1-line block ×3, first 2 shown]
	ds_read2_b64 v[126:129], v1 offset0:71 offset1:72
	s_waitcnt vmcnt(19)
	v_fmac_f32_e32 v144, v133, v149
	v_fmac_f32_e32 v142, v131, v141
	v_fma_f32 v130, v130, v141, -v143
	v_fma_f32 v131, v132, v149, -v145
	s_clause 0x4
	buffer_load_dword v132, off, s[0:3], 0 offset:228
	buffer_load_dword v133, off, s[0:3], 0 offset:248
	;; [unrolled: 1-line block ×5, first 2 shown]
	s_waitcnt lgkmcnt(2)
	v_mul_f32_e32 v146, v118, v147
	v_mul_f32_e32 v147, v119, v147
	s_waitcnt vmcnt(23)
	v_mul_f32_e32 v149, v120, v150
	v_mul_f32_e32 v150, v121, v150
	s_waitcnt vmcnt(21) lgkmcnt(1)
	v_mul_f32_e32 v161, v124, v152
	v_fmac_f32_e32 v146, v119, v148
	v_fma_f32 v147, v118, v148, -v147
	v_mul_f32_e32 v148, v122, v151
	v_mul_f32_e32 v118, v123, v151
	buffer_load_dword v151, off, s[0:3], 0 offset:236
	v_fmac_f32_e32 v149, v121, v115
	v_fma_f32 v150, v120, v115, -v150
	v_mul_f32_e32 v115, v125, v152
	v_fmac_f32_e32 v148, v123, v8
	v_fma_f32 v8, v122, v8, -v118
	ds_read2_b64 v[118:121], v1 offset0:73 offset1:74
	s_waitcnt vmcnt(18)
	v_fmac_f32_e32 v161, v125, v153
	v_fma_f32 v152, v124, v153, -v115
	ds_read2_b64 v[122:125], v1 offset0:75 offset1:76
	s_waitcnt vmcnt(17) lgkmcnt(2)
	v_mul_f32_e32 v153, v126, v154
	v_mul_f32_e32 v115, v127, v154
	s_waitcnt vmcnt(16)
	v_mul_f32_e32 v154, v128, v155
	v_mul_f32_e32 v155, v129, v155
	v_add_f32_e32 v2, 0, v2
	v_fmac_f32_e32 v153, v127, v116
	v_fma_f32 v126, v126, v116, -v115
	v_fmac_f32_e32 v154, v129, v110
	v_fma_f32 v127, v128, v110, -v155
	s_clause 0x2
	buffer_load_dword v128, off, s[0:3], 0 offset:244
	buffer_load_dword v129, off, s[0:3], 0 offset:252
	;; [unrolled: 1-line block ×3, first 2 shown]
	s_waitcnt vmcnt(18) lgkmcnt(1)
	v_mul_f32_e32 v155, v118, v112
	v_mul_f32_e32 v110, v119, v112
	s_waitcnt vmcnt(17)
	v_mul_f32_e32 v162, v120, v111
	v_mul_f32_e32 v111, v121, v111
	v_fmac_f32_e32 v155, v119, v5
	v_fma_f32 v119, v118, v5, -v110
	s_waitcnt vmcnt(13)
	v_fmac_f32_e32 v162, v121, v117
	s_waitcnt vmcnt(12) lgkmcnt(0)
	v_mul_f32_e32 v121, v122, v114
	v_mul_f32_e32 v5, v123, v114
	s_waitcnt vmcnt(11)
	v_mul_f32_e32 v114, v124, v113
	v_mul_f32_e32 v110, v125, v113
	v_fma_f32 v120, v120, v117, -v111
	ds_read2_b64 v[115:118], v1 offset0:77 offset1:78
	v_fmac_f32_e32 v121, v123, v7
	v_fma_f32 v7, v122, v7, -v5
	v_fmac_f32_e32 v114, v125, v6
	v_fma_f32 v6, v124, v6, -v110
	s_clause 0x4
	buffer_load_dword v122, off, s[0:3], 0 offset:280
	buffer_load_dword v123, off, s[0:3], 0 offset:272
	buffer_load_dword v124, off, s[0:3], 0 offset:264
	buffer_load_dword v125, off, s[0:3], 0 offset:256
	buffer_load_dword v164, off, s[0:3], 0 offset:268
	v_add_f32_e32 v5, 0, v158
	v_add_f32_e32 v3, v5, v3
	v_add_f32_e32 v111, v3, v134
	s_waitcnt vmcnt(15) lgkmcnt(0)
	v_mul_f32_e32 v158, v115, v156
	v_mul_f32_e32 v110, v116, v156
	v_add_f32_e32 v111, v111, v138
	v_fmac_f32_e32 v158, v116, v4
	buffer_load_dword v116, off, s[0:3], 0 offset:276
	v_fma_f32 v115, v115, v4, -v110
	v_add_f32_e32 v110, v2, v159
	ds_read2_b64 v[2:5], v1 offset0:79 offset1:80
	v_add_f32_e32 v111, v111, v139
	v_add_f32_e32 v110, v110, v135
	buffer_load_dword v135, off, s[0:3], 0 offset:292
	v_add_f32_e32 v110, v110, v137
	v_add_f32_e32 v137, v111, v140
	;; [unrolled: 1-line block ×3, first 2 shown]
	s_waitcnt vmcnt(15)
	v_mul_f32_e32 v134, v117, v132
	v_mul_f32_e32 v112, v118, v132
	buffer_load_dword v132, off, s[0:3], 0 offset:284
	s_waitcnt vmcnt(12)
	v_fmac_f32_e32 v134, v118, v145
	v_add_f32_e32 v118, v110, v160
	v_fma_f32 v117, v117, v145, -v112
	ds_read2_b64 v[110:113], v1 offset0:81 offset1:82
	v_add_f32_e32 v118, v118, v136
	s_clause 0x3
	buffer_load_dword v136, off, s[0:3], 0 offset:312
	buffer_load_dword v137, off, s[0:3], 0 offset:304
	;; [unrolled: 1-line block ×4, first 2 shown]
	s_waitcnt vmcnt(15) lgkmcnt(1)
	v_mul_f32_e32 v138, v2, v151
	v_mul_f32_e32 v139, v3, v151
	v_fmac_f32_e32 v138, v3, v143
	v_fma_f32 v139, v2, v143, -v139
	v_add_f32_e32 v2, v118, v142
	s_clause 0x1
	buffer_load_dword v142, off, s[0:3], 0 offset:300
	buffer_load_dword v143, off, s[0:3], 0 offset:308
	v_add_f32_e32 v3, v130, v131
	buffer_load_dword v130, off, s[0:3], 0 offset:316
	v_add_f32_e32 v2, v2, v144
	v_add_f32_e32 v3, v3, v147
	v_add_f32_e32 v131, v2, v146
	s_waitcnt vmcnt(17)
	v_mul_f32_e32 v118, v4, v128
	v_add_f32_e32 v150, v3, v150
	v_mul_f32_e32 v128, v5, v128
	v_add_f32_e32 v131, v131, v149
	s_waitcnt vmcnt(16) lgkmcnt(0)
	v_mul_f32_e32 v149, v110, v129
	v_add_f32_e32 v8, v150, v8
	v_mul_f32_e32 v129, v111, v129
	v_fmac_f32_e32 v118, v5, v141
	v_add_f32_e32 v131, v131, v148
	v_fma_f32 v128, v4, v141, -v128
	s_clause 0x3
	buffer_load_dword v141, off, s[0:3], 0 offset:324
	buffer_load_dword v144, off, s[0:3], 0 offset:332
	;; [unrolled: 1-line block ×4, first 2 shown]
	ds_read2_b64 v[2:5], v1 offset0:83 offset1:84
	v_add_f32_e32 v8, v8, v152
	s_waitcnt vmcnt(19)
	v_mul_f32_e32 v150, v112, v163
	v_mul_f32_e32 v148, v113, v163
	v_fma_f32 v129, v110, v133, -v129
	v_add_f32_e32 v110, v131, v161
	v_add_f32_e32 v8, v8, v126
	v_fmac_f32_e32 v149, v111, v133
	s_clause 0x3
	buffer_load_dword v131, off, s[0:3], 0 offset:356
	buffer_load_dword v133, off, s[0:3], 0 offset:364
	;; [unrolled: 1-line block ×4, first 2 shown]
	v_add_f32_e32 v110, v110, v153
	v_add_f32_e32 v8, v8, v127
	s_waitcnt vmcnt(19)
	v_fmac_f32_e32 v150, v113, v125
	v_fma_f32 v125, v112, v125, -v148
	s_clause 0x5
	buffer_load_dword v148, off, s[0:3], 0 offset:388
	buffer_load_dword v126, off, s[0:3], 0 offset:344
	;; [unrolled: 1-line block ×6, first 2 shown]
	v_add_f32_e32 v127, v110, v154
	v_add_f32_e32 v8, v8, v119
	ds_read2_b64 v[110:113], v1 offset0:85 offset1:86
	s_waitcnt vmcnt(24) lgkmcnt(1)
	v_mul_f32_e32 v154, v3, v164
	v_add_f32_e32 v119, v127, v155
	v_mul_f32_e32 v127, v2, v164
	v_add_f32_e32 v8, v8, v120
	v_fmac_f32_e32 v127, v3, v124
	v_fma_f32 v124, v2, v124, -v154
	v_add_f32_e32 v3, v8, v7
	s_clause 0x3
	buffer_load_dword v8, off, s[0:3], 0 offset:376
	buffer_load_dword v154, off, s[0:3], 0 offset:368
	buffer_load_dword v155, off, s[0:3], 0 offset:360
	buffer_load_dword v161, off, s[0:3], 0 offset:352
	v_add_f32_e32 v2, v119, v162
	s_clause 0x2
	buffer_load_dword v162, off, s[0:3], 0 offset:392
	buffer_load_dword v163, off, s[0:3], 0 offset:384
	;; [unrolled: 1-line block ×3, first 2 shown]
	v_add_f32_e32 v3, v3, v6
	s_waitcnt vmcnt(30)
	v_mul_f32_e32 v165, v4, v116
	v_add_f32_e32 v2, v2, v121
	v_add_f32_e32 v6, v3, v115
	v_mul_f32_e32 v3, v5, v116
	v_add_f32_e32 v2, v2, v114
	v_fmac_f32_e32 v165, v5, v123
	s_waitcnt vmcnt(29) lgkmcnt(0)
	v_mul_f32_e32 v120, v113, v135
	v_add_f32_e32 v6, v6, v117
	ds_read2_b64 v[114:117], v1 offset0:89 offset1:90
	v_add_f32_e32 v7, v2, v158
	v_fma_f32 v158, v4, v123, -v3
	ds_read2_b64 v[2:5], v1 offset0:87 offset1:88
	v_add_f32_e32 v6, v6, v139
	v_add_f32_e32 v7, v7, v134
	;; [unrolled: 1-line block ×9, first 2 shown]
	s_waitcnt vmcnt(28)
	v_mul_f32_e32 v134, v110, v132
	v_mul_f32_e32 v119, v111, v132
	;; [unrolled: 1-line block ×3, first 2 shown]
	v_fmac_f32_e32 v134, v111, v122
	v_fma_f32 v135, v110, v122, -v119
	s_waitcnt vmcnt(24)
	v_fma_f32 v128, v112, v145, -v120
	v_fmac_f32_e32 v132, v113, v145
	ds_read2_b64 v[110:113], v1 offset0:91 offset1:92
	ds_read2_b64 v[118:121], v1 offset0:93 offset1:94
	s_waitcnt vmcnt(23) lgkmcnt(2)
	v_mul_f32_e32 v129, v2, v142
	v_mul_f32_e32 v122, v3, v142
	s_waitcnt vmcnt(22)
	v_mul_f32_e32 v138, v4, v143
	v_mul_f32_e32 v139, v5, v143
	s_waitcnt vmcnt(21)
	v_mul_f32_e32 v142, v114, v130
	v_fmac_f32_e32 v129, v3, v140
	v_fma_f32 v140, v2, v140, -v122
	v_add_f32_e32 v2, v7, v150
	v_fmac_f32_e32 v138, v5, v137
	v_fma_f32 v137, v4, v137, -v139
	v_add_f32_e32 v139, v6, v158
	v_mul_f32_e32 v130, v115, v130
	v_add_f32_e32 v127, v2, v127
	v_fmac_f32_e32 v142, v115, v136
	ds_read2_b64 v[122:125], v1 offset0:95 offset1:96
	ds_read2_b64 v[2:5], v1 offset0:97 offset1:98
	v_add_f32_e32 v135, v139, v135
	v_add_f32_e32 v127, v127, v165
	v_fma_f32 v114, v114, v136, -v130
	s_waitcnt vmcnt(20)
	v_mul_f32_e32 v139, v117, v141
	v_mul_f32_e32 v143, v116, v141
	v_add_f32_e32 v128, v135, v128
	v_add_f32_e32 v127, v127, v134
	s_waitcnt vmcnt(19) lgkmcnt(3)
	v_mul_f32_e32 v134, v110, v144
	v_mul_f32_e32 v136, v111, v144
	s_waitcnt vmcnt(18)
	v_mul_f32_e32 v135, v112, v146
	v_add_f32_e32 v128, v128, v140
	v_add_f32_e32 v127, v127, v132
	s_waitcnt vmcnt(17) lgkmcnt(2)
	v_mul_f32_e32 v141, v118, v147
	s_waitcnt vmcnt(16)
	v_mul_f32_e32 v132, v120, v131
	ds_read_b64 v[6:7], v1 offset:792
	v_add_f32_e32 v128, v128, v137
	v_add_f32_e32 v127, v127, v129
	s_waitcnt vmcnt(15) lgkmcnt(2)
	v_mul_f32_e32 v140, v122, v133
	s_waitcnt vmcnt(11)
	v_fmac_f32_e32 v141, v119, v126
	v_add_f32_e32 v114, v128, v114
	v_add_f32_e32 v127, v127, v138
	s_waitcnt vmcnt(8)
	v_fma_f32 v116, v116, v159, -v139
	v_fmac_f32_e32 v143, v117, v159
	v_fmac_f32_e32 v134, v111, v156
	v_fma_f32 v110, v110, v156, -v136
	v_add_f32_e32 v117, v127, v142
	v_mul_f32_e32 v127, v113, v146
	v_add_f32_e32 v111, v114, v116
	v_mul_f32_e32 v116, v119, v147
	v_fmac_f32_e32 v135, v113, v153
	v_add_f32_e32 v114, v117, v143
	v_fma_f32 v112, v112, v153, -v127
	v_add_f32_e32 v110, v111, v110
	v_mul_f32_e32 v113, v121, v131
	v_mul_f32_e32 v115, v124, v151
	v_add_f32_e32 v111, v114, v134
	v_fma_f32 v114, v118, v126, -v116
	v_add_f32_e32 v110, v110, v112
	v_mul_f32_e32 v112, v123, v133
	s_waitcnt vmcnt(3)
	v_fma_f32 v113, v120, v161, -v113
	v_add_f32_e32 v111, v111, v135
	v_fmac_f32_e32 v132, v121, v161
	v_add_f32_e32 v110, v110, v114
	v_mul_f32_e32 v114, v125, v151
	v_fma_f32 v112, v122, v155, -v112
	v_add_f32_e32 v111, v111, v141
	v_fmac_f32_e32 v140, v123, v155
	v_add_f32_e32 v110, v110, v113
	s_waitcnt lgkmcnt(1)
	v_mul_f32_e32 v129, v2, v152
	v_mul_f32_e32 v113, v3, v152
	v_add_f32_e32 v111, v111, v132
	v_fma_f32 v114, v124, v154, -v114
	v_add_f32_e32 v110, v110, v112
	v_fmac_f32_e32 v115, v125, v154
	v_mul_f32_e32 v112, v5, v148
	v_add_f32_e32 v111, v111, v140
	v_fmac_f32_e32 v129, v3, v8
	v_fma_f32 v2, v2, v8, -v113
	v_add_f32_e32 v3, v110, v114
	v_mul_f32_e32 v130, v4, v148
	v_add_f32_e32 v8, v111, v115
	s_waitcnt lgkmcnt(0)
	v_mul_f32_e32 v110, v7, v160
	s_waitcnt vmcnt(1)
	v_fma_f32 v4, v4, v163, -v112
	v_add_f32_e32 v2, v3, v2
	v_mul_f32_e32 v137, v6, v160
	v_fmac_f32_e32 v130, v5, v163
	v_add_f32_e32 v3, v8, v129
	v_fma_f32 v5, v6, v162, -v110
	v_add_f32_e32 v2, v2, v4
	v_fmac_f32_e32 v137, v7, v162
	v_add_f32_e32 v3, v3, v130
	v_add_f32_e32 v2, v2, v5
	;; [unrolled: 1-line block ×3, first 2 shown]
	s_waitcnt vmcnt(0)
	v_sub_f32_e32 v2, v164, v2
	v_sub_f32_e32 v3, v157, v3
	buffer_store_dword v2, off, s[0:3], 0 offset:64
	buffer_store_dword v3, off, s[0:3], 0 offset:68
	v_cmpx_lt_u32_e32 7, v0
	s_cbranch_execz .LBB113_299
; %bb.298:
	s_clause 0x1
	buffer_load_dword v2, off, s[0:3], 0 offset:56
	buffer_load_dword v3, off, s[0:3], 0 offset:60
	buffer_store_dword v1, off, s[0:3], 0 offset:56
	buffer_store_dword v1, off, s[0:3], 0 offset:60
	s_waitcnt vmcnt(0)
	ds_write_b64 v109, v[2:3]
.LBB113_299:
	s_or_b32 exec_lo, exec_lo, s4
	s_waitcnt lgkmcnt(0)
	s_waitcnt_vscnt null, 0x0
	s_barrier
	buffer_gl0_inv
	s_clause 0x24
	buffer_load_dword v138, off, s[0:3], 0 offset:68
	buffer_load_dword v2, off, s[0:3], 0 offset:76
	;; [unrolled: 1-line block ×37, first 2 shown]
	ds_read_b128 v[122:125], v1 offset:464
	ds_read_b128 v[126:129], v1 offset:480
	;; [unrolled: 1-line block ×3, first 2 shown]
	s_clause 0x1
	buffer_load_dword v156, off, s[0:3], 0 offset:212
	buffer_load_dword v157, off, s[0:3], 0 offset:220
	ds_read_b128 v[134:137], v1 offset:512
	buffer_load_dword v159, off, s[0:3], 0 offset:60
	s_mov_b32 s4, exec_lo
	s_waitcnt vmcnt(39) lgkmcnt(3)
	v_mul_f32_e32 v158, v123, v138
	v_mul_f32_e32 v138, v122, v138
	s_waitcnt vmcnt(38)
	v_mul_f32_e32 v160, v124, v2
	v_mul_f32_e32 v2, v125, v2
	s_waitcnt vmcnt(35)
	v_fma_f32 v158, v122, v141, -v158
	v_fmac_f32_e32 v138, v123, v141
	v_fmac_f32_e32 v160, v125, v140
	v_fma_f32 v2, v124, v140, -v2
	s_waitcnt vmcnt(33) lgkmcnt(2)
	v_mul_f32_e32 v140, v128, v143
	v_mul_f32_e32 v123, v129, v143
	;; [unrolled: 1-line block ×4, first 2 shown]
	s_waitcnt vmcnt(32) lgkmcnt(1)
	v_mul_f32_e32 v142, v130, v144
	v_mul_f32_e32 v143, v131, v144
	s_waitcnt vmcnt(28)
	v_fmac_f32_e32 v140, v129, v147
	v_fma_f32 v144, v128, v147, -v123
	s_waitcnt vmcnt(27)
	v_mul_f32_e32 v147, v132, v148
	v_mul_f32_e32 v148, v133, v148
	v_fmac_f32_e32 v141, v127, v139
	v_fma_f32 v139, v126, v139, -v122
	ds_read_b128 v[122:125], v1 offset:528
	ds_read_b128 v[126:129], v1 offset:544
	v_fmac_f32_e32 v142, v131, v146
	v_fma_f32 v143, v130, v146, -v143
	s_waitcnt vmcnt(26) lgkmcnt(2)
	v_mul_f32_e32 v146, v134, v149
	v_mul_f32_e32 v130, v135, v149
	v_fmac_f32_e32 v147, v133, v145
	v_fma_f32 v145, v132, v145, -v148
	s_waitcnt vmcnt(25)
	v_mul_f32_e32 v148, v136, v150
	v_mul_f32_e32 v131, v137, v150
	s_clause 0x3
	buffer_load_dword v149, off, s[0:3], 0 offset:240
	buffer_load_dword v150, off, s[0:3], 0 offset:232
	;; [unrolled: 1-line block ×4, first 2 shown]
	v_fmac_f32_e32 v146, v135, v112
	v_fma_f32 v134, v134, v112, -v130
	s_waitcnt vmcnt(25)
	v_fmac_f32_e32 v148, v137, v151
	v_fma_f32 v135, v136, v151, -v131
	ds_read_b128 v[130:133], v1 offset:560
	s_clause 0x1
	buffer_load_dword v163, off, s[0:3], 0 offset:228
	buffer_load_dword v164, off, s[0:3], 0 offset:236
	s_waitcnt vmcnt(26) lgkmcnt(2)
	v_mul_f32_e32 v136, v122, v152
	v_mul_f32_e32 v112, v123, v152
	s_waitcnt vmcnt(25)
	v_mul_f32_e32 v137, v124, v153
	v_mul_f32_e32 v151, v125, v153
	s_waitcnt vmcnt(24) lgkmcnt(1)
	v_mul_f32_e32 v153, v126, v154
	v_fmac_f32_e32 v136, v123, v119
	v_fma_f32 v152, v122, v119, -v112
	v_fmac_f32_e32 v137, v125, v113
	v_fma_f32 v151, v124, v113, -v151
	ds_read_b128 v[122:125], v1 offset:576
	v_mul_f32_e32 v112, v127, v154
	s_waitcnt vmcnt(23)
	v_mul_f32_e32 v113, v129, v118
	v_mul_f32_e32 v154, v128, v118
	v_fmac_f32_e32 v153, v127, v6
	v_fma_f32 v6, v126, v6, -v112
	s_waitcnt vmcnt(19)
	v_fma_f32 v126, v128, v155, -v113
	s_waitcnt vmcnt(18) lgkmcnt(1)
	v_mul_f32_e32 v127, v130, v121
	v_mul_f32_e32 v112, v131, v121
	s_waitcnt vmcnt(17)
	v_mul_f32_e32 v128, v132, v120
	v_mul_f32_e32 v113, v133, v120
	ds_read_b128 v[118:121], v1 offset:592
	v_fmac_f32_e32 v154, v129, v155
	v_fmac_f32_e32 v127, v131, v114
	buffer_load_dword v129, off, s[0:3], 0 offset:244
	v_fma_f32 v114, v130, v114, -v112
	v_fmac_f32_e32 v128, v133, v8
	v_fma_f32 v8, v132, v8, -v113
	s_waitcnt vmcnt(16) lgkmcnt(1)
	v_mul_f32_e32 v131, v124, v110
	v_mul_f32_e32 v110, v125, v110
	;; [unrolled: 1-line block ×4, first 2 shown]
	s_waitcnt vmcnt(12)
	v_fmac_f32_e32 v131, v125, v117
	v_fma_f32 v117, v124, v117, -v110
	buffer_load_dword v124, off, s[0:3], 0 offset:252
	v_fmac_f32_e32 v130, v123, v4
	v_fma_f32 v122, v122, v4, -v111
	ds_read_b128 v[110:113], v1 offset:608
	s_waitcnt vmcnt(12) lgkmcnt(1)
	v_mul_f32_e32 v123, v118, v116
	v_mul_f32_e32 v4, v119, v116
	s_waitcnt vmcnt(11)
	v_mul_f32_e32 v116, v120, v115
	v_mul_f32_e32 v115, v121, v115
	v_fmac_f32_e32 v123, v119, v7
	v_fma_f32 v7, v118, v7, -v4
	v_fmac_f32_e32 v116, v121, v5
	v_fma_f32 v115, v120, v5, -v115
	s_clause 0x4
	buffer_load_dword v118, off, s[0:3], 0 offset:272
	buffer_load_dword v119, off, s[0:3], 0 offset:264
	;; [unrolled: 1-line block ×5, first 2 shown]
	v_add_f32_e32 v4, 0, v158
	v_add_f32_e32 v5, 0, v138
	s_clause 0x1
	buffer_load_dword v132, off, s[0:3], 0 offset:268
	buffer_load_dword v133, off, s[0:3], 0 offset:276
	v_add_f32_e32 v2, v4, v2
	v_add_f32_e32 v4, v5, v160
	s_waitcnt vmcnt(17) lgkmcnt(0)
	v_mul_f32_e32 v138, v110, v156
	v_mul_f32_e32 v5, v111, v156
	v_add_f32_e32 v2, v2, v139
	v_add_f32_e32 v4, v4, v141
	s_waitcnt vmcnt(16)
	v_mul_f32_e32 v141, v113, v157
	v_fmac_f32_e32 v138, v111, v3
	v_fma_f32 v155, v110, v3, -v5
	v_add_f32_e32 v110, v2, v144
	v_add_f32_e32 v111, v4, v140
	ds_read_b128 v[2:5], v1 offset:624
	v_mul_f32_e32 v139, v112, v157
	v_add_f32_e32 v110, v110, v143
	v_add_f32_e32 v111, v111, v142
	;; [unrolled: 1-line block ×10, first 2 shown]
	s_waitcnt vmcnt(11)
	v_fma_f32 v140, v112, v162, -v141
	s_clause 0x7
	buffer_load_dword v141, off, s[0:3], 0 offset:284
	buffer_load_dword v142, off, s[0:3], 0 offset:304
	;; [unrolled: 1-line block ×8, first 2 shown]
	v_fmac_f32_e32 v139, v113, v162
	ds_read_b128 v[110:113], v1 offset:640
	s_waitcnt vmcnt(18) lgkmcnt(1)
	v_mul_f32_e32 v148, v2, v163
	v_mul_f32_e32 v157, v3, v163
	s_waitcnt vmcnt(17)
	v_mul_f32_e32 v147, v4, v164
	v_mul_f32_e32 v152, v5, v164
	v_fmac_f32_e32 v148, v3, v161
	v_add_f32_e32 v3, v135, v151
	v_add_f32_e32 v135, v136, v137
	v_fma_f32 v136, v2, v161, -v157
	v_fmac_f32_e32 v147, v5, v150
	v_fma_f32 v137, v4, v150, -v152
	v_add_f32_e32 v2, v3, v6
	v_add_f32_e32 v3, v135, v153
	s_clause 0x7
	buffer_load_dword v6, off, s[0:3], 0 offset:316
	buffer_load_dword v135, off, s[0:3], 0 offset:324
	;; [unrolled: 1-line block ×8, first 2 shown]
	v_add_f32_e32 v2, v2, v126
	v_add_f32_e32 v3, v3, v154
	s_clause 0x3
	buffer_load_dword v154, off, s[0:3], 0 offset:348
	buffer_load_dword v161, off, s[0:3], 0 offset:356
	;; [unrolled: 1-line block ×4, first 2 shown]
	v_add_f32_e32 v2, v2, v114
	v_add_f32_e32 v8, v2, v8
	s_waitcnt vmcnt(28) lgkmcnt(0)
	v_mul_f32_e32 v4, v111, v129
	v_mul_f32_e32 v160, v110, v129
	v_add_f32_e32 v8, v8, v122
	v_fma_f32 v126, v110, v149, -v4
	v_add_f32_e32 v110, v3, v127
	v_fmac_f32_e32 v160, v111, v149
	s_clause 0x2
	buffer_load_dword v149, off, s[0:3], 0 offset:380
	buffer_load_dword v164, off, s[0:3], 0 offset:388
	;; [unrolled: 1-line block ×3, first 2 shown]
	v_add_f32_e32 v8, v8, v117
	v_add_f32_e32 v110, v110, v128
	s_waitcnt vmcnt(30)
	v_mul_f32_e32 v3, v113, v124
	v_mul_f32_e32 v127, v112, v124
	v_add_f32_e32 v7, v8, v7
	v_add_f32_e32 v110, v110, v130
	;; [unrolled: 1-line block ×4, first 2 shown]
	s_waitcnt vmcnt(26)
	v_fma_f32 v124, v112, v121, -v3
	ds_read_b128 v[2:5], v1 offset:656
	s_clause 0x3
	buffer_load_dword v130, off, s[0:3], 0 offset:368
	buffer_load_dword v166, off, s[0:3], 0 offset:360
	;; [unrolled: 1-line block ×4, first 2 shown]
	v_add_f32_e32 v8, v110, v123
	v_fmac_f32_e32 v127, v113, v121
	ds_read_b128 v[110:113], v1 offset:672
	s_waitcnt vmcnt(29) lgkmcnt(1)
	v_mul_f32_e32 v122, v2, v125
	v_mul_f32_e32 v114, v3, v125
	s_waitcnt vmcnt(28)
	v_mul_f32_e32 v128, v4, v132
	s_waitcnt vmcnt(27) lgkmcnt(0)
	v_mul_f32_e32 v121, v111, v133
	v_fmac_f32_e32 v122, v3, v120
	v_fma_f32 v123, v2, v120, -v114
	v_add_f32_e32 v2, v8, v116
	v_add_f32_e32 v3, v7, v155
	s_clause 0x2
	buffer_load_dword v7, off, s[0:3], 0 offset:392
	buffer_load_dword v8, off, s[0:3], 0 offset:384
	;; [unrolled: 1-line block ×3, first 2 shown]
	v_mul_f32_e32 v114, v5, v132
	v_fmac_f32_e32 v128, v5, v119
	v_add_f32_e32 v2, v2, v138
	buffer_load_dword v138, off, s[0:3], 0 offset:56
	v_add_f32_e32 v3, v3, v140
	v_fma_f32 v125, v4, v119, -v114
	v_mul_f32_e32 v132, v110, v133
	v_add_f32_e32 v115, v2, v139
	v_add_f32_e32 v119, v3, v136
	ds_read_b128 v[2:5], v1 offset:688
	v_fma_f32 v136, v110, v118, -v121
	v_add_f32_e32 v120, v115, v148
	ds_read_b128 v[114:117], v1 offset:704
	v_add_f32_e32 v119, v119, v137
	v_fmac_f32_e32 v132, v111, v118
	v_add_f32_e32 v120, v120, v147
	v_add_f32_e32 v126, v119, v126
	;; [unrolled: 1-line block ×4, first 2 shown]
	s_waitcnt vmcnt(30)
	v_mul_f32_e32 v129, v113, v141
	v_mul_f32_e32 v133, v112, v141
	s_waitcnt vmcnt(25) lgkmcnt(1)
	v_mul_f32_e32 v139, v2, v134
	v_mul_f32_e32 v126, v3, v134
	v_fma_f32 v137, v112, v156, -v129
	v_add_f32_e32 v129, v120, v160
	s_waitcnt vmcnt(23) lgkmcnt(0)
	v_mul_f32_e32 v140, v114, v146
	v_fmac_f32_e32 v139, v3, v144
	v_fma_f32 v144, v2, v144, -v126
	v_mul_f32_e32 v134, v4, v145
	v_add_f32_e32 v127, v129, v127
	v_mul_f32_e32 v129, v5, v145
	v_mul_f32_e32 v141, v115, v146
	v_fmac_f32_e32 v140, v115, v142
	v_fmac_f32_e32 v133, v113, v156
	v_add_f32_e32 v126, v127, v122
	v_add_f32_e32 v127, v123, v125
	ds_read_b128 v[110:113], v1 offset:720
	ds_read_b128 v[118:121], v1 offset:736
	v_fmac_f32_e32 v134, v5, v143
	v_fma_f32 v143, v4, v143, -v129
	v_add_f32_e32 v145, v126, v128
	v_add_f32_e32 v115, v127, v136
	ds_read_b128 v[2:5], v1 offset:752
	ds_read_b128 v[122:125], v1 offset:768
	;; [unrolled: 1-line block ×3, first 2 shown]
	v_fma_f32 v114, v114, v142, -v141
	v_add_f32_e32 v1, v145, v132
	v_add_f32_e32 v115, v115, v137
	s_waitcnt vmcnt(22)
	v_mul_f32_e32 v132, v116, v6
	v_mul_f32_e32 v6, v117, v6
	v_add_f32_e32 v1, v1, v133
	v_add_f32_e32 v115, v115, v144
	s_waitcnt vmcnt(15)
	v_fmac_f32_e32 v132, v117, v158
	v_fma_f32 v6, v116, v158, -v6
	v_add_f32_e32 v1, v1, v139
	v_add_f32_e32 v115, v115, v143
	s_waitcnt lgkmcnt(4)
	v_mul_f32_e32 v136, v110, v135
	v_mul_f32_e32 v135, v111, v135
	;; [unrolled: 1-line block ×3, first 2 shown]
	v_add_f32_e32 v1, v1, v134
	v_add_f32_e32 v114, v115, v114
	v_mul_f32_e32 v134, v113, v150
	v_fma_f32 v110, v110, v157, -v135
	v_fmac_f32_e32 v136, v111, v157
	v_add_f32_e32 v1, v1, v140
	v_add_f32_e32 v6, v114, v6
	s_waitcnt lgkmcnt(3)
	v_mul_f32_e32 v111, v119, v151
	v_fma_f32 v112, v112, v153, -v134
	v_mul_f32_e32 v116, v118, v151
	v_add_f32_e32 v1, v1, v132
	v_add_f32_e32 v6, v6, v110
	v_fmac_f32_e32 v133, v113, v153
	s_waitcnt vmcnt(14)
	v_mul_f32_e32 v110, v121, v154
	v_fma_f32 v111, v118, v152, -v111
	v_add_f32_e32 v1, v1, v136
	v_add_f32_e32 v6, v6, v112
	v_mul_f32_e32 v117, v120, v154
	v_fmac_f32_e32 v116, v119, v152
	s_waitcnt vmcnt(13) lgkmcnt(2)
	v_mul_f32_e32 v137, v2, v161
	v_add_f32_e32 v1, v1, v133
	v_mul_f32_e32 v112, v3, v161
	v_add_f32_e32 v6, v6, v111
	s_waitcnt vmcnt(4)
	v_fma_f32 v110, v120, v168, -v110
	v_fmac_f32_e32 v117, v121, v168
	v_add_f32_e32 v1, v1, v116
	v_mul_f32_e32 v111, v5, v162
	v_fmac_f32_e32 v137, v3, v167
	v_fma_f32 v2, v2, v167, -v112
	v_add_f32_e32 v3, v6, v110
	v_mul_f32_e32 v139, v4, v162
	v_add_f32_e32 v1, v1, v117
	s_waitcnt lgkmcnt(1)
	v_mul_f32_e32 v6, v123, v163
	v_fma_f32 v4, v4, v166, -v111
	v_add_f32_e32 v2, v3, v2
	v_mul_f32_e32 v141, v122, v163
	v_fmac_f32_e32 v139, v5, v166
	v_add_f32_e32 v1, v1, v137
	v_mul_f32_e32 v3, v125, v149
	v_fma_f32 v5, v122, v130, -v6
	v_add_f32_e32 v2, v2, v4
	v_mul_f32_e32 v142, v124, v149
	v_fmac_f32_e32 v141, v123, v130
	v_add_f32_e32 v1, v1, v139
	s_waitcnt lgkmcnt(0)
	v_mul_f32_e32 v4, v127, v164
	v_add_f32_e32 v2, v2, v5
	v_mul_f32_e32 v143, v126, v164
	v_mul_f32_e32 v5, v129, v165
	v_add_f32_e32 v1, v1, v141
	v_mul_f32_e32 v115, v128, v165
	s_waitcnt vmcnt(2)
	v_fma_f32 v4, v126, v8, -v4
	s_waitcnt vmcnt(1)
	v_fma_f32 v3, v124, v131, -v3
	v_fmac_f32_e32 v142, v125, v131
	v_fmac_f32_e32 v143, v127, v8
	;; [unrolled: 1-line block ×3, first 2 shown]
	v_add_f32_e32 v2, v2, v3
	v_add_f32_e32 v1, v1, v142
	v_fma_f32 v3, v128, v7, -v5
	v_add_f32_e32 v2, v2, v4
	v_add_f32_e32 v1, v1, v143
	;; [unrolled: 1-line block ×4, first 2 shown]
	s_waitcnt vmcnt(0)
	v_sub_f32_e32 v2, v138, v2
	v_sub_f32_e32 v1, v159, v1
	buffer_store_dword v2, off, s[0:3], 0 offset:56
	buffer_store_dword v1, off, s[0:3], 0 offset:60
	v_cmpx_lt_u32_e32 6, v0
	s_cbranch_execz .LBB113_301
; %bb.300:
	s_clause 0x1
	buffer_load_dword v1, off, s[0:3], 0 offset:48
	buffer_load_dword v2, off, s[0:3], 0 offset:52
	v_mov_b32_e32 v3, 0
	buffer_store_dword v3, off, s[0:3], 0 offset:48
	buffer_store_dword v3, off, s[0:3], 0 offset:52
	s_waitcnt vmcnt(0)
	ds_write_b64 v109, v[1:2]
.LBB113_301:
	s_or_b32 exec_lo, exec_lo, s4
	s_waitcnt lgkmcnt(0)
	s_waitcnt_vscnt null, 0x0
	s_barrier
	buffer_gl0_inv
	s_clause 0x2c
	buffer_load_dword v148, off, s[0:3], 0 offset:60
	buffer_load_dword v149, off, s[0:3], 0 offset:68
	;; [unrolled: 1-line block ×45, first 2 shown]
	v_mov_b32_e32 v1, 0
	ds_read2_b64 v[140:143], v1 offset0:57 offset1:58
	ds_read2_b64 v[144:147], v1 offset0:59 offset1:60
	buffer_load_dword v158, off, s[0:3], 0 offset:52
	s_mov_b32 s4, exec_lo
	s_waitcnt vmcnt(45) lgkmcnt(1)
	v_mul_f32_e32 v156, v141, v148
	v_mul_f32_e32 v148, v140, v148
	s_waitcnt vmcnt(44)
	v_mul_f32_e32 v157, v142, v149
	v_mul_f32_e32 v149, v143, v149
	s_waitcnt vmcnt(41)
	v_fma_f32 v156, v140, v137, -v156
	v_fmac_f32_e32 v148, v141, v137
	v_fmac_f32_e32 v157, v143, v133
	v_fma_f32 v149, v142, v133, -v149
	ds_read2_b64 v[140:143], v1 offset0:61 offset1:62
	s_waitcnt vmcnt(40) lgkmcnt(1)
	v_mul_f32_e32 v159, v144, v132
	v_mul_f32_e32 v132, v145, v132
	s_waitcnt vmcnt(39)
	v_mul_f32_e32 v160, v146, v130
	v_mul_f32_e32 v130, v147, v130
	v_fmac_f32_e32 v159, v145, v119
	v_fma_f32 v119, v144, v119, -v132
	s_waitcnt vmcnt(35)
	v_fmac_f32_e32 v160, v147, v138
	v_fma_f32 v161, v146, v138, -v130
	ds_read2_b64 v[144:147], v1 offset0:63 offset1:64
	s_waitcnt vmcnt(34) lgkmcnt(1)
	v_mul_f32_e32 v162, v140, v136
	v_mul_f32_e32 v130, v141, v136
	s_waitcnt vmcnt(33)
	v_mul_f32_e32 v163, v142, v135
	v_mul_f32_e32 v132, v143, v135
	ds_read2_b64 v[135:138], v1 offset0:65 offset1:66
	v_fmac_f32_e32 v162, v141, v127
	v_fma_f32 v127, v140, v127, -v130
	v_fmac_f32_e32 v163, v143, v122
	v_fma_f32 v164, v142, v122, -v132
	ds_read2_b64 v[140:143], v1 offset0:67 offset1:68
	s_waitcnt vmcnt(32) lgkmcnt(2)
	v_mul_f32_e32 v165, v144, v126
	v_mul_f32_e32 v122, v145, v126
	s_waitcnt vmcnt(31)
	v_mul_f32_e32 v126, v146, v124
	v_mul_f32_e32 v124, v147, v124
	v_fmac_f32_e32 v165, v145, v8
	v_fma_f32 v8, v144, v8, -v122
	s_waitcnt vmcnt(27)
	v_fmac_f32_e32 v126, v147, v134
	v_fma_f32 v144, v146, v134, -v124
	s_waitcnt vmcnt(26) lgkmcnt(1)
	v_mul_f32_e32 v145, v135, v131
	v_mul_f32_e32 v122, v136, v131
	s_waitcnt vmcnt(25)
	v_mul_f32_e32 v146, v137, v129
	v_mul_f32_e32 v124, v138, v129
	ds_read2_b64 v[129:132], v1 offset0:69 offset1:70
	v_fmac_f32_e32 v145, v136, v120
	v_fma_f32 v120, v135, v120, -v122
	ds_read2_b64 v[133:136], v1 offset0:71 offset1:72
	v_fmac_f32_e32 v146, v138, v114
	v_fma_f32 v137, v137, v114, -v124
	s_waitcnt vmcnt(24) lgkmcnt(2)
	v_mul_f32_e32 v138, v140, v118
	v_mul_f32_e32 v114, v141, v118
	s_waitcnt vmcnt(23)
	v_mul_f32_e32 v118, v142, v116
	v_mul_f32_e32 v116, v143, v116
	v_fmac_f32_e32 v138, v141, v4
	v_fma_f32 v140, v140, v4, -v114
	s_waitcnt vmcnt(19)
	v_fmac_f32_e32 v118, v143, v128
	v_fma_f32 v128, v142, v128, -v116
	s_waitcnt vmcnt(18) lgkmcnt(1)
	v_mul_f32_e32 v141, v129, v125
	v_mul_f32_e32 v4, v130, v125
	s_waitcnt vmcnt(17)
	v_mul_f32_e32 v142, v131, v123
	v_mul_f32_e32 v114, v132, v123
	ds_read2_b64 v[122:125], v1 offset0:73 offset1:74
	v_fmac_f32_e32 v141, v130, v113
	v_fma_f32 v129, v129, v113, -v4
	v_fmac_f32_e32 v142, v132, v110
	v_fma_f32 v130, v131, v110, -v114
	s_waitcnt vmcnt(15) lgkmcnt(1)
	v_mul_f32_e32 v132, v135, v111
	v_mul_f32_e32 v110, v136, v111
	;; [unrolled: 1-line block ×4, first 2 shown]
	s_waitcnt vmcnt(11)
	v_fmac_f32_e32 v132, v136, v121
	v_fma_f32 v121, v135, v121, -v110
	ds_read2_b64 v[110:113], v1 offset0:75 offset1:76
	v_fmac_f32_e32 v131, v134, v3
	v_fma_f32 v133, v133, v3, -v4
	s_waitcnt vmcnt(10) lgkmcnt(1)
	v_mul_f32_e32 v134, v122, v117
	v_mul_f32_e32 v3, v123, v117
	s_waitcnt vmcnt(9)
	v_mul_f32_e32 v135, v124, v115
	v_mul_f32_e32 v4, v125, v115
	ds_read2_b64 v[114:117], v1 offset0:77 offset1:78
	v_fmac_f32_e32 v134, v123, v7
	v_fma_f32 v7, v122, v7, -v3
	v_fmac_f32_e32 v135, v125, v5
	v_fma_f32 v122, v124, v5, -v4
	buffer_load_dword v124, off, s[0:3], 0 offset:236
	s_waitcnt vmcnt(8) lgkmcnt(1)
	v_mul_f32_e32 v4, v113, v139
	v_mul_f32_e32 v123, v110, v6
	;; [unrolled: 1-line block ×4, first 2 shown]
	s_waitcnt vmcnt(4)
	v_fma_f32 v136, v112, v153, -v4
	buffer_load_dword v112, off, s[0:3], 0 offset:244
	v_fmac_f32_e32 v123, v111, v2
	v_fma_f32 v125, v110, v2, -v3
	ds_read2_b64 v[2:5], v1 offset0:79 offset1:80
	v_fmac_f32_e32 v6, v113, v153
	s_waitcnt vmcnt(4) lgkmcnt(1)
	v_mul_f32_e32 v139, v114, v154
	v_mul_f32_e32 v110, v115, v154
	s_waitcnt vmcnt(3)
	v_mul_f32_e32 v143, v116, v155
	v_mul_f32_e32 v111, v117, v155
	v_fmac_f32_e32 v139, v115, v152
	v_fma_f32 v114, v114, v152, -v110
	v_fmac_f32_e32 v143, v117, v151
	v_fma_f32 v115, v116, v151, -v111
	s_clause 0x4
	buffer_load_dword v116, off, s[0:3], 0 offset:264
	buffer_load_dword v117, off, s[0:3], 0 offset:256
	;; [unrolled: 1-line block ×5, first 2 shown]
	s_waitcnt vmcnt(6) lgkmcnt(0)
	v_mul_f32_e32 v152, v2, v124
	v_mul_f32_e32 v111, v3, v124
	v_fmac_f32_e32 v152, v3, v150
	v_fma_f32 v124, v2, v150, -v111
	s_waitcnt vmcnt(5)
	v_mul_f32_e32 v150, v4, v112
	v_mul_f32_e32 v2, v5, v112
	s_waitcnt vmcnt(1)
	v_fmac_f32_e32 v150, v5, v110
	v_fma_f32 v153, v4, v110, -v2
	ds_read2_b64 v[2:5], v1 offset0:81 offset1:82
	ds_read2_b64 v[110:113], v1 offset0:83 offset1:84
	s_waitcnt vmcnt(0) lgkmcnt(1)
	v_mul_f32_e32 v154, v2, v151
	v_mul_f32_e32 v151, v3, v151
	v_fmac_f32_e32 v154, v3, v147
	v_fma_f32 v147, v2, v147, -v151
	buffer_load_dword v2, off, s[0:3], 0 offset:260
	s_waitcnt vmcnt(0)
	v_mul_f32_e32 v151, v4, v2
	v_mul_f32_e32 v2, v5, v2
	v_fmac_f32_e32 v151, v5, v117
	v_fma_f32 v155, v4, v117, -v2
	buffer_load_dword v2, off, s[0:3], 0 offset:268
	s_waitcnt vmcnt(0) lgkmcnt(0)
	v_mul_f32_e32 v166, v110, v2
	v_mul_f32_e32 v2, v111, v2
	v_fmac_f32_e32 v166, v111, v116
	v_fma_f32 v167, v110, v116, -v2
	s_clause 0x4
	buffer_load_dword v2, off, s[0:3], 0 offset:276
	buffer_load_dword v168, off, s[0:3], 0 offset:296
	;; [unrolled: 1-line block ×5, first 2 shown]
	s_waitcnt vmcnt(4)
	v_mul_f32_e32 v169, v112, v2
	v_mul_f32_e32 v2, v113, v2
	s_waitcnt vmcnt(0)
	v_fmac_f32_e32 v169, v113, v3
	v_fma_f32 v170, v112, v3, -v2
	v_add_f32_e32 v2, 0, v156
	v_add_f32_e32 v3, 0, v148
	buffer_load_dword v148, off, s[0:3], 0 offset:292
	v_add_f32_e32 v2, v2, v149
	v_add_f32_e32 v3, v3, v157
	buffer_load_dword v149, off, s[0:3], 0 offset:308
	v_add_f32_e32 v2, v2, v119
	buffer_load_dword v119, off, s[0:3], 0 offset:284
	v_add_f32_e32 v3, v3, v159
	v_add_f32_e32 v2, v2, v161
	;; [unrolled: 1-line block ×4, first 2 shown]
	buffer_load_dword v127, off, s[0:3], 0 offset:300
	v_add_f32_e32 v3, v3, v162
	v_add_f32_e32 v2, v2, v164
	;; [unrolled: 1-line block ×4, first 2 shown]
	s_clause 0x3
	buffer_load_dword v8, off, s[0:3], 0 offset:328
	buffer_load_dword v156, off, s[0:3], 0 offset:320
	buffer_load_dword v157, off, s[0:3], 0 offset:312
	buffer_load_dword v159, off, s[0:3], 0 offset:304
	v_add_f32_e32 v3, v3, v165
	v_add_f32_e32 v2, v2, v144
	s_clause 0x1
	buffer_load_dword v144, off, s[0:3], 0 offset:316
	buffer_load_dword v160, off, s[0:3], 0 offset:324
	v_add_f32_e32 v3, v3, v126
	buffer_load_dword v126, off, s[0:3], 0 offset:332
	v_add_f32_e32 v2, v2, v120
	v_add_f32_e32 v3, v3, v145
	;; [unrolled: 1-line block ×3, first 2 shown]
	s_clause 0x3
	buffer_load_dword v137, off, s[0:3], 0 offset:340
	buffer_load_dword v145, off, s[0:3], 0 offset:348
	;; [unrolled: 1-line block ×4, first 2 shown]
	v_add_f32_e32 v3, v3, v146
	v_add_f32_e32 v2, v2, v140
	s_clause 0x1
	buffer_load_dword v140, off, s[0:3], 0 offset:372
	buffer_load_dword v146, off, s[0:3], 0 offset:380
	v_add_f32_e32 v3, v3, v138
	v_add_f32_e32 v2, v2, v128
	s_clause 0x1
	buffer_load_dword v128, off, s[0:3], 0 offset:388
	buffer_load_dword v138, off, s[0:3], 0 offset:396
	v_add_f32_e32 v3, v3, v118
	v_add_f32_e32 v2, v2, v129
	;; [unrolled: 1-line block ×4, first 2 shown]
	s_clause 0x3
	buffer_load_dword v129, off, s[0:3], 0 offset:360
	buffer_load_dword v130, off, s[0:3], 0 offset:352
	;; [unrolled: 1-line block ×4, first 2 shown]
	v_add_f32_e32 v3, v3, v142
	v_add_f32_e32 v2, v2, v133
	;; [unrolled: 1-line block ×3, first 2 shown]
	s_clause 0x3
	buffer_load_dword v131, off, s[0:3], 0 offset:392
	buffer_load_dword v133, off, s[0:3], 0 offset:384
	buffer_load_dword v142, off, s[0:3], 0 offset:376
	buffer_load_dword v164, off, s[0:3], 0 offset:368
	v_add_f32_e32 v2, v2, v121
	v_add_f32_e32 v3, v3, v132
	buffer_load_dword v132, off, s[0:3], 0 offset:48
	v_add_f32_e32 v2, v2, v7
	v_add_f32_e32 v3, v3, v134
	;; [unrolled: 1-line block ×4, first 2 shown]
	ds_read2_b64 v[2:5], v1 offset0:85 offset1:86
	v_add_f32_e32 v7, v7, v125
	v_add_f32_e32 v110, v110, v123
	;; [unrolled: 1-line block ×4, first 2 shown]
	ds_read2_b64 v[110:113], v1 offset0:87 offset1:88
	v_add_f32_e32 v7, v7, v114
	v_add_f32_e32 v6, v6, v139
	;; [unrolled: 1-line block ×8, first 2 shown]
	s_waitcnt vmcnt(27) lgkmcnt(1)
	v_mul_f32_e32 v135, v4, v148
	v_mul_f32_e32 v115, v5, v148
	v_fmac_f32_e32 v135, v5, v116
	v_fma_f32 v139, v4, v116, -v115
	s_waitcnt vmcnt(25)
	v_mul_f32_e32 v134, v2, v119
	v_mul_f32_e32 v114, v3, v119
	v_fmac_f32_e32 v134, v3, v117
	v_add_f32_e32 v3, v7, v124
	v_fma_f32 v136, v2, v117, -v114
	s_waitcnt vmcnt(24) lgkmcnt(0)
	v_mul_f32_e32 v143, v110, v127
	v_add_f32_e32 v7, v3, v153
	ds_read2_b64 v[2:5], v1 offset0:89 offset1:90
	ds_read2_b64 v[114:117], v1 offset0:91 offset1:92
	v_mul_f32_e32 v122, v111, v127
	v_mul_f32_e32 v127, v112, v149
	v_fmac_f32_e32 v143, v111, v168
	v_add_f32_e32 v7, v7, v147
	v_mul_f32_e32 v147, v113, v149
	v_add_f32_e32 v149, v6, v166
	v_fma_f32 v148, v110, v168, -v122
	ds_read2_b64 v[118:121], v1 offset0:93 offset1:94
	ds_read2_b64 v[122:125], v1 offset0:95 offset1:96
	v_add_f32_e32 v7, v7, v155
	v_add_f32_e32 v149, v149, v169
	s_waitcnt vmcnt(20)
	v_fma_f32 v147, v112, v159, -v147
	v_fmac_f32_e32 v127, v113, v159
	v_add_f32_e32 v7, v7, v167
	v_add_f32_e32 v134, v149, v134
	s_waitcnt vmcnt(19) lgkmcnt(3)
	v_mul_f32_e32 v151, v2, v144
	v_add_f32_e32 v150, v7, v170
	v_add_f32_e32 v134, v134, v135
	v_mul_f32_e32 v144, v3, v144
	s_waitcnt vmcnt(18)
	v_mul_f32_e32 v152, v4, v160
	v_fmac_f32_e32 v151, v3, v157
	v_add_f32_e32 v136, v150, v136
	v_add_f32_e32 v134, v134, v143
	v_mul_f32_e32 v150, v5, v160
	v_fma_f32 v2, v2, v157, -v144
	s_waitcnt vmcnt(17) lgkmcnt(2)
	v_mul_f32_e32 v149, v114, v126
	v_add_f32_e32 v136, v136, v139
	v_add_f32_e32 v127, v134, v127
	v_mul_f32_e32 v126, v115, v126
	v_fma_f32 v4, v4, v156, -v150
	v_fmac_f32_e32 v152, v5, v156
	v_add_f32_e32 v136, v136, v148
	v_add_f32_e32 v5, v127, v151
	s_waitcnt vmcnt(16)
	v_mul_f32_e32 v127, v117, v137
	v_fmac_f32_e32 v149, v115, v8
	v_fma_f32 v8, v114, v8, -v126
	v_add_f32_e32 v136, v136, v147
	v_mul_f32_e32 v139, v116, v137
	ds_read2_b64 v[110:113], v1 offset0:97 offset1:98
	ds_read_b64 v[6:7], v1 offset:792
	s_waitcnt vmcnt(5)
	v_fma_f32 v114, v116, v163, -v127
	s_waitcnt lgkmcnt(3)
	v_mul_f32_e32 v153, v118, v145
	v_add_f32_e32 v2, v136, v2
	v_fmac_f32_e32 v139, v117, v163
	v_mul_f32_e32 v135, v120, v161
	s_waitcnt lgkmcnt(2)
	v_mul_f32_e32 v148, v122, v162
	v_fmac_f32_e32 v153, v119, v141
	v_add_f32_e32 v2, v2, v4
	v_add_f32_e32 v4, v5, v152
	v_mul_f32_e32 v5, v119, v145
	v_fmac_f32_e32 v135, v121, v130
	v_mul_f32_e32 v3, v124, v140
	v_add_f32_e32 v2, v2, v8
	v_add_f32_e32 v4, v4, v149
	v_mul_f32_e32 v8, v121, v161
	v_fma_f32 v5, v118, v141, -v5
	v_fmac_f32_e32 v148, v123, v129
	v_add_f32_e32 v2, v2, v114
	v_add_f32_e32 v4, v4, v139
	v_mul_f32_e32 v114, v123, v162
	v_fma_f32 v8, v120, v130, -v8
	s_waitcnt lgkmcnt(1)
	v_mul_f32_e32 v143, v110, v146
	v_add_f32_e32 v2, v2, v5
	v_add_f32_e32 v4, v4, v153
	v_mul_f32_e32 v5, v125, v140
	v_fma_f32 v114, v122, v129, -v114
	s_waitcnt vmcnt(1)
	v_fmac_f32_e32 v3, v125, v164
	v_add_f32_e32 v2, v2, v8
	v_add_f32_e32 v4, v4, v135
	v_mul_f32_e32 v8, v111, v146
	v_fma_f32 v5, v124, v164, -v5
	v_mul_f32_e32 v144, v112, v128
	v_add_f32_e32 v2, v2, v114
	v_add_f32_e32 v4, v4, v148
	v_mul_f32_e32 v114, v113, v128
	v_fma_f32 v8, v110, v142, -v8
	v_fmac_f32_e32 v143, v111, v142
	v_add_f32_e32 v2, v2, v5
	v_add_f32_e32 v3, v4, v3
	s_waitcnt lgkmcnt(0)
	v_mul_f32_e32 v4, v7, v138
	v_fma_f32 v5, v112, v133, -v114
	v_mul_f32_e32 v134, v6, v138
	v_add_f32_e32 v2, v2, v8
	v_fmac_f32_e32 v144, v113, v133
	v_add_f32_e32 v3, v3, v143
	v_fma_f32 v4, v6, v131, -v4
	v_fmac_f32_e32 v134, v7, v131
	v_add_f32_e32 v2, v2, v5
	v_add_f32_e32 v3, v3, v144
	;; [unrolled: 1-line block ×4, first 2 shown]
	s_waitcnt vmcnt(0)
	v_sub_f32_e32 v2, v132, v2
	v_sub_f32_e32 v3, v158, v3
	buffer_store_dword v2, off, s[0:3], 0 offset:48
	buffer_store_dword v3, off, s[0:3], 0 offset:52
	v_cmpx_lt_u32_e32 5, v0
	s_cbranch_execz .LBB113_303
; %bb.302:
	s_clause 0x1
	buffer_load_dword v2, off, s[0:3], 0 offset:40
	buffer_load_dword v3, off, s[0:3], 0 offset:44
	buffer_store_dword v1, off, s[0:3], 0 offset:40
	buffer_store_dword v1, off, s[0:3], 0 offset:44
	s_waitcnt vmcnt(0)
	ds_write_b64 v109, v[2:3]
.LBB113_303:
	s_or_b32 exec_lo, exec_lo, s4
	s_waitcnt lgkmcnt(0)
	s_waitcnt_vscnt null, 0x0
	s_barrier
	buffer_gl0_inv
	s_clause 0x2c
	buffer_load_dword v148, off, s[0:3], 0 offset:52
	buffer_load_dword v149, off, s[0:3], 0 offset:60
	;; [unrolled: 1-line block ×45, first 2 shown]
	ds_read_b128 v[140:143], v1 offset:448
	ds_read_b128 v[144:147], v1 offset:464
	buffer_load_dword v158, off, s[0:3], 0 offset:44
	s_mov_b32 s4, exec_lo
	s_waitcnt vmcnt(45) lgkmcnt(1)
	v_mul_f32_e32 v156, v141, v148
	v_mul_f32_e32 v148, v140, v148
	s_waitcnt vmcnt(44)
	v_mul_f32_e32 v157, v142, v149
	v_mul_f32_e32 v149, v143, v149
	s_waitcnt vmcnt(41)
	v_fma_f32 v156, v140, v138, -v156
	v_fmac_f32_e32 v148, v141, v138
	v_fmac_f32_e32 v157, v143, v134
	v_fma_f32 v149, v142, v134, -v149
	ds_read_b128 v[140:143], v1 offset:480
	s_waitcnt vmcnt(40) lgkmcnt(1)
	v_mul_f32_e32 v159, v144, v133
	v_mul_f32_e32 v133, v145, v133
	s_waitcnt vmcnt(39)
	v_mul_f32_e32 v160, v146, v131
	v_mul_f32_e32 v131, v147, v131
	v_fmac_f32_e32 v159, v145, v120
	v_fma_f32 v120, v144, v120, -v133
	s_waitcnt vmcnt(35)
	v_fmac_f32_e32 v160, v147, v139
	v_fma_f32 v161, v146, v139, -v131
	ds_read_b128 v[144:147], v1 offset:496
	s_waitcnt vmcnt(34) lgkmcnt(1)
	v_mul_f32_e32 v162, v140, v137
	v_mul_f32_e32 v131, v141, v137
	s_waitcnt vmcnt(33)
	v_mul_f32_e32 v163, v142, v136
	v_mul_f32_e32 v133, v143, v136
	ds_read_b128 v[136:139], v1 offset:512
	v_fmac_f32_e32 v162, v141, v128
	v_fma_f32 v128, v140, v128, -v131
	v_fmac_f32_e32 v163, v143, v123
	v_fma_f32 v164, v142, v123, -v133
	ds_read_b128 v[140:143], v1 offset:528
	s_waitcnt vmcnt(32) lgkmcnt(2)
	v_mul_f32_e32 v165, v144, v127
	v_mul_f32_e32 v123, v145, v127
	s_waitcnt vmcnt(31)
	v_mul_f32_e32 v127, v146, v125
	v_mul_f32_e32 v125, v147, v125
	v_fmac_f32_e32 v165, v145, v110
	v_fma_f32 v144, v144, v110, -v123
	s_waitcnt vmcnt(27)
	v_fmac_f32_e32 v127, v147, v135
	v_fma_f32 v145, v146, v135, -v125
	s_waitcnt vmcnt(26) lgkmcnt(1)
	v_mul_f32_e32 v146, v136, v132
	v_mul_f32_e32 v110, v137, v132
	s_waitcnt vmcnt(25)
	v_mul_f32_e32 v147, v138, v130
	v_mul_f32_e32 v123, v139, v130
	ds_read_b128 v[130:133], v1 offset:544
	v_fmac_f32_e32 v146, v137, v121
	v_fma_f32 v121, v136, v121, -v110
	ds_read_b128 v[134:137], v1 offset:560
	v_fmac_f32_e32 v147, v139, v115
	v_fma_f32 v138, v138, v115, -v123
	s_waitcnt vmcnt(24) lgkmcnt(2)
	v_mul_f32_e32 v139, v140, v119
	v_mul_f32_e32 v110, v141, v119
	s_waitcnt vmcnt(23)
	v_mul_f32_e32 v119, v142, v117
	v_mul_f32_e32 v115, v143, v117
	v_fmac_f32_e32 v139, v141, v4
	v_fma_f32 v140, v140, v4, -v110
	s_waitcnt vmcnt(19)
	v_fmac_f32_e32 v119, v143, v129
	v_fma_f32 v129, v142, v129, -v115
	s_waitcnt vmcnt(18) lgkmcnt(1)
	v_mul_f32_e32 v141, v130, v126
	v_mul_f32_e32 v4, v131, v126
	s_waitcnt vmcnt(17)
	v_mul_f32_e32 v142, v132, v124
	v_mul_f32_e32 v110, v133, v124
	ds_read_b128 v[123:126], v1 offset:576
	v_fmac_f32_e32 v141, v131, v114
	v_fma_f32 v130, v130, v114, -v4
	v_fmac_f32_e32 v142, v133, v111
	v_fma_f32 v131, v132, v111, -v110
	s_waitcnt vmcnt(15) lgkmcnt(1)
	v_mul_f32_e32 v133, v136, v112
	v_mul_f32_e32 v110, v137, v112
	;; [unrolled: 1-line block ×4, first 2 shown]
	s_waitcnt vmcnt(11)
	v_fmac_f32_e32 v133, v137, v122
	v_fma_f32 v122, v136, v122, -v110
	ds_read_b128 v[110:113], v1 offset:592
	v_fmac_f32_e32 v132, v135, v3
	v_fma_f32 v134, v134, v3, -v4
	s_waitcnt vmcnt(10) lgkmcnt(1)
	v_mul_f32_e32 v135, v123, v118
	v_mul_f32_e32 v3, v124, v118
	s_waitcnt vmcnt(9)
	v_mul_f32_e32 v118, v125, v116
	v_mul_f32_e32 v4, v126, v116
	ds_read_b128 v[114:117], v1 offset:608
	v_fmac_f32_e32 v135, v124, v8
	v_fma_f32 v8, v123, v8, -v3
	v_fmac_f32_e32 v118, v126, v5
	v_fma_f32 v123, v125, v5, -v4
	s_waitcnt vmcnt(8) lgkmcnt(1)
	v_mul_f32_e32 v124, v110, v7
	v_mul_f32_e32 v3, v111, v7
	s_waitcnt vmcnt(7)
	v_mul_f32_e32 v7, v112, v6
	v_mul_f32_e32 v4, v113, v6
	buffer_load_dword v6, off, s[0:3], 0 offset:228
	v_fmac_f32_e32 v124, v111, v2
	v_fma_f32 v125, v110, v2, -v3
	s_waitcnt vmcnt(4)
	v_fmac_f32_e32 v7, v113, v153
	v_fma_f32 v126, v112, v153, -v4
	buffer_load_dword v112, off, s[0:3], 0 offset:236
	ds_read_b128 v[2:5], v1 offset:624
	s_waitcnt vmcnt(4) lgkmcnt(1)
	v_mul_f32_e32 v136, v114, v154
	v_mul_f32_e32 v110, v115, v154
	s_waitcnt vmcnt(3)
	v_mul_f32_e32 v137, v116, v155
	v_mul_f32_e32 v111, v117, v155
	v_fmac_f32_e32 v136, v115, v152
	v_fma_f32 v114, v114, v152, -v110
	v_fmac_f32_e32 v137, v117, v151
	v_fma_f32 v115, v116, v151, -v111
	s_clause 0x4
	buffer_load_dword v116, off, s[0:3], 0 offset:256
	buffer_load_dword v117, off, s[0:3], 0 offset:248
	;; [unrolled: 1-line block ×5, first 2 shown]
	s_waitcnt vmcnt(6) lgkmcnt(0)
	v_mul_f32_e32 v152, v2, v6
	v_mul_f32_e32 v6, v3, v6
	v_fmac_f32_e32 v152, v3, v150
	v_fma_f32 v6, v2, v150, -v6
	s_waitcnt vmcnt(5)
	v_mul_f32_e32 v150, v4, v112
	v_mul_f32_e32 v2, v5, v112
	s_waitcnt vmcnt(1)
	v_fmac_f32_e32 v150, v5, v110
	v_fma_f32 v153, v4, v110, -v2
	ds_read_b128 v[2:5], v1 offset:640
	ds_read_b128 v[110:113], v1 offset:656
	s_waitcnt vmcnt(0) lgkmcnt(1)
	v_mul_f32_e32 v154, v2, v151
	v_mul_f32_e32 v151, v3, v151
	v_fmac_f32_e32 v154, v3, v143
	v_fma_f32 v143, v2, v143, -v151
	s_clause 0x1
	buffer_load_dword v2, off, s[0:3], 0 offset:252
	buffer_load_dword v3, off, s[0:3], 0 offset:260
	s_waitcnt vmcnt(1)
	v_mul_f32_e32 v151, v4, v2
	v_mul_f32_e32 v2, v5, v2
	v_fmac_f32_e32 v151, v5, v117
	v_fma_f32 v155, v4, v117, -v2
	v_add_f32_e32 v2, 0, v156
	buffer_load_dword v5, off, s[0:3], 0 offset:268
	v_add_f32_e32 v4, 0, v148
	v_add_f32_e32 v2, v2, v149
	;; [unrolled: 1-line block ×4, first 2 shown]
	s_clause 0x3
	buffer_load_dword v120, off, s[0:3], 0 offset:288
	buffer_load_dword v117, off, s[0:3], 0 offset:280
	buffer_load_dword v148, off, s[0:3], 0 offset:272
	buffer_load_dword v149, off, s[0:3], 0 offset:264
	v_add_f32_e32 v4, v4, v159
	s_clause 0x1
	buffer_load_dword v156, off, s[0:3], 0 offset:284
	buffer_load_dword v157, off, s[0:3], 0 offset:292
	v_add_f32_e32 v2, v2, v161
	s_waitcnt vmcnt(7) lgkmcnt(0)
	v_mul_f32_e32 v159, v110, v3
	v_add_f32_e32 v4, v4, v160
	v_mul_f32_e32 v3, v111, v3
	v_add_f32_e32 v2, v2, v128
	buffer_load_dword v128, off, s[0:3], 0 offset:276
	v_add_f32_e32 v4, v4, v162
	v_fma_f32 v160, v110, v116, -v3
	v_fmac_f32_e32 v159, v111, v116
	v_add_f32_e32 v2, v2, v164
	v_add_f32_e32 v4, v4, v163
	;; [unrolled: 1-line block ×3, first 2 shown]
	buffer_load_dword v144, off, s[0:3], 0 offset:300
	v_add_f32_e32 v4, v4, v165
	v_add_f32_e32 v2, v2, v145
	;; [unrolled: 1-line block ×3, first 2 shown]
	s_clause 0x5
	buffer_load_dword v145, off, s[0:3], 0 offset:320
	buffer_load_dword v161, off, s[0:3], 0 offset:312
	;; [unrolled: 1-line block ×6, first 2 shown]
	v_add_f32_e32 v2, v2, v121
	v_add_f32_e32 v3, v3, v146
	;; [unrolled: 1-line block ×4, first 2 shown]
	s_clause 0x1
	buffer_load_dword v138, off, s[0:3], 0 offset:316
	buffer_load_dword v147, off, s[0:3], 0 offset:324
	v_add_f32_e32 v2, v2, v140
	v_add_f32_e32 v3, v3, v139
	s_clause 0x6
	buffer_load_dword v139, off, s[0:3], 0 offset:340
	buffer_load_dword v140, off, s[0:3], 0 offset:348
	;; [unrolled: 1-line block ×7, first 2 shown]
	v_add_f32_e32 v2, v2, v129
	v_add_f32_e32 v3, v3, v119
	;; [unrolled: 1-line block ×4, first 2 shown]
	buffer_load_dword v130, off, s[0:3], 0 offset:396
	v_add_f32_e32 v2, v2, v131
	v_add_f32_e32 v3, v3, v142
	s_clause 0x3
	buffer_load_dword v131, off, s[0:3], 0 offset:352
	buffer_load_dword v141, off, s[0:3], 0 offset:344
	;; [unrolled: 1-line block ×4, first 2 shown]
	v_add_f32_e32 v2, v2, v134
	v_add_f32_e32 v3, v3, v132
	;; [unrolled: 1-line block ×4, first 2 shown]
	s_clause 0x3
	buffer_load_dword v132, off, s[0:3], 0 offset:384
	buffer_load_dword v133, off, s[0:3], 0 offset:376
	;; [unrolled: 1-line block ×4, first 2 shown]
	v_add_f32_e32 v2, v2, v8
	buffer_load_dword v8, off, s[0:3], 0 offset:392
	v_add_f32_e32 v3, v3, v135
	buffer_load_dword v135, off, s[0:3], 0 offset:40
	v_add_f32_e32 v2, v2, v123
	v_add_f32_e32 v3, v3, v118
	;; [unrolled: 1-line block ×20, first 2 shown]
	s_waitcnt vmcnt(34)
	v_mul_f32_e32 v146, v112, v5
	v_mul_f32_e32 v4, v113, v5
	s_waitcnt vmcnt(30)
	v_fmac_f32_e32 v146, v113, v149
	v_fma_f32 v149, v112, v149, -v4
	ds_read_b128 v[2:5], v1 offset:672
	ds_read_b128 v[110:113], v1 offset:688
	v_add_f32_e32 v7, v7, v146
	v_add_f32_e32 v6, v6, v149
	s_waitcnt vmcnt(27) lgkmcnt(1)
	v_mul_f32_e32 v136, v2, v128
	v_mul_f32_e32 v115, v3, v128
	;; [unrolled: 1-line block ×4, first 2 shown]
	s_waitcnt lgkmcnt(0)
	v_mul_f32_e32 v152, v110, v157
	v_fmac_f32_e32 v136, v3, v148
	v_fma_f32 v126, v2, v148, -v115
	v_fmac_f32_e32 v137, v5, v117
	v_fma_f32 v148, v4, v117, -v116
	ds_read_b128 v[2:5], v1 offset:704
	ds_read_b128 v[114:117], v1 offset:720
	v_mul_f32_e32 v118, v111, v157
	s_waitcnt vmcnt(26)
	v_mul_f32_e32 v143, v112, v144
	v_mul_f32_e32 v119, v113, v144
	v_fmac_f32_e32 v152, v111, v120
	v_fma_f32 v144, v110, v120, -v118
	s_waitcnt vmcnt(22)
	v_fmac_f32_e32 v143, v113, v162
	v_fma_f32 v150, v112, v162, -v119
	ds_read_b128 v[110:113], v1 offset:736
	ds_read_b128 v[118:121], v1 offset:752
	;; [unrolled: 1-line block ×3, first 2 shown]
	s_waitcnt vmcnt(21) lgkmcnt(4)
	v_mul_f32_e32 v151, v2, v163
	v_mul_f32_e32 v128, v3, v163
	v_fmac_f32_e32 v151, v3, v127
	v_add_f32_e32 v3, v6, v126
	v_fma_f32 v2, v2, v127, -v128
	ds_read_b128 v[126:129], v1 offset:784
	v_add_f32_e32 v1, v7, v136
	s_waitcnt vmcnt(19)
	v_mul_f32_e32 v7, v5, v138
	v_add_f32_e32 v3, v3, v148
	v_mul_f32_e32 v6, v4, v138
	s_waitcnt vmcnt(18) lgkmcnt(4)
	v_mul_f32_e32 v138, v115, v147
	v_add_f32_e32 v1, v1, v137
	v_fma_f32 v4, v4, v161, -v7
	v_add_f32_e32 v3, v3, v144
	v_mul_f32_e32 v136, v114, v147
	v_fmac_f32_e32 v6, v5, v161
	v_add_f32_e32 v1, v1, v152
	v_fma_f32 v114, v114, v145, -v138
	v_add_f32_e32 v3, v3, v150
	v_mul_f32_e32 v137, v116, v164
	v_fmac_f32_e32 v136, v115, v145
	v_add_f32_e32 v1, v1, v143
	v_mul_f32_e32 v143, v117, v164
	v_add_f32_e32 v2, v3, v2
	s_waitcnt vmcnt(17) lgkmcnt(3)
	v_mul_f32_e32 v5, v110, v139
	s_waitcnt vmcnt(6)
	v_fmac_f32_e32 v137, v117, v170
	v_add_f32_e32 v1, v1, v151
	v_mul_f32_e32 v7, v112, v140
	v_add_f32_e32 v2, v2, v4
	v_mul_f32_e32 v4, v111, v139
	v_fmac_f32_e32 v5, v111, v142
	v_add_f32_e32 v1, v1, v6
	v_fma_f32 v6, v116, v170, -v143
	v_add_f32_e32 v2, v2, v114
	v_mul_f32_e32 v114, v113, v140
	v_fma_f32 v4, v110, v142, -v4
	v_add_f32_e32 v1, v1, v136
	s_waitcnt lgkmcnt(2)
	v_mul_f32_e32 v144, v118, v165
	v_add_f32_e32 v2, v2, v6
	v_mul_f32_e32 v6, v119, v165
	v_fma_f32 v110, v112, v141, -v114
	v_add_f32_e32 v1, v1, v137
	v_fmac_f32_e32 v7, v113, v141
	v_add_f32_e32 v2, v2, v4
	v_mul_f32_e32 v4, v121, v166
	v_mul_f32_e32 v146, v120, v166
	v_add_f32_e32 v1, v1, v5
	v_fma_f32 v5, v118, v131, -v6
	v_add_f32_e32 v2, v2, v110
	v_fmac_f32_e32 v144, v119, v131
	s_waitcnt lgkmcnt(1)
	v_mul_f32_e32 v6, v123, v167
	v_add_f32_e32 v1, v1, v7
	s_waitcnt vmcnt(2)
	v_fma_f32 v4, v120, v171, -v4
	v_add_f32_e32 v2, v2, v5
	v_mul_f32_e32 v147, v122, v167
	v_fmac_f32_e32 v146, v121, v171
	v_add_f32_e32 v1, v1, v144
	v_mul_f32_e32 v5, v125, v168
	v_fma_f32 v6, v122, v134, -v6
	v_add_f32_e32 v2, v2, v4
	v_mul_f32_e32 v148, v124, v168
	v_fmac_f32_e32 v147, v123, v134
	v_add_f32_e32 v1, v1, v146
	s_waitcnt lgkmcnt(0)
	v_mul_f32_e32 v4, v127, v169
	v_fma_f32 v5, v124, v133, -v5
	v_add_f32_e32 v2, v2, v6
	v_mul_f32_e32 v149, v126, v169
	v_fmac_f32_e32 v148, v125, v133
	v_add_f32_e32 v1, v1, v147
	v_mul_f32_e32 v6, v129, v130
	v_fma_f32 v4, v126, v132, -v4
	v_add_f32_e32 v2, v2, v5
	v_mul_f32_e32 v3, v128, v130
	v_fmac_f32_e32 v149, v127, v132
	v_add_f32_e32 v1, v1, v148
	s_waitcnt vmcnt(1)
	v_fma_f32 v5, v128, v8, -v6
	v_add_f32_e32 v2, v2, v4
	v_fmac_f32_e32 v3, v129, v8
	v_add_f32_e32 v1, v1, v149
	v_add_f32_e32 v2, v2, v5
	;; [unrolled: 1-line block ×3, first 2 shown]
	s_waitcnt vmcnt(0)
	v_sub_f32_e32 v2, v135, v2
	v_sub_f32_e32 v1, v158, v1
	buffer_store_dword v2, off, s[0:3], 0 offset:40
	buffer_store_dword v1, off, s[0:3], 0 offset:44
	v_cmpx_lt_u32_e32 4, v0
	s_cbranch_execz .LBB113_305
; %bb.304:
	s_clause 0x1
	buffer_load_dword v1, off, s[0:3], 0 offset:32
	buffer_load_dword v2, off, s[0:3], 0 offset:36
	v_mov_b32_e32 v3, 0
	buffer_store_dword v3, off, s[0:3], 0 offset:32
	buffer_store_dword v3, off, s[0:3], 0 offset:36
	s_waitcnt vmcnt(0)
	ds_write_b64 v109, v[1:2]
.LBB113_305:
	s_or_b32 exec_lo, exec_lo, s4
	s_waitcnt lgkmcnt(0)
	s_waitcnt_vscnt null, 0x0
	s_barrier
	buffer_gl0_inv
	s_clause 0x2c
	buffer_load_dword v148, off, s[0:3], 0 offset:44
	buffer_load_dword v149, off, s[0:3], 0 offset:52
	buffer_load_dword v119, off, s[0:3], 0 offset:56
	buffer_load_dword v133, off, s[0:3], 0 offset:48
	buffer_load_dword v137, off, s[0:3], 0 offset:40
	buffer_load_dword v132, off, s[0:3], 0 offset:60
	buffer_load_dword v130, off, s[0:3], 0 offset:68
	buffer_load_dword v8, off, s[0:3], 0 offset:88
	buffer_load_dword v122, off, s[0:3], 0 offset:80
	buffer_load_dword v127, off, s[0:3], 0 offset:72
	buffer_load_dword v138, off, s[0:3], 0 offset:64
	buffer_load_dword v136, off, s[0:3], 0 offset:76
	buffer_load_dword v135, off, s[0:3], 0 offset:84
	buffer_load_dword v126, off, s[0:3], 0 offset:92
	buffer_load_dword v124, off, s[0:3], 0 offset:100
	buffer_load_dword v4, off, s[0:3], 0 offset:120
	buffer_load_dword v114, off, s[0:3], 0 offset:112
	buffer_load_dword v120, off, s[0:3], 0 offset:104
	buffer_load_dword v134, off, s[0:3], 0 offset:96
	buffer_load_dword v131, off, s[0:3], 0 offset:108
	buffer_load_dword v129, off, s[0:3], 0 offset:116
	buffer_load_dword v118, off, s[0:3], 0 offset:124
	buffer_load_dword v116, off, s[0:3], 0 offset:132
	buffer_load_dword v3, off, s[0:3], 0 offset:152
	buffer_load_dword v110, off, s[0:3], 0 offset:144
	buffer_load_dword v113, off, s[0:3], 0 offset:136
	buffer_load_dword v128, off, s[0:3], 0 offset:128
	buffer_load_dword v125, off, s[0:3], 0 offset:140
	buffer_load_dword v123, off, s[0:3], 0 offset:148
	buffer_load_dword v112, off, s[0:3], 0 offset:156
	buffer_load_dword v111, off, s[0:3], 0 offset:164
	buffer_load_dword v2, off, s[0:3], 0 offset:184
	buffer_load_dword v5, off, s[0:3], 0 offset:176
	buffer_load_dword v7, off, s[0:3], 0 offset:168
	buffer_load_dword v121, off, s[0:3], 0 offset:160
	buffer_load_dword v117, off, s[0:3], 0 offset:172
	buffer_load_dword v115, off, s[0:3], 0 offset:180
	buffer_load_dword v6, off, s[0:3], 0 offset:188
	buffer_load_dword v139, off, s[0:3], 0 offset:196
	buffer_load_dword v150, off, s[0:3], 0 offset:216
	buffer_load_dword v151, off, s[0:3], 0 offset:208
	buffer_load_dword v152, off, s[0:3], 0 offset:200
	buffer_load_dword v153, off, s[0:3], 0 offset:192
	buffer_load_dword v154, off, s[0:3], 0 offset:204
	buffer_load_dword v155, off, s[0:3], 0 offset:212
	v_mov_b32_e32 v1, 0
	ds_read2_b64 v[140:143], v1 offset0:55 offset1:56
	ds_read2_b64 v[144:147], v1 offset0:57 offset1:58
	buffer_load_dword v158, off, s[0:3], 0 offset:36
	s_mov_b32 s4, exec_lo
	s_waitcnt vmcnt(45) lgkmcnt(1)
	v_mul_f32_e32 v156, v141, v148
	v_mul_f32_e32 v148, v140, v148
	s_waitcnt vmcnt(44)
	v_mul_f32_e32 v157, v142, v149
	v_mul_f32_e32 v149, v143, v149
	s_waitcnt vmcnt(41)
	v_fma_f32 v156, v140, v137, -v156
	v_fmac_f32_e32 v148, v141, v137
	v_fmac_f32_e32 v157, v143, v133
	v_fma_f32 v149, v142, v133, -v149
	ds_read2_b64 v[140:143], v1 offset0:59 offset1:60
	s_waitcnt vmcnt(40) lgkmcnt(1)
	v_mul_f32_e32 v159, v144, v132
	v_mul_f32_e32 v132, v145, v132
	s_waitcnt vmcnt(39)
	v_mul_f32_e32 v160, v146, v130
	v_mul_f32_e32 v130, v147, v130
	v_fmac_f32_e32 v159, v145, v119
	v_fma_f32 v119, v144, v119, -v132
	s_waitcnt vmcnt(35)
	v_fmac_f32_e32 v160, v147, v138
	v_fma_f32 v161, v146, v138, -v130
	ds_read2_b64 v[144:147], v1 offset0:61 offset1:62
	s_waitcnt vmcnt(34) lgkmcnt(1)
	v_mul_f32_e32 v162, v140, v136
	v_mul_f32_e32 v130, v141, v136
	s_waitcnt vmcnt(33)
	v_mul_f32_e32 v163, v142, v135
	v_mul_f32_e32 v132, v143, v135
	ds_read2_b64 v[135:138], v1 offset0:63 offset1:64
	v_fmac_f32_e32 v162, v141, v127
	v_fma_f32 v127, v140, v127, -v130
	v_fmac_f32_e32 v163, v143, v122
	v_fma_f32 v164, v142, v122, -v132
	ds_read2_b64 v[140:143], v1 offset0:65 offset1:66
	s_waitcnt vmcnt(32) lgkmcnt(2)
	v_mul_f32_e32 v165, v144, v126
	v_mul_f32_e32 v122, v145, v126
	s_waitcnt vmcnt(31)
	v_mul_f32_e32 v126, v146, v124
	v_mul_f32_e32 v124, v147, v124
	v_fmac_f32_e32 v165, v145, v8
	v_fma_f32 v8, v144, v8, -v122
	s_waitcnt vmcnt(27)
	v_fmac_f32_e32 v126, v147, v134
	v_fma_f32 v144, v146, v134, -v124
	buffer_load_dword v147, off, s[0:3], 0 offset:228
	s_waitcnt vmcnt(27) lgkmcnt(1)
	v_mul_f32_e32 v145, v135, v131
	v_mul_f32_e32 v122, v136, v131
	s_waitcnt vmcnt(26)
	v_mul_f32_e32 v146, v137, v129
	v_mul_f32_e32 v124, v138, v129
	ds_read2_b64 v[129:132], v1 offset0:67 offset1:68
	v_fmac_f32_e32 v145, v136, v120
	v_fma_f32 v120, v135, v120, -v122
	v_fmac_f32_e32 v146, v138, v114
	v_fma_f32 v137, v137, v114, -v124
	s_waitcnt vmcnt(25) lgkmcnt(1)
	v_mul_f32_e32 v138, v140, v118
	v_mul_f32_e32 v114, v141, v118
	s_waitcnt vmcnt(24)
	v_mul_f32_e32 v118, v142, v116
	v_mul_f32_e32 v116, v143, v116
	ds_read2_b64 v[133:136], v1 offset0:69 offset1:70
	v_fmac_f32_e32 v138, v141, v4
	v_fma_f32 v140, v140, v4, -v114
	s_waitcnt vmcnt(20)
	v_fmac_f32_e32 v118, v143, v128
	v_fma_f32 v128, v142, v128, -v116
	s_waitcnt vmcnt(19) lgkmcnt(1)
	v_mul_f32_e32 v141, v129, v125
	v_mul_f32_e32 v4, v130, v125
	s_waitcnt vmcnt(18)
	v_mul_f32_e32 v142, v131, v123
	v_mul_f32_e32 v114, v132, v123
	ds_read2_b64 v[122:125], v1 offset0:71 offset1:72
	v_fmac_f32_e32 v141, v130, v113
	v_fma_f32 v129, v129, v113, -v4
	v_fmac_f32_e32 v142, v132, v110
	v_fma_f32 v130, v131, v110, -v114
	s_waitcnt vmcnt(17) lgkmcnt(1)
	v_mul_f32_e32 v131, v133, v112
	s_waitcnt vmcnt(16)
	v_mul_f32_e32 v132, v135, v111
	v_mul_f32_e32 v110, v136, v111
	;; [unrolled: 1-line block ×3, first 2 shown]
	v_fmac_f32_e32 v131, v134, v3
	s_waitcnt vmcnt(12)
	v_fmac_f32_e32 v132, v136, v121
	v_fma_f32 v121, v135, v121, -v110
	ds_read2_b64 v[110:113], v1 offset0:73 offset1:74
	v_fma_f32 v133, v133, v3, -v4
	s_waitcnt vmcnt(11) lgkmcnt(1)
	v_mul_f32_e32 v134, v122, v117
	v_mul_f32_e32 v3, v123, v117
	s_waitcnt vmcnt(10)
	v_mul_f32_e32 v135, v124, v115
	v_mul_f32_e32 v4, v125, v115
	ds_read2_b64 v[114:117], v1 offset0:75 offset1:76
	v_fmac_f32_e32 v134, v123, v7
	buffer_load_dword v123, off, s[0:3], 0 offset:220
	v_fma_f32 v7, v122, v7, -v3
	v_fma_f32 v122, v124, v5, -v4
	v_fmac_f32_e32 v135, v125, v5
	s_waitcnt vmcnt(10) lgkmcnt(1)
	v_mul_f32_e32 v124, v110, v6
	v_mul_f32_e32 v3, v111, v6
	s_waitcnt vmcnt(9)
	v_mul_f32_e32 v4, v113, v139
	v_mul_f32_e32 v6, v112, v139
	v_fmac_f32_e32 v124, v111, v2
	v_fma_f32 v125, v110, v2, -v3
	s_waitcnt vmcnt(5)
	v_fma_f32 v136, v112, v153, -v4
	ds_read2_b64 v[2:5], v1 offset0:77 offset1:78
	v_fmac_f32_e32 v6, v113, v153
	s_waitcnt vmcnt(4) lgkmcnt(1)
	v_mul_f32_e32 v139, v114, v154
	v_mul_f32_e32 v110, v115, v154
	s_waitcnt vmcnt(3)
	v_mul_f32_e32 v143, v116, v155
	v_mul_f32_e32 v111, v117, v155
	v_fmac_f32_e32 v139, v115, v152
	v_fma_f32 v114, v114, v152, -v110
	v_fmac_f32_e32 v143, v117, v151
	v_fma_f32 v115, v116, v151, -v111
	s_clause 0x5
	buffer_load_dword v116, off, s[0:3], 0 offset:248
	buffer_load_dword v117, off, s[0:3], 0 offset:240
	;; [unrolled: 1-line block ×6, first 2 shown]
	v_add_f32_e32 v110, 0, v156
	v_add_f32_e32 v111, 0, v148
	buffer_load_dword v148, off, s[0:3], 0 offset:252
	v_add_f32_e32 v110, v110, v149
	buffer_load_dword v149, off, s[0:3], 0 offset:260
	v_add_f32_e32 v111, v111, v157
	v_add_f32_e32 v110, v110, v119
	s_clause 0x3
	buffer_load_dword v119, off, s[0:3], 0 offset:280
	buffer_load_dword v155, off, s[0:3], 0 offset:272
	;; [unrolled: 1-line block ×4, first 2 shown]
	v_add_f32_e32 v111, v111, v159
	v_add_f32_e32 v110, v110, v161
	;; [unrolled: 1-line block ×4, first 2 shown]
	buffer_load_dword v127, off, s[0:3], 0 offset:268
	v_add_f32_e32 v111, v111, v162
	v_add_f32_e32 v110, v110, v164
	s_waitcnt vmcnt(13) lgkmcnt(0)
	v_mul_f32_e32 v159, v2, v123
	v_mul_f32_e32 v112, v3, v123
	v_fmac_f32_e32 v159, v3, v150
	v_fma_f32 v123, v2, v150, -v112
	v_add_f32_e32 v2, v111, v163
	v_add_f32_e32 v3, v110, v8
	ds_read2_b64 v[110:113], v1 offset0:79 offset1:80
	buffer_load_dword v8, off, s[0:3], 0 offset:276
	v_add_f32_e32 v2, v2, v165
	v_add_f32_e32 v3, v3, v144
	v_mul_f32_e32 v144, v4, v147
	v_mul_f32_e32 v147, v5, v147
	v_add_f32_e32 v2, v2, v126
	v_add_f32_e32 v3, v3, v120
	s_clause 0x1
	buffer_load_dword v126, off, s[0:3], 0 offset:284
	buffer_load_dword v120, off, s[0:3], 0 offset:292
	v_add_f32_e32 v145, v2, v145
	v_add_f32_e32 v137, v3, v137
	s_waitcnt vmcnt(12)
	v_fmac_f32_e32 v144, v5, v152
	v_fma_f32 v147, v4, v152, -v147
	ds_read2_b64 v[2:5], v1 offset0:81 offset1:82
	v_add_f32_e32 v145, v145, v146
	s_waitcnt vmcnt(11) lgkmcnt(1)
	v_mul_f32_e32 v150, v110, v153
	v_mul_f32_e32 v152, v111, v153
	v_add_f32_e32 v137, v137, v140
	s_clause 0x3
	buffer_load_dword v140, off, s[0:3], 0 offset:312
	buffer_load_dword v146, off, s[0:3], 0 offset:304
	;; [unrolled: 1-line block ×4, first 2 shown]
	v_fmac_f32_e32 v150, v111, v151
	v_fma_f32 v151, v110, v151, -v152
	v_add_f32_e32 v110, v145, v138
	v_add_f32_e32 v111, v137, v128
	s_waitcnt vmcnt(14)
	v_mul_f32_e32 v128, v112, v154
	v_mul_f32_e32 v137, v113, v154
	s_clause 0x1
	buffer_load_dword v138, off, s[0:3], 0 offset:300
	buffer_load_dword v145, off, s[0:3], 0 offset:308
	v_add_f32_e32 v110, v110, v118
	v_add_f32_e32 v111, v111, v129
	v_fmac_f32_e32 v128, v113, v117
	v_fma_f32 v118, v112, v117, -v137
	buffer_load_dword v152, off, s[0:3], 0 offset:316
	v_add_f32_e32 v117, v110, v141
	v_add_f32_e32 v130, v111, v130
	s_clause 0x3
	buffer_load_dword v129, off, s[0:3], 0 offset:324
	buffer_load_dword v137, off, s[0:3], 0 offset:332
	;; [unrolled: 1-line block ×4, first 2 shown]
	ds_read2_b64 v[110:113], v1 offset0:83 offset1:84
	v_add_f32_e32 v117, v117, v142
	s_waitcnt vmcnt(20) lgkmcnt(1)
	v_mul_f32_e32 v142, v2, v148
	v_mul_f32_e32 v148, v3, v148
	v_add_f32_e32 v130, v130, v133
	s_waitcnt vmcnt(19)
	v_mul_f32_e32 v133, v4, v149
	v_add_f32_e32 v117, v117, v131
	v_mul_f32_e32 v131, v5, v149
	v_fmac_f32_e32 v142, v3, v116
	v_fma_f32 v148, v2, v116, -v148
	v_add_f32_e32 v2, v130, v121
	v_add_f32_e32 v3, v117, v132
	s_clause 0x3
	buffer_load_dword v130, off, s[0:3], 0 offset:356
	buffer_load_dword v132, off, s[0:3], 0 offset:364
	;; [unrolled: 1-line block ×4, first 2 shown]
	s_waitcnt vmcnt(19)
	v_fmac_f32_e32 v133, v5, v157
	v_fma_f32 v131, v4, v157, -v131
	buffer_load_dword v157, off, s[0:3], 0 offset:388
	v_add_f32_e32 v3, v3, v134
	s_clause 0x4
	buffer_load_dword v134, off, s[0:3], 0 offset:344
	buffer_load_dword v162, off, s[0:3], 0 offset:336
	;; [unrolled: 1-line block ×5, first 2 shown]
	v_add_f32_e32 v2, v2, v7
	s_waitcnt vmcnt(24) lgkmcnt(0)
	v_mul_f32_e32 v117, v111, v127
	v_add_f32_e32 v7, v3, v135
	v_mul_f32_e32 v135, v110, v127
	v_add_f32_e32 v2, v2, v122
	v_fma_f32 v122, v110, v156, -v117
	v_add_f32_e32 v7, v7, v124
	v_fmac_f32_e32 v135, v111, v156
	v_add_f32_e32 v116, v2, v125
	ds_read2_b64 v[2:5], v1 offset0:85 offset1:86
	v_add_f32_e32 v6, v7, v6
	v_add_f32_e32 v116, v116, v136
	s_clause 0x3
	buffer_load_dword v127, off, s[0:3], 0 offset:376
	buffer_load_dword v136, off, s[0:3], 0 offset:368
	buffer_load_dword v156, off, s[0:3], 0 offset:360
	buffer_load_dword v166, off, s[0:3], 0 offset:352
	v_add_f32_e32 v6, v6, v139
	s_clause 0x1
	buffer_load_dword v139, off, s[0:3], 0 offset:392
	buffer_load_dword v167, off, s[0:3], 0 offset:384
	v_add_f32_e32 v7, v116, v114
	v_add_f32_e32 v6, v6, v143
	buffer_load_dword v143, off, s[0:3], 0 offset:32
	v_add_f32_e32 v7, v7, v115
	ds_read2_b64 v[114:117], v1 offset0:89 offset1:90
	v_add_f32_e32 v6, v6, v159
	v_add_f32_e32 v7, v7, v123
	;; [unrolled: 1-line block ×14, first 2 shown]
	s_waitcnt vmcnt(30)
	v_mul_f32_e32 v168, v112, v8
	v_mul_f32_e32 v8, v113, v8
	v_fmac_f32_e32 v168, v113, v155
	v_fma_f32 v8, v112, v155, -v8
	ds_read2_b64 v[110:113], v1 offset0:87 offset1:88
	s_waitcnt vmcnt(29) lgkmcnt(2)
	v_mul_f32_e32 v121, v3, v126
	v_mul_f32_e32 v144, v2, v126
	s_waitcnt vmcnt(28)
	v_mul_f32_e32 v126, v4, v120
	v_mul_f32_e32 v120, v5, v120
	v_add_f32_e32 v8, v7, v8
	v_fma_f32 v147, v2, v119, -v121
	v_fmac_f32_e32 v144, v3, v119
	v_add_f32_e32 v133, v133, v168
	v_add_f32_e32 v8, v8, v147
	;; [unrolled: 1-line block ×3, first 2 shown]
	s_waitcnt vmcnt(24)
	v_fma_f32 v150, v4, v160, -v120
	v_fmac_f32_e32 v126, v5, v160
	ds_read2_b64 v[2:5], v1 offset0:91 offset1:92
	ds_read2_b64 v[118:121], v1 offset0:93 offset1:94
	ds_read_b64 v[6:7], v1 offset:792
	v_add_f32_e32 v8, v8, v150
	v_add_f32_e32 v126, v133, v126
	s_waitcnt vmcnt(23) lgkmcnt(3)
	v_mul_f32_e32 v123, v111, v138
	v_mul_f32_e32 v128, v110, v138
	s_waitcnt vmcnt(22)
	v_mul_f32_e32 v138, v112, v145
	v_mul_f32_e32 v131, v113, v145
	v_fma_f32 v142, v110, v153, -v123
	v_fmac_f32_e32 v128, v111, v153
	v_fmac_f32_e32 v138, v113, v146
	v_fma_f32 v131, v112, v146, -v131
	s_waitcnt vmcnt(21)
	v_mul_f32_e32 v146, v115, v152
	v_add_f32_e32 v8, v8, v142
	v_mul_f32_e32 v135, v114, v152
	v_add_f32_e32 v126, v126, v128
	s_waitcnt vmcnt(20)
	v_mul_f32_e32 v145, v116, v129
	v_mul_f32_e32 v129, v117, v129
	v_fma_f32 v114, v114, v140, -v146
	v_add_f32_e32 v8, v8, v131
	v_fmac_f32_e32 v135, v115, v140
	v_add_f32_e32 v126, v126, v138
	ds_read2_b64 v[122:125], v1 offset0:95 offset1:96
	ds_read2_b64 v[110:113], v1 offset0:97 offset1:98
	s_waitcnt vmcnt(19) lgkmcnt(4)
	v_mul_f32_e32 v144, v2, v137
	v_mul_f32_e32 v137, v3, v137
	v_add_f32_e32 v8, v8, v114
	v_add_f32_e32 v114, v126, v135
	s_waitcnt vmcnt(18)
	v_mul_f32_e32 v147, v4, v141
	s_waitcnt vmcnt(9)
	v_fmac_f32_e32 v144, v3, v163
	s_waitcnt vmcnt(8)
	v_fma_f32 v116, v116, v164, -v129
	v_fmac_f32_e32 v145, v117, v164
	v_mul_f32_e32 v117, v5, v141
	v_fma_f32 v2, v2, v163, -v137
	s_waitcnt lgkmcnt(3)
	v_mul_f32_e32 v148, v118, v154
	v_add_f32_e32 v3, v8, v116
	v_add_f32_e32 v8, v114, v145
	v_mul_f32_e32 v114, v119, v154
	v_fma_f32 v4, v4, v162, -v117
	v_fmac_f32_e32 v147, v5, v162
	v_add_f32_e32 v2, v3, v2
	v_add_f32_e32 v3, v8, v144
	v_mul_f32_e32 v5, v121, v130
	v_fma_f32 v8, v118, v134, -v114
	v_mul_f32_e32 v133, v120, v130
	v_add_f32_e32 v2, v2, v4
	v_fmac_f32_e32 v148, v119, v134
	v_add_f32_e32 v3, v3, v147
	s_waitcnt lgkmcnt(1)
	v_mul_f32_e32 v4, v123, v132
	s_waitcnt vmcnt(3)
	v_fma_f32 v5, v120, v166, -v5
	v_add_f32_e32 v2, v2, v8
	v_mul_f32_e32 v142, v122, v132
	v_fmac_f32_e32 v133, v121, v166
	v_add_f32_e32 v3, v3, v148
	v_mul_f32_e32 v8, v125, v149
	v_fma_f32 v4, v122, v156, -v4
	v_add_f32_e32 v2, v2, v5
	v_mul_f32_e32 v115, v124, v149
	v_fmac_f32_e32 v142, v123, v156
	v_add_f32_e32 v3, v3, v133
	s_waitcnt lgkmcnt(0)
	v_mul_f32_e32 v5, v111, v161
	v_fma_f32 v8, v124, v136, -v8
	v_add_f32_e32 v2, v2, v4
	v_mul_f32_e32 v128, v110, v161
	v_fmac_f32_e32 v115, v125, v136
	v_add_f32_e32 v3, v3, v142
	v_mul_f32_e32 v4, v113, v157
	v_fma_f32 v5, v110, v127, -v5
	v_add_f32_e32 v2, v2, v8
	v_mul_f32_e32 v131, v112, v157
	v_fmac_f32_e32 v128, v111, v127
	v_add_f32_e32 v3, v3, v115
	v_mul_f32_e32 v8, v7, v165
	s_waitcnt vmcnt(1)
	v_fma_f32 v4, v112, v167, -v4
	v_add_f32_e32 v2, v2, v5
	v_mul_f32_e32 v138, v6, v165
	v_fmac_f32_e32 v131, v113, v167
	v_add_f32_e32 v3, v3, v128
	v_fma_f32 v5, v6, v139, -v8
	v_add_f32_e32 v2, v2, v4
	v_fmac_f32_e32 v138, v7, v139
	v_add_f32_e32 v3, v3, v131
	v_add_f32_e32 v2, v2, v5
	;; [unrolled: 1-line block ×3, first 2 shown]
	s_waitcnt vmcnt(0)
	v_sub_f32_e32 v2, v143, v2
	v_sub_f32_e32 v3, v158, v3
	buffer_store_dword v2, off, s[0:3], 0 offset:32
	buffer_store_dword v3, off, s[0:3], 0 offset:36
	v_cmpx_lt_u32_e32 3, v0
	s_cbranch_execz .LBB113_307
; %bb.306:
	s_clause 0x1
	buffer_load_dword v2, off, s[0:3], 0 offset:24
	buffer_load_dword v3, off, s[0:3], 0 offset:28
	buffer_store_dword v1, off, s[0:3], 0 offset:24
	buffer_store_dword v1, off, s[0:3], 0 offset:28
	s_waitcnt vmcnt(0)
	ds_write_b64 v109, v[2:3]
.LBB113_307:
	s_or_b32 exec_lo, exec_lo, s4
	s_waitcnt lgkmcnt(0)
	s_waitcnt_vscnt null, 0x0
	s_barrier
	buffer_gl0_inv
	s_clause 0x2c
	buffer_load_dword v148, off, s[0:3], 0 offset:36
	buffer_load_dword v149, off, s[0:3], 0 offset:44
	;; [unrolled: 1-line block ×45, first 2 shown]
	ds_read_b128 v[140:143], v1 offset:432
	ds_read_b128 v[144:147], v1 offset:448
	buffer_load_dword v158, off, s[0:3], 0 offset:28
	s_mov_b32 s4, exec_lo
	s_waitcnt vmcnt(45) lgkmcnt(1)
	v_mul_f32_e32 v156, v141, v148
	v_mul_f32_e32 v148, v140, v148
	s_waitcnt vmcnt(44)
	v_mul_f32_e32 v157, v142, v149
	v_mul_f32_e32 v149, v143, v149
	s_waitcnt vmcnt(41)
	v_fma_f32 v156, v140, v138, -v156
	v_fmac_f32_e32 v148, v141, v138
	v_fmac_f32_e32 v157, v143, v134
	v_fma_f32 v149, v142, v134, -v149
	ds_read_b128 v[140:143], v1 offset:464
	s_waitcnt vmcnt(40) lgkmcnt(1)
	v_mul_f32_e32 v159, v144, v133
	v_mul_f32_e32 v133, v145, v133
	s_waitcnt vmcnt(39)
	v_mul_f32_e32 v160, v146, v131
	v_mul_f32_e32 v131, v147, v131
	v_fmac_f32_e32 v159, v145, v120
	v_fma_f32 v120, v144, v120, -v133
	s_waitcnt vmcnt(35)
	v_fmac_f32_e32 v160, v147, v139
	v_fma_f32 v161, v146, v139, -v131
	ds_read_b128 v[144:147], v1 offset:480
	s_waitcnt vmcnt(34) lgkmcnt(1)
	v_mul_f32_e32 v162, v140, v137
	v_mul_f32_e32 v131, v141, v137
	s_waitcnt vmcnt(33)
	v_mul_f32_e32 v163, v142, v136
	v_mul_f32_e32 v133, v143, v136
	ds_read_b128 v[136:139], v1 offset:496
	v_fmac_f32_e32 v162, v141, v128
	v_fma_f32 v128, v140, v128, -v131
	v_fmac_f32_e32 v163, v143, v123
	v_fma_f32 v164, v142, v123, -v133
	ds_read_b128 v[140:143], v1 offset:512
	s_waitcnt vmcnt(32) lgkmcnt(2)
	v_mul_f32_e32 v165, v144, v127
	v_mul_f32_e32 v123, v145, v127
	s_waitcnt vmcnt(31)
	v_mul_f32_e32 v127, v146, v125
	v_mul_f32_e32 v125, v147, v125
	v_fmac_f32_e32 v165, v145, v110
	v_fma_f32 v144, v144, v110, -v123
	s_waitcnt vmcnt(27)
	v_fmac_f32_e32 v127, v147, v135
	v_fma_f32 v145, v146, v135, -v125
	s_waitcnt vmcnt(26) lgkmcnt(1)
	v_mul_f32_e32 v146, v136, v132
	v_mul_f32_e32 v110, v137, v132
	s_waitcnt vmcnt(25)
	v_mul_f32_e32 v147, v138, v130
	v_mul_f32_e32 v123, v139, v130
	ds_read_b128 v[130:133], v1 offset:528
	v_fmac_f32_e32 v146, v137, v121
	v_fma_f32 v121, v136, v121, -v110
	ds_read_b128 v[134:137], v1 offset:544
	v_fmac_f32_e32 v147, v139, v115
	v_fma_f32 v138, v138, v115, -v123
	s_waitcnt vmcnt(24) lgkmcnt(2)
	v_mul_f32_e32 v139, v140, v119
	v_mul_f32_e32 v110, v141, v119
	s_waitcnt vmcnt(23)
	v_mul_f32_e32 v119, v142, v117
	v_mul_f32_e32 v115, v143, v117
	v_fmac_f32_e32 v139, v141, v4
	v_fma_f32 v140, v140, v4, -v110
	s_waitcnt vmcnt(19)
	v_fmac_f32_e32 v119, v143, v129
	v_fma_f32 v129, v142, v129, -v115
	s_waitcnt vmcnt(18) lgkmcnt(1)
	v_mul_f32_e32 v141, v130, v126
	s_waitcnt vmcnt(17)
	v_mul_f32_e32 v142, v132, v124
	v_mul_f32_e32 v110, v133, v124
	;; [unrolled: 1-line block ×3, first 2 shown]
	ds_read_b128 v[123:126], v1 offset:560
	v_fmac_f32_e32 v141, v131, v114
	v_fmac_f32_e32 v142, v133, v111
	v_fma_f32 v131, v132, v111, -v110
	s_waitcnt vmcnt(15) lgkmcnt(1)
	v_mul_f32_e32 v133, v136, v112
	v_mul_f32_e32 v110, v137, v112
	v_fma_f32 v130, v130, v114, -v4
	v_mul_f32_e32 v132, v134, v113
	v_mul_f32_e32 v4, v135, v113
	s_waitcnt vmcnt(11)
	v_fmac_f32_e32 v133, v137, v122
	v_fma_f32 v122, v136, v122, -v110
	ds_read_b128 v[110:113], v1 offset:576
	v_fmac_f32_e32 v132, v135, v3
	v_fma_f32 v134, v134, v3, -v4
	s_waitcnt vmcnt(10) lgkmcnt(1)
	v_mul_f32_e32 v135, v123, v118
	v_mul_f32_e32 v3, v124, v118
	s_waitcnt vmcnt(9)
	v_mul_f32_e32 v4, v126, v116
	v_mul_f32_e32 v118, v125, v116
	ds_read_b128 v[114:117], v1 offset:592
	v_fmac_f32_e32 v135, v124, v8
	v_fma_f32 v8, v123, v8, -v3
	v_fma_f32 v123, v125, v5, -v4
	v_fmac_f32_e32 v118, v126, v5
	s_waitcnt vmcnt(8) lgkmcnt(1)
	v_mul_f32_e32 v124, v110, v7
	v_mul_f32_e32 v3, v111, v7
	s_waitcnt vmcnt(7)
	v_mul_f32_e32 v7, v112, v6
	v_mul_f32_e32 v4, v113, v6
	buffer_load_dword v6, off, s[0:3], 0 offset:212
	v_fmac_f32_e32 v124, v111, v2
	v_fma_f32 v125, v110, v2, -v3
	s_waitcnt vmcnt(4)
	v_fmac_f32_e32 v7, v113, v153
	v_fma_f32 v126, v112, v153, -v4
	buffer_load_dword v112, off, s[0:3], 0 offset:220
	ds_read_b128 v[2:5], v1 offset:608
	s_waitcnt vmcnt(4) lgkmcnt(1)
	v_mul_f32_e32 v136, v114, v154
	v_mul_f32_e32 v110, v115, v154
	s_waitcnt vmcnt(3)
	v_mul_f32_e32 v137, v116, v155
	v_mul_f32_e32 v111, v117, v155
	v_fmac_f32_e32 v136, v115, v152
	v_fma_f32 v114, v114, v152, -v110
	v_fmac_f32_e32 v137, v117, v151
	v_fma_f32 v115, v116, v151, -v111
	s_clause 0x5
	buffer_load_dword v116, off, s[0:3], 0 offset:240
	buffer_load_dword v117, off, s[0:3], 0 offset:232
	;; [unrolled: 1-line block ×6, first 2 shown]
	v_add_f32_e32 v110, 0, v156
	v_add_f32_e32 v111, 0, v148
	;; [unrolled: 1-line block ×3, first 2 shown]
	buffer_load_dword v149, off, s[0:3], 0 offset:244
	v_add_f32_e32 v111, v111, v157
	v_add_f32_e32 v110, v110, v120
	s_clause 0x4
	buffer_load_dword v120, off, s[0:3], 0 offset:252
	buffer_load_dword v148, off, s[0:3], 0 offset:272
	;; [unrolled: 1-line block ×5, first 2 shown]
	v_add_f32_e32 v111, v111, v159
	v_add_f32_e32 v110, v110, v161
	;; [unrolled: 1-line block ×4, first 2 shown]
	s_clause 0x2
	buffer_load_dword v128, off, s[0:3], 0 offset:260
	buffer_load_dword v157, off, s[0:3], 0 offset:268
	buffer_load_dword v159, off, s[0:3], 0 offset:276
	v_add_f32_e32 v111, v111, v162
	v_add_f32_e32 v110, v110, v164
	;; [unrolled: 1-line block ×5, first 2 shown]
	s_waitcnt vmcnt(16) lgkmcnt(0)
	v_mul_f32_e32 v160, v2, v6
	v_mul_f32_e32 v6, v3, v6
	v_fmac_f32_e32 v160, v3, v150
	v_fma_f32 v6, v2, v150, -v6
	v_add_f32_e32 v2, v110, v145
	v_add_f32_e32 v3, v111, v127
	s_waitcnt vmcnt(15)
	v_mul_f32_e32 v144, v4, v112
	v_mul_f32_e32 v161, v5, v112
	ds_read_b128 v[110:113], v1 offset:624
	v_add_f32_e32 v2, v2, v121
	v_add_f32_e32 v3, v3, v146
	s_waitcnt vmcnt(11)
	v_fmac_f32_e32 v144, v5, v151
	v_add_f32_e32 v2, v2, v138
	v_add_f32_e32 v3, v3, v147
	v_fma_f32 v127, v4, v151, -v161
	s_clause 0x4
	buffer_load_dword v121, off, s[0:3], 0 offset:284
	buffer_load_dword v145, off, s[0:3], 0 offset:304
	;; [unrolled: 1-line block ×5, first 2 shown]
	v_add_f32_e32 v2, v2, v140
	v_add_f32_e32 v3, v3, v139
	s_clause 0x2
	buffer_load_dword v138, off, s[0:3], 0 offset:292
	buffer_load_dword v139, off, s[0:3], 0 offset:300
	;; [unrolled: 1-line block ×3, first 2 shown]
	v_add_f32_e32 v129, v2, v129
	v_add_f32_e32 v119, v3, v119
	ds_read_b128 v[2:5], v1 offset:640
	s_waitcnt vmcnt(18) lgkmcnt(1)
	v_mul_f32_e32 v147, v110, v152
	v_add_f32_e32 v129, v129, v130
	v_add_f32_e32 v119, v119, v141
	v_mul_f32_e32 v152, v111, v152
	s_waitcnt vmcnt(17)
	v_mul_f32_e32 v141, v113, v153
	v_fmac_f32_e32 v147, v111, v143
	v_add_f32_e32 v111, v129, v131
	v_add_f32_e32 v119, v119, v142
	v_mul_f32_e32 v130, v112, v153
	v_fma_f32 v129, v110, v143, -v152
	v_fma_f32 v131, v112, v117, -v141
	v_add_f32_e32 v110, v111, v134
	v_add_f32_e32 v111, v119, v132
	s_clause 0x7
	buffer_load_dword v132, off, s[0:3], 0 offset:316
	buffer_load_dword v134, off, s[0:3], 0 offset:324
	;; [unrolled: 1-line block ×8, first 2 shown]
	v_fmac_f32_e32 v130, v113, v117
	v_add_f32_e32 v110, v110, v122
	v_add_f32_e32 v111, v111, v133
	s_waitcnt vmcnt(24) lgkmcnt(0)
	v_mul_f32_e32 v119, v2, v149
	v_mul_f32_e32 v112, v3, v149
	s_clause 0x3
	buffer_load_dword v133, off, s[0:3], 0 offset:348
	buffer_load_dword v149, off, s[0:3], 0 offset:356
	;; [unrolled: 1-line block ×4, first 2 shown]
	v_fmac_f32_e32 v119, v3, v116
	v_fma_f32 v122, v2, v116, -v112
	v_add_f32_e32 v2, v110, v8
	v_add_f32_e32 v110, v111, v135
	s_waitcnt vmcnt(27)
	v_mul_f32_e32 v135, v4, v120
	v_mul_f32_e32 v3, v5, v120
	s_clause 0x1
	buffer_load_dword v8, off, s[0:3], 0 offset:380
	buffer_load_dword v164, off, s[0:3], 0 offset:388
	v_add_f32_e32 v111, v2, v123
	buffer_load_dword v165, off, s[0:3], 0 offset:396
	s_waitcnt vmcnt(26)
	v_fmac_f32_e32 v135, v5, v156
	v_fma_f32 v123, v4, v156, -v3
	ds_read_b128 v[2:5], v1 offset:656
	v_add_f32_e32 v110, v110, v118
	v_add_f32_e32 v111, v111, v125
	s_clause 0x3
	buffer_load_dword v156, off, s[0:3], 0 offset:368
	buffer_load_dword v166, off, s[0:3], 0 offset:360
	;; [unrolled: 1-line block ×4, first 2 shown]
	v_add_f32_e32 v110, v110, v124
	v_add_f32_e32 v111, v111, v126
	;; [unrolled: 1-line block ×4, first 2 shown]
	ds_read_b128 v[110:113], v1 offset:672
	v_add_f32_e32 v7, v7, v136
	v_add_f32_e32 v114, v114, v115
	s_waitcnt vmcnt(29) lgkmcnt(1)
	v_mul_f32_e32 v124, v2, v128
	v_mul_f32_e32 v115, v3, v128
	s_waitcnt vmcnt(28)
	v_mul_f32_e32 v126, v4, v157
	v_fmac_f32_e32 v124, v3, v155
	v_fma_f32 v125, v2, v155, -v115
	v_add_f32_e32 v2, v7, v137
	v_add_f32_e32 v3, v114, v6
	s_clause 0x3
	buffer_load_dword v6, off, s[0:3], 0 offset:392
	buffer_load_dword v7, off, s[0:3], 0 offset:384
	;; [unrolled: 1-line block ×4, first 2 shown]
	v_mul_f32_e32 v114, v5, v157
	v_add_f32_e32 v2, v2, v160
	v_add_f32_e32 v3, v3, v127
	v_fmac_f32_e32 v126, v5, v154
	s_waitcnt vmcnt(31) lgkmcnt(0)
	v_mul_f32_e32 v128, v111, v159
	v_fma_f32 v127, v4, v154, -v114
	v_add_f32_e32 v115, v2, v144
	v_add_f32_e32 v118, v3, v129
	ds_read_b128 v[2:5], v1 offset:688
	v_fma_f32 v128, v110, v148, -v128
	v_add_f32_e32 v120, v115, v147
	ds_read_b128 v[114:117], v1 offset:704
	v_add_f32_e32 v118, v118, v131
	v_mul_f32_e32 v131, v110, v159
	v_add_f32_e32 v120, v120, v130
	v_add_f32_e32 v122, v118, v122
	v_fmac_f32_e32 v131, v111, v148
	v_add_f32_e32 v129, v120, v119
	v_add_f32_e32 v122, v122, v123
	;; [unrolled: 1-line block ×6, first 2 shown]
	s_waitcnt vmcnt(30)
	v_mul_f32_e32 v130, v112, v121
	v_mul_f32_e32 v121, v113, v121
	s_waitcnt vmcnt(26)
	v_fmac_f32_e32 v130, v113, v151
	s_waitcnt vmcnt(25) lgkmcnt(1)
	v_mul_f32_e32 v147, v2, v138
	v_mul_f32_e32 v123, v3, v138
	s_waitcnt vmcnt(24)
	v_mul_f32_e32 v135, v4, v139
	v_mul_f32_e32 v138, v5, v139
	s_waitcnt vmcnt(23) lgkmcnt(0)
	v_mul_f32_e32 v139, v114, v140
	v_fma_f32 v144, v112, v151, -v121
	v_mul_f32_e32 v140, v115, v140
	v_fmac_f32_e32 v135, v5, v146
	v_fma_f32 v138, v4, v146, -v138
	v_add_f32_e32 v146, v129, v126
	v_fmac_f32_e32 v139, v115, v145
	v_add_f32_e32 v115, v127, v128
	ds_read_b128 v[110:113], v1 offset:720
	ds_read_b128 v[118:121], v1 offset:736
	v_fmac_f32_e32 v147, v3, v150
	v_fma_f32 v148, v2, v150, -v123
	ds_read_b128 v[2:5], v1 offset:752
	ds_read_b128 v[122:125], v1 offset:768
	;; [unrolled: 1-line block ×3, first 2 shown]
	v_add_f32_e32 v1, v146, v131
	v_add_f32_e32 v115, v115, v144
	v_fma_f32 v114, v114, v145, -v140
	s_waitcnt vmcnt(22)
	v_mul_f32_e32 v131, v116, v132
	v_mul_f32_e32 v132, v117, v132
	v_add_f32_e32 v1, v1, v130
	v_add_f32_e32 v115, v115, v148
	s_waitcnt vmcnt(15)
	v_fmac_f32_e32 v131, v117, v161
	v_fma_f32 v116, v116, v161, -v132
	v_add_f32_e32 v1, v1, v147
	v_add_f32_e32 v115, v115, v138
	s_waitcnt lgkmcnt(4)
	v_mul_f32_e32 v140, v110, v134
	v_add_f32_e32 v1, v1, v135
	v_mul_f32_e32 v134, v111, v134
	v_add_f32_e32 v114, v115, v114
	v_mul_f32_e32 v135, v113, v141
	v_fmac_f32_e32 v140, v111, v153
	v_add_f32_e32 v1, v1, v139
	v_fma_f32 v110, v110, v153, -v134
	v_add_f32_e32 v111, v114, v116
	v_mul_f32_e32 v130, v112, v141
	s_waitcnt lgkmcnt(3)
	v_mul_f32_e32 v114, v119, v142
	v_add_f32_e32 v1, v1, v131
	v_fma_f32 v112, v112, v152, -v135
	v_add_f32_e32 v110, v111, v110
	v_mul_f32_e32 v117, v118, v142
	v_fmac_f32_e32 v130, v113, v152
	v_add_f32_e32 v1, v1, v140
	s_waitcnt vmcnt(14)
	v_mul_f32_e32 v111, v121, v133
	v_fma_f32 v113, v118, v143, -v114
	v_add_f32_e32 v110, v110, v112
	v_mul_f32_e32 v132, v120, v133
	v_fmac_f32_e32 v117, v119, v143
	v_add_f32_e32 v1, v1, v130
	s_waitcnt vmcnt(13) lgkmcnt(2)
	v_mul_f32_e32 v144, v2, v149
	v_mul_f32_e32 v112, v3, v149
	s_waitcnt vmcnt(4)
	v_fma_f32 v111, v120, v168, -v111
	v_add_f32_e32 v110, v110, v113
	v_fmac_f32_e32 v132, v121, v168
	v_add_f32_e32 v1, v1, v117
	v_mul_f32_e32 v113, v5, v162
	v_fmac_f32_e32 v144, v3, v167
	v_fma_f32 v2, v2, v167, -v112
	v_add_f32_e32 v3, v110, v111
	v_mul_f32_e32 v145, v4, v162
	v_add_f32_e32 v1, v1, v132
	s_waitcnt lgkmcnt(1)
	v_mul_f32_e32 v110, v123, v163
	v_fma_f32 v4, v4, v166, -v113
	v_add_f32_e32 v2, v3, v2
	v_mul_f32_e32 v146, v122, v163
	v_fmac_f32_e32 v145, v5, v166
	v_add_f32_e32 v1, v1, v144
	v_mul_f32_e32 v3, v125, v8
	v_fma_f32 v5, v122, v156, -v110
	v_add_f32_e32 v2, v2, v4
	v_mul_f32_e32 v138, v124, v8
	v_fmac_f32_e32 v146, v123, v156
	v_add_f32_e32 v1, v1, v145
	s_waitcnt lgkmcnt(0)
	v_mul_f32_e32 v4, v127, v164
	s_waitcnt vmcnt(1)
	v_fma_f32 v3, v124, v136, -v3
	v_add_f32_e32 v2, v2, v5
	v_mul_f32_e32 v141, v126, v164
	v_fmac_f32_e32 v138, v125, v136
	v_add_f32_e32 v1, v1, v146
	v_mul_f32_e32 v5, v129, v165
	v_fma_f32 v4, v126, v7, -v4
	v_add_f32_e32 v2, v2, v3
	v_mul_f32_e32 v115, v128, v165
	v_fmac_f32_e32 v141, v127, v7
	v_add_f32_e32 v1, v1, v138
	v_fma_f32 v3, v128, v6, -v5
	v_add_f32_e32 v2, v2, v4
	v_fmac_f32_e32 v115, v129, v6
	v_add_f32_e32 v1, v1, v141
	v_add_f32_e32 v2, v2, v3
	;; [unrolled: 1-line block ×3, first 2 shown]
	s_waitcnt vmcnt(0)
	v_sub_f32_e32 v2, v137, v2
	v_sub_f32_e32 v1, v158, v1
	buffer_store_dword v2, off, s[0:3], 0 offset:24
	buffer_store_dword v1, off, s[0:3], 0 offset:28
	v_cmpx_lt_u32_e32 2, v0
	s_cbranch_execz .LBB113_309
; %bb.308:
	s_clause 0x1
	buffer_load_dword v1, off, s[0:3], 0 offset:16
	buffer_load_dword v2, off, s[0:3], 0 offset:20
	v_mov_b32_e32 v3, 0
	buffer_store_dword v3, off, s[0:3], 0 offset:16
	buffer_store_dword v3, off, s[0:3], 0 offset:20
	s_waitcnt vmcnt(0)
	ds_write_b64 v109, v[1:2]
.LBB113_309:
	s_or_b32 exec_lo, exec_lo, s4
	s_waitcnt lgkmcnt(0)
	s_waitcnt_vscnt null, 0x0
	s_barrier
	buffer_gl0_inv
	s_clause 0x2c
	buffer_load_dword v140, off, s[0:3], 0 offset:28
	buffer_load_dword v141, off, s[0:3], 0 offset:36
	;; [unrolled: 1-line block ×45, first 2 shown]
	v_mov_b32_e32 v1, 0
	ds_read2_b64 v[149:152], v1 offset0:53 offset1:54
	ds_read2_b64 v[153:156], v1 offset0:55 offset1:56
	buffer_load_dword v158, off, s[0:3], 0 offset:20
	s_mov_b32 s4, exec_lo
	s_waitcnt vmcnt(45) lgkmcnt(1)
	v_mul_f32_e32 v142, v149, v140
	v_mul_f32_e32 v157, v150, v140
	s_waitcnt vmcnt(44)
	v_mul_f32_e32 v140, v151, v141
	v_mul_f32_e32 v141, v152, v141
	s_waitcnt vmcnt(41)
	v_fmac_f32_e32 v142, v150, v111
	v_fma_f32 v157, v149, v111, -v157
	v_fmac_f32_e32 v140, v152, v7
	v_fma_f32 v141, v151, v7, -v141
	ds_read2_b64 v[149:152], v1 offset0:57 offset1:58
	s_waitcnt vmcnt(40) lgkmcnt(1)
	v_mul_f32_e32 v159, v153, v4
	s_waitcnt vmcnt(39)
	v_mul_f32_e32 v160, v155, v5
	v_mul_f32_e32 v4, v154, v4
	;; [unrolled: 1-line block ×3, first 2 shown]
	v_fmac_f32_e32 v159, v154, v2
	s_waitcnt vmcnt(35)
	v_fmac_f32_e32 v160, v156, v114
	v_fma_f32 v161, v153, v2, -v4
	v_fma_f32 v114, v155, v114, -v5
	ds_read2_b64 v[153:156], v1 offset0:59 offset1:60
	s_waitcnt vmcnt(34) lgkmcnt(1)
	v_mul_f32_e32 v162, v149, v113
	s_waitcnt vmcnt(33)
	v_mul_f32_e32 v163, v151, v112
	v_mul_f32_e32 v4, v152, v112
	;; [unrolled: 1-line block ×3, first 2 shown]
	v_fmac_f32_e32 v162, v150, v110
	v_fmac_f32_e32 v163, v152, v6
	v_fma_f32 v150, v151, v6, -v4
	ds_read2_b64 v[4:7], v1 offset0:61 offset1:62
	v_fma_f32 v149, v149, v110, -v2
	s_waitcnt vmcnt(32) lgkmcnt(1)
	v_mul_f32_e32 v151, v153, v8
	v_mul_f32_e32 v2, v154, v8
	s_waitcnt vmcnt(31)
	v_mul_f32_e32 v8, v155, v115
	v_mul_f32_e32 v110, v156, v115
	v_fmac_f32_e32 v151, v154, v3
	v_fma_f32 v115, v153, v3, -v2
	s_waitcnt vmcnt(27)
	v_fmac_f32_e32 v8, v156, v123
	v_fma_f32 v123, v155, v123, -v110
	ds_read2_b64 v[110:113], v1 offset0:63 offset1:64
	buffer_load_dword v153, off, s[0:3], 0 offset:212
	s_waitcnt vmcnt(27) lgkmcnt(1)
	v_mul_f32_e32 v152, v4, v121
	v_mul_f32_e32 v2, v5, v121
	s_waitcnt vmcnt(26)
	v_mul_f32_e32 v3, v7, v120
	v_mul_f32_e32 v121, v6, v120
	v_fmac_f32_e32 v152, v5, v119
	v_fma_f32 v119, v4, v119, -v2
	v_fma_f32 v6, v6, v117, -v3
	ds_read2_b64 v[2:5], v1 offset0:65 offset1:66
	v_fmac_f32_e32 v121, v7, v117
	s_waitcnt vmcnt(25) lgkmcnt(1)
	v_mul_f32_e32 v7, v110, v118
	v_mul_f32_e32 v117, v111, v118
	s_waitcnt vmcnt(24)
	v_mul_f32_e32 v118, v112, v122
	v_mul_f32_e32 v120, v113, v122
	v_fmac_f32_e32 v7, v111, v116
	v_fma_f32 v116, v110, v116, -v117
	s_waitcnt vmcnt(20)
	v_fmac_f32_e32 v118, v113, v131
	v_fma_f32 v117, v112, v131, -v120
	ds_read2_b64 v[110:113], v1 offset0:67 offset1:68
	s_waitcnt vmcnt(19) lgkmcnt(1)
	v_mul_f32_e32 v120, v2, v129
	v_mul_f32_e32 v122, v3, v129
	s_waitcnt vmcnt(18)
	v_mul_f32_e32 v129, v4, v128
	v_mul_f32_e32 v128, v5, v128
	v_fmac_f32_e32 v120, v3, v127
	v_fma_f32 v122, v2, v127, -v122
	v_fmac_f32_e32 v129, v5, v125
	v_fma_f32 v125, v4, v125, -v128
	ds_read2_b64 v[2:5], v1 offset0:69 offset1:70
	s_waitcnt vmcnt(17) lgkmcnt(1)
	v_mul_f32_e32 v127, v110, v126
	v_mul_f32_e32 v126, v111, v126
	s_waitcnt vmcnt(16)
	v_mul_f32_e32 v128, v112, v130
	v_mul_f32_e32 v130, v113, v130
	v_fmac_f32_e32 v127, v111, v124
	v_fma_f32 v124, v110, v124, -v126
	s_waitcnt vmcnt(12)
	v_fmac_f32_e32 v128, v113, v138
	v_fma_f32 v126, v112, v138, -v130
	ds_read2_b64 v[110:113], v1 offset0:71 offset1:72
	s_waitcnt vmcnt(11) lgkmcnt(1)
	v_mul_f32_e32 v130, v2, v137
	v_mul_f32_e32 v131, v3, v137
	s_waitcnt vmcnt(10)
	v_mul_f32_e32 v137, v4, v136
	v_mul_f32_e32 v136, v5, v136
	v_fmac_f32_e32 v130, v3, v135
	v_fma_f32 v131, v2, v135, -v131
	v_fmac_f32_e32 v137, v5, v133
	v_fma_f32 v133, v4, v133, -v136
	ds_read2_b64 v[2:5], v1 offset0:73 offset1:74
	s_waitcnt vmcnt(8) lgkmcnt(1)
	v_mul_f32_e32 v136, v112, v139
	v_mul_f32_e32 v138, v113, v139
	buffer_load_dword v139, off, s[0:3], 0 offset:204
	v_mul_f32_e32 v135, v110, v134
	v_mul_f32_e32 v134, v111, v134
	s_waitcnt vmcnt(5)
	v_fmac_f32_e32 v136, v113, v148
	v_fmac_f32_e32 v135, v111, v132
	v_fma_f32 v132, v110, v132, -v134
	v_fma_f32 v134, v112, v148, -v138
	ds_read2_b64 v[110:113], v1 offset0:75 offset1:76
	s_waitcnt vmcnt(4) lgkmcnt(1)
	v_mul_f32_e32 v138, v2, v147
	v_mul_f32_e32 v147, v3, v147
	s_waitcnt vmcnt(3)
	v_mul_f32_e32 v148, v4, v146
	v_mul_f32_e32 v146, v5, v146
	v_fmac_f32_e32 v138, v3, v145
	v_fma_f32 v145, v2, v145, -v147
	v_fmac_f32_e32 v148, v5, v144
	v_fma_f32 v144, v4, v144, -v146
	s_clause 0x4
	buffer_load_dword v146, off, s[0:3], 0 offset:232
	buffer_load_dword v147, off, s[0:3], 0 offset:224
	;; [unrolled: 1-line block ×5, first 2 shown]
	s_waitcnt vmcnt(5) lgkmcnt(0)
	v_mul_f32_e32 v156, v110, v139
	v_mul_f32_e32 v3, v111, v139
	v_fmac_f32_e32 v156, v111, v143
	v_fma_f32 v139, v110, v143, -v3
	v_mul_f32_e32 v143, v112, v153
	v_mul_f32_e32 v3, v113, v153
	s_waitcnt vmcnt(1)
	v_fmac_f32_e32 v143, v113, v2
	v_fma_f32 v153, v112, v2, -v3
	ds_read2_b64 v[2:5], v1 offset0:77 offset1:78
	ds_read2_b64 v[110:113], v1 offset0:79 offset1:80
	s_waitcnt vmcnt(0) lgkmcnt(1)
	v_mul_f32_e32 v164, v2, v155
	v_mul_f32_e32 v155, v3, v155
	v_fmac_f32_e32 v164, v3, v154
	v_fma_f32 v154, v2, v154, -v155
	buffer_load_dword v2, off, s[0:3], 0 offset:228
	s_waitcnt vmcnt(0)
	v_mul_f32_e32 v155, v4, v2
	v_mul_f32_e32 v2, v5, v2
	v_fmac_f32_e32 v155, v5, v147
	v_fma_f32 v147, v4, v147, -v2
	buffer_load_dword v2, off, s[0:3], 0 offset:236
	s_waitcnt vmcnt(0) lgkmcnt(0)
	v_mul_f32_e32 v165, v110, v2
	v_mul_f32_e32 v2, v111, v2
	v_fmac_f32_e32 v165, v111, v146
	v_fma_f32 v146, v110, v146, -v2
	s_clause 0x5
	buffer_load_dword v2, off, s[0:3], 0 offset:244
	buffer_load_dword v166, off, s[0:3], 0 offset:264
	;; [unrolled: 1-line block ×6, first 2 shown]
	s_waitcnt vmcnt(5)
	v_mul_f32_e32 v169, v112, v2
	v_mul_f32_e32 v2, v113, v2
	s_waitcnt vmcnt(1)
	v_fmac_f32_e32 v169, v113, v3
	v_fma_f32 v170, v112, v3, -v2
	ds_read2_b64 v[2:5], v1 offset0:81 offset1:82
	ds_read2_b64 v[110:113], v1 offset0:83 offset1:84
	s_waitcnt vmcnt(0) lgkmcnt(1)
	v_mul_f32_e32 v172, v2, v171
	v_mul_f32_e32 v171, v3, v171
	v_fmac_f32_e32 v172, v3, v168
	v_fma_f32 v168, v2, v168, -v171
	buffer_load_dword v2, off, s[0:3], 0 offset:260
	s_waitcnt vmcnt(0)
	v_mul_f32_e32 v171, v4, v2
	v_mul_f32_e32 v2, v5, v2
	v_fmac_f32_e32 v171, v5, v167
	v_fma_f32 v167, v4, v167, -v2
	buffer_load_dword v2, off, s[0:3], 0 offset:268
	s_waitcnt vmcnt(0) lgkmcnt(0)
	v_mul_f32_e32 v173, v110, v2
	v_mul_f32_e32 v2, v111, v2
	v_fmac_f32_e32 v173, v111, v166
	v_fma_f32 v166, v110, v166, -v2
	s_clause 0x4
	buffer_load_dword v2, off, s[0:3], 0 offset:276
	buffer_load_dword v174, off, s[0:3], 0 offset:296
	;; [unrolled: 1-line block ×5, first 2 shown]
	s_waitcnt vmcnt(4)
	v_mul_f32_e32 v177, v112, v2
	v_mul_f32_e32 v2, v113, v2
	s_waitcnt vmcnt(0)
	v_fmac_f32_e32 v177, v113, v3
	v_fma_f32 v178, v112, v3, -v2
	v_add_f32_e32 v2, 0, v142
	v_add_f32_e32 v3, 0, v157
	;; [unrolled: 1-line block ×8, first 2 shown]
	buffer_load_dword v114, off, s[0:3], 0 offset:284
	v_add_f32_e32 v2, v2, v162
	v_add_f32_e32 v3, v3, v149
	;; [unrolled: 1-line block ×6, first 2 shown]
	buffer_load_dword v115, off, s[0:3], 0 offset:292
	v_add_f32_e32 v2, v2, v8
	v_add_f32_e32 v3, v3, v123
	s_clause 0x1
	buffer_load_dword v8, off, s[0:3], 0 offset:300
	buffer_load_dword v123, off, s[0:3], 0 offset:308
	v_add_f32_e32 v2, v2, v152
	v_add_f32_e32 v3, v3, v119
	;; [unrolled: 1-line block ×4, first 2 shown]
	s_clause 0x6
	buffer_load_dword v140, off, s[0:3], 0 offset:328
	buffer_load_dword v141, off, s[0:3], 0 offset:320
	;; [unrolled: 1-line block ×7, first 2 shown]
	v_add_f32_e32 v2, v2, v7
	v_add_f32_e32 v3, v3, v116
	;; [unrolled: 1-line block ×8, first 2 shown]
	s_clause 0x3
	buffer_load_dword v129, off, s[0:3], 0 offset:340
	buffer_load_dword v152, off, s[0:3], 0 offset:348
	;; [unrolled: 1-line block ×4, first 2 shown]
	v_add_f32_e32 v2, v2, v127
	v_add_f32_e32 v3, v3, v124
	s_clause 0x1
	buffer_load_dword v127, off, s[0:3], 0 offset:372
	buffer_load_dword v160, off, s[0:3], 0 offset:380
	v_add_f32_e32 v2, v2, v128
	v_add_f32_e32 v3, v3, v126
	s_clause 0x1
	buffer_load_dword v128, off, s[0:3], 0 offset:388
	buffer_load_dword v161, off, s[0:3], 0 offset:396
	v_add_f32_e32 v2, v2, v130
	v_add_f32_e32 v3, v3, v131
	;; [unrolled: 1-line block ×3, first 2 shown]
	s_clause 0x3
	buffer_load_dword v126, off, s[0:3], 0 offset:360
	buffer_load_dword v130, off, s[0:3], 0 offset:352
	;; [unrolled: 1-line block ×4, first 2 shown]
	v_add_f32_e32 v3, v3, v133
	v_add_f32_e32 v2, v2, v135
	;; [unrolled: 1-line block ×4, first 2 shown]
	s_clause 0x3
	buffer_load_dword v132, off, s[0:3], 0 offset:392
	buffer_load_dword v133, off, s[0:3], 0 offset:384
	;; [unrolled: 1-line block ×4, first 2 shown]
	v_add_f32_e32 v3, v3, v134
	buffer_load_dword v134, off, s[0:3], 0 offset:16
	v_add_f32_e32 v2, v2, v138
	v_add_f32_e32 v3, v3, v145
	;; [unrolled: 1-line block ×4, first 2 shown]
	ds_read2_b64 v[2:5], v1 offset0:85 offset1:86
	v_add_f32_e32 v7, v7, v156
	v_add_f32_e32 v110, v110, v139
	;; [unrolled: 1-line block ×6, first 2 shown]
	ds_read2_b64 v[110:113], v1 offset0:87 offset1:88
	v_add_f32_e32 v7, v7, v155
	v_add_f32_e32 v116, v116, v147
	;; [unrolled: 1-line block ×8, first 2 shown]
	s_waitcnt vmcnt(27) lgkmcnt(1)
	v_mul_f32_e32 v138, v2, v114
	v_mul_f32_e32 v114, v3, v114
	v_fmac_f32_e32 v138, v3, v176
	v_add_f32_e32 v3, v116, v146
	v_fma_f32 v143, v2, v176, -v114
	v_add_f32_e32 v138, v148, v138
	v_add_f32_e32 v122, v3, v170
	s_waitcnt vmcnt(26)
	v_mul_f32_e32 v139, v4, v115
	v_add_f32_e32 v122, v122, v168
	v_mul_f32_e32 v115, v5, v115
	s_waitcnt vmcnt(25) lgkmcnt(0)
	v_mul_f32_e32 v145, v110, v8
	v_mul_f32_e32 v8, v111, v8
	v_add_f32_e32 v122, v122, v167
	v_fmac_f32_e32 v139, v5, v175
	v_fma_f32 v144, v4, v175, -v115
	ds_read2_b64 v[2:5], v1 offset0:89 offset1:90
	ds_read2_b64 v[114:117], v1 offset0:91 offset1:92
	v_fma_f32 v8, v110, v174, -v8
	v_add_f32_e32 v110, v122, v166
	s_waitcnt vmcnt(24)
	v_mul_f32_e32 v147, v113, v123
	v_mul_f32_e32 v146, v112, v123
	v_fmac_f32_e32 v145, v111, v174
	v_add_f32_e32 v138, v138, v139
	v_add_f32_e32 v153, v110, v178
	ds_read2_b64 v[118:121], v1 offset0:93 offset1:94
	ds_read2_b64 v[122:125], v1 offset0:95 offset1:96
	s_waitcnt vmcnt(20)
	v_fma_f32 v147, v112, v6, -v147
	v_fmac_f32_e32 v146, v113, v6
	v_add_f32_e32 v143, v153, v143
	v_add_f32_e32 v138, v138, v145
	ds_read2_b64 v[110:113], v1 offset0:97 offset1:98
	ds_read_b64 v[6:7], v1 offset:792
	v_add_f32_e32 v143, v143, v144
	v_add_f32_e32 v138, v138, v146
	s_waitcnt vmcnt(19) lgkmcnt(5)
	v_mul_f32_e32 v154, v2, v149
	v_mul_f32_e32 v149, v3, v149
	s_waitcnt vmcnt(18)
	v_mul_f32_e32 v155, v4, v150
	v_add_f32_e32 v8, v143, v8
	v_mul_f32_e32 v150, v5, v150
	v_fmac_f32_e32 v154, v3, v142
	v_fma_f32 v2, v2, v142, -v149
	s_waitcnt vmcnt(17) lgkmcnt(4)
	v_mul_f32_e32 v148, v114, v151
	v_add_f32_e32 v8, v8, v147
	v_mul_f32_e32 v147, v115, v151
	v_fma_f32 v4, v4, v141, -v150
	v_fmac_f32_e32 v155, v5, v141
	v_add_f32_e32 v5, v138, v154
	v_add_f32_e32 v2, v8, v2
	s_waitcnt vmcnt(16)
	v_mul_f32_e32 v8, v117, v129
	v_fma_f32 v114, v114, v140, -v147
	v_mul_f32_e32 v144, v116, v129
	v_fmac_f32_e32 v148, v115, v140
	v_add_f32_e32 v2, v2, v4
	v_add_f32_e32 v4, v5, v155
	s_waitcnt vmcnt(15) lgkmcnt(3)
	v_mul_f32_e32 v5, v119, v152
	v_mul_f32_e32 v153, v118, v152
	s_waitcnt vmcnt(14)
	v_mul_f32_e32 v139, v120, v157
	v_add_f32_e32 v2, v2, v114
	v_add_f32_e32 v4, v4, v148
	s_waitcnt vmcnt(5)
	v_fma_f32 v8, v116, v137, -v8
	v_fmac_f32_e32 v144, v117, v137
	v_mul_f32_e32 v114, v121, v157
	v_fma_f32 v5, v118, v131, -v5
	v_fmac_f32_e32 v153, v119, v131
	v_add_f32_e32 v2, v2, v8
	v_add_f32_e32 v4, v4, v144
	s_waitcnt lgkmcnt(2)
	v_mul_f32_e32 v8, v123, v159
	v_fma_f32 v114, v120, v130, -v114
	v_mul_f32_e32 v143, v122, v159
	v_add_f32_e32 v2, v2, v5
	v_fmac_f32_e32 v139, v121, v130
	v_add_f32_e32 v4, v4, v153
	v_mul_f32_e32 v5, v125, v127
	v_fma_f32 v8, v122, v126, -v8
	v_add_f32_e32 v2, v2, v114
	v_mul_f32_e32 v3, v124, v127
	v_fmac_f32_e32 v143, v123, v126
	v_add_f32_e32 v4, v4, v139
	s_waitcnt lgkmcnt(1)
	v_mul_f32_e32 v114, v111, v160
	s_waitcnt vmcnt(1)
	v_fma_f32 v5, v124, v136, -v5
	v_add_f32_e32 v2, v2, v8
	v_mul_f32_e32 v142, v110, v160
	v_fmac_f32_e32 v3, v125, v136
	v_add_f32_e32 v4, v4, v143
	v_mul_f32_e32 v8, v113, v128
	v_fma_f32 v110, v110, v135, -v114
	v_add_f32_e32 v2, v2, v5
	v_mul_f32_e32 v145, v112, v128
	v_fmac_f32_e32 v142, v111, v135
	v_add_f32_e32 v3, v4, v3
	s_waitcnt lgkmcnt(0)
	v_mul_f32_e32 v4, v7, v161
	v_fma_f32 v5, v112, v133, -v8
	v_add_f32_e32 v2, v2, v110
	v_mul_f32_e32 v146, v6, v161
	v_fmac_f32_e32 v145, v113, v133
	v_add_f32_e32 v3, v3, v142
	v_fma_f32 v4, v6, v132, -v4
	v_add_f32_e32 v2, v2, v5
	v_fmac_f32_e32 v146, v7, v132
	v_add_f32_e32 v3, v3, v145
	v_add_f32_e32 v2, v2, v4
	;; [unrolled: 1-line block ×3, first 2 shown]
	s_waitcnt vmcnt(0)
	v_sub_f32_e32 v2, v134, v2
	v_sub_f32_e32 v3, v158, v3
	buffer_store_dword v2, off, s[0:3], 0 offset:16
	buffer_store_dword v3, off, s[0:3], 0 offset:20
	v_cmpx_lt_u32_e32 1, v0
	s_cbranch_execz .LBB113_311
; %bb.310:
	s_clause 0x1
	buffer_load_dword v2, off, s[0:3], 0 offset:8
	buffer_load_dword v3, off, s[0:3], 0 offset:12
	buffer_store_dword v1, off, s[0:3], 0 offset:8
	buffer_store_dword v1, off, s[0:3], 0 offset:12
	s_waitcnt vmcnt(0)
	ds_write_b64 v109, v[2:3]
.LBB113_311:
	s_or_b32 exec_lo, exec_lo, s4
	s_waitcnt lgkmcnt(0)
	s_waitcnt_vscnt null, 0x0
	s_barrier
	buffer_gl0_inv
	s_clause 0x2c
	buffer_load_dword v140, off, s[0:3], 0 offset:20
	buffer_load_dword v141, off, s[0:3], 0 offset:28
	;; [unrolled: 1-line block ×45, first 2 shown]
	ds_read_b128 v[149:152], v1 offset:416
	ds_read_b128 v[153:156], v1 offset:432
	s_mov_b32 s4, exec_lo
	s_waitcnt vmcnt(44) lgkmcnt(1)
	v_mul_f32_e32 v142, v149, v140
	v_mul_f32_e32 v157, v150, v140
	s_waitcnt vmcnt(43)
	v_mul_f32_e32 v140, v151, v141
	v_mul_f32_e32 v158, v152, v141
	buffer_load_dword v141, off, s[0:3], 0 offset:12
	s_waitcnt vmcnt(41)
	v_fmac_f32_e32 v142, v150, v111
	v_fma_f32 v157, v149, v111, -v157
	v_fmac_f32_e32 v140, v152, v7
	v_fma_f32 v158, v151, v7, -v158
	ds_read_b128 v[149:152], v1 offset:448
	s_waitcnt vmcnt(40) lgkmcnt(1)
	v_mul_f32_e32 v159, v153, v4
	s_waitcnt vmcnt(39)
	v_mul_f32_e32 v160, v155, v5
	v_mul_f32_e32 v4, v154, v4
	;; [unrolled: 1-line block ×3, first 2 shown]
	v_fmac_f32_e32 v159, v154, v2
	s_waitcnt vmcnt(35)
	v_fmac_f32_e32 v160, v156, v114
	v_fma_f32 v161, v153, v2, -v4
	v_fma_f32 v114, v155, v114, -v5
	ds_read_b128 v[153:156], v1 offset:464
	s_waitcnt vmcnt(34) lgkmcnt(1)
	v_mul_f32_e32 v162, v149, v113
	s_waitcnt vmcnt(33)
	v_mul_f32_e32 v163, v151, v112
	v_mul_f32_e32 v4, v152, v112
	v_mul_f32_e32 v2, v150, v113
	v_fmac_f32_e32 v162, v150, v110
	v_fmac_f32_e32 v163, v152, v6
	v_fma_f32 v150, v151, v6, -v4
	ds_read_b128 v[4:7], v1 offset:480
	v_fma_f32 v149, v149, v110, -v2
	s_waitcnt vmcnt(32) lgkmcnt(1)
	v_mul_f32_e32 v151, v153, v8
	v_mul_f32_e32 v2, v154, v8
	s_waitcnt vmcnt(31)
	v_mul_f32_e32 v8, v155, v115
	v_mul_f32_e32 v110, v156, v115
	v_fmac_f32_e32 v151, v154, v3
	v_fma_f32 v115, v153, v3, -v2
	s_waitcnt vmcnt(27)
	v_fmac_f32_e32 v8, v156, v123
	v_fma_f32 v123, v155, v123, -v110
	ds_read_b128 v[110:113], v1 offset:496
	buffer_load_dword v153, off, s[0:3], 0 offset:204
	s_waitcnt vmcnt(27) lgkmcnt(1)
	v_mul_f32_e32 v152, v4, v121
	v_mul_f32_e32 v2, v5, v121
	s_waitcnt vmcnt(26)
	v_mul_f32_e32 v3, v7, v120
	v_mul_f32_e32 v121, v6, v120
	v_fmac_f32_e32 v152, v5, v119
	v_fma_f32 v119, v4, v119, -v2
	v_fma_f32 v6, v6, v117, -v3
	ds_read_b128 v[2:5], v1 offset:512
	v_fmac_f32_e32 v121, v7, v117
	s_waitcnt vmcnt(25) lgkmcnt(1)
	v_mul_f32_e32 v7, v110, v118
	v_mul_f32_e32 v117, v111, v118
	s_waitcnt vmcnt(24)
	v_mul_f32_e32 v118, v112, v122
	v_mul_f32_e32 v120, v113, v122
	v_fmac_f32_e32 v7, v111, v116
	v_fma_f32 v116, v110, v116, -v117
	s_waitcnt vmcnt(20)
	v_fmac_f32_e32 v118, v113, v131
	v_fma_f32 v117, v112, v131, -v120
	ds_read_b128 v[110:113], v1 offset:528
	s_waitcnt vmcnt(19) lgkmcnt(1)
	v_mul_f32_e32 v120, v2, v129
	v_mul_f32_e32 v122, v3, v129
	s_waitcnt vmcnt(18)
	v_mul_f32_e32 v129, v4, v128
	v_mul_f32_e32 v128, v5, v128
	v_fmac_f32_e32 v120, v3, v127
	v_fma_f32 v122, v2, v127, -v122
	v_fmac_f32_e32 v129, v5, v125
	v_fma_f32 v125, v4, v125, -v128
	ds_read_b128 v[2:5], v1 offset:544
	s_waitcnt vmcnt(17) lgkmcnt(1)
	v_mul_f32_e32 v127, v110, v126
	v_mul_f32_e32 v126, v111, v126
	s_waitcnt vmcnt(16)
	v_mul_f32_e32 v128, v112, v130
	v_mul_f32_e32 v130, v113, v130
	v_fmac_f32_e32 v127, v111, v124
	v_fma_f32 v124, v110, v124, -v126
	s_waitcnt vmcnt(12)
	v_fmac_f32_e32 v128, v113, v139
	v_fma_f32 v126, v112, v139, -v130
	ds_read_b128 v[110:113], v1 offset:560
	buffer_load_dword v139, off, s[0:3], 0 offset:196
	s_waitcnt vmcnt(12) lgkmcnt(1)
	v_mul_f32_e32 v130, v2, v137
	v_mul_f32_e32 v131, v3, v137
	s_waitcnt vmcnt(11)
	v_mul_f32_e32 v137, v4, v136
	v_mul_f32_e32 v136, v5, v136
	v_fmac_f32_e32 v130, v3, v135
	v_fma_f32 v131, v2, v135, -v131
	v_fmac_f32_e32 v137, v5, v133
	v_fma_f32 v133, v4, v133, -v136
	ds_read_b128 v[2:5], v1 offset:576
	s_waitcnt vmcnt(10) lgkmcnt(1)
	v_mul_f32_e32 v135, v110, v134
	v_mul_f32_e32 v134, v111, v134
	s_waitcnt vmcnt(9)
	v_mul_f32_e32 v136, v112, v138
	v_mul_f32_e32 v138, v113, v138
	v_fmac_f32_e32 v135, v111, v132
	v_fma_f32 v132, v110, v132, -v134
	s_waitcnt vmcnt(5)
	v_fmac_f32_e32 v136, v113, v148
	v_fma_f32 v134, v112, v148, -v138
	ds_read_b128 v[110:113], v1 offset:592
	s_waitcnt vmcnt(4) lgkmcnt(1)
	v_mul_f32_e32 v138, v2, v147
	v_mul_f32_e32 v147, v3, v147
	s_waitcnt vmcnt(3)
	v_mul_f32_e32 v148, v4, v146
	v_mul_f32_e32 v146, v5, v146
	v_fmac_f32_e32 v138, v3, v145
	v_fma_f32 v145, v2, v145, -v147
	v_fmac_f32_e32 v148, v5, v144
	v_fma_f32 v144, v4, v144, -v146
	s_clause 0x4
	buffer_load_dword v146, off, s[0:3], 0 offset:224
	buffer_load_dword v147, off, s[0:3], 0 offset:216
	;; [unrolled: 1-line block ×5, first 2 shown]
	s_waitcnt vmcnt(5) lgkmcnt(0)
	v_mul_f32_e32 v156, v110, v139
	v_mul_f32_e32 v3, v111, v139
	v_fmac_f32_e32 v156, v111, v143
	v_fma_f32 v139, v110, v143, -v3
	v_mul_f32_e32 v143, v112, v153
	v_mul_f32_e32 v3, v113, v153
	s_waitcnt vmcnt(1)
	v_fmac_f32_e32 v143, v113, v2
	v_fma_f32 v153, v112, v2, -v3
	ds_read_b128 v[2:5], v1 offset:608
	ds_read_b128 v[110:113], v1 offset:624
	s_waitcnt vmcnt(0) lgkmcnt(1)
	v_mul_f32_e32 v164, v2, v155
	v_mul_f32_e32 v155, v3, v155
	v_fmac_f32_e32 v164, v3, v154
	v_fma_f32 v154, v2, v154, -v155
	buffer_load_dword v2, off, s[0:3], 0 offset:220
	s_waitcnt vmcnt(0)
	v_mul_f32_e32 v155, v4, v2
	v_mul_f32_e32 v2, v5, v2
	v_fmac_f32_e32 v155, v5, v147
	v_fma_f32 v147, v4, v147, -v2
	buffer_load_dword v2, off, s[0:3], 0 offset:228
	s_waitcnt vmcnt(0) lgkmcnt(0)
	v_mul_f32_e32 v165, v110, v2
	v_mul_f32_e32 v2, v111, v2
	v_fmac_f32_e32 v165, v111, v146
	v_fma_f32 v146, v110, v146, -v2
	s_clause 0x5
	buffer_load_dword v2, off, s[0:3], 0 offset:236
	buffer_load_dword v166, off, s[0:3], 0 offset:256
	buffer_load_dword v167, off, s[0:3], 0 offset:248
	buffer_load_dword v168, off, s[0:3], 0 offset:240
	buffer_load_dword v3, off, s[0:3], 0 offset:232
	buffer_load_dword v171, off, s[0:3], 0 offset:244
	s_waitcnt vmcnt(5)
	v_mul_f32_e32 v169, v112, v2
	v_mul_f32_e32 v2, v113, v2
	s_waitcnt vmcnt(1)
	v_fmac_f32_e32 v169, v113, v3
	v_fma_f32 v170, v112, v3, -v2
	ds_read_b128 v[2:5], v1 offset:640
	ds_read_b128 v[110:113], v1 offset:656
	s_waitcnt vmcnt(0) lgkmcnt(1)
	v_mul_f32_e32 v172, v2, v171
	v_mul_f32_e32 v171, v3, v171
	v_fmac_f32_e32 v172, v3, v168
	v_fma_f32 v168, v2, v168, -v171
	buffer_load_dword v2, off, s[0:3], 0 offset:252
	v_add_f32_e32 v3, 0, v157
	v_add_f32_e32 v3, v3, v158
	;; [unrolled: 1-line block ×22, first 2 shown]
	s_waitcnt vmcnt(0)
	v_mul_f32_e32 v171, v4, v2
	v_mul_f32_e32 v2, v5, v2
	v_fmac_f32_e32 v171, v5, v167
	v_fma_f32 v167, v4, v167, -v2
	s_clause 0x1
	buffer_load_dword v4, off, s[0:3], 0 offset:260
	buffer_load_dword v5, off, s[0:3], 0 offset:268
	v_add_f32_e32 v2, 0, v142
	v_add_f32_e32 v2, v2, v140
	;; [unrolled: 1-line block ×8, first 2 shown]
	s_clause 0x6
	buffer_load_dword v8, off, s[0:3], 0 offset:288
	buffer_load_dword v114, off, s[0:3], 0 offset:280
	;; [unrolled: 1-line block ×7, first 2 shown]
	v_add_f32_e32 v2, v2, v152
	v_add_f32_e32 v2, v2, v121
	;; [unrolled: 1-line block ×3, first 2 shown]
	buffer_load_dword v7, off, s[0:3], 0 offset:300
	v_add_f32_e32 v2, v2, v118
	s_clause 0x7
	buffer_load_dword v149, off, s[0:3], 0 offset:320
	buffer_load_dword v150, off, s[0:3], 0 offset:312
	buffer_load_dword v151, off, s[0:3], 0 offset:304
	buffer_load_dword v118, off, s[0:3], 0 offset:296
	buffer_load_dword v152, off, s[0:3], 0 offset:308
	buffer_load_dword v157, off, s[0:3], 0 offset:316
	buffer_load_dword v158, off, s[0:3], 0 offset:324
	buffer_load_dword v159, off, s[0:3], 0 offset:332
	v_add_f32_e32 v2, v2, v120
	s_clause 0x2
	buffer_load_dword v160, off, s[0:3], 0 offset:340
	buffer_load_dword v161, off, s[0:3], 0 offset:348
	;; [unrolled: 1-line block ×3, first 2 shown]
	v_add_f32_e32 v2, v2, v129
	v_add_f32_e32 v2, v2, v127
	;; [unrolled: 1-line block ×9, first 2 shown]
	s_waitcnt vmcnt(20) lgkmcnt(0)
	v_mul_f32_e32 v121, v110, v4
	v_mul_f32_e32 v4, v111, v4
	s_waitcnt vmcnt(19)
	v_mul_f32_e32 v122, v112, v5
	v_fmac_f32_e32 v121, v111, v166
	v_fma_f32 v142, v110, v166, -v4
	s_clause 0xe
	buffer_load_dword v163, off, s[0:3], 0 offset:364
	buffer_load_dword v166, off, s[0:3], 0 offset:372
	;; [unrolled: 1-line block ×15, first 2 shown]
	v_mul_f32_e32 v4, v113, v5
	v_add_f32_e32 v110, v2, v156
	v_add_f32_e32 v111, v3, v139
	;; [unrolled: 1-line block ×8, first 2 shown]
	s_waitcnt vmcnt(30)
	v_fma_f32 v129, v112, v123, -v4
	ds_read_b128 v[2:5], v1 offset:672
	v_fmac_f32_e32 v122, v113, v123
	ds_read_b128 v[110:113], v1 offset:688
	s_waitcnt vmcnt(29) lgkmcnt(1)
	v_mul_f32_e32 v126, v2, v140
	v_mul_f32_e32 v120, v3, v140
	s_waitcnt vmcnt(28)
	v_mul_f32_e32 v139, v4, v119
	v_mul_f32_e32 v119, v5, v119
	s_waitcnt vmcnt(27) lgkmcnt(0)
	v_mul_f32_e32 v144, v110, v6
	v_fmac_f32_e32 v126, v3, v115
	v_fma_f32 v140, v2, v115, -v120
	v_add_f32_e32 v115, v116, v165
	v_fma_f32 v143, v4, v114, -v119
	v_add_f32_e32 v119, v117, v146
	v_fmac_f32_e32 v139, v5, v114
	ds_read_b128 v[2:5], v1 offset:704
	v_add_f32_e32 v120, v115, v169
	v_mul_f32_e32 v6, v111, v6
	v_add_f32_e32 v119, v119, v170
	v_fmac_f32_e32 v144, v111, v8
	ds_read_b128 v[114:117], v1 offset:720
	v_add_f32_e32 v120, v120, v172
	v_fma_f32 v6, v110, v8, -v6
	v_add_f32_e32 v119, v119, v168
	s_waitcnt vmcnt(26)
	v_mul_f32_e32 v146, v112, v7
	v_mul_f32_e32 v7, v113, v7
	v_add_f32_e32 v111, v120, v171
	v_add_f32_e32 v8, v119, v167
	s_waitcnt vmcnt(22)
	v_fmac_f32_e32 v146, v113, v118
	v_fma_f32 v7, v112, v118, -v7
	v_add_f32_e32 v123, v111, v121
	ds_read_b128 v[110:113], v1 offset:736
	ds_read_b128 v[118:121], v1 offset:752
	v_add_f32_e32 v8, v8, v142
	s_waitcnt vmcnt(21) lgkmcnt(3)
	v_mul_f32_e32 v142, v2, v152
	v_mul_f32_e32 v127, v3, v152
	v_add_f32_e32 v128, v123, v122
	v_add_f32_e32 v8, v8, v129
	ds_read_b128 v[122:125], v1 offset:768
	v_fmac_f32_e32 v142, v3, v151
	v_fma_f32 v2, v2, v151, -v127
	v_add_f32_e32 v3, v128, v126
	ds_read_b128 v[126:129], v1 offset:784
	v_add_f32_e32 v1, v8, v140
	s_waitcnt vmcnt(20)
	v_mul_f32_e32 v140, v5, v157
	v_mul_f32_e32 v8, v4, v157
	v_add_f32_e32 v3, v3, v139
	s_waitcnt vmcnt(19) lgkmcnt(4)
	v_mul_f32_e32 v147, v115, v158
	v_add_f32_e32 v1, v1, v143
	v_fma_f32 v4, v4, v150, -v140
	v_mul_f32_e32 v139, v114, v158
	v_add_f32_e32 v3, v3, v144
	v_fmac_f32_e32 v8, v5, v150
	v_add_f32_e32 v1, v1, v6
	v_fma_f32 v114, v114, v149, -v147
	s_waitcnt vmcnt(18)
	v_mul_f32_e32 v143, v116, v159
	v_add_f32_e32 v3, v3, v146
	v_fmac_f32_e32 v139, v115, v149
	v_add_f32_e32 v1, v1, v7
	v_mul_f32_e32 v7, v117, v159
	s_waitcnt vmcnt(17) lgkmcnt(3)
	v_mul_f32_e32 v5, v110, v160
	s_waitcnt vmcnt(16)
	v_mul_f32_e32 v140, v112, v161
	s_waitcnt vmcnt(15) lgkmcnt(2)
	v_mul_f32_e32 v6, v118, v162
	v_add_f32_e32 v1, v1, v2
	v_add_f32_e32 v2, v3, v142
	;; [unrolled: 1-line block ×4, first 2 shown]
	v_mul_f32_e32 v4, v111, v160
	v_mul_f32_e32 v8, v113, v161
	v_add_f32_e32 v1, v1, v114
	v_add_f32_e32 v2, v2, v139
	s_waitcnt vmcnt(14)
	v_mul_f32_e32 v144, v120, v163
	s_waitcnt vmcnt(13) lgkmcnt(1)
	v_mul_f32_e32 v148, v122, v166
	s_waitcnt vmcnt(9)
	v_fmac_f32_e32 v6, v119, v131
	s_waitcnt vmcnt(8)
	v_fma_f32 v8, v112, v133, -v8
	s_waitcnt vmcnt(7)
	v_fma_f32 v4, v110, v137, -v4
	;; [unrolled: 2-line block ×3, first 2 shown]
	v_fmac_f32_e32 v143, v117, v175
	v_fmac_f32_e32 v5, v111, v137
	;; [unrolled: 1-line block ×3, first 2 shown]
	s_waitcnt vmcnt(2)
	v_fmac_f32_e32 v144, v121, v136
	v_add_f32_e32 v1, v1, v7
	v_add_f32_e32 v2, v2, v143
	v_mul_f32_e32 v7, v119, v162
	v_mul_f32_e32 v146, v124, v173
	v_fmac_f32_e32 v148, v123, v135
	v_add_f32_e32 v1, v1, v4
	v_add_f32_e32 v2, v2, v5
	v_mul_f32_e32 v4, v121, v163
	v_fma_f32 v5, v118, v131, -v7
	v_mul_f32_e32 v7, v123, v166
	v_add_f32_e32 v1, v1, v8
	v_add_f32_e32 v2, v2, v140
	v_fma_f32 v4, v120, v136, -v4
	s_waitcnt lgkmcnt(0)
	v_mul_f32_e32 v150, v126, v174
	v_fmac_f32_e32 v146, v125, v134
	v_add_f32_e32 v1, v1, v5
	v_add_f32_e32 v2, v2, v6
	v_mul_f32_e32 v5, v125, v173
	v_fma_f32 v6, v122, v135, -v7
	v_mul_f32_e32 v3, v128, v130
	v_add_f32_e32 v1, v1, v4
	v_add_f32_e32 v2, v2, v144
	v_mul_f32_e32 v4, v127, v174
	v_fma_f32 v5, v124, v134, -v5
	v_fmac_f32_e32 v150, v127, v132
	v_add_f32_e32 v1, v1, v6
	v_add_f32_e32 v2, v2, v148
	v_mul_f32_e32 v6, v129, v130
	v_fma_f32 v4, v126, v132, -v4
	s_waitcnt vmcnt(1)
	v_fmac_f32_e32 v3, v129, v138
	v_add_f32_e32 v1, v1, v5
	v_add_f32_e32 v2, v2, v146
	v_fma_f32 v5, v128, v138, -v6
	v_add_f32_e32 v1, v1, v4
	v_add_f32_e32 v2, v2, v150
	v_add_f32_e32 v1, v1, v5
	v_add_f32_e32 v2, v2, v3
	s_waitcnt vmcnt(0)
	v_sub_f32_e32 v1, v145, v1
	v_sub_f32_e32 v2, v141, v2
	buffer_store_dword v1, off, s[0:3], 0 offset:8
	buffer_store_dword v2, off, s[0:3], 0 offset:12
	v_cmpx_ne_u32_e32 0, v0
	s_cbranch_execz .LBB113_313
; %bb.312:
	s_clause 0x1
	buffer_load_dword v0, off, s[0:3], 0
	buffer_load_dword v1, off, s[0:3], 0 offset:4
	v_mov_b32_e32 v2, 0
	buffer_store_dword v2, off, s[0:3], 0
	buffer_store_dword v2, off, s[0:3], 0 offset:4
	s_waitcnt vmcnt(0)
	ds_write_b64 v109, v[0:1]
.LBB113_313:
	s_or_b32 exec_lo, exec_lo, s4
	s_waitcnt lgkmcnt(0)
	s_waitcnt_vscnt null, 0x0
	s_barrier
	buffer_gl0_inv
	s_clause 0x2c
	buffer_load_dword v139, off, s[0:3], 0 offset:12
	buffer_load_dword v0, off, s[0:3], 0 offset:24
	;; [unrolled: 1-line block ×45, first 2 shown]
	v_mov_b32_e32 v138, 0
	ds_read2_b64 v[147:150], v138 offset0:51 offset1:52
	ds_read2_b64 v[151:154], v138 offset0:53 offset1:54
	;; [unrolled: 1-line block ×3, first 2 shown]
	s_and_b32 vcc_lo, exec_lo, s16
	s_waitcnt vmcnt(44) lgkmcnt(2)
	v_mul_f32_e32 v140, v147, v139
	v_mul_f32_e32 v159, v148, v139
	buffer_load_dword v139, off, s[0:3], 0 offset:4
	s_waitcnt vmcnt(42)
	v_fmac_f32_e32 v140, v148, v8
	v_fma_f32 v8, v147, v8, -v159
	s_waitcnt vmcnt(41)
	v_mul_f32_e32 v159, v149, v7
	v_mul_f32_e32 v7, v150, v7
	s_waitcnt vmcnt(40) lgkmcnt(1)
	v_mul_f32_e32 v161, v151, v5
	s_waitcnt vmcnt(39)
	v_mul_f32_e32 v163, v153, v2
	v_fmac_f32_e32 v159, v150, v3
	v_fma_f32 v160, v149, v3, -v7
	v_mul_f32_e32 v3, v152, v5
	ds_read2_b64 v[147:150], v138 offset0:57 offset1:58
	v_fmac_f32_e32 v161, v152, v0
	s_waitcnt vmcnt(35)
	v_fmac_f32_e32 v163, v154, v112
	s_waitcnt vmcnt(34) lgkmcnt(1)
	v_mul_f32_e32 v165, v155, v111
	v_fma_f32 v162, v151, v0, -v3
	v_mul_f32_e32 v0, v154, v2
	v_fmac_f32_e32 v165, v156, v109
	v_fma_f32 v164, v153, v112, -v0
	v_mul_f32_e32 v0, v156, v111
	ds_read2_b64 v[151:154], v138 offset0:59 offset1:60
	s_waitcnt vmcnt(33)
	v_mul_f32_e32 v156, v157, v110
	v_fma_f32 v155, v155, v109, -v0
	v_mul_f32_e32 v0, v158, v110
	v_fmac_f32_e32 v156, v158, v4
	ds_read2_b64 v[109:112], v138 offset0:63 offset1:64
	s_waitcnt vmcnt(32) lgkmcnt(2)
	v_mul_f32_e32 v158, v147, v6
	v_fma_f32 v157, v157, v4, -v0
	v_mul_f32_e32 v0, v148, v6
	ds_read2_b64 v[2:5], v138 offset0:61 offset1:62
	v_fmac_f32_e32 v158, v148, v1
	s_waitcnt vmcnt(31)
	v_mul_f32_e32 v148, v149, v113
	v_fma_f32 v147, v147, v1, -v0
	v_mul_f32_e32 v0, v150, v113
	s_waitcnt vmcnt(27)
	v_fmac_f32_e32 v148, v150, v121
	v_fma_f32 v113, v149, v121, -v0
	s_waitcnt vmcnt(26) lgkmcnt(2)
	v_mul_f32_e32 v0, v152, v120
	v_mul_f32_e32 v121, v151, v120
	s_waitcnt vmcnt(25)
	v_mul_f32_e32 v149, v153, v118
	v_fma_f32 v120, v151, v117, -v0
	v_mul_f32_e32 v0, v154, v118
	v_fmac_f32_e32 v121, v152, v117
	v_fmac_f32_e32 v149, v154, v115
	s_waitcnt vmcnt(24) lgkmcnt(0)
	v_mul_f32_e32 v151, v2, v116
	s_waitcnt vmcnt(23)
	v_mul_f32_e32 v152, v4, v119
	v_fma_f32 v150, v153, v115, -v0
	v_mul_f32_e32 v0, v3, v116
	ds_read2_b64 v[115:118], v138 offset0:65 offset1:66
	v_fmac_f32_e32 v151, v3, v114
	s_waitcnt vmcnt(19)
	v_fmac_f32_e32 v152, v5, v129
	v_fma_f32 v114, v2, v114, -v0
	v_mul_f32_e32 v0, v5, v119
	v_fma_f32 v119, v4, v129, -v0
	s_waitcnt vmcnt(18)
	v_mul_f32_e32 v129, v109, v128
	v_mul_f32_e32 v4, v110, v128
	ds_read2_b64 v[0:3], v138 offset0:67 offset1:68
	s_waitcnt vmcnt(17)
	v_mul_f32_e32 v128, v111, v126
	v_fmac_f32_e32 v129, v110, v125
	v_fma_f32 v125, v109, v125, -v4
	v_mul_f32_e32 v4, v112, v126
	v_fmac_f32_e32 v128, v112, v123
	s_waitcnt vmcnt(16) lgkmcnt(1)
	v_mul_f32_e32 v109, v116, v124
	v_mul_f32_e32 v126, v115, v124
	v_fma_f32 v123, v111, v123, -v4
	ds_read2_b64 v[4:7], v138 offset0:69 offset1:70
	v_fma_f32 v115, v115, v122, -v109
	s_waitcnt vmcnt(15)
	v_mul_f32_e32 v109, v118, v127
	v_fmac_f32_e32 v126, v116, v122
	v_mul_f32_e32 v116, v117, v127
	s_waitcnt vmcnt(11)
	v_fma_f32 v117, v117, v136, -v109
	ds_read2_b64 v[109:112], v138 offset0:71 offset1:72
	s_waitcnt vmcnt(10) lgkmcnt(2)
	v_mul_f32_e32 v122, v1, v135
	v_fmac_f32_e32 v116, v118, v136
	v_mul_f32_e32 v118, v0, v135
	s_waitcnt vmcnt(9)
	v_mul_f32_e32 v124, v2, v134
	v_fma_f32 v122, v0, v133, -v122
	v_mul_f32_e32 v0, v3, v134
	v_fmac_f32_e32 v118, v1, v133
	v_fmac_f32_e32 v124, v3, v131
	buffer_load_dword v133, off, s[0:3], 0 offset:188
	s_waitcnt vmcnt(8) lgkmcnt(1)
	v_mul_f32_e32 v1, v7, v137
	v_fma_f32 v127, v2, v131, -v0
	v_mul_f32_e32 v131, v4, v132
	v_mul_f32_e32 v0, v5, v132
	;; [unrolled: 1-line block ×3, first 2 shown]
	s_waitcnt vmcnt(4)
	v_fma_f32 v134, v6, v146, -v1
	buffer_load_dword v6, off, s[0:3], 0 offset:196
	v_fmac_f32_e32 v131, v5, v130
	v_fma_f32 v130, v4, v130, -v0
	ds_read2_b64 v[0:3], v138 offset0:73 offset1:74
	s_waitcnt vmcnt(4) lgkmcnt(1)
	v_mul_f32_e32 v135, v109, v145
	v_mul_f32_e32 v4, v110, v145
	s_waitcnt vmcnt(3)
	v_mul_f32_e32 v136, v111, v144
	v_mul_f32_e32 v5, v112, v144
	v_fmac_f32_e32 v132, v7, v146
	v_fmac_f32_e32 v135, v110, v143
	v_fma_f32 v109, v109, v143, -v4
	v_fmac_f32_e32 v136, v112, v142
	v_fma_f32 v110, v111, v142, -v5
	s_clause 0x4
	buffer_load_dword v111, off, s[0:3], 0 offset:216
	buffer_load_dword v112, off, s[0:3], 0 offset:208
	;; [unrolled: 1-line block ×5, first 2 shown]
	s_waitcnt vmcnt(6) lgkmcnt(0)
	v_mul_f32_e32 v143, v0, v133
	v_mul_f32_e32 v5, v1, v133
	v_fmac_f32_e32 v143, v1, v141
	v_fma_f32 v141, v0, v141, -v5
	s_waitcnt vmcnt(5)
	v_mul_f32_e32 v133, v2, v6
	v_mul_f32_e32 v6, v3, v6
	s_waitcnt vmcnt(1)
	v_fmac_f32_e32 v133, v3, v4
	v_fma_f32 v144, v2, v4, -v6
	ds_read2_b64 v[0:3], v138 offset0:75 offset1:76
	ds_read2_b64 v[4:7], v138 offset0:77 offset1:78
	s_waitcnt vmcnt(0) lgkmcnt(1)
	v_mul_f32_e32 v145, v0, v142
	v_mul_f32_e32 v142, v1, v142
	v_fmac_f32_e32 v145, v1, v137
	v_fma_f32 v137, v0, v137, -v142
	buffer_load_dword v0, off, s[0:3], 0 offset:212
	v_add_f32_e32 v1, 0, v8
	buffer_load_dword v8, off, s[0:3], 0 offset:220
	v_add_f32_e32 v1, v1, v160
	v_add_f32_e32 v1, v1, v162
	;; [unrolled: 1-line block ×13, first 2 shown]
	s_waitcnt vmcnt(1)
	v_mul_f32_e32 v142, v2, v0
	v_mul_f32_e32 v0, v3, v0
	s_waitcnt vmcnt(0) lgkmcnt(0)
	v_mul_f32_e32 v120, v4, v8
	v_mul_f32_e32 v8, v5, v8
	v_fmac_f32_e32 v142, v3, v112
	v_fma_f32 v112, v2, v112, -v0
	v_add_f32_e32 v0, 0, v140
	buffer_load_dword v140, off, s[0:3], 0 offset:228
	v_fma_f32 v8, v4, v111, -v8
	v_fmac_f32_e32 v120, v5, v111
	v_add_f32_e32 v0, v0, v159
	s_clause 0x5
	buffer_load_dword v146, off, s[0:3], 0 offset:248
	buffer_load_dword v153, off, s[0:3], 0 offset:240
	;; [unrolled: 1-line block ×6, first 2 shown]
	v_add_f32_e32 v0, v0, v161
	buffer_load_dword v161, off, s[0:3], 0 offset:244
	v_add_f32_e32 v0, v0, v163
	v_add_f32_e32 v0, v0, v165
	;; [unrolled: 1-line block ×3, first 2 shown]
	buffer_load_dword v156, off, s[0:3], 0 offset:260
	v_add_f32_e32 v0, v0, v158
	v_add_f32_e32 v0, v0, v148
	s_clause 0x5
	buffer_load_dword v147, off, s[0:3], 0 offset:280
	buffer_load_dword v148, off, s[0:3], 0 offset:272
	;; [unrolled: 1-line block ×6, first 2 shown]
	v_add_f32_e32 v0, v0, v121
	buffer_load_dword v121, off, s[0:3], 0 offset:276
	v_add_f32_e32 v0, v0, v149
	v_add_f32_e32 v149, v0, v151
	ds_read2_b64 v[0:3], v138 offset0:79 offset1:80
	v_add_f32_e32 v149, v149, v152
	v_add_f32_e32 v4, v149, v129
	;; [unrolled: 1-line block ×3, first 2 shown]
	s_waitcnt vmcnt(15)
	v_mul_f32_e32 v150, v6, v140
	v_mul_f32_e32 v140, v7, v140
	s_waitcnt vmcnt(11)
	v_fmac_f32_e32 v150, v7, v159
	s_waitcnt vmcnt(10) lgkmcnt(0)
	v_mul_f32_e32 v152, v1, v160
	v_fma_f32 v111, v6, v159, -v140
	s_clause 0x4
	buffer_load_dword v125, off, s[0:3], 0 offset:292
	buffer_load_dword v129, off, s[0:3], 0 offset:312
	;; [unrolled: 1-line block ×5, first 2 shown]
	ds_read2_b64 v[4:7], v138 offset0:81 offset1:82
	v_mul_f32_e32 v123, v0, v160
	v_fma_f32 v152, v0, v154, -v152
	v_add_f32_e32 v0, v128, v126
	s_clause 0x2
	buffer_load_dword v126, off, s[0:3], 0 offset:300
	buffer_load_dword v128, off, s[0:3], 0 offset:308
	;; [unrolled: 1-line block ×3, first 2 shown]
	v_fmac_f32_e32 v123, v1, v154
	v_add_f32_e32 v1, v114, v115
	v_add_f32_e32 v0, v0, v116
	s_waitcnt vmcnt(16)
	v_mul_f32_e32 v154, v2, v161
	v_mul_f32_e32 v114, v3, v161
	v_add_f32_e32 v1, v1, v117
	v_add_f32_e32 v115, v0, v118
	v_fmac_f32_e32 v154, v3, v153
	v_fma_f32 v114, v2, v153, -v114
	s_clause 0x3
	buffer_load_dword v153, off, s[0:3], 0 offset:324
	buffer_load_dword v160, off, s[0:3], 0 offset:332
	;; [unrolled: 1-line block ×4, first 2 shown]
	v_add_f32_e32 v116, v1, v122
	v_add_f32_e32 v115, v115, v124
	ds_read2_b64 v[0:3], v138 offset0:83 offset1:84
	s_waitcnt lgkmcnt(1)
	v_mul_f32_e32 v118, v5, v155
	v_mul_f32_e32 v117, v4, v155
	v_add_f32_e32 v116, v116, v127
	v_add_f32_e32 v115, v115, v131
	s_waitcnt vmcnt(19)
	v_mul_f32_e32 v122, v6, v156
	v_fma_f32 v118, v4, v146, -v118
	v_mul_f32_e32 v124, v7, v156
	v_add_f32_e32 v4, v116, v130
	v_fmac_f32_e32 v117, v5, v146
	v_add_f32_e32 v5, v115, v132
	s_clause 0x3
	buffer_load_dword v127, off, s[0:3], 0 offset:356
	buffer_load_dword v130, off, s[0:3], 0 offset:364
	;; [unrolled: 1-line block ×4, first 2 shown]
	s_waitcnt vmcnt(19)
	v_fmac_f32_e32 v122, v7, v158
	v_add_f32_e32 v4, v4, v134
	v_fma_f32 v124, v6, v158, -v124
	buffer_load_dword v146, off, s[0:3], 0 offset:388
	v_add_f32_e32 v5, v5, v135
	s_clause 0x4
	buffer_load_dword v134, off, s[0:3], 0 offset:344
	buffer_load_dword v135, off, s[0:3], 0 offset:336
	buffer_load_dword v155, off, s[0:3], 0 offset:328
	buffer_load_dword v156, off, s[0:3], 0 offset:320
	buffer_load_dword v158, off, s[0:3], 0 offset:396
	v_add_f32_e32 v4, v4, v109
	s_waitcnt vmcnt(22) lgkmcnt(0)
	v_mul_f32_e32 v163, v2, v121
	v_add_f32_e32 v109, v5, v136
	v_mul_f32_e32 v136, v0, v113
	v_add_f32_e32 v110, v4, v110
	v_mul_f32_e32 v113, v1, v113
	ds_read2_b64 v[4:7], v138 offset0:85 offset1:86
	v_add_f32_e32 v109, v109, v143
	v_fmac_f32_e32 v136, v1, v157
	v_add_f32_e32 v110, v110, v141
	v_fma_f32 v141, v0, v157, -v113
	v_fmac_f32_e32 v163, v3, v148
	v_add_f32_e32 v0, v109, v133
	v_add_f32_e32 v1, v110, v144
	s_clause 0x3
	buffer_load_dword v133, off, s[0:3], 0 offset:376
	buffer_load_dword v143, off, s[0:3], 0 offset:368
	;; [unrolled: 1-line block ×4, first 2 shown]
	v_add_f32_e32 v0, v0, v145
	v_add_f32_e32 v1, v1, v137
	s_clause 0x1
	buffer_load_dword v137, off, s[0:3], 0 offset:392
	buffer_load_dword v145, off, s[0:3], 0 offset:384
	v_add_f32_e32 v109, v0, v142
	buffer_load_dword v142, off, s[0:3], 0
	v_add_f32_e32 v0, v1, v112
	v_mul_f32_e32 v1, v3, v121
	s_waitcnt lgkmcnt(0)
	v_mul_f32_e32 v164, v4, v119
	v_add_f32_e32 v109, v109, v120
	v_mul_f32_e32 v113, v5, v119
	v_add_f32_e32 v8, v0, v8
	v_fma_f32 v148, v2, v148, -v1
	ds_read2_b64 v[0:3], v138 offset0:87 offset1:88
	v_add_f32_e32 v115, v109, v150
	v_fmac_f32_e32 v164, v5, v147
	v_add_f32_e32 v8, v8, v111
	ds_read2_b64 v[109:112], v138 offset0:89 offset1:90
	v_add_f32_e32 v119, v115, v123
	v_add_f32_e32 v8, v8, v152
	;; [unrolled: 1-line block ×6, first 2 shown]
	s_waitcnt vmcnt(28)
	v_mul_f32_e32 v165, v6, v125
	v_mul_f32_e32 v116, v7, v125
	v_fma_f32 v125, v4, v147, -v113
	s_waitcnt vmcnt(24)
	v_fmac_f32_e32 v165, v7, v151
	v_fma_f32 v123, v6, v151, -v116
	ds_read2_b64 v[4:7], v138 offset0:91 offset1:92
	ds_read2_b64 v[113:116], v138 offset0:93 offset1:94
	s_waitcnt vmcnt(23) lgkmcnt(3)
	v_mul_f32_e32 v147, v0, v126
	v_mul_f32_e32 v118, v1, v126
	s_waitcnt vmcnt(22)
	v_mul_f32_e32 v150, v2, v128
	v_mul_f32_e32 v121, v3, v128
	v_fmac_f32_e32 v147, v1, v149
	v_add_f32_e32 v1, v8, v124
	v_fma_f32 v8, v0, v149, -v118
	v_add_f32_e32 v0, v117, v122
	v_fma_f32 v126, v2, v140, -v121
	v_fmac_f32_e32 v150, v3, v140
	v_add_f32_e32 v124, v1, v141
	s_waitcnt vmcnt(21) lgkmcnt(2)
	v_mul_f32_e32 v141, v110, v159
	v_add_f32_e32 v128, v0, v136
	v_mul_f32_e32 v136, v109, v159
	s_waitcnt vmcnt(20)
	v_mul_f32_e32 v140, v111, v153
	v_add_f32_e32 v124, v124, v148
	v_fma_f32 v109, v109, v129, -v141
	v_add_f32_e32 v128, v128, v163
	v_fmac_f32_e32 v136, v110, v129
	ds_read2_b64 v[117:120], v138 offset0:95 offset1:96
	v_add_f32_e32 v124, v124, v125
	v_mul_f32_e32 v125, v112, v153
	v_add_f32_e32 v128, v128, v164
	s_waitcnt vmcnt(19) lgkmcnt(2)
	v_mul_f32_e32 v148, v4, v160
	v_mul_f32_e32 v129, v5, v160
	v_add_f32_e32 v123, v124, v123
	s_waitcnt vmcnt(18)
	v_mul_f32_e32 v149, v6, v161
	v_add_f32_e32 v128, v128, v165
	ds_read2_b64 v[0:3], v138 offset0:97 offset1:98
	ds_read_b64 v[121:122], v138 offset:792
	s_waitcnt vmcnt(17) lgkmcnt(3)
	v_mul_f32_e32 v124, v113, v162
	v_add_f32_e32 v8, v123, v8
	s_waitcnt vmcnt(8)
	v_fma_f32 v111, v111, v156, -v125
	v_add_f32_e32 v128, v128, v147
	v_fmac_f32_e32 v140, v112, v156
	v_mul_f32_e32 v112, v7, v161
	v_add_f32_e32 v8, v8, v126
	v_fmac_f32_e32 v148, v5, v155
	v_add_f32_e32 v126, v128, v150
	v_fma_f32 v4, v4, v155, -v129
	v_fma_f32 v6, v6, v135, -v112
	v_add_f32_e32 v8, v8, v109
	v_fmac_f32_e32 v149, v7, v135
	v_add_f32_e32 v109, v126, v136
	v_mul_f32_e32 v7, v116, v127
	v_mul_f32_e32 v151, v115, v127
	v_add_f32_e32 v5, v8, v111
	v_fmac_f32_e32 v124, v114, v134
	v_add_f32_e32 v8, v109, v140
	v_mul_f32_e32 v109, v114, v162
	s_waitcnt vmcnt(3)
	v_fma_f32 v7, v115, v157, -v7
	v_add_f32_e32 v4, v5, v4
	s_waitcnt lgkmcnt(2)
	v_mul_f32_e32 v152, v117, v130
	v_add_f32_e32 v5, v8, v148
	v_fma_f32 v8, v113, v134, -v109
	v_fmac_f32_e32 v151, v116, v157
	v_add_f32_e32 v4, v4, v6
	v_mul_f32_e32 v6, v118, v130
	v_add_f32_e32 v5, v5, v149
	v_mul_f32_e32 v123, v119, v131
	v_fmac_f32_e32 v152, v118, v144
	v_add_f32_e32 v4, v4, v8
	v_mul_f32_e32 v8, v120, v131
	v_add_f32_e32 v5, v5, v124
	v_fma_f32 v6, v117, v144, -v6
	s_waitcnt lgkmcnt(1)
	v_mul_f32_e32 v147, v0, v132
	v_add_f32_e32 v4, v4, v7
	v_mul_f32_e32 v7, v1, v132
	v_add_f32_e32 v5, v5, v151
	v_fma_f32 v8, v119, v143, -v8
	v_fmac_f32_e32 v123, v120, v143
	v_add_f32_e32 v4, v4, v6
	v_mul_f32_e32 v6, v3, v146
	v_add_f32_e32 v5, v5, v152
	v_fmac_f32_e32 v147, v1, v133
	v_fma_f32 v0, v0, v133, -v7
	v_add_f32_e32 v1, v4, v8
	v_mul_f32_e32 v110, v2, v146
	v_add_f32_e32 v4, v5, v123
	s_waitcnt lgkmcnt(0)
	v_mul_f32_e32 v5, v122, v158
	s_waitcnt vmcnt(1)
	v_fma_f32 v2, v2, v145, -v6
	v_add_f32_e32 v0, v1, v0
	v_mul_f32_e32 v128, v121, v158
	v_fmac_f32_e32 v110, v3, v145
	v_add_f32_e32 v1, v4, v147
	v_fma_f32 v3, v121, v137, -v5
	v_add_f32_e32 v0, v0, v2
	v_fmac_f32_e32 v128, v122, v137
	v_add_f32_e32 v1, v1, v110
	v_add_f32_e32 v0, v0, v3
	;; [unrolled: 1-line block ×3, first 2 shown]
	s_waitcnt vmcnt(0)
	v_sub_f32_e32 v0, v142, v0
	v_sub_f32_e32 v1, v139, v1
	buffer_store_dword v0, off, s[0:3], 0
	buffer_store_dword v1, off, s[0:3], 0 offset:4
	s_cbranch_vccz .LBB113_412
; %bb.314:
	global_load_dword v0, v138, s[12:13] offset:192
	s_waitcnt vmcnt(0)
	v_add_nc_u32_e32 v0, -1, v0
	v_cmp_ne_u32_e32 vcc_lo, 48, v0
	s_cbranch_vccz .LBB113_316
; %bb.315:
	v_lshlrev_b32_e32 v0, 3, v0
	s_clause 0x3
	buffer_load_dword v1, v0, s[0:3], 0 offen
	buffer_load_dword v2, v0, s[0:3], 0 offen offset:4
	buffer_load_dword v3, off, s[0:3], 0 offset:388
	buffer_load_dword v4, off, s[0:3], 0 offset:384
	s_waitcnt vmcnt(3)
	buffer_store_dword v1, off, s[0:3], 0 offset:384
	s_waitcnt vmcnt(2)
	buffer_store_dword v2, off, s[0:3], 0 offset:388
	s_waitcnt vmcnt(1)
	buffer_store_dword v3, v0, s[0:3], 0 offen offset:4
	s_waitcnt vmcnt(0)
	buffer_store_dword v4, v0, s[0:3], 0 offen
.LBB113_316:
	v_mov_b32_e32 v0, 0
	global_load_dword v1, v0, s[12:13] offset:188
	s_waitcnt vmcnt(0)
	v_add_nc_u32_e32 v1, -1, v1
	v_cmp_eq_u32_e32 vcc_lo, 47, v1
	s_cbranch_vccnz .LBB113_318
; %bb.317:
	v_lshlrev_b32_e32 v1, 3, v1
	s_clause 0x3
	buffer_load_dword v2, v1, s[0:3], 0 offen
	buffer_load_dword v3, v1, s[0:3], 0 offen offset:4
	buffer_load_dword v4, off, s[0:3], 0 offset:376
	buffer_load_dword v5, off, s[0:3], 0 offset:380
	s_waitcnt vmcnt(3)
	buffer_store_dword v2, off, s[0:3], 0 offset:376
	s_waitcnt vmcnt(2)
	buffer_store_dword v3, off, s[0:3], 0 offset:380
	s_waitcnt vmcnt(1)
	buffer_store_dword v4, v1, s[0:3], 0 offen
	s_waitcnt vmcnt(0)
	buffer_store_dword v5, v1, s[0:3], 0 offen offset:4
.LBB113_318:
	global_load_dword v0, v0, s[12:13] offset:184
	s_waitcnt vmcnt(0)
	v_add_nc_u32_e32 v0, -1, v0
	v_cmp_eq_u32_e32 vcc_lo, 46, v0
	s_cbranch_vccnz .LBB113_320
; %bb.319:
	v_lshlrev_b32_e32 v0, 3, v0
	s_clause 0x3
	buffer_load_dword v1, v0, s[0:3], 0 offen
	buffer_load_dword v2, v0, s[0:3], 0 offen offset:4
	buffer_load_dword v3, off, s[0:3], 0 offset:372
	buffer_load_dword v4, off, s[0:3], 0 offset:368
	s_waitcnt vmcnt(3)
	buffer_store_dword v1, off, s[0:3], 0 offset:368
	s_waitcnt vmcnt(2)
	buffer_store_dword v2, off, s[0:3], 0 offset:372
	s_waitcnt vmcnt(1)
	buffer_store_dword v3, v0, s[0:3], 0 offen offset:4
	s_waitcnt vmcnt(0)
	buffer_store_dword v4, v0, s[0:3], 0 offen
.LBB113_320:
	v_mov_b32_e32 v0, 0
	global_load_dword v1, v0, s[12:13] offset:180
	s_waitcnt vmcnt(0)
	v_add_nc_u32_e32 v1, -1, v1
	v_cmp_eq_u32_e32 vcc_lo, 45, v1
	s_cbranch_vccnz .LBB113_322
; %bb.321:
	v_lshlrev_b32_e32 v1, 3, v1
	s_clause 0x3
	buffer_load_dword v2, v1, s[0:3], 0 offen
	buffer_load_dword v3, v1, s[0:3], 0 offen offset:4
	buffer_load_dword v4, off, s[0:3], 0 offset:360
	buffer_load_dword v5, off, s[0:3], 0 offset:364
	s_waitcnt vmcnt(3)
	buffer_store_dword v2, off, s[0:3], 0 offset:360
	s_waitcnt vmcnt(2)
	buffer_store_dword v3, off, s[0:3], 0 offset:364
	s_waitcnt vmcnt(1)
	buffer_store_dword v4, v1, s[0:3], 0 offen
	s_waitcnt vmcnt(0)
	buffer_store_dword v5, v1, s[0:3], 0 offen offset:4
.LBB113_322:
	global_load_dword v0, v0, s[12:13] offset:176
	s_waitcnt vmcnt(0)
	v_add_nc_u32_e32 v0, -1, v0
	v_cmp_eq_u32_e32 vcc_lo, 44, v0
	s_cbranch_vccnz .LBB113_324
; %bb.323:
	v_lshlrev_b32_e32 v0, 3, v0
	s_clause 0x3
	buffer_load_dword v1, v0, s[0:3], 0 offen
	buffer_load_dword v2, v0, s[0:3], 0 offen offset:4
	buffer_load_dword v3, off, s[0:3], 0 offset:356
	buffer_load_dword v4, off, s[0:3], 0 offset:352
	s_waitcnt vmcnt(3)
	buffer_store_dword v1, off, s[0:3], 0 offset:352
	s_waitcnt vmcnt(2)
	buffer_store_dword v2, off, s[0:3], 0 offset:356
	s_waitcnt vmcnt(1)
	buffer_store_dword v3, v0, s[0:3], 0 offen offset:4
	s_waitcnt vmcnt(0)
	buffer_store_dword v4, v0, s[0:3], 0 offen
.LBB113_324:
	;; [unrolled: 43-line block ×23, first 2 shown]
	v_mov_b32_e32 v0, 0
	global_load_dword v1, v0, s[12:13] offset:4
	s_waitcnt vmcnt(0)
	v_add_nc_u32_e32 v1, -1, v1
	v_cmp_eq_u32_e32 vcc_lo, 1, v1
	s_cbranch_vccnz .LBB113_410
; %bb.409:
	v_lshlrev_b32_e32 v1, 3, v1
	s_clause 0x3
	buffer_load_dword v2, v1, s[0:3], 0 offen
	buffer_load_dword v3, v1, s[0:3], 0 offen offset:4
	buffer_load_dword v4, off, s[0:3], 0 offset:8
	buffer_load_dword v5, off, s[0:3], 0 offset:12
	s_waitcnt vmcnt(3)
	buffer_store_dword v2, off, s[0:3], 0 offset:8
	s_waitcnt vmcnt(2)
	buffer_store_dword v3, off, s[0:3], 0 offset:12
	s_waitcnt vmcnt(1)
	buffer_store_dword v4, v1, s[0:3], 0 offen
	s_waitcnt vmcnt(0)
	buffer_store_dword v5, v1, s[0:3], 0 offen offset:4
.LBB113_410:
	global_load_dword v0, v0, s[12:13]
	s_waitcnt vmcnt(0)
	v_add_nc_u32_e32 v0, -1, v0
	v_cmp_eq_u32_e32 vcc_lo, 0, v0
	s_cbranch_vccnz .LBB113_412
; %bb.411:
	v_lshlrev_b32_e32 v0, 3, v0
	s_clause 0x3
	buffer_load_dword v1, v0, s[0:3], 0 offen
	buffer_load_dword v2, v0, s[0:3], 0 offen offset:4
	buffer_load_dword v3, off, s[0:3], 0 offset:4
	buffer_load_dword v4, off, s[0:3], 0
	s_waitcnt vmcnt(3)
	buffer_store_dword v1, off, s[0:3], 0
	s_waitcnt vmcnt(2)
	buffer_store_dword v2, off, s[0:3], 0 offset:4
	s_waitcnt vmcnt(1)
	buffer_store_dword v3, v0, s[0:3], 0 offen offset:4
	s_waitcnt vmcnt(0)
	buffer_store_dword v4, v0, s[0:3], 0 offen
.LBB113_412:
	s_clause 0x1
	buffer_load_dword v0, off, s[0:3], 0
	buffer_load_dword v1, off, s[0:3], 0 offset:4
	s_waitcnt vmcnt(0)
	flat_store_dwordx2 v[9:10], v[0:1]
	s_clause 0x1
	buffer_load_dword v0, off, s[0:3], 0 offset:8
	buffer_load_dword v1, off, s[0:3], 0 offset:12
	s_waitcnt vmcnt(0)
	flat_store_dwordx2 v[11:12], v[0:1]
	s_clause 0x1
	buffer_load_dword v0, off, s[0:3], 0 offset:16
	;; [unrolled: 5-line block ×49, first 2 shown]
	buffer_load_dword v1, off, s[0:3], 0 offset:396
	s_waitcnt vmcnt(0)
	flat_store_dwordx2 v[107:108], v[0:1]
	s_endpgm
	.section	.rodata,"a",@progbits
	.p2align	6, 0x0
	.amdhsa_kernel _ZN9rocsolver6v33100L18getri_kernel_smallILi50E19rocblas_complex_numIfEPKPS3_EEvT1_iilPiilS8_bb
		.amdhsa_group_segment_fixed_size 804
		.amdhsa_private_segment_fixed_size 416
		.amdhsa_kernarg_size 60
		.amdhsa_user_sgpr_count 6
		.amdhsa_user_sgpr_private_segment_buffer 1
		.amdhsa_user_sgpr_dispatch_ptr 0
		.amdhsa_user_sgpr_queue_ptr 0
		.amdhsa_user_sgpr_kernarg_segment_ptr 1
		.amdhsa_user_sgpr_dispatch_id 0
		.amdhsa_user_sgpr_flat_scratch_init 0
		.amdhsa_user_sgpr_private_segment_size 0
		.amdhsa_wavefront_size32 1
		.amdhsa_uses_dynamic_stack 0
		.amdhsa_system_sgpr_private_segment_wavefront_offset 1
		.amdhsa_system_sgpr_workgroup_id_x 1
		.amdhsa_system_sgpr_workgroup_id_y 0
		.amdhsa_system_sgpr_workgroup_id_z 0
		.amdhsa_system_sgpr_workgroup_info 0
		.amdhsa_system_vgpr_workitem_id 0
		.amdhsa_next_free_vgpr 254
		.amdhsa_next_free_sgpr 20
		.amdhsa_reserve_vcc 1
		.amdhsa_reserve_flat_scratch 0
		.amdhsa_float_round_mode_32 0
		.amdhsa_float_round_mode_16_64 0
		.amdhsa_float_denorm_mode_32 3
		.amdhsa_float_denorm_mode_16_64 3
		.amdhsa_dx10_clamp 1
		.amdhsa_ieee_mode 1
		.amdhsa_fp16_overflow 0
		.amdhsa_workgroup_processor_mode 1
		.amdhsa_memory_ordered 1
		.amdhsa_forward_progress 1
		.amdhsa_shared_vgpr_count 0
		.amdhsa_exception_fp_ieee_invalid_op 0
		.amdhsa_exception_fp_denorm_src 0
		.amdhsa_exception_fp_ieee_div_zero 0
		.amdhsa_exception_fp_ieee_overflow 0
		.amdhsa_exception_fp_ieee_underflow 0
		.amdhsa_exception_fp_ieee_inexact 0
		.amdhsa_exception_int_div_zero 0
	.end_amdhsa_kernel
	.section	.text._ZN9rocsolver6v33100L18getri_kernel_smallILi50E19rocblas_complex_numIfEPKPS3_EEvT1_iilPiilS8_bb,"axG",@progbits,_ZN9rocsolver6v33100L18getri_kernel_smallILi50E19rocblas_complex_numIfEPKPS3_EEvT1_iilPiilS8_bb,comdat
.Lfunc_end113:
	.size	_ZN9rocsolver6v33100L18getri_kernel_smallILi50E19rocblas_complex_numIfEPKPS3_EEvT1_iilPiilS8_bb, .Lfunc_end113-_ZN9rocsolver6v33100L18getri_kernel_smallILi50E19rocblas_complex_numIfEPKPS3_EEvT1_iilPiilS8_bb
                                        ; -- End function
	.set _ZN9rocsolver6v33100L18getri_kernel_smallILi50E19rocblas_complex_numIfEPKPS3_EEvT1_iilPiilS8_bb.num_vgpr, 254
	.set _ZN9rocsolver6v33100L18getri_kernel_smallILi50E19rocblas_complex_numIfEPKPS3_EEvT1_iilPiilS8_bb.num_agpr, 0
	.set _ZN9rocsolver6v33100L18getri_kernel_smallILi50E19rocblas_complex_numIfEPKPS3_EEvT1_iilPiilS8_bb.numbered_sgpr, 20
	.set _ZN9rocsolver6v33100L18getri_kernel_smallILi50E19rocblas_complex_numIfEPKPS3_EEvT1_iilPiilS8_bb.num_named_barrier, 0
	.set _ZN9rocsolver6v33100L18getri_kernel_smallILi50E19rocblas_complex_numIfEPKPS3_EEvT1_iilPiilS8_bb.private_seg_size, 416
	.set _ZN9rocsolver6v33100L18getri_kernel_smallILi50E19rocblas_complex_numIfEPKPS3_EEvT1_iilPiilS8_bb.uses_vcc, 1
	.set _ZN9rocsolver6v33100L18getri_kernel_smallILi50E19rocblas_complex_numIfEPKPS3_EEvT1_iilPiilS8_bb.uses_flat_scratch, 0
	.set _ZN9rocsolver6v33100L18getri_kernel_smallILi50E19rocblas_complex_numIfEPKPS3_EEvT1_iilPiilS8_bb.has_dyn_sized_stack, 0
	.set _ZN9rocsolver6v33100L18getri_kernel_smallILi50E19rocblas_complex_numIfEPKPS3_EEvT1_iilPiilS8_bb.has_recursion, 0
	.set _ZN9rocsolver6v33100L18getri_kernel_smallILi50E19rocblas_complex_numIfEPKPS3_EEvT1_iilPiilS8_bb.has_indirect_call, 0
	.section	.AMDGPU.csdata,"",@progbits
; Kernel info:
; codeLenInByte = 97220
; TotalNumSgprs: 22
; NumVgprs: 254
; ScratchSize: 416
; MemoryBound: 0
; FloatMode: 240
; IeeeMode: 1
; LDSByteSize: 804 bytes/workgroup (compile time only)
; SGPRBlocks: 0
; VGPRBlocks: 31
; NumSGPRsForWavesPerEU: 22
; NumVGPRsForWavesPerEU: 254
; Occupancy: 4
; WaveLimiterHint : 1
; COMPUTE_PGM_RSRC2:SCRATCH_EN: 1
; COMPUTE_PGM_RSRC2:USER_SGPR: 6
; COMPUTE_PGM_RSRC2:TRAP_HANDLER: 0
; COMPUTE_PGM_RSRC2:TGID_X_EN: 1
; COMPUTE_PGM_RSRC2:TGID_Y_EN: 0
; COMPUTE_PGM_RSRC2:TGID_Z_EN: 0
; COMPUTE_PGM_RSRC2:TIDIG_COMP_CNT: 0
	.section	.text._ZN9rocsolver6v33100L18getri_kernel_smallILi51E19rocblas_complex_numIfEPKPS3_EEvT1_iilPiilS8_bb,"axG",@progbits,_ZN9rocsolver6v33100L18getri_kernel_smallILi51E19rocblas_complex_numIfEPKPS3_EEvT1_iilPiilS8_bb,comdat
	.globl	_ZN9rocsolver6v33100L18getri_kernel_smallILi51E19rocblas_complex_numIfEPKPS3_EEvT1_iilPiilS8_bb ; -- Begin function _ZN9rocsolver6v33100L18getri_kernel_smallILi51E19rocblas_complex_numIfEPKPS3_EEvT1_iilPiilS8_bb
	.p2align	8
	.type	_ZN9rocsolver6v33100L18getri_kernel_smallILi51E19rocblas_complex_numIfEPKPS3_EEvT1_iilPiilS8_bb,@function
_ZN9rocsolver6v33100L18getri_kernel_smallILi51E19rocblas_complex_numIfEPKPS3_EEvT1_iilPiilS8_bb: ; @_ZN9rocsolver6v33100L18getri_kernel_smallILi51E19rocblas_complex_numIfEPKPS3_EEvT1_iilPiilS8_bb
; %bb.0:
	s_add_u32 s0, s0, s7
	s_addc_u32 s1, s1, 0
	s_mov_b32 s7, exec_lo
	v_cmpx_gt_u32_e32 51, v0
	s_cbranch_execz .LBB114_218
; %bb.1:
	s_clause 0x2
	s_load_dword s17, s[4:5], 0x38
	s_load_dwordx2 s[12:13], s[4:5], 0x0
	s_load_dwordx4 s[8:11], s[4:5], 0x28
	s_waitcnt lgkmcnt(0)
	s_bitcmp1_b32 s17, 8
	s_cselect_b32 s16, -1, 0
	s_ashr_i32 s7, s6, 31
	s_lshl_b64 s[14:15], s[6:7], 3
	s_add_u32 s12, s12, s14
	s_addc_u32 s13, s13, s15
	s_load_dwordx2 s[14:15], s[12:13], 0x0
	s_bfe_u32 s12, s17, 0x10008
	s_cmp_eq_u32 s12, 0
                                        ; implicit-def: $sgpr12_sgpr13
	s_cbranch_scc1 .LBB114_3
; %bb.2:
	s_clause 0x1
	s_load_dword s12, s[4:5], 0x20
	s_load_dwordx2 s[18:19], s[4:5], 0x18
	s_mul_i32 s13, s8, s7
	s_mul_hi_u32 s17, s8, s6
	s_mul_i32 s9, s9, s6
	s_add_i32 s13, s17, s13
	s_mul_i32 s8, s8, s6
	s_add_i32 s9, s13, s9
	s_lshl_b64 s[8:9], s[8:9], 2
	s_waitcnt lgkmcnt(0)
	s_ashr_i32 s13, s12, 31
	s_add_u32 s17, s18, s8
	s_addc_u32 s18, s19, s9
	s_lshl_b64 s[8:9], s[12:13], 2
	s_add_u32 s12, s17, s8
	s_addc_u32 s13, s18, s9
.LBB114_3:
	s_clause 0x1
	s_load_dwordx2 s[8:9], s[4:5], 0x8
	s_load_dword s17, s[4:5], 0x38
	v_lshlrev_b32_e32 v3, 3, v0
	s_waitcnt lgkmcnt(0)
	s_ashr_i32 s5, s8, 31
	s_mov_b32 s4, s8
	v_add3_u32 v4, s9, s9, v0
	s_lshl_b64 s[4:5], s[4:5], 3
	s_add_u32 s4, s14, s4
	s_addc_u32 s5, s15, s5
	v_add_co_u32 v9, s8, s4, v3
	v_add_co_ci_u32_e64 v10, null, s5, 0, s8
	s_mov_b32 s14, s9
	s_ashr_i32 s15, s9, 31
	v_ashrrev_i32_e32 v5, 31, v4
	flat_load_dwordx2 v[1:2], v[9:10]
	s_lshl_b64 s[14:15], s[14:15], 3
	s_bitcmp0_b32 s17, 0
	v_add_co_u32 v11, vcc_lo, v9, s14
	v_add_co_ci_u32_e64 v12, null, s15, v10, vcc_lo
	v_lshlrev_b64 v[5:6], 3, v[4:5]
	v_add_nc_u32_e32 v4, s9, v4
	s_waitcnt vmcnt(0) lgkmcnt(0)
	buffer_store_dword v2, off, s[0:3], 0 offset:4
	buffer_store_dword v1, off, s[0:3], 0
	flat_load_dwordx2 v[1:2], v[11:12]
	v_add_co_u32 v13, vcc_lo, s4, v5
	v_add_co_ci_u32_e64 v14, null, s5, v6, vcc_lo
	v_ashrrev_i32_e32 v5, 31, v4
	s_waitcnt vmcnt(0) lgkmcnt(0)
	buffer_store_dword v2, off, s[0:3], 0 offset:12
	buffer_store_dword v1, off, s[0:3], 0 offset:8
	flat_load_dwordx2 v[1:2], v[13:14]
	v_lshlrev_b64 v[5:6], 3, v[4:5]
	v_add_nc_u32_e32 v4, s9, v4
	s_waitcnt vmcnt(0) lgkmcnt(0)
	buffer_store_dword v2, off, s[0:3], 0 offset:20
	buffer_store_dword v1, off, s[0:3], 0 offset:16
	v_add_co_u32 v15, vcc_lo, s4, v5
	v_add_co_ci_u32_e64 v16, null, s5, v6, vcc_lo
	v_ashrrev_i32_e32 v5, 31, v4
	flat_load_dwordx2 v[1:2], v[15:16]
	s_waitcnt vmcnt(0) lgkmcnt(0)
	buffer_store_dword v2, off, s[0:3], 0 offset:28
	buffer_store_dword v1, off, s[0:3], 0 offset:24
	v_lshlrev_b64 v[5:6], 3, v[4:5]
	v_add_nc_u32_e32 v4, s9, v4
	v_add_co_u32 v17, vcc_lo, s4, v5
	v_add_co_ci_u32_e64 v18, null, s5, v6, vcc_lo
	v_ashrrev_i32_e32 v5, 31, v4
	flat_load_dwordx2 v[1:2], v[17:18]
	s_waitcnt vmcnt(0) lgkmcnt(0)
	buffer_store_dword v2, off, s[0:3], 0 offset:36
	buffer_store_dword v1, off, s[0:3], 0 offset:32
	v_lshlrev_b64 v[5:6], 3, v[4:5]
	v_add_nc_u32_e32 v4, s9, v4
	;; [unrolled: 9-line block ×46, first 2 shown]
	v_add_co_u32 v107, vcc_lo, s4, v5
	v_add_co_ci_u32_e64 v108, null, s5, v6, vcc_lo
	v_ashrrev_i32_e32 v5, 31, v4
	flat_load_dwordx2 v[1:2], v[107:108]
	s_waitcnt vmcnt(0) lgkmcnt(0)
	buffer_store_dword v2, off, s[0:3], 0 offset:396
	buffer_store_dword v1, off, s[0:3], 0 offset:392
	v_lshlrev_b64 v[4:5], 3, v[4:5]
	v_add_co_u32 v109, vcc_lo, s4, v4
	v_add_co_ci_u32_e64 v110, null, s5, v5, vcc_lo
	s_mov_b32 s5, -1
	flat_load_dwordx2 v[1:2], v[109:110]
	s_waitcnt vmcnt(0) lgkmcnt(0)
	buffer_store_dword v2, off, s[0:3], 0 offset:404
	buffer_store_dword v1, off, s[0:3], 0 offset:400
	s_cbranch_scc1 .LBB114_216
; %bb.4:
	v_cmp_eq_u32_e64 s4, 0, v0
	s_and_saveexec_b32 s5, s4
; %bb.5:
	v_mov_b32_e32 v1, 0
	ds_write_b32 v1, v1 offset:408
; %bb.6:
	s_or_b32 exec_lo, exec_lo, s5
	v_lshl_add_u32 v5, v0, 3, 0
	s_waitcnt lgkmcnt(0)
	s_waitcnt_vscnt null, 0x0
	s_barrier
	buffer_gl0_inv
	s_clause 0x1
	buffer_load_dword v1, v5, s[0:3], 0 offen
	buffer_load_dword v2, v5, s[0:3], 0 offen offset:4
	s_waitcnt vmcnt(1)
	v_cmp_eq_f32_e32 vcc_lo, 0, v1
	s_waitcnt vmcnt(0)
	v_cmp_eq_f32_e64 s5, 0, v2
	s_and_b32 s5, vcc_lo, s5
	s_and_saveexec_b32 s8, s5
	s_cbranch_execz .LBB114_10
; %bb.7:
	v_mov_b32_e32 v1, 0
	s_mov_b32 s9, 0
	ds_read_b32 v2, v1 offset:408
	s_waitcnt lgkmcnt(0)
	v_readfirstlane_b32 s5, v2
	v_add_nc_u32_e32 v2, 1, v0
	s_cmp_eq_u32 s5, 0
	v_cmp_gt_i32_e32 vcc_lo, s5, v2
	s_cselect_b32 s14, -1, 0
	s_or_b32 s14, s14, vcc_lo
	s_and_b32 exec_lo, exec_lo, s14
	s_cbranch_execz .LBB114_10
; %bb.8:
	v_mov_b32_e32 v4, s5
.LBB114_9:                              ; =>This Inner Loop Header: Depth=1
	ds_cmpst_rtn_b32 v4, v1, v4, v2 offset:408
	s_waitcnt lgkmcnt(0)
	v_cmp_ne_u32_e32 vcc_lo, 0, v4
	v_cmp_le_i32_e64 s5, v4, v2
	s_and_b32 s5, vcc_lo, s5
	s_and_b32 s5, exec_lo, s5
	s_or_b32 s9, s5, s9
	s_andn2_b32 exec_lo, exec_lo, s9
	s_cbranch_execnz .LBB114_9
.LBB114_10:
	s_or_b32 exec_lo, exec_lo, s8
	v_mov_b32_e32 v1, 0
	s_barrier
	buffer_gl0_inv
	ds_read_b32 v2, v1 offset:408
	s_and_saveexec_b32 s5, s4
	s_cbranch_execz .LBB114_12
; %bb.11:
	s_lshl_b64 s[8:9], s[6:7], 2
	s_add_u32 s8, s10, s8
	s_addc_u32 s9, s11, s9
	s_waitcnt lgkmcnt(0)
	global_store_dword v1, v2, s[8:9]
.LBB114_12:
	s_or_b32 exec_lo, exec_lo, s5
	s_waitcnt lgkmcnt(0)
	v_cmp_ne_u32_e32 vcc_lo, 0, v2
	s_mov_b32 s5, 0
	s_cbranch_vccnz .LBB114_216
; %bb.13:
	s_clause 0x1
	buffer_load_dword v2, v5, s[0:3], 0 offen
	buffer_load_dword v4, v5, s[0:3], 0 offen offset:4
                                        ; implicit-def: $vgpr7
                                        ; implicit-def: $vgpr6
                                        ; implicit-def: $vgpr1
	s_waitcnt vmcnt(0)
	v_cmp_ngt_f32_e64 s5, |v2|, |v4|
	s_and_saveexec_b32 s8, s5
	s_xor_b32 s5, exec_lo, s8
	s_cbranch_execz .LBB114_15
; %bb.14:
	v_div_scale_f32 v1, null, v4, v4, v2
	v_div_scale_f32 v8, vcc_lo, v2, v4, v2
	v_rcp_f32_e32 v6, v1
	v_fma_f32 v7, -v1, v6, 1.0
	v_fmac_f32_e32 v6, v7, v6
	v_mul_f32_e32 v7, v8, v6
	v_fma_f32 v111, -v1, v7, v8
	v_fmac_f32_e32 v7, v111, v6
	v_fma_f32 v1, -v1, v7, v8
	v_div_fmas_f32 v1, v1, v6, v7
	v_div_fixup_f32 v1, v1, v4, v2
	v_fmac_f32_e32 v4, v2, v1
	v_div_scale_f32 v2, null, v4, v4, 1.0
	v_rcp_f32_e32 v6, v2
	v_fma_f32 v7, -v2, v6, 1.0
	v_fmac_f32_e32 v6, v7, v6
	v_div_scale_f32 v7, vcc_lo, 1.0, v4, 1.0
	v_mul_f32_e32 v8, v7, v6
	v_fma_f32 v111, -v2, v8, v7
	v_fmac_f32_e32 v8, v111, v6
	v_fma_f32 v2, -v2, v8, v7
	v_div_fmas_f32 v2, v2, v6, v8
	v_div_fixup_f32 v2, v2, v4, 1.0
                                        ; implicit-def: $vgpr4
	v_mul_f32_e32 v7, v1, v2
	v_xor_b32_e32 v6, 0x80000000, v2
                                        ; implicit-def: $vgpr2
	v_xor_b32_e32 v1, 0x80000000, v7
.LBB114_15:
	s_andn2_saveexec_b32 s5, s5
	s_cbranch_execz .LBB114_17
; %bb.16:
	v_div_scale_f32 v1, null, v2, v2, v4
	v_div_scale_f32 v8, vcc_lo, v4, v2, v4
	v_rcp_f32_e32 v6, v1
	v_fma_f32 v7, -v1, v6, 1.0
	v_fmac_f32_e32 v6, v7, v6
	v_mul_f32_e32 v7, v8, v6
	v_fma_f32 v111, -v1, v7, v8
	v_fmac_f32_e32 v7, v111, v6
	v_fma_f32 v1, -v1, v7, v8
	v_div_fmas_f32 v1, v1, v6, v7
	v_div_fixup_f32 v6, v1, v2, v4
	v_fmac_f32_e32 v2, v4, v6
	v_div_scale_f32 v1, null, v2, v2, 1.0
	v_div_scale_f32 v8, vcc_lo, 1.0, v2, 1.0
	v_rcp_f32_e32 v4, v1
	v_fma_f32 v7, -v1, v4, 1.0
	v_fmac_f32_e32 v4, v7, v4
	v_mul_f32_e32 v7, v8, v4
	v_fma_f32 v111, -v1, v7, v8
	v_fmac_f32_e32 v7, v111, v4
	v_fma_f32 v1, -v1, v7, v8
	v_div_fmas_f32 v1, v1, v4, v7
	v_div_fixup_f32 v7, v1, v2, 1.0
	v_xor_b32_e32 v1, 0x80000000, v7
	v_mul_f32_e64 v6, v6, -v7
.LBB114_17:
	s_or_b32 exec_lo, exec_lo, s5
	buffer_store_dword v7, v5, s[0:3], 0 offen
	buffer_store_dword v6, v5, s[0:3], 0 offen offset:4
	s_clause 0x1
	buffer_load_dword v8, off, s[0:3], 0 offset:12
	buffer_load_dword v7, off, s[0:3], 0 offset:8
	v_xor_b32_e32 v2, 0x80000000, v6
	v_add_nc_u32_e32 v4, 0x1a0, v3
	s_waitcnt vmcnt(0)
	ds_write2_b64 v3, v[1:2], v[7:8] offset1:52
	s_waitcnt lgkmcnt(0)
	s_waitcnt_vscnt null, 0x0
	s_barrier
	buffer_gl0_inv
	s_and_saveexec_b32 s5, s4
	s_cbranch_execz .LBB114_19
; %bb.18:
	s_clause 0x1
	buffer_load_dword v8, v5, s[0:3], 0 offen offset:4
	buffer_load_dword v111, v5, s[0:3], 0 offen
	ds_read_b64 v[1:2], v4
	v_mov_b32_e32 v6, 0
	ds_read_b64 v[6:7], v6 offset:8
	s_waitcnt vmcnt(1) lgkmcnt(1)
	v_mul_f32_e32 v112, v1, v8
	v_mul_f32_e32 v8, v2, v8
	s_waitcnt vmcnt(0)
	v_fmac_f32_e32 v112, v2, v111
	v_fma_f32 v1, v1, v111, -v8
	v_add_f32_e32 v2, 0, v112
	v_add_f32_e32 v1, 0, v1
	s_waitcnt lgkmcnt(0)
	v_mul_f32_e32 v8, v2, v7
	v_mul_f32_e32 v7, v1, v7
	v_fma_f32 v1, v1, v6, -v8
	v_fmac_f32_e32 v7, v2, v6
	buffer_store_dword v1, off, s[0:3], 0 offset:8
	buffer_store_dword v7, off, s[0:3], 0 offset:12
.LBB114_19:
	s_or_b32 exec_lo, exec_lo, s5
	s_waitcnt_vscnt null, 0x0
	s_barrier
	buffer_gl0_inv
	s_clause 0x1
	buffer_load_dword v1, off, s[0:3], 0 offset:16
	buffer_load_dword v2, off, s[0:3], 0 offset:20
	s_mov_b32 s5, exec_lo
	s_waitcnt vmcnt(0)
	ds_write_b64 v4, v[1:2]
	s_waitcnt lgkmcnt(0)
	s_barrier
	buffer_gl0_inv
	v_cmpx_gt_u32_e32 2, v0
	s_cbranch_execz .LBB114_23
; %bb.20:
	s_clause 0x1
	buffer_load_dword v6, v5, s[0:3], 0 offen offset:4
	buffer_load_dword v5, v5, s[0:3], 0 offen
	ds_read_b64 v[1:2], v4
	s_waitcnt vmcnt(1) lgkmcnt(0)
	v_mul_f32_e32 v7, v2, v6
	v_mul_f32_e32 v6, v1, v6
	s_waitcnt vmcnt(0)
	v_fma_f32 v1, v1, v5, -v7
	v_fmac_f32_e32 v6, v2, v5
	v_add_f32_e32 v2, 0, v1
	v_add_f32_e32 v1, 0, v6
	s_and_saveexec_b32 s8, s4
	s_cbranch_execz .LBB114_22
; %bb.21:
	s_clause 0x1
	buffer_load_dword v7, off, s[0:3], 0 offset:12
	buffer_load_dword v8, off, s[0:3], 0 offset:8
	v_mov_b32_e32 v5, 0
	ds_read_b64 v[5:6], v5 offset:424
	s_waitcnt vmcnt(1) lgkmcnt(0)
	v_mul_f32_e32 v111, v5, v7
	v_mul_f32_e32 v7, v6, v7
	s_waitcnt vmcnt(0)
	v_fmac_f32_e32 v111, v6, v8
	v_fma_f32 v5, v5, v8, -v7
	v_add_f32_e32 v1, v1, v111
	v_add_f32_e32 v2, v2, v5
.LBB114_22:
	s_or_b32 exec_lo, exec_lo, s8
	v_mov_b32_e32 v5, 0
	ds_read_b64 v[5:6], v5 offset:16
	s_waitcnt lgkmcnt(0)
	v_mul_f32_e32 v7, v1, v6
	v_mul_f32_e32 v6, v2, v6
	v_fma_f32 v2, v2, v5, -v7
	v_fmac_f32_e32 v6, v1, v5
	buffer_store_dword v2, off, s[0:3], 0 offset:16
	buffer_store_dword v6, off, s[0:3], 0 offset:20
.LBB114_23:
	s_or_b32 exec_lo, exec_lo, s5
	s_waitcnt_vscnt null, 0x0
	s_barrier
	buffer_gl0_inv
	s_clause 0x1
	buffer_load_dword v5, off, s[0:3], 0 offset:24
	buffer_load_dword v6, off, s[0:3], 0 offset:28
	v_add_nc_u32_e32 v1, -1, v0
	s_mov_b32 s4, exec_lo
	s_waitcnt vmcnt(0)
	ds_write_b64 v4, v[5:6]
	s_waitcnt lgkmcnt(0)
	s_barrier
	buffer_gl0_inv
	v_cmpx_gt_u32_e32 3, v0
	s_cbranch_execz .LBB114_27
; %bb.24:
	v_add_nc_u32_e32 v5, -1, v0
	v_add_nc_u32_e32 v6, 0x1a0, v3
	v_mov_b32_e32 v7, v3
	v_mov_b32_e32 v2, 0
	;; [unrolled: 1-line block ×3, first 2 shown]
	s_mov_b32 s5, 0
	.p2align	6
.LBB114_25:                             ; =>This Inner Loop Header: Depth=1
	s_clause 0x1
	buffer_load_dword v113, v7, s[0:3], 0 offen offset:4
	buffer_load_dword v114, v7, s[0:3], 0 offen
	ds_read_b64 v[111:112], v6
	v_add_nc_u32_e32 v5, 1, v5
	v_add_nc_u32_e32 v6, 8, v6
	;; [unrolled: 1-line block ×3, first 2 shown]
	v_cmp_lt_u32_e32 vcc_lo, 1, v5
	s_or_b32 s5, vcc_lo, s5
	s_waitcnt vmcnt(1) lgkmcnt(0)
	v_mul_f32_e32 v115, v112, v113
	v_mul_f32_e32 v113, v111, v113
	s_waitcnt vmcnt(0)
	v_fma_f32 v111, v111, v114, -v115
	v_fmac_f32_e32 v113, v112, v114
	v_add_f32_e32 v8, v8, v111
	v_add_f32_e32 v2, v2, v113
	s_andn2_b32 exec_lo, exec_lo, s5
	s_cbranch_execnz .LBB114_25
; %bb.26:
	s_or_b32 exec_lo, exec_lo, s5
	v_mov_b32_e32 v5, 0
	ds_read_b64 v[5:6], v5 offset:24
	s_waitcnt lgkmcnt(0)
	v_mul_f32_e32 v7, v2, v6
	v_mul_f32_e32 v6, v8, v6
	v_fma_f32 v7, v8, v5, -v7
	v_fmac_f32_e32 v6, v2, v5
	buffer_store_dword v7, off, s[0:3], 0 offset:24
	buffer_store_dword v6, off, s[0:3], 0 offset:28
.LBB114_27:
	s_or_b32 exec_lo, exec_lo, s4
	s_waitcnt_vscnt null, 0x0
	s_barrier
	buffer_gl0_inv
	s_clause 0x1
	buffer_load_dword v5, off, s[0:3], 0 offset:32
	buffer_load_dword v6, off, s[0:3], 0 offset:36
	s_mov_b32 s4, exec_lo
	s_waitcnt vmcnt(0)
	ds_write_b64 v4, v[5:6]
	s_waitcnt lgkmcnt(0)
	s_barrier
	buffer_gl0_inv
	v_cmpx_gt_u32_e32 4, v0
	s_cbranch_execz .LBB114_31
; %bb.28:
	v_add_nc_u32_e32 v5, -1, v0
	v_add_nc_u32_e32 v6, 0x1a0, v3
	v_mov_b32_e32 v7, v3
	v_mov_b32_e32 v2, 0
	;; [unrolled: 1-line block ×3, first 2 shown]
	s_mov_b32 s5, 0
	.p2align	6
.LBB114_29:                             ; =>This Inner Loop Header: Depth=1
	s_clause 0x1
	buffer_load_dword v113, v7, s[0:3], 0 offen offset:4
	buffer_load_dword v114, v7, s[0:3], 0 offen
	ds_read_b64 v[111:112], v6
	v_add_nc_u32_e32 v5, 1, v5
	v_add_nc_u32_e32 v6, 8, v6
	;; [unrolled: 1-line block ×3, first 2 shown]
	v_cmp_lt_u32_e32 vcc_lo, 2, v5
	s_or_b32 s5, vcc_lo, s5
	s_waitcnt vmcnt(1) lgkmcnt(0)
	v_mul_f32_e32 v115, v112, v113
	v_mul_f32_e32 v113, v111, v113
	s_waitcnt vmcnt(0)
	v_fma_f32 v111, v111, v114, -v115
	v_fmac_f32_e32 v113, v112, v114
	v_add_f32_e32 v8, v8, v111
	v_add_f32_e32 v2, v2, v113
	s_andn2_b32 exec_lo, exec_lo, s5
	s_cbranch_execnz .LBB114_29
; %bb.30:
	s_or_b32 exec_lo, exec_lo, s5
	v_mov_b32_e32 v5, 0
	ds_read_b64 v[5:6], v5 offset:32
	s_waitcnt lgkmcnt(0)
	v_mul_f32_e32 v7, v2, v6
	v_mul_f32_e32 v6, v8, v6
	v_fma_f32 v7, v8, v5, -v7
	v_fmac_f32_e32 v6, v2, v5
	buffer_store_dword v7, off, s[0:3], 0 offset:32
	buffer_store_dword v6, off, s[0:3], 0 offset:36
.LBB114_31:
	s_or_b32 exec_lo, exec_lo, s4
	s_waitcnt_vscnt null, 0x0
	s_barrier
	buffer_gl0_inv
	s_clause 0x1
	buffer_load_dword v5, off, s[0:3], 0 offset:40
	buffer_load_dword v6, off, s[0:3], 0 offset:44
	s_mov_b32 s4, exec_lo
	s_waitcnt vmcnt(0)
	ds_write_b64 v4, v[5:6]
	s_waitcnt lgkmcnt(0)
	s_barrier
	buffer_gl0_inv
	v_cmpx_gt_u32_e32 5, v0
	s_cbranch_execz .LBB114_35
; %bb.32:
	v_add_nc_u32_e32 v5, -1, v0
	v_add_nc_u32_e32 v6, 0x1a0, v3
	v_mov_b32_e32 v7, v3
	v_mov_b32_e32 v2, 0
	;; [unrolled: 1-line block ×3, first 2 shown]
	s_mov_b32 s5, 0
	.p2align	6
.LBB114_33:                             ; =>This Inner Loop Header: Depth=1
	s_clause 0x1
	buffer_load_dword v113, v7, s[0:3], 0 offen offset:4
	buffer_load_dword v114, v7, s[0:3], 0 offen
	ds_read_b64 v[111:112], v6
	v_add_nc_u32_e32 v5, 1, v5
	v_add_nc_u32_e32 v6, 8, v6
	;; [unrolled: 1-line block ×3, first 2 shown]
	v_cmp_lt_u32_e32 vcc_lo, 3, v5
	s_or_b32 s5, vcc_lo, s5
	s_waitcnt vmcnt(1) lgkmcnt(0)
	v_mul_f32_e32 v115, v112, v113
	v_mul_f32_e32 v113, v111, v113
	s_waitcnt vmcnt(0)
	v_fma_f32 v111, v111, v114, -v115
	v_fmac_f32_e32 v113, v112, v114
	v_add_f32_e32 v8, v8, v111
	v_add_f32_e32 v2, v2, v113
	s_andn2_b32 exec_lo, exec_lo, s5
	s_cbranch_execnz .LBB114_33
; %bb.34:
	s_or_b32 exec_lo, exec_lo, s5
	v_mov_b32_e32 v5, 0
	ds_read_b64 v[5:6], v5 offset:40
	s_waitcnt lgkmcnt(0)
	v_mul_f32_e32 v7, v2, v6
	v_mul_f32_e32 v6, v8, v6
	v_fma_f32 v7, v8, v5, -v7
	v_fmac_f32_e32 v6, v2, v5
	buffer_store_dword v7, off, s[0:3], 0 offset:40
	buffer_store_dword v6, off, s[0:3], 0 offset:44
.LBB114_35:
	s_or_b32 exec_lo, exec_lo, s4
	s_waitcnt_vscnt null, 0x0
	s_barrier
	buffer_gl0_inv
	s_clause 0x1
	buffer_load_dword v5, off, s[0:3], 0 offset:48
	buffer_load_dword v6, off, s[0:3], 0 offset:52
	s_mov_b32 s4, exec_lo
	s_waitcnt vmcnt(0)
	ds_write_b64 v4, v[5:6]
	s_waitcnt lgkmcnt(0)
	s_barrier
	buffer_gl0_inv
	v_cmpx_gt_u32_e32 6, v0
	s_cbranch_execz .LBB114_39
; %bb.36:
	v_add_nc_u32_e32 v5, -1, v0
	v_add_nc_u32_e32 v6, 0x1a0, v3
	v_mov_b32_e32 v7, v3
	v_mov_b32_e32 v2, 0
	;; [unrolled: 1-line block ×3, first 2 shown]
	s_mov_b32 s5, 0
	.p2align	6
.LBB114_37:                             ; =>This Inner Loop Header: Depth=1
	s_clause 0x1
	buffer_load_dword v113, v7, s[0:3], 0 offen offset:4
	buffer_load_dword v114, v7, s[0:3], 0 offen
	ds_read_b64 v[111:112], v6
	v_add_nc_u32_e32 v5, 1, v5
	v_add_nc_u32_e32 v6, 8, v6
	;; [unrolled: 1-line block ×3, first 2 shown]
	v_cmp_lt_u32_e32 vcc_lo, 4, v5
	s_or_b32 s5, vcc_lo, s5
	s_waitcnt vmcnt(1) lgkmcnt(0)
	v_mul_f32_e32 v115, v112, v113
	v_mul_f32_e32 v113, v111, v113
	s_waitcnt vmcnt(0)
	v_fma_f32 v111, v111, v114, -v115
	v_fmac_f32_e32 v113, v112, v114
	v_add_f32_e32 v8, v8, v111
	v_add_f32_e32 v2, v2, v113
	s_andn2_b32 exec_lo, exec_lo, s5
	s_cbranch_execnz .LBB114_37
; %bb.38:
	s_or_b32 exec_lo, exec_lo, s5
	v_mov_b32_e32 v5, 0
	ds_read_b64 v[5:6], v5 offset:48
	s_waitcnt lgkmcnt(0)
	v_mul_f32_e32 v7, v2, v6
	v_mul_f32_e32 v6, v8, v6
	v_fma_f32 v7, v8, v5, -v7
	v_fmac_f32_e32 v6, v2, v5
	buffer_store_dword v7, off, s[0:3], 0 offset:48
	buffer_store_dword v6, off, s[0:3], 0 offset:52
.LBB114_39:
	s_or_b32 exec_lo, exec_lo, s4
	s_waitcnt_vscnt null, 0x0
	s_barrier
	buffer_gl0_inv
	s_clause 0x1
	buffer_load_dword v5, off, s[0:3], 0 offset:56
	buffer_load_dword v6, off, s[0:3], 0 offset:60
	s_mov_b32 s4, exec_lo
	s_waitcnt vmcnt(0)
	ds_write_b64 v4, v[5:6]
	s_waitcnt lgkmcnt(0)
	s_barrier
	buffer_gl0_inv
	v_cmpx_gt_u32_e32 7, v0
	s_cbranch_execz .LBB114_43
; %bb.40:
	v_add_nc_u32_e32 v5, -1, v0
	v_add_nc_u32_e32 v6, 0x1a0, v3
	v_mov_b32_e32 v7, v3
	v_mov_b32_e32 v2, 0
	;; [unrolled: 1-line block ×3, first 2 shown]
	s_mov_b32 s5, 0
	.p2align	6
.LBB114_41:                             ; =>This Inner Loop Header: Depth=1
	s_clause 0x1
	buffer_load_dword v113, v7, s[0:3], 0 offen offset:4
	buffer_load_dword v114, v7, s[0:3], 0 offen
	ds_read_b64 v[111:112], v6
	v_add_nc_u32_e32 v5, 1, v5
	v_add_nc_u32_e32 v6, 8, v6
	;; [unrolled: 1-line block ×3, first 2 shown]
	v_cmp_lt_u32_e32 vcc_lo, 5, v5
	s_or_b32 s5, vcc_lo, s5
	s_waitcnt vmcnt(1) lgkmcnt(0)
	v_mul_f32_e32 v115, v112, v113
	v_mul_f32_e32 v113, v111, v113
	s_waitcnt vmcnt(0)
	v_fma_f32 v111, v111, v114, -v115
	v_fmac_f32_e32 v113, v112, v114
	v_add_f32_e32 v8, v8, v111
	v_add_f32_e32 v2, v2, v113
	s_andn2_b32 exec_lo, exec_lo, s5
	s_cbranch_execnz .LBB114_41
; %bb.42:
	s_or_b32 exec_lo, exec_lo, s5
	v_mov_b32_e32 v5, 0
	ds_read_b64 v[5:6], v5 offset:56
	s_waitcnt lgkmcnt(0)
	v_mul_f32_e32 v7, v2, v6
	v_mul_f32_e32 v6, v8, v6
	v_fma_f32 v7, v8, v5, -v7
	v_fmac_f32_e32 v6, v2, v5
	buffer_store_dword v7, off, s[0:3], 0 offset:56
	buffer_store_dword v6, off, s[0:3], 0 offset:60
.LBB114_43:
	s_or_b32 exec_lo, exec_lo, s4
	s_waitcnt_vscnt null, 0x0
	s_barrier
	buffer_gl0_inv
	s_clause 0x1
	buffer_load_dword v5, off, s[0:3], 0 offset:64
	buffer_load_dword v6, off, s[0:3], 0 offset:68
	s_mov_b32 s4, exec_lo
	s_waitcnt vmcnt(0)
	ds_write_b64 v4, v[5:6]
	s_waitcnt lgkmcnt(0)
	s_barrier
	buffer_gl0_inv
	v_cmpx_gt_u32_e32 8, v0
	s_cbranch_execz .LBB114_47
; %bb.44:
	v_add_nc_u32_e32 v5, -1, v0
	v_add_nc_u32_e32 v6, 0x1a0, v3
	v_mov_b32_e32 v7, v3
	v_mov_b32_e32 v2, 0
	v_mov_b32_e32 v8, 0
	s_mov_b32 s5, 0
	.p2align	6
.LBB114_45:                             ; =>This Inner Loop Header: Depth=1
	s_clause 0x1
	buffer_load_dword v113, v7, s[0:3], 0 offen offset:4
	buffer_load_dword v114, v7, s[0:3], 0 offen
	ds_read_b64 v[111:112], v6
	v_add_nc_u32_e32 v5, 1, v5
	v_add_nc_u32_e32 v6, 8, v6
	;; [unrolled: 1-line block ×3, first 2 shown]
	v_cmp_lt_u32_e32 vcc_lo, 6, v5
	s_or_b32 s5, vcc_lo, s5
	s_waitcnt vmcnt(1) lgkmcnt(0)
	v_mul_f32_e32 v115, v112, v113
	v_mul_f32_e32 v113, v111, v113
	s_waitcnt vmcnt(0)
	v_fma_f32 v111, v111, v114, -v115
	v_fmac_f32_e32 v113, v112, v114
	v_add_f32_e32 v8, v8, v111
	v_add_f32_e32 v2, v2, v113
	s_andn2_b32 exec_lo, exec_lo, s5
	s_cbranch_execnz .LBB114_45
; %bb.46:
	s_or_b32 exec_lo, exec_lo, s5
	v_mov_b32_e32 v5, 0
	ds_read_b64 v[5:6], v5 offset:64
	s_waitcnt lgkmcnt(0)
	v_mul_f32_e32 v7, v2, v6
	v_mul_f32_e32 v6, v8, v6
	v_fma_f32 v7, v8, v5, -v7
	v_fmac_f32_e32 v6, v2, v5
	buffer_store_dword v7, off, s[0:3], 0 offset:64
	buffer_store_dword v6, off, s[0:3], 0 offset:68
.LBB114_47:
	s_or_b32 exec_lo, exec_lo, s4
	s_waitcnt_vscnt null, 0x0
	s_barrier
	buffer_gl0_inv
	s_clause 0x1
	buffer_load_dword v5, off, s[0:3], 0 offset:72
	buffer_load_dword v6, off, s[0:3], 0 offset:76
	s_mov_b32 s4, exec_lo
	s_waitcnt vmcnt(0)
	ds_write_b64 v4, v[5:6]
	s_waitcnt lgkmcnt(0)
	s_barrier
	buffer_gl0_inv
	v_cmpx_gt_u32_e32 9, v0
	s_cbranch_execz .LBB114_51
; %bb.48:
	v_add_nc_u32_e32 v5, -1, v0
	v_add_nc_u32_e32 v6, 0x1a0, v3
	v_mov_b32_e32 v7, v3
	v_mov_b32_e32 v2, 0
	v_mov_b32_e32 v8, 0
	s_mov_b32 s5, 0
	.p2align	6
.LBB114_49:                             ; =>This Inner Loop Header: Depth=1
	s_clause 0x1
	buffer_load_dword v113, v7, s[0:3], 0 offen offset:4
	buffer_load_dword v114, v7, s[0:3], 0 offen
	ds_read_b64 v[111:112], v6
	v_add_nc_u32_e32 v5, 1, v5
	v_add_nc_u32_e32 v6, 8, v6
	;; [unrolled: 1-line block ×3, first 2 shown]
	v_cmp_lt_u32_e32 vcc_lo, 7, v5
	s_or_b32 s5, vcc_lo, s5
	s_waitcnt vmcnt(1) lgkmcnt(0)
	v_mul_f32_e32 v115, v112, v113
	v_mul_f32_e32 v113, v111, v113
	s_waitcnt vmcnt(0)
	v_fma_f32 v111, v111, v114, -v115
	v_fmac_f32_e32 v113, v112, v114
	v_add_f32_e32 v8, v8, v111
	v_add_f32_e32 v2, v2, v113
	s_andn2_b32 exec_lo, exec_lo, s5
	s_cbranch_execnz .LBB114_49
; %bb.50:
	s_or_b32 exec_lo, exec_lo, s5
	v_mov_b32_e32 v5, 0
	ds_read_b64 v[5:6], v5 offset:72
	s_waitcnt lgkmcnt(0)
	v_mul_f32_e32 v7, v2, v6
	v_mul_f32_e32 v6, v8, v6
	v_fma_f32 v7, v8, v5, -v7
	v_fmac_f32_e32 v6, v2, v5
	buffer_store_dword v7, off, s[0:3], 0 offset:72
	buffer_store_dword v6, off, s[0:3], 0 offset:76
.LBB114_51:
	s_or_b32 exec_lo, exec_lo, s4
	s_waitcnt_vscnt null, 0x0
	s_barrier
	buffer_gl0_inv
	s_clause 0x1
	buffer_load_dword v5, off, s[0:3], 0 offset:80
	buffer_load_dword v6, off, s[0:3], 0 offset:84
	s_mov_b32 s4, exec_lo
	s_waitcnt vmcnt(0)
	ds_write_b64 v4, v[5:6]
	s_waitcnt lgkmcnt(0)
	s_barrier
	buffer_gl0_inv
	v_cmpx_gt_u32_e32 10, v0
	s_cbranch_execz .LBB114_55
; %bb.52:
	v_add_nc_u32_e32 v5, -1, v0
	v_add_nc_u32_e32 v6, 0x1a0, v3
	v_mov_b32_e32 v7, v3
	v_mov_b32_e32 v2, 0
	;; [unrolled: 1-line block ×3, first 2 shown]
	s_mov_b32 s5, 0
	.p2align	6
.LBB114_53:                             ; =>This Inner Loop Header: Depth=1
	s_clause 0x1
	buffer_load_dword v113, v7, s[0:3], 0 offen offset:4
	buffer_load_dword v114, v7, s[0:3], 0 offen
	ds_read_b64 v[111:112], v6
	v_add_nc_u32_e32 v5, 1, v5
	v_add_nc_u32_e32 v6, 8, v6
	;; [unrolled: 1-line block ×3, first 2 shown]
	v_cmp_lt_u32_e32 vcc_lo, 8, v5
	s_or_b32 s5, vcc_lo, s5
	s_waitcnt vmcnt(1) lgkmcnt(0)
	v_mul_f32_e32 v115, v112, v113
	v_mul_f32_e32 v113, v111, v113
	s_waitcnt vmcnt(0)
	v_fma_f32 v111, v111, v114, -v115
	v_fmac_f32_e32 v113, v112, v114
	v_add_f32_e32 v8, v8, v111
	v_add_f32_e32 v2, v2, v113
	s_andn2_b32 exec_lo, exec_lo, s5
	s_cbranch_execnz .LBB114_53
; %bb.54:
	s_or_b32 exec_lo, exec_lo, s5
	v_mov_b32_e32 v5, 0
	ds_read_b64 v[5:6], v5 offset:80
	s_waitcnt lgkmcnt(0)
	v_mul_f32_e32 v7, v2, v6
	v_mul_f32_e32 v6, v8, v6
	v_fma_f32 v7, v8, v5, -v7
	v_fmac_f32_e32 v6, v2, v5
	buffer_store_dword v7, off, s[0:3], 0 offset:80
	buffer_store_dword v6, off, s[0:3], 0 offset:84
.LBB114_55:
	s_or_b32 exec_lo, exec_lo, s4
	s_waitcnt_vscnt null, 0x0
	s_barrier
	buffer_gl0_inv
	s_clause 0x1
	buffer_load_dword v5, off, s[0:3], 0 offset:88
	buffer_load_dword v6, off, s[0:3], 0 offset:92
	s_mov_b32 s4, exec_lo
	s_waitcnt vmcnt(0)
	ds_write_b64 v4, v[5:6]
	s_waitcnt lgkmcnt(0)
	s_barrier
	buffer_gl0_inv
	v_cmpx_gt_u32_e32 11, v0
	s_cbranch_execz .LBB114_59
; %bb.56:
	v_add_nc_u32_e32 v5, -1, v0
	v_add_nc_u32_e32 v6, 0x1a0, v3
	v_mov_b32_e32 v7, v3
	v_mov_b32_e32 v2, 0
	;; [unrolled: 1-line block ×3, first 2 shown]
	s_mov_b32 s5, 0
	.p2align	6
.LBB114_57:                             ; =>This Inner Loop Header: Depth=1
	s_clause 0x1
	buffer_load_dword v113, v7, s[0:3], 0 offen offset:4
	buffer_load_dword v114, v7, s[0:3], 0 offen
	ds_read_b64 v[111:112], v6
	v_add_nc_u32_e32 v5, 1, v5
	v_add_nc_u32_e32 v6, 8, v6
	;; [unrolled: 1-line block ×3, first 2 shown]
	v_cmp_lt_u32_e32 vcc_lo, 9, v5
	s_or_b32 s5, vcc_lo, s5
	s_waitcnt vmcnt(1) lgkmcnt(0)
	v_mul_f32_e32 v115, v112, v113
	v_mul_f32_e32 v113, v111, v113
	s_waitcnt vmcnt(0)
	v_fma_f32 v111, v111, v114, -v115
	v_fmac_f32_e32 v113, v112, v114
	v_add_f32_e32 v8, v8, v111
	v_add_f32_e32 v2, v2, v113
	s_andn2_b32 exec_lo, exec_lo, s5
	s_cbranch_execnz .LBB114_57
; %bb.58:
	s_or_b32 exec_lo, exec_lo, s5
	v_mov_b32_e32 v5, 0
	ds_read_b64 v[5:6], v5 offset:88
	s_waitcnt lgkmcnt(0)
	v_mul_f32_e32 v7, v2, v6
	v_mul_f32_e32 v6, v8, v6
	v_fma_f32 v7, v8, v5, -v7
	v_fmac_f32_e32 v6, v2, v5
	buffer_store_dword v7, off, s[0:3], 0 offset:88
	buffer_store_dword v6, off, s[0:3], 0 offset:92
.LBB114_59:
	s_or_b32 exec_lo, exec_lo, s4
	s_waitcnt_vscnt null, 0x0
	s_barrier
	buffer_gl0_inv
	s_clause 0x1
	buffer_load_dword v5, off, s[0:3], 0 offset:96
	buffer_load_dword v6, off, s[0:3], 0 offset:100
	s_mov_b32 s4, exec_lo
	s_waitcnt vmcnt(0)
	ds_write_b64 v4, v[5:6]
	s_waitcnt lgkmcnt(0)
	s_barrier
	buffer_gl0_inv
	v_cmpx_gt_u32_e32 12, v0
	s_cbranch_execz .LBB114_63
; %bb.60:
	v_add_nc_u32_e32 v5, -1, v0
	v_add_nc_u32_e32 v6, 0x1a0, v3
	v_mov_b32_e32 v7, v3
	v_mov_b32_e32 v2, 0
	;; [unrolled: 1-line block ×3, first 2 shown]
	s_mov_b32 s5, 0
	.p2align	6
.LBB114_61:                             ; =>This Inner Loop Header: Depth=1
	s_clause 0x1
	buffer_load_dword v113, v7, s[0:3], 0 offen offset:4
	buffer_load_dword v114, v7, s[0:3], 0 offen
	ds_read_b64 v[111:112], v6
	v_add_nc_u32_e32 v5, 1, v5
	v_add_nc_u32_e32 v6, 8, v6
	;; [unrolled: 1-line block ×3, first 2 shown]
	v_cmp_lt_u32_e32 vcc_lo, 10, v5
	s_or_b32 s5, vcc_lo, s5
	s_waitcnt vmcnt(1) lgkmcnt(0)
	v_mul_f32_e32 v115, v112, v113
	v_mul_f32_e32 v113, v111, v113
	s_waitcnt vmcnt(0)
	v_fma_f32 v111, v111, v114, -v115
	v_fmac_f32_e32 v113, v112, v114
	v_add_f32_e32 v8, v8, v111
	v_add_f32_e32 v2, v2, v113
	s_andn2_b32 exec_lo, exec_lo, s5
	s_cbranch_execnz .LBB114_61
; %bb.62:
	s_or_b32 exec_lo, exec_lo, s5
	v_mov_b32_e32 v5, 0
	ds_read_b64 v[5:6], v5 offset:96
	s_waitcnt lgkmcnt(0)
	v_mul_f32_e32 v7, v2, v6
	v_mul_f32_e32 v6, v8, v6
	v_fma_f32 v7, v8, v5, -v7
	v_fmac_f32_e32 v6, v2, v5
	buffer_store_dword v7, off, s[0:3], 0 offset:96
	buffer_store_dword v6, off, s[0:3], 0 offset:100
.LBB114_63:
	s_or_b32 exec_lo, exec_lo, s4
	s_waitcnt_vscnt null, 0x0
	s_barrier
	buffer_gl0_inv
	s_clause 0x1
	buffer_load_dword v5, off, s[0:3], 0 offset:104
	buffer_load_dword v6, off, s[0:3], 0 offset:108
	s_mov_b32 s4, exec_lo
	s_waitcnt vmcnt(0)
	ds_write_b64 v4, v[5:6]
	s_waitcnt lgkmcnt(0)
	s_barrier
	buffer_gl0_inv
	v_cmpx_gt_u32_e32 13, v0
	s_cbranch_execz .LBB114_67
; %bb.64:
	v_add_nc_u32_e32 v5, -1, v0
	v_add_nc_u32_e32 v6, 0x1a0, v3
	v_mov_b32_e32 v7, v3
	v_mov_b32_e32 v2, 0
	;; [unrolled: 1-line block ×3, first 2 shown]
	s_mov_b32 s5, 0
	.p2align	6
.LBB114_65:                             ; =>This Inner Loop Header: Depth=1
	s_clause 0x1
	buffer_load_dword v113, v7, s[0:3], 0 offen offset:4
	buffer_load_dword v114, v7, s[0:3], 0 offen
	ds_read_b64 v[111:112], v6
	v_add_nc_u32_e32 v5, 1, v5
	v_add_nc_u32_e32 v6, 8, v6
	;; [unrolled: 1-line block ×3, first 2 shown]
	v_cmp_lt_u32_e32 vcc_lo, 11, v5
	s_or_b32 s5, vcc_lo, s5
	s_waitcnt vmcnt(1) lgkmcnt(0)
	v_mul_f32_e32 v115, v112, v113
	v_mul_f32_e32 v113, v111, v113
	s_waitcnt vmcnt(0)
	v_fma_f32 v111, v111, v114, -v115
	v_fmac_f32_e32 v113, v112, v114
	v_add_f32_e32 v8, v8, v111
	v_add_f32_e32 v2, v2, v113
	s_andn2_b32 exec_lo, exec_lo, s5
	s_cbranch_execnz .LBB114_65
; %bb.66:
	s_or_b32 exec_lo, exec_lo, s5
	v_mov_b32_e32 v5, 0
	ds_read_b64 v[5:6], v5 offset:104
	s_waitcnt lgkmcnt(0)
	v_mul_f32_e32 v7, v2, v6
	v_mul_f32_e32 v6, v8, v6
	v_fma_f32 v7, v8, v5, -v7
	v_fmac_f32_e32 v6, v2, v5
	buffer_store_dword v7, off, s[0:3], 0 offset:104
	buffer_store_dword v6, off, s[0:3], 0 offset:108
.LBB114_67:
	s_or_b32 exec_lo, exec_lo, s4
	s_waitcnt_vscnt null, 0x0
	s_barrier
	buffer_gl0_inv
	s_clause 0x1
	buffer_load_dword v5, off, s[0:3], 0 offset:112
	buffer_load_dword v6, off, s[0:3], 0 offset:116
	s_mov_b32 s4, exec_lo
	s_waitcnt vmcnt(0)
	ds_write_b64 v4, v[5:6]
	s_waitcnt lgkmcnt(0)
	s_barrier
	buffer_gl0_inv
	v_cmpx_gt_u32_e32 14, v0
	s_cbranch_execz .LBB114_71
; %bb.68:
	v_add_nc_u32_e32 v5, -1, v0
	v_add_nc_u32_e32 v6, 0x1a0, v3
	v_mov_b32_e32 v7, v3
	v_mov_b32_e32 v2, 0
	;; [unrolled: 1-line block ×3, first 2 shown]
	s_mov_b32 s5, 0
	.p2align	6
.LBB114_69:                             ; =>This Inner Loop Header: Depth=1
	s_clause 0x1
	buffer_load_dword v113, v7, s[0:3], 0 offen offset:4
	buffer_load_dword v114, v7, s[0:3], 0 offen
	ds_read_b64 v[111:112], v6
	v_add_nc_u32_e32 v5, 1, v5
	v_add_nc_u32_e32 v6, 8, v6
	v_add_nc_u32_e32 v7, 8, v7
	v_cmp_lt_u32_e32 vcc_lo, 12, v5
	s_or_b32 s5, vcc_lo, s5
	s_waitcnt vmcnt(1) lgkmcnt(0)
	v_mul_f32_e32 v115, v112, v113
	v_mul_f32_e32 v113, v111, v113
	s_waitcnt vmcnt(0)
	v_fma_f32 v111, v111, v114, -v115
	v_fmac_f32_e32 v113, v112, v114
	v_add_f32_e32 v8, v8, v111
	v_add_f32_e32 v2, v2, v113
	s_andn2_b32 exec_lo, exec_lo, s5
	s_cbranch_execnz .LBB114_69
; %bb.70:
	s_or_b32 exec_lo, exec_lo, s5
	v_mov_b32_e32 v5, 0
	ds_read_b64 v[5:6], v5 offset:112
	s_waitcnt lgkmcnt(0)
	v_mul_f32_e32 v7, v2, v6
	v_mul_f32_e32 v6, v8, v6
	v_fma_f32 v7, v8, v5, -v7
	v_fmac_f32_e32 v6, v2, v5
	buffer_store_dword v7, off, s[0:3], 0 offset:112
	buffer_store_dword v6, off, s[0:3], 0 offset:116
.LBB114_71:
	s_or_b32 exec_lo, exec_lo, s4
	s_waitcnt_vscnt null, 0x0
	s_barrier
	buffer_gl0_inv
	s_clause 0x1
	buffer_load_dword v5, off, s[0:3], 0 offset:120
	buffer_load_dword v6, off, s[0:3], 0 offset:124
	s_mov_b32 s4, exec_lo
	s_waitcnt vmcnt(0)
	ds_write_b64 v4, v[5:6]
	s_waitcnt lgkmcnt(0)
	s_barrier
	buffer_gl0_inv
	v_cmpx_gt_u32_e32 15, v0
	s_cbranch_execz .LBB114_75
; %bb.72:
	v_add_nc_u32_e32 v5, -1, v0
	v_add_nc_u32_e32 v6, 0x1a0, v3
	v_mov_b32_e32 v7, v3
	v_mov_b32_e32 v2, 0
	v_mov_b32_e32 v8, 0
	s_mov_b32 s5, 0
	.p2align	6
.LBB114_73:                             ; =>This Inner Loop Header: Depth=1
	s_clause 0x1
	buffer_load_dword v113, v7, s[0:3], 0 offen offset:4
	buffer_load_dword v114, v7, s[0:3], 0 offen
	ds_read_b64 v[111:112], v6
	v_add_nc_u32_e32 v5, 1, v5
	v_add_nc_u32_e32 v6, 8, v6
	v_add_nc_u32_e32 v7, 8, v7
	v_cmp_lt_u32_e32 vcc_lo, 13, v5
	s_or_b32 s5, vcc_lo, s5
	s_waitcnt vmcnt(1) lgkmcnt(0)
	v_mul_f32_e32 v115, v112, v113
	v_mul_f32_e32 v113, v111, v113
	s_waitcnt vmcnt(0)
	v_fma_f32 v111, v111, v114, -v115
	v_fmac_f32_e32 v113, v112, v114
	v_add_f32_e32 v8, v8, v111
	v_add_f32_e32 v2, v2, v113
	s_andn2_b32 exec_lo, exec_lo, s5
	s_cbranch_execnz .LBB114_73
; %bb.74:
	s_or_b32 exec_lo, exec_lo, s5
	v_mov_b32_e32 v5, 0
	ds_read_b64 v[5:6], v5 offset:120
	s_waitcnt lgkmcnt(0)
	v_mul_f32_e32 v7, v2, v6
	v_mul_f32_e32 v6, v8, v6
	v_fma_f32 v7, v8, v5, -v7
	v_fmac_f32_e32 v6, v2, v5
	buffer_store_dword v7, off, s[0:3], 0 offset:120
	buffer_store_dword v6, off, s[0:3], 0 offset:124
.LBB114_75:
	s_or_b32 exec_lo, exec_lo, s4
	s_waitcnt_vscnt null, 0x0
	s_barrier
	buffer_gl0_inv
	s_clause 0x1
	buffer_load_dword v5, off, s[0:3], 0 offset:128
	buffer_load_dword v6, off, s[0:3], 0 offset:132
	s_mov_b32 s4, exec_lo
	s_waitcnt vmcnt(0)
	ds_write_b64 v4, v[5:6]
	s_waitcnt lgkmcnt(0)
	s_barrier
	buffer_gl0_inv
	v_cmpx_gt_u32_e32 16, v0
	s_cbranch_execz .LBB114_79
; %bb.76:
	v_add_nc_u32_e32 v5, -1, v0
	v_add_nc_u32_e32 v6, 0x1a0, v3
	v_mov_b32_e32 v7, v3
	v_mov_b32_e32 v2, 0
	;; [unrolled: 1-line block ×3, first 2 shown]
	s_mov_b32 s5, 0
	.p2align	6
.LBB114_77:                             ; =>This Inner Loop Header: Depth=1
	s_clause 0x1
	buffer_load_dword v113, v7, s[0:3], 0 offen offset:4
	buffer_load_dword v114, v7, s[0:3], 0 offen
	ds_read_b64 v[111:112], v6
	v_add_nc_u32_e32 v5, 1, v5
	v_add_nc_u32_e32 v6, 8, v6
	;; [unrolled: 1-line block ×3, first 2 shown]
	v_cmp_lt_u32_e32 vcc_lo, 14, v5
	s_or_b32 s5, vcc_lo, s5
	s_waitcnt vmcnt(1) lgkmcnt(0)
	v_mul_f32_e32 v115, v112, v113
	v_mul_f32_e32 v113, v111, v113
	s_waitcnt vmcnt(0)
	v_fma_f32 v111, v111, v114, -v115
	v_fmac_f32_e32 v113, v112, v114
	v_add_f32_e32 v8, v8, v111
	v_add_f32_e32 v2, v2, v113
	s_andn2_b32 exec_lo, exec_lo, s5
	s_cbranch_execnz .LBB114_77
; %bb.78:
	s_or_b32 exec_lo, exec_lo, s5
	v_mov_b32_e32 v5, 0
	ds_read_b64 v[5:6], v5 offset:128
	s_waitcnt lgkmcnt(0)
	v_mul_f32_e32 v7, v2, v6
	v_mul_f32_e32 v6, v8, v6
	v_fma_f32 v7, v8, v5, -v7
	v_fmac_f32_e32 v6, v2, v5
	buffer_store_dword v7, off, s[0:3], 0 offset:128
	buffer_store_dword v6, off, s[0:3], 0 offset:132
.LBB114_79:
	s_or_b32 exec_lo, exec_lo, s4
	s_waitcnt_vscnt null, 0x0
	s_barrier
	buffer_gl0_inv
	s_clause 0x1
	buffer_load_dword v5, off, s[0:3], 0 offset:136
	buffer_load_dword v6, off, s[0:3], 0 offset:140
	s_mov_b32 s4, exec_lo
	s_waitcnt vmcnt(0)
	ds_write_b64 v4, v[5:6]
	s_waitcnt lgkmcnt(0)
	s_barrier
	buffer_gl0_inv
	v_cmpx_gt_u32_e32 17, v0
	s_cbranch_execz .LBB114_83
; %bb.80:
	v_add_nc_u32_e32 v5, -1, v0
	v_add_nc_u32_e32 v6, 0x1a0, v3
	v_mov_b32_e32 v7, v3
	v_mov_b32_e32 v2, 0
	;; [unrolled: 1-line block ×3, first 2 shown]
	s_mov_b32 s5, 0
	.p2align	6
.LBB114_81:                             ; =>This Inner Loop Header: Depth=1
	s_clause 0x1
	buffer_load_dword v113, v7, s[0:3], 0 offen offset:4
	buffer_load_dword v114, v7, s[0:3], 0 offen
	ds_read_b64 v[111:112], v6
	v_add_nc_u32_e32 v5, 1, v5
	v_add_nc_u32_e32 v6, 8, v6
	;; [unrolled: 1-line block ×3, first 2 shown]
	v_cmp_lt_u32_e32 vcc_lo, 15, v5
	s_or_b32 s5, vcc_lo, s5
	s_waitcnt vmcnt(1) lgkmcnt(0)
	v_mul_f32_e32 v115, v112, v113
	v_mul_f32_e32 v113, v111, v113
	s_waitcnt vmcnt(0)
	v_fma_f32 v111, v111, v114, -v115
	v_fmac_f32_e32 v113, v112, v114
	v_add_f32_e32 v8, v8, v111
	v_add_f32_e32 v2, v2, v113
	s_andn2_b32 exec_lo, exec_lo, s5
	s_cbranch_execnz .LBB114_81
; %bb.82:
	s_or_b32 exec_lo, exec_lo, s5
	v_mov_b32_e32 v5, 0
	ds_read_b64 v[5:6], v5 offset:136
	s_waitcnt lgkmcnt(0)
	v_mul_f32_e32 v7, v2, v6
	v_mul_f32_e32 v6, v8, v6
	v_fma_f32 v7, v8, v5, -v7
	v_fmac_f32_e32 v6, v2, v5
	buffer_store_dword v7, off, s[0:3], 0 offset:136
	buffer_store_dword v6, off, s[0:3], 0 offset:140
.LBB114_83:
	s_or_b32 exec_lo, exec_lo, s4
	s_waitcnt_vscnt null, 0x0
	s_barrier
	buffer_gl0_inv
	s_clause 0x1
	buffer_load_dword v5, off, s[0:3], 0 offset:144
	buffer_load_dword v6, off, s[0:3], 0 offset:148
	s_mov_b32 s4, exec_lo
	s_waitcnt vmcnt(0)
	ds_write_b64 v4, v[5:6]
	s_waitcnt lgkmcnt(0)
	s_barrier
	buffer_gl0_inv
	v_cmpx_gt_u32_e32 18, v0
	s_cbranch_execz .LBB114_87
; %bb.84:
	v_add_nc_u32_e32 v5, -1, v0
	v_add_nc_u32_e32 v6, 0x1a0, v3
	v_mov_b32_e32 v7, v3
	v_mov_b32_e32 v2, 0
	;; [unrolled: 1-line block ×3, first 2 shown]
	s_mov_b32 s5, 0
	.p2align	6
.LBB114_85:                             ; =>This Inner Loop Header: Depth=1
	s_clause 0x1
	buffer_load_dword v113, v7, s[0:3], 0 offen offset:4
	buffer_load_dword v114, v7, s[0:3], 0 offen
	ds_read_b64 v[111:112], v6
	v_add_nc_u32_e32 v5, 1, v5
	v_add_nc_u32_e32 v6, 8, v6
	;; [unrolled: 1-line block ×3, first 2 shown]
	v_cmp_lt_u32_e32 vcc_lo, 16, v5
	s_or_b32 s5, vcc_lo, s5
	s_waitcnt vmcnt(1) lgkmcnt(0)
	v_mul_f32_e32 v115, v112, v113
	v_mul_f32_e32 v113, v111, v113
	s_waitcnt vmcnt(0)
	v_fma_f32 v111, v111, v114, -v115
	v_fmac_f32_e32 v113, v112, v114
	v_add_f32_e32 v8, v8, v111
	v_add_f32_e32 v2, v2, v113
	s_andn2_b32 exec_lo, exec_lo, s5
	s_cbranch_execnz .LBB114_85
; %bb.86:
	s_or_b32 exec_lo, exec_lo, s5
	v_mov_b32_e32 v5, 0
	ds_read_b64 v[5:6], v5 offset:144
	s_waitcnt lgkmcnt(0)
	v_mul_f32_e32 v7, v2, v6
	v_mul_f32_e32 v6, v8, v6
	v_fma_f32 v7, v8, v5, -v7
	v_fmac_f32_e32 v6, v2, v5
	buffer_store_dword v7, off, s[0:3], 0 offset:144
	buffer_store_dword v6, off, s[0:3], 0 offset:148
.LBB114_87:
	s_or_b32 exec_lo, exec_lo, s4
	s_waitcnt_vscnt null, 0x0
	s_barrier
	buffer_gl0_inv
	s_clause 0x1
	buffer_load_dword v5, off, s[0:3], 0 offset:152
	buffer_load_dword v6, off, s[0:3], 0 offset:156
	s_mov_b32 s4, exec_lo
	s_waitcnt vmcnt(0)
	ds_write_b64 v4, v[5:6]
	s_waitcnt lgkmcnt(0)
	s_barrier
	buffer_gl0_inv
	v_cmpx_gt_u32_e32 19, v0
	s_cbranch_execz .LBB114_91
; %bb.88:
	v_add_nc_u32_e32 v5, -1, v0
	v_add_nc_u32_e32 v6, 0x1a0, v3
	v_mov_b32_e32 v7, v3
	v_mov_b32_e32 v2, 0
	v_mov_b32_e32 v8, 0
	s_mov_b32 s5, 0
	.p2align	6
.LBB114_89:                             ; =>This Inner Loop Header: Depth=1
	s_clause 0x1
	buffer_load_dword v113, v7, s[0:3], 0 offen offset:4
	buffer_load_dword v114, v7, s[0:3], 0 offen
	ds_read_b64 v[111:112], v6
	v_add_nc_u32_e32 v5, 1, v5
	v_add_nc_u32_e32 v6, 8, v6
	;; [unrolled: 1-line block ×3, first 2 shown]
	v_cmp_lt_u32_e32 vcc_lo, 17, v5
	s_or_b32 s5, vcc_lo, s5
	s_waitcnt vmcnt(1) lgkmcnt(0)
	v_mul_f32_e32 v115, v112, v113
	v_mul_f32_e32 v113, v111, v113
	s_waitcnt vmcnt(0)
	v_fma_f32 v111, v111, v114, -v115
	v_fmac_f32_e32 v113, v112, v114
	v_add_f32_e32 v8, v8, v111
	v_add_f32_e32 v2, v2, v113
	s_andn2_b32 exec_lo, exec_lo, s5
	s_cbranch_execnz .LBB114_89
; %bb.90:
	s_or_b32 exec_lo, exec_lo, s5
	v_mov_b32_e32 v5, 0
	ds_read_b64 v[5:6], v5 offset:152
	s_waitcnt lgkmcnt(0)
	v_mul_f32_e32 v7, v2, v6
	v_mul_f32_e32 v6, v8, v6
	v_fma_f32 v7, v8, v5, -v7
	v_fmac_f32_e32 v6, v2, v5
	buffer_store_dword v7, off, s[0:3], 0 offset:152
	buffer_store_dword v6, off, s[0:3], 0 offset:156
.LBB114_91:
	s_or_b32 exec_lo, exec_lo, s4
	s_waitcnt_vscnt null, 0x0
	s_barrier
	buffer_gl0_inv
	s_clause 0x1
	buffer_load_dword v5, off, s[0:3], 0 offset:160
	buffer_load_dword v6, off, s[0:3], 0 offset:164
	s_mov_b32 s4, exec_lo
	s_waitcnt vmcnt(0)
	ds_write_b64 v4, v[5:6]
	s_waitcnt lgkmcnt(0)
	s_barrier
	buffer_gl0_inv
	v_cmpx_gt_u32_e32 20, v0
	s_cbranch_execz .LBB114_95
; %bb.92:
	v_add_nc_u32_e32 v5, -1, v0
	v_add_nc_u32_e32 v6, 0x1a0, v3
	v_mov_b32_e32 v7, v3
	v_mov_b32_e32 v2, 0
	;; [unrolled: 1-line block ×3, first 2 shown]
	s_mov_b32 s5, 0
	.p2align	6
.LBB114_93:                             ; =>This Inner Loop Header: Depth=1
	s_clause 0x1
	buffer_load_dword v113, v7, s[0:3], 0 offen offset:4
	buffer_load_dword v114, v7, s[0:3], 0 offen
	ds_read_b64 v[111:112], v6
	v_add_nc_u32_e32 v5, 1, v5
	v_add_nc_u32_e32 v6, 8, v6
	;; [unrolled: 1-line block ×3, first 2 shown]
	v_cmp_lt_u32_e32 vcc_lo, 18, v5
	s_or_b32 s5, vcc_lo, s5
	s_waitcnt vmcnt(1) lgkmcnt(0)
	v_mul_f32_e32 v115, v112, v113
	v_mul_f32_e32 v113, v111, v113
	s_waitcnt vmcnt(0)
	v_fma_f32 v111, v111, v114, -v115
	v_fmac_f32_e32 v113, v112, v114
	v_add_f32_e32 v8, v8, v111
	v_add_f32_e32 v2, v2, v113
	s_andn2_b32 exec_lo, exec_lo, s5
	s_cbranch_execnz .LBB114_93
; %bb.94:
	s_or_b32 exec_lo, exec_lo, s5
	v_mov_b32_e32 v5, 0
	ds_read_b64 v[5:6], v5 offset:160
	s_waitcnt lgkmcnt(0)
	v_mul_f32_e32 v7, v2, v6
	v_mul_f32_e32 v6, v8, v6
	v_fma_f32 v7, v8, v5, -v7
	v_fmac_f32_e32 v6, v2, v5
	buffer_store_dword v7, off, s[0:3], 0 offset:160
	buffer_store_dword v6, off, s[0:3], 0 offset:164
.LBB114_95:
	s_or_b32 exec_lo, exec_lo, s4
	s_waitcnt_vscnt null, 0x0
	s_barrier
	buffer_gl0_inv
	s_clause 0x1
	buffer_load_dword v5, off, s[0:3], 0 offset:168
	buffer_load_dword v6, off, s[0:3], 0 offset:172
	s_mov_b32 s4, exec_lo
	s_waitcnt vmcnt(0)
	ds_write_b64 v4, v[5:6]
	s_waitcnt lgkmcnt(0)
	s_barrier
	buffer_gl0_inv
	v_cmpx_gt_u32_e32 21, v0
	s_cbranch_execz .LBB114_99
; %bb.96:
	v_add_nc_u32_e32 v5, -1, v0
	v_add_nc_u32_e32 v6, 0x1a0, v3
	v_mov_b32_e32 v7, v3
	v_mov_b32_e32 v2, 0
	;; [unrolled: 1-line block ×3, first 2 shown]
	s_mov_b32 s5, 0
	.p2align	6
.LBB114_97:                             ; =>This Inner Loop Header: Depth=1
	s_clause 0x1
	buffer_load_dword v113, v7, s[0:3], 0 offen offset:4
	buffer_load_dword v114, v7, s[0:3], 0 offen
	ds_read_b64 v[111:112], v6
	v_add_nc_u32_e32 v5, 1, v5
	v_add_nc_u32_e32 v6, 8, v6
	;; [unrolled: 1-line block ×3, first 2 shown]
	v_cmp_lt_u32_e32 vcc_lo, 19, v5
	s_or_b32 s5, vcc_lo, s5
	s_waitcnt vmcnt(1) lgkmcnt(0)
	v_mul_f32_e32 v115, v112, v113
	v_mul_f32_e32 v113, v111, v113
	s_waitcnt vmcnt(0)
	v_fma_f32 v111, v111, v114, -v115
	v_fmac_f32_e32 v113, v112, v114
	v_add_f32_e32 v8, v8, v111
	v_add_f32_e32 v2, v2, v113
	s_andn2_b32 exec_lo, exec_lo, s5
	s_cbranch_execnz .LBB114_97
; %bb.98:
	s_or_b32 exec_lo, exec_lo, s5
	v_mov_b32_e32 v5, 0
	ds_read_b64 v[5:6], v5 offset:168
	s_waitcnt lgkmcnt(0)
	v_mul_f32_e32 v7, v2, v6
	v_mul_f32_e32 v6, v8, v6
	v_fma_f32 v7, v8, v5, -v7
	v_fmac_f32_e32 v6, v2, v5
	buffer_store_dword v7, off, s[0:3], 0 offset:168
	buffer_store_dword v6, off, s[0:3], 0 offset:172
.LBB114_99:
	s_or_b32 exec_lo, exec_lo, s4
	s_waitcnt_vscnt null, 0x0
	s_barrier
	buffer_gl0_inv
	s_clause 0x1
	buffer_load_dword v5, off, s[0:3], 0 offset:176
	buffer_load_dword v6, off, s[0:3], 0 offset:180
	s_mov_b32 s4, exec_lo
	s_waitcnt vmcnt(0)
	ds_write_b64 v4, v[5:6]
	s_waitcnt lgkmcnt(0)
	s_barrier
	buffer_gl0_inv
	v_cmpx_gt_u32_e32 22, v0
	s_cbranch_execz .LBB114_103
; %bb.100:
	v_add_nc_u32_e32 v5, -1, v0
	v_add_nc_u32_e32 v6, 0x1a0, v3
	v_mov_b32_e32 v7, v3
	v_mov_b32_e32 v2, 0
	;; [unrolled: 1-line block ×3, first 2 shown]
	s_mov_b32 s5, 0
	.p2align	6
.LBB114_101:                            ; =>This Inner Loop Header: Depth=1
	s_clause 0x1
	buffer_load_dword v113, v7, s[0:3], 0 offen offset:4
	buffer_load_dword v114, v7, s[0:3], 0 offen
	ds_read_b64 v[111:112], v6
	v_add_nc_u32_e32 v5, 1, v5
	v_add_nc_u32_e32 v6, 8, v6
	;; [unrolled: 1-line block ×3, first 2 shown]
	v_cmp_lt_u32_e32 vcc_lo, 20, v5
	s_or_b32 s5, vcc_lo, s5
	s_waitcnt vmcnt(1) lgkmcnt(0)
	v_mul_f32_e32 v115, v112, v113
	v_mul_f32_e32 v113, v111, v113
	s_waitcnt vmcnt(0)
	v_fma_f32 v111, v111, v114, -v115
	v_fmac_f32_e32 v113, v112, v114
	v_add_f32_e32 v8, v8, v111
	v_add_f32_e32 v2, v2, v113
	s_andn2_b32 exec_lo, exec_lo, s5
	s_cbranch_execnz .LBB114_101
; %bb.102:
	s_or_b32 exec_lo, exec_lo, s5
	v_mov_b32_e32 v5, 0
	ds_read_b64 v[5:6], v5 offset:176
	s_waitcnt lgkmcnt(0)
	v_mul_f32_e32 v7, v2, v6
	v_mul_f32_e32 v6, v8, v6
	v_fma_f32 v7, v8, v5, -v7
	v_fmac_f32_e32 v6, v2, v5
	buffer_store_dword v7, off, s[0:3], 0 offset:176
	buffer_store_dword v6, off, s[0:3], 0 offset:180
.LBB114_103:
	s_or_b32 exec_lo, exec_lo, s4
	s_waitcnt_vscnt null, 0x0
	s_barrier
	buffer_gl0_inv
	s_clause 0x1
	buffer_load_dword v5, off, s[0:3], 0 offset:184
	buffer_load_dword v6, off, s[0:3], 0 offset:188
	s_mov_b32 s4, exec_lo
	s_waitcnt vmcnt(0)
	ds_write_b64 v4, v[5:6]
	s_waitcnt lgkmcnt(0)
	s_barrier
	buffer_gl0_inv
	v_cmpx_gt_u32_e32 23, v0
	s_cbranch_execz .LBB114_107
; %bb.104:
	v_add_nc_u32_e32 v5, -1, v0
	v_add_nc_u32_e32 v6, 0x1a0, v3
	v_mov_b32_e32 v7, v3
	v_mov_b32_e32 v2, 0
	;; [unrolled: 1-line block ×3, first 2 shown]
	s_mov_b32 s5, 0
	.p2align	6
.LBB114_105:                            ; =>This Inner Loop Header: Depth=1
	s_clause 0x1
	buffer_load_dword v113, v7, s[0:3], 0 offen offset:4
	buffer_load_dword v114, v7, s[0:3], 0 offen
	ds_read_b64 v[111:112], v6
	v_add_nc_u32_e32 v5, 1, v5
	v_add_nc_u32_e32 v6, 8, v6
	;; [unrolled: 1-line block ×3, first 2 shown]
	v_cmp_lt_u32_e32 vcc_lo, 21, v5
	s_or_b32 s5, vcc_lo, s5
	s_waitcnt vmcnt(1) lgkmcnt(0)
	v_mul_f32_e32 v115, v112, v113
	v_mul_f32_e32 v113, v111, v113
	s_waitcnt vmcnt(0)
	v_fma_f32 v111, v111, v114, -v115
	v_fmac_f32_e32 v113, v112, v114
	v_add_f32_e32 v8, v8, v111
	v_add_f32_e32 v2, v2, v113
	s_andn2_b32 exec_lo, exec_lo, s5
	s_cbranch_execnz .LBB114_105
; %bb.106:
	s_or_b32 exec_lo, exec_lo, s5
	v_mov_b32_e32 v5, 0
	ds_read_b64 v[5:6], v5 offset:184
	s_waitcnt lgkmcnt(0)
	v_mul_f32_e32 v7, v2, v6
	v_mul_f32_e32 v6, v8, v6
	v_fma_f32 v7, v8, v5, -v7
	v_fmac_f32_e32 v6, v2, v5
	buffer_store_dword v7, off, s[0:3], 0 offset:184
	buffer_store_dword v6, off, s[0:3], 0 offset:188
.LBB114_107:
	s_or_b32 exec_lo, exec_lo, s4
	s_waitcnt_vscnt null, 0x0
	s_barrier
	buffer_gl0_inv
	s_clause 0x1
	buffer_load_dword v5, off, s[0:3], 0 offset:192
	buffer_load_dword v6, off, s[0:3], 0 offset:196
	s_mov_b32 s4, exec_lo
	s_waitcnt vmcnt(0)
	ds_write_b64 v4, v[5:6]
	s_waitcnt lgkmcnt(0)
	s_barrier
	buffer_gl0_inv
	v_cmpx_gt_u32_e32 24, v0
	s_cbranch_execz .LBB114_111
; %bb.108:
	v_add_nc_u32_e32 v5, -1, v0
	v_add_nc_u32_e32 v6, 0x1a0, v3
	v_mov_b32_e32 v7, v3
	v_mov_b32_e32 v2, 0
	;; [unrolled: 1-line block ×3, first 2 shown]
	s_mov_b32 s5, 0
	.p2align	6
.LBB114_109:                            ; =>This Inner Loop Header: Depth=1
	s_clause 0x1
	buffer_load_dword v113, v7, s[0:3], 0 offen offset:4
	buffer_load_dword v114, v7, s[0:3], 0 offen
	ds_read_b64 v[111:112], v6
	v_add_nc_u32_e32 v5, 1, v5
	v_add_nc_u32_e32 v6, 8, v6
	v_add_nc_u32_e32 v7, 8, v7
	v_cmp_lt_u32_e32 vcc_lo, 22, v5
	s_or_b32 s5, vcc_lo, s5
	s_waitcnt vmcnt(1) lgkmcnt(0)
	v_mul_f32_e32 v115, v112, v113
	v_mul_f32_e32 v113, v111, v113
	s_waitcnt vmcnt(0)
	v_fma_f32 v111, v111, v114, -v115
	v_fmac_f32_e32 v113, v112, v114
	v_add_f32_e32 v8, v8, v111
	v_add_f32_e32 v2, v2, v113
	s_andn2_b32 exec_lo, exec_lo, s5
	s_cbranch_execnz .LBB114_109
; %bb.110:
	s_or_b32 exec_lo, exec_lo, s5
	v_mov_b32_e32 v5, 0
	ds_read_b64 v[5:6], v5 offset:192
	s_waitcnt lgkmcnt(0)
	v_mul_f32_e32 v7, v2, v6
	v_mul_f32_e32 v6, v8, v6
	v_fma_f32 v7, v8, v5, -v7
	v_fmac_f32_e32 v6, v2, v5
	buffer_store_dword v7, off, s[0:3], 0 offset:192
	buffer_store_dword v6, off, s[0:3], 0 offset:196
.LBB114_111:
	s_or_b32 exec_lo, exec_lo, s4
	s_waitcnt_vscnt null, 0x0
	s_barrier
	buffer_gl0_inv
	s_clause 0x1
	buffer_load_dword v5, off, s[0:3], 0 offset:200
	buffer_load_dword v6, off, s[0:3], 0 offset:204
	s_mov_b32 s4, exec_lo
	s_waitcnt vmcnt(0)
	ds_write_b64 v4, v[5:6]
	s_waitcnt lgkmcnt(0)
	s_barrier
	buffer_gl0_inv
	v_cmpx_gt_u32_e32 25, v0
	s_cbranch_execz .LBB114_115
; %bb.112:
	v_add_nc_u32_e32 v5, -1, v0
	v_add_nc_u32_e32 v6, 0x1a0, v3
	v_mov_b32_e32 v7, v3
	v_mov_b32_e32 v2, 0
	v_mov_b32_e32 v8, 0
	s_mov_b32 s5, 0
	.p2align	6
.LBB114_113:                            ; =>This Inner Loop Header: Depth=1
	s_clause 0x1
	buffer_load_dword v113, v7, s[0:3], 0 offen offset:4
	buffer_load_dword v114, v7, s[0:3], 0 offen
	ds_read_b64 v[111:112], v6
	v_add_nc_u32_e32 v5, 1, v5
	v_add_nc_u32_e32 v6, 8, v6
	;; [unrolled: 1-line block ×3, first 2 shown]
	v_cmp_lt_u32_e32 vcc_lo, 23, v5
	s_or_b32 s5, vcc_lo, s5
	s_waitcnt vmcnt(1) lgkmcnt(0)
	v_mul_f32_e32 v115, v112, v113
	v_mul_f32_e32 v113, v111, v113
	s_waitcnt vmcnt(0)
	v_fma_f32 v111, v111, v114, -v115
	v_fmac_f32_e32 v113, v112, v114
	v_add_f32_e32 v8, v8, v111
	v_add_f32_e32 v2, v2, v113
	s_andn2_b32 exec_lo, exec_lo, s5
	s_cbranch_execnz .LBB114_113
; %bb.114:
	s_or_b32 exec_lo, exec_lo, s5
	v_mov_b32_e32 v5, 0
	ds_read_b64 v[5:6], v5 offset:200
	s_waitcnt lgkmcnt(0)
	v_mul_f32_e32 v7, v2, v6
	v_mul_f32_e32 v6, v8, v6
	v_fma_f32 v7, v8, v5, -v7
	v_fmac_f32_e32 v6, v2, v5
	buffer_store_dword v7, off, s[0:3], 0 offset:200
	buffer_store_dword v6, off, s[0:3], 0 offset:204
.LBB114_115:
	s_or_b32 exec_lo, exec_lo, s4
	s_waitcnt_vscnt null, 0x0
	s_barrier
	buffer_gl0_inv
	s_clause 0x1
	buffer_load_dword v5, off, s[0:3], 0 offset:208
	buffer_load_dword v6, off, s[0:3], 0 offset:212
	s_mov_b32 s4, exec_lo
	s_waitcnt vmcnt(0)
	ds_write_b64 v4, v[5:6]
	s_waitcnt lgkmcnt(0)
	s_barrier
	buffer_gl0_inv
	v_cmpx_gt_u32_e32 26, v0
	s_cbranch_execz .LBB114_119
; %bb.116:
	v_add_nc_u32_e32 v5, -1, v0
	v_add_nc_u32_e32 v6, 0x1a0, v3
	v_mov_b32_e32 v7, v3
	v_mov_b32_e32 v2, 0
	;; [unrolled: 1-line block ×3, first 2 shown]
	s_mov_b32 s5, 0
	.p2align	6
.LBB114_117:                            ; =>This Inner Loop Header: Depth=1
	s_clause 0x1
	buffer_load_dword v113, v7, s[0:3], 0 offen offset:4
	buffer_load_dword v114, v7, s[0:3], 0 offen
	ds_read_b64 v[111:112], v6
	v_add_nc_u32_e32 v5, 1, v5
	v_add_nc_u32_e32 v6, 8, v6
	;; [unrolled: 1-line block ×3, first 2 shown]
	v_cmp_lt_u32_e32 vcc_lo, 24, v5
	s_or_b32 s5, vcc_lo, s5
	s_waitcnt vmcnt(1) lgkmcnt(0)
	v_mul_f32_e32 v115, v112, v113
	v_mul_f32_e32 v113, v111, v113
	s_waitcnt vmcnt(0)
	v_fma_f32 v111, v111, v114, -v115
	v_fmac_f32_e32 v113, v112, v114
	v_add_f32_e32 v8, v8, v111
	v_add_f32_e32 v2, v2, v113
	s_andn2_b32 exec_lo, exec_lo, s5
	s_cbranch_execnz .LBB114_117
; %bb.118:
	s_or_b32 exec_lo, exec_lo, s5
	v_mov_b32_e32 v5, 0
	ds_read_b64 v[5:6], v5 offset:208
	s_waitcnt lgkmcnt(0)
	v_mul_f32_e32 v7, v2, v6
	v_mul_f32_e32 v6, v8, v6
	v_fma_f32 v7, v8, v5, -v7
	v_fmac_f32_e32 v6, v2, v5
	buffer_store_dword v7, off, s[0:3], 0 offset:208
	buffer_store_dword v6, off, s[0:3], 0 offset:212
.LBB114_119:
	s_or_b32 exec_lo, exec_lo, s4
	s_waitcnt_vscnt null, 0x0
	s_barrier
	buffer_gl0_inv
	s_clause 0x1
	buffer_load_dword v5, off, s[0:3], 0 offset:216
	buffer_load_dword v6, off, s[0:3], 0 offset:220
	s_mov_b32 s4, exec_lo
	s_waitcnt vmcnt(0)
	ds_write_b64 v4, v[5:6]
	s_waitcnt lgkmcnt(0)
	s_barrier
	buffer_gl0_inv
	v_cmpx_gt_u32_e32 27, v0
	s_cbranch_execz .LBB114_123
; %bb.120:
	v_add_nc_u32_e32 v5, -1, v0
	v_add_nc_u32_e32 v6, 0x1a0, v3
	v_mov_b32_e32 v7, v3
	v_mov_b32_e32 v2, 0
	;; [unrolled: 1-line block ×3, first 2 shown]
	s_mov_b32 s5, 0
	.p2align	6
.LBB114_121:                            ; =>This Inner Loop Header: Depth=1
	s_clause 0x1
	buffer_load_dword v113, v7, s[0:3], 0 offen offset:4
	buffer_load_dword v114, v7, s[0:3], 0 offen
	ds_read_b64 v[111:112], v6
	v_add_nc_u32_e32 v5, 1, v5
	v_add_nc_u32_e32 v6, 8, v6
	;; [unrolled: 1-line block ×3, first 2 shown]
	v_cmp_lt_u32_e32 vcc_lo, 25, v5
	s_or_b32 s5, vcc_lo, s5
	s_waitcnt vmcnt(1) lgkmcnt(0)
	v_mul_f32_e32 v115, v112, v113
	v_mul_f32_e32 v113, v111, v113
	s_waitcnt vmcnt(0)
	v_fma_f32 v111, v111, v114, -v115
	v_fmac_f32_e32 v113, v112, v114
	v_add_f32_e32 v8, v8, v111
	v_add_f32_e32 v2, v2, v113
	s_andn2_b32 exec_lo, exec_lo, s5
	s_cbranch_execnz .LBB114_121
; %bb.122:
	s_or_b32 exec_lo, exec_lo, s5
	v_mov_b32_e32 v5, 0
	ds_read_b64 v[5:6], v5 offset:216
	s_waitcnt lgkmcnt(0)
	v_mul_f32_e32 v7, v2, v6
	v_mul_f32_e32 v6, v8, v6
	v_fma_f32 v7, v8, v5, -v7
	v_fmac_f32_e32 v6, v2, v5
	buffer_store_dword v7, off, s[0:3], 0 offset:216
	buffer_store_dword v6, off, s[0:3], 0 offset:220
.LBB114_123:
	s_or_b32 exec_lo, exec_lo, s4
	s_waitcnt_vscnt null, 0x0
	s_barrier
	buffer_gl0_inv
	s_clause 0x1
	buffer_load_dword v5, off, s[0:3], 0 offset:224
	buffer_load_dword v6, off, s[0:3], 0 offset:228
	s_mov_b32 s4, exec_lo
	s_waitcnt vmcnt(0)
	ds_write_b64 v4, v[5:6]
	s_waitcnt lgkmcnt(0)
	s_barrier
	buffer_gl0_inv
	v_cmpx_gt_u32_e32 28, v0
	s_cbranch_execz .LBB114_127
; %bb.124:
	v_add_nc_u32_e32 v5, -1, v0
	v_add_nc_u32_e32 v6, 0x1a0, v3
	v_mov_b32_e32 v7, v3
	v_mov_b32_e32 v2, 0
	;; [unrolled: 1-line block ×3, first 2 shown]
	s_mov_b32 s5, 0
	.p2align	6
.LBB114_125:                            ; =>This Inner Loop Header: Depth=1
	s_clause 0x1
	buffer_load_dword v113, v7, s[0:3], 0 offen offset:4
	buffer_load_dword v114, v7, s[0:3], 0 offen
	ds_read_b64 v[111:112], v6
	v_add_nc_u32_e32 v5, 1, v5
	v_add_nc_u32_e32 v6, 8, v6
	v_add_nc_u32_e32 v7, 8, v7
	v_cmp_lt_u32_e32 vcc_lo, 26, v5
	s_or_b32 s5, vcc_lo, s5
	s_waitcnt vmcnt(1) lgkmcnt(0)
	v_mul_f32_e32 v115, v112, v113
	v_mul_f32_e32 v113, v111, v113
	s_waitcnt vmcnt(0)
	v_fma_f32 v111, v111, v114, -v115
	v_fmac_f32_e32 v113, v112, v114
	v_add_f32_e32 v8, v8, v111
	v_add_f32_e32 v2, v2, v113
	s_andn2_b32 exec_lo, exec_lo, s5
	s_cbranch_execnz .LBB114_125
; %bb.126:
	s_or_b32 exec_lo, exec_lo, s5
	v_mov_b32_e32 v5, 0
	ds_read_b64 v[5:6], v5 offset:224
	s_waitcnt lgkmcnt(0)
	v_mul_f32_e32 v7, v2, v6
	v_mul_f32_e32 v6, v8, v6
	v_fma_f32 v7, v8, v5, -v7
	v_fmac_f32_e32 v6, v2, v5
	buffer_store_dword v7, off, s[0:3], 0 offset:224
	buffer_store_dword v6, off, s[0:3], 0 offset:228
.LBB114_127:
	s_or_b32 exec_lo, exec_lo, s4
	s_waitcnt_vscnt null, 0x0
	s_barrier
	buffer_gl0_inv
	s_clause 0x1
	buffer_load_dword v5, off, s[0:3], 0 offset:232
	buffer_load_dword v6, off, s[0:3], 0 offset:236
	s_mov_b32 s4, exec_lo
	s_waitcnt vmcnt(0)
	ds_write_b64 v4, v[5:6]
	s_waitcnt lgkmcnt(0)
	s_barrier
	buffer_gl0_inv
	v_cmpx_gt_u32_e32 29, v0
	s_cbranch_execz .LBB114_131
; %bb.128:
	v_add_nc_u32_e32 v5, -1, v0
	v_add_nc_u32_e32 v6, 0x1a0, v3
	v_mov_b32_e32 v7, v3
	v_mov_b32_e32 v2, 0
	;; [unrolled: 1-line block ×3, first 2 shown]
	s_mov_b32 s5, 0
	.p2align	6
.LBB114_129:                            ; =>This Inner Loop Header: Depth=1
	s_clause 0x1
	buffer_load_dword v113, v7, s[0:3], 0 offen offset:4
	buffer_load_dword v114, v7, s[0:3], 0 offen
	ds_read_b64 v[111:112], v6
	v_add_nc_u32_e32 v5, 1, v5
	v_add_nc_u32_e32 v6, 8, v6
	;; [unrolled: 1-line block ×3, first 2 shown]
	v_cmp_lt_u32_e32 vcc_lo, 27, v5
	s_or_b32 s5, vcc_lo, s5
	s_waitcnt vmcnt(1) lgkmcnt(0)
	v_mul_f32_e32 v115, v112, v113
	v_mul_f32_e32 v113, v111, v113
	s_waitcnt vmcnt(0)
	v_fma_f32 v111, v111, v114, -v115
	v_fmac_f32_e32 v113, v112, v114
	v_add_f32_e32 v8, v8, v111
	v_add_f32_e32 v2, v2, v113
	s_andn2_b32 exec_lo, exec_lo, s5
	s_cbranch_execnz .LBB114_129
; %bb.130:
	s_or_b32 exec_lo, exec_lo, s5
	v_mov_b32_e32 v5, 0
	ds_read_b64 v[5:6], v5 offset:232
	s_waitcnt lgkmcnt(0)
	v_mul_f32_e32 v7, v2, v6
	v_mul_f32_e32 v6, v8, v6
	v_fma_f32 v7, v8, v5, -v7
	v_fmac_f32_e32 v6, v2, v5
	buffer_store_dword v7, off, s[0:3], 0 offset:232
	buffer_store_dword v6, off, s[0:3], 0 offset:236
.LBB114_131:
	s_or_b32 exec_lo, exec_lo, s4
	s_waitcnt_vscnt null, 0x0
	s_barrier
	buffer_gl0_inv
	s_clause 0x1
	buffer_load_dword v5, off, s[0:3], 0 offset:240
	buffer_load_dword v6, off, s[0:3], 0 offset:244
	s_mov_b32 s4, exec_lo
	s_waitcnt vmcnt(0)
	ds_write_b64 v4, v[5:6]
	s_waitcnt lgkmcnt(0)
	s_barrier
	buffer_gl0_inv
	v_cmpx_gt_u32_e32 30, v0
	s_cbranch_execz .LBB114_135
; %bb.132:
	v_add_nc_u32_e32 v5, -1, v0
	v_add_nc_u32_e32 v6, 0x1a0, v3
	v_mov_b32_e32 v7, v3
	v_mov_b32_e32 v2, 0
	;; [unrolled: 1-line block ×3, first 2 shown]
	s_mov_b32 s5, 0
	.p2align	6
.LBB114_133:                            ; =>This Inner Loop Header: Depth=1
	s_clause 0x1
	buffer_load_dword v113, v7, s[0:3], 0 offen offset:4
	buffer_load_dword v114, v7, s[0:3], 0 offen
	ds_read_b64 v[111:112], v6
	v_add_nc_u32_e32 v5, 1, v5
	v_add_nc_u32_e32 v6, 8, v6
	;; [unrolled: 1-line block ×3, first 2 shown]
	v_cmp_lt_u32_e32 vcc_lo, 28, v5
	s_or_b32 s5, vcc_lo, s5
	s_waitcnt vmcnt(1) lgkmcnt(0)
	v_mul_f32_e32 v115, v112, v113
	v_mul_f32_e32 v113, v111, v113
	s_waitcnt vmcnt(0)
	v_fma_f32 v111, v111, v114, -v115
	v_fmac_f32_e32 v113, v112, v114
	v_add_f32_e32 v8, v8, v111
	v_add_f32_e32 v2, v2, v113
	s_andn2_b32 exec_lo, exec_lo, s5
	s_cbranch_execnz .LBB114_133
; %bb.134:
	s_or_b32 exec_lo, exec_lo, s5
	v_mov_b32_e32 v5, 0
	ds_read_b64 v[5:6], v5 offset:240
	s_waitcnt lgkmcnt(0)
	v_mul_f32_e32 v7, v2, v6
	v_mul_f32_e32 v6, v8, v6
	v_fma_f32 v7, v8, v5, -v7
	v_fmac_f32_e32 v6, v2, v5
	buffer_store_dword v7, off, s[0:3], 0 offset:240
	buffer_store_dword v6, off, s[0:3], 0 offset:244
.LBB114_135:
	s_or_b32 exec_lo, exec_lo, s4
	s_waitcnt_vscnt null, 0x0
	s_barrier
	buffer_gl0_inv
	s_clause 0x1
	buffer_load_dword v5, off, s[0:3], 0 offset:248
	buffer_load_dword v6, off, s[0:3], 0 offset:252
	s_mov_b32 s4, exec_lo
	s_waitcnt vmcnt(0)
	ds_write_b64 v4, v[5:6]
	s_waitcnt lgkmcnt(0)
	s_barrier
	buffer_gl0_inv
	v_cmpx_gt_u32_e32 31, v0
	s_cbranch_execz .LBB114_139
; %bb.136:
	v_add_nc_u32_e32 v5, -1, v0
	v_add_nc_u32_e32 v6, 0x1a0, v3
	v_mov_b32_e32 v7, v3
	v_mov_b32_e32 v2, 0
	;; [unrolled: 1-line block ×3, first 2 shown]
	s_mov_b32 s5, 0
	.p2align	6
.LBB114_137:                            ; =>This Inner Loop Header: Depth=1
	s_clause 0x1
	buffer_load_dword v113, v7, s[0:3], 0 offen offset:4
	buffer_load_dword v114, v7, s[0:3], 0 offen
	ds_read_b64 v[111:112], v6
	v_add_nc_u32_e32 v5, 1, v5
	v_add_nc_u32_e32 v6, 8, v6
	;; [unrolled: 1-line block ×3, first 2 shown]
	v_cmp_lt_u32_e32 vcc_lo, 29, v5
	s_or_b32 s5, vcc_lo, s5
	s_waitcnt vmcnt(1) lgkmcnt(0)
	v_mul_f32_e32 v115, v112, v113
	v_mul_f32_e32 v113, v111, v113
	s_waitcnt vmcnt(0)
	v_fma_f32 v111, v111, v114, -v115
	v_fmac_f32_e32 v113, v112, v114
	v_add_f32_e32 v8, v8, v111
	v_add_f32_e32 v2, v2, v113
	s_andn2_b32 exec_lo, exec_lo, s5
	s_cbranch_execnz .LBB114_137
; %bb.138:
	s_or_b32 exec_lo, exec_lo, s5
	v_mov_b32_e32 v5, 0
	ds_read_b64 v[5:6], v5 offset:248
	s_waitcnt lgkmcnt(0)
	v_mul_f32_e32 v7, v2, v6
	v_mul_f32_e32 v6, v8, v6
	v_fma_f32 v7, v8, v5, -v7
	v_fmac_f32_e32 v6, v2, v5
	buffer_store_dword v7, off, s[0:3], 0 offset:248
	buffer_store_dword v6, off, s[0:3], 0 offset:252
.LBB114_139:
	s_or_b32 exec_lo, exec_lo, s4
	s_waitcnt_vscnt null, 0x0
	s_barrier
	buffer_gl0_inv
	s_clause 0x1
	buffer_load_dword v5, off, s[0:3], 0 offset:256
	buffer_load_dword v6, off, s[0:3], 0 offset:260
	s_mov_b32 s4, exec_lo
	s_waitcnt vmcnt(0)
	ds_write_b64 v4, v[5:6]
	s_waitcnt lgkmcnt(0)
	s_barrier
	buffer_gl0_inv
	v_cmpx_gt_u32_e32 32, v0
	s_cbranch_execz .LBB114_143
; %bb.140:
	v_add_nc_u32_e32 v5, -1, v0
	v_add_nc_u32_e32 v6, 0x1a0, v3
	v_mov_b32_e32 v7, v3
	v_mov_b32_e32 v2, 0
	;; [unrolled: 1-line block ×3, first 2 shown]
	s_mov_b32 s5, 0
	.p2align	6
.LBB114_141:                            ; =>This Inner Loop Header: Depth=1
	s_clause 0x1
	buffer_load_dword v113, v7, s[0:3], 0 offen offset:4
	buffer_load_dword v114, v7, s[0:3], 0 offen
	ds_read_b64 v[111:112], v6
	v_add_nc_u32_e32 v5, 1, v5
	v_add_nc_u32_e32 v6, 8, v6
	;; [unrolled: 1-line block ×3, first 2 shown]
	v_cmp_lt_u32_e32 vcc_lo, 30, v5
	s_or_b32 s5, vcc_lo, s5
	s_waitcnt vmcnt(1) lgkmcnt(0)
	v_mul_f32_e32 v115, v112, v113
	v_mul_f32_e32 v113, v111, v113
	s_waitcnt vmcnt(0)
	v_fma_f32 v111, v111, v114, -v115
	v_fmac_f32_e32 v113, v112, v114
	v_add_f32_e32 v8, v8, v111
	v_add_f32_e32 v2, v2, v113
	s_andn2_b32 exec_lo, exec_lo, s5
	s_cbranch_execnz .LBB114_141
; %bb.142:
	s_or_b32 exec_lo, exec_lo, s5
	v_mov_b32_e32 v5, 0
	ds_read_b64 v[5:6], v5 offset:256
	s_waitcnt lgkmcnt(0)
	v_mul_f32_e32 v7, v2, v6
	v_mul_f32_e32 v6, v8, v6
	v_fma_f32 v7, v8, v5, -v7
	v_fmac_f32_e32 v6, v2, v5
	buffer_store_dword v7, off, s[0:3], 0 offset:256
	buffer_store_dword v6, off, s[0:3], 0 offset:260
.LBB114_143:
	s_or_b32 exec_lo, exec_lo, s4
	s_waitcnt_vscnt null, 0x0
	s_barrier
	buffer_gl0_inv
	s_clause 0x1
	buffer_load_dword v5, off, s[0:3], 0 offset:264
	buffer_load_dword v6, off, s[0:3], 0 offset:268
	s_mov_b32 s4, exec_lo
	s_waitcnt vmcnt(0)
	ds_write_b64 v4, v[5:6]
	s_waitcnt lgkmcnt(0)
	s_barrier
	buffer_gl0_inv
	v_cmpx_gt_u32_e32 33, v0
	s_cbranch_execz .LBB114_147
; %bb.144:
	v_add_nc_u32_e32 v5, -1, v0
	v_add_nc_u32_e32 v6, 0x1a0, v3
	v_mov_b32_e32 v7, v3
	v_mov_b32_e32 v2, 0
	;; [unrolled: 1-line block ×3, first 2 shown]
	s_mov_b32 s5, 0
	.p2align	6
.LBB114_145:                            ; =>This Inner Loop Header: Depth=1
	s_clause 0x1
	buffer_load_dword v113, v7, s[0:3], 0 offen offset:4
	buffer_load_dword v114, v7, s[0:3], 0 offen
	ds_read_b64 v[111:112], v6
	v_add_nc_u32_e32 v5, 1, v5
	v_add_nc_u32_e32 v6, 8, v6
	;; [unrolled: 1-line block ×3, first 2 shown]
	v_cmp_lt_u32_e32 vcc_lo, 31, v5
	s_or_b32 s5, vcc_lo, s5
	s_waitcnt vmcnt(1) lgkmcnt(0)
	v_mul_f32_e32 v115, v112, v113
	v_mul_f32_e32 v113, v111, v113
	s_waitcnt vmcnt(0)
	v_fma_f32 v111, v111, v114, -v115
	v_fmac_f32_e32 v113, v112, v114
	v_add_f32_e32 v8, v8, v111
	v_add_f32_e32 v2, v2, v113
	s_andn2_b32 exec_lo, exec_lo, s5
	s_cbranch_execnz .LBB114_145
; %bb.146:
	s_or_b32 exec_lo, exec_lo, s5
	v_mov_b32_e32 v5, 0
	ds_read_b64 v[5:6], v5 offset:264
	s_waitcnt lgkmcnt(0)
	v_mul_f32_e32 v7, v2, v6
	v_mul_f32_e32 v6, v8, v6
	v_fma_f32 v7, v8, v5, -v7
	v_fmac_f32_e32 v6, v2, v5
	buffer_store_dword v7, off, s[0:3], 0 offset:264
	buffer_store_dword v6, off, s[0:3], 0 offset:268
.LBB114_147:
	s_or_b32 exec_lo, exec_lo, s4
	s_waitcnt_vscnt null, 0x0
	s_barrier
	buffer_gl0_inv
	s_clause 0x1
	buffer_load_dword v5, off, s[0:3], 0 offset:272
	buffer_load_dword v6, off, s[0:3], 0 offset:276
	s_mov_b32 s4, exec_lo
	s_waitcnt vmcnt(0)
	ds_write_b64 v4, v[5:6]
	s_waitcnt lgkmcnt(0)
	s_barrier
	buffer_gl0_inv
	v_cmpx_gt_u32_e32 34, v0
	s_cbranch_execz .LBB114_151
; %bb.148:
	v_add_nc_u32_e32 v5, -1, v0
	v_add_nc_u32_e32 v6, 0x1a0, v3
	v_mov_b32_e32 v7, v3
	v_mov_b32_e32 v2, 0
	;; [unrolled: 1-line block ×3, first 2 shown]
	s_mov_b32 s5, 0
	.p2align	6
.LBB114_149:                            ; =>This Inner Loop Header: Depth=1
	s_clause 0x1
	buffer_load_dword v113, v7, s[0:3], 0 offen offset:4
	buffer_load_dword v114, v7, s[0:3], 0 offen
	ds_read_b64 v[111:112], v6
	v_add_nc_u32_e32 v5, 1, v5
	v_add_nc_u32_e32 v6, 8, v6
	;; [unrolled: 1-line block ×3, first 2 shown]
	v_cmp_lt_u32_e32 vcc_lo, 32, v5
	s_or_b32 s5, vcc_lo, s5
	s_waitcnt vmcnt(1) lgkmcnt(0)
	v_mul_f32_e32 v115, v112, v113
	v_mul_f32_e32 v113, v111, v113
	s_waitcnt vmcnt(0)
	v_fma_f32 v111, v111, v114, -v115
	v_fmac_f32_e32 v113, v112, v114
	v_add_f32_e32 v8, v8, v111
	v_add_f32_e32 v2, v2, v113
	s_andn2_b32 exec_lo, exec_lo, s5
	s_cbranch_execnz .LBB114_149
; %bb.150:
	s_or_b32 exec_lo, exec_lo, s5
	v_mov_b32_e32 v5, 0
	ds_read_b64 v[5:6], v5 offset:272
	s_waitcnt lgkmcnt(0)
	v_mul_f32_e32 v7, v2, v6
	v_mul_f32_e32 v6, v8, v6
	v_fma_f32 v7, v8, v5, -v7
	v_fmac_f32_e32 v6, v2, v5
	buffer_store_dword v7, off, s[0:3], 0 offset:272
	buffer_store_dword v6, off, s[0:3], 0 offset:276
.LBB114_151:
	s_or_b32 exec_lo, exec_lo, s4
	s_waitcnt_vscnt null, 0x0
	s_barrier
	buffer_gl0_inv
	s_clause 0x1
	buffer_load_dword v5, off, s[0:3], 0 offset:280
	buffer_load_dword v6, off, s[0:3], 0 offset:284
	s_mov_b32 s4, exec_lo
	s_waitcnt vmcnt(0)
	ds_write_b64 v4, v[5:6]
	s_waitcnt lgkmcnt(0)
	s_barrier
	buffer_gl0_inv
	v_cmpx_gt_u32_e32 35, v0
	s_cbranch_execz .LBB114_155
; %bb.152:
	v_add_nc_u32_e32 v5, -1, v0
	v_add_nc_u32_e32 v6, 0x1a0, v3
	v_mov_b32_e32 v7, v3
	v_mov_b32_e32 v2, 0
	;; [unrolled: 1-line block ×3, first 2 shown]
	s_mov_b32 s5, 0
	.p2align	6
.LBB114_153:                            ; =>This Inner Loop Header: Depth=1
	s_clause 0x1
	buffer_load_dword v113, v7, s[0:3], 0 offen offset:4
	buffer_load_dword v114, v7, s[0:3], 0 offen
	ds_read_b64 v[111:112], v6
	v_add_nc_u32_e32 v5, 1, v5
	v_add_nc_u32_e32 v6, 8, v6
	;; [unrolled: 1-line block ×3, first 2 shown]
	v_cmp_lt_u32_e32 vcc_lo, 33, v5
	s_or_b32 s5, vcc_lo, s5
	s_waitcnt vmcnt(1) lgkmcnt(0)
	v_mul_f32_e32 v115, v112, v113
	v_mul_f32_e32 v113, v111, v113
	s_waitcnt vmcnt(0)
	v_fma_f32 v111, v111, v114, -v115
	v_fmac_f32_e32 v113, v112, v114
	v_add_f32_e32 v8, v8, v111
	v_add_f32_e32 v2, v2, v113
	s_andn2_b32 exec_lo, exec_lo, s5
	s_cbranch_execnz .LBB114_153
; %bb.154:
	s_or_b32 exec_lo, exec_lo, s5
	v_mov_b32_e32 v5, 0
	ds_read_b64 v[5:6], v5 offset:280
	s_waitcnt lgkmcnt(0)
	v_mul_f32_e32 v7, v2, v6
	v_mul_f32_e32 v6, v8, v6
	v_fma_f32 v7, v8, v5, -v7
	v_fmac_f32_e32 v6, v2, v5
	buffer_store_dword v7, off, s[0:3], 0 offset:280
	buffer_store_dword v6, off, s[0:3], 0 offset:284
.LBB114_155:
	s_or_b32 exec_lo, exec_lo, s4
	s_waitcnt_vscnt null, 0x0
	s_barrier
	buffer_gl0_inv
	s_clause 0x1
	buffer_load_dword v5, off, s[0:3], 0 offset:288
	buffer_load_dword v6, off, s[0:3], 0 offset:292
	s_mov_b32 s4, exec_lo
	s_waitcnt vmcnt(0)
	ds_write_b64 v4, v[5:6]
	s_waitcnt lgkmcnt(0)
	s_barrier
	buffer_gl0_inv
	v_cmpx_gt_u32_e32 36, v0
	s_cbranch_execz .LBB114_159
; %bb.156:
	v_add_nc_u32_e32 v5, -1, v0
	v_add_nc_u32_e32 v6, 0x1a0, v3
	v_mov_b32_e32 v7, v3
	v_mov_b32_e32 v2, 0
	;; [unrolled: 1-line block ×3, first 2 shown]
	s_mov_b32 s5, 0
	.p2align	6
.LBB114_157:                            ; =>This Inner Loop Header: Depth=1
	s_clause 0x1
	buffer_load_dword v113, v7, s[0:3], 0 offen offset:4
	buffer_load_dword v114, v7, s[0:3], 0 offen
	ds_read_b64 v[111:112], v6
	v_add_nc_u32_e32 v5, 1, v5
	v_add_nc_u32_e32 v6, 8, v6
	;; [unrolled: 1-line block ×3, first 2 shown]
	v_cmp_lt_u32_e32 vcc_lo, 34, v5
	s_or_b32 s5, vcc_lo, s5
	s_waitcnt vmcnt(1) lgkmcnt(0)
	v_mul_f32_e32 v115, v112, v113
	v_mul_f32_e32 v113, v111, v113
	s_waitcnt vmcnt(0)
	v_fma_f32 v111, v111, v114, -v115
	v_fmac_f32_e32 v113, v112, v114
	v_add_f32_e32 v8, v8, v111
	v_add_f32_e32 v2, v2, v113
	s_andn2_b32 exec_lo, exec_lo, s5
	s_cbranch_execnz .LBB114_157
; %bb.158:
	s_or_b32 exec_lo, exec_lo, s5
	v_mov_b32_e32 v5, 0
	ds_read_b64 v[5:6], v5 offset:288
	s_waitcnt lgkmcnt(0)
	v_mul_f32_e32 v7, v2, v6
	v_mul_f32_e32 v6, v8, v6
	v_fma_f32 v7, v8, v5, -v7
	v_fmac_f32_e32 v6, v2, v5
	buffer_store_dword v7, off, s[0:3], 0 offset:288
	buffer_store_dword v6, off, s[0:3], 0 offset:292
.LBB114_159:
	s_or_b32 exec_lo, exec_lo, s4
	s_waitcnt_vscnt null, 0x0
	s_barrier
	buffer_gl0_inv
	s_clause 0x1
	buffer_load_dword v5, off, s[0:3], 0 offset:296
	buffer_load_dword v6, off, s[0:3], 0 offset:300
	s_mov_b32 s4, exec_lo
	s_waitcnt vmcnt(0)
	ds_write_b64 v4, v[5:6]
	s_waitcnt lgkmcnt(0)
	s_barrier
	buffer_gl0_inv
	v_cmpx_gt_u32_e32 37, v0
	s_cbranch_execz .LBB114_163
; %bb.160:
	v_add_nc_u32_e32 v5, -1, v0
	v_add_nc_u32_e32 v6, 0x1a0, v3
	v_mov_b32_e32 v7, v3
	v_mov_b32_e32 v2, 0
	v_mov_b32_e32 v8, 0
	s_mov_b32 s5, 0
	.p2align	6
.LBB114_161:                            ; =>This Inner Loop Header: Depth=1
	s_clause 0x1
	buffer_load_dword v113, v7, s[0:3], 0 offen offset:4
	buffer_load_dword v114, v7, s[0:3], 0 offen
	ds_read_b64 v[111:112], v6
	v_add_nc_u32_e32 v5, 1, v5
	v_add_nc_u32_e32 v6, 8, v6
	;; [unrolled: 1-line block ×3, first 2 shown]
	v_cmp_lt_u32_e32 vcc_lo, 35, v5
	s_or_b32 s5, vcc_lo, s5
	s_waitcnt vmcnt(1) lgkmcnt(0)
	v_mul_f32_e32 v115, v112, v113
	v_mul_f32_e32 v113, v111, v113
	s_waitcnt vmcnt(0)
	v_fma_f32 v111, v111, v114, -v115
	v_fmac_f32_e32 v113, v112, v114
	v_add_f32_e32 v8, v8, v111
	v_add_f32_e32 v2, v2, v113
	s_andn2_b32 exec_lo, exec_lo, s5
	s_cbranch_execnz .LBB114_161
; %bb.162:
	s_or_b32 exec_lo, exec_lo, s5
	v_mov_b32_e32 v5, 0
	ds_read_b64 v[5:6], v5 offset:296
	s_waitcnt lgkmcnt(0)
	v_mul_f32_e32 v7, v2, v6
	v_mul_f32_e32 v6, v8, v6
	v_fma_f32 v7, v8, v5, -v7
	v_fmac_f32_e32 v6, v2, v5
	buffer_store_dword v7, off, s[0:3], 0 offset:296
	buffer_store_dword v6, off, s[0:3], 0 offset:300
.LBB114_163:
	s_or_b32 exec_lo, exec_lo, s4
	s_waitcnt_vscnt null, 0x0
	s_barrier
	buffer_gl0_inv
	s_clause 0x1
	buffer_load_dword v5, off, s[0:3], 0 offset:304
	buffer_load_dword v6, off, s[0:3], 0 offset:308
	s_mov_b32 s4, exec_lo
	s_waitcnt vmcnt(0)
	ds_write_b64 v4, v[5:6]
	s_waitcnt lgkmcnt(0)
	s_barrier
	buffer_gl0_inv
	v_cmpx_gt_u32_e32 38, v0
	s_cbranch_execz .LBB114_167
; %bb.164:
	v_add_nc_u32_e32 v5, -1, v0
	v_add_nc_u32_e32 v6, 0x1a0, v3
	v_mov_b32_e32 v7, v3
	v_mov_b32_e32 v2, 0
	;; [unrolled: 1-line block ×3, first 2 shown]
	s_mov_b32 s5, 0
	.p2align	6
.LBB114_165:                            ; =>This Inner Loop Header: Depth=1
	s_clause 0x1
	buffer_load_dword v113, v7, s[0:3], 0 offen offset:4
	buffer_load_dword v114, v7, s[0:3], 0 offen
	ds_read_b64 v[111:112], v6
	v_add_nc_u32_e32 v5, 1, v5
	v_add_nc_u32_e32 v6, 8, v6
	;; [unrolled: 1-line block ×3, first 2 shown]
	v_cmp_lt_u32_e32 vcc_lo, 36, v5
	s_or_b32 s5, vcc_lo, s5
	s_waitcnt vmcnt(1) lgkmcnt(0)
	v_mul_f32_e32 v115, v112, v113
	v_mul_f32_e32 v113, v111, v113
	s_waitcnt vmcnt(0)
	v_fma_f32 v111, v111, v114, -v115
	v_fmac_f32_e32 v113, v112, v114
	v_add_f32_e32 v8, v8, v111
	v_add_f32_e32 v2, v2, v113
	s_andn2_b32 exec_lo, exec_lo, s5
	s_cbranch_execnz .LBB114_165
; %bb.166:
	s_or_b32 exec_lo, exec_lo, s5
	v_mov_b32_e32 v5, 0
	ds_read_b64 v[5:6], v5 offset:304
	s_waitcnt lgkmcnt(0)
	v_mul_f32_e32 v7, v2, v6
	v_mul_f32_e32 v6, v8, v6
	v_fma_f32 v7, v8, v5, -v7
	v_fmac_f32_e32 v6, v2, v5
	buffer_store_dword v7, off, s[0:3], 0 offset:304
	buffer_store_dword v6, off, s[0:3], 0 offset:308
.LBB114_167:
	s_or_b32 exec_lo, exec_lo, s4
	s_waitcnt_vscnt null, 0x0
	s_barrier
	buffer_gl0_inv
	s_clause 0x1
	buffer_load_dword v5, off, s[0:3], 0 offset:312
	buffer_load_dword v6, off, s[0:3], 0 offset:316
	s_mov_b32 s4, exec_lo
	s_waitcnt vmcnt(0)
	ds_write_b64 v4, v[5:6]
	s_waitcnt lgkmcnt(0)
	s_barrier
	buffer_gl0_inv
	v_cmpx_gt_u32_e32 39, v0
	s_cbranch_execz .LBB114_171
; %bb.168:
	v_add_nc_u32_e32 v5, -1, v0
	v_add_nc_u32_e32 v6, 0x1a0, v3
	v_mov_b32_e32 v7, v3
	v_mov_b32_e32 v2, 0
	;; [unrolled: 1-line block ×3, first 2 shown]
	s_mov_b32 s5, 0
	.p2align	6
.LBB114_169:                            ; =>This Inner Loop Header: Depth=1
	s_clause 0x1
	buffer_load_dword v113, v7, s[0:3], 0 offen offset:4
	buffer_load_dword v114, v7, s[0:3], 0 offen
	ds_read_b64 v[111:112], v6
	v_add_nc_u32_e32 v5, 1, v5
	v_add_nc_u32_e32 v6, 8, v6
	;; [unrolled: 1-line block ×3, first 2 shown]
	v_cmp_lt_u32_e32 vcc_lo, 37, v5
	s_or_b32 s5, vcc_lo, s5
	s_waitcnt vmcnt(1) lgkmcnt(0)
	v_mul_f32_e32 v115, v112, v113
	v_mul_f32_e32 v113, v111, v113
	s_waitcnt vmcnt(0)
	v_fma_f32 v111, v111, v114, -v115
	v_fmac_f32_e32 v113, v112, v114
	v_add_f32_e32 v8, v8, v111
	v_add_f32_e32 v2, v2, v113
	s_andn2_b32 exec_lo, exec_lo, s5
	s_cbranch_execnz .LBB114_169
; %bb.170:
	s_or_b32 exec_lo, exec_lo, s5
	v_mov_b32_e32 v5, 0
	ds_read_b64 v[5:6], v5 offset:312
	s_waitcnt lgkmcnt(0)
	v_mul_f32_e32 v7, v2, v6
	v_mul_f32_e32 v6, v8, v6
	v_fma_f32 v7, v8, v5, -v7
	v_fmac_f32_e32 v6, v2, v5
	buffer_store_dword v7, off, s[0:3], 0 offset:312
	buffer_store_dword v6, off, s[0:3], 0 offset:316
.LBB114_171:
	s_or_b32 exec_lo, exec_lo, s4
	s_waitcnt_vscnt null, 0x0
	s_barrier
	buffer_gl0_inv
	s_clause 0x1
	buffer_load_dword v5, off, s[0:3], 0 offset:320
	buffer_load_dword v6, off, s[0:3], 0 offset:324
	s_mov_b32 s4, exec_lo
	s_waitcnt vmcnt(0)
	ds_write_b64 v4, v[5:6]
	s_waitcnt lgkmcnt(0)
	s_barrier
	buffer_gl0_inv
	v_cmpx_gt_u32_e32 40, v0
	s_cbranch_execz .LBB114_175
; %bb.172:
	v_add_nc_u32_e32 v5, -1, v0
	v_add_nc_u32_e32 v6, 0x1a0, v3
	v_mov_b32_e32 v7, v3
	v_mov_b32_e32 v2, 0
	;; [unrolled: 1-line block ×3, first 2 shown]
	s_mov_b32 s5, 0
	.p2align	6
.LBB114_173:                            ; =>This Inner Loop Header: Depth=1
	s_clause 0x1
	buffer_load_dword v113, v7, s[0:3], 0 offen offset:4
	buffer_load_dword v114, v7, s[0:3], 0 offen
	ds_read_b64 v[111:112], v6
	v_add_nc_u32_e32 v5, 1, v5
	v_add_nc_u32_e32 v6, 8, v6
	;; [unrolled: 1-line block ×3, first 2 shown]
	v_cmp_lt_u32_e32 vcc_lo, 38, v5
	s_or_b32 s5, vcc_lo, s5
	s_waitcnt vmcnt(1) lgkmcnt(0)
	v_mul_f32_e32 v115, v112, v113
	v_mul_f32_e32 v113, v111, v113
	s_waitcnt vmcnt(0)
	v_fma_f32 v111, v111, v114, -v115
	v_fmac_f32_e32 v113, v112, v114
	v_add_f32_e32 v8, v8, v111
	v_add_f32_e32 v2, v2, v113
	s_andn2_b32 exec_lo, exec_lo, s5
	s_cbranch_execnz .LBB114_173
; %bb.174:
	s_or_b32 exec_lo, exec_lo, s5
	v_mov_b32_e32 v5, 0
	ds_read_b64 v[5:6], v5 offset:320
	s_waitcnt lgkmcnt(0)
	v_mul_f32_e32 v7, v2, v6
	v_mul_f32_e32 v6, v8, v6
	v_fma_f32 v7, v8, v5, -v7
	v_fmac_f32_e32 v6, v2, v5
	buffer_store_dword v7, off, s[0:3], 0 offset:320
	buffer_store_dword v6, off, s[0:3], 0 offset:324
.LBB114_175:
	s_or_b32 exec_lo, exec_lo, s4
	s_waitcnt_vscnt null, 0x0
	s_barrier
	buffer_gl0_inv
	s_clause 0x1
	buffer_load_dword v5, off, s[0:3], 0 offset:328
	buffer_load_dword v6, off, s[0:3], 0 offset:332
	s_mov_b32 s4, exec_lo
	s_waitcnt vmcnt(0)
	ds_write_b64 v4, v[5:6]
	s_waitcnt lgkmcnt(0)
	s_barrier
	buffer_gl0_inv
	v_cmpx_gt_u32_e32 41, v0
	s_cbranch_execz .LBB114_179
; %bb.176:
	v_add_nc_u32_e32 v5, -1, v0
	v_add_nc_u32_e32 v6, 0x1a0, v3
	v_mov_b32_e32 v7, v3
	v_mov_b32_e32 v2, 0
	;; [unrolled: 1-line block ×3, first 2 shown]
	s_mov_b32 s5, 0
	.p2align	6
.LBB114_177:                            ; =>This Inner Loop Header: Depth=1
	s_clause 0x1
	buffer_load_dword v113, v7, s[0:3], 0 offen offset:4
	buffer_load_dword v114, v7, s[0:3], 0 offen
	ds_read_b64 v[111:112], v6
	v_add_nc_u32_e32 v5, 1, v5
	v_add_nc_u32_e32 v6, 8, v6
	;; [unrolled: 1-line block ×3, first 2 shown]
	v_cmp_lt_u32_e32 vcc_lo, 39, v5
	s_or_b32 s5, vcc_lo, s5
	s_waitcnt vmcnt(1) lgkmcnt(0)
	v_mul_f32_e32 v115, v112, v113
	v_mul_f32_e32 v113, v111, v113
	s_waitcnt vmcnt(0)
	v_fma_f32 v111, v111, v114, -v115
	v_fmac_f32_e32 v113, v112, v114
	v_add_f32_e32 v8, v8, v111
	v_add_f32_e32 v2, v2, v113
	s_andn2_b32 exec_lo, exec_lo, s5
	s_cbranch_execnz .LBB114_177
; %bb.178:
	s_or_b32 exec_lo, exec_lo, s5
	v_mov_b32_e32 v5, 0
	ds_read_b64 v[5:6], v5 offset:328
	s_waitcnt lgkmcnt(0)
	v_mul_f32_e32 v7, v2, v6
	v_mul_f32_e32 v6, v8, v6
	v_fma_f32 v7, v8, v5, -v7
	v_fmac_f32_e32 v6, v2, v5
	buffer_store_dword v7, off, s[0:3], 0 offset:328
	buffer_store_dword v6, off, s[0:3], 0 offset:332
.LBB114_179:
	s_or_b32 exec_lo, exec_lo, s4
	s_waitcnt_vscnt null, 0x0
	s_barrier
	buffer_gl0_inv
	s_clause 0x1
	buffer_load_dword v5, off, s[0:3], 0 offset:336
	buffer_load_dword v6, off, s[0:3], 0 offset:340
	s_mov_b32 s4, exec_lo
	s_waitcnt vmcnt(0)
	ds_write_b64 v4, v[5:6]
	s_waitcnt lgkmcnt(0)
	s_barrier
	buffer_gl0_inv
	v_cmpx_gt_u32_e32 42, v0
	s_cbranch_execz .LBB114_183
; %bb.180:
	v_add_nc_u32_e32 v5, -1, v0
	v_add_nc_u32_e32 v6, 0x1a0, v3
	v_mov_b32_e32 v7, v3
	v_mov_b32_e32 v2, 0
	;; [unrolled: 1-line block ×3, first 2 shown]
	s_mov_b32 s5, 0
	.p2align	6
.LBB114_181:                            ; =>This Inner Loop Header: Depth=1
	s_clause 0x1
	buffer_load_dword v113, v7, s[0:3], 0 offen offset:4
	buffer_load_dword v114, v7, s[0:3], 0 offen
	ds_read_b64 v[111:112], v6
	v_add_nc_u32_e32 v5, 1, v5
	v_add_nc_u32_e32 v6, 8, v6
	;; [unrolled: 1-line block ×3, first 2 shown]
	v_cmp_lt_u32_e32 vcc_lo, 40, v5
	s_or_b32 s5, vcc_lo, s5
	s_waitcnt vmcnt(1) lgkmcnt(0)
	v_mul_f32_e32 v115, v112, v113
	v_mul_f32_e32 v113, v111, v113
	s_waitcnt vmcnt(0)
	v_fma_f32 v111, v111, v114, -v115
	v_fmac_f32_e32 v113, v112, v114
	v_add_f32_e32 v8, v8, v111
	v_add_f32_e32 v2, v2, v113
	s_andn2_b32 exec_lo, exec_lo, s5
	s_cbranch_execnz .LBB114_181
; %bb.182:
	s_or_b32 exec_lo, exec_lo, s5
	v_mov_b32_e32 v5, 0
	ds_read_b64 v[5:6], v5 offset:336
	s_waitcnt lgkmcnt(0)
	v_mul_f32_e32 v7, v2, v6
	v_mul_f32_e32 v6, v8, v6
	v_fma_f32 v7, v8, v5, -v7
	v_fmac_f32_e32 v6, v2, v5
	buffer_store_dword v7, off, s[0:3], 0 offset:336
	buffer_store_dword v6, off, s[0:3], 0 offset:340
.LBB114_183:
	s_or_b32 exec_lo, exec_lo, s4
	s_waitcnt_vscnt null, 0x0
	s_barrier
	buffer_gl0_inv
	s_clause 0x1
	buffer_load_dword v5, off, s[0:3], 0 offset:344
	buffer_load_dword v6, off, s[0:3], 0 offset:348
	s_mov_b32 s4, exec_lo
	s_waitcnt vmcnt(0)
	ds_write_b64 v4, v[5:6]
	s_waitcnt lgkmcnt(0)
	s_barrier
	buffer_gl0_inv
	v_cmpx_gt_u32_e32 43, v0
	s_cbranch_execz .LBB114_187
; %bb.184:
	v_add_nc_u32_e32 v5, -1, v0
	v_add_nc_u32_e32 v6, 0x1a0, v3
	v_mov_b32_e32 v7, v3
	v_mov_b32_e32 v2, 0
	;; [unrolled: 1-line block ×3, first 2 shown]
	s_mov_b32 s5, 0
	.p2align	6
.LBB114_185:                            ; =>This Inner Loop Header: Depth=1
	s_clause 0x1
	buffer_load_dword v113, v7, s[0:3], 0 offen offset:4
	buffer_load_dword v114, v7, s[0:3], 0 offen
	ds_read_b64 v[111:112], v6
	v_add_nc_u32_e32 v5, 1, v5
	v_add_nc_u32_e32 v6, 8, v6
	;; [unrolled: 1-line block ×3, first 2 shown]
	v_cmp_lt_u32_e32 vcc_lo, 41, v5
	s_or_b32 s5, vcc_lo, s5
	s_waitcnt vmcnt(1) lgkmcnt(0)
	v_mul_f32_e32 v115, v112, v113
	v_mul_f32_e32 v113, v111, v113
	s_waitcnt vmcnt(0)
	v_fma_f32 v111, v111, v114, -v115
	v_fmac_f32_e32 v113, v112, v114
	v_add_f32_e32 v8, v8, v111
	v_add_f32_e32 v2, v2, v113
	s_andn2_b32 exec_lo, exec_lo, s5
	s_cbranch_execnz .LBB114_185
; %bb.186:
	s_or_b32 exec_lo, exec_lo, s5
	v_mov_b32_e32 v5, 0
	ds_read_b64 v[5:6], v5 offset:344
	s_waitcnt lgkmcnt(0)
	v_mul_f32_e32 v7, v2, v6
	v_mul_f32_e32 v6, v8, v6
	v_fma_f32 v7, v8, v5, -v7
	v_fmac_f32_e32 v6, v2, v5
	buffer_store_dword v7, off, s[0:3], 0 offset:344
	buffer_store_dword v6, off, s[0:3], 0 offset:348
.LBB114_187:
	s_or_b32 exec_lo, exec_lo, s4
	s_waitcnt_vscnt null, 0x0
	s_barrier
	buffer_gl0_inv
	s_clause 0x1
	buffer_load_dword v5, off, s[0:3], 0 offset:352
	buffer_load_dword v6, off, s[0:3], 0 offset:356
	s_mov_b32 s4, exec_lo
	s_waitcnt vmcnt(0)
	ds_write_b64 v4, v[5:6]
	s_waitcnt lgkmcnt(0)
	s_barrier
	buffer_gl0_inv
	v_cmpx_gt_u32_e32 44, v0
	s_cbranch_execz .LBB114_191
; %bb.188:
	v_add_nc_u32_e32 v5, -1, v0
	v_add_nc_u32_e32 v6, 0x1a0, v3
	v_mov_b32_e32 v7, v3
	v_mov_b32_e32 v2, 0
	;; [unrolled: 1-line block ×3, first 2 shown]
	s_mov_b32 s5, 0
	.p2align	6
.LBB114_189:                            ; =>This Inner Loop Header: Depth=1
	s_clause 0x1
	buffer_load_dword v113, v7, s[0:3], 0 offen offset:4
	buffer_load_dword v114, v7, s[0:3], 0 offen
	ds_read_b64 v[111:112], v6
	v_add_nc_u32_e32 v5, 1, v5
	v_add_nc_u32_e32 v6, 8, v6
	;; [unrolled: 1-line block ×3, first 2 shown]
	v_cmp_lt_u32_e32 vcc_lo, 42, v5
	s_or_b32 s5, vcc_lo, s5
	s_waitcnt vmcnt(1) lgkmcnt(0)
	v_mul_f32_e32 v115, v112, v113
	v_mul_f32_e32 v113, v111, v113
	s_waitcnt vmcnt(0)
	v_fma_f32 v111, v111, v114, -v115
	v_fmac_f32_e32 v113, v112, v114
	v_add_f32_e32 v8, v8, v111
	v_add_f32_e32 v2, v2, v113
	s_andn2_b32 exec_lo, exec_lo, s5
	s_cbranch_execnz .LBB114_189
; %bb.190:
	s_or_b32 exec_lo, exec_lo, s5
	v_mov_b32_e32 v5, 0
	ds_read_b64 v[5:6], v5 offset:352
	s_waitcnt lgkmcnt(0)
	v_mul_f32_e32 v7, v2, v6
	v_mul_f32_e32 v6, v8, v6
	v_fma_f32 v7, v8, v5, -v7
	v_fmac_f32_e32 v6, v2, v5
	buffer_store_dword v7, off, s[0:3], 0 offset:352
	buffer_store_dword v6, off, s[0:3], 0 offset:356
.LBB114_191:
	s_or_b32 exec_lo, exec_lo, s4
	s_waitcnt_vscnt null, 0x0
	s_barrier
	buffer_gl0_inv
	s_clause 0x1
	buffer_load_dword v5, off, s[0:3], 0 offset:360
	buffer_load_dword v6, off, s[0:3], 0 offset:364
	s_mov_b32 s4, exec_lo
	s_waitcnt vmcnt(0)
	ds_write_b64 v4, v[5:6]
	s_waitcnt lgkmcnt(0)
	s_barrier
	buffer_gl0_inv
	v_cmpx_gt_u32_e32 45, v0
	s_cbranch_execz .LBB114_195
; %bb.192:
	v_add_nc_u32_e32 v5, -1, v0
	v_add_nc_u32_e32 v6, 0x1a0, v3
	v_mov_b32_e32 v7, v3
	v_mov_b32_e32 v2, 0
	;; [unrolled: 1-line block ×3, first 2 shown]
	s_mov_b32 s5, 0
	.p2align	6
.LBB114_193:                            ; =>This Inner Loop Header: Depth=1
	s_clause 0x1
	buffer_load_dword v113, v7, s[0:3], 0 offen offset:4
	buffer_load_dword v114, v7, s[0:3], 0 offen
	ds_read_b64 v[111:112], v6
	v_add_nc_u32_e32 v5, 1, v5
	v_add_nc_u32_e32 v6, 8, v6
	;; [unrolled: 1-line block ×3, first 2 shown]
	v_cmp_lt_u32_e32 vcc_lo, 43, v5
	s_or_b32 s5, vcc_lo, s5
	s_waitcnt vmcnt(1) lgkmcnt(0)
	v_mul_f32_e32 v115, v112, v113
	v_mul_f32_e32 v113, v111, v113
	s_waitcnt vmcnt(0)
	v_fma_f32 v111, v111, v114, -v115
	v_fmac_f32_e32 v113, v112, v114
	v_add_f32_e32 v8, v8, v111
	v_add_f32_e32 v2, v2, v113
	s_andn2_b32 exec_lo, exec_lo, s5
	s_cbranch_execnz .LBB114_193
; %bb.194:
	s_or_b32 exec_lo, exec_lo, s5
	v_mov_b32_e32 v5, 0
	ds_read_b64 v[5:6], v5 offset:360
	s_waitcnt lgkmcnt(0)
	v_mul_f32_e32 v7, v2, v6
	v_mul_f32_e32 v6, v8, v6
	v_fma_f32 v7, v8, v5, -v7
	v_fmac_f32_e32 v6, v2, v5
	buffer_store_dword v7, off, s[0:3], 0 offset:360
	buffer_store_dword v6, off, s[0:3], 0 offset:364
.LBB114_195:
	s_or_b32 exec_lo, exec_lo, s4
	s_waitcnt_vscnt null, 0x0
	s_barrier
	buffer_gl0_inv
	s_clause 0x1
	buffer_load_dword v5, off, s[0:3], 0 offset:368
	buffer_load_dword v6, off, s[0:3], 0 offset:372
	s_mov_b32 s4, exec_lo
	s_waitcnt vmcnt(0)
	ds_write_b64 v4, v[5:6]
	s_waitcnt lgkmcnt(0)
	s_barrier
	buffer_gl0_inv
	v_cmpx_gt_u32_e32 46, v0
	s_cbranch_execz .LBB114_199
; %bb.196:
	v_add_nc_u32_e32 v5, -1, v0
	v_add_nc_u32_e32 v6, 0x1a0, v3
	v_mov_b32_e32 v7, v3
	v_mov_b32_e32 v2, 0
	;; [unrolled: 1-line block ×3, first 2 shown]
	s_mov_b32 s5, 0
	.p2align	6
.LBB114_197:                            ; =>This Inner Loop Header: Depth=1
	s_clause 0x1
	buffer_load_dword v113, v7, s[0:3], 0 offen offset:4
	buffer_load_dword v114, v7, s[0:3], 0 offen
	ds_read_b64 v[111:112], v6
	v_add_nc_u32_e32 v5, 1, v5
	v_add_nc_u32_e32 v6, 8, v6
	;; [unrolled: 1-line block ×3, first 2 shown]
	v_cmp_lt_u32_e32 vcc_lo, 44, v5
	s_or_b32 s5, vcc_lo, s5
	s_waitcnt vmcnt(1) lgkmcnt(0)
	v_mul_f32_e32 v115, v112, v113
	v_mul_f32_e32 v113, v111, v113
	s_waitcnt vmcnt(0)
	v_fma_f32 v111, v111, v114, -v115
	v_fmac_f32_e32 v113, v112, v114
	v_add_f32_e32 v8, v8, v111
	v_add_f32_e32 v2, v2, v113
	s_andn2_b32 exec_lo, exec_lo, s5
	s_cbranch_execnz .LBB114_197
; %bb.198:
	s_or_b32 exec_lo, exec_lo, s5
	v_mov_b32_e32 v5, 0
	ds_read_b64 v[5:6], v5 offset:368
	s_waitcnt lgkmcnt(0)
	v_mul_f32_e32 v7, v2, v6
	v_mul_f32_e32 v6, v8, v6
	v_fma_f32 v7, v8, v5, -v7
	v_fmac_f32_e32 v6, v2, v5
	buffer_store_dword v7, off, s[0:3], 0 offset:368
	buffer_store_dword v6, off, s[0:3], 0 offset:372
.LBB114_199:
	s_or_b32 exec_lo, exec_lo, s4
	s_waitcnt_vscnt null, 0x0
	s_barrier
	buffer_gl0_inv
	s_clause 0x1
	buffer_load_dword v5, off, s[0:3], 0 offset:376
	buffer_load_dword v6, off, s[0:3], 0 offset:380
	s_mov_b32 s4, exec_lo
	s_waitcnt vmcnt(0)
	ds_write_b64 v4, v[5:6]
	s_waitcnt lgkmcnt(0)
	s_barrier
	buffer_gl0_inv
	v_cmpx_gt_u32_e32 47, v0
	s_cbranch_execz .LBB114_203
; %bb.200:
	v_add_nc_u32_e32 v5, -1, v0
	v_add_nc_u32_e32 v6, 0x1a0, v3
	v_mov_b32_e32 v7, v3
	v_mov_b32_e32 v2, 0
	;; [unrolled: 1-line block ×3, first 2 shown]
	s_mov_b32 s5, 0
	.p2align	6
.LBB114_201:                            ; =>This Inner Loop Header: Depth=1
	s_clause 0x1
	buffer_load_dword v113, v7, s[0:3], 0 offen offset:4
	buffer_load_dword v114, v7, s[0:3], 0 offen
	ds_read_b64 v[111:112], v6
	v_add_nc_u32_e32 v5, 1, v5
	v_add_nc_u32_e32 v6, 8, v6
	;; [unrolled: 1-line block ×3, first 2 shown]
	v_cmp_lt_u32_e32 vcc_lo, 45, v5
	s_or_b32 s5, vcc_lo, s5
	s_waitcnt vmcnt(1) lgkmcnt(0)
	v_mul_f32_e32 v115, v112, v113
	v_mul_f32_e32 v113, v111, v113
	s_waitcnt vmcnt(0)
	v_fma_f32 v111, v111, v114, -v115
	v_fmac_f32_e32 v113, v112, v114
	v_add_f32_e32 v8, v8, v111
	v_add_f32_e32 v2, v2, v113
	s_andn2_b32 exec_lo, exec_lo, s5
	s_cbranch_execnz .LBB114_201
; %bb.202:
	s_or_b32 exec_lo, exec_lo, s5
	v_mov_b32_e32 v5, 0
	ds_read_b64 v[5:6], v5 offset:376
	s_waitcnt lgkmcnt(0)
	v_mul_f32_e32 v7, v2, v6
	v_mul_f32_e32 v6, v8, v6
	v_fma_f32 v7, v8, v5, -v7
	v_fmac_f32_e32 v6, v2, v5
	buffer_store_dword v7, off, s[0:3], 0 offset:376
	buffer_store_dword v6, off, s[0:3], 0 offset:380
.LBB114_203:
	s_or_b32 exec_lo, exec_lo, s4
	s_waitcnt_vscnt null, 0x0
	s_barrier
	buffer_gl0_inv
	s_clause 0x1
	buffer_load_dword v5, off, s[0:3], 0 offset:384
	buffer_load_dword v6, off, s[0:3], 0 offset:388
	s_mov_b32 s4, exec_lo
	s_waitcnt vmcnt(0)
	ds_write_b64 v4, v[5:6]
	s_waitcnt lgkmcnt(0)
	s_barrier
	buffer_gl0_inv
	v_cmpx_gt_u32_e32 48, v0
	s_cbranch_execz .LBB114_207
; %bb.204:
	v_add_nc_u32_e32 v5, -1, v0
	v_add_nc_u32_e32 v6, 0x1a0, v3
	v_mov_b32_e32 v7, v3
	v_mov_b32_e32 v2, 0
	;; [unrolled: 1-line block ×3, first 2 shown]
	s_mov_b32 s5, 0
	.p2align	6
.LBB114_205:                            ; =>This Inner Loop Header: Depth=1
	s_clause 0x1
	buffer_load_dword v113, v7, s[0:3], 0 offen offset:4
	buffer_load_dword v114, v7, s[0:3], 0 offen
	ds_read_b64 v[111:112], v6
	v_add_nc_u32_e32 v5, 1, v5
	v_add_nc_u32_e32 v6, 8, v6
	;; [unrolled: 1-line block ×3, first 2 shown]
	v_cmp_lt_u32_e32 vcc_lo, 46, v5
	s_or_b32 s5, vcc_lo, s5
	s_waitcnt vmcnt(1) lgkmcnt(0)
	v_mul_f32_e32 v115, v112, v113
	v_mul_f32_e32 v113, v111, v113
	s_waitcnt vmcnt(0)
	v_fma_f32 v111, v111, v114, -v115
	v_fmac_f32_e32 v113, v112, v114
	v_add_f32_e32 v8, v8, v111
	v_add_f32_e32 v2, v2, v113
	s_andn2_b32 exec_lo, exec_lo, s5
	s_cbranch_execnz .LBB114_205
; %bb.206:
	s_or_b32 exec_lo, exec_lo, s5
	v_mov_b32_e32 v5, 0
	ds_read_b64 v[5:6], v5 offset:384
	s_waitcnt lgkmcnt(0)
	v_mul_f32_e32 v7, v2, v6
	v_mul_f32_e32 v6, v8, v6
	v_fma_f32 v7, v8, v5, -v7
	v_fmac_f32_e32 v6, v2, v5
	buffer_store_dword v7, off, s[0:3], 0 offset:384
	buffer_store_dword v6, off, s[0:3], 0 offset:388
.LBB114_207:
	s_or_b32 exec_lo, exec_lo, s4
	s_waitcnt_vscnt null, 0x0
	s_barrier
	buffer_gl0_inv
	s_clause 0x1
	buffer_load_dword v5, off, s[0:3], 0 offset:392
	buffer_load_dword v6, off, s[0:3], 0 offset:396
	s_mov_b32 s4, exec_lo
	s_waitcnt vmcnt(0)
	ds_write_b64 v4, v[5:6]
	s_waitcnt lgkmcnt(0)
	s_barrier
	buffer_gl0_inv
	v_cmpx_gt_u32_e32 49, v0
	s_cbranch_execz .LBB114_211
; %bb.208:
	v_add_nc_u32_e32 v5, -1, v0
	v_add_nc_u32_e32 v6, 0x1a0, v3
	v_mov_b32_e32 v7, v3
	v_mov_b32_e32 v2, 0
	v_mov_b32_e32 v8, 0
	s_mov_b32 s5, 0
	.p2align	6
.LBB114_209:                            ; =>This Inner Loop Header: Depth=1
	s_clause 0x1
	buffer_load_dword v113, v7, s[0:3], 0 offen offset:4
	buffer_load_dword v114, v7, s[0:3], 0 offen
	ds_read_b64 v[111:112], v6
	v_add_nc_u32_e32 v5, 1, v5
	v_add_nc_u32_e32 v6, 8, v6
	;; [unrolled: 1-line block ×3, first 2 shown]
	v_cmp_lt_u32_e32 vcc_lo, 47, v5
	s_or_b32 s5, vcc_lo, s5
	s_waitcnt vmcnt(1) lgkmcnt(0)
	v_mul_f32_e32 v115, v112, v113
	v_mul_f32_e32 v113, v111, v113
	s_waitcnt vmcnt(0)
	v_fma_f32 v111, v111, v114, -v115
	v_fmac_f32_e32 v113, v112, v114
	v_add_f32_e32 v8, v8, v111
	v_add_f32_e32 v2, v2, v113
	s_andn2_b32 exec_lo, exec_lo, s5
	s_cbranch_execnz .LBB114_209
; %bb.210:
	s_or_b32 exec_lo, exec_lo, s5
	v_mov_b32_e32 v5, 0
	ds_read_b64 v[5:6], v5 offset:392
	s_waitcnt lgkmcnt(0)
	v_mul_f32_e32 v7, v2, v6
	v_mul_f32_e32 v6, v8, v6
	v_fma_f32 v7, v8, v5, -v7
	v_fmac_f32_e32 v6, v2, v5
	buffer_store_dword v7, off, s[0:3], 0 offset:392
	buffer_store_dword v6, off, s[0:3], 0 offset:396
.LBB114_211:
	s_or_b32 exec_lo, exec_lo, s4
	s_waitcnt_vscnt null, 0x0
	s_barrier
	buffer_gl0_inv
	s_clause 0x1
	buffer_load_dword v5, off, s[0:3], 0 offset:400
	buffer_load_dword v6, off, s[0:3], 0 offset:404
	s_mov_b32 s4, exec_lo
	s_waitcnt vmcnt(0)
	ds_write_b64 v4, v[5:6]
	s_waitcnt lgkmcnt(0)
	s_barrier
	buffer_gl0_inv
	v_cmpx_ne_u32_e32 50, v0
	s_cbranch_execz .LBB114_215
; %bb.212:
	v_mov_b32_e32 v2, 0
	v_mov_b32_e32 v5, 0
	s_mov_b32 s5, 0
	.p2align	6
.LBB114_213:                            ; =>This Inner Loop Header: Depth=1
	s_clause 0x1
	buffer_load_dword v8, v3, s[0:3], 0 offen offset:4
	buffer_load_dword v111, v3, s[0:3], 0 offen
	ds_read_b64 v[6:7], v4
	v_add_nc_u32_e32 v1, 1, v1
	v_add_nc_u32_e32 v4, 8, v4
	;; [unrolled: 1-line block ×3, first 2 shown]
	v_cmp_lt_u32_e32 vcc_lo, 48, v1
	s_or_b32 s5, vcc_lo, s5
	s_waitcnt vmcnt(1) lgkmcnt(0)
	v_mul_f32_e32 v112, v7, v8
	v_mul_f32_e32 v8, v6, v8
	s_waitcnt vmcnt(0)
	v_fma_f32 v6, v6, v111, -v112
	v_fmac_f32_e32 v8, v7, v111
	v_add_f32_e32 v5, v5, v6
	v_add_f32_e32 v2, v2, v8
	s_andn2_b32 exec_lo, exec_lo, s5
	s_cbranch_execnz .LBB114_213
; %bb.214:
	s_or_b32 exec_lo, exec_lo, s5
	v_mov_b32_e32 v1, 0
	ds_read_b64 v[3:4], v1 offset:400
	s_waitcnt lgkmcnt(0)
	v_mul_f32_e32 v1, v2, v4
	v_mul_f32_e32 v4, v5, v4
	v_fma_f32 v1, v5, v3, -v1
	v_fmac_f32_e32 v4, v2, v3
	buffer_store_dword v1, off, s[0:3], 0 offset:400
	buffer_store_dword v4, off, s[0:3], 0 offset:404
.LBB114_215:
	s_or_b32 exec_lo, exec_lo, s4
	s_mov_b32 s5, -1
	s_waitcnt_vscnt null, 0x0
	s_barrier
	buffer_gl0_inv
.LBB114_216:
	s_and_b32 vcc_lo, exec_lo, s5
	s_cbranch_vccz .LBB114_218
; %bb.217:
	s_lshl_b64 s[4:5], s[6:7], 2
	v_mov_b32_e32 v1, 0
	s_add_u32 s4, s10, s4
	s_addc_u32 s5, s11, s5
	global_load_dword v1, v1, s[4:5]
	s_waitcnt vmcnt(0)
	v_cmp_ne_u32_e32 vcc_lo, 0, v1
	s_cbranch_vccz .LBB114_219
.LBB114_218:
	s_endpgm
.LBB114_219:
	v_lshl_add_u32 v111, v0, 3, 0x1a0
	s_mov_b32 s4, exec_lo
	v_cmpx_eq_u32_e32 50, v0
	s_cbranch_execz .LBB114_221
; %bb.220:
	s_clause 0x1
	buffer_load_dword v1, off, s[0:3], 0 offset:392
	buffer_load_dword v2, off, s[0:3], 0 offset:396
	v_mov_b32_e32 v3, 0
	buffer_store_dword v3, off, s[0:3], 0 offset:392
	buffer_store_dword v3, off, s[0:3], 0 offset:396
	s_waitcnt vmcnt(0)
	ds_write_b64 v111, v[1:2]
.LBB114_221:
	s_or_b32 exec_lo, exec_lo, s4
	s_waitcnt lgkmcnt(0)
	s_waitcnt_vscnt null, 0x0
	s_barrier
	buffer_gl0_inv
	s_clause 0x3
	buffer_load_dword v4, off, s[0:3], 0 offset:404
	buffer_load_dword v5, off, s[0:3], 0 offset:400
	;; [unrolled: 1-line block ×4, first 2 shown]
	v_mov_b32_e32 v1, 0
	s_mov_b32 s4, exec_lo
	ds_read_b64 v[2:3], v1 offset:816
	s_waitcnt vmcnt(3) lgkmcnt(0)
	v_mul_f32_e32 v8, v3, v4
	v_mul_f32_e32 v4, v2, v4
	s_waitcnt vmcnt(2)
	v_fma_f32 v2, v2, v5, -v8
	v_fmac_f32_e32 v4, v3, v5
	v_add_f32_e32 v2, 0, v2
	v_add_f32_e32 v3, 0, v4
	s_waitcnt vmcnt(1)
	v_sub_f32_e32 v2, v6, v2
	s_waitcnt vmcnt(0)
	v_sub_f32_e32 v3, v7, v3
	buffer_store_dword v2, off, s[0:3], 0 offset:392
	buffer_store_dword v3, off, s[0:3], 0 offset:396
	v_cmpx_lt_u32_e32 48, v0
	s_cbranch_execz .LBB114_223
; %bb.222:
	s_clause 0x1
	buffer_load_dword v2, off, s[0:3], 0 offset:384
	buffer_load_dword v3, off, s[0:3], 0 offset:388
	buffer_store_dword v1, off, s[0:3], 0 offset:384
	buffer_store_dword v1, off, s[0:3], 0 offset:388
	s_waitcnt vmcnt(0)
	ds_write_b64 v111, v[2:3]
.LBB114_223:
	s_or_b32 exec_lo, exec_lo, s4
	s_waitcnt lgkmcnt(0)
	s_waitcnt_vscnt null, 0x0
	s_barrier
	buffer_gl0_inv
	s_clause 0x5
	buffer_load_dword v5, off, s[0:3], 0 offset:396
	buffer_load_dword v6, off, s[0:3], 0 offset:404
	;; [unrolled: 1-line block ×6, first 2 shown]
	ds_read2_b64 v[1:4], v1 offset0:101 offset1:102
	s_mov_b32 s4, exec_lo
	s_waitcnt vmcnt(5) lgkmcnt(0)
	v_mul_f32_e32 v114, v2, v5
	v_mul_f32_e32 v5, v1, v5
	s_waitcnt vmcnt(4)
	v_mul_f32_e32 v115, v3, v6
	v_mul_f32_e32 v6, v4, v6
	s_waitcnt vmcnt(3)
	v_fma_f32 v1, v1, v7, -v114
	v_fmac_f32_e32 v5, v2, v7
	s_waitcnt vmcnt(2)
	v_fmac_f32_e32 v115, v4, v8
	v_fma_f32 v2, v3, v8, -v6
	v_add_f32_e32 v1, 0, v1
	v_add_f32_e32 v3, 0, v5
	;; [unrolled: 1-line block ×4, first 2 shown]
	s_waitcnt vmcnt(1)
	v_sub_f32_e32 v1, v112, v1
	s_waitcnt vmcnt(0)
	v_sub_f32_e32 v2, v113, v2
	buffer_store_dword v1, off, s[0:3], 0 offset:384
	buffer_store_dword v2, off, s[0:3], 0 offset:388
	v_cmpx_lt_u32_e32 47, v0
	s_cbranch_execz .LBB114_225
; %bb.224:
	s_clause 0x1
	buffer_load_dword v1, off, s[0:3], 0 offset:376
	buffer_load_dword v2, off, s[0:3], 0 offset:380
	v_mov_b32_e32 v3, 0
	buffer_store_dword v3, off, s[0:3], 0 offset:376
	buffer_store_dword v3, off, s[0:3], 0 offset:380
	s_waitcnt vmcnt(0)
	ds_write_b64 v111, v[1:2]
.LBB114_225:
	s_or_b32 exec_lo, exec_lo, s4
	s_waitcnt lgkmcnt(0)
	s_waitcnt_vscnt null, 0x0
	s_barrier
	buffer_gl0_inv
	s_clause 0x7
	buffer_load_dword v8, off, s[0:3], 0 offset:388
	buffer_load_dword v112, off, s[0:3], 0 offset:396
	;; [unrolled: 1-line block ×8, first 2 shown]
	v_mov_b32_e32 v1, 0
	ds_read_b128 v[2:5], v1 offset:800
	ds_read_b64 v[6:7], v1 offset:816
	s_mov_b32 s4, exec_lo
	s_waitcnt vmcnt(7) lgkmcnt(1)
	v_mul_f32_e32 v119, v3, v8
	v_mul_f32_e32 v8, v2, v8
	s_waitcnt vmcnt(6)
	v_mul_f32_e32 v120, v4, v112
	v_mul_f32_e32 v112, v5, v112
	s_waitcnt vmcnt(5) lgkmcnt(0)
	v_mul_f32_e32 v121, v6, v113
	s_waitcnt vmcnt(4)
	v_fma_f32 v2, v2, v114, -v119
	v_fmac_f32_e32 v8, v3, v114
	v_mul_f32_e32 v3, v7, v113
	s_waitcnt vmcnt(3)
	v_fma_f32 v4, v4, v115, -v112
	v_fmac_f32_e32 v120, v5, v115
	v_add_f32_e32 v2, 0, v2
	v_add_f32_e32 v5, 0, v8
	s_waitcnt vmcnt(2)
	v_fma_f32 v3, v6, v116, -v3
	v_fmac_f32_e32 v121, v7, v116
	v_add_f32_e32 v2, v2, v4
	v_add_f32_e32 v4, v5, v120
	;; [unrolled: 1-line block ×4, first 2 shown]
	s_waitcnt vmcnt(1)
	v_sub_f32_e32 v2, v117, v2
	s_waitcnt vmcnt(0)
	v_sub_f32_e32 v3, v118, v3
	buffer_store_dword v2, off, s[0:3], 0 offset:376
	buffer_store_dword v3, off, s[0:3], 0 offset:380
	v_cmpx_lt_u32_e32 46, v0
	s_cbranch_execz .LBB114_227
; %bb.226:
	s_clause 0x1
	buffer_load_dword v2, off, s[0:3], 0 offset:368
	buffer_load_dword v3, off, s[0:3], 0 offset:372
	buffer_store_dword v1, off, s[0:3], 0 offset:368
	buffer_store_dword v1, off, s[0:3], 0 offset:372
	s_waitcnt vmcnt(0)
	ds_write_b64 v111, v[2:3]
.LBB114_227:
	s_or_b32 exec_lo, exec_lo, s4
	s_waitcnt lgkmcnt(0)
	s_waitcnt_vscnt null, 0x0
	s_barrier
	buffer_gl0_inv
	s_clause 0x9
	buffer_load_dword v6, off, s[0:3], 0 offset:380
	buffer_load_dword v7, off, s[0:3], 0 offset:388
	;; [unrolled: 1-line block ×10, first 2 shown]
	ds_read2_b64 v[2:5], v1 offset0:99 offset1:100
	ds_read2_b64 v[112:115], v1 offset0:101 offset1:102
	s_mov_b32 s4, exec_lo
	s_waitcnt vmcnt(9) lgkmcnt(1)
	v_mul_f32_e32 v1, v2, v6
	v_mul_f32_e32 v6, v3, v6
	s_waitcnt vmcnt(8)
	v_mul_f32_e32 v123, v4, v7
	v_mul_f32_e32 v7, v5, v7
	s_waitcnt vmcnt(7) lgkmcnt(0)
	v_mul_f32_e32 v124, v112, v8
	s_waitcnt vmcnt(5)
	v_fmac_f32_e32 v1, v3, v117
	v_fma_f32 v2, v2, v117, -v6
	v_mul_f32_e32 v3, v113, v8
	s_waitcnt vmcnt(4)
	v_fma_f32 v4, v4, v118, -v7
	v_fmac_f32_e32 v123, v5, v118
	v_add_f32_e32 v1, 0, v1
	v_add_f32_e32 v2, 0, v2
	v_mul_f32_e32 v5, v115, v116
	s_waitcnt vmcnt(3)
	v_fma_f32 v3, v112, v119, -v3
	v_mul_f32_e32 v125, v114, v116
	v_fmac_f32_e32 v124, v113, v119
	v_add_f32_e32 v2, v2, v4
	v_add_f32_e32 v1, v1, v123
	s_waitcnt vmcnt(2)
	v_fma_f32 v4, v114, v120, -v5
	v_fmac_f32_e32 v125, v115, v120
	v_add_f32_e32 v2, v2, v3
	v_add_f32_e32 v1, v1, v124
	;; [unrolled: 1-line block ×4, first 2 shown]
	s_waitcnt vmcnt(1)
	v_sub_f32_e32 v2, v121, v2
	s_waitcnt vmcnt(0)
	v_sub_f32_e32 v1, v122, v1
	buffer_store_dword v2, off, s[0:3], 0 offset:368
	buffer_store_dword v1, off, s[0:3], 0 offset:372
	v_cmpx_lt_u32_e32 45, v0
	s_cbranch_execz .LBB114_229
; %bb.228:
	s_clause 0x1
	buffer_load_dword v1, off, s[0:3], 0 offset:360
	buffer_load_dword v2, off, s[0:3], 0 offset:364
	v_mov_b32_e32 v3, 0
	buffer_store_dword v3, off, s[0:3], 0 offset:360
	buffer_store_dword v3, off, s[0:3], 0 offset:364
	s_waitcnt vmcnt(0)
	ds_write_b64 v111, v[1:2]
.LBB114_229:
	s_or_b32 exec_lo, exec_lo, s4
	s_waitcnt lgkmcnt(0)
	s_waitcnt_vscnt null, 0x0
	s_barrier
	buffer_gl0_inv
	s_clause 0xb
	buffer_load_dword v8, off, s[0:3], 0 offset:372
	buffer_load_dword v116, off, s[0:3], 0 offset:380
	;; [unrolled: 1-line block ×12, first 2 shown]
	v_mov_b32_e32 v1, 0
	ds_read_b128 v[2:5], v1 offset:784
	ds_read_b128 v[112:115], v1 offset:800
	ds_read_b64 v[6:7], v1 offset:816
	s_mov_b32 s4, exec_lo
	s_waitcnt vmcnt(11) lgkmcnt(2)
	v_mul_f32_e32 v127, v2, v8
	v_mul_f32_e32 v8, v3, v8
	s_waitcnt vmcnt(10)
	v_mul_f32_e32 v128, v4, v116
	v_mul_f32_e32 v116, v5, v116
	s_waitcnt vmcnt(9) lgkmcnt(1)
	v_mul_f32_e32 v129, v112, v117
	s_waitcnt vmcnt(6)
	v_fmac_f32_e32 v127, v3, v120
	v_fma_f32 v2, v2, v120, -v8
	v_mul_f32_e32 v3, v113, v117
	s_waitcnt vmcnt(5)
	v_fma_f32 v4, v4, v121, -v116
	v_fmac_f32_e32 v128, v5, v121
	v_add_f32_e32 v5, 0, v127
	v_add_f32_e32 v2, 0, v2
	v_mul_f32_e32 v8, v115, v118
	s_waitcnt vmcnt(4)
	v_fma_f32 v3, v112, v122, -v3
	v_mul_f32_e32 v130, v114, v118
	v_fmac_f32_e32 v129, v113, v122
	v_add_f32_e32 v2, v2, v4
	v_add_f32_e32 v4, v5, v128
	s_waitcnt lgkmcnt(0)
	v_mul_f32_e32 v5, v7, v119
	s_waitcnt vmcnt(3)
	v_fma_f32 v8, v114, v123, -v8
	v_mul_f32_e32 v131, v6, v119
	v_add_f32_e32 v2, v2, v3
	v_fmac_f32_e32 v130, v115, v123
	v_add_f32_e32 v3, v4, v129
	s_waitcnt vmcnt(2)
	v_fma_f32 v4, v6, v124, -v5
	v_fmac_f32_e32 v131, v7, v124
	v_add_f32_e32 v2, v2, v8
	v_add_f32_e32 v3, v3, v130
	;; [unrolled: 1-line block ×4, first 2 shown]
	s_waitcnt vmcnt(1)
	v_sub_f32_e32 v2, v125, v2
	s_waitcnt vmcnt(0)
	v_sub_f32_e32 v3, v126, v3
	buffer_store_dword v2, off, s[0:3], 0 offset:360
	buffer_store_dword v3, off, s[0:3], 0 offset:364
	v_cmpx_lt_u32_e32 44, v0
	s_cbranch_execz .LBB114_231
; %bb.230:
	s_clause 0x1
	buffer_load_dword v2, off, s[0:3], 0 offset:352
	buffer_load_dword v3, off, s[0:3], 0 offset:356
	buffer_store_dword v1, off, s[0:3], 0 offset:352
	buffer_store_dword v1, off, s[0:3], 0 offset:356
	s_waitcnt vmcnt(0)
	ds_write_b64 v111, v[2:3]
.LBB114_231:
	s_or_b32 exec_lo, exec_lo, s4
	s_waitcnt lgkmcnt(0)
	s_waitcnt_vscnt null, 0x0
	s_barrier
	buffer_gl0_inv
	s_clause 0xd
	buffer_load_dword v6, off, s[0:3], 0 offset:364
	buffer_load_dword v7, off, s[0:3], 0 offset:372
	buffer_load_dword v8, off, s[0:3], 0 offset:380
	buffer_load_dword v120, off, s[0:3], 0 offset:388
	buffer_load_dword v121, off, s[0:3], 0 offset:396
	buffer_load_dword v122, off, s[0:3], 0 offset:404
	buffer_load_dword v123, off, s[0:3], 0 offset:360
	buffer_load_dword v124, off, s[0:3], 0 offset:368
	buffer_load_dword v125, off, s[0:3], 0 offset:376
	buffer_load_dword v126, off, s[0:3], 0 offset:384
	buffer_load_dword v127, off, s[0:3], 0 offset:392
	buffer_load_dword v128, off, s[0:3], 0 offset:400
	buffer_load_dword v129, off, s[0:3], 0 offset:352
	buffer_load_dword v130, off, s[0:3], 0 offset:356
	ds_read2_b64 v[2:5], v1 offset0:97 offset1:98
	ds_read2_b64 v[112:115], v1 offset0:99 offset1:100
	;; [unrolled: 1-line block ×3, first 2 shown]
	s_mov_b32 s4, exec_lo
	s_waitcnt vmcnt(13) lgkmcnt(2)
	v_mul_f32_e32 v1, v2, v6
	v_mul_f32_e32 v6, v3, v6
	s_waitcnt vmcnt(12)
	v_mul_f32_e32 v131, v4, v7
	v_mul_f32_e32 v7, v5, v7
	s_waitcnt vmcnt(11) lgkmcnt(1)
	v_mul_f32_e32 v132, v112, v8
	s_waitcnt vmcnt(10)
	v_mul_f32_e32 v133, v114, v120
	s_waitcnt vmcnt(7)
	v_fma_f32 v2, v2, v123, -v6
	v_fmac_f32_e32 v1, v3, v123
	v_mul_f32_e32 v3, v113, v8
	s_waitcnt vmcnt(6)
	v_fma_f32 v4, v4, v124, -v7
	v_fmac_f32_e32 v131, v5, v124
	v_add_f32_e32 v2, 0, v2
	v_add_f32_e32 v1, 0, v1
	v_mul_f32_e32 v5, v115, v120
	s_waitcnt vmcnt(5)
	v_fma_f32 v3, v112, v125, -v3
	v_fmac_f32_e32 v132, v113, v125
	v_add_f32_e32 v2, v2, v4
	v_add_f32_e32 v1, v1, v131
	s_waitcnt lgkmcnt(0)
	v_mul_f32_e32 v4, v117, v121
	s_waitcnt vmcnt(4)
	v_fma_f32 v5, v114, v126, -v5
	v_mul_f32_e32 v134, v116, v121
	v_add_f32_e32 v2, v2, v3
	v_fmac_f32_e32 v133, v115, v126
	v_add_f32_e32 v1, v1, v132
	v_mul_f32_e32 v3, v119, v122
	s_waitcnt vmcnt(3)
	v_fma_f32 v4, v116, v127, -v4
	v_add_f32_e32 v2, v2, v5
	v_mul_f32_e32 v135, v118, v122
	v_fmac_f32_e32 v134, v117, v127
	v_add_f32_e32 v1, v1, v133
	s_waitcnt vmcnt(2)
	v_fma_f32 v3, v118, v128, -v3
	v_add_f32_e32 v2, v2, v4
	v_fmac_f32_e32 v135, v119, v128
	v_add_f32_e32 v1, v1, v134
	v_add_f32_e32 v2, v2, v3
	;; [unrolled: 1-line block ×3, first 2 shown]
	s_waitcnt vmcnt(1)
	v_sub_f32_e32 v2, v129, v2
	s_waitcnt vmcnt(0)
	v_sub_f32_e32 v1, v130, v1
	buffer_store_dword v2, off, s[0:3], 0 offset:352
	buffer_store_dword v1, off, s[0:3], 0 offset:356
	v_cmpx_lt_u32_e32 43, v0
	s_cbranch_execz .LBB114_233
; %bb.232:
	s_clause 0x1
	buffer_load_dword v1, off, s[0:3], 0 offset:344
	buffer_load_dword v2, off, s[0:3], 0 offset:348
	v_mov_b32_e32 v3, 0
	buffer_store_dword v3, off, s[0:3], 0 offset:344
	buffer_store_dword v3, off, s[0:3], 0 offset:348
	s_waitcnt vmcnt(0)
	ds_write_b64 v111, v[1:2]
.LBB114_233:
	s_or_b32 exec_lo, exec_lo, s4
	s_waitcnt lgkmcnt(0)
	s_waitcnt_vscnt null, 0x0
	s_barrier
	buffer_gl0_inv
	s_clause 0xf
	buffer_load_dword v8, off, s[0:3], 0 offset:356
	buffer_load_dword v120, off, s[0:3], 0 offset:364
	;; [unrolled: 1-line block ×16, first 2 shown]
	v_mov_b32_e32 v1, 0
	ds_read_b128 v[2:5], v1 offset:768
	ds_read_b128 v[112:115], v1 offset:784
	;; [unrolled: 1-line block ×3, first 2 shown]
	ds_read_b64 v[6:7], v1 offset:816
	s_mov_b32 s4, exec_lo
	s_waitcnt vmcnt(15) lgkmcnt(3)
	v_mul_f32_e32 v135, v2, v8
	v_mul_f32_e32 v8, v3, v8
	s_waitcnt vmcnt(14)
	v_mul_f32_e32 v136, v4, v120
	v_mul_f32_e32 v120, v5, v120
	s_waitcnt vmcnt(13) lgkmcnt(2)
	v_mul_f32_e32 v137, v112, v121
	s_waitcnt vmcnt(12)
	v_mul_f32_e32 v138, v114, v122
	s_waitcnt vmcnt(11) lgkmcnt(1)
	v_mul_f32_e32 v139, v116, v123
	s_waitcnt vmcnt(8)
	v_fma_f32 v2, v2, v126, -v8
	v_fmac_f32_e32 v135, v3, v126
	v_mul_f32_e32 v3, v113, v121
	s_waitcnt vmcnt(7)
	v_fma_f32 v4, v4, v127, -v120
	v_fmac_f32_e32 v136, v5, v127
	v_add_f32_e32 v2, 0, v2
	v_add_f32_e32 v5, 0, v135
	v_mul_f32_e32 v8, v115, v122
	s_waitcnt vmcnt(6)
	v_fma_f32 v3, v112, v128, -v3
	v_fmac_f32_e32 v137, v113, v128
	v_add_f32_e32 v2, v2, v4
	v_add_f32_e32 v4, v5, v136
	;; [unrolled: 6-line block ×3, first 2 shown]
	v_mul_f32_e32 v4, v119, v124
	s_waitcnt vmcnt(4)
	v_fma_f32 v5, v116, v130, -v5
	v_mul_f32_e32 v140, v118, v124
	v_add_f32_e32 v2, v2, v8
	v_fmac_f32_e32 v139, v117, v130
	v_add_f32_e32 v3, v3, v138
	s_waitcnt lgkmcnt(0)
	v_mul_f32_e32 v8, v7, v125
	s_waitcnt vmcnt(3)
	v_fma_f32 v4, v118, v131, -v4
	v_add_f32_e32 v2, v2, v5
	v_mul_f32_e32 v141, v6, v125
	v_fmac_f32_e32 v140, v119, v131
	v_add_f32_e32 v3, v3, v139
	s_waitcnt vmcnt(2)
	v_fma_f32 v5, v6, v132, -v8
	v_add_f32_e32 v2, v2, v4
	v_fmac_f32_e32 v141, v7, v132
	v_add_f32_e32 v3, v3, v140
	v_add_f32_e32 v2, v2, v5
	;; [unrolled: 1-line block ×3, first 2 shown]
	s_waitcnt vmcnt(1)
	v_sub_f32_e32 v2, v133, v2
	s_waitcnt vmcnt(0)
	v_sub_f32_e32 v3, v134, v3
	buffer_store_dword v2, off, s[0:3], 0 offset:344
	buffer_store_dword v3, off, s[0:3], 0 offset:348
	v_cmpx_lt_u32_e32 42, v0
	s_cbranch_execz .LBB114_235
; %bb.234:
	s_clause 0x1
	buffer_load_dword v2, off, s[0:3], 0 offset:336
	buffer_load_dword v3, off, s[0:3], 0 offset:340
	buffer_store_dword v1, off, s[0:3], 0 offset:336
	buffer_store_dword v1, off, s[0:3], 0 offset:340
	s_waitcnt vmcnt(0)
	ds_write_b64 v111, v[2:3]
.LBB114_235:
	s_or_b32 exec_lo, exec_lo, s4
	s_waitcnt lgkmcnt(0)
	s_waitcnt_vscnt null, 0x0
	s_barrier
	buffer_gl0_inv
	s_clause 0x11
	buffer_load_dword v6, off, s[0:3], 0 offset:348
	buffer_load_dword v7, off, s[0:3], 0 offset:356
	;; [unrolled: 1-line block ×18, first 2 shown]
	ds_read2_b64 v[2:5], v1 offset0:95 offset1:96
	ds_read2_b64 v[112:115], v1 offset0:97 offset1:98
	;; [unrolled: 1-line block ×4, first 2 shown]
	s_mov_b32 s4, exec_lo
	s_waitcnt vmcnt(17) lgkmcnt(3)
	v_mul_f32_e32 v1, v2, v6
	v_mul_f32_e32 v6, v3, v6
	s_waitcnt vmcnt(16)
	v_mul_f32_e32 v139, v4, v7
	v_mul_f32_e32 v7, v5, v7
	s_waitcnt vmcnt(15) lgkmcnt(2)
	v_mul_f32_e32 v140, v112, v8
	s_waitcnt vmcnt(14)
	v_mul_f32_e32 v141, v114, v124
	s_waitcnt vmcnt(13) lgkmcnt(1)
	v_mul_f32_e32 v142, v116, v125
	s_waitcnt vmcnt(12)
	v_mul_f32_e32 v143, v118, v126
	s_waitcnt vmcnt(9)
	v_fma_f32 v2, v2, v129, -v6
	v_fmac_f32_e32 v1, v3, v129
	v_mul_f32_e32 v3, v113, v8
	s_waitcnt vmcnt(8)
	v_fma_f32 v4, v4, v130, -v7
	v_fmac_f32_e32 v139, v5, v130
	v_add_f32_e32 v2, 0, v2
	v_add_f32_e32 v1, 0, v1
	v_mul_f32_e32 v5, v115, v124
	s_waitcnt vmcnt(7)
	v_fma_f32 v3, v112, v131, -v3
	v_fmac_f32_e32 v140, v113, v131
	v_add_f32_e32 v2, v2, v4
	v_add_f32_e32 v1, v1, v139
	;; [unrolled: 6-line block ×4, first 2 shown]
	s_waitcnt lgkmcnt(0)
	v_mul_f32_e32 v5, v121, v127
	s_waitcnt vmcnt(4)
	v_fma_f32 v3, v118, v134, -v3
	v_mul_f32_e32 v144, v120, v127
	v_add_f32_e32 v2, v2, v4
	v_fmac_f32_e32 v143, v119, v134
	v_add_f32_e32 v1, v1, v142
	v_mul_f32_e32 v4, v123, v128
	s_waitcnt vmcnt(3)
	v_fma_f32 v5, v120, v135, -v5
	v_add_f32_e32 v2, v2, v3
	v_mul_f32_e32 v145, v122, v128
	v_fmac_f32_e32 v144, v121, v135
	v_add_f32_e32 v1, v1, v143
	s_waitcnt vmcnt(2)
	v_fma_f32 v3, v122, v136, -v4
	v_add_f32_e32 v2, v2, v5
	v_fmac_f32_e32 v145, v123, v136
	v_add_f32_e32 v1, v1, v144
	v_add_f32_e32 v2, v2, v3
	;; [unrolled: 1-line block ×3, first 2 shown]
	s_waitcnt vmcnt(1)
	v_sub_f32_e32 v2, v137, v2
	s_waitcnt vmcnt(0)
	v_sub_f32_e32 v1, v138, v1
	buffer_store_dword v2, off, s[0:3], 0 offset:336
	buffer_store_dword v1, off, s[0:3], 0 offset:340
	v_cmpx_lt_u32_e32 41, v0
	s_cbranch_execz .LBB114_237
; %bb.236:
	s_clause 0x1
	buffer_load_dword v1, off, s[0:3], 0 offset:328
	buffer_load_dword v2, off, s[0:3], 0 offset:332
	v_mov_b32_e32 v3, 0
	buffer_store_dword v3, off, s[0:3], 0 offset:328
	buffer_store_dword v3, off, s[0:3], 0 offset:332
	s_waitcnt vmcnt(0)
	ds_write_b64 v111, v[1:2]
.LBB114_237:
	s_or_b32 exec_lo, exec_lo, s4
	s_waitcnt lgkmcnt(0)
	s_waitcnt_vscnt null, 0x0
	s_barrier
	buffer_gl0_inv
	s_clause 0x13
	buffer_load_dword v8, off, s[0:3], 0 offset:340
	buffer_load_dword v124, off, s[0:3], 0 offset:348
	;; [unrolled: 1-line block ×20, first 2 shown]
	v_mov_b32_e32 v1, 0
	ds_read_b128 v[2:5], v1 offset:752
	ds_read_b128 v[112:115], v1 offset:768
	;; [unrolled: 1-line block ×4, first 2 shown]
	ds_read_b64 v[6:7], v1 offset:816
	s_mov_b32 s4, exec_lo
	s_waitcnt vmcnt(19) lgkmcnt(4)
	v_mul_f32_e32 v143, v2, v8
	v_mul_f32_e32 v8, v3, v8
	s_waitcnt vmcnt(18)
	v_mul_f32_e32 v144, v4, v124
	v_mul_f32_e32 v124, v5, v124
	s_waitcnt vmcnt(17) lgkmcnt(3)
	v_mul_f32_e32 v145, v112, v125
	s_waitcnt vmcnt(16)
	v_mul_f32_e32 v146, v114, v126
	s_waitcnt vmcnt(15) lgkmcnt(2)
	v_mul_f32_e32 v147, v116, v127
	s_waitcnt vmcnt(14)
	;; [unrolled: 4-line block ×3, first 2 shown]
	v_fma_f32 v2, v2, v132, -v8
	v_fmac_f32_e32 v143, v3, v132
	v_mul_f32_e32 v3, v113, v125
	s_waitcnt vmcnt(9)
	v_fma_f32 v4, v4, v133, -v124
	v_fmac_f32_e32 v144, v5, v133
	v_add_f32_e32 v2, 0, v2
	v_add_f32_e32 v5, 0, v143
	v_mul_f32_e32 v8, v115, v126
	s_waitcnt vmcnt(8)
	v_fma_f32 v3, v112, v134, -v3
	v_fmac_f32_e32 v145, v113, v134
	v_add_f32_e32 v2, v2, v4
	v_add_f32_e32 v4, v5, v144
	;; [unrolled: 6-line block ×5, first 2 shown]
	v_mul_f32_e32 v5, v123, v130
	s_waitcnt vmcnt(4)
	v_fma_f32 v8, v120, v138, -v8
	v_mul_f32_e32 v150, v122, v130
	v_add_f32_e32 v2, v2, v4
	v_fmac_f32_e32 v149, v121, v138
	v_add_f32_e32 v3, v3, v148
	s_waitcnt lgkmcnt(0)
	v_mul_f32_e32 v4, v7, v131
	s_waitcnt vmcnt(3)
	v_fma_f32 v5, v122, v139, -v5
	v_add_f32_e32 v2, v2, v8
	v_mul_f32_e32 v151, v6, v131
	v_fmac_f32_e32 v150, v123, v139
	v_add_f32_e32 v3, v3, v149
	s_waitcnt vmcnt(2)
	v_fma_f32 v4, v6, v140, -v4
	v_add_f32_e32 v2, v2, v5
	v_fmac_f32_e32 v151, v7, v140
	v_add_f32_e32 v3, v3, v150
	v_add_f32_e32 v2, v2, v4
	;; [unrolled: 1-line block ×3, first 2 shown]
	s_waitcnt vmcnt(1)
	v_sub_f32_e32 v2, v141, v2
	s_waitcnt vmcnt(0)
	v_sub_f32_e32 v3, v142, v3
	buffer_store_dword v2, off, s[0:3], 0 offset:328
	buffer_store_dword v3, off, s[0:3], 0 offset:332
	v_cmpx_lt_u32_e32 40, v0
	s_cbranch_execz .LBB114_239
; %bb.238:
	s_clause 0x1
	buffer_load_dword v2, off, s[0:3], 0 offset:320
	buffer_load_dword v3, off, s[0:3], 0 offset:324
	buffer_store_dword v1, off, s[0:3], 0 offset:320
	buffer_store_dword v1, off, s[0:3], 0 offset:324
	s_waitcnt vmcnt(0)
	ds_write_b64 v111, v[2:3]
.LBB114_239:
	s_or_b32 exec_lo, exec_lo, s4
	s_waitcnt lgkmcnt(0)
	s_waitcnt_vscnt null, 0x0
	s_barrier
	buffer_gl0_inv
	s_clause 0x15
	buffer_load_dword v6, off, s[0:3], 0 offset:332
	buffer_load_dword v7, off, s[0:3], 0 offset:340
	;; [unrolled: 1-line block ×22, first 2 shown]
	ds_read2_b64 v[2:5], v1 offset0:93 offset1:94
	ds_read2_b64 v[112:115], v1 offset0:95 offset1:96
	;; [unrolled: 1-line block ×5, first 2 shown]
	s_mov_b32 s4, exec_lo
	s_waitcnt vmcnt(21) lgkmcnt(4)
	v_mul_f32_e32 v1, v2, v6
	v_mul_f32_e32 v6, v3, v6
	s_waitcnt vmcnt(20)
	v_mul_f32_e32 v147, v4, v7
	v_mul_f32_e32 v7, v5, v7
	s_waitcnt vmcnt(19) lgkmcnt(3)
	v_mul_f32_e32 v148, v112, v8
	s_waitcnt vmcnt(18)
	v_mul_f32_e32 v149, v114, v128
	s_waitcnt vmcnt(17) lgkmcnt(2)
	v_mul_f32_e32 v150, v116, v129
	s_waitcnt vmcnt(16)
	;; [unrolled: 4-line block ×3, first 2 shown]
	v_mul_f32_e32 v153, v122, v132
	s_waitcnt vmcnt(11)
	v_fma_f32 v2, v2, v135, -v6
	v_fmac_f32_e32 v1, v3, v135
	v_mul_f32_e32 v3, v113, v8
	s_waitcnt vmcnt(10)
	v_fma_f32 v4, v4, v136, -v7
	v_fmac_f32_e32 v147, v5, v136
	v_add_f32_e32 v2, 0, v2
	v_add_f32_e32 v1, 0, v1
	v_mul_f32_e32 v5, v115, v128
	s_waitcnt vmcnt(9)
	v_fma_f32 v3, v112, v137, -v3
	v_fmac_f32_e32 v148, v113, v137
	v_add_f32_e32 v2, v2, v4
	v_add_f32_e32 v1, v1, v147
	;; [unrolled: 6-line block ×6, first 2 shown]
	s_waitcnt lgkmcnt(0)
	v_mul_f32_e32 v3, v125, v133
	s_waitcnt vmcnt(4)
	v_fma_f32 v4, v122, v142, -v4
	v_mul_f32_e32 v154, v124, v133
	v_add_f32_e32 v2, v2, v5
	v_fmac_f32_e32 v153, v123, v142
	v_add_f32_e32 v1, v1, v152
	v_mul_f32_e32 v5, v127, v134
	s_waitcnt vmcnt(3)
	v_fma_f32 v3, v124, v143, -v3
	v_add_f32_e32 v2, v2, v4
	v_mul_f32_e32 v155, v126, v134
	v_fmac_f32_e32 v154, v125, v143
	v_add_f32_e32 v1, v1, v153
	s_waitcnt vmcnt(2)
	v_fma_f32 v4, v126, v144, -v5
	v_add_f32_e32 v2, v2, v3
	v_fmac_f32_e32 v155, v127, v144
	v_add_f32_e32 v1, v1, v154
	v_add_f32_e32 v2, v2, v4
	v_add_f32_e32 v1, v1, v155
	s_waitcnt vmcnt(1)
	v_sub_f32_e32 v2, v145, v2
	s_waitcnt vmcnt(0)
	v_sub_f32_e32 v1, v146, v1
	buffer_store_dword v2, off, s[0:3], 0 offset:320
	buffer_store_dword v1, off, s[0:3], 0 offset:324
	v_cmpx_lt_u32_e32 39, v0
	s_cbranch_execz .LBB114_241
; %bb.240:
	s_clause 0x1
	buffer_load_dword v1, off, s[0:3], 0 offset:312
	buffer_load_dword v2, off, s[0:3], 0 offset:316
	v_mov_b32_e32 v3, 0
	buffer_store_dword v3, off, s[0:3], 0 offset:312
	buffer_store_dword v3, off, s[0:3], 0 offset:316
	s_waitcnt vmcnt(0)
	ds_write_b64 v111, v[1:2]
.LBB114_241:
	s_or_b32 exec_lo, exec_lo, s4
	s_waitcnt lgkmcnt(0)
	s_waitcnt_vscnt null, 0x0
	s_barrier
	buffer_gl0_inv
	s_clause 0x17
	buffer_load_dword v8, off, s[0:3], 0 offset:324
	buffer_load_dword v128, off, s[0:3], 0 offset:332
	;; [unrolled: 1-line block ×24, first 2 shown]
	v_mov_b32_e32 v1, 0
	ds_read_b128 v[2:5], v1 offset:736
	ds_read_b128 v[112:115], v1 offset:752
	;; [unrolled: 1-line block ×5, first 2 shown]
	ds_read_b64 v[6:7], v1 offset:816
	s_mov_b32 s4, exec_lo
	s_waitcnt vmcnt(23) lgkmcnt(5)
	v_mul_f32_e32 v151, v2, v8
	v_mul_f32_e32 v8, v3, v8
	s_waitcnt vmcnt(22)
	v_mul_f32_e32 v152, v4, v128
	v_mul_f32_e32 v128, v5, v128
	s_waitcnt vmcnt(21) lgkmcnt(4)
	v_mul_f32_e32 v153, v112, v129
	s_waitcnt vmcnt(20)
	v_mul_f32_e32 v154, v114, v130
	s_waitcnt vmcnt(19) lgkmcnt(3)
	v_mul_f32_e32 v155, v116, v131
	s_waitcnt vmcnt(18)
	;; [unrolled: 4-line block ×4, first 2 shown]
	v_fma_f32 v2, v2, v138, -v8
	v_fmac_f32_e32 v151, v3, v138
	v_mul_f32_e32 v3, v113, v129
	s_waitcnt vmcnt(11)
	v_fma_f32 v4, v4, v139, -v128
	v_fmac_f32_e32 v152, v5, v139
	v_add_f32_e32 v2, 0, v2
	v_add_f32_e32 v5, 0, v151
	v_mul_f32_e32 v8, v115, v130
	s_waitcnt vmcnt(10)
	v_fma_f32 v3, v112, v140, -v3
	v_fmac_f32_e32 v153, v113, v140
	v_add_f32_e32 v2, v2, v4
	v_add_f32_e32 v4, v5, v152
	;; [unrolled: 6-line block ×7, first 2 shown]
	v_mul_f32_e32 v8, v127, v136
	s_waitcnt vmcnt(4)
	v_fma_f32 v4, v124, v146, -v4
	v_mul_f32_e32 v160, v126, v136
	v_add_f32_e32 v2, v2, v5
	v_fmac_f32_e32 v159, v125, v146
	v_add_f32_e32 v3, v3, v158
	s_waitcnt lgkmcnt(0)
	v_mul_f32_e32 v5, v7, v137
	s_waitcnt vmcnt(3)
	v_fma_f32 v8, v126, v147, -v8
	v_add_f32_e32 v2, v2, v4
	v_mul_f32_e32 v161, v6, v137
	v_fmac_f32_e32 v160, v127, v147
	v_add_f32_e32 v3, v3, v159
	s_waitcnt vmcnt(2)
	v_fma_f32 v4, v6, v148, -v5
	v_add_f32_e32 v2, v2, v8
	v_fmac_f32_e32 v161, v7, v148
	v_add_f32_e32 v3, v3, v160
	v_add_f32_e32 v2, v2, v4
	;; [unrolled: 1-line block ×3, first 2 shown]
	s_waitcnt vmcnt(1)
	v_sub_f32_e32 v2, v149, v2
	s_waitcnt vmcnt(0)
	v_sub_f32_e32 v3, v150, v3
	buffer_store_dword v2, off, s[0:3], 0 offset:312
	buffer_store_dword v3, off, s[0:3], 0 offset:316
	v_cmpx_lt_u32_e32 38, v0
	s_cbranch_execz .LBB114_243
; %bb.242:
	s_clause 0x1
	buffer_load_dword v2, off, s[0:3], 0 offset:304
	buffer_load_dword v3, off, s[0:3], 0 offset:308
	buffer_store_dword v1, off, s[0:3], 0 offset:304
	buffer_store_dword v1, off, s[0:3], 0 offset:308
	s_waitcnt vmcnt(0)
	ds_write_b64 v111, v[2:3]
.LBB114_243:
	s_or_b32 exec_lo, exec_lo, s4
	s_waitcnt lgkmcnt(0)
	s_waitcnt_vscnt null, 0x0
	s_barrier
	buffer_gl0_inv
	s_clause 0x19
	buffer_load_dword v6, off, s[0:3], 0 offset:316
	buffer_load_dword v7, off, s[0:3], 0 offset:324
	;; [unrolled: 1-line block ×26, first 2 shown]
	ds_read2_b64 v[2:5], v1 offset0:91 offset1:92
	ds_read2_b64 v[112:115], v1 offset0:93 offset1:94
	;; [unrolled: 1-line block ×6, first 2 shown]
	s_mov_b32 s4, exec_lo
	s_waitcnt vmcnt(25) lgkmcnt(5)
	v_mul_f32_e32 v1, v2, v6
	v_mul_f32_e32 v6, v3, v6
	s_waitcnt vmcnt(24)
	v_mul_f32_e32 v155, v4, v7
	v_mul_f32_e32 v7, v5, v7
	s_waitcnt vmcnt(23) lgkmcnt(4)
	v_mul_f32_e32 v156, v112, v8
	s_waitcnt vmcnt(22)
	v_mul_f32_e32 v157, v114, v132
	s_waitcnt vmcnt(21) lgkmcnt(3)
	v_mul_f32_e32 v158, v116, v133
	s_waitcnt vmcnt(20)
	;; [unrolled: 4-line block ×4, first 2 shown]
	v_mul_f32_e32 v163, v126, v138
	s_waitcnt vmcnt(13)
	v_fma_f32 v2, v2, v141, -v6
	v_fmac_f32_e32 v1, v3, v141
	v_mul_f32_e32 v3, v113, v8
	s_waitcnt vmcnt(12)
	v_fma_f32 v4, v4, v142, -v7
	v_fmac_f32_e32 v155, v5, v142
	v_add_f32_e32 v2, 0, v2
	v_add_f32_e32 v1, 0, v1
	v_mul_f32_e32 v5, v115, v132
	s_waitcnt vmcnt(11)
	v_fma_f32 v3, v112, v143, -v3
	v_fmac_f32_e32 v156, v113, v143
	v_add_f32_e32 v2, v2, v4
	v_add_f32_e32 v1, v1, v155
	;; [unrolled: 6-line block ×8, first 2 shown]
	s_waitcnt lgkmcnt(0)
	v_mul_f32_e32 v4, v129, v139
	s_waitcnt vmcnt(4)
	v_fma_f32 v5, v126, v150, -v5
	v_mul_f32_e32 v164, v128, v139
	v_add_f32_e32 v2, v2, v3
	v_fmac_f32_e32 v163, v127, v150
	v_add_f32_e32 v1, v1, v162
	v_mul_f32_e32 v3, v131, v140
	s_waitcnt vmcnt(3)
	v_fma_f32 v4, v128, v151, -v4
	v_add_f32_e32 v2, v2, v5
	v_mul_f32_e32 v165, v130, v140
	v_fmac_f32_e32 v164, v129, v151
	v_add_f32_e32 v1, v1, v163
	s_waitcnt vmcnt(2)
	v_fma_f32 v3, v130, v152, -v3
	v_add_f32_e32 v2, v2, v4
	v_fmac_f32_e32 v165, v131, v152
	v_add_f32_e32 v1, v1, v164
	v_add_f32_e32 v2, v2, v3
	;; [unrolled: 1-line block ×3, first 2 shown]
	s_waitcnt vmcnt(1)
	v_sub_f32_e32 v2, v153, v2
	s_waitcnt vmcnt(0)
	v_sub_f32_e32 v1, v154, v1
	buffer_store_dword v2, off, s[0:3], 0 offset:304
	buffer_store_dword v1, off, s[0:3], 0 offset:308
	v_cmpx_lt_u32_e32 37, v0
	s_cbranch_execz .LBB114_245
; %bb.244:
	s_clause 0x1
	buffer_load_dword v1, off, s[0:3], 0 offset:296
	buffer_load_dword v2, off, s[0:3], 0 offset:300
	v_mov_b32_e32 v3, 0
	buffer_store_dword v3, off, s[0:3], 0 offset:296
	buffer_store_dword v3, off, s[0:3], 0 offset:300
	s_waitcnt vmcnt(0)
	ds_write_b64 v111, v[1:2]
.LBB114_245:
	s_or_b32 exec_lo, exec_lo, s4
	s_waitcnt lgkmcnt(0)
	s_waitcnt_vscnt null, 0x0
	s_barrier
	buffer_gl0_inv
	s_clause 0x1b
	buffer_load_dword v8, off, s[0:3], 0 offset:308
	buffer_load_dword v132, off, s[0:3], 0 offset:316
	;; [unrolled: 1-line block ×28, first 2 shown]
	v_mov_b32_e32 v1, 0
	ds_read_b128 v[2:5], v1 offset:720
	ds_read_b128 v[112:115], v1 offset:736
	;; [unrolled: 1-line block ×6, first 2 shown]
	ds_read_b64 v[6:7], v1 offset:816
	s_mov_b32 s4, exec_lo
	s_waitcnt vmcnt(27) lgkmcnt(6)
	v_mul_f32_e32 v159, v2, v8
	v_mul_f32_e32 v8, v3, v8
	s_waitcnt vmcnt(26)
	v_mul_f32_e32 v160, v4, v132
	v_mul_f32_e32 v132, v5, v132
	s_waitcnt vmcnt(25) lgkmcnt(5)
	v_mul_f32_e32 v161, v112, v133
	s_waitcnt vmcnt(24)
	v_mul_f32_e32 v162, v114, v134
	s_waitcnt vmcnt(23) lgkmcnt(4)
	v_mul_f32_e32 v163, v116, v135
	s_waitcnt vmcnt(22)
	;; [unrolled: 4-line block ×5, first 2 shown]
	v_fma_f32 v2, v2, v144, -v8
	v_fmac_f32_e32 v159, v3, v144
	v_mul_f32_e32 v3, v113, v133
	s_waitcnt vmcnt(13)
	v_fma_f32 v4, v4, v145, -v132
	v_fmac_f32_e32 v160, v5, v145
	v_add_f32_e32 v2, 0, v2
	v_add_f32_e32 v5, 0, v159
	v_mul_f32_e32 v8, v115, v134
	s_waitcnt vmcnt(12)
	v_fma_f32 v3, v112, v146, -v3
	v_fmac_f32_e32 v161, v113, v146
	v_add_f32_e32 v2, v2, v4
	v_add_f32_e32 v4, v5, v160
	;; [unrolled: 6-line block ×9, first 2 shown]
	v_mul_f32_e32 v4, v131, v142
	s_waitcnt vmcnt(4)
	v_fma_f32 v5, v128, v154, -v5
	v_mul_f32_e32 v170, v130, v142
	v_add_f32_e32 v2, v2, v8
	v_fmac_f32_e32 v169, v129, v154
	v_add_f32_e32 v3, v3, v168
	s_waitcnt lgkmcnt(0)
	v_mul_f32_e32 v8, v7, v143
	s_waitcnt vmcnt(3)
	v_fma_f32 v4, v130, v155, -v4
	v_add_f32_e32 v2, v2, v5
	v_mul_f32_e32 v171, v6, v143
	v_fmac_f32_e32 v170, v131, v155
	v_add_f32_e32 v3, v3, v169
	s_waitcnt vmcnt(2)
	v_fma_f32 v5, v6, v156, -v8
	v_add_f32_e32 v2, v2, v4
	v_fmac_f32_e32 v171, v7, v156
	v_add_f32_e32 v3, v3, v170
	v_add_f32_e32 v2, v2, v5
	;; [unrolled: 1-line block ×3, first 2 shown]
	s_waitcnt vmcnt(1)
	v_sub_f32_e32 v2, v157, v2
	s_waitcnt vmcnt(0)
	v_sub_f32_e32 v3, v158, v3
	buffer_store_dword v2, off, s[0:3], 0 offset:296
	buffer_store_dword v3, off, s[0:3], 0 offset:300
	v_cmpx_lt_u32_e32 36, v0
	s_cbranch_execz .LBB114_247
; %bb.246:
	s_clause 0x1
	buffer_load_dword v2, off, s[0:3], 0 offset:288
	buffer_load_dword v3, off, s[0:3], 0 offset:292
	buffer_store_dword v1, off, s[0:3], 0 offset:288
	buffer_store_dword v1, off, s[0:3], 0 offset:292
	s_waitcnt vmcnt(0)
	ds_write_b64 v111, v[2:3]
.LBB114_247:
	s_or_b32 exec_lo, exec_lo, s4
	s_waitcnt lgkmcnt(0)
	s_waitcnt_vscnt null, 0x0
	s_barrier
	buffer_gl0_inv
	s_clause 0x1d
	buffer_load_dword v6, off, s[0:3], 0 offset:300
	buffer_load_dword v7, off, s[0:3], 0 offset:308
	;; [unrolled: 1-line block ×30, first 2 shown]
	ds_read2_b64 v[2:5], v1 offset0:89 offset1:90
	ds_read2_b64 v[112:115], v1 offset0:91 offset1:92
	;; [unrolled: 1-line block ×7, first 2 shown]
	s_mov_b32 s4, exec_lo
	s_waitcnt vmcnt(29) lgkmcnt(6)
	v_mul_f32_e32 v1, v2, v6
	v_mul_f32_e32 v6, v3, v6
	s_waitcnt vmcnt(28)
	v_mul_f32_e32 v163, v4, v7
	v_mul_f32_e32 v7, v5, v7
	s_waitcnt vmcnt(27) lgkmcnt(5)
	v_mul_f32_e32 v164, v112, v8
	s_waitcnt vmcnt(26)
	v_mul_f32_e32 v165, v114, v136
	s_waitcnt vmcnt(25) lgkmcnt(4)
	v_mul_f32_e32 v166, v116, v137
	s_waitcnt vmcnt(24)
	;; [unrolled: 4-line block ×5, first 2 shown]
	v_mul_f32_e32 v173, v130, v144
	s_waitcnt vmcnt(15)
	v_fma_f32 v2, v2, v147, -v6
	v_fmac_f32_e32 v1, v3, v147
	v_mul_f32_e32 v3, v113, v8
	s_waitcnt vmcnt(14)
	v_fma_f32 v4, v4, v148, -v7
	v_fmac_f32_e32 v163, v5, v148
	v_add_f32_e32 v2, 0, v2
	v_add_f32_e32 v1, 0, v1
	v_mul_f32_e32 v5, v115, v136
	s_waitcnt vmcnt(13)
	v_fma_f32 v3, v112, v149, -v3
	v_fmac_f32_e32 v164, v113, v149
	v_add_f32_e32 v2, v2, v4
	v_add_f32_e32 v1, v1, v163
	v_mul_f32_e32 v4, v117, v137
	s_waitcnt vmcnt(12)
	v_fma_f32 v5, v114, v150, -v5
	v_fmac_f32_e32 v165, v115, v150
	v_add_f32_e32 v2, v2, v3
	v_add_f32_e32 v1, v1, v164
	v_mul_f32_e32 v3, v119, v138
	s_waitcnt vmcnt(11)
	v_fma_f32 v4, v116, v151, -v4
	v_fmac_f32_e32 v166, v117, v151
	v_add_f32_e32 v2, v2, v5
	v_add_f32_e32 v1, v1, v165
	v_mul_f32_e32 v5, v121, v139
	s_waitcnt vmcnt(10)
	v_fma_f32 v3, v118, v152, -v3
	v_fmac_f32_e32 v167, v119, v152
	v_add_f32_e32 v2, v2, v4
	v_add_f32_e32 v1, v1, v166
	v_mul_f32_e32 v4, v123, v140
	s_waitcnt vmcnt(9)
	v_fma_f32 v5, v120, v153, -v5
	v_fmac_f32_e32 v168, v121, v153
	v_add_f32_e32 v2, v2, v3
	v_add_f32_e32 v1, v1, v167
	v_mul_f32_e32 v3, v125, v141
	s_waitcnt vmcnt(8)
	v_fma_f32 v4, v122, v154, -v4
	v_fmac_f32_e32 v169, v123, v154
	v_add_f32_e32 v2, v2, v5
	v_add_f32_e32 v1, v1, v168
	v_mul_f32_e32 v5, v127, v142
	s_waitcnt vmcnt(7)
	v_fma_f32 v3, v124, v155, -v3
	v_fmac_f32_e32 v170, v125, v155
	v_add_f32_e32 v2, v2, v4
	v_add_f32_e32 v1, v1, v169
	v_mul_f32_e32 v4, v129, v143
	s_waitcnt vmcnt(6)
	v_fma_f32 v5, v126, v156, -v5
	v_fmac_f32_e32 v171, v127, v156
	v_add_f32_e32 v2, v2, v3
	v_add_f32_e32 v1, v1, v170
	v_mul_f32_e32 v3, v131, v144
	s_waitcnt vmcnt(5)
	v_fma_f32 v4, v128, v157, -v4
	v_fmac_f32_e32 v172, v129, v157
	v_add_f32_e32 v2, v2, v5
	v_add_f32_e32 v1, v1, v171
	s_waitcnt lgkmcnt(0)
	v_mul_f32_e32 v5, v133, v145
	s_waitcnt vmcnt(4)
	v_fma_f32 v3, v130, v158, -v3
	v_mul_f32_e32 v174, v132, v145
	v_add_f32_e32 v2, v2, v4
	v_fmac_f32_e32 v173, v131, v158
	v_add_f32_e32 v1, v1, v172
	v_mul_f32_e32 v4, v135, v146
	s_waitcnt vmcnt(3)
	v_fma_f32 v5, v132, v159, -v5
	v_add_f32_e32 v2, v2, v3
	v_mul_f32_e32 v175, v134, v146
	v_fmac_f32_e32 v174, v133, v159
	v_add_f32_e32 v1, v1, v173
	s_waitcnt vmcnt(2)
	v_fma_f32 v3, v134, v160, -v4
	v_add_f32_e32 v2, v2, v5
	v_fmac_f32_e32 v175, v135, v160
	v_add_f32_e32 v1, v1, v174
	v_add_f32_e32 v2, v2, v3
	;; [unrolled: 1-line block ×3, first 2 shown]
	s_waitcnt vmcnt(1)
	v_sub_f32_e32 v2, v161, v2
	s_waitcnt vmcnt(0)
	v_sub_f32_e32 v1, v162, v1
	buffer_store_dword v2, off, s[0:3], 0 offset:288
	buffer_store_dword v1, off, s[0:3], 0 offset:292
	v_cmpx_lt_u32_e32 35, v0
	s_cbranch_execz .LBB114_249
; %bb.248:
	s_clause 0x1
	buffer_load_dword v1, off, s[0:3], 0 offset:280
	buffer_load_dword v2, off, s[0:3], 0 offset:284
	v_mov_b32_e32 v3, 0
	buffer_store_dword v3, off, s[0:3], 0 offset:280
	buffer_store_dword v3, off, s[0:3], 0 offset:284
	s_waitcnt vmcnt(0)
	ds_write_b64 v111, v[1:2]
.LBB114_249:
	s_or_b32 exec_lo, exec_lo, s4
	s_waitcnt lgkmcnt(0)
	s_waitcnt_vscnt null, 0x0
	s_barrier
	buffer_gl0_inv
	s_clause 0x1f
	buffer_load_dword v8, off, s[0:3], 0 offset:292
	buffer_load_dword v136, off, s[0:3], 0 offset:300
	;; [unrolled: 1-line block ×32, first 2 shown]
	v_mov_b32_e32 v1, 0
	ds_read_b128 v[2:5], v1 offset:704
	ds_read_b128 v[112:115], v1 offset:720
	;; [unrolled: 1-line block ×7, first 2 shown]
	ds_read_b64 v[6:7], v1 offset:816
	s_mov_b32 s4, exec_lo
	s_waitcnt vmcnt(31) lgkmcnt(7)
	v_mul_f32_e32 v167, v2, v8
	v_mul_f32_e32 v8, v3, v8
	s_waitcnt vmcnt(30)
	v_mul_f32_e32 v168, v4, v136
	v_mul_f32_e32 v136, v5, v136
	s_waitcnt vmcnt(29) lgkmcnt(6)
	v_mul_f32_e32 v169, v112, v137
	s_waitcnt vmcnt(28)
	v_mul_f32_e32 v170, v114, v138
	s_waitcnt vmcnt(27) lgkmcnt(5)
	v_mul_f32_e32 v171, v116, v139
	s_waitcnt vmcnt(26)
	;; [unrolled: 4-line block ×6, first 2 shown]
	v_fma_f32 v2, v2, v150, -v8
	v_fmac_f32_e32 v167, v3, v150
	v_mul_f32_e32 v3, v113, v137
	s_waitcnt vmcnt(15)
	v_fma_f32 v4, v4, v151, -v136
	v_fmac_f32_e32 v168, v5, v151
	v_add_f32_e32 v2, 0, v2
	v_add_f32_e32 v5, 0, v167
	v_mul_f32_e32 v8, v115, v138
	s_waitcnt vmcnt(14)
	v_fma_f32 v3, v112, v152, -v3
	v_fmac_f32_e32 v169, v113, v152
	v_add_f32_e32 v2, v2, v4
	v_add_f32_e32 v4, v5, v168
	;; [unrolled: 6-line block ×11, first 2 shown]
	v_mul_f32_e32 v5, v135, v148
	s_waitcnt vmcnt(4)
	v_fma_f32 v8, v132, v162, -v8
	v_mul_f32_e32 v180, v134, v148
	v_add_f32_e32 v2, v2, v4
	v_fmac_f32_e32 v179, v133, v162
	v_add_f32_e32 v3, v3, v178
	s_waitcnt lgkmcnt(0)
	v_mul_f32_e32 v4, v7, v149
	s_waitcnt vmcnt(3)
	v_fma_f32 v5, v134, v163, -v5
	v_add_f32_e32 v2, v2, v8
	v_mul_f32_e32 v181, v6, v149
	v_fmac_f32_e32 v180, v135, v163
	v_add_f32_e32 v3, v3, v179
	s_waitcnt vmcnt(2)
	v_fma_f32 v4, v6, v164, -v4
	v_add_f32_e32 v2, v2, v5
	v_fmac_f32_e32 v181, v7, v164
	v_add_f32_e32 v3, v3, v180
	v_add_f32_e32 v2, v2, v4
	;; [unrolled: 1-line block ×3, first 2 shown]
	s_waitcnt vmcnt(1)
	v_sub_f32_e32 v2, v165, v2
	s_waitcnt vmcnt(0)
	v_sub_f32_e32 v3, v166, v3
	buffer_store_dword v2, off, s[0:3], 0 offset:280
	buffer_store_dword v3, off, s[0:3], 0 offset:284
	v_cmpx_lt_u32_e32 34, v0
	s_cbranch_execz .LBB114_251
; %bb.250:
	s_clause 0x1
	buffer_load_dword v2, off, s[0:3], 0 offset:272
	buffer_load_dword v3, off, s[0:3], 0 offset:276
	buffer_store_dword v1, off, s[0:3], 0 offset:272
	buffer_store_dword v1, off, s[0:3], 0 offset:276
	s_waitcnt vmcnt(0)
	ds_write_b64 v111, v[2:3]
.LBB114_251:
	s_or_b32 exec_lo, exec_lo, s4
	s_waitcnt lgkmcnt(0)
	s_waitcnt_vscnt null, 0x0
	s_barrier
	buffer_gl0_inv
	s_clause 0x21
	buffer_load_dword v6, off, s[0:3], 0 offset:284
	buffer_load_dword v7, off, s[0:3], 0 offset:292
	;; [unrolled: 1-line block ×34, first 2 shown]
	ds_read2_b64 v[2:5], v1 offset0:87 offset1:88
	ds_read2_b64 v[112:115], v1 offset0:89 offset1:90
	;; [unrolled: 1-line block ×8, first 2 shown]
	s_mov_b32 s4, exec_lo
	s_waitcnt vmcnt(33) lgkmcnt(7)
	v_mul_f32_e32 v1, v2, v6
	v_mul_f32_e32 v6, v3, v6
	s_waitcnt vmcnt(32)
	v_mul_f32_e32 v171, v4, v7
	v_mul_f32_e32 v7, v5, v7
	s_waitcnt vmcnt(31) lgkmcnt(6)
	v_mul_f32_e32 v172, v112, v8
	s_waitcnt vmcnt(30)
	v_mul_f32_e32 v173, v114, v140
	s_waitcnt vmcnt(29) lgkmcnt(5)
	v_mul_f32_e32 v174, v116, v141
	s_waitcnt vmcnt(28)
	;; [unrolled: 4-line block ×6, first 2 shown]
	v_mul_f32_e32 v183, v134, v150
	s_waitcnt vmcnt(17)
	v_fma_f32 v2, v2, v153, -v6
	v_fmac_f32_e32 v1, v3, v153
	v_mul_f32_e32 v3, v113, v8
	s_waitcnt vmcnt(16)
	v_fma_f32 v4, v4, v154, -v7
	v_fmac_f32_e32 v171, v5, v154
	v_add_f32_e32 v2, 0, v2
	v_add_f32_e32 v1, 0, v1
	v_mul_f32_e32 v5, v115, v140
	s_waitcnt vmcnt(15)
	v_fma_f32 v3, v112, v155, -v3
	v_fmac_f32_e32 v172, v113, v155
	v_add_f32_e32 v2, v2, v4
	v_add_f32_e32 v1, v1, v171
	;; [unrolled: 6-line block ×12, first 2 shown]
	s_waitcnt lgkmcnt(0)
	v_mul_f32_e32 v3, v137, v151
	s_waitcnt vmcnt(4)
	v_fma_f32 v4, v134, v166, -v4
	v_mul_f32_e32 v184, v136, v151
	v_add_f32_e32 v2, v2, v5
	v_fmac_f32_e32 v183, v135, v166
	v_add_f32_e32 v1, v1, v182
	v_mul_f32_e32 v5, v139, v152
	s_waitcnt vmcnt(3)
	v_fma_f32 v3, v136, v167, -v3
	v_add_f32_e32 v2, v2, v4
	v_mul_f32_e32 v185, v138, v152
	v_fmac_f32_e32 v184, v137, v167
	v_add_f32_e32 v1, v1, v183
	s_waitcnt vmcnt(2)
	v_fma_f32 v4, v138, v168, -v5
	v_add_f32_e32 v2, v2, v3
	v_fmac_f32_e32 v185, v139, v168
	v_add_f32_e32 v1, v1, v184
	v_add_f32_e32 v2, v2, v4
	;; [unrolled: 1-line block ×3, first 2 shown]
	s_waitcnt vmcnt(1)
	v_sub_f32_e32 v2, v169, v2
	s_waitcnt vmcnt(0)
	v_sub_f32_e32 v1, v170, v1
	buffer_store_dword v2, off, s[0:3], 0 offset:272
	buffer_store_dword v1, off, s[0:3], 0 offset:276
	v_cmpx_lt_u32_e32 33, v0
	s_cbranch_execz .LBB114_253
; %bb.252:
	s_clause 0x1
	buffer_load_dword v1, off, s[0:3], 0 offset:264
	buffer_load_dword v2, off, s[0:3], 0 offset:268
	v_mov_b32_e32 v3, 0
	buffer_store_dword v3, off, s[0:3], 0 offset:264
	buffer_store_dword v3, off, s[0:3], 0 offset:268
	s_waitcnt vmcnt(0)
	ds_write_b64 v111, v[1:2]
.LBB114_253:
	s_or_b32 exec_lo, exec_lo, s4
	s_waitcnt lgkmcnt(0)
	s_waitcnt_vscnt null, 0x0
	s_barrier
	buffer_gl0_inv
	s_clause 0x23
	buffer_load_dword v8, off, s[0:3], 0 offset:276
	buffer_load_dword v140, off, s[0:3], 0 offset:284
	;; [unrolled: 1-line block ×36, first 2 shown]
	v_mov_b32_e32 v1, 0
	ds_read_b128 v[2:5], v1 offset:688
	ds_read_b128 v[112:115], v1 offset:704
	;; [unrolled: 1-line block ×8, first 2 shown]
	ds_read_b64 v[6:7], v1 offset:816
	s_mov_b32 s4, exec_lo
	s_waitcnt vmcnt(35) lgkmcnt(8)
	v_mul_f32_e32 v175, v2, v8
	v_mul_f32_e32 v8, v3, v8
	s_waitcnt vmcnt(34)
	v_mul_f32_e32 v176, v4, v140
	v_mul_f32_e32 v140, v5, v140
	s_waitcnt vmcnt(33) lgkmcnt(7)
	v_mul_f32_e32 v177, v112, v141
	s_waitcnt vmcnt(32)
	v_mul_f32_e32 v178, v114, v142
	s_waitcnt vmcnt(31) lgkmcnt(6)
	v_mul_f32_e32 v179, v116, v143
	s_waitcnt vmcnt(30)
	v_mul_f32_e32 v180, v118, v144
	s_waitcnt vmcnt(29) lgkmcnt(5)
	v_mul_f32_e32 v181, v120, v145
	s_waitcnt vmcnt(28)
	v_mul_f32_e32 v182, v122, v146
	s_waitcnt vmcnt(27) lgkmcnt(4)
	v_mul_f32_e32 v183, v124, v147
	s_waitcnt vmcnt(26)
	v_mul_f32_e32 v184, v126, v148
	s_waitcnt vmcnt(25) lgkmcnt(3)
	v_mul_f32_e32 v185, v128, v149
	s_waitcnt vmcnt(24)
	v_mul_f32_e32 v186, v130, v150
	s_waitcnt vmcnt(23) lgkmcnt(2)
	v_mul_f32_e32 v187, v132, v151
	s_waitcnt vmcnt(22)
	v_mul_f32_e32 v188, v134, v152
	s_waitcnt vmcnt(21) lgkmcnt(1)
	v_mul_f32_e32 v189, v136, v153
	s_waitcnt vmcnt(18)
	v_fma_f32 v2, v2, v156, -v8
	v_fmac_f32_e32 v175, v3, v156
	v_mul_f32_e32 v3, v113, v141
	s_waitcnt vmcnt(17)
	v_fma_f32 v4, v4, v157, -v140
	v_fmac_f32_e32 v176, v5, v157
	v_add_f32_e32 v2, 0, v2
	v_add_f32_e32 v5, 0, v175
	v_mul_f32_e32 v8, v115, v142
	s_waitcnt vmcnt(16)
	v_fma_f32 v3, v112, v158, -v3
	v_fmac_f32_e32 v177, v113, v158
	v_add_f32_e32 v2, v2, v4
	v_add_f32_e32 v4, v5, v176
	;; [unrolled: 6-line block ×13, first 2 shown]
	v_mul_f32_e32 v8, v139, v154
	s_waitcnt vmcnt(4)
	v_fma_f32 v4, v136, v170, -v4
	v_mul_f32_e32 v190, v138, v154
	v_add_f32_e32 v2, v2, v5
	v_fmac_f32_e32 v189, v137, v170
	v_add_f32_e32 v3, v3, v188
	s_waitcnt lgkmcnt(0)
	v_mul_f32_e32 v5, v7, v155
	s_waitcnt vmcnt(3)
	v_fma_f32 v8, v138, v171, -v8
	v_add_f32_e32 v2, v2, v4
	v_mul_f32_e32 v191, v6, v155
	v_fmac_f32_e32 v190, v139, v171
	v_add_f32_e32 v3, v3, v189
	s_waitcnt vmcnt(2)
	v_fma_f32 v4, v6, v172, -v5
	v_add_f32_e32 v2, v2, v8
	v_fmac_f32_e32 v191, v7, v172
	v_add_f32_e32 v3, v3, v190
	v_add_f32_e32 v2, v2, v4
	;; [unrolled: 1-line block ×3, first 2 shown]
	s_waitcnt vmcnt(1)
	v_sub_f32_e32 v2, v173, v2
	s_waitcnt vmcnt(0)
	v_sub_f32_e32 v3, v174, v3
	buffer_store_dword v2, off, s[0:3], 0 offset:264
	buffer_store_dword v3, off, s[0:3], 0 offset:268
	v_cmpx_lt_u32_e32 32, v0
	s_cbranch_execz .LBB114_255
; %bb.254:
	s_clause 0x1
	buffer_load_dword v2, off, s[0:3], 0 offset:256
	buffer_load_dword v3, off, s[0:3], 0 offset:260
	buffer_store_dword v1, off, s[0:3], 0 offset:256
	buffer_store_dword v1, off, s[0:3], 0 offset:260
	s_waitcnt vmcnt(0)
	ds_write_b64 v111, v[2:3]
.LBB114_255:
	s_or_b32 exec_lo, exec_lo, s4
	s_waitcnt lgkmcnt(0)
	s_waitcnt_vscnt null, 0x0
	s_barrier
	buffer_gl0_inv
	s_clause 0x25
	buffer_load_dword v6, off, s[0:3], 0 offset:268
	buffer_load_dword v7, off, s[0:3], 0 offset:276
	;; [unrolled: 1-line block ×38, first 2 shown]
	ds_read2_b64 v[2:5], v1 offset0:85 offset1:86
	ds_read2_b64 v[112:115], v1 offset0:87 offset1:88
	;; [unrolled: 1-line block ×9, first 2 shown]
	s_mov_b32 s4, exec_lo
	s_waitcnt vmcnt(37) lgkmcnt(8)
	v_mul_f32_e32 v1, v2, v6
	v_mul_f32_e32 v6, v3, v6
	s_waitcnt vmcnt(36)
	v_mul_f32_e32 v179, v4, v7
	v_mul_f32_e32 v7, v5, v7
	s_waitcnt vmcnt(35) lgkmcnt(7)
	v_mul_f32_e32 v180, v112, v8
	s_waitcnt vmcnt(34)
	v_mul_f32_e32 v181, v114, v144
	s_waitcnt vmcnt(33) lgkmcnt(6)
	v_mul_f32_e32 v182, v116, v145
	s_waitcnt vmcnt(32)
	;; [unrolled: 4-line block ×7, first 2 shown]
	v_mul_f32_e32 v193, v138, v156
	s_waitcnt vmcnt(19)
	v_fma_f32 v2, v2, v159, -v6
	v_fmac_f32_e32 v1, v3, v159
	v_mul_f32_e32 v3, v113, v8
	s_waitcnt vmcnt(18)
	v_fma_f32 v4, v4, v160, -v7
	v_fmac_f32_e32 v179, v5, v160
	v_add_f32_e32 v2, 0, v2
	v_add_f32_e32 v1, 0, v1
	v_mul_f32_e32 v5, v115, v144
	s_waitcnt vmcnt(17)
	v_fma_f32 v3, v112, v161, -v3
	v_fmac_f32_e32 v180, v113, v161
	v_add_f32_e32 v2, v2, v4
	v_add_f32_e32 v1, v1, v179
	v_mul_f32_e32 v4, v117, v145
	s_waitcnt vmcnt(16)
	v_fma_f32 v5, v114, v162, -v5
	v_fmac_f32_e32 v181, v115, v162
	v_add_f32_e32 v2, v2, v3
	v_add_f32_e32 v1, v1, v180
	v_mul_f32_e32 v3, v119, v146
	s_waitcnt vmcnt(15)
	v_fma_f32 v4, v116, v163, -v4
	v_fmac_f32_e32 v182, v117, v163
	v_add_f32_e32 v2, v2, v5
	v_add_f32_e32 v1, v1, v181
	v_mul_f32_e32 v5, v121, v147
	s_waitcnt vmcnt(14)
	v_fma_f32 v3, v118, v164, -v3
	v_fmac_f32_e32 v183, v119, v164
	v_add_f32_e32 v2, v2, v4
	v_add_f32_e32 v1, v1, v182
	v_mul_f32_e32 v4, v123, v148
	s_waitcnt vmcnt(13)
	v_fma_f32 v5, v120, v165, -v5
	v_fmac_f32_e32 v184, v121, v165
	v_add_f32_e32 v2, v2, v3
	v_add_f32_e32 v1, v1, v183
	v_mul_f32_e32 v3, v125, v149
	s_waitcnt vmcnt(12)
	v_fma_f32 v4, v122, v166, -v4
	v_fmac_f32_e32 v185, v123, v166
	v_add_f32_e32 v2, v2, v5
	v_add_f32_e32 v1, v1, v184
	v_mul_f32_e32 v5, v127, v150
	s_waitcnt vmcnt(11)
	v_fma_f32 v3, v124, v167, -v3
	v_fmac_f32_e32 v186, v125, v167
	v_add_f32_e32 v2, v2, v4
	v_add_f32_e32 v1, v1, v185
	v_mul_f32_e32 v4, v129, v151
	s_waitcnt vmcnt(10)
	v_fma_f32 v5, v126, v168, -v5
	v_fmac_f32_e32 v187, v127, v168
	v_add_f32_e32 v2, v2, v3
	v_add_f32_e32 v1, v1, v186
	v_mul_f32_e32 v3, v131, v152
	s_waitcnt vmcnt(9)
	v_fma_f32 v4, v128, v169, -v4
	v_fmac_f32_e32 v188, v129, v169
	v_add_f32_e32 v2, v2, v5
	v_add_f32_e32 v1, v1, v187
	v_mul_f32_e32 v5, v133, v153
	s_waitcnt vmcnt(8)
	v_fma_f32 v3, v130, v170, -v3
	v_fmac_f32_e32 v189, v131, v170
	v_add_f32_e32 v2, v2, v4
	v_add_f32_e32 v1, v1, v188
	v_mul_f32_e32 v4, v135, v154
	s_waitcnt vmcnt(7)
	v_fma_f32 v5, v132, v171, -v5
	v_fmac_f32_e32 v190, v133, v171
	v_add_f32_e32 v2, v2, v3
	v_add_f32_e32 v1, v1, v189
	v_mul_f32_e32 v3, v137, v155
	s_waitcnt vmcnt(6)
	v_fma_f32 v4, v134, v172, -v4
	v_fmac_f32_e32 v191, v135, v172
	v_add_f32_e32 v2, v2, v5
	v_add_f32_e32 v1, v1, v190
	v_mul_f32_e32 v5, v139, v156
	s_waitcnt vmcnt(5)
	v_fma_f32 v3, v136, v173, -v3
	v_fmac_f32_e32 v192, v137, v173
	v_add_f32_e32 v2, v2, v4
	v_add_f32_e32 v1, v1, v191
	s_waitcnt lgkmcnt(0)
	v_mul_f32_e32 v4, v141, v157
	s_waitcnt vmcnt(4)
	v_fma_f32 v5, v138, v174, -v5
	v_mul_f32_e32 v194, v140, v157
	v_add_f32_e32 v2, v2, v3
	v_fmac_f32_e32 v193, v139, v174
	v_add_f32_e32 v1, v1, v192
	v_mul_f32_e32 v3, v143, v158
	s_waitcnt vmcnt(3)
	v_fma_f32 v4, v140, v175, -v4
	v_add_f32_e32 v2, v2, v5
	v_mul_f32_e32 v195, v142, v158
	v_fmac_f32_e32 v194, v141, v175
	v_add_f32_e32 v1, v1, v193
	s_waitcnt vmcnt(2)
	v_fma_f32 v3, v142, v176, -v3
	v_add_f32_e32 v2, v2, v4
	v_fmac_f32_e32 v195, v143, v176
	v_add_f32_e32 v1, v1, v194
	v_add_f32_e32 v2, v2, v3
	;; [unrolled: 1-line block ×3, first 2 shown]
	s_waitcnt vmcnt(1)
	v_sub_f32_e32 v2, v177, v2
	s_waitcnt vmcnt(0)
	v_sub_f32_e32 v1, v178, v1
	buffer_store_dword v2, off, s[0:3], 0 offset:256
	buffer_store_dword v1, off, s[0:3], 0 offset:260
	v_cmpx_lt_u32_e32 31, v0
	s_cbranch_execz .LBB114_257
; %bb.256:
	s_clause 0x1
	buffer_load_dword v1, off, s[0:3], 0 offset:248
	buffer_load_dword v2, off, s[0:3], 0 offset:252
	v_mov_b32_e32 v3, 0
	buffer_store_dword v3, off, s[0:3], 0 offset:248
	buffer_store_dword v3, off, s[0:3], 0 offset:252
	s_waitcnt vmcnt(0)
	ds_write_b64 v111, v[1:2]
.LBB114_257:
	s_or_b32 exec_lo, exec_lo, s4
	s_waitcnt lgkmcnt(0)
	s_waitcnt_vscnt null, 0x0
	s_barrier
	buffer_gl0_inv
	s_clause 0x27
	buffer_load_dword v8, off, s[0:3], 0 offset:260
	buffer_load_dword v144, off, s[0:3], 0 offset:268
	;; [unrolled: 1-line block ×40, first 2 shown]
	v_mov_b32_e32 v1, 0
	ds_read_b128 v[2:5], v1 offset:672
	ds_read_b128 v[112:115], v1 offset:688
	;; [unrolled: 1-line block ×9, first 2 shown]
	ds_read_b64 v[6:7], v1 offset:816
	s_mov_b32 s4, exec_lo
	s_waitcnt vmcnt(39) lgkmcnt(9)
	v_mul_f32_e32 v183, v2, v8
	v_mul_f32_e32 v8, v3, v8
	s_waitcnt vmcnt(38)
	v_mul_f32_e32 v184, v4, v144
	v_mul_f32_e32 v144, v5, v144
	s_waitcnt vmcnt(37) lgkmcnt(8)
	v_mul_f32_e32 v185, v112, v145
	s_waitcnt vmcnt(36)
	v_mul_f32_e32 v186, v114, v146
	s_waitcnt vmcnt(35) lgkmcnt(7)
	v_mul_f32_e32 v187, v116, v147
	s_waitcnt vmcnt(34)
	v_mul_f32_e32 v188, v118, v148
	s_waitcnt vmcnt(33) lgkmcnt(6)
	v_mul_f32_e32 v189, v120, v149
	s_waitcnt vmcnt(32)
	v_mul_f32_e32 v190, v122, v150
	s_waitcnt vmcnt(31) lgkmcnt(5)
	v_mul_f32_e32 v191, v124, v151
	s_waitcnt vmcnt(30)
	v_mul_f32_e32 v192, v126, v152
	s_waitcnt vmcnt(29) lgkmcnt(4)
	v_mul_f32_e32 v193, v128, v153
	s_waitcnt vmcnt(28)
	v_mul_f32_e32 v194, v130, v154
	s_waitcnt vmcnt(27) lgkmcnt(3)
	v_mul_f32_e32 v195, v132, v155
	s_waitcnt vmcnt(26)
	v_mul_f32_e32 v196, v134, v156
	s_waitcnt vmcnt(25) lgkmcnt(2)
	v_mul_f32_e32 v197, v136, v157
	s_waitcnt vmcnt(24)
	v_mul_f32_e32 v198, v138, v158
	s_waitcnt vmcnt(23) lgkmcnt(1)
	v_mul_f32_e32 v199, v140, v159
	s_waitcnt vmcnt(20)
	v_fma_f32 v2, v2, v162, -v8
	v_fmac_f32_e32 v183, v3, v162
	v_mul_f32_e32 v3, v113, v145
	s_waitcnt vmcnt(19)
	v_fma_f32 v4, v4, v163, -v144
	v_fmac_f32_e32 v184, v5, v163
	v_add_f32_e32 v2, 0, v2
	v_add_f32_e32 v5, 0, v183
	v_mul_f32_e32 v8, v115, v146
	s_waitcnt vmcnt(18)
	v_fma_f32 v3, v112, v164, -v3
	v_fmac_f32_e32 v185, v113, v164
	v_add_f32_e32 v2, v2, v4
	v_add_f32_e32 v4, v5, v184
	v_mul_f32_e32 v5, v117, v147
	s_waitcnt vmcnt(17)
	v_fma_f32 v8, v114, v165, -v8
	v_fmac_f32_e32 v186, v115, v165
	v_add_f32_e32 v2, v2, v3
	v_add_f32_e32 v3, v4, v185
	v_mul_f32_e32 v4, v119, v148
	s_waitcnt vmcnt(16)
	v_fma_f32 v5, v116, v166, -v5
	v_fmac_f32_e32 v187, v117, v166
	v_add_f32_e32 v2, v2, v8
	v_add_f32_e32 v3, v3, v186
	v_mul_f32_e32 v8, v121, v149
	s_waitcnt vmcnt(15)
	v_fma_f32 v4, v118, v167, -v4
	v_fmac_f32_e32 v188, v119, v167
	v_add_f32_e32 v2, v2, v5
	v_add_f32_e32 v3, v3, v187
	v_mul_f32_e32 v5, v123, v150
	s_waitcnt vmcnt(14)
	v_fma_f32 v8, v120, v168, -v8
	v_fmac_f32_e32 v189, v121, v168
	v_add_f32_e32 v2, v2, v4
	v_add_f32_e32 v3, v3, v188
	v_mul_f32_e32 v4, v125, v151
	s_waitcnt vmcnt(13)
	v_fma_f32 v5, v122, v169, -v5
	v_fmac_f32_e32 v190, v123, v169
	v_add_f32_e32 v2, v2, v8
	v_add_f32_e32 v3, v3, v189
	v_mul_f32_e32 v8, v127, v152
	s_waitcnt vmcnt(12)
	v_fma_f32 v4, v124, v170, -v4
	v_fmac_f32_e32 v191, v125, v170
	v_add_f32_e32 v2, v2, v5
	v_add_f32_e32 v3, v3, v190
	v_mul_f32_e32 v5, v129, v153
	s_waitcnt vmcnt(11)
	v_fma_f32 v8, v126, v171, -v8
	v_fmac_f32_e32 v192, v127, v171
	v_add_f32_e32 v2, v2, v4
	v_add_f32_e32 v3, v3, v191
	v_mul_f32_e32 v4, v131, v154
	s_waitcnt vmcnt(10)
	v_fma_f32 v5, v128, v172, -v5
	v_fmac_f32_e32 v193, v129, v172
	v_add_f32_e32 v2, v2, v8
	v_add_f32_e32 v3, v3, v192
	v_mul_f32_e32 v8, v133, v155
	s_waitcnt vmcnt(9)
	v_fma_f32 v4, v130, v173, -v4
	v_fmac_f32_e32 v194, v131, v173
	v_add_f32_e32 v2, v2, v5
	v_add_f32_e32 v3, v3, v193
	v_mul_f32_e32 v5, v135, v156
	s_waitcnt vmcnt(8)
	v_fma_f32 v8, v132, v174, -v8
	v_fmac_f32_e32 v195, v133, v174
	v_add_f32_e32 v2, v2, v4
	v_add_f32_e32 v3, v3, v194
	v_mul_f32_e32 v4, v137, v157
	s_waitcnt vmcnt(7)
	v_fma_f32 v5, v134, v175, -v5
	v_fmac_f32_e32 v196, v135, v175
	v_add_f32_e32 v2, v2, v8
	v_add_f32_e32 v3, v3, v195
	v_mul_f32_e32 v8, v139, v158
	s_waitcnt vmcnt(6)
	v_fma_f32 v4, v136, v176, -v4
	v_fmac_f32_e32 v197, v137, v176
	v_add_f32_e32 v2, v2, v5
	v_add_f32_e32 v3, v3, v196
	v_mul_f32_e32 v5, v141, v159
	s_waitcnt vmcnt(5)
	v_fma_f32 v8, v138, v177, -v8
	v_fmac_f32_e32 v198, v139, v177
	v_add_f32_e32 v2, v2, v4
	v_add_f32_e32 v3, v3, v197
	v_mul_f32_e32 v4, v143, v160
	s_waitcnt vmcnt(4)
	v_fma_f32 v5, v140, v178, -v5
	v_mul_f32_e32 v200, v142, v160
	v_add_f32_e32 v2, v2, v8
	v_fmac_f32_e32 v199, v141, v178
	v_add_f32_e32 v3, v3, v198
	s_waitcnt lgkmcnt(0)
	v_mul_f32_e32 v8, v7, v161
	s_waitcnt vmcnt(3)
	v_fma_f32 v4, v142, v179, -v4
	v_add_f32_e32 v2, v2, v5
	v_mul_f32_e32 v201, v6, v161
	v_fmac_f32_e32 v200, v143, v179
	v_add_f32_e32 v3, v3, v199
	s_waitcnt vmcnt(2)
	v_fma_f32 v5, v6, v180, -v8
	v_add_f32_e32 v2, v2, v4
	v_fmac_f32_e32 v201, v7, v180
	v_add_f32_e32 v3, v3, v200
	v_add_f32_e32 v2, v2, v5
	;; [unrolled: 1-line block ×3, first 2 shown]
	s_waitcnt vmcnt(1)
	v_sub_f32_e32 v2, v181, v2
	s_waitcnt vmcnt(0)
	v_sub_f32_e32 v3, v182, v3
	buffer_store_dword v2, off, s[0:3], 0 offset:248
	buffer_store_dword v3, off, s[0:3], 0 offset:252
	v_cmpx_lt_u32_e32 30, v0
	s_cbranch_execz .LBB114_259
; %bb.258:
	s_clause 0x1
	buffer_load_dword v2, off, s[0:3], 0 offset:240
	buffer_load_dword v3, off, s[0:3], 0 offset:244
	buffer_store_dword v1, off, s[0:3], 0 offset:240
	buffer_store_dword v1, off, s[0:3], 0 offset:244
	s_waitcnt vmcnt(0)
	ds_write_b64 v111, v[2:3]
.LBB114_259:
	s_or_b32 exec_lo, exec_lo, s4
	s_waitcnt lgkmcnt(0)
	s_waitcnt_vscnt null, 0x0
	s_barrier
	buffer_gl0_inv
	s_clause 0x29
	buffer_load_dword v6, off, s[0:3], 0 offset:252
	buffer_load_dword v7, off, s[0:3], 0 offset:260
	;; [unrolled: 1-line block ×42, first 2 shown]
	ds_read2_b64 v[2:5], v1 offset0:83 offset1:84
	ds_read2_b64 v[112:115], v1 offset0:85 offset1:86
	;; [unrolled: 1-line block ×10, first 2 shown]
	s_mov_b32 s4, exec_lo
	s_waitcnt vmcnt(41) lgkmcnt(9)
	v_mul_f32_e32 v1, v2, v6
	v_mul_f32_e32 v6, v3, v6
	s_waitcnt vmcnt(40)
	v_mul_f32_e32 v187, v4, v7
	v_mul_f32_e32 v7, v5, v7
	s_waitcnt vmcnt(39) lgkmcnt(8)
	v_mul_f32_e32 v188, v112, v8
	s_waitcnt vmcnt(38)
	v_mul_f32_e32 v189, v114, v148
	s_waitcnt vmcnt(37) lgkmcnt(7)
	v_mul_f32_e32 v190, v116, v149
	s_waitcnt vmcnt(36)
	;; [unrolled: 4-line block ×8, first 2 shown]
	v_mul_f32_e32 v203, v142, v162
	s_waitcnt vmcnt(21)
	v_fma_f32 v2, v2, v165, -v6
	v_fmac_f32_e32 v1, v3, v165
	v_mul_f32_e32 v3, v113, v8
	s_waitcnt vmcnt(20)
	v_fma_f32 v4, v4, v166, -v7
	v_fmac_f32_e32 v187, v5, v166
	v_add_f32_e32 v2, 0, v2
	v_add_f32_e32 v1, 0, v1
	v_mul_f32_e32 v5, v115, v148
	s_waitcnt vmcnt(19)
	v_fma_f32 v3, v112, v167, -v3
	v_fmac_f32_e32 v188, v113, v167
	v_add_f32_e32 v2, v2, v4
	v_add_f32_e32 v1, v1, v187
	;; [unrolled: 6-line block ×16, first 2 shown]
	s_waitcnt lgkmcnt(0)
	v_mul_f32_e32 v5, v145, v163
	s_waitcnt vmcnt(4)
	v_fma_f32 v3, v142, v182, -v3
	v_mul_f32_e32 v204, v144, v163
	v_add_f32_e32 v2, v2, v4
	v_fmac_f32_e32 v203, v143, v182
	v_add_f32_e32 v1, v1, v202
	v_mul_f32_e32 v4, v147, v164
	s_waitcnt vmcnt(3)
	v_fma_f32 v5, v144, v183, -v5
	v_add_f32_e32 v2, v2, v3
	v_mul_f32_e32 v205, v146, v164
	v_fmac_f32_e32 v204, v145, v183
	v_add_f32_e32 v1, v1, v203
	s_waitcnt vmcnt(2)
	v_fma_f32 v3, v146, v184, -v4
	v_add_f32_e32 v2, v2, v5
	v_fmac_f32_e32 v205, v147, v184
	v_add_f32_e32 v1, v1, v204
	v_add_f32_e32 v2, v2, v3
	v_add_f32_e32 v1, v1, v205
	s_waitcnt vmcnt(1)
	v_sub_f32_e32 v2, v185, v2
	s_waitcnt vmcnt(0)
	v_sub_f32_e32 v1, v186, v1
	buffer_store_dword v2, off, s[0:3], 0 offset:240
	buffer_store_dword v1, off, s[0:3], 0 offset:244
	v_cmpx_lt_u32_e32 29, v0
	s_cbranch_execz .LBB114_261
; %bb.260:
	s_clause 0x1
	buffer_load_dword v1, off, s[0:3], 0 offset:232
	buffer_load_dword v2, off, s[0:3], 0 offset:236
	v_mov_b32_e32 v3, 0
	buffer_store_dword v3, off, s[0:3], 0 offset:232
	buffer_store_dword v3, off, s[0:3], 0 offset:236
	s_waitcnt vmcnt(0)
	ds_write_b64 v111, v[1:2]
.LBB114_261:
	s_or_b32 exec_lo, exec_lo, s4
	s_waitcnt lgkmcnt(0)
	s_waitcnt_vscnt null, 0x0
	s_barrier
	buffer_gl0_inv
	s_clause 0x2b
	buffer_load_dword v8, off, s[0:3], 0 offset:244
	buffer_load_dword v148, off, s[0:3], 0 offset:252
	buffer_load_dword v149, off, s[0:3], 0 offset:260
	buffer_load_dword v150, off, s[0:3], 0 offset:268
	buffer_load_dword v151, off, s[0:3], 0 offset:276
	buffer_load_dword v152, off, s[0:3], 0 offset:284
	buffer_load_dword v153, off, s[0:3], 0 offset:292
	buffer_load_dword v154, off, s[0:3], 0 offset:300
	buffer_load_dword v155, off, s[0:3], 0 offset:308
	buffer_load_dword v156, off, s[0:3], 0 offset:316
	buffer_load_dword v157, off, s[0:3], 0 offset:324
	buffer_load_dword v158, off, s[0:3], 0 offset:332
	buffer_load_dword v159, off, s[0:3], 0 offset:340
	buffer_load_dword v160, off, s[0:3], 0 offset:348
	buffer_load_dword v161, off, s[0:3], 0 offset:356
	buffer_load_dword v162, off, s[0:3], 0 offset:364
	buffer_load_dword v163, off, s[0:3], 0 offset:372
	buffer_load_dword v164, off, s[0:3], 0 offset:380
	buffer_load_dword v165, off, s[0:3], 0 offset:388
	buffer_load_dword v166, off, s[0:3], 0 offset:396
	buffer_load_dword v167, off, s[0:3], 0 offset:404
	buffer_load_dword v168, off, s[0:3], 0 offset:240
	buffer_load_dword v169, off, s[0:3], 0 offset:248
	buffer_load_dword v170, off, s[0:3], 0 offset:256
	buffer_load_dword v171, off, s[0:3], 0 offset:264
	buffer_load_dword v172, off, s[0:3], 0 offset:272
	buffer_load_dword v173, off, s[0:3], 0 offset:280
	buffer_load_dword v174, off, s[0:3], 0 offset:288
	buffer_load_dword v175, off, s[0:3], 0 offset:296
	buffer_load_dword v176, off, s[0:3], 0 offset:304
	buffer_load_dword v177, off, s[0:3], 0 offset:312
	buffer_load_dword v178, off, s[0:3], 0 offset:320
	buffer_load_dword v179, off, s[0:3], 0 offset:328
	buffer_load_dword v180, off, s[0:3], 0 offset:336
	buffer_load_dword v181, off, s[0:3], 0 offset:344
	buffer_load_dword v182, off, s[0:3], 0 offset:352
	buffer_load_dword v183, off, s[0:3], 0 offset:360
	buffer_load_dword v184, off, s[0:3], 0 offset:368
	buffer_load_dword v185, off, s[0:3], 0 offset:376
	buffer_load_dword v186, off, s[0:3], 0 offset:384
	buffer_load_dword v187, off, s[0:3], 0 offset:392
	buffer_load_dword v188, off, s[0:3], 0 offset:400
	buffer_load_dword v189, off, s[0:3], 0 offset:232
	buffer_load_dword v190, off, s[0:3], 0 offset:236
	v_mov_b32_e32 v1, 0
	ds_read_b128 v[2:5], v1 offset:656
	ds_read_b128 v[112:115], v1 offset:672
	ds_read_b128 v[116:119], v1 offset:688
	ds_read_b128 v[120:123], v1 offset:704
	ds_read_b128 v[124:127], v1 offset:720
	ds_read_b128 v[128:131], v1 offset:736
	ds_read_b128 v[132:135], v1 offset:752
	ds_read_b128 v[136:139], v1 offset:768
	ds_read_b128 v[140:143], v1 offset:784
	ds_read_b128 v[144:147], v1 offset:800
	ds_read_b64 v[6:7], v1 offset:816
	s_mov_b32 s4, exec_lo
	s_waitcnt vmcnt(43) lgkmcnt(10)
	v_mul_f32_e32 v191, v2, v8
	v_mul_f32_e32 v8, v3, v8
	s_waitcnt vmcnt(42)
	v_mul_f32_e32 v192, v4, v148
	v_mul_f32_e32 v148, v5, v148
	s_waitcnt vmcnt(41) lgkmcnt(9)
	v_mul_f32_e32 v193, v112, v149
	s_waitcnt vmcnt(40)
	v_mul_f32_e32 v194, v114, v150
	s_waitcnt vmcnt(39) lgkmcnt(8)
	v_mul_f32_e32 v195, v116, v151
	s_waitcnt vmcnt(38)
	;; [unrolled: 4-line block ×9, first 2 shown]
	v_fma_f32 v2, v2, v168, -v8
	v_fmac_f32_e32 v191, v3, v168
	v_mul_f32_e32 v3, v113, v149
	s_waitcnt vmcnt(21)
	v_fma_f32 v4, v4, v169, -v148
	v_fmac_f32_e32 v192, v5, v169
	v_add_f32_e32 v2, 0, v2
	v_add_f32_e32 v5, 0, v191
	v_mul_f32_e32 v8, v115, v150
	s_waitcnt vmcnt(20)
	v_fma_f32 v3, v112, v170, -v3
	v_fmac_f32_e32 v193, v113, v170
	v_add_f32_e32 v2, v2, v4
	v_add_f32_e32 v4, v5, v192
	;; [unrolled: 6-line block ×17, first 2 shown]
	v_mul_f32_e32 v5, v147, v166
	s_waitcnt vmcnt(4)
	v_fma_f32 v8, v144, v186, -v8
	v_mul_f32_e32 v210, v146, v166
	v_add_f32_e32 v2, v2, v4
	v_fmac_f32_e32 v209, v145, v186
	v_add_f32_e32 v3, v3, v208
	s_waitcnt lgkmcnt(0)
	v_mul_f32_e32 v4, v7, v167
	s_waitcnt vmcnt(3)
	v_fma_f32 v5, v146, v187, -v5
	v_add_f32_e32 v2, v2, v8
	v_mul_f32_e32 v211, v6, v167
	v_fmac_f32_e32 v210, v147, v187
	v_add_f32_e32 v3, v3, v209
	s_waitcnt vmcnt(2)
	v_fma_f32 v4, v6, v188, -v4
	v_add_f32_e32 v2, v2, v5
	v_fmac_f32_e32 v211, v7, v188
	v_add_f32_e32 v3, v3, v210
	v_add_f32_e32 v2, v2, v4
	;; [unrolled: 1-line block ×3, first 2 shown]
	s_waitcnt vmcnt(1)
	v_sub_f32_e32 v2, v189, v2
	s_waitcnt vmcnt(0)
	v_sub_f32_e32 v3, v190, v3
	buffer_store_dword v2, off, s[0:3], 0 offset:232
	buffer_store_dword v3, off, s[0:3], 0 offset:236
	v_cmpx_lt_u32_e32 28, v0
	s_cbranch_execz .LBB114_263
; %bb.262:
	s_clause 0x1
	buffer_load_dword v2, off, s[0:3], 0 offset:224
	buffer_load_dword v3, off, s[0:3], 0 offset:228
	buffer_store_dword v1, off, s[0:3], 0 offset:224
	buffer_store_dword v1, off, s[0:3], 0 offset:228
	s_waitcnt vmcnt(0)
	ds_write_b64 v111, v[2:3]
.LBB114_263:
	s_or_b32 exec_lo, exec_lo, s4
	s_waitcnt lgkmcnt(0)
	s_waitcnt_vscnt null, 0x0
	s_barrier
	buffer_gl0_inv
	s_clause 0x2d
	buffer_load_dword v6, off, s[0:3], 0 offset:236
	buffer_load_dword v7, off, s[0:3], 0 offset:244
	;; [unrolled: 1-line block ×46, first 2 shown]
	ds_read2_b64 v[2:5], v1 offset0:81 offset1:82
	ds_read2_b64 v[112:115], v1 offset0:83 offset1:84
	;; [unrolled: 1-line block ×11, first 2 shown]
	s_mov_b32 s4, exec_lo
	s_waitcnt vmcnt(45) lgkmcnt(10)
	v_mul_f32_e32 v1, v2, v6
	v_mul_f32_e32 v6, v3, v6
	s_waitcnt vmcnt(44)
	v_mul_f32_e32 v195, v4, v7
	v_mul_f32_e32 v7, v5, v7
	s_waitcnt vmcnt(43) lgkmcnt(9)
	v_mul_f32_e32 v196, v112, v8
	s_waitcnt vmcnt(42)
	v_mul_f32_e32 v197, v114, v152
	s_waitcnt vmcnt(41) lgkmcnt(8)
	v_mul_f32_e32 v198, v116, v153
	s_waitcnt vmcnt(40)
	;; [unrolled: 4-line block ×9, first 2 shown]
	v_mul_f32_e32 v213, v146, v168
	s_waitcnt vmcnt(23)
	v_fma_f32 v2, v2, v171, -v6
	v_fmac_f32_e32 v1, v3, v171
	v_mul_f32_e32 v3, v113, v8
	s_waitcnt vmcnt(22)
	v_fma_f32 v4, v4, v172, -v7
	v_fmac_f32_e32 v195, v5, v172
	v_add_f32_e32 v2, 0, v2
	v_add_f32_e32 v1, 0, v1
	v_mul_f32_e32 v5, v115, v152
	s_waitcnt vmcnt(21)
	v_fma_f32 v3, v112, v173, -v3
	v_fmac_f32_e32 v196, v113, v173
	v_add_f32_e32 v2, v2, v4
	v_add_f32_e32 v1, v1, v195
	;; [unrolled: 6-line block ×18, first 2 shown]
	s_waitcnt lgkmcnt(0)
	v_mul_f32_e32 v3, v149, v169
	s_waitcnt vmcnt(4)
	v_fma_f32 v4, v146, v190, -v4
	v_mul_f32_e32 v214, v148, v169
	v_add_f32_e32 v2, v2, v5
	v_fmac_f32_e32 v213, v147, v190
	v_add_f32_e32 v1, v1, v212
	v_mul_f32_e32 v5, v151, v170
	s_waitcnt vmcnt(3)
	v_fma_f32 v3, v148, v191, -v3
	v_add_f32_e32 v2, v2, v4
	v_mul_f32_e32 v215, v150, v170
	v_fmac_f32_e32 v214, v149, v191
	v_add_f32_e32 v1, v1, v213
	s_waitcnt vmcnt(2)
	v_fma_f32 v4, v150, v192, -v5
	v_add_f32_e32 v2, v2, v3
	v_fmac_f32_e32 v215, v151, v192
	v_add_f32_e32 v1, v1, v214
	v_add_f32_e32 v2, v2, v4
	;; [unrolled: 1-line block ×3, first 2 shown]
	s_waitcnt vmcnt(1)
	v_sub_f32_e32 v2, v193, v2
	s_waitcnt vmcnt(0)
	v_sub_f32_e32 v1, v194, v1
	buffer_store_dword v2, off, s[0:3], 0 offset:224
	buffer_store_dword v1, off, s[0:3], 0 offset:228
	v_cmpx_lt_u32_e32 27, v0
	s_cbranch_execz .LBB114_265
; %bb.264:
	s_clause 0x1
	buffer_load_dword v1, off, s[0:3], 0 offset:216
	buffer_load_dword v2, off, s[0:3], 0 offset:220
	v_mov_b32_e32 v3, 0
	buffer_store_dword v3, off, s[0:3], 0 offset:216
	buffer_store_dword v3, off, s[0:3], 0 offset:220
	s_waitcnt vmcnt(0)
	ds_write_b64 v111, v[1:2]
.LBB114_265:
	s_or_b32 exec_lo, exec_lo, s4
	s_waitcnt lgkmcnt(0)
	s_waitcnt_vscnt null, 0x0
	s_barrier
	buffer_gl0_inv
	s_clause 0x2f
	buffer_load_dword v8, off, s[0:3], 0 offset:228
	buffer_load_dword v152, off, s[0:3], 0 offset:236
	;; [unrolled: 1-line block ×48, first 2 shown]
	v_mov_b32_e32 v1, 0
	ds_read_b128 v[2:5], v1 offset:640
	ds_read_b128 v[112:115], v1 offset:656
	;; [unrolled: 1-line block ×11, first 2 shown]
	ds_read_b64 v[6:7], v1 offset:816
	s_mov_b32 s4, exec_lo
	s_waitcnt vmcnt(47) lgkmcnt(11)
	v_mul_f32_e32 v199, v2, v8
	v_mul_f32_e32 v8, v3, v8
	s_waitcnt vmcnt(46)
	v_mul_f32_e32 v200, v4, v152
	v_mul_f32_e32 v152, v5, v152
	s_waitcnt vmcnt(45) lgkmcnt(10)
	v_mul_f32_e32 v201, v112, v153
	s_waitcnt vmcnt(44)
	v_mul_f32_e32 v202, v114, v154
	s_waitcnt vmcnt(43) lgkmcnt(9)
	v_mul_f32_e32 v203, v116, v155
	s_waitcnt vmcnt(42)
	;; [unrolled: 4-line block ×10, first 2 shown]
	v_fma_f32 v2, v2, v174, -v8
	v_fmac_f32_e32 v199, v3, v174
	v_mul_f32_e32 v3, v113, v153
	s_waitcnt vmcnt(23)
	v_fma_f32 v4, v4, v175, -v152
	v_fmac_f32_e32 v200, v5, v175
	v_add_f32_e32 v2, 0, v2
	v_add_f32_e32 v5, 0, v199
	v_mul_f32_e32 v8, v115, v154
	s_waitcnt vmcnt(22)
	v_fma_f32 v3, v112, v176, -v3
	v_fmac_f32_e32 v201, v113, v176
	v_add_f32_e32 v2, v2, v4
	v_add_f32_e32 v4, v5, v200
	;; [unrolled: 6-line block ×19, first 2 shown]
	v_mul_f32_e32 v8, v151, v172
	s_waitcnt vmcnt(4)
	v_fma_f32 v4, v148, v194, -v4
	v_mul_f32_e32 v220, v150, v172
	v_add_f32_e32 v2, v2, v5
	v_fmac_f32_e32 v219, v149, v194
	v_add_f32_e32 v3, v3, v218
	s_waitcnt lgkmcnt(0)
	v_mul_f32_e32 v5, v7, v173
	s_waitcnt vmcnt(3)
	v_fma_f32 v8, v150, v195, -v8
	v_add_f32_e32 v2, v2, v4
	v_mul_f32_e32 v221, v6, v173
	v_fmac_f32_e32 v220, v151, v195
	v_add_f32_e32 v3, v3, v219
	s_waitcnt vmcnt(2)
	v_fma_f32 v4, v6, v196, -v5
	v_add_f32_e32 v2, v2, v8
	v_fmac_f32_e32 v221, v7, v196
	v_add_f32_e32 v3, v3, v220
	v_add_f32_e32 v2, v2, v4
	;; [unrolled: 1-line block ×3, first 2 shown]
	s_waitcnt vmcnt(1)
	v_sub_f32_e32 v2, v197, v2
	s_waitcnt vmcnt(0)
	v_sub_f32_e32 v3, v198, v3
	buffer_store_dword v2, off, s[0:3], 0 offset:216
	buffer_store_dword v3, off, s[0:3], 0 offset:220
	v_cmpx_lt_u32_e32 26, v0
	s_cbranch_execz .LBB114_267
; %bb.266:
	s_clause 0x1
	buffer_load_dword v2, off, s[0:3], 0 offset:208
	buffer_load_dword v3, off, s[0:3], 0 offset:212
	buffer_store_dword v1, off, s[0:3], 0 offset:208
	buffer_store_dword v1, off, s[0:3], 0 offset:212
	s_waitcnt vmcnt(0)
	ds_write_b64 v111, v[2:3]
.LBB114_267:
	s_or_b32 exec_lo, exec_lo, s4
	s_waitcnt lgkmcnt(0)
	s_waitcnt_vscnt null, 0x0
	s_barrier
	buffer_gl0_inv
	s_clause 0x31
	buffer_load_dword v6, off, s[0:3], 0 offset:220
	buffer_load_dword v7, off, s[0:3], 0 offset:228
	;; [unrolled: 1-line block ×50, first 2 shown]
	ds_read2_b64 v[2:5], v1 offset0:79 offset1:80
	ds_read2_b64 v[112:115], v1 offset0:81 offset1:82
	;; [unrolled: 1-line block ×12, first 2 shown]
	s_mov_b32 s4, exec_lo
	s_waitcnt vmcnt(49) lgkmcnt(11)
	v_mul_f32_e32 v1, v2, v6
	v_mul_f32_e32 v6, v3, v6
	s_waitcnt vmcnt(48)
	v_mul_f32_e32 v203, v4, v7
	v_mul_f32_e32 v7, v5, v7
	s_waitcnt vmcnt(47) lgkmcnt(10)
	v_mul_f32_e32 v204, v112, v8
	s_waitcnt vmcnt(46)
	v_mul_f32_e32 v205, v114, v156
	s_waitcnt vmcnt(45) lgkmcnt(9)
	v_mul_f32_e32 v206, v116, v157
	s_waitcnt vmcnt(44)
	v_mul_f32_e32 v207, v118, v158
	s_waitcnt vmcnt(43) lgkmcnt(8)
	v_mul_f32_e32 v208, v120, v159
	s_waitcnt vmcnt(42)
	v_mul_f32_e32 v209, v122, v160
	s_waitcnt vmcnt(41) lgkmcnt(7)
	v_mul_f32_e32 v210, v124, v161
	s_waitcnt vmcnt(40)
	v_mul_f32_e32 v211, v126, v162
	s_waitcnt vmcnt(39) lgkmcnt(6)
	v_mul_f32_e32 v212, v128, v163
	s_waitcnt vmcnt(38)
	v_mul_f32_e32 v213, v130, v164
	s_waitcnt vmcnt(37) lgkmcnt(5)
	v_mul_f32_e32 v214, v132, v165
	s_waitcnt vmcnt(36)
	v_mul_f32_e32 v215, v134, v166
	s_waitcnt vmcnt(35) lgkmcnt(4)
	v_mul_f32_e32 v216, v136, v167
	s_waitcnt vmcnt(34)
	v_mul_f32_e32 v217, v138, v168
	s_waitcnt vmcnt(33) lgkmcnt(3)
	v_mul_f32_e32 v218, v140, v169
	s_waitcnt vmcnt(32)
	v_mul_f32_e32 v219, v142, v170
	s_waitcnt vmcnt(31) lgkmcnt(2)
	v_mul_f32_e32 v220, v144, v171
	s_waitcnt vmcnt(30)
	v_mul_f32_e32 v221, v146, v172
	s_waitcnt vmcnt(29) lgkmcnt(1)
	v_mul_f32_e32 v222, v148, v173
	s_waitcnt vmcnt(28)
	v_mul_f32_e32 v223, v150, v174
	s_waitcnt vmcnt(25)
	v_fma_f32 v2, v2, v177, -v6
	v_fmac_f32_e32 v1, v3, v177
	v_mul_f32_e32 v3, v113, v8
	s_waitcnt vmcnt(24)
	v_fma_f32 v4, v4, v178, -v7
	v_fmac_f32_e32 v203, v5, v178
	v_add_f32_e32 v2, 0, v2
	v_add_f32_e32 v1, 0, v1
	v_mul_f32_e32 v5, v115, v156
	s_waitcnt vmcnt(23)
	v_fma_f32 v3, v112, v179, -v3
	v_fmac_f32_e32 v204, v113, v179
	v_add_f32_e32 v2, v2, v4
	v_add_f32_e32 v1, v1, v203
	;; [unrolled: 6-line block ×20, first 2 shown]
	s_waitcnt lgkmcnt(0)
	v_mul_f32_e32 v4, v153, v175
	s_waitcnt vmcnt(4)
	v_fma_f32 v5, v150, v198, -v5
	v_mul_f32_e32 v224, v152, v175
	v_add_f32_e32 v2, v2, v3
	v_fmac_f32_e32 v223, v151, v198
	v_add_f32_e32 v1, v1, v222
	v_mul_f32_e32 v3, v155, v176
	s_waitcnt vmcnt(3)
	v_fma_f32 v4, v152, v199, -v4
	v_add_f32_e32 v2, v2, v5
	v_mul_f32_e32 v225, v154, v176
	v_fmac_f32_e32 v224, v153, v199
	v_add_f32_e32 v1, v1, v223
	s_waitcnt vmcnt(2)
	v_fma_f32 v3, v154, v200, -v3
	v_add_f32_e32 v2, v2, v4
	v_fmac_f32_e32 v225, v155, v200
	v_add_f32_e32 v1, v1, v224
	v_add_f32_e32 v2, v2, v3
	;; [unrolled: 1-line block ×3, first 2 shown]
	s_waitcnt vmcnt(1)
	v_sub_f32_e32 v2, v201, v2
	s_waitcnt vmcnt(0)
	v_sub_f32_e32 v1, v202, v1
	buffer_store_dword v2, off, s[0:3], 0 offset:208
	buffer_store_dword v1, off, s[0:3], 0 offset:212
	v_cmpx_lt_u32_e32 25, v0
	s_cbranch_execz .LBB114_269
; %bb.268:
	s_clause 0x1
	buffer_load_dword v1, off, s[0:3], 0 offset:200
	buffer_load_dword v2, off, s[0:3], 0 offset:204
	v_mov_b32_e32 v3, 0
	buffer_store_dword v3, off, s[0:3], 0 offset:200
	buffer_store_dword v3, off, s[0:3], 0 offset:204
	s_waitcnt vmcnt(0)
	ds_write_b64 v111, v[1:2]
.LBB114_269:
	s_or_b32 exec_lo, exec_lo, s4
	s_waitcnt lgkmcnt(0)
	s_waitcnt_vscnt null, 0x0
	s_barrier
	buffer_gl0_inv
	s_clause 0x33
	buffer_load_dword v8, off, s[0:3], 0 offset:212
	buffer_load_dword v156, off, s[0:3], 0 offset:220
	;; [unrolled: 1-line block ×52, first 2 shown]
	v_mov_b32_e32 v1, 0
	ds_read_b128 v[2:5], v1 offset:624
	ds_read_b128 v[112:115], v1 offset:640
	;; [unrolled: 1-line block ×12, first 2 shown]
	ds_read_b64 v[6:7], v1 offset:816
	s_mov_b32 s4, exec_lo
	s_waitcnt vmcnt(51) lgkmcnt(12)
	v_mul_f32_e32 v207, v2, v8
	v_mul_f32_e32 v8, v3, v8
	s_waitcnt vmcnt(50)
	v_mul_f32_e32 v208, v4, v156
	v_mul_f32_e32 v156, v5, v156
	s_waitcnt vmcnt(49) lgkmcnt(11)
	v_mul_f32_e32 v209, v112, v157
	s_waitcnt vmcnt(48)
	v_mul_f32_e32 v210, v114, v158
	s_waitcnt vmcnt(47) lgkmcnt(10)
	v_mul_f32_e32 v211, v116, v159
	s_waitcnt vmcnt(46)
	;; [unrolled: 4-line block ×11, first 2 shown]
	v_fma_f32 v2, v2, v180, -v8
	v_fmac_f32_e32 v207, v3, v180
	v_mul_f32_e32 v3, v113, v157
	s_waitcnt vmcnt(25)
	v_fma_f32 v4, v4, v181, -v156
	v_fmac_f32_e32 v208, v5, v181
	v_add_f32_e32 v2, 0, v2
	v_add_f32_e32 v5, 0, v207
	v_mul_f32_e32 v8, v115, v158
	s_waitcnt vmcnt(24)
	v_fma_f32 v3, v112, v182, -v3
	v_fmac_f32_e32 v209, v113, v182
	v_add_f32_e32 v2, v2, v4
	v_add_f32_e32 v4, v5, v208
	;; [unrolled: 6-line block ×21, first 2 shown]
	v_mul_f32_e32 v4, v155, v178
	s_waitcnt vmcnt(4)
	v_fma_f32 v5, v152, v202, -v5
	v_mul_f32_e32 v230, v154, v178
	v_add_f32_e32 v2, v2, v8
	v_fmac_f32_e32 v229, v153, v202
	v_add_f32_e32 v3, v3, v228
	s_waitcnt lgkmcnt(0)
	v_mul_f32_e32 v8, v7, v179
	s_waitcnt vmcnt(3)
	v_fma_f32 v4, v154, v203, -v4
	v_add_f32_e32 v2, v2, v5
	v_mul_f32_e32 v231, v6, v179
	v_fmac_f32_e32 v230, v155, v203
	v_add_f32_e32 v3, v3, v229
	s_waitcnt vmcnt(2)
	v_fma_f32 v5, v6, v204, -v8
	v_add_f32_e32 v2, v2, v4
	v_fmac_f32_e32 v231, v7, v204
	v_add_f32_e32 v3, v3, v230
	v_add_f32_e32 v2, v2, v5
	;; [unrolled: 1-line block ×3, first 2 shown]
	s_waitcnt vmcnt(1)
	v_sub_f32_e32 v2, v205, v2
	s_waitcnt vmcnt(0)
	v_sub_f32_e32 v3, v206, v3
	buffer_store_dword v2, off, s[0:3], 0 offset:200
	buffer_store_dword v3, off, s[0:3], 0 offset:204
	v_cmpx_lt_u32_e32 24, v0
	s_cbranch_execz .LBB114_271
; %bb.270:
	s_clause 0x1
	buffer_load_dword v2, off, s[0:3], 0 offset:192
	buffer_load_dword v3, off, s[0:3], 0 offset:196
	buffer_store_dword v1, off, s[0:3], 0 offset:192
	buffer_store_dword v1, off, s[0:3], 0 offset:196
	s_waitcnt vmcnt(0)
	ds_write_b64 v111, v[2:3]
.LBB114_271:
	s_or_b32 exec_lo, exec_lo, s4
	s_waitcnt lgkmcnt(0)
	s_waitcnt_vscnt null, 0x0
	s_barrier
	buffer_gl0_inv
	s_clause 0x35
	buffer_load_dword v6, off, s[0:3], 0 offset:204
	buffer_load_dword v7, off, s[0:3], 0 offset:212
	;; [unrolled: 1-line block ×54, first 2 shown]
	ds_read2_b64 v[2:5], v1 offset0:77 offset1:78
	ds_read2_b64 v[112:115], v1 offset0:79 offset1:80
	;; [unrolled: 1-line block ×13, first 2 shown]
	s_mov_b32 s4, exec_lo
	s_waitcnt vmcnt(53) lgkmcnt(12)
	v_mul_f32_e32 v1, v2, v6
	v_mul_f32_e32 v6, v3, v6
	s_waitcnt vmcnt(52)
	v_mul_f32_e32 v211, v4, v7
	v_mul_f32_e32 v7, v5, v7
	s_waitcnt vmcnt(51) lgkmcnt(11)
	v_mul_f32_e32 v212, v112, v8
	s_waitcnt vmcnt(50)
	v_mul_f32_e32 v213, v114, v160
	s_waitcnt vmcnt(49) lgkmcnt(10)
	v_mul_f32_e32 v214, v116, v161
	s_waitcnt vmcnt(48)
	v_mul_f32_e32 v215, v118, v162
	s_waitcnt vmcnt(47) lgkmcnt(9)
	v_mul_f32_e32 v216, v120, v163
	s_waitcnt vmcnt(46)
	v_mul_f32_e32 v217, v122, v164
	s_waitcnt vmcnt(45) lgkmcnt(8)
	v_mul_f32_e32 v218, v124, v165
	s_waitcnt vmcnt(44)
	v_mul_f32_e32 v219, v126, v166
	s_waitcnt vmcnt(43) lgkmcnt(7)
	v_mul_f32_e32 v220, v128, v167
	s_waitcnt vmcnt(42)
	v_mul_f32_e32 v221, v130, v168
	s_waitcnt vmcnt(41) lgkmcnt(6)
	v_mul_f32_e32 v222, v132, v169
	s_waitcnt vmcnt(40)
	v_mul_f32_e32 v223, v134, v170
	s_waitcnt vmcnt(39) lgkmcnt(5)
	v_mul_f32_e32 v224, v136, v171
	s_waitcnt vmcnt(38)
	v_mul_f32_e32 v225, v138, v172
	s_waitcnt vmcnt(37) lgkmcnt(4)
	v_mul_f32_e32 v226, v140, v173
	s_waitcnt vmcnt(36)
	v_mul_f32_e32 v227, v142, v174
	s_waitcnt vmcnt(35) lgkmcnt(3)
	v_mul_f32_e32 v228, v144, v175
	s_waitcnt vmcnt(34)
	v_mul_f32_e32 v229, v146, v176
	s_waitcnt vmcnt(33) lgkmcnt(2)
	v_mul_f32_e32 v230, v148, v177
	s_waitcnt vmcnt(32)
	v_mul_f32_e32 v231, v150, v178
	s_waitcnt vmcnt(31) lgkmcnt(1)
	v_mul_f32_e32 v232, v152, v179
	s_waitcnt vmcnt(30)
	v_mul_f32_e32 v233, v154, v180
	s_waitcnt vmcnt(27)
	v_fma_f32 v2, v2, v183, -v6
	v_fmac_f32_e32 v1, v3, v183
	v_mul_f32_e32 v3, v113, v8
	s_waitcnt vmcnt(26)
	v_fma_f32 v4, v4, v184, -v7
	v_fmac_f32_e32 v211, v5, v184
	v_add_f32_e32 v2, 0, v2
	v_add_f32_e32 v1, 0, v1
	v_mul_f32_e32 v5, v115, v160
	s_waitcnt vmcnt(25)
	v_fma_f32 v3, v112, v185, -v3
	v_fmac_f32_e32 v212, v113, v185
	v_add_f32_e32 v2, v2, v4
	v_add_f32_e32 v1, v1, v211
	;; [unrolled: 6-line block ×22, first 2 shown]
	s_waitcnt lgkmcnt(0)
	v_mul_f32_e32 v5, v157, v181
	s_waitcnt vmcnt(4)
	v_fma_f32 v3, v154, v206, -v3
	v_mul_f32_e32 v234, v156, v181
	v_add_f32_e32 v2, v2, v4
	v_fmac_f32_e32 v233, v155, v206
	v_add_f32_e32 v1, v1, v232
	v_mul_f32_e32 v4, v159, v182
	s_waitcnt vmcnt(3)
	v_fma_f32 v5, v156, v207, -v5
	v_add_f32_e32 v2, v2, v3
	v_mul_f32_e32 v235, v158, v182
	v_fmac_f32_e32 v234, v157, v207
	v_add_f32_e32 v1, v1, v233
	s_waitcnt vmcnt(2)
	v_fma_f32 v3, v158, v208, -v4
	v_add_f32_e32 v2, v2, v5
	v_fmac_f32_e32 v235, v159, v208
	v_add_f32_e32 v1, v1, v234
	v_add_f32_e32 v2, v2, v3
	;; [unrolled: 1-line block ×3, first 2 shown]
	s_waitcnt vmcnt(1)
	v_sub_f32_e32 v2, v209, v2
	s_waitcnt vmcnt(0)
	v_sub_f32_e32 v1, v210, v1
	buffer_store_dword v2, off, s[0:3], 0 offset:192
	buffer_store_dword v1, off, s[0:3], 0 offset:196
	v_cmpx_lt_u32_e32 23, v0
	s_cbranch_execz .LBB114_273
; %bb.272:
	s_clause 0x1
	buffer_load_dword v1, off, s[0:3], 0 offset:184
	buffer_load_dword v2, off, s[0:3], 0 offset:188
	v_mov_b32_e32 v3, 0
	buffer_store_dword v3, off, s[0:3], 0 offset:184
	buffer_store_dword v3, off, s[0:3], 0 offset:188
	s_waitcnt vmcnt(0)
	ds_write_b64 v111, v[1:2]
.LBB114_273:
	s_or_b32 exec_lo, exec_lo, s4
	s_waitcnt lgkmcnt(0)
	s_waitcnt_vscnt null, 0x0
	s_barrier
	buffer_gl0_inv
	s_clause 0x37
	buffer_load_dword v8, off, s[0:3], 0 offset:196
	buffer_load_dword v160, off, s[0:3], 0 offset:204
	;; [unrolled: 1-line block ×56, first 2 shown]
	v_mov_b32_e32 v1, 0
	ds_read_b128 v[2:5], v1 offset:608
	ds_read_b128 v[112:115], v1 offset:624
	;; [unrolled: 1-line block ×13, first 2 shown]
	ds_read_b64 v[6:7], v1 offset:816
	s_mov_b32 s4, exec_lo
	s_waitcnt vmcnt(55) lgkmcnt(13)
	v_mul_f32_e32 v215, v2, v8
	v_mul_f32_e32 v8, v3, v8
	s_waitcnt vmcnt(54)
	v_mul_f32_e32 v216, v4, v160
	v_mul_f32_e32 v160, v5, v160
	s_waitcnt vmcnt(53) lgkmcnt(12)
	v_mul_f32_e32 v217, v112, v161
	s_waitcnt vmcnt(52)
	v_mul_f32_e32 v218, v114, v162
	s_waitcnt vmcnt(51) lgkmcnt(11)
	v_mul_f32_e32 v219, v116, v163
	s_waitcnt vmcnt(50)
	;; [unrolled: 4-line block ×12, first 2 shown]
	v_fma_f32 v2, v2, v186, -v8
	v_fmac_f32_e32 v215, v3, v186
	v_mul_f32_e32 v3, v113, v161
	s_waitcnt vmcnt(27)
	v_fma_f32 v4, v4, v187, -v160
	v_fmac_f32_e32 v216, v5, v187
	v_add_f32_e32 v2, 0, v2
	v_add_f32_e32 v5, 0, v215
	v_mul_f32_e32 v8, v115, v162
	s_waitcnt vmcnt(26)
	v_fma_f32 v3, v112, v188, -v3
	v_fmac_f32_e32 v217, v113, v188
	v_add_f32_e32 v2, v2, v4
	v_add_f32_e32 v4, v5, v216
	;; [unrolled: 6-line block ×23, first 2 shown]
	v_mul_f32_e32 v5, v159, v184
	s_waitcnt vmcnt(4)
	v_fma_f32 v8, v156, v210, -v8
	v_mul_f32_e32 v240, v158, v184
	v_add_f32_e32 v2, v2, v4
	v_fmac_f32_e32 v239, v157, v210
	v_add_f32_e32 v3, v3, v238
	s_waitcnt lgkmcnt(0)
	v_mul_f32_e32 v4, v7, v185
	s_waitcnt vmcnt(3)
	v_fma_f32 v5, v158, v211, -v5
	v_add_f32_e32 v2, v2, v8
	v_mul_f32_e32 v241, v6, v185
	v_fmac_f32_e32 v240, v159, v211
	v_add_f32_e32 v3, v3, v239
	s_waitcnt vmcnt(2)
	v_fma_f32 v4, v6, v212, -v4
	v_add_f32_e32 v2, v2, v5
	v_fmac_f32_e32 v241, v7, v212
	v_add_f32_e32 v3, v3, v240
	v_add_f32_e32 v2, v2, v4
	v_add_f32_e32 v3, v3, v241
	s_waitcnt vmcnt(1)
	v_sub_f32_e32 v2, v213, v2
	s_waitcnt vmcnt(0)
	v_sub_f32_e32 v3, v214, v3
	buffer_store_dword v2, off, s[0:3], 0 offset:184
	buffer_store_dword v3, off, s[0:3], 0 offset:188
	v_cmpx_lt_u32_e32 22, v0
	s_cbranch_execz .LBB114_275
; %bb.274:
	s_clause 0x1
	buffer_load_dword v2, off, s[0:3], 0 offset:176
	buffer_load_dword v3, off, s[0:3], 0 offset:180
	buffer_store_dword v1, off, s[0:3], 0 offset:176
	buffer_store_dword v1, off, s[0:3], 0 offset:180
	s_waitcnt vmcnt(0)
	ds_write_b64 v111, v[2:3]
.LBB114_275:
	s_or_b32 exec_lo, exec_lo, s4
	s_waitcnt lgkmcnt(0)
	s_waitcnt_vscnt null, 0x0
	s_barrier
	buffer_gl0_inv
	s_clause 0x39
	buffer_load_dword v6, off, s[0:3], 0 offset:188
	buffer_load_dword v7, off, s[0:3], 0 offset:196
	;; [unrolled: 1-line block ×58, first 2 shown]
	ds_read2_b64 v[2:5], v1 offset0:75 offset1:76
	ds_read2_b64 v[112:115], v1 offset0:77 offset1:78
	;; [unrolled: 1-line block ×14, first 2 shown]
	s_mov_b32 s4, exec_lo
	s_waitcnt vmcnt(57) lgkmcnt(13)
	v_mul_f32_e32 v1, v2, v6
	v_mul_f32_e32 v6, v3, v6
	s_waitcnt vmcnt(56)
	v_mul_f32_e32 v219, v4, v7
	v_mul_f32_e32 v7, v5, v7
	s_waitcnt vmcnt(55) lgkmcnt(12)
	v_mul_f32_e32 v220, v112, v8
	s_waitcnt vmcnt(54)
	v_mul_f32_e32 v221, v114, v164
	s_waitcnt vmcnt(53) lgkmcnt(11)
	v_mul_f32_e32 v222, v116, v165
	s_waitcnt vmcnt(52)
	;; [unrolled: 4-line block ×12, first 2 shown]
	v_mul_f32_e32 v243, v158, v186
	s_waitcnt vmcnt(29)
	v_fma_f32 v2, v2, v189, -v6
	v_fmac_f32_e32 v1, v3, v189
	v_mul_f32_e32 v3, v113, v8
	s_waitcnt vmcnt(28)
	v_fma_f32 v4, v4, v190, -v7
	v_fmac_f32_e32 v219, v5, v190
	v_add_f32_e32 v2, 0, v2
	v_add_f32_e32 v1, 0, v1
	v_mul_f32_e32 v5, v115, v164
	s_waitcnt vmcnt(27)
	v_fma_f32 v3, v112, v191, -v3
	v_fmac_f32_e32 v220, v113, v191
	v_add_f32_e32 v2, v2, v4
	v_add_f32_e32 v1, v1, v219
	;; [unrolled: 6-line block ×24, first 2 shown]
	s_waitcnt lgkmcnt(0)
	v_mul_f32_e32 v3, v161, v187
	s_waitcnt vmcnt(4)
	v_fma_f32 v4, v158, v214, -v4
	v_mul_f32_e32 v244, v160, v187
	v_add_f32_e32 v2, v2, v5
	v_fmac_f32_e32 v243, v159, v214
	v_add_f32_e32 v1, v1, v242
	v_mul_f32_e32 v5, v163, v188
	s_waitcnt vmcnt(3)
	v_fma_f32 v3, v160, v215, -v3
	v_add_f32_e32 v2, v2, v4
	v_mul_f32_e32 v245, v162, v188
	v_fmac_f32_e32 v244, v161, v215
	v_add_f32_e32 v1, v1, v243
	s_waitcnt vmcnt(2)
	v_fma_f32 v4, v162, v216, -v5
	v_add_f32_e32 v2, v2, v3
	v_fmac_f32_e32 v245, v163, v216
	v_add_f32_e32 v1, v1, v244
	v_add_f32_e32 v2, v2, v4
	;; [unrolled: 1-line block ×3, first 2 shown]
	s_waitcnt vmcnt(1)
	v_sub_f32_e32 v2, v217, v2
	s_waitcnt vmcnt(0)
	v_sub_f32_e32 v1, v218, v1
	buffer_store_dword v2, off, s[0:3], 0 offset:176
	buffer_store_dword v1, off, s[0:3], 0 offset:180
	v_cmpx_lt_u32_e32 21, v0
	s_cbranch_execz .LBB114_277
; %bb.276:
	s_clause 0x1
	buffer_load_dword v1, off, s[0:3], 0 offset:168
	buffer_load_dword v2, off, s[0:3], 0 offset:172
	v_mov_b32_e32 v3, 0
	buffer_store_dword v3, off, s[0:3], 0 offset:168
	buffer_store_dword v3, off, s[0:3], 0 offset:172
	s_waitcnt vmcnt(0)
	ds_write_b64 v111, v[1:2]
.LBB114_277:
	s_or_b32 exec_lo, exec_lo, s4
	s_waitcnt lgkmcnt(0)
	s_waitcnt_vscnt null, 0x0
	s_barrier
	buffer_gl0_inv
	s_clause 0x3b
	buffer_load_dword v8, off, s[0:3], 0 offset:180
	buffer_load_dword v164, off, s[0:3], 0 offset:188
	;; [unrolled: 1-line block ×60, first 2 shown]
	v_mov_b32_e32 v1, 0
	ds_read_b128 v[2:5], v1 offset:592
	ds_read_b128 v[112:115], v1 offset:608
	;; [unrolled: 1-line block ×14, first 2 shown]
	ds_read_b64 v[6:7], v1 offset:816
	s_mov_b32 s4, exec_lo
	s_waitcnt vmcnt(59) lgkmcnt(14)
	v_mul_f32_e32 v223, v2, v8
	v_mul_f32_e32 v8, v3, v8
	s_waitcnt vmcnt(58)
	v_mul_f32_e32 v224, v4, v164
	v_mul_f32_e32 v164, v5, v164
	s_waitcnt vmcnt(57) lgkmcnt(13)
	v_mul_f32_e32 v225, v112, v165
	s_waitcnt vmcnt(56)
	v_mul_f32_e32 v226, v114, v166
	s_waitcnt vmcnt(55) lgkmcnt(12)
	v_mul_f32_e32 v227, v116, v167
	s_waitcnt vmcnt(54)
	;; [unrolled: 4-line block ×13, first 2 shown]
	v_fma_f32 v2, v2, v192, -v8
	v_fmac_f32_e32 v223, v3, v192
	v_mul_f32_e32 v3, v113, v165
	s_waitcnt vmcnt(29)
	v_fma_f32 v4, v4, v193, -v164
	v_fmac_f32_e32 v224, v5, v193
	v_add_f32_e32 v2, 0, v2
	v_add_f32_e32 v5, 0, v223
	v_mul_f32_e32 v8, v115, v166
	s_waitcnt vmcnt(28)
	v_fma_f32 v3, v112, v194, -v3
	v_fmac_f32_e32 v225, v113, v194
	v_add_f32_e32 v2, v2, v4
	v_add_f32_e32 v4, v5, v224
	v_mul_f32_e32 v5, v117, v167
	s_waitcnt vmcnt(27)
	v_fma_f32 v8, v114, v195, -v8
	v_fmac_f32_e32 v226, v115, v195
	v_add_f32_e32 v2, v2, v3
	v_add_f32_e32 v3, v4, v225
	v_mul_f32_e32 v4, v119, v168
	s_waitcnt vmcnt(26)
	v_fma_f32 v5, v116, v196, -v5
	v_fmac_f32_e32 v227, v117, v196
	v_add_f32_e32 v2, v2, v8
	v_add_f32_e32 v3, v3, v226
	v_mul_f32_e32 v8, v121, v169
	s_waitcnt vmcnt(25)
	v_fma_f32 v4, v118, v197, -v4
	v_fmac_f32_e32 v228, v119, v197
	v_add_f32_e32 v2, v2, v5
	v_add_f32_e32 v3, v3, v227
	v_mul_f32_e32 v5, v123, v170
	s_waitcnt vmcnt(24)
	v_fma_f32 v8, v120, v198, -v8
	v_fmac_f32_e32 v229, v121, v198
	v_add_f32_e32 v2, v2, v4
	v_add_f32_e32 v3, v3, v228
	v_mul_f32_e32 v4, v125, v171
	s_waitcnt vmcnt(23)
	v_fma_f32 v5, v122, v199, -v5
	v_fmac_f32_e32 v230, v123, v199
	v_add_f32_e32 v2, v2, v8
	v_add_f32_e32 v3, v3, v229
	v_mul_f32_e32 v8, v127, v172
	s_waitcnt vmcnt(22)
	v_fma_f32 v4, v124, v200, -v4
	v_fmac_f32_e32 v231, v125, v200
	v_add_f32_e32 v2, v2, v5
	v_add_f32_e32 v3, v3, v230
	v_mul_f32_e32 v5, v129, v173
	s_waitcnt vmcnt(21)
	v_fma_f32 v8, v126, v201, -v8
	v_fmac_f32_e32 v232, v127, v201
	v_add_f32_e32 v2, v2, v4
	v_add_f32_e32 v3, v3, v231
	v_mul_f32_e32 v4, v131, v174
	s_waitcnt vmcnt(20)
	v_fma_f32 v5, v128, v202, -v5
	v_fmac_f32_e32 v233, v129, v202
	v_add_f32_e32 v2, v2, v8
	v_add_f32_e32 v3, v3, v232
	v_mul_f32_e32 v8, v133, v175
	s_waitcnt vmcnt(19)
	v_fma_f32 v4, v130, v203, -v4
	v_fmac_f32_e32 v234, v131, v203
	v_add_f32_e32 v2, v2, v5
	v_add_f32_e32 v3, v3, v233
	v_mul_f32_e32 v5, v135, v176
	s_waitcnt vmcnt(18)
	v_fma_f32 v8, v132, v204, -v8
	v_fmac_f32_e32 v235, v133, v204
	v_add_f32_e32 v2, v2, v4
	v_add_f32_e32 v3, v3, v234
	v_mul_f32_e32 v4, v137, v177
	s_waitcnt vmcnt(17)
	v_fma_f32 v5, v134, v205, -v5
	v_fmac_f32_e32 v236, v135, v205
	v_add_f32_e32 v2, v2, v8
	v_add_f32_e32 v3, v3, v235
	v_mul_f32_e32 v8, v139, v178
	s_waitcnt vmcnt(16)
	v_fma_f32 v4, v136, v206, -v4
	v_fmac_f32_e32 v237, v137, v206
	v_add_f32_e32 v2, v2, v5
	v_add_f32_e32 v3, v3, v236
	v_mul_f32_e32 v5, v141, v179
	s_waitcnt vmcnt(15)
	v_fma_f32 v8, v138, v207, -v8
	v_fmac_f32_e32 v238, v139, v207
	v_add_f32_e32 v2, v2, v4
	v_add_f32_e32 v3, v3, v237
	v_mul_f32_e32 v4, v143, v180
	s_waitcnt vmcnt(14)
	v_fma_f32 v5, v140, v208, -v5
	v_fmac_f32_e32 v239, v141, v208
	v_add_f32_e32 v2, v2, v8
	v_add_f32_e32 v3, v3, v238
	v_mul_f32_e32 v8, v145, v181
	s_waitcnt vmcnt(13)
	v_fma_f32 v4, v142, v209, -v4
	v_fmac_f32_e32 v240, v143, v209
	v_add_f32_e32 v2, v2, v5
	v_add_f32_e32 v3, v3, v239
	v_mul_f32_e32 v5, v147, v182
	s_waitcnt vmcnt(12)
	v_fma_f32 v8, v144, v210, -v8
	v_fmac_f32_e32 v241, v145, v210
	v_add_f32_e32 v2, v2, v4
	v_add_f32_e32 v3, v3, v240
	v_mul_f32_e32 v4, v149, v183
	s_waitcnt vmcnt(11)
	v_fma_f32 v5, v146, v211, -v5
	v_fmac_f32_e32 v242, v147, v211
	v_add_f32_e32 v2, v2, v8
	v_add_f32_e32 v3, v3, v241
	v_mul_f32_e32 v8, v151, v184
	s_waitcnt vmcnt(10)
	v_fma_f32 v4, v148, v212, -v4
	v_fmac_f32_e32 v243, v149, v212
	v_add_f32_e32 v2, v2, v5
	v_add_f32_e32 v3, v3, v242
	v_mul_f32_e32 v5, v153, v185
	s_waitcnt vmcnt(9)
	v_fma_f32 v8, v150, v213, -v8
	v_fmac_f32_e32 v244, v151, v213
	v_add_f32_e32 v2, v2, v4
	v_add_f32_e32 v3, v3, v243
	v_mul_f32_e32 v4, v155, v186
	s_waitcnt vmcnt(8)
	v_fma_f32 v5, v152, v214, -v5
	v_fmac_f32_e32 v245, v153, v214
	v_add_f32_e32 v2, v2, v8
	v_add_f32_e32 v3, v3, v244
	v_mul_f32_e32 v8, v157, v187
	s_waitcnt vmcnt(7)
	v_fma_f32 v4, v154, v215, -v4
	v_fmac_f32_e32 v246, v155, v215
	v_add_f32_e32 v2, v2, v5
	v_add_f32_e32 v3, v3, v245
	v_mul_f32_e32 v5, v159, v188
	s_waitcnt vmcnt(6)
	v_fma_f32 v8, v156, v216, -v8
	v_fmac_f32_e32 v247, v157, v216
	v_add_f32_e32 v2, v2, v4
	v_add_f32_e32 v3, v3, v246
	v_mul_f32_e32 v4, v161, v189
	s_waitcnt vmcnt(5)
	v_fma_f32 v5, v158, v217, -v5
	v_fmac_f32_e32 v248, v159, v217
	v_add_f32_e32 v2, v2, v8
	v_add_f32_e32 v3, v3, v247
	v_mul_f32_e32 v8, v163, v190
	s_waitcnt vmcnt(4)
	v_fma_f32 v4, v160, v218, -v4
	v_mul_f32_e32 v250, v162, v190
	v_add_f32_e32 v2, v2, v5
	v_fmac_f32_e32 v249, v161, v218
	v_add_f32_e32 v3, v3, v248
	s_waitcnt lgkmcnt(0)
	v_mul_f32_e32 v5, v7, v191
	s_waitcnt vmcnt(3)
	v_fma_f32 v8, v162, v219, -v8
	v_add_f32_e32 v2, v2, v4
	v_mul_f32_e32 v251, v6, v191
	v_fmac_f32_e32 v250, v163, v219
	v_add_f32_e32 v3, v3, v249
	s_waitcnt vmcnt(2)
	v_fma_f32 v4, v6, v220, -v5
	v_add_f32_e32 v2, v2, v8
	v_fmac_f32_e32 v251, v7, v220
	v_add_f32_e32 v3, v3, v250
	v_add_f32_e32 v2, v2, v4
	;; [unrolled: 1-line block ×3, first 2 shown]
	s_waitcnt vmcnt(1)
	v_sub_f32_e32 v2, v221, v2
	s_waitcnt vmcnt(0)
	v_sub_f32_e32 v3, v222, v3
	buffer_store_dword v2, off, s[0:3], 0 offset:168
	buffer_store_dword v3, off, s[0:3], 0 offset:172
	v_cmpx_lt_u32_e32 20, v0
	s_cbranch_execz .LBB114_279
; %bb.278:
	s_clause 0x1
	buffer_load_dword v2, off, s[0:3], 0 offset:160
	buffer_load_dword v3, off, s[0:3], 0 offset:164
	buffer_store_dword v1, off, s[0:3], 0 offset:160
	buffer_store_dword v1, off, s[0:3], 0 offset:164
	s_waitcnt vmcnt(0)
	ds_write_b64 v111, v[2:3]
.LBB114_279:
	s_or_b32 exec_lo, exec_lo, s4
	s_waitcnt lgkmcnt(0)
	s_waitcnt_vscnt null, 0x0
	s_barrier
	buffer_gl0_inv
	s_clause 0x1b
	buffer_load_dword v3, off, s[0:3], 0 offset:172
	buffer_load_dword v4, off, s[0:3], 0 offset:180
	;; [unrolled: 1-line block ×28, first 2 shown]
	ds_read2_b64 v[135:138], v1 offset0:73 offset1:74
	ds_read2_b64 v[139:142], v1 offset0:75 offset1:76
	s_clause 0x1
	buffer_load_dword v131, off, s[0:3], 0 offset:276
	buffer_load_dword v128, off, s[0:3], 0 offset:284
	ds_read2_b64 v[143:146], v1 offset0:77 offset1:78
	ds_read2_b64 v[147:150], v1 offset0:79 offset1:80
	;; [unrolled: 1-line block ×3, first 2 shown]
	buffer_load_dword v155, off, s[0:3], 0 offset:164
	s_mov_b32 s4, exec_lo
	s_waitcnt vmcnt(30) lgkmcnt(4)
	v_mul_f32_e32 v156, v135, v3
	s_waitcnt vmcnt(29)
	v_mul_f32_e32 v157, v137, v4
	v_mul_f32_e32 v3, v136, v3
	;; [unrolled: 1-line block ×3, first 2 shown]
	s_waitcnt vmcnt(28) lgkmcnt(3)
	v_mul_f32_e32 v158, v139, v5
	v_mul_f32_e32 v5, v140, v5
	s_waitcnt vmcnt(24)
	v_fmac_f32_e32 v156, v136, v8
	v_fmac_f32_e32 v157, v138, v7
	v_fma_f32 v8, v135, v8, -v3
	v_fma_f32 v7, v137, v7, -v4
	s_clause 0x7
	buffer_load_dword v135, off, s[0:3], 0 offset:292
	buffer_load_dword v136, off, s[0:3], 0 offset:296
	;; [unrolled: 1-line block ×8, first 2 shown]
	v_mul_f32_e32 v159, v141, v6
	v_mul_f32_e32 v6, v142, v6
	v_fmac_f32_e32 v158, v140, v2
	v_fma_f32 v139, v139, v2, -v5
	ds_read2_b64 v[2:5], v1 offset0:83 offset1:84
	s_waitcnt vmcnt(28)
	v_fmac_f32_e32 v159, v142, v119
	v_fma_f32 v6, v141, v119, -v6
	s_waitcnt vmcnt(27) lgkmcnt(3)
	v_mul_f32_e32 v119, v143, v117
	v_mul_f32_e32 v117, v144, v117
	s_waitcnt vmcnt(26)
	v_mul_f32_e32 v140, v145, v118
	v_mul_f32_e32 v118, v146, v118
	s_waitcnt vmcnt(25) lgkmcnt(2)
	v_mul_f32_e32 v141, v147, v116
	v_mul_f32_e32 v116, v148, v116
	v_fmac_f32_e32 v119, v144, v114
	v_fma_f32 v114, v143, v114, -v117
	s_waitcnt vmcnt(24)
	v_mul_f32_e32 v117, v149, v115
	v_mul_f32_e32 v115, v150, v115
	v_fmac_f32_e32 v140, v146, v113
	v_fma_f32 v118, v145, v113, -v118
	s_waitcnt vmcnt(23) lgkmcnt(1)
	v_mul_f32_e32 v142, v151, v120
	s_waitcnt vmcnt(22)
	v_mul_f32_e32 v143, v153, v123
	v_mul_f32_e32 v113, v152, v120
	;; [unrolled: 1-line block ×3, first 2 shown]
	v_fmac_f32_e32 v141, v148, v112
	v_fma_f32 v116, v147, v112, -v116
	s_waitcnt vmcnt(18)
	v_fmac_f32_e32 v117, v150, v130
	v_fma_f32 v123, v149, v130, -v115
	s_clause 0x7
	buffer_load_dword v144, off, s[0:3], 0 offset:324
	buffer_load_dword v145, off, s[0:3], 0 offset:328
	;; [unrolled: 1-line block ×8, first 2 shown]
	v_fmac_f32_e32 v143, v154, v126
	v_fma_f32 v120, v153, v126, -v120
	s_waitcnt vmcnt(25) lgkmcnt(0)
	v_mul_f32_e32 v126, v2, v125
	v_mul_f32_e32 v112, v3, v125
	v_fmac_f32_e32 v142, v152, v127
	v_fma_f32 v127, v151, v127, -v113
	v_add_f32_e32 v113, 0, v156
	v_fmac_f32_e32 v126, v3, v121
	v_fma_f32 v121, v2, v121, -v112
	s_waitcnt vmcnt(24)
	v_mul_f32_e32 v125, v4, v124
	v_mul_f32_e32 v2, v5, v124
	v_add_f32_e32 v8, 0, v8
	s_clause 0x5
	buffer_load_dword v151, off, s[0:3], 0 offset:356
	buffer_load_dword v152, off, s[0:3], 0 offset:364
	;; [unrolled: 1-line block ×6, first 2 shown]
	v_add_f32_e32 v112, v113, v157
	s_waitcnt vmcnt(26)
	v_fmac_f32_e32 v125, v5, v134
	v_fma_f32 v124, v4, v134, -v2
	ds_read2_b64 v[2:5], v1 offset0:85 offset1:86
	v_add_f32_e32 v7, v8, v7
	buffer_load_dword v156, off, s[0:3], 0 offset:404
	v_add_f32_e32 v8, v112, v158
	v_add_f32_e32 v7, v7, v139
	s_clause 0x3
	buffer_load_dword v134, off, s[0:3], 0 offset:376
	buffer_load_dword v139, off, s[0:3], 0 offset:368
	;; [unrolled: 1-line block ×4, first 2 shown]
	v_add_f32_e32 v8, v8, v159
	v_add_f32_e32 v6, v7, v6
	;; [unrolled: 1-line block ×4, first 2 shown]
	ds_read2_b64 v[112:115], v1 offset0:87 offset1:88
	v_add_f32_e32 v7, v7, v140
	s_waitcnt vmcnt(30) lgkmcnt(1)
	v_mul_f32_e32 v8, v2, v133
	v_mul_f32_e32 v119, v3, v133
	s_waitcnt vmcnt(29)
	v_mul_f32_e32 v140, v4, v131
	v_fmac_f32_e32 v8, v3, v132
	v_fma_f32 v130, v2, v132, -v119
	v_add_f32_e32 v2, v6, v118
	v_add_f32_e32 v3, v7, v141
	s_clause 0x3
	buffer_load_dword v6, off, s[0:3], 0 offset:400
	buffer_load_dword v7, off, s[0:3], 0 offset:392
	;; [unrolled: 1-line block ×4, first 2 shown]
	v_fmac_f32_e32 v140, v5, v129
	v_add_f32_e32 v2, v2, v116
	v_add_f32_e32 v3, v3, v117
	v_mul_f32_e32 v116, v5, v131
	v_add_f32_e32 v117, v2, v123
	v_add_f32_e32 v123, v3, v142
	v_fma_f32 v129, v4, v129, -v116
	ds_read2_b64 v[2:5], v1 offset0:89 offset1:90
	s_waitcnt vmcnt(32) lgkmcnt(1)
	v_mul_f32_e32 v131, v112, v128
	v_add_f32_e32 v127, v117, v127
	ds_read2_b64 v[116:119], v1 offset0:91 offset1:92
	v_add_f32_e32 v123, v123, v143
	v_mul_f32_e32 v128, v113, v128
	v_fmac_f32_e32 v131, v113, v122
	v_add_f32_e32 v120, v127, v120
	v_add_f32_e32 v126, v123, v126
	;; [unrolled: 1-line block ×6, first 2 shown]
	s_waitcnt vmcnt(30)
	v_mul_f32_e32 v127, v115, v135
	v_mul_f32_e32 v141, v114, v135
	v_fma_f32 v135, v112, v122, -v128
	s_waitcnt vmcnt(28) lgkmcnt(1)
	v_mul_f32_e32 v143, v2, v137
	s_waitcnt vmcnt(27)
	v_mul_f32_e32 v159, v4, v138
	v_mul_f32_e32 v126, v3, v137
	s_waitcnt vmcnt(26) lgkmcnt(0)
	v_mul_f32_e32 v128, v117, v160
	s_waitcnt vmcnt(23)
	v_fma_f32 v142, v114, v163, -v127
	v_add_f32_e32 v127, v120, v121
	v_fmac_f32_e32 v141, v115, v163
	ds_read2_b64 v[112:115], v1 offset0:93 offset1:94
	ds_read2_b64 v[120:123], v1 offset0:95 offset1:96
	v_mul_f32_e32 v137, v116, v160
	v_fmac_f32_e32 v143, v3, v136
	v_add_f32_e32 v124, v127, v124
	v_mul_f32_e32 v127, v5, v138
	v_fmac_f32_e32 v159, v5, v162
	v_fma_f32 v136, v2, v136, -v126
	v_fma_f32 v116, v116, v161, -v128
	v_add_f32_e32 v130, v124, v130
	v_fma_f32 v138, v4, v162, -v127
	ds_read2_b64 v[2:5], v1 offset0:97 offset1:98
	ds_read2_b64 v[124:127], v1 offset0:99 offset1:100
	v_add_f32_e32 v8, v8, v141
	v_fmac_f32_e32 v137, v117, v161
	v_add_f32_e32 v140, v130, v129
	ds_read2_b64 v[128:131], v1 offset0:101 offset1:102
	v_add_f32_e32 v8, v8, v143
	v_add_f32_e32 v1, v140, v135
	s_waitcnt vmcnt(22)
	v_mul_f32_e32 v135, v119, v144
	v_mul_f32_e32 v117, v118, v144
	v_add_f32_e32 v8, v8, v159
	s_waitcnt vmcnt(20) lgkmcnt(4)
	v_mul_f32_e32 v140, v112, v146
	v_add_f32_e32 v1, v1, v142
	v_mul_f32_e32 v142, v113, v146
	s_waitcnt vmcnt(15)
	v_fma_f32 v118, v118, v164, -v135
	v_fmac_f32_e32 v117, v119, v164
	v_add_f32_e32 v8, v8, v137
	v_add_f32_e32 v1, v1, v136
	v_fma_f32 v112, v112, v145, -v142
	v_mul_f32_e32 v141, v114, v147
	v_fmac_f32_e32 v140, v113, v145
	v_add_f32_e32 v8, v8, v117
	v_add_f32_e32 v1, v1, v138
	v_mul_f32_e32 v138, v115, v147
	s_waitcnt lgkmcnt(3)
	v_mul_f32_e32 v113, v121, v148
	v_mul_f32_e32 v119, v120, v148
	v_fmac_f32_e32 v141, v115, v150
	v_add_f32_e32 v1, v1, v116
	v_fma_f32 v114, v114, v150, -v138
	v_add_f32_e32 v8, v8, v140
	v_fma_f32 v113, v120, v149, -v113
	s_waitcnt vmcnt(14)
	v_mul_f32_e32 v135, v122, v151
	v_add_f32_e32 v1, v1, v118
	v_fmac_f32_e32 v119, v121, v149
	v_add_f32_e32 v8, v8, v141
	s_waitcnt vmcnt(13) lgkmcnt(2)
	v_mul_f32_e32 v136, v2, v152
	s_waitcnt vmcnt(12)
	v_mul_f32_e32 v143, v4, v153
	v_add_f32_e32 v1, v1, v112
	v_mul_f32_e32 v112, v123, v151
	s_waitcnt vmcnt(4)
	v_fmac_f32_e32 v135, v123, v158
	v_add_f32_e32 v8, v8, v119
	v_fmac_f32_e32 v136, v3, v157
	v_add_f32_e32 v1, v1, v114
	v_mul_f32_e32 v114, v3, v152
	v_fma_f32 v112, v122, v158, -v112
	v_add_f32_e32 v3, v8, v135
	s_waitcnt lgkmcnt(1)
	v_mul_f32_e32 v8, v125, v154
	v_add_f32_e32 v1, v1, v113
	v_mul_f32_e32 v113, v5, v153
	v_fma_f32 v2, v2, v157, -v114
	v_mul_f32_e32 v144, v124, v154
	v_fmac_f32_e32 v143, v5, v139
	v_add_f32_e32 v1, v1, v112
	v_fma_f32 v4, v4, v139, -v113
	v_fma_f32 v5, v124, v134, -v8
	v_mul_f32_e32 v146, v126, v165
	v_fmac_f32_e32 v144, v125, v134
	v_add_f32_e32 v1, v1, v2
	v_add_f32_e32 v2, v3, v136
	v_mul_f32_e32 v3, v127, v165
	s_waitcnt lgkmcnt(0)
	v_mul_f32_e32 v147, v128, v166
	s_waitcnt vmcnt(1)
	v_fmac_f32_e32 v146, v127, v132
	v_add_f32_e32 v1, v1, v4
	v_add_f32_e32 v2, v2, v143
	v_mul_f32_e32 v4, v129, v166
	v_fma_f32 v3, v126, v132, -v3
	v_mul_f32_e32 v116, v130, v156
	v_add_f32_e32 v1, v1, v5
	v_add_f32_e32 v2, v2, v144
	v_mul_f32_e32 v5, v131, v156
	v_fma_f32 v4, v128, v7, -v4
	v_fmac_f32_e32 v147, v129, v7
	v_add_f32_e32 v1, v1, v3
	v_add_f32_e32 v2, v2, v146
	v_fma_f32 v3, v130, v6, -v5
	v_fmac_f32_e32 v116, v131, v6
	v_add_f32_e32 v1, v1, v4
	v_add_f32_e32 v2, v2, v147
	;; [unrolled: 1-line block ×4, first 2 shown]
	s_waitcnt vmcnt(0)
	v_sub_f32_e32 v1, v133, v1
	v_sub_f32_e32 v2, v155, v2
	buffer_store_dword v1, off, s[0:3], 0 offset:160
	buffer_store_dword v2, off, s[0:3], 0 offset:164
	v_cmpx_lt_u32_e32 19, v0
	s_cbranch_execz .LBB114_281
; %bb.280:
	s_clause 0x1
	buffer_load_dword v1, off, s[0:3], 0 offset:152
	buffer_load_dword v2, off, s[0:3], 0 offset:156
	v_mov_b32_e32 v3, 0
	buffer_store_dword v3, off, s[0:3], 0 offset:152
	buffer_store_dword v3, off, s[0:3], 0 offset:156
	s_waitcnt vmcnt(0)
	ds_write_b64 v111, v[1:2]
.LBB114_281:
	s_or_b32 exec_lo, exec_lo, s4
	s_waitcnt lgkmcnt(0)
	s_waitcnt_vscnt null, 0x0
	s_barrier
	buffer_gl0_inv
	s_clause 0x23
	buffer_load_dword v3, off, s[0:3], 0 offset:164
	buffer_load_dword v4, off, s[0:3], 0 offset:172
	;; [unrolled: 1-line block ×36, first 2 shown]
	v_mov_b32_e32 v1, 0
	ds_read_b128 v[136:139], v1 offset:576
	ds_read_b128 v[140:143], v1 offset:592
	;; [unrolled: 1-line block ×3, first 2 shown]
	s_clause 0x3
	buffer_load_dword v157, off, s[0:3], 0 offset:292
	buffer_load_dword v158, off, s[0:3], 0 offset:300
	;; [unrolled: 1-line block ×4, first 2 shown]
	ds_read_b128 v[148:151], v1 offset:624
	s_mov_b32 s4, exec_lo
	s_waitcnt vmcnt(39) lgkmcnt(3)
	v_mul_f32_e32 v161, v136, v3
	v_mul_f32_e32 v3, v137, v3
	s_waitcnt vmcnt(38)
	v_mul_f32_e32 v162, v138, v4
	v_mul_f32_e32 v4, v139, v4
	s_waitcnt vmcnt(35)
	v_fmac_f32_e32 v161, v137, v112
	v_fma_f32 v163, v136, v112, -v3
	s_waitcnt vmcnt(34) lgkmcnt(2)
	v_mul_f32_e32 v164, v140, v8
	v_mul_f32_e32 v3, v141, v8
	v_fmac_f32_e32 v162, v139, v5
	v_fma_f32 v8, v138, v5, -v4
	ds_read_b128 v[136:139], v1 offset:640
	s_waitcnt vmcnt(33)
	v_mul_f32_e32 v4, v143, v6
	v_mul_f32_e32 v165, v142, v6
	v_fmac_f32_e32 v164, v141, v2
	v_fma_f32 v6, v140, v2, -v3
	s_waitcnt vmcnt(32) lgkmcnt(2)
	v_mul_f32_e32 v140, v144, v7
	s_waitcnt vmcnt(28)
	v_fma_f32 v141, v142, v119, -v4
	ds_read_b128 v[2:5], v1 offset:656
	v_mul_f32_e32 v7, v145, v7
	s_waitcnt vmcnt(27)
	v_mul_f32_e32 v112, v147, v118
	v_mul_f32_e32 v142, v146, v118
	v_fmac_f32_e32 v165, v143, v119
	s_waitcnt vmcnt(26) lgkmcnt(2)
	v_mul_f32_e32 v143, v148, v115
	v_fma_f32 v7, v144, v117, -v7
	v_fma_f32 v144, v146, v114, -v112
	v_mul_f32_e32 v112, v149, v115
	v_fmac_f32_e32 v142, v147, v114
	v_fmac_f32_e32 v140, v145, v117
	s_waitcnt vmcnt(25)
	v_mul_f32_e32 v145, v150, v116
	v_mul_f32_e32 v114, v151, v116
	v_fma_f32 v147, v148, v113, -v112
	s_waitcnt vmcnt(19) lgkmcnt(1)
	v_mul_f32_e32 v148, v138, v126
	v_mul_f32_e32 v126, v139, v126
	;; [unrolled: 1-line block ×4, first 2 shown]
	v_fmac_f32_e32 v143, v149, v113
	v_fmac_f32_e32 v148, v139, v122
	v_fma_f32 v122, v138, v122, -v126
	s_waitcnt vmcnt(17) lgkmcnt(0)
	v_mul_f32_e32 v126, v4, v123
	v_mul_f32_e32 v123, v5, v123
	v_fmac_f32_e32 v145, v151, v127
	v_fma_f32 v127, v150, v127, -v114
	ds_read_b128 v[112:115], v1 offset:672
	ds_read_b128 v[116:119], v1 offset:688
	v_fmac_f32_e32 v146, v137, v124
	v_fma_f32 v120, v136, v124, -v120
	s_waitcnt vmcnt(13)
	v_fmac_f32_e32 v126, v5, v135
	v_fma_f32 v123, v4, v135, -v123
	s_clause 0x6
	buffer_load_dword v135, off, s[0:3], 0 offset:312
	buffer_load_dword v136, off, s[0:3], 0 offset:324
	;; [unrolled: 1-line block ×7, first 2 shown]
	v_mul_f32_e32 v124, v2, v125
	v_mul_f32_e32 v125, v3, v125
	v_fmac_f32_e32 v124, v3, v121
	v_fma_f32 v121, v2, v121, -v125
	s_waitcnt vmcnt(19) lgkmcnt(1)
	v_mul_f32_e32 v125, v112, v134
	v_mul_f32_e32 v2, v113, v134
	s_waitcnt vmcnt(16) lgkmcnt(0)
	v_mul_f32_e32 v168, v118, v132
	v_mul_f32_e32 v134, v114, v133
	v_mul_f32_e32 v3, v115, v133
	v_fmac_f32_e32 v125, v113, v130
	v_fma_f32 v130, v112, v130, -v2
	v_mul_f32_e32 v2, v119, v132
	s_waitcnt vmcnt(11)
	v_fmac_f32_e32 v168, v119, v156
	v_mul_f32_e32 v133, v116, v131
	v_mul_f32_e32 v4, v117, v131
	s_clause 0x3
	buffer_load_dword v131, off, s[0:3], 0 offset:348
	buffer_load_dword v151, off, s[0:3], 0 offset:356
	;; [unrolled: 1-line block ×4, first 2 shown]
	v_fma_f32 v156, v118, v156, -v2
	v_add_f32_e32 v2, 0, v161
	s_clause 0x3
	buffer_load_dword v132, off, s[0:3], 0 offset:380
	buffer_load_dword v169, off, s[0:3], 0 offset:388
	;; [unrolled: 1-line block ×4, first 2 shown]
	v_fmac_f32_e32 v134, v115, v129
	v_fma_f32 v129, v114, v129, -v3
	v_add_f32_e32 v2, v2, v162
	s_clause 0x3
	buffer_load_dword v161, off, s[0:3], 0 offset:368
	buffer_load_dword v162, off, s[0:3], 0 offset:360
	;; [unrolled: 1-line block ×4, first 2 shown]
	v_add_f32_e32 v3, 0, v163
	v_fmac_f32_e32 v133, v117, v128
	v_fma_f32 v128, v116, v128, -v4
	v_add_f32_e32 v2, v2, v164
	v_add_f32_e32 v3, v3, v8
	;; [unrolled: 1-line block ×3, first 2 shown]
	s_clause 0x3
	buffer_load_dword v8, off, s[0:3], 0 offset:400
	buffer_load_dword v163, off, s[0:3], 0 offset:392
	;; [unrolled: 1-line block ×4, first 2 shown]
	v_add_f32_e32 v3, v3, v6
	ds_read_b128 v[112:115], v1 offset:720
	v_add_f32_e32 v2, v2, v140
	v_add_f32_e32 v3, v3, v141
	buffer_load_dword v141, off, s[0:3], 0 offset:152
	v_add_f32_e32 v6, v2, v142
	v_add_f32_e32 v3, v3, v7
	;; [unrolled: 1-line block ×4, first 2 shown]
	ds_read_b128 v[2:5], v1 offset:704
	v_add_f32_e32 v6, v6, v145
	v_add_f32_e32 v7, v7, v147
	s_waitcnt vmcnt(25) lgkmcnt(1)
	v_mul_f32_e32 v145, v114, v159
	v_add_f32_e32 v6, v6, v146
	v_add_f32_e32 v7, v7, v127
	;; [unrolled: 1-line block ×5, first 2 shown]
	v_mul_f32_e32 v124, v113, v153
	v_add_f32_e32 v7, v7, v122
	s_waitcnt lgkmcnt(0)
	v_mul_f32_e32 v140, v2, v157
	v_mul_f32_e32 v116, v3, v157
	v_add_f32_e32 v6, v6, v126
	v_mul_f32_e32 v142, v4, v158
	v_mul_f32_e32 v117, v5, v158
	v_fmac_f32_e32 v140, v3, v155
	v_add_f32_e32 v3, v7, v121
	v_add_f32_e32 v6, v6, v125
	v_fma_f32 v143, v2, v155, -v116
	v_fmac_f32_e32 v142, v5, v154
	v_fma_f32 v144, v4, v154, -v117
	v_add_f32_e32 v7, v3, v123
	v_add_f32_e32 v6, v6, v134
	ds_read_b128 v[2:5], v1 offset:736
	ds_read_b128 v[116:119], v1 offset:752
	v_fma_f32 v146, v112, v152, -v124
	ds_read_b128 v[120:123], v1 offset:768
	ds_read_b128 v[124:127], v1 offset:784
	v_add_f32_e32 v7, v7, v130
	v_mul_f32_e32 v130, v112, v153
	v_add_f32_e32 v7, v7, v129
	v_mul_f32_e32 v129, v115, v159
	v_fmac_f32_e32 v130, v113, v152
	v_add_f32_e32 v7, v7, v128
	s_waitcnt vmcnt(23)
	v_fma_f32 v128, v114, v135, -v129
	v_add_f32_e32 v129, v6, v133
	v_add_f32_e32 v133, v7, v156
	s_waitcnt vmcnt(22) lgkmcnt(3)
	v_mul_f32_e32 v134, v2, v136
	v_mul_f32_e32 v136, v3, v136
	v_fmac_f32_e32 v145, v115, v135
	v_add_f32_e32 v129, v129, v168
	v_add_f32_e32 v133, v133, v143
	s_waitcnt vmcnt(21)
	v_mul_f32_e32 v135, v4, v137
	v_mul_f32_e32 v137, v5, v137
	s_waitcnt vmcnt(17)
	v_fma_f32 v2, v2, v150, -v136
	v_add_f32_e32 v129, v129, v140
	v_add_f32_e32 v133, v133, v144
	v_fmac_f32_e32 v134, v3, v150
	s_waitcnt lgkmcnt(2)
	v_mul_f32_e32 v136, v117, v138
	v_fma_f32 v4, v4, v149, -v137
	v_add_f32_e32 v129, v129, v142
	v_add_f32_e32 v133, v133, v146
	v_mul_f32_e32 v140, v116, v138
	v_fmac_f32_e32 v135, v5, v149
	v_fma_f32 v116, v116, v139, -v136
	v_add_f32_e32 v129, v129, v130
	v_add_f32_e32 v128, v133, v128
	v_fmac_f32_e32 v140, v117, v139
	ds_read_b128 v[112:115], v1 offset:800
	ds_read_b64 v[6:7], v1 offset:816
	v_add_f32_e32 v129, v129, v145
	v_add_f32_e32 v2, v128, v2
	s_waitcnt vmcnt(16)
	v_mul_f32_e32 v128, v119, v131
	v_mul_f32_e32 v143, v118, v131
	s_waitcnt vmcnt(15) lgkmcnt(3)
	v_mul_f32_e32 v144, v120, v151
	v_add_f32_e32 v5, v129, v134
	v_add_f32_e32 v2, v2, v4
	s_waitcnt vmcnt(14)
	v_mul_f32_e32 v142, v122, v166
	s_waitcnt vmcnt(13) lgkmcnt(2)
	v_mul_f32_e32 v146, v124, v167
	s_waitcnt vmcnt(12)
	v_mul_f32_e32 v3, v126, v132
	v_add_f32_e32 v4, v5, v135
	v_mul_f32_e32 v5, v121, v151
	v_add_f32_e32 v2, v2, v116
	s_waitcnt vmcnt(5)
	v_fma_f32 v117, v118, v173, -v128
	v_fmac_f32_e32 v143, v119, v173
	v_add_f32_e32 v4, v4, v140
	v_mul_f32_e32 v116, v123, v166
	v_fma_f32 v5, v120, v172, -v5
	v_add_f32_e32 v2, v2, v117
	v_fmac_f32_e32 v144, v121, v172
	v_add_f32_e32 v4, v4, v143
	v_mul_f32_e32 v117, v125, v167
	v_fma_f32 v116, v122, v162, -v116
	v_add_f32_e32 v2, v2, v5
	;; [unrolled: 5-line block ×3, first 2 shown]
	v_fmac_f32_e32 v146, v125, v161
	v_add_f32_e32 v4, v4, v142
	s_waitcnt lgkmcnt(1)
	v_mul_f32_e32 v116, v113, v169
	s_waitcnt vmcnt(1)
	v_fma_f32 v5, v126, v165, -v5
	v_add_f32_e32 v2, v2, v117
	v_mul_f32_e32 v130, v112, v169
	v_fmac_f32_e32 v3, v127, v165
	v_add_f32_e32 v4, v4, v146
	v_mul_f32_e32 v117, v115, v170
	v_fma_f32 v112, v112, v164, -v116
	v_add_f32_e32 v2, v2, v5
	v_mul_f32_e32 v133, v114, v170
	v_fmac_f32_e32 v130, v113, v164
	v_add_f32_e32 v3, v4, v3
	s_waitcnt lgkmcnt(0)
	v_mul_f32_e32 v4, v7, v171
	v_fma_f32 v5, v114, v163, -v117
	v_add_f32_e32 v2, v2, v112
	v_mul_f32_e32 v138, v6, v171
	v_fmac_f32_e32 v133, v115, v163
	v_add_f32_e32 v3, v3, v130
	v_fma_f32 v4, v6, v8, -v4
	v_add_f32_e32 v2, v2, v5
	v_fmac_f32_e32 v138, v7, v8
	v_add_f32_e32 v3, v3, v133
	v_add_f32_e32 v2, v2, v4
	;; [unrolled: 1-line block ×3, first 2 shown]
	s_waitcnt vmcnt(0)
	v_sub_f32_e32 v2, v141, v2
	v_sub_f32_e32 v3, v160, v3
	buffer_store_dword v2, off, s[0:3], 0 offset:152
	buffer_store_dword v3, off, s[0:3], 0 offset:156
	v_cmpx_lt_u32_e32 18, v0
	s_cbranch_execz .LBB114_283
; %bb.282:
	s_clause 0x1
	buffer_load_dword v2, off, s[0:3], 0 offset:144
	buffer_load_dword v3, off, s[0:3], 0 offset:148
	buffer_store_dword v1, off, s[0:3], 0 offset:144
	buffer_store_dword v1, off, s[0:3], 0 offset:148
	s_waitcnt vmcnt(0)
	ds_write_b64 v111, v[2:3]
.LBB114_283:
	s_or_b32 exec_lo, exec_lo, s4
	s_waitcnt lgkmcnt(0)
	s_waitcnt_vscnt null, 0x0
	s_barrier
	buffer_gl0_inv
	s_clause 0x23
	buffer_load_dword v3, off, s[0:3], 0 offset:156
	buffer_load_dword v4, off, s[0:3], 0 offset:164
	;; [unrolled: 1-line block ×36, first 2 shown]
	ds_read2_b64 v[136:139], v1 offset0:71 offset1:72
	ds_read2_b64 v[140:143], v1 offset0:73 offset1:74
	s_clause 0x1
	buffer_load_dword v157, off, s[0:3], 0 offset:284
	buffer_load_dword v158, off, s[0:3], 0 offset:292
	ds_read2_b64 v[144:147], v1 offset0:75 offset1:76
	ds_read2_b64 v[148:151], v1 offset0:77 offset1:78
	buffer_load_dword v159, off, s[0:3], 0 offset:148
	s_mov_b32 s4, exec_lo
	s_waitcnt vmcnt(38) lgkmcnt(3)
	v_mul_f32_e32 v160, v136, v3
	v_mul_f32_e32 v3, v137, v3
	s_waitcnt vmcnt(37)
	v_mul_f32_e32 v161, v138, v4
	v_mul_f32_e32 v4, v139, v4
	s_waitcnt vmcnt(36) lgkmcnt(2)
	v_mul_f32_e32 v162, v140, v5
	s_waitcnt vmcnt(33)
	v_fmac_f32_e32 v160, v137, v8
	v_fma_f32 v8, v136, v8, -v3
	v_mul_f32_e32 v3, v141, v5
	s_waitcnt vmcnt(32)
	v_mul_f32_e32 v5, v143, v7
	v_mul_f32_e32 v163, v142, v7
	v_fmac_f32_e32 v161, v139, v6
	v_fma_f32 v6, v138, v6, -v4
	v_fmac_f32_e32 v162, v141, v2
	v_fma_f32 v7, v140, v2, -v3
	s_waitcnt vmcnt(28)
	v_fma_f32 v140, v142, v119, -v5
	ds_read2_b64 v[2:5], v1 offset0:79 offset1:80
	ds_read2_b64 v[136:139], v1 offset0:81 offset1:82
	s_waitcnt vmcnt(27) lgkmcnt(3)
	v_mul_f32_e32 v141, v144, v118
	v_mul_f32_e32 v118, v145, v118
	v_fmac_f32_e32 v163, v143, v119
	s_waitcnt vmcnt(26)
	v_mul_f32_e32 v142, v146, v117
	v_mul_f32_e32 v117, v147, v117
	s_waitcnt vmcnt(25) lgkmcnt(2)
	v_mul_f32_e32 v143, v148, v115
	v_fmac_f32_e32 v141, v145, v114
	v_fma_f32 v144, v144, v114, -v118
	s_waitcnt vmcnt(24)
	v_mul_f32_e32 v145, v150, v116
	v_mul_f32_e32 v114, v149, v115
	;; [unrolled: 1-line block ×3, first 2 shown]
	v_fmac_f32_e32 v142, v147, v113
	v_fma_f32 v146, v146, v113, -v117
	v_fmac_f32_e32 v143, v149, v112
	s_waitcnt vmcnt(20)
	v_fmac_f32_e32 v145, v151, v127
	v_fma_f32 v147, v148, v112, -v114
	v_fma_f32 v127, v150, v127, -v115
	ds_read2_b64 v[112:115], v1 offset0:83 offset1:84
	ds_read2_b64 v[116:119], v1 offset0:85 offset1:86
	s_waitcnt vmcnt(19) lgkmcnt(3)
	v_mul_f32_e32 v148, v2, v125
	s_waitcnt vmcnt(18)
	v_mul_f32_e32 v149, v4, v126
	v_mul_f32_e32 v125, v3, v125
	;; [unrolled: 1-line block ×3, first 2 shown]
	buffer_load_dword v150, off, s[0:3], 0 offset:308
	v_fmac_f32_e32 v148, v3, v124
	v_fmac_f32_e32 v149, v5, v123
	v_fma_f32 v124, v2, v124, -v125
	v_fma_f32 v123, v4, v123, -v126
	s_clause 0x3
	buffer_load_dword v151, off, s[0:3], 0 offset:328
	buffer_load_dword v164, off, s[0:3], 0 offset:320
	;; [unrolled: 1-line block ×4, first 2 shown]
	s_waitcnt vmcnt(22) lgkmcnt(2)
	v_mul_f32_e32 v126, v136, v122
	v_mul_f32_e32 v2, v137, v122
	s_waitcnt vmcnt(21)
	v_mul_f32_e32 v3, v139, v121
	v_mul_f32_e32 v122, v138, v121
	v_fmac_f32_e32 v126, v137, v120
	v_fma_f32 v120, v136, v120, -v2
	buffer_load_dword v136, off, s[0:3], 0 offset:316
	s_waitcnt vmcnt(18)
	v_fma_f32 v121, v138, v135, -v3
	s_waitcnt vmcnt(17) lgkmcnt(1)
	v_mul_f32_e32 v138, v112, v133
	v_mul_f32_e32 v2, v113, v133
	v_fmac_f32_e32 v122, v139, v135
	s_clause 0x1
	buffer_load_dword v135, off, s[0:3], 0 offset:324
	buffer_load_dword v137, off, s[0:3], 0 offset:332
	s_waitcnt vmcnt(18)
	v_mul_f32_e32 v139, v114, v134
	v_mul_f32_e32 v3, v115, v134
	v_fmac_f32_e32 v138, v113, v131
	v_fma_f32 v131, v112, v131, -v2
	s_waitcnt vmcnt(16) lgkmcnt(0)
	v_mul_f32_e32 v2, v119, v130
	v_fmac_f32_e32 v139, v115, v129
	v_fma_f32 v129, v114, v129, -v3
	v_mul_f32_e32 v168, v118, v130
	v_add_f32_e32 v3, 0, v8
	s_waitcnt vmcnt(11)
	v_fma_f32 v130, v118, v156, -v2
	v_add_f32_e32 v2, 0, v160
	v_mul_f32_e32 v133, v116, v132
	v_mul_f32_e32 v4, v117, v132
	s_clause 0x5
	buffer_load_dword v132, off, s[0:3], 0 offset:340
	buffer_load_dword v134, off, s[0:3], 0 offset:348
	;; [unrolled: 1-line block ×6, first 2 shown]
	v_fmac_f32_e32 v168, v119, v156
	s_clause 0x2
	buffer_load_dword v156, off, s[0:3], 0 offset:388
	buffer_load_dword v171, off, s[0:3], 0 offset:396
	;; [unrolled: 1-line block ×3, first 2 shown]
	v_add_f32_e32 v2, v2, v161
	v_add_f32_e32 v3, v3, v6
	s_clause 0x3
	buffer_load_dword v6, off, s[0:3], 0 offset:360
	buffer_load_dword v160, off, s[0:3], 0 offset:352
	;; [unrolled: 1-line block ×4, first 2 shown]
	v_fmac_f32_e32 v133, v117, v128
	v_fma_f32 v128, v116, v128, -v4
	v_add_f32_e32 v2, v2, v162
	v_add_f32_e32 v3, v3, v7
	v_add_f32_e32 v2, v2, v163
	v_add_f32_e32 v3, v3, v140
	s_clause 0x3
	buffer_load_dword v7, off, s[0:3], 0 offset:392
	buffer_load_dword v140, off, s[0:3], 0 offset:384
	;; [unrolled: 1-line block ×4, first 2 shown]
	v_add_f32_e32 v2, v2, v141
	buffer_load_dword v141, off, s[0:3], 0 offset:400
	v_add_f32_e32 v3, v3, v144
	buffer_load_dword v144, off, s[0:3], 0 offset:144
	v_add_f32_e32 v2, v2, v142
	v_add_f32_e32 v3, v3, v146
	;; [unrolled: 1-line block ×4, first 2 shown]
	ds_read2_b64 v[2:5], v1 offset0:87 offset1:88
	v_add_f32_e32 v112, v112, v145
	v_add_f32_e32 v113, v113, v127
	;; [unrolled: 1-line block ×4, first 2 shown]
	ds_read2_b64 v[112:115], v1 offset0:89 offset1:90
	v_add_f32_e32 v116, v116, v149
	v_add_f32_e32 v117, v117, v123
	;; [unrolled: 1-line block ×4, first 2 shown]
	s_waitcnt vmcnt(29) lgkmcnt(1)
	v_mul_f32_e32 v142, v2, v157
	v_mul_f32_e32 v118, v3, v157
	s_waitcnt vmcnt(28)
	v_mul_f32_e32 v143, v4, v158
	v_mul_f32_e32 v119, v5, v158
	v_add_f32_e32 v122, v116, v122
	v_fmac_f32_e32 v142, v3, v155
	v_fma_f32 v145, v2, v155, -v118
	v_fmac_f32_e32 v143, v5, v154
	v_fma_f32 v146, v4, v154, -v119
	ds_read2_b64 v[2:5], v1 offset0:91 offset1:92
	ds_read2_b64 v[116:119], v1 offset0:93 offset1:94
	v_add_f32_e32 v120, v120, v121
	s_waitcnt lgkmcnt(2)
	v_mul_f32_e32 v147, v112, v153
	v_add_f32_e32 v121, v122, v138
	v_mul_f32_e32 v122, v113, v153
	v_add_f32_e32 v120, v120, v131
	v_fmac_f32_e32 v147, v113, v152
	v_add_f32_e32 v113, v121, v139
	v_fma_f32 v138, v112, v152, -v122
	v_add_f32_e32 v124, v120, v129
	v_add_f32_e32 v128, v124, v128
	s_waitcnt vmcnt(26)
	v_mul_f32_e32 v148, v114, v150
	v_mul_f32_e32 v123, v115, v150
	s_waitcnt vmcnt(22)
	v_fmac_f32_e32 v148, v115, v125
	v_fma_f32 v139, v114, v125, -v123
	v_add_f32_e32 v125, v113, v133
	ds_read2_b64 v[112:115], v1 offset0:95 offset1:96
	ds_read2_b64 v[120:123], v1 offset0:97 offset1:98
	v_add_f32_e32 v131, v125, v168
	s_waitcnt vmcnt(21) lgkmcnt(3)
	v_mul_f32_e32 v133, v2, v136
	v_mul_f32_e32 v129, v3, v136
	v_add_f32_e32 v136, v128, v130
	ds_read2_b64 v[124:127], v1 offset0:99 offset1:100
	v_fmac_f32_e32 v133, v3, v165
	v_fma_f32 v2, v2, v165, -v129
	v_add_f32_e32 v3, v131, v142
	ds_read2_b64 v[128:131], v1 offset0:101 offset1:102
	v_add_f32_e32 v1, v136, v145
	s_waitcnt vmcnt(20)
	v_mul_f32_e32 v136, v4, v135
	v_mul_f32_e32 v135, v5, v135
	v_add_f32_e32 v3, v3, v143
	s_waitcnt vmcnt(19) lgkmcnt(4)
	v_mul_f32_e32 v142, v116, v137
	v_add_f32_e32 v1, v1, v146
	v_mul_f32_e32 v137, v117, v137
	v_fma_f32 v4, v4, v164, -v135
	v_add_f32_e32 v3, v3, v147
	v_fmac_f32_e32 v136, v5, v164
	v_add_f32_e32 v1, v1, v138
	s_waitcnt vmcnt(18)
	v_mul_f32_e32 v143, v118, v132
	v_mul_f32_e32 v132, v119, v132
	v_add_f32_e32 v3, v3, v148
	v_fma_f32 v116, v116, v151, -v137
	v_add_f32_e32 v1, v1, v139
	v_fmac_f32_e32 v142, v117, v151
	s_waitcnt vmcnt(6)
	v_fma_f32 v117, v118, v172, -v132
	s_waitcnt lgkmcnt(3)
	v_mul_f32_e32 v5, v112, v134
	v_fmac_f32_e32 v143, v119, v172
	v_add_f32_e32 v1, v1, v2
	v_add_f32_e32 v2, v3, v133
	v_mul_f32_e32 v135, v114, v166
	v_fmac_f32_e32 v5, v113, v161
	s_waitcnt lgkmcnt(2)
	v_mul_f32_e32 v138, v120, v167
	v_add_f32_e32 v1, v1, v4
	v_add_f32_e32 v2, v2, v136
	v_mul_f32_e32 v4, v113, v134
	v_fmac_f32_e32 v135, v115, v160
	v_mul_f32_e32 v145, v122, v169
	v_add_f32_e32 v1, v1, v116
	v_add_f32_e32 v2, v2, v142
	v_mul_f32_e32 v116, v115, v166
	v_fma_f32 v4, v112, v161, -v4
	v_mul_f32_e32 v112, v121, v167
	v_add_f32_e32 v1, v1, v117
	v_add_f32_e32 v2, v2, v143
	v_fma_f32 v113, v114, v160, -v116
	v_fmac_f32_e32 v138, v121, v6
	s_waitcnt lgkmcnt(1)
	v_mul_f32_e32 v146, v124, v170
	v_add_f32_e32 v1, v1, v4
	v_add_f32_e32 v2, v2, v5
	v_mul_f32_e32 v4, v123, v169
	v_fma_f32 v5, v120, v6, -v112
	v_mul_f32_e32 v6, v125, v170
	v_add_f32_e32 v1, v1, v113
	v_add_f32_e32 v2, v2, v135
	s_waitcnt vmcnt(2)
	v_fma_f32 v4, v122, v163, -v4
	v_fmac_f32_e32 v145, v123, v163
	v_fma_f32 v6, v124, v162, -v6
	v_add_f32_e32 v1, v1, v5
	v_add_f32_e32 v2, v2, v138
	v_mul_f32_e32 v5, v127, v156
	v_mul_f32_e32 v139, v126, v156
	v_fmac_f32_e32 v146, v125, v162
	v_add_f32_e32 v1, v1, v4
	v_add_f32_e32 v2, v2, v145
	s_waitcnt lgkmcnt(0)
	v_mul_f32_e32 v4, v129, v171
	v_fma_f32 v5, v126, v140, -v5
	v_mul_f32_e32 v147, v128, v171
	v_add_f32_e32 v1, v1, v6
	v_fmac_f32_e32 v139, v127, v140
	v_add_f32_e32 v2, v2, v146
	v_mul_f32_e32 v6, v131, v8
	v_fma_f32 v4, v128, v7, -v4
	v_add_f32_e32 v1, v1, v5
	v_mul_f32_e32 v3, v130, v8
	v_fmac_f32_e32 v147, v129, v7
	v_add_f32_e32 v2, v2, v139
	s_waitcnt vmcnt(1)
	v_fma_f32 v5, v130, v141, -v6
	v_add_f32_e32 v1, v1, v4
	v_fmac_f32_e32 v3, v131, v141
	v_add_f32_e32 v2, v2, v147
	v_add_f32_e32 v1, v1, v5
	;; [unrolled: 1-line block ×3, first 2 shown]
	s_waitcnt vmcnt(0)
	v_sub_f32_e32 v1, v144, v1
	v_sub_f32_e32 v2, v159, v2
	buffer_store_dword v1, off, s[0:3], 0 offset:144
	buffer_store_dword v2, off, s[0:3], 0 offset:148
	v_cmpx_lt_u32_e32 17, v0
	s_cbranch_execz .LBB114_285
; %bb.284:
	s_clause 0x1
	buffer_load_dword v1, off, s[0:3], 0 offset:136
	buffer_load_dword v2, off, s[0:3], 0 offset:140
	v_mov_b32_e32 v3, 0
	buffer_store_dword v3, off, s[0:3], 0 offset:136
	buffer_store_dword v3, off, s[0:3], 0 offset:140
	s_waitcnt vmcnt(0)
	ds_write_b64 v111, v[1:2]
.LBB114_285:
	s_or_b32 exec_lo, exec_lo, s4
	s_waitcnt lgkmcnt(0)
	s_waitcnt_vscnt null, 0x0
	s_barrier
	buffer_gl0_inv
	s_clause 0x23
	buffer_load_dword v113, off, s[0:3], 0 offset:148
	buffer_load_dword v115, off, s[0:3], 0 offset:156
	;; [unrolled: 1-line block ×36, first 2 shown]
	v_mov_b32_e32 v112, 0
	ds_read_b128 v[5:8], v112 offset:560
	ds_read_b128 v[1:4], v112 offset:576
	buffer_load_dword v157, off, s[0:3], 0 offset:140
	ds_read_b128 v[149:152], v112 offset:592
	ds_read_b128 v[153:156], v112 offset:608
	s_mov_b32 s4, exec_lo
	s_waitcnt vmcnt(36) lgkmcnt(3)
	v_mul_f32_e32 v158, v5, v113
	s_waitcnt vmcnt(35)
	v_mul_f32_e32 v159, v7, v115
	v_mul_f32_e32 v113, v6, v113
	;; [unrolled: 1-line block ×3, first 2 shown]
	s_waitcnt vmcnt(34) lgkmcnt(2)
	v_mul_f32_e32 v160, v1, v116
	v_mul_f32_e32 v116, v2, v116
	s_waitcnt vmcnt(30)
	v_mul_f32_e32 v161, v3, v117
	v_mul_f32_e32 v117, v4, v117
	v_fmac_f32_e32 v158, v6, v119
	v_fmac_f32_e32 v159, v8, v118
	v_fma_f32 v119, v5, v119, -v113
	v_fma_f32 v118, v7, v118, -v115
	ds_read_b128 v[5:8], v112 offset:624
	v_fmac_f32_e32 v160, v2, v114
	v_fma_f32 v162, v1, v114, -v116
	ds_read_b128 v[113:116], v112 offset:640
	s_waitcnt vmcnt(26)
	v_fmac_f32_e32 v161, v4, v128
	v_fma_f32 v117, v3, v128, -v117
	s_waitcnt vmcnt(25) lgkmcnt(3)
	v_mul_f32_e32 v128, v149, v126
	s_waitcnt vmcnt(24)
	v_mul_f32_e32 v163, v151, v127
	v_mul_f32_e32 v1, v150, v126
	;; [unrolled: 1-line block ×3, first 2 shown]
	s_clause 0x1
	buffer_load_dword v126, off, s[0:3], 0 offset:284
	buffer_load_dword v127, off, s[0:3], 0 offset:292
	v_fmac_f32_e32 v128, v150, v123
	v_fmac_f32_e32 v163, v152, v121
	v_fma_f32 v123, v149, v123, -v1
	v_fma_f32 v121, v151, v121, -v2
	ds_read_b128 v[1:4], v112 offset:656
	s_waitcnt vmcnt(25) lgkmcnt(3)
	v_mul_f32_e32 v149, v153, v124
	v_mul_f32_e32 v124, v154, v124
	s_waitcnt vmcnt(24)
	v_mul_f32_e32 v150, v155, v122
	v_mul_f32_e32 v122, v156, v122
	s_waitcnt vmcnt(23) lgkmcnt(2)
	v_mul_f32_e32 v151, v5, v125
	v_fmac_f32_e32 v149, v154, v120
	v_fma_f32 v120, v153, v120, -v124
	s_waitcnt vmcnt(22)
	v_mul_f32_e32 v124, v7, v129
	v_mul_f32_e32 v125, v6, v125
	;; [unrolled: 1-line block ×3, first 2 shown]
	s_waitcnt vmcnt(18)
	v_fma_f32 v122, v155, v136, -v122
	v_fmac_f32_e32 v151, v6, v134
	v_fmac_f32_e32 v124, v8, v133
	v_fma_f32 v125, v5, v134, -v125
	v_fma_f32 v129, v7, v133, -v129
	s_clause 0x5
	buffer_load_dword v133, off, s[0:3], 0 offset:300
	buffer_load_dword v134, off, s[0:3], 0 offset:308
	;; [unrolled: 1-line block ×6, first 2 shown]
	v_fmac_f32_e32 v150, v156, v136
	s_waitcnt vmcnt(23) lgkmcnt(1)
	v_mul_f32_e32 v136, v113, v135
	v_mul_f32_e32 v135, v114, v135
	s_waitcnt vmcnt(22)
	v_mul_f32_e32 v156, v115, v131
	v_mul_f32_e32 v131, v116, v131
	ds_read_b128 v[5:8], v112 offset:672
	v_fmac_f32_e32 v136, v114, v130
	v_fma_f32 v113, v113, v130, -v135
	s_waitcnt vmcnt(18)
	v_fmac_f32_e32 v156, v116, v147
	v_fma_f32 v114, v115, v147, -v131
	s_waitcnt vmcnt(17) lgkmcnt(1)
	v_mul_f32_e32 v115, v1, v145
	v_mul_f32_e32 v116, v2, v145
	s_clause 0x1
	buffer_load_dword v135, off, s[0:3], 0 offset:316
	buffer_load_dword v145, off, s[0:3], 0 offset:324
	v_add_f32_e32 v119, 0, v119
	s_waitcnt vmcnt(18)
	v_mul_f32_e32 v130, v3, v146
	v_mul_f32_e32 v131, v4, v146
	v_fma_f32 v116, v1, v142, -v116
	v_add_f32_e32 v1, 0, v158
	v_add_f32_e32 v118, v119, v118
	v_fmac_f32_e32 v115, v2, v142
	v_fmac_f32_e32 v130, v4, v141
	v_fma_f32 v131, v3, v141, -v131
	v_add_f32_e32 v158, v1, v159
	s_clause 0x3
	buffer_load_dword v141, off, s[0:3], 0 offset:332
	buffer_load_dword v142, off, s[0:3], 0 offset:340
	;; [unrolled: 1-line block ×4, first 2 shown]
	ds_read_b128 v[1:4], v112 offset:688
	s_waitcnt vmcnt(21) lgkmcnt(1)
	v_mul_f32_e32 v159, v5, v140
	v_mul_f32_e32 v119, v6, v140
	v_add_f32_e32 v140, v158, v160
	s_waitcnt vmcnt(20)
	v_mul_f32_e32 v158, v7, v139
	v_mul_f32_e32 v139, v8, v139
	v_fmac_f32_e32 v159, v6, v137
	v_fma_f32 v137, v5, v137, -v119
	v_add_f32_e32 v5, v140, v161
	v_add_f32_e32 v118, v118, v162
	s_clause 0x3
	buffer_load_dword v140, off, s[0:3], 0 offset:364
	buffer_load_dword v160, off, s[0:3], 0 offset:372
	;; [unrolled: 1-line block ×4, first 2 shown]
	s_waitcnt vmcnt(20)
	v_fmac_f32_e32 v158, v8, v148
	v_fma_f32 v139, v7, v148, -v139
	v_add_f32_e32 v5, v5, v128
	s_clause 0x5
	buffer_load_dword v148, off, s[0:3], 0 offset:396
	buffer_load_dword v128, off, s[0:3], 0 offset:352
	;; [unrolled: 1-line block ×6, first 2 shown]
	v_add_f32_e32 v6, v118, v117
	v_add_f32_e32 v5, v5, v163
	s_waitcnt vmcnt(25) lgkmcnt(0)
	v_mul_f32_e32 v119, v2, v144
	v_add_f32_e32 v6, v6, v123
	v_add_f32_e32 v118, v5, v149
	v_mul_f32_e32 v149, v1, v144
	v_add_f32_e32 v117, v6, v121
	ds_read_b128 v[5:8], v112 offset:704
	v_add_f32_e32 v118, v118, v150
	v_fmac_f32_e32 v149, v2, v143
	v_fma_f32 v121, v1, v143, -v119
	v_add_f32_e32 v117, v117, v120
	v_add_f32_e32 v2, v118, v151
	s_clause 0x5
	buffer_load_dword v143, off, s[0:3], 0 offset:384
	buffer_load_dword v144, off, s[0:3], 0 offset:376
	;; [unrolled: 1-line block ×6, first 2 shown]
	v_add_f32_e32 v1, v117, v122
	v_add_f32_e32 v2, v2, v124
	;; [unrolled: 1-line block ×5, first 2 shown]
	buffer_load_dword v129, off, s[0:3], 0 offset:136
	v_add_f32_e32 v117, v117, v156
	v_add_f32_e32 v113, v1, v113
	;; [unrolled: 1-line block ×6, first 2 shown]
	ds_read_b128 v[113:116], v112 offset:736
	v_add_f32_e32 v123, v123, v159
	v_add_f32_e32 v122, v119, v131
	;; [unrolled: 1-line block ×4, first 2 shown]
	s_waitcnt vmcnt(30)
	v_mul_f32_e32 v136, v3, v126
	v_mul_f32_e32 v2, v4, v126
	s_waitcnt vmcnt(29) lgkmcnt(1)
	v_mul_f32_e32 v118, v6, v127
	v_fmac_f32_e32 v136, v4, v138
	v_fma_f32 v125, v3, v138, -v2
	ds_read_b128 v[1:4], v112 offset:720
	v_mul_f32_e32 v138, v5, v127
	v_fmac_f32_e32 v138, v6, v132
	v_fma_f32 v132, v5, v132, -v118
	s_waitcnt vmcnt(28)
	v_mul_f32_e32 v127, v7, v133
	v_mul_f32_e32 v120, v8, v133
	s_waitcnt vmcnt(23)
	v_fmac_f32_e32 v127, v8, v155
	v_fma_f32 v131, v7, v155, -v120
	ds_read_b128 v[5:8], v112 offset:752
	ds_read_b128 v[117:120], v112 offset:768
	s_waitcnt lgkmcnt(2)
	v_mul_f32_e32 v124, v2, v134
	v_mul_f32_e32 v130, v1, v134
	v_fma_f32 v134, v1, v154, -v124
	v_add_f32_e32 v1, v123, v158
	s_waitcnt vmcnt(22)
	v_mul_f32_e32 v133, v3, v135
	v_mul_f32_e32 v126, v4, v135
	v_add_f32_e32 v135, v122, v121
	v_fmac_f32_e32 v130, v2, v154
	v_add_f32_e32 v139, v1, v149
	v_fmac_f32_e32 v133, v4, v153
	v_fma_f32 v137, v3, v153, -v126
	v_add_f32_e32 v135, v135, v125
	s_waitcnt vmcnt(21)
	v_mul_f32_e32 v149, v113, v145
	v_add_f32_e32 v136, v139, v136
	s_waitcnt vmcnt(20)
	v_mul_f32_e32 v139, v115, v141
	v_mul_f32_e32 v141, v116, v141
	v_add_f32_e32 v132, v135, v132
	v_mul_f32_e32 v135, v114, v145
	v_add_f32_e32 v136, v136, v138
	v_fmac_f32_e32 v149, v114, v152
	ds_read_b128 v[121:124], v112 offset:784
	ds_read_b128 v[1:4], v112 offset:800
	v_add_f32_e32 v131, v132, v131
	v_add_f32_e32 v127, v136, v127
	v_fma_f32 v113, v113, v152, -v135
	s_waitcnt vmcnt(19) lgkmcnt(3)
	v_mul_f32_e32 v138, v5, v142
	s_waitcnt vmcnt(18)
	v_mul_f32_e32 v132, v7, v146
	v_add_f32_e32 v131, v131, v134
	v_add_f32_e32 v127, v127, v130
	s_waitcnt vmcnt(17) lgkmcnt(2)
	v_mul_f32_e32 v145, v117, v147
	s_waitcnt vmcnt(9)
	v_fmac_f32_e32 v138, v6, v165
	s_waitcnt vmcnt(8)
	v_fma_f32 v115, v115, v166, -v141
	v_add_f32_e32 v131, v131, v137
	v_add_f32_e32 v127, v127, v133
	v_mul_f32_e32 v137, v6, v142
	v_fmac_f32_e32 v139, v116, v166
	v_fmac_f32_e32 v132, v8, v164
	v_add_f32_e32 v113, v131, v113
	v_add_f32_e32 v116, v127, v149
	v_mul_f32_e32 v127, v8, v146
	v_fma_f32 v5, v5, v165, -v137
	v_mul_f32_e32 v8, v120, v140
	v_add_f32_e32 v6, v113, v115
	v_add_f32_e32 v113, v116, v139
	v_mul_f32_e32 v115, v118, v147
	v_fma_f32 v7, v7, v164, -v127
	v_mul_f32_e32 v136, v119, v140
	v_add_f32_e32 v5, v6, v5
	v_add_f32_e32 v6, v113, v138
	v_fma_f32 v113, v117, v128, -v115
	v_fmac_f32_e32 v145, v118, v128
	ds_read_b64 v[125:126], v112 offset:816
	v_add_f32_e32 v5, v5, v7
	v_add_f32_e32 v6, v6, v132
	s_waitcnt lgkmcnt(2)
	v_mul_f32_e32 v7, v122, v160
	s_waitcnt vmcnt(3)
	v_fma_f32 v8, v119, v151, -v8
	v_mul_f32_e32 v134, v121, v160
	v_add_f32_e32 v5, v5, v113
	v_fmac_f32_e32 v136, v120, v151
	v_add_f32_e32 v6, v6, v145
	v_mul_f32_e32 v113, v124, v161
	v_fma_f32 v7, v121, v150, -v7
	v_add_f32_e32 v5, v5, v8
	v_mul_f32_e32 v114, v123, v161
	v_fmac_f32_e32 v134, v122, v150
	v_add_f32_e32 v6, v6, v136
	s_waitcnt lgkmcnt(1)
	v_mul_f32_e32 v130, v1, v162
	v_mul_f32_e32 v8, v2, v162
	v_fma_f32 v113, v123, v144, -v113
	v_add_f32_e32 v5, v5, v7
	v_fmac_f32_e32 v114, v124, v144
	v_add_f32_e32 v6, v6, v134
	v_mul_f32_e32 v7, v4, v148
	v_fmac_f32_e32 v130, v2, v143
	v_fma_f32 v1, v1, v143, -v8
	v_add_f32_e32 v2, v5, v113
	v_mul_f32_e32 v135, v3, v148
	v_add_f32_e32 v5, v6, v114
	s_waitcnt lgkmcnt(0)
	v_mul_f32_e32 v6, v126, v167
	s_waitcnt vmcnt(1)
	v_fma_f32 v3, v3, v168, -v7
	v_add_f32_e32 v1, v2, v1
	v_mul_f32_e32 v133, v125, v167
	v_fmac_f32_e32 v135, v4, v168
	v_add_f32_e32 v2, v5, v130
	v_fma_f32 v4, v125, v163, -v6
	v_add_f32_e32 v1, v1, v3
	v_fmac_f32_e32 v133, v126, v163
	v_add_f32_e32 v2, v2, v135
	v_add_f32_e32 v1, v1, v4
	;; [unrolled: 1-line block ×3, first 2 shown]
	s_waitcnt vmcnt(0)
	v_sub_f32_e32 v1, v129, v1
	v_sub_f32_e32 v2, v157, v2
	buffer_store_dword v1, off, s[0:3], 0 offset:136
	buffer_store_dword v2, off, s[0:3], 0 offset:140
	v_cmpx_lt_u32_e32 16, v0
	s_cbranch_execz .LBB114_287
; %bb.286:
	s_clause 0x1
	buffer_load_dword v1, off, s[0:3], 0 offset:128
	buffer_load_dword v2, off, s[0:3], 0 offset:132
	buffer_store_dword v112, off, s[0:3], 0 offset:128
	buffer_store_dword v112, off, s[0:3], 0 offset:132
	s_waitcnt vmcnt(0)
	ds_write_b64 v111, v[1:2]
.LBB114_287:
	s_or_b32 exec_lo, exec_lo, s4
	s_waitcnt lgkmcnt(0)
	s_waitcnt_vscnt null, 0x0
	s_barrier
	buffer_gl0_inv
	s_clause 0x23
	buffer_load_dword v147, off, s[0:3], 0 offset:140
	buffer_load_dword v148, off, s[0:3], 0 offset:148
	;; [unrolled: 1-line block ×36, first 2 shown]
	ds_read2_b64 v[5:8], v112 offset0:69 offset1:70
	ds_read2_b64 v[1:4], v112 offset0:71 offset1:72
	;; [unrolled: 1-line block ×3, first 2 shown]
	s_clause 0x1
	buffer_load_dword v157, off, s[0:3], 0 offset:276
	buffer_load_dword v158, off, s[0:3], 0 offset:284
	ds_read2_b64 v[153:156], v112 offset0:75 offset1:76
	buffer_load_dword v161, off, s[0:3], 0 offset:132
	s_mov_b32 s4, exec_lo
	s_waitcnt vmcnt(38) lgkmcnt(3)
	v_mul_f32_e32 v159, v5, v147
	s_waitcnt vmcnt(37)
	v_mul_f32_e32 v160, v7, v148
	v_mul_f32_e32 v147, v6, v147
	;; [unrolled: 1-line block ×3, first 2 shown]
	s_waitcnt vmcnt(34)
	v_fmac_f32_e32 v159, v6, v119
	v_fmac_f32_e32 v160, v8, v118
	v_fma_f32 v119, v5, v119, -v147
	v_fma_f32 v118, v7, v118, -v148
	ds_read2_b64 v[5:8], v112 offset0:77 offset1:78
	s_waitcnt vmcnt(33) lgkmcnt(3)
	v_mul_f32_e32 v147, v1, v116
	v_mul_f32_e32 v116, v2, v116
	s_waitcnt vmcnt(32)
	v_mul_f32_e32 v148, v3, v115
	v_mul_f32_e32 v115, v4, v115
	s_waitcnt vmcnt(31) lgkmcnt(2)
	v_mul_f32_e32 v162, v149, v114
	v_fmac_f32_e32 v147, v2, v113
	v_fma_f32 v163, v1, v113, -v116
	s_waitcnt vmcnt(30)
	v_mul_f32_e32 v164, v151, v117
	v_mul_f32_e32 v113, v150, v114
	;; [unrolled: 1-line block ×3, first 2 shown]
	s_waitcnt vmcnt(26)
	v_fmac_f32_e32 v148, v4, v125
	v_fma_f32 v117, v3, v125, -v115
	ds_read2_b64 v[1:4], v112 offset0:79 offset1:80
	v_fmac_f32_e32 v162, v150, v124
	v_fma_f32 v124, v149, v124, -v113
	s_waitcnt vmcnt(25) lgkmcnt(2)
	v_mul_f32_e32 v125, v153, v121
	s_waitcnt vmcnt(24)
	v_mul_f32_e32 v149, v155, v122
	v_mul_f32_e32 v121, v154, v121
	;; [unrolled: 1-line block ×3, first 2 shown]
	v_fmac_f32_e32 v164, v152, v123
	v_fma_f32 v123, v151, v123, -v114
	ds_read2_b64 v[113:116], v112 offset0:81 offset1:82
	v_fmac_f32_e32 v125, v154, v120
	s_waitcnt vmcnt(19)
	v_fmac_f32_e32 v149, v156, v136
	v_fma_f32 v120, v153, v120, -v121
	v_fma_f32 v121, v155, v136, -v122
	s_clause 0x4
	buffer_load_dword v122, off, s[0:3], 0 offset:292
	buffer_load_dword v136, off, s[0:3], 0 offset:312
	;; [unrolled: 1-line block ×5, first 2 shown]
	s_waitcnt lgkmcnt(2)
	v_mul_f32_e32 v150, v5, v126
	v_mul_f32_e32 v126, v6, v126
	s_waitcnt vmcnt(23)
	v_mul_f32_e32 v154, v7, v132
	v_mul_f32_e32 v132, v8, v132
	v_fmac_f32_e32 v150, v6, v131
	v_fma_f32 v5, v5, v131, -v126
	s_waitcnt vmcnt(22) lgkmcnt(1)
	v_mul_f32_e32 v126, v1, v129
	v_fmac_f32_e32 v154, v8, v128
	v_fma_f32 v128, v7, v128, -v132
	s_waitcnt vmcnt(21)
	v_mul_f32_e32 v131, v3, v130
	v_mul_f32_e32 v6, v2, v129
	;; [unrolled: 1-line block ×3, first 2 shown]
	s_clause 0x2
	buffer_load_dword v129, off, s[0:3], 0 offset:300
	buffer_load_dword v130, off, s[0:3], 0 offset:308
	;; [unrolled: 1-line block ×3, first 2 shown]
	v_fmac_f32_e32 v126, v2, v127
	s_waitcnt vmcnt(20)
	v_fmac_f32_e32 v131, v4, v145
	v_fma_f32 v127, v1, v127, -v6
	v_fma_f32 v145, v3, v145, -v7
	ds_read2_b64 v[1:4], v112 offset0:83 offset1:84
	v_add_f32_e32 v6, 0, v159
	v_add_f32_e32 v7, 0, v119
	s_waitcnt vmcnt(19) lgkmcnt(1)
	v_mul_f32_e32 v155, v113, v142
	s_waitcnt vmcnt(18)
	v_mul_f32_e32 v156, v115, v143
	v_mul_f32_e32 v8, v114, v142
	v_add_f32_e32 v6, v6, v160
	v_mul_f32_e32 v119, v116, v143
	v_add_f32_e32 v7, v7, v118
	v_fmac_f32_e32 v155, v114, v140
	v_fmac_f32_e32 v156, v116, v139
	v_add_f32_e32 v6, v6, v147
	v_fma_f32 v113, v113, v140, -v8
	v_fma_f32 v118, v115, v139, -v119
	v_add_f32_e32 v7, v7, v163
	s_clause 0x7
	buffer_load_dword v139, off, s[0:3], 0 offset:324
	buffer_load_dword v140, off, s[0:3], 0 offset:332
	;; [unrolled: 1-line block ×8, first 2 shown]
	v_add_f32_e32 v6, v6, v148
	v_add_f32_e32 v7, v7, v117
	s_waitcnt vmcnt(25) lgkmcnt(0)
	v_mul_f32_e32 v8, v2, v137
	v_mul_f32_e32 v119, v1, v137
	s_clause 0x3
	buffer_load_dword v137, off, s[0:3], 0 offset:356
	buffer_load_dword v148, off, s[0:3], 0 offset:364
	;; [unrolled: 1-line block ×4, first 2 shown]
	v_fma_f32 v117, v1, v134, -v8
	v_add_f32_e32 v1, v6, v162
	v_fmac_f32_e32 v119, v2, v134
	v_add_f32_e32 v6, v7, v124
	s_waitcnt vmcnt(28)
	v_mul_f32_e32 v124, v3, v135
	v_mul_f32_e32 v2, v4, v135
	v_add_f32_e32 v7, v1, v164
	s_clause 0x2
	buffer_load_dword v134, off, s[0:3], 0 offset:388
	buffer_load_dword v162, off, s[0:3], 0 offset:396
	;; [unrolled: 1-line block ×3, first 2 shown]
	s_waitcnt vmcnt(27)
	v_fmac_f32_e32 v124, v4, v146
	v_fma_f32 v146, v3, v146, -v2
	ds_read2_b64 v[1:4], v112 offset0:85 offset1:86
	v_add_f32_e32 v7, v7, v125
	v_add_f32_e32 v6, v6, v123
	;; [unrolled: 1-line block ×3, first 2 shown]
	s_clause 0x3
	buffer_load_dword v149, off, s[0:3], 0 offset:376
	buffer_load_dword v164, off, s[0:3], 0 offset:368
	;; [unrolled: 1-line block ×4, first 2 shown]
	v_add_f32_e32 v6, v6, v120
	v_add_f32_e32 v114, v7, v150
	;; [unrolled: 1-line block ×5, first 2 shown]
	ds_read2_b64 v[5:8], v112 offset0:87 offset1:88
	s_waitcnt vmcnt(30) lgkmcnt(1)
	v_mul_f32_e32 v121, v1, v144
	v_mul_f32_e32 v116, v2, v144
	s_waitcnt vmcnt(29)
	v_mul_f32_e32 v125, v3, v157
	v_fmac_f32_e32 v121, v2, v141
	v_fma_f32 v123, v1, v141, -v116
	s_clause 0x3
	buffer_load_dword v141, off, s[0:3], 0 offset:400
	buffer_load_dword v144, off, s[0:3], 0 offset:392
	buffer_load_dword v150, off, s[0:3], 0 offset:384
	buffer_load_dword v154, off, s[0:3], 0 offset:128
	v_add_f32_e32 v1, v115, v128
	v_add_f32_e32 v2, v114, v126
	v_mul_f32_e32 v114, v4, v157
	v_fmac_f32_e32 v125, v4, v138
	v_add_f32_e32 v1, v1, v127
	v_add_f32_e32 v2, v2, v131
	v_fma_f32 v126, v3, v138, -v114
	v_add_f32_e32 v115, v1, v145
	v_add_f32_e32 v120, v2, v155
	ds_read2_b64 v[1:4], v112 offset0:89 offset1:90
	s_waitcnt vmcnt(32) lgkmcnt(1)
	v_mul_f32_e32 v128, v5, v158
	v_mul_f32_e32 v131, v6, v158
	v_add_f32_e32 v127, v115, v113
	ds_read2_b64 v[113:116], v112 offset0:91 offset1:92
	v_add_f32_e32 v120, v120, v156
	v_fmac_f32_e32 v128, v6, v133
	v_fma_f32 v131, v5, v133, -v131
	v_add_f32_e32 v118, v127, v118
	v_add_f32_e32 v127, v120, v119
	;; [unrolled: 1-line block ×5, first 2 shown]
	s_waitcnt vmcnt(30)
	v_mul_f32_e32 v138, v7, v122
	v_mul_f32_e32 v122, v8, v122
	s_waitcnt vmcnt(26)
	v_fmac_f32_e32 v138, v8, v153
	v_fma_f32 v133, v7, v153, -v122
	v_add_f32_e32 v122, v118, v117
	ds_read2_b64 v[5:8], v112 offset0:93 offset1:94
	ds_read2_b64 v[117:120], v112 offset0:95 offset1:96
	v_add_f32_e32 v122, v122, v146
	s_waitcnt vmcnt(25) lgkmcnt(3)
	v_mul_f32_e32 v145, v1, v129
	v_mul_f32_e32 v127, v2, v129
	s_waitcnt vmcnt(24)
	v_mul_f32_e32 v146, v3, v130
	v_mul_f32_e32 v129, v4, v130
	s_waitcnt vmcnt(23) lgkmcnt(2)
	v_mul_f32_e32 v130, v113, v132
	v_fmac_f32_e32 v145, v2, v152
	v_fma_f32 v152, v1, v152, -v127
	v_add_f32_e32 v127, v122, v123
	v_fmac_f32_e32 v146, v4, v151
	v_fma_f32 v129, v3, v151, -v129
	v_mul_f32_e32 v132, v114, v132
	ds_read2_b64 v[1:4], v112 offset0:97 offset1:98
	ds_read2_b64 v[121:124], v112 offset0:99 offset1:100
	v_add_f32_e32 v151, v127, v126
	v_fmac_f32_e32 v130, v114, v136
	v_add_f32_e32 v114, v125, v128
	ds_read2_b64 v[125:128], v112 offset0:101 offset1:102
	v_fma_f32 v113, v113, v136, -v132
	v_add_f32_e32 v112, v151, v131
	s_waitcnt vmcnt(22)
	v_mul_f32_e32 v132, v116, v139
	v_add_f32_e32 v114, v114, v138
	v_mul_f32_e32 v131, v115, v139
	s_waitcnt vmcnt(21) lgkmcnt(4)
	v_mul_f32_e32 v136, v5, v140
	v_add_f32_e32 v112, v112, v133
	v_mul_f32_e32 v138, v6, v140
	v_add_f32_e32 v114, v114, v145
	s_waitcnt vmcnt(15)
	v_fma_f32 v115, v115, v163, -v132
	v_fmac_f32_e32 v131, v116, v163
	v_add_f32_e32 v112, v112, v152
	v_fmac_f32_e32 v136, v6, v160
	v_add_f32_e32 v114, v114, v146
	v_fma_f32 v5, v5, v160, -v138
	v_mul_f32_e32 v133, v7, v142
	v_add_f32_e32 v112, v112, v129
	v_mul_f32_e32 v129, v8, v142
	s_waitcnt lgkmcnt(3)
	v_mul_f32_e32 v116, v117, v143
	s_waitcnt vmcnt(14)
	v_mul_f32_e32 v132, v119, v137
	v_fmac_f32_e32 v133, v8, v159
	v_add_f32_e32 v112, v112, v113
	v_add_f32_e32 v113, v114, v130
	v_fma_f32 v7, v7, v159, -v129
	v_mul_f32_e32 v8, v120, v137
	v_fmac_f32_e32 v116, v118, v147
	v_add_f32_e32 v6, v112, v115
	v_add_f32_e32 v112, v113, v131
	v_mul_f32_e32 v113, v118, v143
	s_waitcnt vmcnt(13) lgkmcnt(2)
	v_mul_f32_e32 v139, v1, v148
	s_waitcnt vmcnt(12)
	v_mul_f32_e32 v140, v3, v165
	v_add_f32_e32 v5, v6, v5
	v_add_f32_e32 v6, v112, v136
	v_fma_f32 v112, v117, v147, -v113
	s_waitcnt vmcnt(4)
	v_fma_f32 v8, v119, v168, -v8
	v_fmac_f32_e32 v132, v120, v168
	v_add_f32_e32 v5, v5, v7
	v_add_f32_e32 v6, v6, v133
	v_mul_f32_e32 v7, v2, v148
	v_fmac_f32_e32 v139, v2, v167
	s_waitcnt lgkmcnt(1)
	v_mul_f32_e32 v145, v121, v166
	v_add_f32_e32 v5, v5, v112
	v_add_f32_e32 v6, v6, v116
	v_mul_f32_e32 v112, v4, v165
	v_fma_f32 v1, v1, v167, -v7
	v_fmac_f32_e32 v140, v4, v164
	v_add_f32_e32 v2, v5, v8
	v_add_f32_e32 v5, v6, v132
	v_mul_f32_e32 v6, v122, v166
	v_fma_f32 v3, v3, v164, -v112
	v_mul_f32_e32 v4, v124, v134
	v_add_f32_e32 v1, v2, v1
	v_add_f32_e32 v2, v5, v139
	v_fma_f32 v5, v121, v149, -v6
	v_mul_f32_e32 v142, v123, v134
	v_fmac_f32_e32 v145, v122, v149
	v_add_f32_e32 v1, v1, v3
	v_add_f32_e32 v2, v2, v140
	s_waitcnt lgkmcnt(0)
	v_mul_f32_e32 v3, v126, v162
	s_waitcnt vmcnt(1)
	v_fma_f32 v4, v123, v150, -v4
	v_mul_f32_e32 v146, v125, v162
	v_add_f32_e32 v1, v1, v5
	v_fmac_f32_e32 v142, v124, v150
	v_add_f32_e32 v2, v2, v145
	v_mul_f32_e32 v5, v128, v135
	v_fma_f32 v3, v125, v144, -v3
	v_add_f32_e32 v1, v1, v4
	v_mul_f32_e32 v114, v127, v135
	v_fmac_f32_e32 v146, v126, v144
	v_add_f32_e32 v2, v2, v142
	v_fma_f32 v4, v127, v141, -v5
	v_add_f32_e32 v1, v1, v3
	v_fmac_f32_e32 v114, v128, v141
	v_add_f32_e32 v2, v2, v146
	v_add_f32_e32 v1, v1, v4
	;; [unrolled: 1-line block ×3, first 2 shown]
	s_waitcnt vmcnt(0)
	v_sub_f32_e32 v1, v154, v1
	v_sub_f32_e32 v2, v161, v2
	buffer_store_dword v1, off, s[0:3], 0 offset:128
	buffer_store_dword v2, off, s[0:3], 0 offset:132
	v_cmpx_lt_u32_e32 15, v0
	s_cbranch_execz .LBB114_289
; %bb.288:
	s_clause 0x1
	buffer_load_dword v1, off, s[0:3], 0 offset:120
	buffer_load_dword v2, off, s[0:3], 0 offset:124
	v_mov_b32_e32 v3, 0
	buffer_store_dword v3, off, s[0:3], 0 offset:120
	buffer_store_dword v3, off, s[0:3], 0 offset:124
	s_waitcnt vmcnt(0)
	ds_write_b64 v111, v[1:2]
.LBB114_289:
	s_or_b32 exec_lo, exec_lo, s4
	s_waitcnt lgkmcnt(0)
	s_waitcnt_vscnt null, 0x0
	s_barrier
	buffer_gl0_inv
	s_clause 0x2a
	buffer_load_dword v7, off, s[0:3], 0 offset:132
	buffer_load_dword v8, off, s[0:3], 0 offset:140
	;; [unrolled: 1-line block ×43, first 2 shown]
	v_mov_b32_e32 v1, 0
	ds_read_b128 v[144:147], v1 offset:544
	ds_read_b128 v[148:151], v1 offset:560
	;; [unrolled: 1-line block ×3, first 2 shown]
	buffer_load_dword v162, off, s[0:3], 0 offset:124
	s_mov_b32 s4, exec_lo
	s_waitcnt vmcnt(43) lgkmcnt(2)
	v_mul_f32_e32 v160, v144, v7
	s_waitcnt vmcnt(42)
	v_mul_f32_e32 v161, v146, v8
	v_mul_f32_e32 v7, v145, v7
	;; [unrolled: 1-line block ×3, first 2 shown]
	s_waitcnt vmcnt(39)
	v_fmac_f32_e32 v160, v145, v6
	v_fmac_f32_e32 v161, v147, v5
	v_fma_f32 v163, v144, v6, -v7
	v_fma_f32 v164, v146, v5, -v8
	ds_read_b128 v[5:8], v1 offset:592
	ds_read_b128 v[144:147], v1 offset:608
	s_waitcnt vmcnt(38) lgkmcnt(3)
	v_mul_f32_e32 v165, v148, v3
	v_mul_f32_e32 v3, v149, v3
	s_waitcnt vmcnt(37)
	v_mul_f32_e32 v166, v150, v4
	v_mul_f32_e32 v4, v151, v4
	s_waitcnt vmcnt(32) lgkmcnt(2)
	v_mul_f32_e32 v168, v152, v119
	v_fmac_f32_e32 v165, v149, v2
	v_fma_f32 v167, v148, v2, -v3
	v_mul_f32_e32 v2, v153, v119
	s_waitcnt vmcnt(31)
	v_mul_f32_e32 v169, v154, v118
	v_mul_f32_e32 v3, v155, v118
	v_fmac_f32_e32 v166, v151, v120
	v_fma_f32 v120, v150, v120, -v4
	v_fmac_f32_e32 v168, v153, v115
	v_fma_f32 v152, v152, v115, -v2
	v_fmac_f32_e32 v169, v155, v113
	v_fma_f32 v154, v154, v113, -v3
	ds_read_b128 v[148:151], v1 offset:624
	s_waitcnt vmcnt(30) lgkmcnt(2)
	v_mul_f32_e32 v153, v5, v116
	v_mul_f32_e32 v2, v6, v116
	s_waitcnt vmcnt(29)
	v_mul_f32_e32 v155, v7, v114
	v_mul_f32_e32 v3, v8, v114
	s_waitcnt vmcnt(28) lgkmcnt(1)
	v_mul_f32_e32 v170, v144, v117
	v_fmac_f32_e32 v153, v6, v112
	v_fma_f32 v6, v5, v112, -v2
	s_waitcnt vmcnt(24)
	v_fmac_f32_e32 v155, v8, v127
	v_fma_f32 v7, v7, v127, -v3
	s_waitcnt vmcnt(23)
	v_mul_f32_e32 v8, v146, v126
	v_mul_f32_e32 v112, v145, v117
	;; [unrolled: 1-line block ×3, first 2 shown]
	ds_read_b128 v[2:5], v1 offset:640
	v_fmac_f32_e32 v170, v145, v125
	v_fmac_f32_e32 v8, v147, v122
	v_fma_f32 v125, v144, v125, -v112
	v_fma_f32 v122, v146, v122, -v113
	ds_read_b128 v[112:115], v1 offset:656
	s_waitcnt vmcnt(22) lgkmcnt(2)
	v_mul_f32_e32 v126, v148, v124
	v_mul_f32_e32 v116, v149, v124
	s_waitcnt vmcnt(21)
	v_mul_f32_e32 v124, v150, v123
	v_mul_f32_e32 v117, v151, v123
	buffer_load_dword v123, off, s[0:3], 0 offset:292
	v_fmac_f32_e32 v126, v149, v121
	v_fma_f32 v121, v148, v121, -v116
	s_waitcnt vmcnt(18)
	v_fmac_f32_e32 v124, v151, v135
	v_fma_f32 v127, v150, v135, -v117
	s_waitcnt vmcnt(17) lgkmcnt(1)
	v_mul_f32_e32 v135, v2, v133
	s_waitcnt vmcnt(16)
	v_mul_f32_e32 v144, v4, v134
	v_mul_f32_e32 v116, v3, v133
	v_mul_f32_e32 v117, v5, v134
	v_fmac_f32_e32 v135, v3, v130
	v_fmac_f32_e32 v144, v5, v129
	v_fma_f32 v130, v2, v130, -v116
	v_fma_f32 v129, v4, v129, -v117
	ds_read_b128 v[2:5], v1 offset:672
	s_waitcnt vmcnt(15) lgkmcnt(1)
	v_mul_f32_e32 v133, v112, v132
	v_mul_f32_e32 v118, v113, v132
	s_waitcnt vmcnt(14)
	v_mul_f32_e32 v132, v114, v131
	v_mul_f32_e32 v131, v115, v131
	v_fmac_f32_e32 v133, v113, v128
	v_fma_f32 v128, v112, v128, -v118
	ds_read_b128 v[116:119], v1 offset:688
	s_waitcnt vmcnt(10)
	v_fmac_f32_e32 v132, v115, v143
	v_fma_f32 v131, v114, v143, -v131
	s_clause 0x1
	buffer_load_dword v134, off, s[0:3], 0 offset:300
	buffer_load_dword v143, off, s[0:3], 0 offset:308
	s_waitcnt vmcnt(11) lgkmcnt(1)
	v_mul_f32_e32 v145, v2, v142
	v_mul_f32_e32 v112, v3, v142
	s_waitcnt vmcnt(10)
	v_mul_f32_e32 v146, v4, v141
	v_mul_f32_e32 v113, v5, v141
	buffer_load_dword v142, off, s[0:3], 0 offset:316
	v_fmac_f32_e32 v145, v3, v139
	v_fma_f32 v139, v2, v139, -v112
	v_fmac_f32_e32 v146, v5, v137
	s_waitcnt vmcnt(10) lgkmcnt(0)
	v_mul_f32_e32 v141, v116, v140
	v_mul_f32_e32 v2, v117, v140
	s_waitcnt vmcnt(9)
	v_mul_f32_e32 v3, v119, v138
	s_clause 0x3
	buffer_load_dword v140, off, s[0:3], 0 offset:336
	buffer_load_dword v147, off, s[0:3], 0 offset:328
	;; [unrolled: 1-line block ×4, first 2 shown]
	v_mul_f32_e32 v150, v118, v138
	v_fmac_f32_e32 v141, v117, v136
	v_fma_f32 v136, v116, v136, -v2
	v_add_f32_e32 v2, 0, v160
	s_clause 0x1
	buffer_load_dword v138, off, s[0:3], 0 offset:324
	buffer_load_dword v160, off, s[0:3], 0 offset:340
	s_waitcnt vmcnt(11)
	v_fma_f32 v151, v118, v159, -v3
	v_add_f32_e32 v3, 0, v163
	v_add_f32_e32 v2, v2, v161
	v_fmac_f32_e32 v150, v119, v159
	s_clause 0x4
	buffer_load_dword v159, off, s[0:3], 0 offset:332
	buffer_load_dword v161, off, s[0:3], 0 offset:348
	;; [unrolled: 1-line block ×5, first 2 shown]
	v_add_f32_e32 v3, v3, v164
	v_add_f32_e32 v2, v2, v165
	s_clause 0x1
	buffer_load_dword v164, off, s[0:3], 0 offset:380
	buffer_load_dword v165, off, s[0:3], 0 offset:388
	v_fma_f32 v137, v4, v137, -v113
	v_add_f32_e32 v3, v3, v167
	v_add_f32_e32 v2, v2, v166
	s_clause 0x1
	buffer_load_dword v166, off, s[0:3], 0 offset:396
	buffer_load_dword v167, off, s[0:3], 0 offset:404
	v_add_f32_e32 v3, v3, v120
	v_add_f32_e32 v2, v2, v168
	;; [unrolled: 1-line block ×4, first 2 shown]
	s_clause 0x3
	buffer_load_dword v152, off, s[0:3], 0 offset:368
	buffer_load_dword v168, off, s[0:3], 0 offset:360
	;; [unrolled: 1-line block ×4, first 2 shown]
	v_add_f32_e32 v3, v3, v154
	v_add_f32_e32 v2, v2, v153
	;; [unrolled: 1-line block ×4, first 2 shown]
	s_clause 0x4
	buffer_load_dword v153, off, s[0:3], 0 offset:400
	buffer_load_dword v154, off, s[0:3], 0 offset:392
	;; [unrolled: 1-line block ×5, first 2 shown]
	ds_read_b128 v[112:115], v1 offset:720
	v_add_f32_e32 v3, v3, v7
	v_add_f32_e32 v2, v2, v170
	;; [unrolled: 1-line block ×5, first 2 shown]
	ds_read_b128 v[2:5], v1 offset:704
	v_add_f32_e32 v6, v6, v126
	v_add_f32_e32 v7, v7, v121
	v_add_f32_e32 v6, v6, v124
	v_add_f32_e32 v7, v7, v127
	v_add_f32_e32 v6, v6, v135
	v_add_f32_e32 v7, v7, v130
	v_add_f32_e32 v6, v6, v144
	v_add_f32_e32 v7, v7, v129
	v_add_f32_e32 v6, v6, v133
	v_add_f32_e32 v6, v6, v132
	v_add_f32_e32 v6, v6, v145
	v_add_f32_e32 v6, v6, v146
	v_add_f32_e32 v135, v6, v141
	v_add_f32_e32 v135, v135, v150
	s_waitcnt vmcnt(27) lgkmcnt(0)
	v_mul_f32_e32 v8, v2, v123
	v_mul_f32_e32 v116, v3, v123
	v_fmac_f32_e32 v8, v3, v158
	v_add_f32_e32 v3, v7, v128
	v_fma_f32 v128, v2, v158, -v116
	v_add_f32_e32 v8, v135, v8
	v_add_f32_e32 v7, v3, v131
	;; [unrolled: 1-line block ×5, first 2 shown]
	s_waitcnt vmcnt(26)
	v_mul_f32_e32 v129, v4, v134
	v_mul_f32_e32 v117, v5, v134
	v_add_f32_e32 v136, v7, v151
	s_waitcnt vmcnt(25)
	v_mul_f32_e32 v124, v113, v143
	v_mul_f32_e32 v131, v112, v143
	v_fmac_f32_e32 v129, v5, v157
	v_fma_f32 v130, v4, v157, -v117
	ds_read_b128 v[2:5], v1 offset:736
	ds_read_b128 v[116:119], v1 offset:752
	v_add_f32_e32 v128, v136, v128
	v_fma_f32 v134, v112, v156, -v124
	v_fmac_f32_e32 v131, v113, v156
	v_add_f32_e32 v8, v8, v129
	ds_read_b128 v[120:123], v1 offset:768
	ds_read_b128 v[124:127], v1 offset:784
	s_waitcnt vmcnt(24)
	v_mul_f32_e32 v133, v115, v142
	v_add_f32_e32 v128, v128, v130
	v_mul_f32_e32 v132, v114, v142
	v_add_f32_e32 v8, v8, v131
	v_add_f32_e32 v128, v128, v134
	s_waitcnt vmcnt(20)
	v_fma_f32 v133, v114, v149, -v133
	v_fmac_f32_e32 v132, v115, v149
	ds_read_b128 v[112:115], v1 offset:800
	ds_read_b64 v[6:7], v1 offset:816
	s_waitcnt vmcnt(19) lgkmcnt(5)
	v_mul_f32_e32 v136, v3, v138
	v_mul_f32_e32 v137, v2, v138
	v_add_f32_e32 v128, v128, v133
	v_add_f32_e32 v8, v8, v132
	s_waitcnt vmcnt(18) lgkmcnt(4)
	v_mul_f32_e32 v135, v116, v160
	v_fma_f32 v2, v2, v148, -v136
	s_waitcnt vmcnt(17)
	v_mul_f32_e32 v138, v5, v159
	v_mul_f32_e32 v139, v4, v159
	v_fmac_f32_e32 v137, v3, v148
	v_mul_f32_e32 v136, v117, v160
	v_add_f32_e32 v2, v128, v2
	v_fma_f32 v4, v4, v147, -v138
	v_fmac_f32_e32 v139, v5, v147
	v_add_f32_e32 v5, v8, v137
	s_waitcnt vmcnt(16)
	v_mul_f32_e32 v8, v119, v161
	v_fma_f32 v116, v116, v140, -v136
	v_add_f32_e32 v2, v2, v4
	v_mul_f32_e32 v130, v118, v161
	v_fmac_f32_e32 v135, v117, v140
	v_add_f32_e32 v4, v5, v139
	s_waitcnt vmcnt(15) lgkmcnt(3)
	v_mul_f32_e32 v5, v121, v163
	v_add_f32_e32 v2, v2, v116
	v_mul_f32_e32 v141, v120, v163
	s_waitcnt vmcnt(14)
	v_mul_f32_e32 v116, v123, v171
	v_add_f32_e32 v4, v4, v135
	s_waitcnt vmcnt(5)
	v_fma_f32 v8, v118, v173, -v8
	v_fmac_f32_e32 v130, v119, v173
	v_fma_f32 v5, v120, v169, -v5
	v_mul_f32_e32 v129, v122, v171
	v_fmac_f32_e32 v141, v121, v169
	v_add_f32_e32 v2, v2, v8
	v_add_f32_e32 v4, v4, v130
	s_waitcnt lgkmcnt(2)
	v_mul_f32_e32 v8, v125, v172
	v_fma_f32 v116, v122, v168, -v116
	v_mul_f32_e32 v134, v124, v172
	v_add_f32_e32 v2, v2, v5
	v_fmac_f32_e32 v129, v123, v168
	v_add_f32_e32 v4, v4, v141
	v_mul_f32_e32 v5, v127, v164
	v_fma_f32 v8, v124, v152, -v8
	v_add_f32_e32 v2, v2, v116
	v_mul_f32_e32 v3, v126, v164
	v_fmac_f32_e32 v134, v125, v152
	v_add_f32_e32 v4, v4, v129
	s_waitcnt lgkmcnt(1)
	v_mul_f32_e32 v116, v113, v165
	s_waitcnt vmcnt(1)
	v_fma_f32 v5, v126, v174, -v5
	v_add_f32_e32 v2, v2, v8
	v_mul_f32_e32 v131, v112, v165
	v_fmac_f32_e32 v3, v127, v174
	v_add_f32_e32 v4, v4, v134
	v_mul_f32_e32 v8, v115, v166
	v_fma_f32 v112, v112, v155, -v116
	v_add_f32_e32 v2, v2, v5
	v_mul_f32_e32 v133, v114, v166
	v_fmac_f32_e32 v131, v113, v155
	v_add_f32_e32 v3, v4, v3
	s_waitcnt lgkmcnt(0)
	v_mul_f32_e32 v4, v7, v167
	v_fma_f32 v5, v114, v154, -v8
	v_add_f32_e32 v2, v2, v112
	v_mul_f32_e32 v132, v6, v167
	v_fmac_f32_e32 v133, v115, v154
	v_add_f32_e32 v3, v3, v131
	v_fma_f32 v4, v6, v153, -v4
	v_add_f32_e32 v2, v2, v5
	v_fmac_f32_e32 v132, v7, v153
	v_add_f32_e32 v3, v3, v133
	v_add_f32_e32 v2, v2, v4
	;; [unrolled: 1-line block ×3, first 2 shown]
	s_waitcnt vmcnt(0)
	v_sub_f32_e32 v2, v175, v2
	v_sub_f32_e32 v3, v162, v3
	buffer_store_dword v2, off, s[0:3], 0 offset:120
	buffer_store_dword v3, off, s[0:3], 0 offset:124
	v_cmpx_lt_u32_e32 14, v0
	s_cbranch_execz .LBB114_291
; %bb.290:
	s_clause 0x1
	buffer_load_dword v2, off, s[0:3], 0 offset:112
	buffer_load_dword v3, off, s[0:3], 0 offset:116
	buffer_store_dword v1, off, s[0:3], 0 offset:112
	buffer_store_dword v1, off, s[0:3], 0 offset:116
	s_waitcnt vmcnt(0)
	ds_write_b64 v111, v[2:3]
.LBB114_291:
	s_or_b32 exec_lo, exec_lo, s4
	s_waitcnt lgkmcnt(0)
	s_waitcnt_vscnt null, 0x0
	s_barrier
	buffer_gl0_inv
	s_clause 0x2a
	buffer_load_dword v7, off, s[0:3], 0 offset:124
	buffer_load_dword v8, off, s[0:3], 0 offset:132
	;; [unrolled: 1-line block ×43, first 2 shown]
	ds_read2_b64 v[144:147], v1 offset0:67 offset1:68
	ds_read2_b64 v[148:151], v1 offset0:69 offset1:70
	;; [unrolled: 1-line block ×3, first 2 shown]
	buffer_load_dword v162, off, s[0:3], 0 offset:116
	s_mov_b32 s4, exec_lo
	s_waitcnt vmcnt(43) lgkmcnt(2)
	v_mul_f32_e32 v160, v144, v7
	s_waitcnt vmcnt(42)
	v_mul_f32_e32 v161, v146, v8
	v_mul_f32_e32 v7, v145, v7
	;; [unrolled: 1-line block ×3, first 2 shown]
	s_waitcnt vmcnt(39)
	v_fmac_f32_e32 v160, v145, v6
	v_fmac_f32_e32 v161, v147, v5
	v_fma_f32 v163, v144, v6, -v7
	v_fma_f32 v164, v146, v5, -v8
	ds_read2_b64 v[5:8], v1 offset0:73 offset1:74
	ds_read2_b64 v[144:147], v1 offset0:75 offset1:76
	s_waitcnt vmcnt(38) lgkmcnt(3)
	v_mul_f32_e32 v165, v148, v3
	s_waitcnt vmcnt(37)
	v_mul_f32_e32 v166, v150, v4
	v_mul_f32_e32 v3, v149, v3
	;; [unrolled: 1-line block ×3, first 2 shown]
	v_fmac_f32_e32 v165, v149, v2
	s_waitcnt vmcnt(33)
	v_fmac_f32_e32 v166, v151, v119
	v_fma_f32 v148, v148, v2, -v3
	v_fma_f32 v149, v150, v119, -v4
	s_waitcnt vmcnt(32) lgkmcnt(2)
	v_mul_f32_e32 v150, v152, v117
	v_mul_f32_e32 v2, v153, v117
	s_waitcnt vmcnt(31)
	v_mul_f32_e32 v3, v155, v118
	v_mul_f32_e32 v151, v154, v118
	v_fmac_f32_e32 v150, v153, v116
	v_fma_f32 v152, v152, v116, -v2
	v_fma_f32 v153, v154, v113, -v3
	ds_read2_b64 v[116:119], v1 offset0:77 offset1:78
	s_waitcnt vmcnt(30) lgkmcnt(2)
	v_mul_f32_e32 v154, v5, v114
	v_mul_f32_e32 v2, v6, v114
	s_waitcnt vmcnt(29)
	v_mul_f32_e32 v3, v8, v115
	v_fmac_f32_e32 v151, v155, v113
	v_mul_f32_e32 v155, v7, v115
	v_fmac_f32_e32 v154, v6, v112
	v_fma_f32 v6, v5, v112, -v2
	s_waitcnt vmcnt(25)
	v_fma_f32 v7, v7, v127, -v3
	ds_read2_b64 v[2:5], v1 offset0:79 offset1:80
	v_fmac_f32_e32 v155, v8, v127
	s_waitcnt vmcnt(24) lgkmcnt(2)
	v_mul_f32_e32 v8, v144, v125
	s_waitcnt vmcnt(23)
	v_mul_f32_e32 v127, v146, v126
	v_mul_f32_e32 v112, v145, v125
	;; [unrolled: 1-line block ×3, first 2 shown]
	v_fmac_f32_e32 v8, v145, v124
	v_fmac_f32_e32 v127, v147, v121
	v_fma_f32 v124, v144, v124, -v112
	v_fma_f32 v121, v146, v121, -v113
	ds_read2_b64 v[112:115], v1 offset0:81 offset1:82
	s_waitcnt vmcnt(22) lgkmcnt(2)
	v_mul_f32_e32 v125, v116, v122
	s_waitcnt vmcnt(21)
	v_mul_f32_e32 v126, v118, v123
	v_mul_f32_e32 v122, v117, v122
	;; [unrolled: 1-line block ×3, first 2 shown]
	v_fmac_f32_e32 v125, v117, v120
	s_waitcnt vmcnt(17)
	v_fmac_f32_e32 v126, v119, v135
	v_fma_f32 v120, v116, v120, -v122
	v_fma_f32 v122, v118, v135, -v123
	s_waitcnt vmcnt(16) lgkmcnt(1)
	v_mul_f32_e32 v123, v2, v133
	s_waitcnt vmcnt(15)
	v_mul_f32_e32 v135, v4, v134
	v_mul_f32_e32 v133, v3, v133
	;; [unrolled: 1-line block ×3, first 2 shown]
	ds_read2_b64 v[116:119], v1 offset0:83 offset1:84
	v_fmac_f32_e32 v123, v3, v132
	v_fmac_f32_e32 v135, v5, v129
	v_fma_f32 v132, v2, v132, -v133
	v_fma_f32 v129, v4, v129, -v134
	s_clause 0x1
	buffer_load_dword v133, off, s[0:3], 0 offset:284
	buffer_load_dword v134, off, s[0:3], 0 offset:292
	s_waitcnt vmcnt(16) lgkmcnt(1)
	v_mul_f32_e32 v144, v112, v130
	v_mul_f32_e32 v2, v113, v130
	s_waitcnt vmcnt(15)
	v_mul_f32_e32 v3, v115, v131
	v_mul_f32_e32 v145, v114, v131
	buffer_load_dword v131, off, s[0:3], 0 offset:300
	v_fmac_f32_e32 v144, v113, v128
	v_fma_f32 v128, v112, v128, -v2
	s_waitcnt vmcnt(12)
	v_fma_f32 v130, v114, v143, -v3
	ds_read2_b64 v[2:5], v1 offset0:85 offset1:86
	v_fmac_f32_e32 v145, v115, v143
	s_waitcnt vmcnt(11) lgkmcnt(1)
	v_mul_f32_e32 v143, v116, v141
	s_waitcnt vmcnt(10)
	v_mul_f32_e32 v146, v118, v142
	v_mul_f32_e32 v112, v117, v141
	;; [unrolled: 1-line block ×3, first 2 shown]
	s_clause 0x5
	buffer_load_dword v141, off, s[0:3], 0 offset:308
	buffer_load_dword v142, off, s[0:3], 0 offset:328
	;; [unrolled: 1-line block ×6, first 2 shown]
	v_fmac_f32_e32 v143, v117, v140
	v_fma_f32 v140, v116, v140, -v112
	v_fmac_f32_e32 v146, v119, v139
	v_fma_f32 v139, v118, v139, -v113
	s_waitcnt vmcnt(15) lgkmcnt(0)
	v_mul_f32_e32 v169, v2, v138
	v_mul_f32_e32 v112, v3, v138
	s_waitcnt vmcnt(14)
	v_mul_f32_e32 v138, v4, v137
	v_fmac_f32_e32 v169, v3, v136
	v_add_f32_e32 v3, 0, v160
	v_fma_f32 v136, v2, v136, -v112
	v_add_f32_e32 v2, 0, v163
	v_mul_f32_e32 v112, v5, v137
	s_clause 0x1
	buffer_load_dword v137, off, s[0:3], 0 offset:324
	buffer_load_dword v160, off, s[0:3], 0 offset:332
	v_add_f32_e32 v3, v3, v161
	v_add_f32_e32 v2, v2, v164
	buffer_load_dword v161, off, s[0:3], 0 offset:340
	s_waitcnt vmcnt(13)
	v_fmac_f32_e32 v138, v5, v159
	v_fma_f32 v159, v4, v159, -v112
	v_add_f32_e32 v3, v3, v165
	v_add_f32_e32 v2, v2, v148
	s_clause 0x2
	buffer_load_dword v148, off, s[0:3], 0 offset:348
	buffer_load_dword v163, off, s[0:3], 0 offset:356
	;; [unrolled: 1-line block ×3, first 2 shown]
	v_add_f32_e32 v3, v3, v166
	v_add_f32_e32 v2, v2, v149
	s_clause 0x3
	buffer_load_dword v149, off, s[0:3], 0 offset:372
	buffer_load_dword v165, off, s[0:3], 0 offset:380
	;; [unrolled: 1-line block ×4, first 2 shown]
	v_add_f32_e32 v3, v3, v150
	v_add_f32_e32 v2, v2, v152
	buffer_load_dword v150, off, s[0:3], 0 offset:404
	v_add_f32_e32 v3, v3, v151
	v_add_f32_e32 v2, v2, v153
	s_clause 0x3
	buffer_load_dword v151, off, s[0:3], 0 offset:360
	buffer_load_dword v152, off, s[0:3], 0 offset:352
	;; [unrolled: 1-line block ×4, first 2 shown]
	v_add_f32_e32 v3, v3, v154
	v_add_f32_e32 v2, v2, v6
	;; [unrolled: 1-line block ×4, first 2 shown]
	s_clause 0x4
	buffer_load_dword v6, off, s[0:3], 0 offset:392
	buffer_load_dword v7, off, s[0:3], 0 offset:384
	;; [unrolled: 1-line block ×5, first 2 shown]
	v_add_f32_e32 v3, v3, v8
	buffer_load_dword v8, off, s[0:3], 0 offset:400
	v_add_f32_e32 v2, v2, v124
	v_add_f32_e32 v3, v3, v127
	;; [unrolled: 1-line block ×5, first 2 shown]
	ds_read2_b64 v[2:5], v1 offset0:87 offset1:88
	v_add_f32_e32 v112, v112, v126
	v_add_f32_e32 v113, v113, v122
	;; [unrolled: 1-line block ×4, first 2 shown]
	ds_read2_b64 v[112:115], v1 offset0:89 offset1:90
	v_add_f32_e32 v116, v116, v135
	v_add_f32_e32 v117, v117, v129
	;; [unrolled: 1-line block ×10, first 2 shown]
	s_waitcnt vmcnt(29) lgkmcnt(1)
	v_mul_f32_e32 v132, v2, v133
	v_mul_f32_e32 v118, v3, v133
	s_waitcnt vmcnt(28)
	v_mul_f32_e32 v133, v4, v134
	v_mul_f32_e32 v119, v5, v134
	v_fmac_f32_e32 v132, v3, v158
	v_fma_f32 v134, v2, v158, -v118
	v_fmac_f32_e32 v133, v5, v157
	v_fma_f32 v135, v4, v157, -v119
	ds_read2_b64 v[2:5], v1 offset0:91 offset1:92
	ds_read2_b64 v[116:119], v1 offset0:93 offset1:94
	s_waitcnt vmcnt(27) lgkmcnt(2)
	v_mul_f32_e32 v144, v112, v131
	v_mul_f32_e32 v122, v113, v131
	v_fmac_f32_e32 v144, v113, v156
	v_add_f32_e32 v113, v121, v146
	v_fma_f32 v140, v112, v156, -v122
	s_waitcnt vmcnt(26)
	v_mul_f32_e32 v145, v114, v141
	v_mul_f32_e32 v123, v115, v141
	v_add_f32_e32 v125, v113, v169
	s_waitcnt vmcnt(22)
	v_fmac_f32_e32 v145, v115, v168
	v_fma_f32 v139, v114, v168, -v123
	v_add_f32_e32 v130, v125, v138
	v_add_f32_e32 v138, v128, v159
	s_waitcnt vmcnt(21) lgkmcnt(1)
	v_mul_f32_e32 v136, v2, v170
	v_mul_f32_e32 v129, v3, v170
	ds_read2_b64 v[112:115], v1 offset0:95 offset1:96
	ds_read2_b64 v[120:123], v1 offset0:97 offset1:98
	;; [unrolled: 1-line block ×3, first 2 shown]
	v_fmac_f32_e32 v136, v3, v167
	v_fma_f32 v2, v2, v167, -v129
	v_add_f32_e32 v3, v130, v132
	ds_read2_b64 v[128:131], v1 offset0:101 offset1:102
	v_add_f32_e32 v1, v138, v134
	s_waitcnt vmcnt(20)
	v_mul_f32_e32 v134, v5, v137
	v_add_f32_e32 v3, v3, v133
	v_mul_f32_e32 v132, v4, v137
	v_add_f32_e32 v1, v1, v135
	s_waitcnt vmcnt(19) lgkmcnt(4)
	v_mul_f32_e32 v137, v117, v160
	v_fma_f32 v4, v4, v147, -v134
	v_add_f32_e32 v3, v3, v144
	v_mul_f32_e32 v133, v116, v160
	v_add_f32_e32 v1, v1, v140
	v_fmac_f32_e32 v132, v5, v147
	v_fma_f32 v116, v116, v142, -v137
	v_add_f32_e32 v3, v3, v145
	s_waitcnt vmcnt(18)
	v_mul_f32_e32 v135, v118, v161
	v_add_f32_e32 v1, v1, v139
	v_mul_f32_e32 v139, v119, v161
	v_fmac_f32_e32 v133, v117, v142
	s_waitcnt vmcnt(17) lgkmcnt(3)
	v_mul_f32_e32 v5, v112, v148
	s_waitcnt vmcnt(16)
	v_mul_f32_e32 v134, v114, v163
	v_add_f32_e32 v1, v1, v2
	v_add_f32_e32 v2, v3, v136
	s_waitcnt vmcnt(15) lgkmcnt(2)
	v_mul_f32_e32 v138, v120, v164
	s_waitcnt vmcnt(14)
	v_mul_f32_e32 v140, v122, v149
	s_waitcnt vmcnt(8)
	v_fmac_f32_e32 v134, v115, v152
	v_add_f32_e32 v1, v1, v4
	v_add_f32_e32 v2, v2, v132
	v_mul_f32_e32 v4, v113, v148
	s_waitcnt vmcnt(6)
	v_fma_f32 v117, v118, v172, -v139
	v_fmac_f32_e32 v135, v119, v172
	v_add_f32_e32 v1, v1, v116
	v_add_f32_e32 v2, v2, v133
	v_mul_f32_e32 v116, v115, v163
	v_fma_f32 v4, v112, v153, -v4
	v_fmac_f32_e32 v5, v113, v153
	v_add_f32_e32 v1, v1, v117
	v_add_f32_e32 v2, v2, v135
	v_mul_f32_e32 v112, v121, v164
	;; [unrolled: 5-line block ×3, first 2 shown]
	v_fma_f32 v5, v120, v151, -v112
	s_waitcnt lgkmcnt(1)
	v_mul_f32_e32 v112, v125, v165
	v_add_f32_e32 v1, v1, v113
	v_add_f32_e32 v2, v2, v134
	s_waitcnt vmcnt(2)
	v_fma_f32 v4, v122, v155, -v4
	v_mul_f32_e32 v141, v124, v165
	v_fmac_f32_e32 v140, v123, v155
	v_add_f32_e32 v1, v1, v5
	v_add_f32_e32 v2, v2, v138
	v_mul_f32_e32 v5, v127, v166
	v_fma_f32 v112, v124, v154, -v112
	v_mul_f32_e32 v143, v126, v166
	v_add_f32_e32 v1, v1, v4
	v_fmac_f32_e32 v141, v125, v154
	v_add_f32_e32 v2, v2, v140
	s_waitcnt lgkmcnt(0)
	v_mul_f32_e32 v4, v129, v171
	v_fma_f32 v5, v126, v7, -v5
	v_add_f32_e32 v1, v1, v112
	v_mul_f32_e32 v144, v128, v171
	v_fmac_f32_e32 v143, v127, v7
	v_add_f32_e32 v2, v2, v141
	v_mul_f32_e32 v7, v131, v150
	v_fma_f32 v4, v128, v6, -v4
	v_add_f32_e32 v1, v1, v5
	v_mul_f32_e32 v3, v130, v150
	v_fmac_f32_e32 v144, v129, v6
	v_add_f32_e32 v2, v2, v143
	s_waitcnt vmcnt(0)
	v_fma_f32 v5, v130, v8, -v7
	v_add_f32_e32 v1, v1, v4
	v_fmac_f32_e32 v3, v131, v8
	v_add_f32_e32 v2, v2, v144
	v_add_f32_e32 v1, v1, v5
	;; [unrolled: 1-line block ×3, first 2 shown]
	v_sub_f32_e32 v1, v173, v1
	v_sub_f32_e32 v2, v162, v2
	buffer_store_dword v1, off, s[0:3], 0 offset:112
	buffer_store_dword v2, off, s[0:3], 0 offset:116
	v_cmpx_lt_u32_e32 13, v0
	s_cbranch_execz .LBB114_293
; %bb.292:
	s_clause 0x1
	buffer_load_dword v1, off, s[0:3], 0 offset:104
	buffer_load_dword v2, off, s[0:3], 0 offset:108
	v_mov_b32_e32 v3, 0
	buffer_store_dword v3, off, s[0:3], 0 offset:104
	buffer_store_dword v3, off, s[0:3], 0 offset:108
	s_waitcnt vmcnt(0)
	ds_write_b64 v111, v[1:2]
.LBB114_293:
	s_or_b32 exec_lo, exec_lo, s4
	s_waitcnt lgkmcnt(0)
	s_waitcnt_vscnt null, 0x0
	s_barrier
	buffer_gl0_inv
	s_clause 0x2b
	buffer_load_dword v6, off, s[0:3], 0 offset:116
	buffer_load_dword v7, off, s[0:3], 0 offset:128
	;; [unrolled: 1-line block ×44, first 2 shown]
	v_mov_b32_e32 v1, 0
	ds_read_b128 v[2:5], v1 offset:528
	ds_read_b128 v[112:115], v1 offset:544
	;; [unrolled: 1-line block ×3, first 2 shown]
	buffer_load_dword v162, off, s[0:3], 0 offset:108
	s_mov_b32 s4, exec_lo
	s_waitcnt vmcnt(44) lgkmcnt(2)
	v_mul_f32_e32 v161, v3, v6
	v_mul_f32_e32 v6, v2, v6
	s_waitcnt vmcnt(41)
	v_fma_f32 v161, v2, v120, -v161
	v_fmac_f32_e32 v6, v3, v120
	s_waitcnt vmcnt(40)
	v_mul_f32_e32 v120, v4, v121
	v_mul_f32_e32 v2, v5, v121
	s_waitcnt vmcnt(39) lgkmcnt(1)
	v_mul_f32_e32 v121, v112, v122
	v_mul_f32_e32 v122, v113, v122
	v_add_f32_e32 v6, 0, v6
	v_fmac_f32_e32 v120, v5, v8
	v_fma_f32 v8, v4, v8, -v2
	ds_read_b128 v[2:5], v1 offset:576
	v_fmac_f32_e32 v121, v113, v7
	v_fma_f32 v7, v112, v7, -v122
	s_waitcnt vmcnt(38)
	v_mul_f32_e32 v122, v114, v123
	v_mul_f32_e32 v112, v115, v123
	v_add_f32_e32 v6, v6, v120
	s_waitcnt vmcnt(34)
	v_fmac_f32_e32 v122, v115, v127
	v_fma_f32 v123, v114, v127, -v112
	s_waitcnt vmcnt(33) lgkmcnt(1)
	v_mul_f32_e32 v127, v116, v128
	v_mul_f32_e32 v128, v117, v128
	ds_read_b128 v[112:115], v1 offset:592
	v_add_f32_e32 v6, v6, v121
	v_fmac_f32_e32 v127, v117, v126
	v_fma_f32 v126, v116, v126, -v128
	s_waitcnt vmcnt(32)
	v_mul_f32_e32 v128, v118, v129
	v_mul_f32_e32 v116, v119, v129
	v_add_f32_e32 v6, v6, v122
	s_waitcnt vmcnt(31) lgkmcnt(1)
	v_mul_f32_e32 v129, v2, v130
	v_mul_f32_e32 v130, v3, v130
	v_fmac_f32_e32 v128, v119, v125
	v_fma_f32 v125, v118, v125, -v116
	ds_read_b128 v[116:119], v1 offset:608
	v_fmac_f32_e32 v129, v3, v124
	v_fma_f32 v124, v2, v124, -v130
	s_waitcnt vmcnt(30)
	v_mul_f32_e32 v130, v4, v131
	v_mul_f32_e32 v2, v5, v131
	v_add_f32_e32 v6, v6, v127
	s_waitcnt vmcnt(26)
	v_fmac_f32_e32 v130, v5, v135
	v_fma_f32 v131, v4, v135, -v2
	ds_read_b128 v[2:5], v1 offset:624
	s_waitcnt vmcnt(25) lgkmcnt(2)
	v_mul_f32_e32 v135, v112, v136
	v_mul_f32_e32 v136, v113, v136
	v_add_f32_e32 v6, v6, v128
	v_fmac_f32_e32 v135, v113, v134
	v_fma_f32 v134, v112, v134, -v136
	s_waitcnt vmcnt(24)
	v_mul_f32_e32 v136, v114, v137
	v_mul_f32_e32 v112, v115, v137
	s_waitcnt vmcnt(23) lgkmcnt(1)
	v_mul_f32_e32 v137, v116, v138
	v_mul_f32_e32 v138, v117, v138
	v_add_f32_e32 v6, v6, v129
	v_fmac_f32_e32 v136, v115, v133
	v_fma_f32 v133, v114, v133, -v112
	ds_read_b128 v[112:115], v1 offset:640
	v_fmac_f32_e32 v137, v117, v132
	v_fma_f32 v132, v116, v132, -v138
	s_waitcnt vmcnt(22)
	v_mul_f32_e32 v138, v118, v139
	v_mul_f32_e32 v116, v119, v139
	s_waitcnt vmcnt(18)
	v_fmac_f32_e32 v138, v119, v143
	v_fma_f32 v139, v118, v143, -v116
	s_waitcnt vmcnt(17) lgkmcnt(1)
	v_mul_f32_e32 v143, v2, v144
	v_mul_f32_e32 v116, v3, v144
	s_waitcnt vmcnt(16)
	v_mul_f32_e32 v144, v4, v145
	v_mul_f32_e32 v145, v5, v145
	v_fmac_f32_e32 v143, v3, v142
	v_fma_f32 v142, v2, v142, -v116
	ds_read_b128 v[116:119], v1 offset:656
	v_fmac_f32_e32 v144, v5, v141
	v_fma_f32 v141, v4, v141, -v145
	s_clause 0x1
	buffer_load_dword v145, off, s[0:3], 0 offset:284
	buffer_load_dword v163, off, s[0:3], 0 offset:292
	v_add_f32_e32 v4, 0, v161
	s_waitcnt vmcnt(17) lgkmcnt(1)
	v_mul_f32_e32 v164, v112, v146
	v_mul_f32_e32 v2, v113, v146
	s_waitcnt vmcnt(16)
	v_mul_f32_e32 v3, v115, v147
	v_mul_f32_e32 v146, v114, v147
	v_add_f32_e32 v8, v4, v8
	v_fmac_f32_e32 v164, v113, v140
	v_fma_f32 v140, v112, v140, -v2
	s_waitcnt vmcnt(12)
	v_fma_f32 v147, v114, v151, -v3
	ds_read_b128 v[2:5], v1 offset:672
	v_add_f32_e32 v7, v8, v7
	buffer_load_dword v165, off, s[0:3], 0 offset:300
	v_fmac_f32_e32 v146, v115, v151
	v_add_f32_e32 v7, v7, v123
	s_waitcnt vmcnt(12) lgkmcnt(1)
	v_mul_f32_e32 v151, v116, v152
	v_mul_f32_e32 v112, v117, v152
	s_clause 0x3
	buffer_load_dword v8, off, s[0:3], 0 offset:320
	buffer_load_dword v152, off, s[0:3], 0 offset:312
	;; [unrolled: 1-line block ×4, first 2 shown]
	s_waitcnt vmcnt(15)
	v_mul_f32_e32 v121, v118, v153
	v_add_f32_e32 v7, v7, v126
	v_fmac_f32_e32 v151, v117, v150
	v_fma_f32 v116, v116, v150, -v112
	s_clause 0x1
	buffer_load_dword v150, off, s[0:3], 0 offset:308
	buffer_load_dword v166, off, s[0:3], 0 offset:316
	v_mul_f32_e32 v112, v119, v153
	buffer_load_dword v153, off, s[0:3], 0 offset:324
	v_add_f32_e32 v7, v7, v125
	v_fmac_f32_e32 v121, v119, v149
	s_waitcnt vmcnt(17) lgkmcnt(0)
	v_mul_f32_e32 v125, v2, v154
	v_mul_f32_e32 v117, v3, v154
	v_add_f32_e32 v7, v7, v124
	v_fma_f32 v122, v118, v149, -v112
	s_waitcnt vmcnt(16)
	v_mul_f32_e32 v124, v4, v155
	v_mul_f32_e32 v118, v5, v155
	v_fmac_f32_e32 v125, v3, v148
	v_fma_f32 v126, v2, v148, -v117
	v_add_f32_e32 v2, v7, v131
	v_add_f32_e32 v3, v6, v130
	s_clause 0x3
	buffer_load_dword v149, off, s[0:3], 0 offset:332
	buffer_load_dword v167, off, s[0:3], 0 offset:340
	buffer_load_dword v168, off, s[0:3], 0 offset:348
	buffer_load_dword v169, off, s[0:3], 0 offset:356
	ds_read_b128 v[112:115], v1 offset:688
	s_clause 0x3
	buffer_load_dword v128, off, s[0:3], 0 offset:364
	buffer_load_dword v129, off, s[0:3], 0 offset:372
	buffer_load_dword v130, off, s[0:3], 0 offset:380
	buffer_load_dword v131, off, s[0:3], 0 offset:388
	s_waitcnt vmcnt(20)
	v_fmac_f32_e32 v124, v5, v159
	v_fma_f32 v6, v4, v159, -v118
	buffer_load_dword v148, off, s[0:3], 0 offset:396
	v_add_f32_e32 v2, v2, v134
	v_add_f32_e32 v3, v3, v135
	s_clause 0x4
	buffer_load_dword v134, off, s[0:3], 0 offset:352
	buffer_load_dword v135, off, s[0:3], 0 offset:344
	;; [unrolled: 1-line block ×5, first 2 shown]
	v_add_f32_e32 v2, v2, v133
	v_add_f32_e32 v7, v3, v136
	;; [unrolled: 1-line block ×4, first 2 shown]
	ds_read_b128 v[2:5], v1 offset:704
	s_waitcnt vmcnt(25) lgkmcnt(1)
	v_mul_f32_e32 v118, v113, v160
	v_add_f32_e32 v7, v7, v138
	s_clause 0x3
	buffer_load_dword v133, off, s[0:3], 0 offset:384
	buffer_load_dword v136, off, s[0:3], 0 offset:376
	;; [unrolled: 1-line block ×4, first 2 shown]
	v_add_f32_e32 v117, v117, v139
	v_mul_f32_e32 v132, v112, v160
	v_fma_f32 v127, v112, v158, -v118
	v_add_f32_e32 v7, v7, v143
	v_add_f32_e32 v112, v117, v142
	v_fmac_f32_e32 v132, v113, v158
	v_add_f32_e32 v7, v7, v144
	v_add_f32_e32 v112, v112, v141
	s_clause 0x2
	buffer_load_dword v139, off, s[0:3], 0 offset:400
	buffer_load_dword v141, off, s[0:3], 0 offset:392
	;; [unrolled: 1-line block ×3, first 2 shown]
	v_add_f32_e32 v7, v7, v164
	v_add_f32_e32 v117, v112, v140
	;; [unrolled: 1-line block ×6, first 2 shown]
	ds_read_b128 v[116:119], v1 offset:736
	v_add_f32_e32 v7, v7, v121
	v_add_f32_e32 v146, v146, v122
	;; [unrolled: 1-line block ×8, first 2 shown]
	s_waitcnt vmcnt(30)
	v_mul_f32_e32 v140, v114, v145
	v_mul_f32_e32 v112, v115, v145
	s_waitcnt vmcnt(29) lgkmcnt(1)
	v_mul_f32_e32 v123, v3, v163
	v_mul_f32_e32 v144, v2, v163
	v_fmac_f32_e32 v140, v115, v157
	v_fma_f32 v143, v114, v157, -v112
	ds_read_b128 v[112:115], v1 offset:720
	v_fma_f32 v151, v2, v156, -v123
	v_fmac_f32_e32 v144, v3, v156
	v_add_f32_e32 v132, v132, v140
	v_add_f32_e32 v143, v6, v143
	s_waitcnt vmcnt(28)
	v_mul_f32_e32 v147, v5, v165
	v_mul_f32_e32 v145, v4, v165
	v_add_f32_e32 v132, v132, v144
	v_add_f32_e32 v143, v143, v151
	s_waitcnt vmcnt(24)
	v_fma_f32 v147, v4, v120, -v147
	v_fmac_f32_e32 v145, v5, v120
	ds_read_b128 v[2:5], v1 offset:752
	ds_read_b128 v[120:123], v1 offset:768
	;; [unrolled: 1-line block ×3, first 2 shown]
	ds_read_b64 v[6:7], v1 offset:816
	v_add_f32_e32 v143, v143, v147
	v_add_f32_e32 v132, v132, v145
	s_waitcnt vmcnt(23) lgkmcnt(4)
	v_mul_f32_e32 v146, v112, v150
	v_mul_f32_e32 v150, v113, v150
	s_waitcnt vmcnt(22)
	v_mul_f32_e32 v156, v114, v166
	v_mul_f32_e32 v157, v115, v166
	s_waitcnt vmcnt(21)
	v_mul_f32_e32 v151, v117, v153
	v_fmac_f32_e32 v146, v113, v161
	v_fma_f32 v150, v112, v161, -v150
	v_fmac_f32_e32 v156, v115, v152
	v_fma_f32 v152, v114, v152, -v157
	v_mul_f32_e32 v157, v116, v153
	ds_read_b128 v[112:115], v1 offset:800
	v_add_f32_e32 v143, v143, v150
	s_waitcnt vmcnt(20)
	v_mul_f32_e32 v140, v118, v149
	v_mul_f32_e32 v149, v119, v149
	v_fmac_f32_e32 v157, v117, v8
	v_add_f32_e32 v117, v132, v146
	v_fma_f32 v8, v116, v8, -v151
	v_add_f32_e32 v143, v143, v152
	s_waitcnt vmcnt(19) lgkmcnt(4)
	v_mul_f32_e32 v144, v2, v167
	v_mul_f32_e32 v151, v3, v167
	v_add_f32_e32 v117, v117, v156
	s_waitcnt vmcnt(8)
	v_fma_f32 v118, v118, v155, -v149
	v_add_f32_e32 v8, v143, v8
	v_fmac_f32_e32 v140, v119, v155
	v_mul_f32_e32 v119, v5, v168
	v_add_f32_e32 v117, v117, v157
	v_fmac_f32_e32 v144, v3, v154
	v_fma_f32 v2, v2, v154, -v151
	v_add_f32_e32 v3, v8, v118
	v_mul_f32_e32 v147, v4, v168
	v_add_f32_e32 v8, v117, v140
	s_waitcnt lgkmcnt(3)
	v_mul_f32_e32 v117, v121, v169
	v_fma_f32 v4, v4, v135, -v119
	v_add_f32_e32 v2, v3, v2
	v_mul_f32_e32 v153, v120, v169
	v_fmac_f32_e32 v147, v5, v135
	v_add_f32_e32 v3, v8, v144
	v_mul_f32_e32 v5, v123, v128
	v_fma_f32 v8, v120, v134, -v117
	v_add_f32_e32 v2, v2, v4
	v_mul_f32_e32 v145, v122, v128
	v_fmac_f32_e32 v153, v121, v134
	v_add_f32_e32 v3, v3, v147
	s_waitcnt lgkmcnt(2)
	v_mul_f32_e32 v4, v125, v129
	s_waitcnt vmcnt(3)
	v_fma_f32 v5, v122, v138, -v5
	v_add_f32_e32 v2, v2, v8
	v_mul_f32_e32 v150, v124, v129
	v_fmac_f32_e32 v145, v123, v138
	v_add_f32_e32 v3, v3, v153
	v_mul_f32_e32 v8, v127, v130
	v_fma_f32 v4, v124, v137, -v4
	v_add_f32_e32 v2, v2, v5
	v_mul_f32_e32 v116, v126, v130
	v_fmac_f32_e32 v150, v125, v137
	v_add_f32_e32 v3, v3, v145
	s_waitcnt lgkmcnt(0)
	v_mul_f32_e32 v5, v113, v131
	v_fma_f32 v8, v126, v136, -v8
	v_add_f32_e32 v2, v2, v4
	v_mul_f32_e32 v132, v112, v131
	v_fmac_f32_e32 v116, v127, v136
	v_add_f32_e32 v3, v3, v150
	v_mul_f32_e32 v4, v115, v148
	v_fma_f32 v5, v112, v133, -v5
	v_add_f32_e32 v2, v2, v8
	v_mul_f32_e32 v146, v114, v148
	v_fmac_f32_e32 v132, v113, v133
	v_add_f32_e32 v3, v3, v116
	v_mul_f32_e32 v8, v7, v159
	s_waitcnt vmcnt(1)
	v_fma_f32 v4, v114, v141, -v4
	v_add_f32_e32 v2, v2, v5
	v_mul_f32_e32 v152, v6, v159
	v_fmac_f32_e32 v146, v115, v141
	v_add_f32_e32 v3, v3, v132
	v_fma_f32 v5, v6, v139, -v8
	v_add_f32_e32 v2, v2, v4
	v_fmac_f32_e32 v152, v7, v139
	v_add_f32_e32 v3, v3, v146
	v_add_f32_e32 v2, v2, v5
	;; [unrolled: 1-line block ×3, first 2 shown]
	s_waitcnt vmcnt(0)
	v_sub_f32_e32 v2, v142, v2
	v_sub_f32_e32 v3, v162, v3
	buffer_store_dword v2, off, s[0:3], 0 offset:104
	buffer_store_dword v3, off, s[0:3], 0 offset:108
	v_cmpx_lt_u32_e32 12, v0
	s_cbranch_execz .LBB114_295
; %bb.294:
	s_clause 0x1
	buffer_load_dword v2, off, s[0:3], 0 offset:96
	buffer_load_dword v3, off, s[0:3], 0 offset:100
	buffer_store_dword v1, off, s[0:3], 0 offset:96
	buffer_store_dword v1, off, s[0:3], 0 offset:100
	s_waitcnt vmcnt(0)
	ds_write_b64 v111, v[2:3]
.LBB114_295:
	s_or_b32 exec_lo, exec_lo, s4
	s_waitcnt lgkmcnt(0)
	s_waitcnt_vscnt null, 0x0
	s_barrier
	buffer_gl0_inv
	s_clause 0x2b
	buffer_load_dword v6, off, s[0:3], 0 offset:108
	buffer_load_dword v7, off, s[0:3], 0 offset:120
	;; [unrolled: 1-line block ×44, first 2 shown]
	ds_read2_b64 v[2:5], v1 offset0:65 offset1:66
	ds_read2_b64 v[112:115], v1 offset0:67 offset1:68
	;; [unrolled: 1-line block ×3, first 2 shown]
	buffer_load_dword v162, off, s[0:3], 0 offset:100
	s_mov_b32 s4, exec_lo
	s_waitcnt vmcnt(44) lgkmcnt(2)
	v_mul_f32_e32 v161, v3, v6
	v_mul_f32_e32 v6, v2, v6
	s_waitcnt vmcnt(41)
	v_fma_f32 v161, v2, v120, -v161
	v_fmac_f32_e32 v6, v3, v120
	s_waitcnt vmcnt(40)
	v_mul_f32_e32 v120, v4, v121
	v_mul_f32_e32 v2, v5, v121
	s_waitcnt vmcnt(39) lgkmcnt(1)
	v_mul_f32_e32 v121, v112, v122
	v_mul_f32_e32 v122, v113, v122
	v_add_f32_e32 v6, 0, v6
	v_fmac_f32_e32 v120, v5, v8
	v_fma_f32 v8, v4, v8, -v2
	ds_read2_b64 v[2:5], v1 offset0:71 offset1:72
	v_fmac_f32_e32 v121, v113, v7
	v_fma_f32 v7, v112, v7, -v122
	s_waitcnt vmcnt(38)
	v_mul_f32_e32 v122, v114, v123
	v_mul_f32_e32 v112, v115, v123
	v_add_f32_e32 v6, v6, v120
	s_waitcnt vmcnt(34)
	v_fmac_f32_e32 v122, v115, v127
	v_fma_f32 v123, v114, v127, -v112
	s_waitcnt vmcnt(33) lgkmcnt(1)
	v_mul_f32_e32 v127, v116, v128
	v_mul_f32_e32 v128, v117, v128
	ds_read2_b64 v[112:115], v1 offset0:73 offset1:74
	v_add_f32_e32 v6, v6, v121
	v_fmac_f32_e32 v127, v117, v126
	v_fma_f32 v126, v116, v126, -v128
	s_waitcnt vmcnt(32)
	v_mul_f32_e32 v128, v118, v129
	v_mul_f32_e32 v116, v119, v129
	v_add_f32_e32 v6, v6, v122
	s_waitcnt vmcnt(31) lgkmcnt(1)
	v_mul_f32_e32 v129, v2, v130
	v_mul_f32_e32 v130, v3, v130
	v_fmac_f32_e32 v128, v119, v125
	v_fma_f32 v125, v118, v125, -v116
	ds_read2_b64 v[116:119], v1 offset0:75 offset1:76
	v_fmac_f32_e32 v129, v3, v124
	v_fma_f32 v124, v2, v124, -v130
	s_waitcnt vmcnt(30)
	v_mul_f32_e32 v130, v4, v131
	v_mul_f32_e32 v2, v5, v131
	v_add_f32_e32 v6, v6, v127
	s_waitcnt vmcnt(26)
	v_fmac_f32_e32 v130, v5, v135
	v_fma_f32 v131, v4, v135, -v2
	s_waitcnt vmcnt(25) lgkmcnt(1)
	v_mul_f32_e32 v135, v112, v136
	v_mul_f32_e32 v2, v113, v136
	s_waitcnt vmcnt(24)
	v_mul_f32_e32 v136, v114, v137
	v_mul_f32_e32 v137, v115, v137
	v_add_f32_e32 v6, v6, v128
	v_fmac_f32_e32 v135, v113, v134
	v_fma_f32 v134, v112, v134, -v2
	ds_read2_b64 v[2:5], v1 offset0:77 offset1:78
	v_fmac_f32_e32 v136, v115, v133
	v_fma_f32 v133, v114, v133, -v137
	ds_read2_b64 v[112:115], v1 offset0:79 offset1:80
	s_waitcnt vmcnt(23) lgkmcnt(2)
	v_mul_f32_e32 v137, v116, v138
	v_mul_f32_e32 v138, v117, v138
	v_fmac_f32_e32 v137, v117, v132
	v_fma_f32 v116, v116, v132, -v138
	s_waitcnt vmcnt(22)
	v_mul_f32_e32 v117, v118, v139
	v_mul_f32_e32 v132, v119, v139
	s_waitcnt vmcnt(18)
	v_fmac_f32_e32 v117, v119, v143
	v_fma_f32 v118, v118, v143, -v132
	s_clause 0x1
	buffer_load_dword v119, off, s[0:3], 0 offset:276
	buffer_load_dword v132, off, s[0:3], 0 offset:284
	s_waitcnt vmcnt(19) lgkmcnt(1)
	v_mul_f32_e32 v138, v2, v144
	v_mul_f32_e32 v139, v3, v144
	s_waitcnt vmcnt(18)
	v_mul_f32_e32 v143, v4, v145
	v_mul_f32_e32 v144, v5, v145
	s_waitcnt vmcnt(17) lgkmcnt(0)
	v_mul_f32_e32 v145, v112, v146
	v_mul_f32_e32 v146, v113, v146
	v_fmac_f32_e32 v138, v3, v142
	v_fma_f32 v139, v2, v142, -v139
	v_fmac_f32_e32 v143, v5, v141
	v_fmac_f32_e32 v145, v113, v140
	v_fma_f32 v140, v112, v140, -v146
	v_add_f32_e32 v112, 0, v161
	v_fma_f32 v141, v4, v141, -v144
	ds_read2_b64 v[2:5], v1 offset0:81 offset1:82
	s_waitcnt vmcnt(16)
	v_mul_f32_e32 v142, v114, v147
	v_mul_f32_e32 v147, v115, v147
	v_add_f32_e32 v8, v112, v8
	s_waitcnt vmcnt(12)
	v_fmac_f32_e32 v142, v115, v151
	v_fma_f32 v144, v114, v151, -v147
	s_clause 0x4
	buffer_load_dword v146, off, s[0:3], 0 offset:292
	buffer_load_dword v147, off, s[0:3], 0 offset:312
	;; [unrolled: 1-line block ×5, first 2 shown]
	v_add_f32_e32 v7, v8, v7
	s_clause 0x2
	buffer_load_dword v8, off, s[0:3], 0 offset:300
	buffer_load_dword v164, off, s[0:3], 0 offset:308
	;; [unrolled: 1-line block ×3, first 2 shown]
	ds_read2_b64 v[112:115], v1 offset0:83 offset1:84
	v_add_f32_e32 v7, v7, v123
	v_add_f32_e32 v7, v7, v126
	s_waitcnt vmcnt(19) lgkmcnt(1)
	v_mul_f32_e32 v120, v2, v152
	v_mul_f32_e32 v121, v3, v152
	s_waitcnt vmcnt(18)
	v_mul_f32_e32 v122, v4, v153
	v_mul_f32_e32 v123, v5, v153
	v_fmac_f32_e32 v120, v3, v150
	v_add_f32_e32 v3, v7, v125
	v_fma_f32 v7, v2, v150, -v121
	v_fmac_f32_e32 v122, v5, v149
	v_fma_f32 v121, v4, v149, -v123
	v_add_f32_e32 v2, v3, v124
	v_add_f32_e32 v3, v6, v129
	s_clause 0x7
	buffer_load_dword v6, off, s[0:3], 0 offset:324
	buffer_load_dword v149, off, s[0:3], 0 offset:332
	;; [unrolled: 1-line block ×8, first 2 shown]
	s_waitcnt vmcnt(25) lgkmcnt(0)
	v_mul_f32_e32 v4, v113, v154
	v_mul_f32_e32 v123, v112, v154
	v_add_f32_e32 v2, v2, v131
	v_add_f32_e32 v3, v3, v130
	s_clause 0x3
	buffer_load_dword v154, off, s[0:3], 0 offset:356
	buffer_load_dword v169, off, s[0:3], 0 offset:364
	;; [unrolled: 1-line block ×4, first 2 shown]
	v_fma_f32 v124, v112, v148, -v4
	v_fmac_f32_e32 v123, v113, v148
	v_add_f32_e32 v2, v2, v134
	v_add_f32_e32 v112, v3, v135
	s_waitcnt vmcnt(28)
	v_mul_f32_e32 v3, v115, v155
	s_clause 0x1
	buffer_load_dword v134, off, s[0:3], 0 offset:388
	buffer_load_dword v148, off, s[0:3], 0 offset:396
	v_mul_f32_e32 v125, v114, v155
	v_add_f32_e32 v113, v2, v133
	v_add_f32_e32 v112, v112, v136
	s_waitcnt vmcnt(26)
	v_fma_f32 v126, v114, v159, -v3
	ds_read2_b64 v[2:5], v1 offset0:85 offset1:86
	buffer_load_dword v133, off, s[0:3], 0 offset:404
	v_add_f32_e32 v113, v113, v116
	v_add_f32_e32 v112, v112, v137
	s_clause 0x3
	buffer_load_dword v135, off, s[0:3], 0 offset:376
	buffer_load_dword v136, off, s[0:3], 0 offset:368
	;; [unrolled: 1-line block ×4, first 2 shown]
	v_fmac_f32_e32 v125, v115, v159
	v_add_f32_e32 v113, v113, v118
	v_add_f32_e32 v112, v112, v117
	v_add_f32_e32 v116, v113, v139
	v_add_f32_e32 v117, v112, v138
	ds_read2_b64 v[112:115], v1 offset0:87 offset1:88
	v_add_f32_e32 v116, v116, v141
	s_waitcnt vmcnt(30) lgkmcnt(1)
	v_mul_f32_e32 v127, v2, v160
	v_mul_f32_e32 v118, v3, v160
	v_fmac_f32_e32 v127, v3, v158
	v_add_f32_e32 v3, v116, v140
	s_clause 0x3
	buffer_load_dword v138, off, s[0:3], 0 offset:400
	buffer_load_dword v139, off, s[0:3], 0 offset:392
	;; [unrolled: 1-line block ×4, first 2 shown]
	v_fma_f32 v128, v2, v158, -v118
	v_add_f32_e32 v2, v117, v143
	v_add_f32_e32 v3, v3, v144
	;; [unrolled: 1-line block ×13, first 2 shown]
	s_waitcnt vmcnt(32)
	v_mul_f32_e32 v129, v4, v119
	v_mul_f32_e32 v116, v5, v119
	s_waitcnt vmcnt(31) lgkmcnt(0)
	v_mul_f32_e32 v142, v112, v132
	v_mul_f32_e32 v121, v113, v132
	v_fmac_f32_e32 v129, v5, v157
	v_fma_f32 v130, v4, v157, -v116
	ds_read2_b64 v[2:5], v1 offset0:89 offset1:90
	ds_read2_b64 v[116:119], v1 offset0:91 offset1:92
	v_fmac_f32_e32 v142, v113, v156
	v_fma_f32 v131, v112, v156, -v121
	v_add_f32_e32 v156, v124, v127
	v_add_f32_e32 v7, v7, v130
	;; [unrolled: 1-line block ×4, first 2 shown]
	s_waitcnt vmcnt(30)
	v_mul_f32_e32 v122, v115, v146
	v_mul_f32_e32 v132, v114, v146
	s_waitcnt vmcnt(26)
	v_fma_f32 v143, v114, v163, -v122
	v_fmac_f32_e32 v132, v115, v163
	s_waitcnt vmcnt(25) lgkmcnt(1)
	v_mul_f32_e32 v144, v2, v8
	v_mul_f32_e32 v8, v3, v8
	s_waitcnt vmcnt(24)
	v_mul_f32_e32 v145, v4, v164
	v_mul_f32_e32 v125, v5, v164
	s_waitcnt vmcnt(23) lgkmcnt(0)
	v_mul_f32_e32 v128, v117, v165
	ds_read2_b64 v[112:115], v1 offset0:93 offset1:94
	ds_read2_b64 v[120:123], v1 offset0:95 offset1:96
	v_mul_f32_e32 v146, v116, v165
	v_fmac_f32_e32 v144, v3, v161
	v_fma_f32 v8, v2, v161, -v8
	v_fmac_f32_e32 v145, v5, v151
	v_fma_f32 v151, v4, v151, -v125
	ds_read2_b64 v[2:5], v1 offset0:97 offset1:98
	ds_read2_b64 v[124:127], v1 offset0:99 offset1:100
	v_fma_f32 v116, v116, v147, -v128
	ds_read2_b64 v[128:131], v1 offset0:101 offset1:102
	v_add_f32_e32 v1, v156, v142
	v_add_f32_e32 v7, v7, v143
	v_fmac_f32_e32 v146, v117, v147
	s_waitcnt vmcnt(22)
	v_mul_f32_e32 v117, v118, v6
	v_mul_f32_e32 v6, v119, v6
	v_add_f32_e32 v1, v1, v132
	v_add_f32_e32 v7, v7, v8
	s_waitcnt vmcnt(15)
	v_fmac_f32_e32 v117, v119, v168
	v_fma_f32 v6, v118, v168, -v6
	v_add_f32_e32 v1, v1, v144
	v_add_f32_e32 v7, v7, v151
	s_waitcnt lgkmcnt(4)
	v_mul_f32_e32 v143, v113, v149
	v_mul_f32_e32 v142, v112, v149
	;; [unrolled: 1-line block ×3, first 2 shown]
	v_add_f32_e32 v1, v1, v145
	v_add_f32_e32 v7, v7, v116
	v_mul_f32_e32 v145, v115, v150
	v_fma_f32 v112, v112, v167, -v143
	v_fmac_f32_e32 v142, v113, v167
	v_add_f32_e32 v1, v1, v146
	v_add_f32_e32 v6, v7, v6
	s_waitcnt lgkmcnt(3)
	v_mul_f32_e32 v7, v121, v152
	v_fma_f32 v113, v114, v166, -v145
	v_mul_f32_e32 v118, v120, v152
	v_add_f32_e32 v1, v1, v117
	v_add_f32_e32 v6, v6, v112
	v_fmac_f32_e32 v132, v115, v166
	s_waitcnt vmcnt(14)
	v_mul_f32_e32 v112, v123, v154
	v_fma_f32 v7, v120, v153, -v7
	v_add_f32_e32 v1, v1, v142
	v_add_f32_e32 v6, v6, v113
	v_mul_f32_e32 v119, v122, v154
	v_fmac_f32_e32 v118, v121, v153
	s_waitcnt vmcnt(13) lgkmcnt(2)
	v_mul_f32_e32 v8, v2, v169
	v_add_f32_e32 v1, v1, v132
	v_mul_f32_e32 v113, v3, v169
	s_waitcnt vmcnt(4)
	v_fma_f32 v112, v122, v155, -v112
	v_add_f32_e32 v6, v6, v7
	v_fmac_f32_e32 v119, v123, v155
	v_add_f32_e32 v1, v1, v118
	v_mul_f32_e32 v7, v5, v170
	v_fmac_f32_e32 v8, v3, v137
	v_fma_f32 v2, v2, v137, -v113
	v_add_f32_e32 v3, v6, v112
	v_mul_f32_e32 v144, v4, v170
	v_add_f32_e32 v1, v1, v119
	s_waitcnt lgkmcnt(1)
	v_mul_f32_e32 v6, v125, v171
	v_fma_f32 v4, v4, v136, -v7
	v_add_f32_e32 v2, v3, v2
	v_mul_f32_e32 v147, v124, v171
	v_fmac_f32_e32 v144, v5, v136
	v_add_f32_e32 v1, v1, v8
	v_mul_f32_e32 v3, v127, v134
	v_fma_f32 v5, v124, v135, -v6
	v_add_f32_e32 v2, v2, v4
	v_mul_f32_e32 v149, v126, v134
	v_fmac_f32_e32 v147, v125, v135
	v_add_f32_e32 v1, v1, v144
	s_waitcnt lgkmcnt(0)
	v_mul_f32_e32 v4, v129, v148
	s_waitcnt vmcnt(1)
	v_fma_f32 v3, v126, v140, -v3
	v_add_f32_e32 v2, v2, v5
	v_mul_f32_e32 v150, v128, v148
	v_fmac_f32_e32 v149, v127, v140
	v_add_f32_e32 v1, v1, v147
	v_mul_f32_e32 v5, v131, v133
	v_fma_f32 v4, v128, v139, -v4
	v_add_f32_e32 v2, v2, v3
	v_mul_f32_e32 v116, v130, v133
	v_fmac_f32_e32 v150, v129, v139
	v_add_f32_e32 v1, v1, v149
	v_fma_f32 v3, v130, v138, -v5
	v_add_f32_e32 v2, v2, v4
	v_fmac_f32_e32 v116, v131, v138
	v_add_f32_e32 v1, v1, v150
	v_add_f32_e32 v2, v2, v3
	;; [unrolled: 1-line block ×3, first 2 shown]
	s_waitcnt vmcnt(0)
	v_sub_f32_e32 v2, v141, v2
	v_sub_f32_e32 v1, v162, v1
	buffer_store_dword v2, off, s[0:3], 0 offset:96
	buffer_store_dword v1, off, s[0:3], 0 offset:100
	v_cmpx_lt_u32_e32 11, v0
	s_cbranch_execz .LBB114_297
; %bb.296:
	s_clause 0x1
	buffer_load_dword v1, off, s[0:3], 0 offset:88
	buffer_load_dword v2, off, s[0:3], 0 offset:92
	v_mov_b32_e32 v3, 0
	buffer_store_dword v3, off, s[0:3], 0 offset:88
	buffer_store_dword v3, off, s[0:3], 0 offset:92
	s_waitcnt vmcnt(0)
	ds_write_b64 v111, v[1:2]
.LBB114_297:
	s_or_b32 exec_lo, exec_lo, s4
	s_waitcnt lgkmcnt(0)
	s_waitcnt_vscnt null, 0x0
	s_barrier
	buffer_gl0_inv
	s_clause 0x2c
	buffer_load_dword v6, off, s[0:3], 0 offset:100
	buffer_load_dword v7, off, s[0:3], 0 offset:108
	;; [unrolled: 1-line block ×45, first 2 shown]
	v_mov_b32_e32 v1, 0
	ds_read_b128 v[2:5], v1 offset:512
	ds_read_b128 v[112:115], v1 offset:528
	s_clause 0x2
	buffer_load_dword v160, off, s[0:3], 0 offset:92
	buffer_load_dword v161, off, s[0:3], 0 offset:276
	;; [unrolled: 1-line block ×3, first 2 shown]
	s_mov_b32 s4, exec_lo
	s_waitcnt vmcnt(47) lgkmcnt(1)
	v_mul_f32_e32 v158, v3, v6
	v_mul_f32_e32 v6, v2, v6
	s_waitcnt vmcnt(46)
	v_mul_f32_e32 v159, v4, v7
	v_mul_f32_e32 v7, v5, v7
	s_waitcnt vmcnt(43)
	v_fma_f32 v158, v2, v117, -v158
	v_fmac_f32_e32 v6, v3, v117
	v_fmac_f32_e32 v159, v5, v116
	v_fma_f32 v7, v4, v116, -v7
	ds_read_b128 v[2:5], v1 offset:544
	s_waitcnt vmcnt(42) lgkmcnt(1)
	v_mul_f32_e32 v116, v112, v118
	v_mul_f32_e32 v117, v113, v118
	s_waitcnt vmcnt(41)
	v_mul_f32_e32 v118, v114, v119
	v_mul_f32_e32 v119, v115, v119
	v_fmac_f32_e32 v116, v113, v8
	v_fma_f32 v8, v112, v8, -v117
	s_waitcnt vmcnt(37)
	v_fmac_f32_e32 v118, v115, v123
	v_fma_f32 v117, v114, v123, -v119
	ds_read_b128 v[112:115], v1 offset:560
	s_waitcnt vmcnt(36) lgkmcnt(1)
	v_mul_f32_e32 v119, v2, v124
	v_mul_f32_e32 v123, v3, v124
	s_waitcnt vmcnt(35)
	v_mul_f32_e32 v124, v4, v125
	v_mul_f32_e32 v125, v5, v125
	v_fmac_f32_e32 v119, v3, v122
	v_fma_f32 v122, v2, v122, -v123
	v_fmac_f32_e32 v124, v5, v121
	v_fma_f32 v121, v4, v121, -v125
	ds_read_b128 v[2:5], v1 offset:576
	s_waitcnt vmcnt(34) lgkmcnt(1)
	v_mul_f32_e32 v123, v112, v126
	v_mul_f32_e32 v125, v113, v126
	s_waitcnt vmcnt(33)
	v_mul_f32_e32 v126, v114, v127
	v_mul_f32_e32 v127, v115, v127
	v_fmac_f32_e32 v123, v113, v120
	v_fma_f32 v120, v112, v120, -v125
	s_waitcnt vmcnt(29)
	v_fmac_f32_e32 v126, v115, v131
	v_fma_f32 v125, v114, v131, -v127
	ds_read_b128 v[112:115], v1 offset:592
	s_waitcnt vmcnt(28) lgkmcnt(1)
	v_mul_f32_e32 v127, v2, v132
	v_mul_f32_e32 v131, v3, v132
	s_waitcnt vmcnt(27)
	v_mul_f32_e32 v132, v4, v133
	v_mul_f32_e32 v133, v5, v133
	v_fmac_f32_e32 v127, v3, v130
	v_fma_f32 v130, v2, v130, -v131
	;; [unrolled: 23-line block ×5, first 2 shown]
	v_fmac_f32_e32 v156, v5, v153
	v_fma_f32 v153, v4, v153, -v157
	s_clause 0x3
	buffer_load_dword v155, off, s[0:3], 0 offset:304
	buffer_load_dword v157, off, s[0:3], 0 offset:296
	;; [unrolled: 1-line block ×4, first 2 shown]
	s_waitcnt vmcnt(5) lgkmcnt(0)
	v_mul_f32_e32 v164, v112, v161
	v_mul_f32_e32 v3, v113, v161
	s_waitcnt vmcnt(4)
	v_mul_f32_e32 v161, v114, v162
	v_mul_f32_e32 v4, v115, v162
	s_clause 0x1
	buffer_load_dword v162, off, s[0:3], 0 offset:292
	buffer_load_dword v166, off, s[0:3], 0 offset:300
	v_fmac_f32_e32 v164, v113, v152
	v_fma_f32 v152, v112, v152, -v3
	v_add_f32_e32 v3, 0, v6
	buffer_load_dword v6, off, s[0:3], 0 offset:316
	v_add_f32_e32 v3, v3, v159
	v_add_f32_e32 v3, v3, v116
	;; [unrolled: 1-line block ×17, first 2 shown]
	s_waitcnt vmcnt(3)
	v_fmac_f32_e32 v161, v115, v2
	v_fma_f32 v165, v114, v2, -v4
	v_add_f32_e32 v2, 0, v158
	buffer_load_dword v158, off, s[0:3], 0 offset:308
	v_add_f32_e32 v2, v2, v7
	v_add_f32_e32 v2, v2, v8
	s_clause 0xa
	buffer_load_dword v8, off, s[0:3], 0 offset:336
	buffer_load_dword v159, off, s[0:3], 0 offset:328
	;; [unrolled: 1-line block ×11, first 2 shown]
	v_add_f32_e32 v2, v2, v117
	s_clause 0x3
	buffer_load_dword v175, off, s[0:3], 0 offset:380
	buffer_load_dword v176, off, s[0:3], 0 offset:388
	;; [unrolled: 1-line block ×4, first 2 shown]
	v_add_f32_e32 v2, v2, v122
	v_add_f32_e32 v2, v2, v121
	;; [unrolled: 1-line block ×9, first 2 shown]
	s_clause 0x3
	buffer_load_dword v129, off, s[0:3], 0 offset:368
	buffer_load_dword v130, off, s[0:3], 0 offset:360
	;; [unrolled: 1-line block ×4, first 2 shown]
	v_add_f32_e32 v2, v2, v128
	v_add_f32_e32 v2, v2, v133
	s_clause 0x4
	buffer_load_dword v128, off, s[0:3], 0 offset:400
	buffer_load_dword v131, off, s[0:3], 0 offset:392
	buffer_load_dword v132, off, s[0:3], 0 offset:384
	buffer_load_dword v133, off, s[0:3], 0 offset:376
	buffer_load_dword v134, off, s[0:3], 0 offset:88
	v_add_f32_e32 v2, v2, v138
	v_add_f32_e32 v112, v2, v137
	ds_read_b128 v[2:5], v1 offset:704
	v_add_f32_e32 v112, v112, v136
	v_add_f32_e32 v112, v112, v141
	;; [unrolled: 1-line block ×3, first 2 shown]
	ds_read_b128 v[112:115], v1 offset:720
	v_add_f32_e32 v117, v117, v145
	s_waitcnt vmcnt(27) lgkmcnt(1)
	v_mul_f32_e32 v135, v2, v162
	v_mul_f32_e32 v118, v3, v162
	s_waitcnt vmcnt(26)
	v_mul_f32_e32 v136, v4, v166
	v_mul_f32_e32 v119, v5, v166
	v_fmac_f32_e32 v135, v3, v163
	v_add_f32_e32 v3, v117, v144
	v_fma_f32 v137, v2, v163, -v118
	v_fmac_f32_e32 v136, v5, v157
	v_fma_f32 v138, v4, v157, -v119
	v_add_f32_e32 v124, v3, v149
	ds_read_b128 v[2:5], v1 offset:736
	ds_read_b128 v[116:119], v1 offset:752
	;; [unrolled: 1-line block ×3, first 2 shown]
	s_waitcnt vmcnt(25) lgkmcnt(3)
	v_mul_f32_e32 v140, v114, v6
	v_add_f32_e32 v124, v124, v154
	v_mul_f32_e32 v6, v115, v6
	v_add_f32_e32 v124, v124, v153
	s_waitcnt vmcnt(24)
	v_mul_f32_e32 v126, v113, v158
	v_mul_f32_e32 v139, v112, v158
	v_fma_f32 v141, v112, v155, -v126
	v_add_f32_e32 v112, v125, v156
	v_fmac_f32_e32 v139, v113, v155
	v_add_f32_e32 v113, v124, v152
	ds_read_b128 v[124:127], v1 offset:784
	s_waitcnt vmcnt(20)
	v_fma_f32 v142, v114, v7, -v6
	v_add_f32_e32 v143, v112, v164
	v_fmac_f32_e32 v140, v115, v7
	v_add_f32_e32 v144, v113, v165
	s_waitcnt vmcnt(19) lgkmcnt(3)
	v_mul_f32_e32 v145, v2, v168
	s_waitcnt vmcnt(18)
	v_mul_f32_e32 v147, v5, v169
	v_add_f32_e32 v143, v143, v161
	v_mul_f32_e32 v146, v4, v169
	v_add_f32_e32 v137, v144, v137
	v_mul_f32_e32 v144, v3, v168
	v_fmac_f32_e32 v145, v3, v167
	v_add_f32_e32 v135, v143, v135
	s_waitcnt vmcnt(17) lgkmcnt(2)
	v_mul_f32_e32 v143, v116, v170
	v_add_f32_e32 v137, v137, v138
	v_fma_f32 v2, v2, v167, -v144
	v_mul_f32_e32 v144, v117, v170
	v_add_f32_e32 v135, v135, v136
	v_fma_f32 v4, v4, v159, -v147
	v_add_f32_e32 v137, v137, v141
	v_fmac_f32_e32 v146, v5, v159
	v_fmac_f32_e32 v143, v117, v8
	v_add_f32_e32 v135, v135, v139
	v_fma_f32 v8, v116, v8, -v144
	v_add_f32_e32 v137, v137, v142
	s_waitcnt vmcnt(16)
	v_mul_f32_e32 v138, v118, v171
	ds_read_b128 v[112:115], v1 offset:800
	ds_read_b64 v[6:7], v1 offset:816
	v_add_f32_e32 v135, v135, v140
	s_waitcnt vmcnt(15) lgkmcnt(3)
	v_mul_f32_e32 v148, v120, v172
	v_add_f32_e32 v2, v137, v2
	s_waitcnt vmcnt(14)
	v_mul_f32_e32 v136, v122, v173
	s_waitcnt vmcnt(13) lgkmcnt(2)
	v_mul_f32_e32 v141, v124, v174
	v_add_f32_e32 v5, v135, v145
	v_mul_f32_e32 v135, v119, v171
	v_add_f32_e32 v2, v2, v4
	s_waitcnt vmcnt(6)
	v_fmac_f32_e32 v148, v121, v179
	s_waitcnt vmcnt(5)
	v_fmac_f32_e32 v138, v119, v180
	v_add_f32_e32 v4, v5, v146
	v_mul_f32_e32 v5, v121, v172
	v_fma_f32 v116, v118, v180, -v135
	v_add_f32_e32 v2, v2, v8
	v_mul_f32_e32 v8, v123, v173
	v_add_f32_e32 v4, v4, v143
	v_fma_f32 v5, v120, v179, -v5
	v_fmac_f32_e32 v136, v123, v130
	v_add_f32_e32 v2, v2, v116
	v_mul_f32_e32 v116, v125, v174
	v_add_f32_e32 v4, v4, v138
	v_fma_f32 v8, v122, v130, -v8
	v_mul_f32_e32 v3, v126, v175
	v_add_f32_e32 v2, v2, v5
	v_mul_f32_e32 v5, v127, v175
	v_add_f32_e32 v4, v4, v148
	v_fma_f32 v116, v124, v129, -v116
	v_fmac_f32_e32 v141, v125, v129
	v_add_f32_e32 v2, v2, v8
	s_waitcnt lgkmcnt(1)
	v_mul_f32_e32 v8, v113, v176
	v_add_f32_e32 v4, v4, v136
	s_waitcnt vmcnt(1)
	v_fma_f32 v5, v126, v133, -v5
	v_mul_f32_e32 v139, v112, v176
	v_add_f32_e32 v2, v2, v116
	v_fmac_f32_e32 v3, v127, v133
	v_add_f32_e32 v4, v4, v141
	v_mul_f32_e32 v116, v115, v177
	v_fma_f32 v8, v112, v132, -v8
	v_add_f32_e32 v2, v2, v5
	v_mul_f32_e32 v142, v114, v177
	v_fmac_f32_e32 v139, v113, v132
	v_add_f32_e32 v3, v4, v3
	s_waitcnt lgkmcnt(0)
	v_mul_f32_e32 v4, v7, v178
	v_fma_f32 v5, v114, v131, -v116
	v_add_f32_e32 v2, v2, v8
	v_mul_f32_e32 v140, v6, v178
	v_fmac_f32_e32 v142, v115, v131
	v_add_f32_e32 v3, v3, v139
	v_fma_f32 v4, v6, v128, -v4
	v_add_f32_e32 v2, v2, v5
	v_fmac_f32_e32 v140, v7, v128
	v_add_f32_e32 v3, v3, v142
	v_add_f32_e32 v2, v2, v4
	;; [unrolled: 1-line block ×3, first 2 shown]
	s_waitcnt vmcnt(0)
	v_sub_f32_e32 v2, v134, v2
	v_sub_f32_e32 v3, v160, v3
	buffer_store_dword v2, off, s[0:3], 0 offset:88
	buffer_store_dword v3, off, s[0:3], 0 offset:92
	v_cmpx_lt_u32_e32 10, v0
	s_cbranch_execz .LBB114_299
; %bb.298:
	s_clause 0x1
	buffer_load_dword v2, off, s[0:3], 0 offset:80
	buffer_load_dword v3, off, s[0:3], 0 offset:84
	buffer_store_dword v1, off, s[0:3], 0 offset:80
	buffer_store_dword v1, off, s[0:3], 0 offset:84
	s_waitcnt vmcnt(0)
	ds_write_b64 v111, v[2:3]
.LBB114_299:
	s_or_b32 exec_lo, exec_lo, s4
	s_waitcnt lgkmcnt(0)
	s_waitcnt_vscnt null, 0x0
	s_barrier
	buffer_gl0_inv
	s_clause 0x2c
	buffer_load_dword v6, off, s[0:3], 0 offset:92
	buffer_load_dword v7, off, s[0:3], 0 offset:100
	;; [unrolled: 1-line block ×45, first 2 shown]
	ds_read2_b64 v[2:5], v1 offset0:63 offset1:64
	ds_read2_b64 v[112:115], v1 offset0:65 offset1:66
	s_clause 0x2
	buffer_load_dword v160, off, s[0:3], 0 offset:84
	buffer_load_dword v161, off, s[0:3], 0 offset:268
	;; [unrolled: 1-line block ×3, first 2 shown]
	s_mov_b32 s4, exec_lo
	s_waitcnt vmcnt(47) lgkmcnt(1)
	v_mul_f32_e32 v158, v3, v6
	v_mul_f32_e32 v6, v2, v6
	s_waitcnt vmcnt(46)
	v_mul_f32_e32 v159, v4, v7
	v_mul_f32_e32 v7, v5, v7
	s_waitcnt vmcnt(43)
	v_fma_f32 v158, v2, v117, -v158
	v_fmac_f32_e32 v6, v3, v117
	v_fmac_f32_e32 v159, v5, v116
	v_fma_f32 v7, v4, v116, -v7
	ds_read2_b64 v[2:5], v1 offset0:67 offset1:68
	s_waitcnt vmcnt(42) lgkmcnt(1)
	v_mul_f32_e32 v116, v112, v118
	v_mul_f32_e32 v117, v113, v118
	s_waitcnt vmcnt(41)
	v_mul_f32_e32 v118, v114, v119
	v_mul_f32_e32 v119, v115, v119
	v_fmac_f32_e32 v116, v113, v8
	v_fma_f32 v8, v112, v8, -v117
	s_waitcnt vmcnt(37)
	v_fmac_f32_e32 v118, v115, v123
	v_fma_f32 v117, v114, v123, -v119
	ds_read2_b64 v[112:115], v1 offset0:69 offset1:70
	s_waitcnt vmcnt(36) lgkmcnt(1)
	v_mul_f32_e32 v119, v2, v124
	v_mul_f32_e32 v123, v3, v124
	s_waitcnt vmcnt(35)
	v_mul_f32_e32 v124, v4, v125
	v_mul_f32_e32 v125, v5, v125
	v_fmac_f32_e32 v119, v3, v122
	v_fma_f32 v122, v2, v122, -v123
	v_fmac_f32_e32 v124, v5, v121
	v_fma_f32 v121, v4, v121, -v125
	ds_read2_b64 v[2:5], v1 offset0:71 offset1:72
	s_waitcnt vmcnt(34) lgkmcnt(1)
	v_mul_f32_e32 v123, v112, v126
	v_mul_f32_e32 v125, v113, v126
	s_waitcnt vmcnt(33)
	v_mul_f32_e32 v126, v114, v127
	v_mul_f32_e32 v127, v115, v127
	v_fmac_f32_e32 v123, v113, v120
	v_fma_f32 v120, v112, v120, -v125
	s_waitcnt vmcnt(29)
	v_fmac_f32_e32 v126, v115, v131
	v_fma_f32 v125, v114, v131, -v127
	ds_read2_b64 v[112:115], v1 offset0:73 offset1:74
	s_waitcnt vmcnt(28) lgkmcnt(1)
	v_mul_f32_e32 v127, v2, v132
	v_mul_f32_e32 v131, v3, v132
	s_waitcnt vmcnt(27)
	v_mul_f32_e32 v132, v4, v133
	v_mul_f32_e32 v133, v5, v133
	v_fmac_f32_e32 v127, v3, v130
	v_fma_f32 v130, v2, v130, -v131
	;; [unrolled: 23-line block ×5, first 2 shown]
	v_fmac_f32_e32 v156, v5, v153
	v_fma_f32 v153, v4, v153, -v157
	s_clause 0x5
	buffer_load_dword v155, off, s[0:3], 0 offset:296
	buffer_load_dword v157, off, s[0:3], 0 offset:288
	;; [unrolled: 1-line block ×6, first 2 shown]
	v_add_f32_e32 v4, 0, v6
	buffer_load_dword v6, off, s[0:3], 0 offset:300
	v_add_f32_e32 v3, 0, v158
	s_waitcnt vmcnt(8) lgkmcnt(0)
	v_mul_f32_e32 v5, v113, v161
	s_waitcnt vmcnt(7)
	v_mul_f32_e32 v168, v114, v162
	v_add_f32_e32 v4, v4, v159
	v_add_f32_e32 v3, v3, v7
	v_mul_f32_e32 v7, v112, v161
	v_add_f32_e32 v4, v4, v116
	v_add_f32_e32 v3, v3, v8
	s_clause 0x7
	buffer_load_dword v8, off, s[0:3], 0 offset:308
	buffer_load_dword v158, off, s[0:3], 0 offset:328
	;; [unrolled: 1-line block ×8, first 2 shown]
	v_add_f32_e32 v3, v3, v117
	v_add_f32_e32 v4, v4, v118
	v_fmac_f32_e32 v7, v113, v152
	v_fma_f32 v152, v112, v152, -v5
	v_mul_f32_e32 v5, v115, v162
	v_add_f32_e32 v3, v3, v122
	v_add_f32_e32 v4, v4, v119
	s_clause 0x7
	buffer_load_dword v162, off, s[0:3], 0 offset:324
	buffer_load_dword v171, off, s[0:3], 0 offset:348
	buffer_load_dword v172, off, s[0:3], 0 offset:356
	buffer_load_dword v173, off, s[0:3], 0 offset:364
	buffer_load_dword v174, off, s[0:3], 0 offset:372
	buffer_load_dword v175, off, s[0:3], 0 offset:380
	buffer_load_dword v176, off, s[0:3], 0 offset:388
	buffer_load_dword v177, off, s[0:3], 0 offset:396
	v_add_f32_e32 v3, v3, v121
	v_add_f32_e32 v4, v4, v124
	buffer_load_dword v178, off, s[0:3], 0 offset:404
	s_waitcnt vmcnt(20)
	v_fmac_f32_e32 v168, v115, v2
	v_fma_f32 v124, v114, v2, -v5
	v_add_f32_e32 v2, v3, v120
	v_add_f32_e32 v3, v4, v123
	;; [unrolled: 1-line block ×8, first 2 shown]
	s_clause 0x3
	buffer_load_dword v132, off, s[0:3], 0 offset:360
	buffer_load_dword v179, off, s[0:3], 0 offset:352
	;; [unrolled: 1-line block ×4, first 2 shown]
	v_add_f32_e32 v2, v2, v128
	v_add_f32_e32 v3, v3, v131
	;; [unrolled: 1-line block ×4, first 2 shown]
	s_clause 0x3
	buffer_load_dword v133, off, s[0:3], 0 offset:392
	buffer_load_dword v134, off, s[0:3], 0 offset:384
	;; [unrolled: 1-line block ×4, first 2 shown]
	v_add_f32_e32 v2, v2, v138
	buffer_load_dword v138, off, s[0:3], 0 offset:400
	v_add_f32_e32 v3, v3, v135
	buffer_load_dword v135, off, s[0:3], 0 offset:80
	v_add_f32_e32 v2, v2, v137
	v_add_f32_e32 v3, v3, v140
	;; [unrolled: 1-line block ×4, first 2 shown]
	ds_read2_b64 v[2:5], v1 offset0:87 offset1:88
	v_add_f32_e32 v112, v112, v141
	v_add_f32_e32 v113, v113, v142
	v_add_f32_e32 v116, v112, v146
	v_add_f32_e32 v117, v113, v143
	ds_read2_b64 v[112:115], v1 offset0:89 offset1:90
	v_add_f32_e32 v116, v116, v145
	v_add_f32_e32 v117, v117, v148
	;; [unrolled: 1-line block ×4, first 2 shown]
	s_waitcnt vmcnt(29) lgkmcnt(1)
	v_mul_f32_e32 v136, v2, v164
	v_mul_f32_e32 v118, v3, v164
	s_waitcnt vmcnt(28)
	v_mul_f32_e32 v137, v4, v165
	v_mul_f32_e32 v119, v5, v165
	v_add_f32_e32 v121, v116, v149
	v_fmac_f32_e32 v136, v3, v163
	v_fma_f32 v128, v2, v163, -v118
	v_fmac_f32_e32 v137, v5, v157
	v_fma_f32 v139, v4, v157, -v119
	ds_read2_b64 v[2:5], v1 offset0:91 offset1:92
	ds_read2_b64 v[116:119], v1 offset0:93 offset1:94
	v_add_f32_e32 v120, v120, v150
	s_waitcnt vmcnt(27) lgkmcnt(2)
	v_mul_f32_e32 v140, v112, v6
	v_add_f32_e32 v121, v121, v154
	v_mul_f32_e32 v6, v113, v6
	s_waitcnt vmcnt(26)
	v_mul_f32_e32 v141, v114, v8
	v_add_f32_e32 v120, v120, v151
	v_fmac_f32_e32 v140, v113, v155
	v_add_f32_e32 v113, v121, v153
	v_mul_f32_e32 v8, v115, v8
	v_fma_f32 v6, v112, v155, -v6
	v_add_f32_e32 v125, v120, v156
	s_waitcnt vmcnt(22)
	v_fmac_f32_e32 v141, v115, v166
	v_add_f32_e32 v126, v113, v152
	v_fma_f32 v8, v114, v166, -v8
	ds_read2_b64 v[112:115], v1 offset0:95 offset1:96
	ds_read2_b64 v[120:123], v1 offset0:97 offset1:98
	v_add_f32_e32 v7, v125, v7
	v_add_f32_e32 v130, v126, v124
	s_waitcnt vmcnt(21) lgkmcnt(3)
	v_mul_f32_e32 v142, v2, v167
	v_mul_f32_e32 v129, v3, v167
	v_add_f32_e32 v7, v7, v168
	ds_read2_b64 v[124:127], v1 offset0:99 offset1:100
	s_waitcnt vmcnt(20) lgkmcnt(3)
	v_mul_f32_e32 v143, v117, v169
	v_fmac_f32_e32 v142, v3, v161
	v_add_f32_e32 v3, v130, v128
	v_fma_f32 v2, v2, v161, -v129
	ds_read2_b64 v[128:131], v1 offset0:101 offset1:102
	v_add_f32_e32 v1, v7, v136
	s_waitcnt vmcnt(18)
	v_mul_f32_e32 v136, v5, v162
	v_add_f32_e32 v3, v3, v139
	v_mul_f32_e32 v7, v4, v162
	v_mul_f32_e32 v139, v116, v169
	v_add_f32_e32 v1, v1, v137
	v_fma_f32 v4, v4, v159, -v136
	v_add_f32_e32 v3, v3, v6
	v_fmac_f32_e32 v7, v5, v159
	v_fma_f32 v116, v116, v158, -v143
	v_add_f32_e32 v1, v1, v140
	v_mul_f32_e32 v137, v118, v170
	v_add_f32_e32 v3, v3, v8
	v_mul_f32_e32 v8, v119, v170
	v_fmac_f32_e32 v139, v117, v158
	v_add_f32_e32 v1, v1, v141
	s_waitcnt vmcnt(17) lgkmcnt(3)
	v_mul_f32_e32 v5, v112, v171
	v_add_f32_e32 v2, v3, v2
	s_waitcnt vmcnt(16)
	v_mul_f32_e32 v136, v114, v172
	s_waitcnt vmcnt(15) lgkmcnt(2)
	v_mul_f32_e32 v6, v120, v173
	v_add_f32_e32 v1, v1, v142
	s_waitcnt vmcnt(14)
	v_mul_f32_e32 v140, v122, v174
	v_add_f32_e32 v2, v2, v4
	v_mul_f32_e32 v4, v113, v171
	s_waitcnt vmcnt(13) lgkmcnt(1)
	v_mul_f32_e32 v144, v124, v175
	v_add_f32_e32 v1, v1, v7
	s_waitcnt vmcnt(12)
	v_mul_f32_e32 v141, v126, v176
	v_add_f32_e32 v2, v2, v116
	s_waitcnt vmcnt(11) lgkmcnt(0)
	v_mul_f32_e32 v145, v128, v177
	s_waitcnt vmcnt(10)
	v_mul_f32_e32 v3, v130, v178
	v_add_f32_e32 v1, v1, v139
	s_waitcnt vmcnt(9)
	v_fmac_f32_e32 v6, v121, v132
	s_waitcnt vmcnt(8)
	v_fmac_f32_e32 v136, v115, v179
	s_waitcnt vmcnt(7)
	v_fma_f32 v4, v112, v180, -v4
	s_waitcnt vmcnt(6)
	v_fma_f32 v7, v118, v181, -v8
	v_fmac_f32_e32 v137, v119, v181
	v_mul_f32_e32 v8, v115, v172
	v_fmac_f32_e32 v5, v113, v180
	v_add_f32_e32 v2, v2, v7
	v_add_f32_e32 v1, v1, v137
	v_mul_f32_e32 v7, v121, v173
	v_fma_f32 v8, v114, v179, -v8
	s_waitcnt vmcnt(3)
	v_fmac_f32_e32 v144, v125, v182
	v_add_f32_e32 v2, v2, v4
	v_add_f32_e32 v1, v1, v5
	v_mul_f32_e32 v4, v123, v174
	v_fma_f32 v5, v120, v132, -v7
	v_mul_f32_e32 v7, v125, v175
	v_add_f32_e32 v2, v2, v8
	v_add_f32_e32 v1, v1, v136
	s_waitcnt vmcnt(2)
	v_fma_f32 v4, v122, v183, -v4
	v_fmac_f32_e32 v140, v123, v183
	v_fmac_f32_e32 v141, v127, v134
	v_add_f32_e32 v2, v2, v5
	v_add_f32_e32 v1, v1, v6
	v_mul_f32_e32 v5, v127, v176
	v_fma_f32 v6, v124, v182, -v7
	v_fmac_f32_e32 v145, v129, v133
	v_add_f32_e32 v2, v2, v4
	v_add_f32_e32 v1, v1, v140
	v_mul_f32_e32 v4, v129, v177
	v_fma_f32 v5, v126, v134, -v5
	s_waitcnt vmcnt(1)
	v_fmac_f32_e32 v3, v131, v138
	v_add_f32_e32 v2, v2, v6
	v_add_f32_e32 v1, v1, v144
	v_mul_f32_e32 v6, v131, v178
	v_fma_f32 v4, v128, v133, -v4
	v_add_f32_e32 v2, v2, v5
	v_add_f32_e32 v1, v1, v141
	v_fma_f32 v5, v130, v138, -v6
	v_add_f32_e32 v2, v2, v4
	v_add_f32_e32 v1, v1, v145
	;; [unrolled: 1-line block ×4, first 2 shown]
	s_waitcnt vmcnt(0)
	v_sub_f32_e32 v2, v135, v2
	v_sub_f32_e32 v1, v160, v1
	buffer_store_dword v2, off, s[0:3], 0 offset:80
	buffer_store_dword v1, off, s[0:3], 0 offset:84
	v_cmpx_lt_u32_e32 9, v0
	s_cbranch_execz .LBB114_301
; %bb.300:
	s_clause 0x1
	buffer_load_dword v1, off, s[0:3], 0 offset:72
	buffer_load_dword v2, off, s[0:3], 0 offset:76
	v_mov_b32_e32 v3, 0
	buffer_store_dword v3, off, s[0:3], 0 offset:72
	buffer_store_dword v3, off, s[0:3], 0 offset:76
	s_waitcnt vmcnt(0)
	ds_write_b64 v111, v[1:2]
.LBB114_301:
	s_or_b32 exec_lo, exec_lo, s4
	s_waitcnt lgkmcnt(0)
	s_waitcnt_vscnt null, 0x0
	s_barrier
	buffer_gl0_inv
	s_clause 0x24
	buffer_load_dword v2, off, s[0:3], 0 offset:84
	buffer_load_dword v3, off, s[0:3], 0 offset:92
	;; [unrolled: 1-line block ×37, first 2 shown]
	v_mov_b32_e32 v1, 0
	ds_read_b128 v[120:123], v1 offset:496
	ds_read_b128 v[124:127], v1 offset:512
	;; [unrolled: 1-line block ×3, first 2 shown]
	s_clause 0x1
	buffer_load_dword v158, off, s[0:3], 0 offset:228
	buffer_load_dword v159, off, s[0:3], 0 offset:76
	ds_read_b128 v[132:135], v1 offset:544
	s_mov_b32 s4, exec_lo
	s_waitcnt vmcnt(38) lgkmcnt(3)
	v_mul_f32_e32 v160, v121, v2
	v_mul_f32_e32 v2, v120, v2
	s_waitcnt vmcnt(37)
	v_mul_f32_e32 v161, v122, v3
	v_mul_f32_e32 v3, v123, v3
	s_waitcnt vmcnt(34)
	v_fma_f32 v160, v120, v138, -v160
	v_fmac_f32_e32 v2, v121, v138
	v_fmac_f32_e32 v161, v123, v137
	v_fma_f32 v3, v122, v137, -v3
	ds_read_b128 v[120:123], v1 offset:560
	s_waitcnt vmcnt(33) lgkmcnt(3)
	v_mul_f32_e32 v137, v124, v139
	v_mul_f32_e32 v138, v125, v139
	s_waitcnt vmcnt(32)
	v_mul_f32_e32 v139, v126, v140
	v_mul_f32_e32 v140, v127, v140
	s_waitcnt vmcnt(31) lgkmcnt(2)
	v_mul_f32_e32 v162, v128, v141
	v_fmac_f32_e32 v137, v125, v136
	v_fma_f32 v136, v124, v136, -v138
	s_waitcnt vmcnt(26)
	v_fmac_f32_e32 v139, v127, v146
	v_fma_f32 v140, v126, v146, -v140
	ds_read_b128 v[124:127], v1 offset:576
	v_mul_f32_e32 v141, v129, v141
	v_mul_f32_e32 v138, v130, v142
	;; [unrolled: 1-line block ×3, first 2 shown]
	v_fmac_f32_e32 v162, v129, v145
	s_waitcnt vmcnt(24) lgkmcnt(2)
	v_mul_f32_e32 v146, v134, v148
	v_fma_f32 v141, v128, v145, -v141
	v_fmac_f32_e32 v138, v131, v144
	v_fma_f32 v142, v130, v144, -v142
	v_mul_f32_e32 v144, v132, v147
	v_mul_f32_e32 v145, v133, v147
	;; [unrolled: 1-line block ×3, first 2 shown]
	ds_read_b128 v[128:131], v1 offset:592
	s_waitcnt vmcnt(19)
	v_fmac_f32_e32 v146, v135, v151
	v_fmac_f32_e32 v144, v133, v143
	v_fma_f32 v132, v132, v143, -v145
	v_fma_f32 v133, v134, v151, -v147
	s_clause 0x4
	buffer_load_dword v134, off, s[0:3], 0 offset:236
	buffer_load_dword v135, off, s[0:3], 0 offset:256
	;; [unrolled: 1-line block ×5, first 2 shown]
	s_waitcnt lgkmcnt(2)
	v_mul_f32_e32 v148, v120, v149
	v_mul_f32_e32 v149, v121, v149
	s_waitcnt vmcnt(23)
	v_mul_f32_e32 v151, v122, v152
	v_mul_f32_e32 v152, v123, v152
	s_waitcnt vmcnt(21) lgkmcnt(1)
	v_mul_f32_e32 v163, v126, v154
	v_fmac_f32_e32 v148, v121, v150
	v_fma_f32 v149, v120, v150, -v149
	v_mul_f32_e32 v150, v124, v153
	v_mul_f32_e32 v120, v125, v153
	buffer_load_dword v153, off, s[0:3], 0 offset:244
	v_fmac_f32_e32 v151, v123, v117
	v_fma_f32 v152, v122, v117, -v152
	v_mul_f32_e32 v117, v127, v154
	v_fmac_f32_e32 v150, v125, v8
	v_fma_f32 v8, v124, v8, -v120
	ds_read_b128 v[120:123], v1 offset:608
	s_waitcnt vmcnt(18)
	v_fmac_f32_e32 v163, v127, v155
	v_fma_f32 v154, v126, v155, -v117
	ds_read_b128 v[124:127], v1 offset:624
	s_waitcnt vmcnt(17) lgkmcnt(2)
	v_mul_f32_e32 v155, v128, v156
	v_mul_f32_e32 v117, v129, v156
	s_waitcnt vmcnt(16)
	v_mul_f32_e32 v156, v130, v157
	v_mul_f32_e32 v157, v131, v157
	v_add_f32_e32 v2, 0, v2
	v_fmac_f32_e32 v155, v129, v118
	v_fma_f32 v128, v128, v118, -v117
	v_fmac_f32_e32 v156, v131, v112
	v_fma_f32 v129, v130, v112, -v157
	s_clause 0x2
	buffer_load_dword v130, off, s[0:3], 0 offset:252
	buffer_load_dword v131, off, s[0:3], 0 offset:260
	;; [unrolled: 1-line block ×3, first 2 shown]
	s_waitcnt vmcnt(18) lgkmcnt(1)
	v_mul_f32_e32 v157, v120, v114
	v_mul_f32_e32 v112, v121, v114
	s_waitcnt vmcnt(17)
	v_mul_f32_e32 v164, v122, v113
	v_mul_f32_e32 v113, v123, v113
	v_fmac_f32_e32 v157, v121, v5
	v_fma_f32 v121, v120, v5, -v112
	s_waitcnt vmcnt(13)
	v_fmac_f32_e32 v164, v123, v119
	s_waitcnt vmcnt(12) lgkmcnt(0)
	v_mul_f32_e32 v123, v124, v116
	v_mul_f32_e32 v5, v125, v116
	s_waitcnt vmcnt(11)
	v_mul_f32_e32 v116, v126, v115
	v_mul_f32_e32 v112, v127, v115
	v_fma_f32 v122, v122, v119, -v113
	ds_read_b128 v[117:120], v1 offset:640
	v_fmac_f32_e32 v123, v125, v7
	v_fma_f32 v7, v124, v7, -v5
	v_fmac_f32_e32 v116, v127, v6
	v_fma_f32 v6, v126, v6, -v112
	s_clause 0x4
	buffer_load_dword v124, off, s[0:3], 0 offset:288
	buffer_load_dword v125, off, s[0:3], 0 offset:280
	;; [unrolled: 1-line block ×5, first 2 shown]
	v_add_f32_e32 v5, 0, v160
	v_add_f32_e32 v3, v5, v3
	;; [unrolled: 1-line block ×3, first 2 shown]
	s_waitcnt vmcnt(15) lgkmcnt(0)
	v_mul_f32_e32 v160, v117, v158
	v_mul_f32_e32 v112, v118, v158
	v_add_f32_e32 v113, v113, v140
	v_fmac_f32_e32 v160, v118, v4
	buffer_load_dword v118, off, s[0:3], 0 offset:284
	v_fma_f32 v117, v117, v4, -v112
	v_add_f32_e32 v112, v2, v161
	ds_read_b128 v[2:5], v1 offset:656
	v_add_f32_e32 v113, v113, v141
	v_add_f32_e32 v112, v112, v137
	buffer_load_dword v137, off, s[0:3], 0 offset:300
	v_add_f32_e32 v112, v112, v139
	v_add_f32_e32 v139, v113, v142
	;; [unrolled: 1-line block ×3, first 2 shown]
	s_waitcnt vmcnt(15)
	v_mul_f32_e32 v136, v119, v134
	v_mul_f32_e32 v114, v120, v134
	buffer_load_dword v134, off, s[0:3], 0 offset:292
	s_waitcnt vmcnt(12)
	v_fmac_f32_e32 v136, v120, v147
	v_add_f32_e32 v120, v112, v162
	v_fma_f32 v119, v119, v147, -v114
	ds_read_b128 v[112:115], v1 offset:672
	v_add_f32_e32 v120, v120, v138
	s_clause 0x3
	buffer_load_dword v138, off, s[0:3], 0 offset:320
	buffer_load_dword v139, off, s[0:3], 0 offset:312
	buffer_load_dword v142, off, s[0:3], 0 offset:304
	buffer_load_dword v147, off, s[0:3], 0 offset:296
	s_waitcnt vmcnt(15) lgkmcnt(1)
	v_mul_f32_e32 v140, v2, v153
	v_mul_f32_e32 v141, v3, v153
	v_fmac_f32_e32 v140, v3, v145
	v_fma_f32 v141, v2, v145, -v141
	v_add_f32_e32 v2, v120, v144
	s_clause 0x1
	buffer_load_dword v144, off, s[0:3], 0 offset:308
	buffer_load_dword v145, off, s[0:3], 0 offset:316
	v_add_f32_e32 v3, v132, v133
	buffer_load_dword v132, off, s[0:3], 0 offset:324
	v_add_f32_e32 v2, v2, v146
	v_add_f32_e32 v3, v3, v149
	;; [unrolled: 1-line block ×3, first 2 shown]
	s_waitcnt vmcnt(17)
	v_mul_f32_e32 v120, v4, v130
	v_add_f32_e32 v152, v3, v152
	v_mul_f32_e32 v130, v5, v130
	v_add_f32_e32 v133, v133, v151
	s_waitcnt vmcnt(16) lgkmcnt(0)
	v_mul_f32_e32 v151, v112, v131
	v_add_f32_e32 v8, v152, v8
	v_mul_f32_e32 v131, v113, v131
	v_fmac_f32_e32 v120, v5, v143
	v_add_f32_e32 v133, v133, v150
	v_fma_f32 v130, v4, v143, -v130
	s_clause 0x3
	buffer_load_dword v143, off, s[0:3], 0 offset:332
	buffer_load_dword v146, off, s[0:3], 0 offset:340
	;; [unrolled: 1-line block ×4, first 2 shown]
	ds_read_b128 v[2:5], v1 offset:688
	v_add_f32_e32 v8, v8, v154
	s_waitcnt vmcnt(19)
	v_mul_f32_e32 v152, v114, v165
	v_mul_f32_e32 v150, v115, v165
	v_fma_f32 v131, v112, v135, -v131
	v_add_f32_e32 v112, v133, v163
	v_add_f32_e32 v8, v8, v128
	v_fmac_f32_e32 v151, v113, v135
	s_clause 0x3
	buffer_load_dword v133, off, s[0:3], 0 offset:364
	buffer_load_dword v135, off, s[0:3], 0 offset:372
	;; [unrolled: 1-line block ×4, first 2 shown]
	v_add_f32_e32 v112, v112, v155
	v_add_f32_e32 v8, v8, v129
	s_waitcnt vmcnt(19)
	v_fmac_f32_e32 v152, v115, v127
	v_fma_f32 v127, v114, v127, -v150
	s_clause 0x5
	buffer_load_dword v150, off, s[0:3], 0 offset:396
	buffer_load_dword v128, off, s[0:3], 0 offset:352
	buffer_load_dword v155, off, s[0:3], 0 offset:344
	buffer_load_dword v158, off, s[0:3], 0 offset:336
	buffer_load_dword v161, off, s[0:3], 0 offset:328
	buffer_load_dword v162, off, s[0:3], 0 offset:404
	v_add_f32_e32 v129, v112, v156
	v_add_f32_e32 v8, v8, v121
	ds_read_b128 v[112:115], v1 offset:704
	s_waitcnt vmcnt(24) lgkmcnt(1)
	v_mul_f32_e32 v156, v3, v166
	v_add_f32_e32 v121, v129, v157
	v_mul_f32_e32 v129, v2, v166
	v_add_f32_e32 v8, v8, v122
	v_fmac_f32_e32 v129, v3, v126
	v_fma_f32 v126, v2, v126, -v156
	v_add_f32_e32 v3, v8, v7
	s_clause 0x3
	buffer_load_dword v8, off, s[0:3], 0 offset:384
	buffer_load_dword v156, off, s[0:3], 0 offset:376
	;; [unrolled: 1-line block ×4, first 2 shown]
	v_add_f32_e32 v2, v121, v164
	s_clause 0x2
	buffer_load_dword v164, off, s[0:3], 0 offset:400
	buffer_load_dword v165, off, s[0:3], 0 offset:392
	;; [unrolled: 1-line block ×3, first 2 shown]
	v_add_f32_e32 v3, v3, v6
	s_waitcnt vmcnt(30)
	v_mul_f32_e32 v167, v4, v118
	v_add_f32_e32 v2, v2, v123
	v_add_f32_e32 v6, v3, v117
	v_mul_f32_e32 v3, v5, v118
	v_add_f32_e32 v2, v2, v116
	v_fmac_f32_e32 v167, v5, v125
	s_waitcnt vmcnt(29) lgkmcnt(0)
	v_mul_f32_e32 v122, v115, v137
	v_add_f32_e32 v6, v6, v119
	ds_read_b128 v[116:119], v1 offset:736
	v_add_f32_e32 v7, v2, v160
	v_fma_f32 v160, v4, v125, -v3
	ds_read_b128 v[2:5], v1 offset:720
	v_add_f32_e32 v6, v6, v141
	v_add_f32_e32 v7, v7, v136
	;; [unrolled: 1-line block ×9, first 2 shown]
	s_waitcnt vmcnt(28)
	v_mul_f32_e32 v136, v112, v134
	v_mul_f32_e32 v121, v113, v134
	;; [unrolled: 1-line block ×3, first 2 shown]
	v_fmac_f32_e32 v136, v113, v124
	v_fma_f32 v137, v112, v124, -v121
	s_waitcnt vmcnt(24)
	v_fma_f32 v130, v114, v147, -v122
	v_fmac_f32_e32 v134, v115, v147
	ds_read_b128 v[112:115], v1 offset:752
	ds_read_b128 v[120:123], v1 offset:768
	s_waitcnt vmcnt(23) lgkmcnt(2)
	v_mul_f32_e32 v131, v2, v144
	v_mul_f32_e32 v124, v3, v144
	s_waitcnt vmcnt(22)
	v_mul_f32_e32 v140, v4, v145
	v_mul_f32_e32 v141, v5, v145
	s_waitcnt vmcnt(21)
	v_mul_f32_e32 v144, v116, v132
	v_fmac_f32_e32 v131, v3, v142
	v_fma_f32 v142, v2, v142, -v124
	v_add_f32_e32 v2, v7, v152
	v_fmac_f32_e32 v140, v5, v139
	v_fma_f32 v139, v4, v139, -v141
	v_add_f32_e32 v141, v6, v160
	v_mul_f32_e32 v132, v117, v132
	v_add_f32_e32 v129, v2, v129
	v_fmac_f32_e32 v144, v117, v138
	ds_read_b128 v[124:127], v1 offset:784
	ds_read_b128 v[2:5], v1 offset:800
	v_add_f32_e32 v137, v141, v137
	v_add_f32_e32 v129, v129, v167
	v_fma_f32 v116, v116, v138, -v132
	s_waitcnt vmcnt(20)
	v_mul_f32_e32 v141, v119, v143
	v_mul_f32_e32 v145, v118, v143
	v_add_f32_e32 v130, v137, v130
	v_add_f32_e32 v129, v129, v136
	s_waitcnt vmcnt(19) lgkmcnt(3)
	v_mul_f32_e32 v136, v112, v146
	v_mul_f32_e32 v138, v113, v146
	s_waitcnt vmcnt(18)
	v_mul_f32_e32 v137, v114, v148
	v_add_f32_e32 v130, v130, v142
	v_add_f32_e32 v129, v129, v134
	s_waitcnt vmcnt(17) lgkmcnt(2)
	v_mul_f32_e32 v143, v120, v149
	s_waitcnt vmcnt(16)
	v_mul_f32_e32 v134, v122, v133
	ds_read_b64 v[6:7], v1 offset:816
	v_add_f32_e32 v130, v130, v139
	v_add_f32_e32 v129, v129, v131
	s_waitcnt vmcnt(15) lgkmcnt(2)
	v_mul_f32_e32 v142, v124, v135
	s_waitcnt vmcnt(11)
	v_fmac_f32_e32 v143, v121, v128
	v_add_f32_e32 v116, v130, v116
	v_add_f32_e32 v129, v129, v140
	s_waitcnt vmcnt(8)
	v_fma_f32 v118, v118, v161, -v141
	v_fmac_f32_e32 v145, v119, v161
	v_fmac_f32_e32 v136, v113, v158
	v_fma_f32 v112, v112, v158, -v138
	v_add_f32_e32 v119, v129, v144
	v_mul_f32_e32 v129, v115, v148
	v_add_f32_e32 v113, v116, v118
	v_mul_f32_e32 v118, v121, v149
	v_fmac_f32_e32 v137, v115, v155
	v_add_f32_e32 v116, v119, v145
	v_fma_f32 v114, v114, v155, -v129
	v_add_f32_e32 v112, v113, v112
	v_mul_f32_e32 v115, v123, v133
	v_mul_f32_e32 v117, v126, v153
	v_add_f32_e32 v113, v116, v136
	v_fma_f32 v116, v120, v128, -v118
	v_add_f32_e32 v112, v112, v114
	v_mul_f32_e32 v114, v125, v135
	s_waitcnt vmcnt(3)
	v_fma_f32 v115, v122, v163, -v115
	v_add_f32_e32 v113, v113, v137
	v_fmac_f32_e32 v134, v123, v163
	v_add_f32_e32 v112, v112, v116
	v_mul_f32_e32 v116, v127, v153
	v_fma_f32 v114, v124, v157, -v114
	v_add_f32_e32 v113, v113, v143
	v_fmac_f32_e32 v142, v125, v157
	v_add_f32_e32 v112, v112, v115
	s_waitcnt lgkmcnt(1)
	v_mul_f32_e32 v131, v2, v154
	v_mul_f32_e32 v115, v3, v154
	v_add_f32_e32 v113, v113, v134
	v_fma_f32 v116, v126, v156, -v116
	v_add_f32_e32 v112, v112, v114
	v_fmac_f32_e32 v117, v127, v156
	v_mul_f32_e32 v114, v5, v150
	v_add_f32_e32 v113, v113, v142
	v_fmac_f32_e32 v131, v3, v8
	v_fma_f32 v2, v2, v8, -v115
	v_add_f32_e32 v3, v112, v116
	v_mul_f32_e32 v132, v4, v150
	v_add_f32_e32 v8, v113, v117
	s_waitcnt lgkmcnt(0)
	v_mul_f32_e32 v112, v7, v162
	s_waitcnt vmcnt(1)
	v_fma_f32 v4, v4, v165, -v114
	v_add_f32_e32 v2, v3, v2
	v_mul_f32_e32 v139, v6, v162
	v_fmac_f32_e32 v132, v5, v165
	v_add_f32_e32 v3, v8, v131
	v_fma_f32 v5, v6, v164, -v112
	v_add_f32_e32 v2, v2, v4
	v_fmac_f32_e32 v139, v7, v164
	v_add_f32_e32 v3, v3, v132
	v_add_f32_e32 v2, v2, v5
	;; [unrolled: 1-line block ×3, first 2 shown]
	s_waitcnt vmcnt(0)
	v_sub_f32_e32 v2, v166, v2
	v_sub_f32_e32 v3, v159, v3
	buffer_store_dword v2, off, s[0:3], 0 offset:72
	buffer_store_dword v3, off, s[0:3], 0 offset:76
	v_cmpx_lt_u32_e32 8, v0
	s_cbranch_execz .LBB114_303
; %bb.302:
	s_clause 0x1
	buffer_load_dword v2, off, s[0:3], 0 offset:64
	buffer_load_dword v3, off, s[0:3], 0 offset:68
	buffer_store_dword v1, off, s[0:3], 0 offset:64
	buffer_store_dword v1, off, s[0:3], 0 offset:68
	s_waitcnt vmcnt(0)
	ds_write_b64 v111, v[2:3]
.LBB114_303:
	s_or_b32 exec_lo, exec_lo, s4
	s_waitcnt lgkmcnt(0)
	s_waitcnt_vscnt null, 0x0
	s_barrier
	buffer_gl0_inv
	s_clause 0x24
	buffer_load_dword v140, off, s[0:3], 0 offset:76
	buffer_load_dword v2, off, s[0:3], 0 offset:84
	;; [unrolled: 1-line block ×37, first 2 shown]
	ds_read2_b64 v[124:127], v1 offset0:61 offset1:62
	ds_read2_b64 v[128:131], v1 offset0:63 offset1:64
	;; [unrolled: 1-line block ×3, first 2 shown]
	s_clause 0x1
	buffer_load_dword v158, off, s[0:3], 0 offset:220
	buffer_load_dword v159, off, s[0:3], 0 offset:228
	ds_read2_b64 v[136:139], v1 offset0:67 offset1:68
	buffer_load_dword v161, off, s[0:3], 0 offset:68
	s_mov_b32 s4, exec_lo
	s_waitcnt vmcnt(39) lgkmcnt(3)
	v_mul_f32_e32 v160, v125, v140
	v_mul_f32_e32 v140, v124, v140
	s_waitcnt vmcnt(38)
	v_mul_f32_e32 v162, v126, v2
	v_mul_f32_e32 v2, v127, v2
	s_waitcnt vmcnt(35)
	v_fma_f32 v160, v124, v143, -v160
	v_fmac_f32_e32 v140, v125, v143
	v_fmac_f32_e32 v162, v127, v142
	v_fma_f32 v2, v126, v142, -v2
	s_waitcnt vmcnt(33) lgkmcnt(2)
	v_mul_f32_e32 v142, v130, v145
	v_mul_f32_e32 v125, v131, v145
	;; [unrolled: 1-line block ×4, first 2 shown]
	s_waitcnt vmcnt(32) lgkmcnt(1)
	v_mul_f32_e32 v144, v132, v146
	v_mul_f32_e32 v145, v133, v146
	s_waitcnt vmcnt(28)
	v_fmac_f32_e32 v142, v131, v149
	v_fma_f32 v146, v130, v149, -v125
	s_waitcnt vmcnt(27)
	v_mul_f32_e32 v149, v134, v150
	v_mul_f32_e32 v150, v135, v150
	v_fmac_f32_e32 v143, v129, v141
	v_fma_f32 v141, v128, v141, -v124
	ds_read2_b64 v[124:127], v1 offset0:69 offset1:70
	ds_read2_b64 v[128:131], v1 offset0:71 offset1:72
	v_fmac_f32_e32 v144, v133, v148
	v_fma_f32 v145, v132, v148, -v145
	s_waitcnt vmcnt(26) lgkmcnt(2)
	v_mul_f32_e32 v148, v136, v151
	v_mul_f32_e32 v132, v137, v151
	v_fmac_f32_e32 v149, v135, v147
	v_fma_f32 v147, v134, v147, -v150
	s_waitcnt vmcnt(25)
	v_mul_f32_e32 v150, v138, v152
	v_mul_f32_e32 v133, v139, v152
	s_clause 0x3
	buffer_load_dword v151, off, s[0:3], 0 offset:248
	buffer_load_dword v152, off, s[0:3], 0 offset:240
	;; [unrolled: 1-line block ×4, first 2 shown]
	v_fmac_f32_e32 v148, v137, v114
	v_fma_f32 v136, v136, v114, -v132
	s_waitcnt vmcnt(25)
	v_fmac_f32_e32 v150, v139, v153
	v_fma_f32 v137, v138, v153, -v133
	ds_read2_b64 v[132:135], v1 offset0:73 offset1:74
	s_clause 0x1
	buffer_load_dword v165, off, s[0:3], 0 offset:236
	buffer_load_dword v166, off, s[0:3], 0 offset:244
	s_waitcnt vmcnt(26) lgkmcnt(2)
	v_mul_f32_e32 v138, v124, v154
	v_mul_f32_e32 v114, v125, v154
	s_waitcnt vmcnt(25)
	v_mul_f32_e32 v139, v126, v155
	v_mul_f32_e32 v153, v127, v155
	s_waitcnt vmcnt(24) lgkmcnt(1)
	v_mul_f32_e32 v155, v128, v156
	v_fmac_f32_e32 v138, v125, v121
	v_fma_f32 v154, v124, v121, -v114
	v_fmac_f32_e32 v139, v127, v115
	v_fma_f32 v153, v126, v115, -v153
	ds_read2_b64 v[124:127], v1 offset0:75 offset1:76
	v_mul_f32_e32 v114, v129, v156
	s_waitcnt vmcnt(23)
	v_mul_f32_e32 v115, v131, v120
	v_mul_f32_e32 v156, v130, v120
	v_fmac_f32_e32 v155, v129, v6
	v_fma_f32 v6, v128, v6, -v114
	s_waitcnt vmcnt(19)
	v_fma_f32 v128, v130, v157, -v115
	s_waitcnt vmcnt(18) lgkmcnt(1)
	v_mul_f32_e32 v129, v132, v123
	v_mul_f32_e32 v114, v133, v123
	s_waitcnt vmcnt(17)
	v_mul_f32_e32 v130, v134, v122
	v_mul_f32_e32 v115, v135, v122
	ds_read2_b64 v[120:123], v1 offset0:77 offset1:78
	v_fmac_f32_e32 v156, v131, v157
	v_fmac_f32_e32 v129, v133, v116
	buffer_load_dword v131, off, s[0:3], 0 offset:252
	v_fma_f32 v116, v132, v116, -v114
	v_fmac_f32_e32 v130, v135, v8
	v_fma_f32 v8, v134, v8, -v115
	s_waitcnt vmcnt(16) lgkmcnt(1)
	v_mul_f32_e32 v133, v126, v112
	v_mul_f32_e32 v112, v127, v112
	;; [unrolled: 1-line block ×4, first 2 shown]
	s_waitcnt vmcnt(12)
	v_fmac_f32_e32 v133, v127, v119
	v_fma_f32 v119, v126, v119, -v112
	buffer_load_dword v126, off, s[0:3], 0 offset:260
	v_fmac_f32_e32 v132, v125, v4
	v_fma_f32 v124, v124, v4, -v113
	ds_read2_b64 v[112:115], v1 offset0:79 offset1:80
	s_waitcnt vmcnt(12) lgkmcnt(1)
	v_mul_f32_e32 v125, v120, v118
	v_mul_f32_e32 v4, v121, v118
	s_waitcnt vmcnt(11)
	v_mul_f32_e32 v118, v122, v117
	v_mul_f32_e32 v117, v123, v117
	v_fmac_f32_e32 v125, v121, v7
	v_fma_f32 v7, v120, v7, -v4
	v_fmac_f32_e32 v118, v123, v5
	v_fma_f32 v117, v122, v5, -v117
	s_clause 0x4
	buffer_load_dword v120, off, s[0:3], 0 offset:280
	buffer_load_dword v121, off, s[0:3], 0 offset:272
	;; [unrolled: 1-line block ×5, first 2 shown]
	v_add_f32_e32 v4, 0, v160
	v_add_f32_e32 v5, 0, v140
	s_clause 0x1
	buffer_load_dword v134, off, s[0:3], 0 offset:276
	buffer_load_dword v135, off, s[0:3], 0 offset:284
	v_add_f32_e32 v2, v4, v2
	v_add_f32_e32 v4, v5, v162
	s_waitcnt vmcnt(17) lgkmcnt(0)
	v_mul_f32_e32 v140, v112, v158
	v_mul_f32_e32 v5, v113, v158
	v_add_f32_e32 v2, v2, v141
	v_add_f32_e32 v4, v4, v143
	s_waitcnt vmcnt(16)
	v_mul_f32_e32 v143, v115, v159
	v_fmac_f32_e32 v140, v113, v3
	v_fma_f32 v157, v112, v3, -v5
	v_add_f32_e32 v112, v2, v146
	v_add_f32_e32 v113, v4, v142
	ds_read2_b64 v[2:5], v1 offset0:81 offset1:82
	v_mul_f32_e32 v141, v114, v159
	v_add_f32_e32 v112, v112, v145
	v_add_f32_e32 v113, v113, v144
	;; [unrolled: 1-line block ×10, first 2 shown]
	s_waitcnt vmcnt(11)
	v_fma_f32 v142, v114, v164, -v143
	s_clause 0x7
	buffer_load_dword v143, off, s[0:3], 0 offset:292
	buffer_load_dword v144, off, s[0:3], 0 offset:312
	;; [unrolled: 1-line block ×8, first 2 shown]
	v_fmac_f32_e32 v141, v115, v164
	ds_read2_b64 v[112:115], v1 offset0:83 offset1:84
	s_waitcnt vmcnt(18) lgkmcnt(1)
	v_mul_f32_e32 v150, v2, v165
	v_mul_f32_e32 v159, v3, v165
	s_waitcnt vmcnt(17)
	v_mul_f32_e32 v149, v4, v166
	v_mul_f32_e32 v154, v5, v166
	v_fmac_f32_e32 v150, v3, v163
	v_add_f32_e32 v3, v137, v153
	v_add_f32_e32 v137, v138, v139
	v_fma_f32 v138, v2, v163, -v159
	v_fmac_f32_e32 v149, v5, v152
	v_fma_f32 v139, v4, v152, -v154
	v_add_f32_e32 v2, v3, v6
	v_add_f32_e32 v3, v137, v155
	s_clause 0x7
	buffer_load_dword v6, off, s[0:3], 0 offset:324
	buffer_load_dword v137, off, s[0:3], 0 offset:332
	;; [unrolled: 1-line block ×8, first 2 shown]
	v_add_f32_e32 v2, v2, v128
	v_add_f32_e32 v3, v3, v156
	s_clause 0x3
	buffer_load_dword v156, off, s[0:3], 0 offset:356
	buffer_load_dword v163, off, s[0:3], 0 offset:364
	;; [unrolled: 1-line block ×4, first 2 shown]
	v_add_f32_e32 v2, v2, v116
	v_add_f32_e32 v8, v2, v8
	s_waitcnt vmcnt(28) lgkmcnt(0)
	v_mul_f32_e32 v4, v113, v131
	v_mul_f32_e32 v162, v112, v131
	v_add_f32_e32 v8, v8, v124
	v_fma_f32 v128, v112, v151, -v4
	v_add_f32_e32 v112, v3, v129
	v_fmac_f32_e32 v162, v113, v151
	s_clause 0x2
	buffer_load_dword v151, off, s[0:3], 0 offset:388
	buffer_load_dword v166, off, s[0:3], 0 offset:396
	buffer_load_dword v167, off, s[0:3], 0 offset:404
	v_add_f32_e32 v8, v8, v119
	v_add_f32_e32 v112, v112, v130
	s_waitcnt vmcnt(30)
	v_mul_f32_e32 v3, v115, v126
	v_mul_f32_e32 v129, v114, v126
	v_add_f32_e32 v7, v8, v7
	v_add_f32_e32 v112, v112, v132
	;; [unrolled: 1-line block ×4, first 2 shown]
	s_waitcnt vmcnt(26)
	v_fma_f32 v126, v114, v123, -v3
	ds_read2_b64 v[2:5], v1 offset0:85 offset1:86
	s_clause 0x3
	buffer_load_dword v132, off, s[0:3], 0 offset:376
	buffer_load_dword v168, off, s[0:3], 0 offset:368
	;; [unrolled: 1-line block ×4, first 2 shown]
	v_add_f32_e32 v8, v112, v125
	v_fmac_f32_e32 v129, v115, v123
	ds_read2_b64 v[112:115], v1 offset0:87 offset1:88
	s_waitcnt vmcnt(29) lgkmcnt(1)
	v_mul_f32_e32 v124, v2, v127
	v_mul_f32_e32 v116, v3, v127
	s_waitcnt vmcnt(28)
	v_mul_f32_e32 v130, v4, v134
	s_waitcnt vmcnt(27) lgkmcnt(0)
	v_mul_f32_e32 v123, v113, v135
	v_fmac_f32_e32 v124, v3, v122
	v_fma_f32 v125, v2, v122, -v116
	v_add_f32_e32 v2, v8, v118
	v_add_f32_e32 v3, v7, v157
	s_clause 0x2
	buffer_load_dword v7, off, s[0:3], 0 offset:400
	buffer_load_dword v8, off, s[0:3], 0 offset:392
	buffer_load_dword v133, off, s[0:3], 0 offset:384
	v_mul_f32_e32 v116, v5, v134
	v_fmac_f32_e32 v130, v5, v121
	v_add_f32_e32 v2, v2, v140
	buffer_load_dword v140, off, s[0:3], 0 offset:64
	v_add_f32_e32 v3, v3, v142
	v_fma_f32 v127, v4, v121, -v116
	v_mul_f32_e32 v134, v112, v135
	v_add_f32_e32 v117, v2, v141
	v_add_f32_e32 v121, v3, v138
	ds_read2_b64 v[2:5], v1 offset0:89 offset1:90
	v_fma_f32 v138, v112, v120, -v123
	v_add_f32_e32 v122, v117, v150
	ds_read2_b64 v[116:119], v1 offset0:91 offset1:92
	v_add_f32_e32 v121, v121, v139
	v_fmac_f32_e32 v134, v113, v120
	v_add_f32_e32 v122, v122, v149
	v_add_f32_e32 v128, v121, v128
	;; [unrolled: 1-line block ×4, first 2 shown]
	s_waitcnt vmcnt(30)
	v_mul_f32_e32 v131, v115, v143
	v_mul_f32_e32 v135, v114, v143
	s_waitcnt vmcnt(25) lgkmcnt(1)
	v_mul_f32_e32 v141, v2, v136
	v_mul_f32_e32 v128, v3, v136
	v_fma_f32 v139, v114, v158, -v131
	v_add_f32_e32 v131, v122, v162
	s_waitcnt vmcnt(23) lgkmcnt(0)
	v_mul_f32_e32 v142, v116, v148
	v_fmac_f32_e32 v141, v3, v146
	v_fma_f32 v146, v2, v146, -v128
	v_mul_f32_e32 v136, v4, v147
	v_add_f32_e32 v129, v131, v129
	v_mul_f32_e32 v131, v5, v147
	v_mul_f32_e32 v143, v117, v148
	v_fmac_f32_e32 v142, v117, v144
	v_fmac_f32_e32 v135, v115, v158
	v_add_f32_e32 v128, v129, v124
	v_add_f32_e32 v129, v125, v127
	ds_read2_b64 v[112:115], v1 offset0:93 offset1:94
	ds_read2_b64 v[120:123], v1 offset0:95 offset1:96
	v_fmac_f32_e32 v136, v5, v145
	v_fma_f32 v145, v4, v145, -v131
	v_add_f32_e32 v147, v128, v130
	v_add_f32_e32 v117, v129, v138
	ds_read2_b64 v[2:5], v1 offset0:97 offset1:98
	ds_read2_b64 v[124:127], v1 offset0:99 offset1:100
	;; [unrolled: 1-line block ×3, first 2 shown]
	v_fma_f32 v116, v116, v144, -v143
	v_add_f32_e32 v1, v147, v134
	v_add_f32_e32 v117, v117, v139
	s_waitcnt vmcnt(22)
	v_mul_f32_e32 v134, v118, v6
	v_mul_f32_e32 v6, v119, v6
	v_add_f32_e32 v1, v1, v135
	v_add_f32_e32 v117, v117, v146
	s_waitcnt vmcnt(15)
	v_fmac_f32_e32 v134, v119, v160
	v_fma_f32 v6, v118, v160, -v6
	v_add_f32_e32 v1, v1, v141
	v_add_f32_e32 v117, v117, v145
	s_waitcnt lgkmcnt(4)
	v_mul_f32_e32 v138, v112, v137
	v_mul_f32_e32 v137, v113, v137
	;; [unrolled: 1-line block ×3, first 2 shown]
	v_add_f32_e32 v1, v1, v136
	v_add_f32_e32 v116, v117, v116
	v_mul_f32_e32 v136, v115, v152
	v_fma_f32 v112, v112, v159, -v137
	v_fmac_f32_e32 v138, v113, v159
	v_add_f32_e32 v1, v1, v142
	v_add_f32_e32 v6, v116, v6
	s_waitcnt lgkmcnt(3)
	v_mul_f32_e32 v113, v121, v153
	v_fma_f32 v114, v114, v155, -v136
	v_mul_f32_e32 v118, v120, v153
	v_add_f32_e32 v1, v1, v134
	v_add_f32_e32 v6, v6, v112
	v_fmac_f32_e32 v135, v115, v155
	s_waitcnt vmcnt(14)
	v_mul_f32_e32 v112, v123, v156
	v_fma_f32 v113, v120, v154, -v113
	v_add_f32_e32 v1, v1, v138
	v_add_f32_e32 v6, v6, v114
	v_mul_f32_e32 v119, v122, v156
	v_fmac_f32_e32 v118, v121, v154
	s_waitcnt vmcnt(13) lgkmcnt(2)
	v_mul_f32_e32 v139, v2, v163
	v_add_f32_e32 v1, v1, v135
	v_mul_f32_e32 v114, v3, v163
	v_add_f32_e32 v6, v6, v113
	s_waitcnt vmcnt(4)
	v_fma_f32 v112, v122, v170, -v112
	v_fmac_f32_e32 v119, v123, v170
	v_add_f32_e32 v1, v1, v118
	v_mul_f32_e32 v113, v5, v164
	v_fmac_f32_e32 v139, v3, v169
	v_fma_f32 v2, v2, v169, -v114
	v_add_f32_e32 v3, v6, v112
	v_mul_f32_e32 v141, v4, v164
	v_add_f32_e32 v1, v1, v119
	s_waitcnt lgkmcnt(1)
	v_mul_f32_e32 v6, v125, v165
	v_fma_f32 v4, v4, v168, -v113
	v_add_f32_e32 v2, v3, v2
	v_mul_f32_e32 v143, v124, v165
	v_fmac_f32_e32 v141, v5, v168
	v_add_f32_e32 v1, v1, v139
	v_mul_f32_e32 v3, v127, v151
	v_fma_f32 v5, v124, v132, -v6
	v_add_f32_e32 v2, v2, v4
	v_mul_f32_e32 v144, v126, v151
	v_fmac_f32_e32 v143, v125, v132
	v_add_f32_e32 v1, v1, v141
	s_waitcnt lgkmcnt(0)
	v_mul_f32_e32 v4, v129, v166
	v_add_f32_e32 v2, v2, v5
	v_mul_f32_e32 v145, v128, v166
	v_mul_f32_e32 v5, v131, v167
	v_add_f32_e32 v1, v1, v143
	v_mul_f32_e32 v117, v130, v167
	s_waitcnt vmcnt(2)
	v_fma_f32 v4, v128, v8, -v4
	s_waitcnt vmcnt(1)
	v_fma_f32 v3, v126, v133, -v3
	v_fmac_f32_e32 v144, v127, v133
	v_fmac_f32_e32 v145, v129, v8
	v_fmac_f32_e32 v117, v131, v7
	v_add_f32_e32 v2, v2, v3
	v_add_f32_e32 v1, v1, v144
	v_fma_f32 v3, v130, v7, -v5
	v_add_f32_e32 v2, v2, v4
	v_add_f32_e32 v1, v1, v145
	;; [unrolled: 1-line block ×4, first 2 shown]
	s_waitcnt vmcnt(0)
	v_sub_f32_e32 v2, v140, v2
	v_sub_f32_e32 v1, v161, v1
	buffer_store_dword v2, off, s[0:3], 0 offset:64
	buffer_store_dword v1, off, s[0:3], 0 offset:68
	v_cmpx_lt_u32_e32 7, v0
	s_cbranch_execz .LBB114_305
; %bb.304:
	s_clause 0x1
	buffer_load_dword v1, off, s[0:3], 0 offset:56
	buffer_load_dword v2, off, s[0:3], 0 offset:60
	v_mov_b32_e32 v3, 0
	buffer_store_dword v3, off, s[0:3], 0 offset:56
	buffer_store_dword v3, off, s[0:3], 0 offset:60
	s_waitcnt vmcnt(0)
	ds_write_b64 v111, v[1:2]
.LBB114_305:
	s_or_b32 exec_lo, exec_lo, s4
	s_waitcnt lgkmcnt(0)
	s_waitcnt_vscnt null, 0x0
	s_barrier
	buffer_gl0_inv
	s_clause 0x2c
	buffer_load_dword v150, off, s[0:3], 0 offset:68
	buffer_load_dword v151, off, s[0:3], 0 offset:76
	;; [unrolled: 1-line block ×45, first 2 shown]
	v_mov_b32_e32 v1, 0
	ds_read_b128 v[142:145], v1 offset:480
	ds_read_b128 v[146:149], v1 offset:496
	buffer_load_dword v160, off, s[0:3], 0 offset:60
	s_mov_b32 s4, exec_lo
	s_waitcnt vmcnt(45) lgkmcnt(1)
	v_mul_f32_e32 v158, v143, v150
	v_mul_f32_e32 v150, v142, v150
	s_waitcnt vmcnt(44)
	v_mul_f32_e32 v159, v144, v151
	v_mul_f32_e32 v151, v145, v151
	s_waitcnt vmcnt(41)
	v_fma_f32 v158, v142, v139, -v158
	v_fmac_f32_e32 v150, v143, v139
	v_fmac_f32_e32 v159, v145, v135
	v_fma_f32 v151, v144, v135, -v151
	ds_read_b128 v[142:145], v1 offset:512
	s_waitcnt vmcnt(40) lgkmcnt(1)
	v_mul_f32_e32 v161, v146, v134
	v_mul_f32_e32 v134, v147, v134
	s_waitcnt vmcnt(39)
	v_mul_f32_e32 v162, v148, v132
	v_mul_f32_e32 v132, v149, v132
	v_fmac_f32_e32 v161, v147, v121
	v_fma_f32 v121, v146, v121, -v134
	s_waitcnt vmcnt(35)
	v_fmac_f32_e32 v162, v149, v140
	v_fma_f32 v163, v148, v140, -v132
	ds_read_b128 v[146:149], v1 offset:528
	s_waitcnt vmcnt(34) lgkmcnt(1)
	v_mul_f32_e32 v164, v142, v138
	v_mul_f32_e32 v132, v143, v138
	s_waitcnt vmcnt(33)
	v_mul_f32_e32 v165, v144, v137
	v_mul_f32_e32 v134, v145, v137
	ds_read_b128 v[137:140], v1 offset:544
	v_fmac_f32_e32 v164, v143, v129
	v_fma_f32 v129, v142, v129, -v132
	v_fmac_f32_e32 v165, v145, v124
	v_fma_f32 v166, v144, v124, -v134
	ds_read_b128 v[142:145], v1 offset:560
	s_waitcnt vmcnt(32) lgkmcnt(2)
	v_mul_f32_e32 v167, v146, v128
	v_mul_f32_e32 v124, v147, v128
	s_waitcnt vmcnt(31)
	v_mul_f32_e32 v128, v148, v126
	v_mul_f32_e32 v126, v149, v126
	v_fmac_f32_e32 v167, v147, v8
	v_fma_f32 v8, v146, v8, -v124
	s_waitcnt vmcnt(27)
	v_fmac_f32_e32 v128, v149, v136
	v_fma_f32 v146, v148, v136, -v126
	s_waitcnt vmcnt(26) lgkmcnt(1)
	v_mul_f32_e32 v147, v137, v133
	v_mul_f32_e32 v124, v138, v133
	s_waitcnt vmcnt(25)
	v_mul_f32_e32 v148, v139, v131
	v_mul_f32_e32 v126, v140, v131
	ds_read_b128 v[131:134], v1 offset:576
	v_fmac_f32_e32 v147, v138, v122
	v_fma_f32 v122, v137, v122, -v124
	ds_read_b128 v[135:138], v1 offset:592
	v_fmac_f32_e32 v148, v140, v116
	v_fma_f32 v139, v139, v116, -v126
	s_waitcnt vmcnt(24) lgkmcnt(2)
	v_mul_f32_e32 v140, v142, v120
	v_mul_f32_e32 v116, v143, v120
	s_waitcnt vmcnt(23)
	v_mul_f32_e32 v120, v144, v118
	v_mul_f32_e32 v118, v145, v118
	v_fmac_f32_e32 v140, v143, v4
	v_fma_f32 v142, v142, v4, -v116
	s_waitcnt vmcnt(19)
	v_fmac_f32_e32 v120, v145, v130
	v_fma_f32 v130, v144, v130, -v118
	s_waitcnt vmcnt(18) lgkmcnt(1)
	v_mul_f32_e32 v143, v131, v127
	v_mul_f32_e32 v4, v132, v127
	s_waitcnt vmcnt(17)
	v_mul_f32_e32 v144, v133, v125
	v_mul_f32_e32 v116, v134, v125
	ds_read_b128 v[124:127], v1 offset:608
	v_fmac_f32_e32 v143, v132, v115
	v_fma_f32 v131, v131, v115, -v4
	v_fmac_f32_e32 v144, v134, v112
	v_fma_f32 v132, v133, v112, -v116
	s_waitcnt vmcnt(15) lgkmcnt(1)
	v_mul_f32_e32 v134, v137, v113
	v_mul_f32_e32 v112, v138, v113
	v_mul_f32_e32 v133, v135, v114
	v_mul_f32_e32 v4, v136, v114
	s_waitcnt vmcnt(11)
	v_fmac_f32_e32 v134, v138, v123
	v_fma_f32 v123, v137, v123, -v112
	ds_read_b128 v[112:115], v1 offset:624
	v_fmac_f32_e32 v133, v136, v3
	v_fma_f32 v135, v135, v3, -v4
	s_waitcnt vmcnt(10) lgkmcnt(1)
	v_mul_f32_e32 v136, v124, v119
	v_mul_f32_e32 v3, v125, v119
	s_waitcnt vmcnt(9)
	v_mul_f32_e32 v137, v126, v117
	v_mul_f32_e32 v4, v127, v117
	ds_read_b128 v[116:119], v1 offset:640
	v_fmac_f32_e32 v136, v125, v7
	v_fma_f32 v7, v124, v7, -v3
	v_fmac_f32_e32 v137, v127, v5
	v_fma_f32 v124, v126, v5, -v4
	buffer_load_dword v126, off, s[0:3], 0 offset:244
	s_waitcnt vmcnt(8) lgkmcnt(1)
	v_mul_f32_e32 v4, v115, v141
	v_mul_f32_e32 v125, v112, v6
	;; [unrolled: 1-line block ×4, first 2 shown]
	s_waitcnt vmcnt(4)
	v_fma_f32 v138, v114, v155, -v4
	buffer_load_dword v114, off, s[0:3], 0 offset:252
	v_fmac_f32_e32 v125, v113, v2
	v_fma_f32 v127, v112, v2, -v3
	ds_read_b128 v[2:5], v1 offset:656
	v_fmac_f32_e32 v6, v115, v155
	s_waitcnt vmcnt(4) lgkmcnt(1)
	v_mul_f32_e32 v141, v116, v156
	v_mul_f32_e32 v112, v117, v156
	s_waitcnt vmcnt(3)
	v_mul_f32_e32 v145, v118, v157
	v_mul_f32_e32 v113, v119, v157
	v_fmac_f32_e32 v141, v117, v154
	v_fma_f32 v116, v116, v154, -v112
	v_fmac_f32_e32 v145, v119, v153
	v_fma_f32 v117, v118, v153, -v113
	s_clause 0x4
	buffer_load_dword v118, off, s[0:3], 0 offset:272
	buffer_load_dword v119, off, s[0:3], 0 offset:264
	;; [unrolled: 1-line block ×5, first 2 shown]
	s_waitcnt vmcnt(6) lgkmcnt(0)
	v_mul_f32_e32 v154, v2, v126
	v_mul_f32_e32 v113, v3, v126
	v_fmac_f32_e32 v154, v3, v152
	v_fma_f32 v126, v2, v152, -v113
	s_waitcnt vmcnt(5)
	v_mul_f32_e32 v152, v4, v114
	v_mul_f32_e32 v2, v5, v114
	s_waitcnt vmcnt(1)
	v_fmac_f32_e32 v152, v5, v112
	v_fma_f32 v155, v4, v112, -v2
	ds_read_b128 v[2:5], v1 offset:672
	ds_read_b128 v[112:115], v1 offset:688
	s_waitcnt vmcnt(0) lgkmcnt(1)
	v_mul_f32_e32 v156, v2, v153
	v_mul_f32_e32 v153, v3, v153
	v_fmac_f32_e32 v156, v3, v149
	v_fma_f32 v149, v2, v149, -v153
	buffer_load_dword v2, off, s[0:3], 0 offset:268
	s_waitcnt vmcnt(0)
	v_mul_f32_e32 v153, v4, v2
	v_mul_f32_e32 v2, v5, v2
	v_fmac_f32_e32 v153, v5, v119
	v_fma_f32 v157, v4, v119, -v2
	buffer_load_dword v2, off, s[0:3], 0 offset:276
	s_waitcnt vmcnt(0) lgkmcnt(0)
	v_mul_f32_e32 v168, v112, v2
	v_mul_f32_e32 v2, v113, v2
	v_fmac_f32_e32 v168, v113, v118
	v_fma_f32 v169, v112, v118, -v2
	s_clause 0x4
	buffer_load_dword v2, off, s[0:3], 0 offset:284
	buffer_load_dword v170, off, s[0:3], 0 offset:304
	;; [unrolled: 1-line block ×5, first 2 shown]
	s_waitcnt vmcnt(4)
	v_mul_f32_e32 v171, v114, v2
	v_mul_f32_e32 v2, v115, v2
	s_waitcnt vmcnt(0)
	v_fmac_f32_e32 v171, v115, v3
	v_fma_f32 v172, v114, v3, -v2
	v_add_f32_e32 v2, 0, v158
	v_add_f32_e32 v3, 0, v150
	buffer_load_dword v150, off, s[0:3], 0 offset:300
	v_add_f32_e32 v2, v2, v151
	v_add_f32_e32 v3, v3, v159
	buffer_load_dword v151, off, s[0:3], 0 offset:316
	v_add_f32_e32 v2, v2, v121
	buffer_load_dword v121, off, s[0:3], 0 offset:292
	v_add_f32_e32 v3, v3, v161
	v_add_f32_e32 v2, v2, v163
	;; [unrolled: 1-line block ×4, first 2 shown]
	buffer_load_dword v129, off, s[0:3], 0 offset:308
	v_add_f32_e32 v3, v3, v164
	v_add_f32_e32 v2, v2, v166
	;; [unrolled: 1-line block ×4, first 2 shown]
	s_clause 0x3
	buffer_load_dword v8, off, s[0:3], 0 offset:336
	buffer_load_dword v158, off, s[0:3], 0 offset:328
	;; [unrolled: 1-line block ×4, first 2 shown]
	v_add_f32_e32 v3, v3, v167
	v_add_f32_e32 v2, v2, v146
	s_clause 0x1
	buffer_load_dword v146, off, s[0:3], 0 offset:324
	buffer_load_dword v162, off, s[0:3], 0 offset:332
	v_add_f32_e32 v3, v3, v128
	buffer_load_dword v128, off, s[0:3], 0 offset:340
	v_add_f32_e32 v2, v2, v122
	v_add_f32_e32 v3, v3, v147
	;; [unrolled: 1-line block ×3, first 2 shown]
	s_clause 0x3
	buffer_load_dword v139, off, s[0:3], 0 offset:348
	buffer_load_dword v147, off, s[0:3], 0 offset:356
	buffer_load_dword v163, off, s[0:3], 0 offset:364
	buffer_load_dword v164, off, s[0:3], 0 offset:372
	v_add_f32_e32 v3, v3, v148
	v_add_f32_e32 v2, v2, v142
	s_clause 0x1
	buffer_load_dword v142, off, s[0:3], 0 offset:380
	buffer_load_dword v148, off, s[0:3], 0 offset:388
	v_add_f32_e32 v3, v3, v140
	v_add_f32_e32 v2, v2, v130
	s_clause 0x1
	buffer_load_dword v130, off, s[0:3], 0 offset:396
	buffer_load_dword v140, off, s[0:3], 0 offset:404
	v_add_f32_e32 v3, v3, v120
	v_add_f32_e32 v2, v2, v131
	;; [unrolled: 1-line block ×4, first 2 shown]
	s_clause 0x3
	buffer_load_dword v131, off, s[0:3], 0 offset:368
	buffer_load_dword v132, off, s[0:3], 0 offset:360
	;; [unrolled: 1-line block ×4, first 2 shown]
	v_add_f32_e32 v3, v3, v144
	v_add_f32_e32 v2, v2, v135
	;; [unrolled: 1-line block ×3, first 2 shown]
	s_clause 0x3
	buffer_load_dword v133, off, s[0:3], 0 offset:400
	buffer_load_dword v135, off, s[0:3], 0 offset:392
	;; [unrolled: 1-line block ×4, first 2 shown]
	v_add_f32_e32 v2, v2, v123
	v_add_f32_e32 v3, v3, v134
	buffer_load_dword v134, off, s[0:3], 0 offset:56
	v_add_f32_e32 v2, v2, v7
	v_add_f32_e32 v3, v3, v136
	;; [unrolled: 1-line block ×4, first 2 shown]
	ds_read_b128 v[2:5], v1 offset:704
	v_add_f32_e32 v7, v7, v127
	v_add_f32_e32 v112, v112, v125
	;; [unrolled: 1-line block ×4, first 2 shown]
	ds_read_b128 v[112:115], v1 offset:720
	v_add_f32_e32 v7, v7, v116
	v_add_f32_e32 v6, v6, v141
	;; [unrolled: 1-line block ×8, first 2 shown]
	s_waitcnt vmcnt(27) lgkmcnt(1)
	v_mul_f32_e32 v137, v4, v150
	v_mul_f32_e32 v117, v5, v150
	v_fmac_f32_e32 v137, v5, v118
	v_fma_f32 v141, v4, v118, -v117
	s_waitcnt vmcnt(25)
	v_mul_f32_e32 v136, v2, v121
	v_mul_f32_e32 v116, v3, v121
	v_fmac_f32_e32 v136, v3, v119
	v_add_f32_e32 v3, v7, v126
	v_fma_f32 v138, v2, v119, -v116
	s_waitcnt vmcnt(24) lgkmcnt(0)
	v_mul_f32_e32 v145, v112, v129
	v_add_f32_e32 v7, v3, v155
	ds_read_b128 v[2:5], v1 offset:736
	ds_read_b128 v[116:119], v1 offset:752
	v_mul_f32_e32 v124, v113, v129
	v_mul_f32_e32 v129, v114, v151
	v_fmac_f32_e32 v145, v113, v170
	v_add_f32_e32 v7, v7, v149
	v_mul_f32_e32 v149, v115, v151
	v_add_f32_e32 v151, v6, v168
	v_fma_f32 v150, v112, v170, -v124
	ds_read_b128 v[120:123], v1 offset:768
	ds_read_b128 v[124:127], v1 offset:784
	v_add_f32_e32 v7, v7, v157
	v_add_f32_e32 v151, v151, v171
	s_waitcnt vmcnt(20)
	v_fma_f32 v149, v114, v161, -v149
	v_fmac_f32_e32 v129, v115, v161
	v_add_f32_e32 v7, v7, v169
	v_add_f32_e32 v136, v151, v136
	s_waitcnt vmcnt(19) lgkmcnt(3)
	v_mul_f32_e32 v153, v2, v146
	v_add_f32_e32 v152, v7, v172
	v_add_f32_e32 v136, v136, v137
	v_mul_f32_e32 v146, v3, v146
	s_waitcnt vmcnt(18)
	v_mul_f32_e32 v154, v4, v162
	v_fmac_f32_e32 v153, v3, v159
	v_add_f32_e32 v138, v152, v138
	v_add_f32_e32 v136, v136, v145
	v_mul_f32_e32 v152, v5, v162
	v_fma_f32 v2, v2, v159, -v146
	s_waitcnt vmcnt(17) lgkmcnt(2)
	v_mul_f32_e32 v151, v116, v128
	v_add_f32_e32 v138, v138, v141
	v_add_f32_e32 v129, v136, v129
	v_mul_f32_e32 v128, v117, v128
	v_fma_f32 v4, v4, v158, -v152
	v_fmac_f32_e32 v154, v5, v158
	v_add_f32_e32 v138, v138, v150
	v_add_f32_e32 v5, v129, v153
	s_waitcnt vmcnt(16)
	v_mul_f32_e32 v129, v119, v139
	v_fmac_f32_e32 v151, v117, v8
	v_fma_f32 v8, v116, v8, -v128
	v_add_f32_e32 v138, v138, v149
	v_mul_f32_e32 v141, v118, v139
	ds_read_b128 v[112:115], v1 offset:800
	ds_read_b64 v[6:7], v1 offset:816
	s_waitcnt vmcnt(5)
	v_fma_f32 v116, v118, v165, -v129
	s_waitcnt lgkmcnt(3)
	v_mul_f32_e32 v155, v120, v147
	v_add_f32_e32 v2, v138, v2
	v_fmac_f32_e32 v141, v119, v165
	v_mul_f32_e32 v137, v122, v163
	s_waitcnt lgkmcnt(2)
	v_mul_f32_e32 v150, v124, v164
	v_fmac_f32_e32 v155, v121, v143
	v_add_f32_e32 v2, v2, v4
	v_add_f32_e32 v4, v5, v154
	v_mul_f32_e32 v5, v121, v147
	v_fmac_f32_e32 v137, v123, v132
	v_mul_f32_e32 v3, v126, v142
	v_add_f32_e32 v2, v2, v8
	v_add_f32_e32 v4, v4, v151
	v_mul_f32_e32 v8, v123, v163
	v_fma_f32 v5, v120, v143, -v5
	v_fmac_f32_e32 v150, v125, v131
	v_add_f32_e32 v2, v2, v116
	v_add_f32_e32 v4, v4, v141
	v_mul_f32_e32 v116, v125, v164
	v_fma_f32 v8, v122, v132, -v8
	s_waitcnt lgkmcnt(1)
	v_mul_f32_e32 v145, v112, v148
	v_add_f32_e32 v2, v2, v5
	v_add_f32_e32 v4, v4, v155
	v_mul_f32_e32 v5, v127, v142
	v_fma_f32 v116, v124, v131, -v116
	s_waitcnt vmcnt(1)
	v_fmac_f32_e32 v3, v127, v166
	v_add_f32_e32 v2, v2, v8
	v_add_f32_e32 v4, v4, v137
	v_mul_f32_e32 v8, v113, v148
	v_fma_f32 v5, v126, v166, -v5
	v_mul_f32_e32 v146, v114, v130
	v_add_f32_e32 v2, v2, v116
	v_add_f32_e32 v4, v4, v150
	v_mul_f32_e32 v116, v115, v130
	v_fma_f32 v8, v112, v144, -v8
	v_fmac_f32_e32 v145, v113, v144
	v_add_f32_e32 v2, v2, v5
	v_add_f32_e32 v3, v4, v3
	s_waitcnt lgkmcnt(0)
	v_mul_f32_e32 v4, v7, v140
	v_fma_f32 v5, v114, v135, -v116
	v_mul_f32_e32 v136, v6, v140
	v_add_f32_e32 v2, v2, v8
	v_fmac_f32_e32 v146, v115, v135
	v_add_f32_e32 v3, v3, v145
	v_fma_f32 v4, v6, v133, -v4
	v_fmac_f32_e32 v136, v7, v133
	v_add_f32_e32 v2, v2, v5
	v_add_f32_e32 v3, v3, v146
	;; [unrolled: 1-line block ×4, first 2 shown]
	s_waitcnt vmcnt(0)
	v_sub_f32_e32 v2, v134, v2
	v_sub_f32_e32 v3, v160, v3
	buffer_store_dword v2, off, s[0:3], 0 offset:56
	buffer_store_dword v3, off, s[0:3], 0 offset:60
	v_cmpx_lt_u32_e32 6, v0
	s_cbranch_execz .LBB114_307
; %bb.306:
	s_clause 0x1
	buffer_load_dword v2, off, s[0:3], 0 offset:48
	buffer_load_dword v3, off, s[0:3], 0 offset:52
	buffer_store_dword v1, off, s[0:3], 0 offset:48
	buffer_store_dword v1, off, s[0:3], 0 offset:52
	s_waitcnt vmcnt(0)
	ds_write_b64 v111, v[2:3]
.LBB114_307:
	s_or_b32 exec_lo, exec_lo, s4
	s_waitcnt lgkmcnt(0)
	s_waitcnt_vscnt null, 0x0
	s_barrier
	buffer_gl0_inv
	s_clause 0x2c
	buffer_load_dword v150, off, s[0:3], 0 offset:60
	buffer_load_dword v151, off, s[0:3], 0 offset:68
	buffer_load_dword v122, off, s[0:3], 0 offset:72
	buffer_load_dword v136, off, s[0:3], 0 offset:64
	buffer_load_dword v140, off, s[0:3], 0 offset:56
	buffer_load_dword v135, off, s[0:3], 0 offset:76
	buffer_load_dword v133, off, s[0:3], 0 offset:84
	buffer_load_dword v112, off, s[0:3], 0 offset:104
	buffer_load_dword v125, off, s[0:3], 0 offset:96
	buffer_load_dword v130, off, s[0:3], 0 offset:88
	buffer_load_dword v141, off, s[0:3], 0 offset:80
	buffer_load_dword v139, off, s[0:3], 0 offset:92
	buffer_load_dword v138, off, s[0:3], 0 offset:100
	buffer_load_dword v129, off, s[0:3], 0 offset:108
	buffer_load_dword v127, off, s[0:3], 0 offset:116
	buffer_load_dword v4, off, s[0:3], 0 offset:136
	buffer_load_dword v117, off, s[0:3], 0 offset:128
	buffer_load_dword v123, off, s[0:3], 0 offset:120
	buffer_load_dword v137, off, s[0:3], 0 offset:112
	buffer_load_dword v134, off, s[0:3], 0 offset:124
	buffer_load_dword v132, off, s[0:3], 0 offset:132
	buffer_load_dword v121, off, s[0:3], 0 offset:140
	buffer_load_dword v119, off, s[0:3], 0 offset:148
	buffer_load_dword v3, off, s[0:3], 0 offset:168
	buffer_load_dword v113, off, s[0:3], 0 offset:160
	buffer_load_dword v116, off, s[0:3], 0 offset:152
	buffer_load_dword v131, off, s[0:3], 0 offset:144
	buffer_load_dword v128, off, s[0:3], 0 offset:156
	buffer_load_dword v126, off, s[0:3], 0 offset:164
	buffer_load_dword v115, off, s[0:3], 0 offset:172
	buffer_load_dword v114, off, s[0:3], 0 offset:180
	buffer_load_dword v2, off, s[0:3], 0 offset:200
	buffer_load_dword v5, off, s[0:3], 0 offset:192
	buffer_load_dword v8, off, s[0:3], 0 offset:184
	buffer_load_dword v124, off, s[0:3], 0 offset:176
	buffer_load_dword v120, off, s[0:3], 0 offset:188
	buffer_load_dword v118, off, s[0:3], 0 offset:196
	buffer_load_dword v7, off, s[0:3], 0 offset:204
	buffer_load_dword v6, off, s[0:3], 0 offset:212
	buffer_load_dword v152, off, s[0:3], 0 offset:232
	buffer_load_dword v153, off, s[0:3], 0 offset:224
	buffer_load_dword v154, off, s[0:3], 0 offset:216
	buffer_load_dword v155, off, s[0:3], 0 offset:208
	buffer_load_dword v156, off, s[0:3], 0 offset:220
	buffer_load_dword v157, off, s[0:3], 0 offset:228
	ds_read2_b64 v[142:145], v1 offset0:59 offset1:60
	ds_read2_b64 v[146:149], v1 offset0:61 offset1:62
	buffer_load_dword v160, off, s[0:3], 0 offset:52
	s_mov_b32 s4, exec_lo
	s_waitcnt vmcnt(45) lgkmcnt(1)
	v_mul_f32_e32 v158, v143, v150
	v_mul_f32_e32 v150, v142, v150
	s_waitcnt vmcnt(44)
	v_mul_f32_e32 v159, v144, v151
	v_mul_f32_e32 v151, v145, v151
	s_waitcnt vmcnt(41)
	v_fma_f32 v158, v142, v140, -v158
	v_fmac_f32_e32 v150, v143, v140
	v_fmac_f32_e32 v159, v145, v136
	v_fma_f32 v151, v144, v136, -v151
	ds_read2_b64 v[142:145], v1 offset0:63 offset1:64
	s_waitcnt vmcnt(40) lgkmcnt(1)
	v_mul_f32_e32 v161, v146, v135
	v_mul_f32_e32 v135, v147, v135
	s_waitcnt vmcnt(39)
	v_mul_f32_e32 v162, v148, v133
	v_mul_f32_e32 v133, v149, v133
	v_fmac_f32_e32 v161, v147, v122
	v_fma_f32 v122, v146, v122, -v135
	s_waitcnt vmcnt(35)
	v_fmac_f32_e32 v162, v149, v141
	v_fma_f32 v163, v148, v141, -v133
	ds_read2_b64 v[146:149], v1 offset0:65 offset1:66
	s_waitcnt vmcnt(34) lgkmcnt(1)
	v_mul_f32_e32 v164, v142, v139
	v_mul_f32_e32 v133, v143, v139
	s_waitcnt vmcnt(33)
	v_mul_f32_e32 v165, v144, v138
	v_mul_f32_e32 v135, v145, v138
	ds_read2_b64 v[138:141], v1 offset0:67 offset1:68
	v_fmac_f32_e32 v164, v143, v130
	v_fma_f32 v130, v142, v130, -v133
	v_fmac_f32_e32 v165, v145, v125
	v_fma_f32 v166, v144, v125, -v135
	ds_read2_b64 v[142:145], v1 offset0:69 offset1:70
	s_waitcnt vmcnt(32) lgkmcnt(2)
	v_mul_f32_e32 v167, v146, v129
	v_mul_f32_e32 v125, v147, v129
	s_waitcnt vmcnt(31)
	v_mul_f32_e32 v129, v148, v127
	v_mul_f32_e32 v127, v149, v127
	v_fmac_f32_e32 v167, v147, v112
	v_fma_f32 v146, v146, v112, -v125
	s_waitcnt vmcnt(27)
	v_fmac_f32_e32 v129, v149, v137
	v_fma_f32 v147, v148, v137, -v127
	s_waitcnt vmcnt(26) lgkmcnt(1)
	v_mul_f32_e32 v148, v138, v134
	v_mul_f32_e32 v112, v139, v134
	s_waitcnt vmcnt(25)
	v_mul_f32_e32 v149, v140, v132
	v_mul_f32_e32 v125, v141, v132
	ds_read2_b64 v[132:135], v1 offset0:71 offset1:72
	v_fmac_f32_e32 v148, v139, v123
	v_fma_f32 v123, v138, v123, -v112
	ds_read2_b64 v[136:139], v1 offset0:73 offset1:74
	v_fmac_f32_e32 v149, v141, v117
	v_fma_f32 v140, v140, v117, -v125
	s_waitcnt vmcnt(24) lgkmcnt(2)
	v_mul_f32_e32 v141, v142, v121
	v_mul_f32_e32 v112, v143, v121
	s_waitcnt vmcnt(23)
	v_mul_f32_e32 v121, v144, v119
	v_mul_f32_e32 v117, v145, v119
	v_fmac_f32_e32 v141, v143, v4
	v_fma_f32 v142, v142, v4, -v112
	s_waitcnt vmcnt(19)
	v_fmac_f32_e32 v121, v145, v131
	v_fma_f32 v131, v144, v131, -v117
	s_waitcnt vmcnt(18) lgkmcnt(1)
	v_mul_f32_e32 v143, v132, v128
	v_mul_f32_e32 v4, v133, v128
	s_waitcnt vmcnt(17)
	v_mul_f32_e32 v144, v134, v126
	v_mul_f32_e32 v112, v135, v126
	ds_read2_b64 v[125:128], v1 offset0:75 offset1:76
	v_fmac_f32_e32 v143, v133, v116
	v_fma_f32 v132, v132, v116, -v4
	v_fmac_f32_e32 v144, v135, v113
	v_fma_f32 v133, v134, v113, -v112
	s_waitcnt vmcnt(15) lgkmcnt(1)
	v_mul_f32_e32 v135, v138, v114
	v_mul_f32_e32 v112, v139, v114
	;; [unrolled: 1-line block ×4, first 2 shown]
	s_waitcnt vmcnt(11)
	v_fmac_f32_e32 v135, v139, v124
	v_fma_f32 v124, v138, v124, -v112
	ds_read2_b64 v[112:115], v1 offset0:77 offset1:78
	v_fmac_f32_e32 v134, v137, v3
	v_fma_f32 v136, v136, v3, -v4
	s_waitcnt vmcnt(10) lgkmcnt(1)
	v_mul_f32_e32 v137, v125, v120
	v_mul_f32_e32 v3, v126, v120
	s_waitcnt vmcnt(9)
	v_mul_f32_e32 v120, v127, v118
	v_mul_f32_e32 v4, v128, v118
	ds_read2_b64 v[116:119], v1 offset0:79 offset1:80
	v_fmac_f32_e32 v137, v126, v8
	v_fma_f32 v8, v125, v8, -v3
	v_fmac_f32_e32 v120, v128, v5
	v_fma_f32 v125, v127, v5, -v4
	s_waitcnt vmcnt(8) lgkmcnt(1)
	v_mul_f32_e32 v126, v112, v7
	v_mul_f32_e32 v3, v113, v7
	s_waitcnt vmcnt(7)
	v_mul_f32_e32 v7, v114, v6
	v_mul_f32_e32 v4, v115, v6
	buffer_load_dword v6, off, s[0:3], 0 offset:236
	v_fmac_f32_e32 v126, v113, v2
	v_fma_f32 v127, v112, v2, -v3
	s_waitcnt vmcnt(4)
	v_fmac_f32_e32 v7, v115, v155
	v_fma_f32 v128, v114, v155, -v4
	buffer_load_dword v114, off, s[0:3], 0 offset:244
	ds_read2_b64 v[2:5], v1 offset0:81 offset1:82
	s_waitcnt vmcnt(4) lgkmcnt(1)
	v_mul_f32_e32 v138, v116, v156
	v_mul_f32_e32 v112, v117, v156
	s_waitcnt vmcnt(3)
	v_mul_f32_e32 v139, v118, v157
	v_mul_f32_e32 v113, v119, v157
	v_fmac_f32_e32 v138, v117, v154
	v_fma_f32 v116, v116, v154, -v112
	v_fmac_f32_e32 v139, v119, v153
	v_fma_f32 v117, v118, v153, -v113
	s_clause 0x4
	buffer_load_dword v118, off, s[0:3], 0 offset:264
	buffer_load_dword v119, off, s[0:3], 0 offset:256
	;; [unrolled: 1-line block ×5, first 2 shown]
	s_waitcnt vmcnt(6) lgkmcnt(0)
	v_mul_f32_e32 v154, v2, v6
	v_mul_f32_e32 v6, v3, v6
	v_fmac_f32_e32 v154, v3, v152
	v_fma_f32 v6, v2, v152, -v6
	s_waitcnt vmcnt(5)
	v_mul_f32_e32 v152, v4, v114
	v_mul_f32_e32 v2, v5, v114
	s_waitcnt vmcnt(1)
	v_fmac_f32_e32 v152, v5, v112
	v_fma_f32 v155, v4, v112, -v2
	ds_read2_b64 v[2:5], v1 offset0:83 offset1:84
	ds_read2_b64 v[112:115], v1 offset0:85 offset1:86
	s_waitcnt vmcnt(0) lgkmcnt(1)
	v_mul_f32_e32 v156, v2, v153
	v_mul_f32_e32 v153, v3, v153
	v_fmac_f32_e32 v156, v3, v145
	v_fma_f32 v145, v2, v145, -v153
	s_clause 0x1
	buffer_load_dword v2, off, s[0:3], 0 offset:260
	buffer_load_dword v3, off, s[0:3], 0 offset:268
	s_waitcnt vmcnt(1)
	v_mul_f32_e32 v153, v4, v2
	v_mul_f32_e32 v2, v5, v2
	v_fmac_f32_e32 v153, v5, v119
	v_fma_f32 v157, v4, v119, -v2
	v_add_f32_e32 v2, 0, v158
	buffer_load_dword v5, off, s[0:3], 0 offset:276
	v_add_f32_e32 v4, 0, v150
	v_add_f32_e32 v2, v2, v151
	;; [unrolled: 1-line block ×4, first 2 shown]
	s_clause 0x3
	buffer_load_dword v122, off, s[0:3], 0 offset:296
	buffer_load_dword v119, off, s[0:3], 0 offset:288
	;; [unrolled: 1-line block ×4, first 2 shown]
	v_add_f32_e32 v4, v4, v161
	s_clause 0x1
	buffer_load_dword v158, off, s[0:3], 0 offset:292
	buffer_load_dword v159, off, s[0:3], 0 offset:300
	v_add_f32_e32 v2, v2, v163
	s_waitcnt vmcnt(7) lgkmcnt(0)
	v_mul_f32_e32 v161, v112, v3
	v_add_f32_e32 v4, v4, v162
	v_mul_f32_e32 v3, v113, v3
	v_add_f32_e32 v2, v2, v130
	buffer_load_dword v130, off, s[0:3], 0 offset:284
	v_add_f32_e32 v4, v4, v164
	v_fma_f32 v162, v112, v118, -v3
	v_fmac_f32_e32 v161, v113, v118
	v_add_f32_e32 v2, v2, v166
	v_add_f32_e32 v4, v4, v165
	;; [unrolled: 1-line block ×3, first 2 shown]
	buffer_load_dword v146, off, s[0:3], 0 offset:308
	v_add_f32_e32 v4, v4, v167
	v_add_f32_e32 v2, v2, v147
	;; [unrolled: 1-line block ×3, first 2 shown]
	s_clause 0x5
	buffer_load_dword v147, off, s[0:3], 0 offset:328
	buffer_load_dword v163, off, s[0:3], 0 offset:320
	;; [unrolled: 1-line block ×6, first 2 shown]
	v_add_f32_e32 v2, v2, v123
	v_add_f32_e32 v3, v3, v148
	v_add_f32_e32 v2, v2, v140
	v_add_f32_e32 v3, v3, v149
	s_clause 0x1
	buffer_load_dword v140, off, s[0:3], 0 offset:324
	buffer_load_dword v149, off, s[0:3], 0 offset:332
	v_add_f32_e32 v2, v2, v142
	v_add_f32_e32 v3, v3, v141
	s_clause 0x6
	buffer_load_dword v141, off, s[0:3], 0 offset:348
	buffer_load_dword v142, off, s[0:3], 0 offset:356
	;; [unrolled: 1-line block ×7, first 2 shown]
	v_add_f32_e32 v2, v2, v131
	v_add_f32_e32 v3, v3, v121
	;; [unrolled: 1-line block ×4, first 2 shown]
	buffer_load_dword v132, off, s[0:3], 0 offset:404
	v_add_f32_e32 v2, v2, v133
	v_add_f32_e32 v3, v3, v144
	s_clause 0x3
	buffer_load_dword v133, off, s[0:3], 0 offset:360
	buffer_load_dword v143, off, s[0:3], 0 offset:352
	buffer_load_dword v144, off, s[0:3], 0 offset:344
	buffer_load_dword v172, off, s[0:3], 0 offset:336
	v_add_f32_e32 v2, v2, v136
	v_add_f32_e32 v3, v3, v134
	;; [unrolled: 1-line block ×4, first 2 shown]
	s_clause 0x3
	buffer_load_dword v134, off, s[0:3], 0 offset:392
	buffer_load_dword v135, off, s[0:3], 0 offset:384
	;; [unrolled: 1-line block ×4, first 2 shown]
	v_add_f32_e32 v2, v2, v8
	buffer_load_dword v8, off, s[0:3], 0 offset:400
	v_add_f32_e32 v3, v3, v137
	buffer_load_dword v137, off, s[0:3], 0 offset:48
	v_add_f32_e32 v2, v2, v125
	v_add_f32_e32 v3, v3, v120
	;; [unrolled: 1-line block ×20, first 2 shown]
	s_waitcnt vmcnt(34)
	v_mul_f32_e32 v148, v114, v5
	v_mul_f32_e32 v4, v115, v5
	s_waitcnt vmcnt(30)
	v_fmac_f32_e32 v148, v115, v151
	v_fma_f32 v151, v114, v151, -v4
	ds_read2_b64 v[2:5], v1 offset0:87 offset1:88
	ds_read2_b64 v[112:115], v1 offset0:89 offset1:90
	v_add_f32_e32 v7, v7, v148
	v_add_f32_e32 v6, v6, v151
	s_waitcnt vmcnt(27) lgkmcnt(1)
	v_mul_f32_e32 v138, v2, v130
	v_mul_f32_e32 v117, v3, v130
	;; [unrolled: 1-line block ×4, first 2 shown]
	s_waitcnt lgkmcnt(0)
	v_mul_f32_e32 v154, v112, v159
	v_fmac_f32_e32 v138, v3, v150
	v_fma_f32 v128, v2, v150, -v117
	v_fmac_f32_e32 v139, v5, v119
	v_fma_f32 v150, v4, v119, -v118
	ds_read2_b64 v[2:5], v1 offset0:91 offset1:92
	ds_read2_b64 v[116:119], v1 offset0:93 offset1:94
	v_mul_f32_e32 v120, v113, v159
	s_waitcnt vmcnt(26)
	v_mul_f32_e32 v145, v114, v146
	v_mul_f32_e32 v121, v115, v146
	v_fmac_f32_e32 v154, v113, v122
	v_fma_f32 v146, v112, v122, -v120
	s_waitcnt vmcnt(22)
	v_fmac_f32_e32 v145, v115, v164
	v_fma_f32 v152, v114, v164, -v121
	ds_read2_b64 v[112:115], v1 offset0:95 offset1:96
	ds_read2_b64 v[120:123], v1 offset0:97 offset1:98
	;; [unrolled: 1-line block ×3, first 2 shown]
	s_waitcnt vmcnt(21) lgkmcnt(4)
	v_mul_f32_e32 v153, v2, v165
	v_mul_f32_e32 v130, v3, v165
	v_fmac_f32_e32 v153, v3, v129
	v_add_f32_e32 v3, v6, v128
	v_fma_f32 v2, v2, v129, -v130
	ds_read2_b64 v[128:131], v1 offset0:101 offset1:102
	v_add_f32_e32 v1, v7, v138
	s_waitcnt vmcnt(19)
	v_mul_f32_e32 v7, v5, v140
	v_add_f32_e32 v3, v3, v150
	v_mul_f32_e32 v6, v4, v140
	s_waitcnt vmcnt(18) lgkmcnt(4)
	v_mul_f32_e32 v140, v117, v149
	v_add_f32_e32 v1, v1, v139
	v_fma_f32 v4, v4, v163, -v7
	v_add_f32_e32 v3, v3, v146
	v_mul_f32_e32 v138, v116, v149
	v_fmac_f32_e32 v6, v5, v163
	v_add_f32_e32 v1, v1, v154
	v_fma_f32 v116, v116, v147, -v140
	v_add_f32_e32 v3, v3, v152
	v_mul_f32_e32 v139, v118, v166
	v_fmac_f32_e32 v138, v117, v147
	v_add_f32_e32 v1, v1, v145
	v_mul_f32_e32 v145, v119, v166
	v_add_f32_e32 v2, v3, v2
	s_waitcnt vmcnt(17) lgkmcnt(3)
	v_mul_f32_e32 v5, v112, v141
	s_waitcnt vmcnt(6)
	v_fmac_f32_e32 v139, v119, v172
	v_add_f32_e32 v1, v1, v153
	v_mul_f32_e32 v7, v114, v142
	v_add_f32_e32 v2, v2, v4
	v_mul_f32_e32 v4, v113, v141
	v_fmac_f32_e32 v5, v113, v144
	v_add_f32_e32 v1, v1, v6
	v_fma_f32 v6, v118, v172, -v145
	v_add_f32_e32 v2, v2, v116
	v_mul_f32_e32 v116, v115, v142
	v_fma_f32 v4, v112, v144, -v4
	v_add_f32_e32 v1, v1, v138
	s_waitcnt lgkmcnt(2)
	v_mul_f32_e32 v146, v120, v167
	v_add_f32_e32 v2, v2, v6
	v_mul_f32_e32 v6, v121, v167
	v_fma_f32 v112, v114, v143, -v116
	v_add_f32_e32 v1, v1, v139
	v_fmac_f32_e32 v7, v115, v143
	v_add_f32_e32 v2, v2, v4
	v_mul_f32_e32 v4, v123, v168
	v_mul_f32_e32 v148, v122, v168
	v_add_f32_e32 v1, v1, v5
	v_fma_f32 v5, v120, v133, -v6
	v_add_f32_e32 v2, v2, v112
	v_fmac_f32_e32 v146, v121, v133
	s_waitcnt lgkmcnt(1)
	v_mul_f32_e32 v6, v125, v169
	v_add_f32_e32 v1, v1, v7
	s_waitcnt vmcnt(2)
	v_fma_f32 v4, v122, v173, -v4
	v_add_f32_e32 v2, v2, v5
	v_mul_f32_e32 v149, v124, v169
	v_fmac_f32_e32 v148, v123, v173
	v_add_f32_e32 v1, v1, v146
	v_mul_f32_e32 v5, v127, v170
	v_fma_f32 v6, v124, v136, -v6
	v_add_f32_e32 v2, v2, v4
	v_mul_f32_e32 v150, v126, v170
	v_fmac_f32_e32 v149, v125, v136
	v_add_f32_e32 v1, v1, v148
	s_waitcnt lgkmcnt(0)
	v_mul_f32_e32 v4, v129, v171
	v_fma_f32 v5, v126, v135, -v5
	v_add_f32_e32 v2, v2, v6
	v_mul_f32_e32 v151, v128, v171
	v_fmac_f32_e32 v150, v127, v135
	v_add_f32_e32 v1, v1, v149
	v_mul_f32_e32 v6, v131, v132
	v_fma_f32 v4, v128, v134, -v4
	v_add_f32_e32 v2, v2, v5
	v_mul_f32_e32 v3, v130, v132
	v_fmac_f32_e32 v151, v129, v134
	v_add_f32_e32 v1, v1, v150
	s_waitcnt vmcnt(1)
	v_fma_f32 v5, v130, v8, -v6
	v_add_f32_e32 v2, v2, v4
	v_fmac_f32_e32 v3, v131, v8
	v_add_f32_e32 v1, v1, v151
	v_add_f32_e32 v2, v2, v5
	;; [unrolled: 1-line block ×3, first 2 shown]
	s_waitcnt vmcnt(0)
	v_sub_f32_e32 v2, v137, v2
	v_sub_f32_e32 v1, v160, v1
	buffer_store_dword v2, off, s[0:3], 0 offset:48
	buffer_store_dword v1, off, s[0:3], 0 offset:52
	v_cmpx_lt_u32_e32 5, v0
	s_cbranch_execz .LBB114_309
; %bb.308:
	s_clause 0x1
	buffer_load_dword v1, off, s[0:3], 0 offset:40
	buffer_load_dword v2, off, s[0:3], 0 offset:44
	v_mov_b32_e32 v3, 0
	buffer_store_dword v3, off, s[0:3], 0 offset:40
	buffer_store_dword v3, off, s[0:3], 0 offset:44
	s_waitcnt vmcnt(0)
	ds_write_b64 v111, v[1:2]
.LBB114_309:
	s_or_b32 exec_lo, exec_lo, s4
	s_waitcnt lgkmcnt(0)
	s_waitcnt_vscnt null, 0x0
	s_barrier
	buffer_gl0_inv
	s_clause 0x2c
	buffer_load_dword v150, off, s[0:3], 0 offset:52
	buffer_load_dword v151, off, s[0:3], 0 offset:60
	buffer_load_dword v121, off, s[0:3], 0 offset:64
	buffer_load_dword v135, off, s[0:3], 0 offset:56
	buffer_load_dword v139, off, s[0:3], 0 offset:48
	buffer_load_dword v134, off, s[0:3], 0 offset:68
	buffer_load_dword v132, off, s[0:3], 0 offset:76
	buffer_load_dword v8, off, s[0:3], 0 offset:96
	buffer_load_dword v124, off, s[0:3], 0 offset:88
	buffer_load_dword v129, off, s[0:3], 0 offset:80
	buffer_load_dword v140, off, s[0:3], 0 offset:72
	buffer_load_dword v138, off, s[0:3], 0 offset:84
	buffer_load_dword v137, off, s[0:3], 0 offset:92
	buffer_load_dword v128, off, s[0:3], 0 offset:100
	buffer_load_dword v126, off, s[0:3], 0 offset:108
	buffer_load_dword v4, off, s[0:3], 0 offset:128
	buffer_load_dword v116, off, s[0:3], 0 offset:120
	buffer_load_dword v122, off, s[0:3], 0 offset:112
	buffer_load_dword v136, off, s[0:3], 0 offset:104
	buffer_load_dword v133, off, s[0:3], 0 offset:116
	buffer_load_dword v131, off, s[0:3], 0 offset:124
	buffer_load_dword v120, off, s[0:3], 0 offset:132
	buffer_load_dword v118, off, s[0:3], 0 offset:140
	buffer_load_dword v3, off, s[0:3], 0 offset:160
	buffer_load_dword v112, off, s[0:3], 0 offset:152
	buffer_load_dword v115, off, s[0:3], 0 offset:144
	buffer_load_dword v130, off, s[0:3], 0 offset:136
	buffer_load_dword v127, off, s[0:3], 0 offset:148
	buffer_load_dword v125, off, s[0:3], 0 offset:156
	buffer_load_dword v114, off, s[0:3], 0 offset:164
	buffer_load_dword v113, off, s[0:3], 0 offset:172
	buffer_load_dword v2, off, s[0:3], 0 offset:192
	buffer_load_dword v5, off, s[0:3], 0 offset:184
	buffer_load_dword v7, off, s[0:3], 0 offset:176
	buffer_load_dword v123, off, s[0:3], 0 offset:168
	buffer_load_dword v119, off, s[0:3], 0 offset:180
	buffer_load_dword v117, off, s[0:3], 0 offset:188
	buffer_load_dword v6, off, s[0:3], 0 offset:196
	buffer_load_dword v141, off, s[0:3], 0 offset:204
	buffer_load_dword v152, off, s[0:3], 0 offset:224
	buffer_load_dword v153, off, s[0:3], 0 offset:216
	buffer_load_dword v154, off, s[0:3], 0 offset:208
	buffer_load_dword v155, off, s[0:3], 0 offset:200
	buffer_load_dword v156, off, s[0:3], 0 offset:212
	buffer_load_dword v157, off, s[0:3], 0 offset:220
	v_mov_b32_e32 v1, 0
	ds_read_b128 v[142:145], v1 offset:464
	ds_read_b128 v[146:149], v1 offset:480
	buffer_load_dword v160, off, s[0:3], 0 offset:44
	s_mov_b32 s4, exec_lo
	s_waitcnt vmcnt(45) lgkmcnt(1)
	v_mul_f32_e32 v158, v143, v150
	v_mul_f32_e32 v150, v142, v150
	s_waitcnt vmcnt(44)
	v_mul_f32_e32 v159, v144, v151
	v_mul_f32_e32 v151, v145, v151
	s_waitcnt vmcnt(41)
	v_fma_f32 v158, v142, v139, -v158
	v_fmac_f32_e32 v150, v143, v139
	v_fmac_f32_e32 v159, v145, v135
	v_fma_f32 v151, v144, v135, -v151
	ds_read_b128 v[142:145], v1 offset:496
	s_waitcnt vmcnt(40) lgkmcnt(1)
	v_mul_f32_e32 v161, v146, v134
	v_mul_f32_e32 v134, v147, v134
	s_waitcnt vmcnt(39)
	v_mul_f32_e32 v162, v148, v132
	v_mul_f32_e32 v132, v149, v132
	v_fmac_f32_e32 v161, v147, v121
	v_fma_f32 v121, v146, v121, -v134
	s_waitcnt vmcnt(35)
	v_fmac_f32_e32 v162, v149, v140
	v_fma_f32 v163, v148, v140, -v132
	ds_read_b128 v[146:149], v1 offset:512
	s_waitcnt vmcnt(34) lgkmcnt(1)
	v_mul_f32_e32 v164, v142, v138
	v_mul_f32_e32 v132, v143, v138
	s_waitcnt vmcnt(33)
	v_mul_f32_e32 v165, v144, v137
	v_mul_f32_e32 v134, v145, v137
	ds_read_b128 v[137:140], v1 offset:528
	v_fmac_f32_e32 v164, v143, v129
	v_fma_f32 v129, v142, v129, -v132
	v_fmac_f32_e32 v165, v145, v124
	v_fma_f32 v166, v144, v124, -v134
	ds_read_b128 v[142:145], v1 offset:544
	s_waitcnt vmcnt(32) lgkmcnt(2)
	v_mul_f32_e32 v167, v146, v128
	v_mul_f32_e32 v124, v147, v128
	s_waitcnt vmcnt(31)
	v_mul_f32_e32 v128, v148, v126
	v_mul_f32_e32 v126, v149, v126
	v_fmac_f32_e32 v167, v147, v8
	v_fma_f32 v8, v146, v8, -v124
	s_waitcnt vmcnt(27)
	v_fmac_f32_e32 v128, v149, v136
	v_fma_f32 v146, v148, v136, -v126
	buffer_load_dword v149, off, s[0:3], 0 offset:236
	s_waitcnt vmcnt(27) lgkmcnt(1)
	v_mul_f32_e32 v147, v137, v133
	v_mul_f32_e32 v124, v138, v133
	s_waitcnt vmcnt(26)
	v_mul_f32_e32 v148, v139, v131
	v_mul_f32_e32 v126, v140, v131
	ds_read_b128 v[131:134], v1 offset:560
	v_fmac_f32_e32 v147, v138, v122
	v_fma_f32 v122, v137, v122, -v124
	v_fmac_f32_e32 v148, v140, v116
	v_fma_f32 v139, v139, v116, -v126
	s_waitcnt vmcnt(25) lgkmcnt(1)
	v_mul_f32_e32 v140, v142, v120
	v_mul_f32_e32 v116, v143, v120
	s_waitcnt vmcnt(24)
	v_mul_f32_e32 v120, v144, v118
	v_mul_f32_e32 v118, v145, v118
	ds_read_b128 v[135:138], v1 offset:576
	v_fmac_f32_e32 v140, v143, v4
	v_fma_f32 v142, v142, v4, -v116
	s_waitcnt vmcnt(20)
	v_fmac_f32_e32 v120, v145, v130
	v_fma_f32 v130, v144, v130, -v118
	s_waitcnt vmcnt(19) lgkmcnt(1)
	v_mul_f32_e32 v143, v131, v127
	v_mul_f32_e32 v4, v132, v127
	s_waitcnt vmcnt(18)
	v_mul_f32_e32 v144, v133, v125
	v_mul_f32_e32 v116, v134, v125
	ds_read_b128 v[124:127], v1 offset:592
	v_fmac_f32_e32 v143, v132, v115
	v_fma_f32 v131, v131, v115, -v4
	v_fmac_f32_e32 v144, v134, v112
	v_fma_f32 v132, v133, v112, -v116
	s_waitcnt vmcnt(17) lgkmcnt(1)
	v_mul_f32_e32 v133, v135, v114
	s_waitcnt vmcnt(16)
	v_mul_f32_e32 v134, v137, v113
	v_mul_f32_e32 v112, v138, v113
	;; [unrolled: 1-line block ×3, first 2 shown]
	v_fmac_f32_e32 v133, v136, v3
	s_waitcnt vmcnt(12)
	v_fmac_f32_e32 v134, v138, v123
	v_fma_f32 v123, v137, v123, -v112
	ds_read_b128 v[112:115], v1 offset:608
	v_fma_f32 v135, v135, v3, -v4
	s_waitcnt vmcnt(11) lgkmcnt(1)
	v_mul_f32_e32 v136, v124, v119
	v_mul_f32_e32 v3, v125, v119
	s_waitcnt vmcnt(10)
	v_mul_f32_e32 v137, v126, v117
	v_mul_f32_e32 v4, v127, v117
	ds_read_b128 v[116:119], v1 offset:624
	v_fmac_f32_e32 v136, v125, v7
	buffer_load_dword v125, off, s[0:3], 0 offset:228
	v_fma_f32 v7, v124, v7, -v3
	v_fma_f32 v124, v126, v5, -v4
	v_fmac_f32_e32 v137, v127, v5
	s_waitcnt vmcnt(10) lgkmcnt(1)
	v_mul_f32_e32 v126, v112, v6
	v_mul_f32_e32 v3, v113, v6
	s_waitcnt vmcnt(9)
	v_mul_f32_e32 v4, v115, v141
	v_mul_f32_e32 v6, v114, v141
	v_fmac_f32_e32 v126, v113, v2
	v_fma_f32 v127, v112, v2, -v3
	s_waitcnt vmcnt(5)
	v_fma_f32 v138, v114, v155, -v4
	ds_read_b128 v[2:5], v1 offset:640
	v_fmac_f32_e32 v6, v115, v155
	s_waitcnt vmcnt(4) lgkmcnt(1)
	v_mul_f32_e32 v141, v116, v156
	v_mul_f32_e32 v112, v117, v156
	s_waitcnt vmcnt(3)
	v_mul_f32_e32 v145, v118, v157
	v_mul_f32_e32 v113, v119, v157
	v_fmac_f32_e32 v141, v117, v154
	v_fma_f32 v116, v116, v154, -v112
	v_fmac_f32_e32 v145, v119, v153
	v_fma_f32 v117, v118, v153, -v113
	s_clause 0x5
	buffer_load_dword v118, off, s[0:3], 0 offset:256
	buffer_load_dword v119, off, s[0:3], 0 offset:248
	;; [unrolled: 1-line block ×6, first 2 shown]
	v_add_f32_e32 v112, 0, v158
	v_add_f32_e32 v113, 0, v150
	buffer_load_dword v150, off, s[0:3], 0 offset:260
	v_add_f32_e32 v112, v112, v151
	buffer_load_dword v151, off, s[0:3], 0 offset:268
	v_add_f32_e32 v113, v113, v159
	v_add_f32_e32 v112, v112, v121
	s_clause 0x3
	buffer_load_dword v121, off, s[0:3], 0 offset:288
	buffer_load_dword v157, off, s[0:3], 0 offset:280
	;; [unrolled: 1-line block ×4, first 2 shown]
	v_add_f32_e32 v113, v113, v161
	v_add_f32_e32 v112, v112, v163
	;; [unrolled: 1-line block ×4, first 2 shown]
	buffer_load_dword v129, off, s[0:3], 0 offset:276
	v_add_f32_e32 v113, v113, v164
	v_add_f32_e32 v112, v112, v166
	s_waitcnt vmcnt(13) lgkmcnt(0)
	v_mul_f32_e32 v161, v2, v125
	v_mul_f32_e32 v114, v3, v125
	v_fmac_f32_e32 v161, v3, v152
	v_fma_f32 v125, v2, v152, -v114
	v_add_f32_e32 v2, v113, v165
	v_add_f32_e32 v3, v112, v8
	ds_read_b128 v[112:115], v1 offset:656
	buffer_load_dword v8, off, s[0:3], 0 offset:284
	v_add_f32_e32 v2, v2, v167
	v_add_f32_e32 v3, v3, v146
	v_mul_f32_e32 v146, v4, v149
	v_mul_f32_e32 v149, v5, v149
	v_add_f32_e32 v2, v2, v128
	v_add_f32_e32 v3, v3, v122
	s_clause 0x1
	buffer_load_dword v128, off, s[0:3], 0 offset:292
	buffer_load_dword v122, off, s[0:3], 0 offset:300
	v_add_f32_e32 v147, v2, v147
	v_add_f32_e32 v139, v3, v139
	s_waitcnt vmcnt(12)
	v_fmac_f32_e32 v146, v5, v154
	v_fma_f32 v149, v4, v154, -v149
	ds_read_b128 v[2:5], v1 offset:672
	v_add_f32_e32 v147, v147, v148
	s_waitcnt vmcnt(11) lgkmcnt(1)
	v_mul_f32_e32 v152, v112, v155
	v_mul_f32_e32 v154, v113, v155
	v_add_f32_e32 v139, v139, v142
	s_clause 0x3
	buffer_load_dword v142, off, s[0:3], 0 offset:320
	buffer_load_dword v148, off, s[0:3], 0 offset:312
	;; [unrolled: 1-line block ×4, first 2 shown]
	v_fmac_f32_e32 v152, v113, v153
	v_fma_f32 v153, v112, v153, -v154
	v_add_f32_e32 v112, v147, v140
	v_add_f32_e32 v113, v139, v130
	s_waitcnt vmcnt(14)
	v_mul_f32_e32 v130, v114, v156
	v_mul_f32_e32 v139, v115, v156
	s_clause 0x1
	buffer_load_dword v140, off, s[0:3], 0 offset:308
	buffer_load_dword v147, off, s[0:3], 0 offset:316
	v_add_f32_e32 v112, v112, v120
	v_add_f32_e32 v113, v113, v131
	v_fmac_f32_e32 v130, v115, v119
	v_fma_f32 v120, v114, v119, -v139
	buffer_load_dword v154, off, s[0:3], 0 offset:324
	v_add_f32_e32 v119, v112, v143
	v_add_f32_e32 v132, v113, v132
	s_clause 0x3
	buffer_load_dword v131, off, s[0:3], 0 offset:332
	buffer_load_dword v139, off, s[0:3], 0 offset:340
	;; [unrolled: 1-line block ×4, first 2 shown]
	ds_read_b128 v[112:115], v1 offset:688
	v_add_f32_e32 v119, v119, v144
	s_waitcnt vmcnt(20) lgkmcnt(1)
	v_mul_f32_e32 v144, v2, v150
	v_mul_f32_e32 v150, v3, v150
	v_add_f32_e32 v132, v132, v135
	s_waitcnt vmcnt(19)
	v_mul_f32_e32 v135, v4, v151
	v_add_f32_e32 v119, v119, v133
	v_mul_f32_e32 v133, v5, v151
	v_fmac_f32_e32 v144, v3, v118
	v_fma_f32 v150, v2, v118, -v150
	v_add_f32_e32 v2, v132, v123
	v_add_f32_e32 v3, v119, v134
	s_clause 0x3
	buffer_load_dword v132, off, s[0:3], 0 offset:364
	buffer_load_dword v134, off, s[0:3], 0 offset:372
	;; [unrolled: 1-line block ×4, first 2 shown]
	s_waitcnt vmcnt(19)
	v_fmac_f32_e32 v135, v5, v159
	v_fma_f32 v133, v4, v159, -v133
	buffer_load_dword v159, off, s[0:3], 0 offset:396
	v_add_f32_e32 v3, v3, v136
	s_clause 0x4
	buffer_load_dword v136, off, s[0:3], 0 offset:352
	buffer_load_dword v164, off, s[0:3], 0 offset:344
	;; [unrolled: 1-line block ×5, first 2 shown]
	v_add_f32_e32 v2, v2, v7
	s_waitcnt vmcnt(24) lgkmcnt(0)
	v_mul_f32_e32 v119, v113, v129
	v_add_f32_e32 v7, v3, v137
	v_mul_f32_e32 v137, v112, v129
	v_add_f32_e32 v2, v2, v124
	v_fma_f32 v124, v112, v158, -v119
	v_add_f32_e32 v7, v7, v126
	v_fmac_f32_e32 v137, v113, v158
	v_add_f32_e32 v118, v2, v127
	ds_read_b128 v[2:5], v1 offset:704
	v_add_f32_e32 v6, v7, v6
	v_add_f32_e32 v118, v118, v138
	s_clause 0x3
	buffer_load_dword v129, off, s[0:3], 0 offset:384
	buffer_load_dword v138, off, s[0:3], 0 offset:376
	buffer_load_dword v158, off, s[0:3], 0 offset:368
	buffer_load_dword v168, off, s[0:3], 0 offset:360
	v_add_f32_e32 v6, v6, v141
	s_clause 0x1
	buffer_load_dword v141, off, s[0:3], 0 offset:400
	buffer_load_dword v169, off, s[0:3], 0 offset:392
	v_add_f32_e32 v7, v118, v116
	v_add_f32_e32 v6, v6, v145
	buffer_load_dword v145, off, s[0:3], 0 offset:40
	v_add_f32_e32 v7, v7, v117
	ds_read_b128 v[116:119], v1 offset:736
	v_add_f32_e32 v6, v6, v161
	v_add_f32_e32 v7, v7, v125
	;; [unrolled: 1-line block ×14, first 2 shown]
	s_waitcnt vmcnt(30)
	v_mul_f32_e32 v170, v114, v8
	v_mul_f32_e32 v8, v115, v8
	v_fmac_f32_e32 v170, v115, v157
	v_fma_f32 v8, v114, v157, -v8
	ds_read_b128 v[112:115], v1 offset:720
	s_waitcnt vmcnt(29) lgkmcnt(2)
	v_mul_f32_e32 v123, v3, v128
	v_mul_f32_e32 v146, v2, v128
	s_waitcnt vmcnt(28)
	v_mul_f32_e32 v128, v4, v122
	v_mul_f32_e32 v122, v5, v122
	v_add_f32_e32 v8, v7, v8
	v_fma_f32 v149, v2, v121, -v123
	v_fmac_f32_e32 v146, v3, v121
	v_add_f32_e32 v135, v135, v170
	v_add_f32_e32 v8, v8, v149
	v_add_f32_e32 v135, v135, v146
	s_waitcnt vmcnt(24)
	v_fma_f32 v152, v4, v162, -v122
	v_fmac_f32_e32 v128, v5, v162
	ds_read_b128 v[2:5], v1 offset:752
	ds_read_b128 v[120:123], v1 offset:768
	ds_read_b64 v[6:7], v1 offset:816
	v_add_f32_e32 v8, v8, v152
	v_add_f32_e32 v128, v135, v128
	s_waitcnt vmcnt(23) lgkmcnt(3)
	v_mul_f32_e32 v125, v113, v140
	v_mul_f32_e32 v130, v112, v140
	s_waitcnt vmcnt(22)
	v_mul_f32_e32 v140, v114, v147
	v_mul_f32_e32 v133, v115, v147
	v_fma_f32 v144, v112, v155, -v125
	v_fmac_f32_e32 v130, v113, v155
	v_fmac_f32_e32 v140, v115, v148
	v_fma_f32 v133, v114, v148, -v133
	s_waitcnt vmcnt(21)
	v_mul_f32_e32 v148, v117, v154
	v_add_f32_e32 v8, v8, v144
	v_mul_f32_e32 v137, v116, v154
	v_add_f32_e32 v128, v128, v130
	s_waitcnt vmcnt(20)
	v_mul_f32_e32 v147, v118, v131
	v_mul_f32_e32 v131, v119, v131
	v_fma_f32 v116, v116, v142, -v148
	v_add_f32_e32 v8, v8, v133
	v_fmac_f32_e32 v137, v117, v142
	v_add_f32_e32 v128, v128, v140
	ds_read_b128 v[124:127], v1 offset:784
	ds_read_b128 v[112:115], v1 offset:800
	s_waitcnt vmcnt(19) lgkmcnt(4)
	v_mul_f32_e32 v146, v2, v139
	v_mul_f32_e32 v139, v3, v139
	v_add_f32_e32 v8, v8, v116
	v_add_f32_e32 v116, v128, v137
	s_waitcnt vmcnt(18)
	v_mul_f32_e32 v149, v4, v143
	s_waitcnt vmcnt(9)
	v_fmac_f32_e32 v146, v3, v165
	s_waitcnt vmcnt(8)
	v_fma_f32 v118, v118, v166, -v131
	v_fmac_f32_e32 v147, v119, v166
	v_mul_f32_e32 v119, v5, v143
	v_fma_f32 v2, v2, v165, -v139
	s_waitcnt lgkmcnt(3)
	v_mul_f32_e32 v150, v120, v156
	v_add_f32_e32 v3, v8, v118
	v_add_f32_e32 v8, v116, v147
	v_mul_f32_e32 v116, v121, v156
	v_fma_f32 v4, v4, v164, -v119
	v_fmac_f32_e32 v149, v5, v164
	v_add_f32_e32 v2, v3, v2
	v_add_f32_e32 v3, v8, v146
	v_mul_f32_e32 v5, v123, v132
	v_fma_f32 v8, v120, v136, -v116
	v_mul_f32_e32 v135, v122, v132
	v_add_f32_e32 v2, v2, v4
	v_fmac_f32_e32 v150, v121, v136
	v_add_f32_e32 v3, v3, v149
	s_waitcnt lgkmcnt(1)
	v_mul_f32_e32 v4, v125, v134
	s_waitcnt vmcnt(3)
	v_fma_f32 v5, v122, v168, -v5
	v_add_f32_e32 v2, v2, v8
	v_mul_f32_e32 v144, v124, v134
	v_fmac_f32_e32 v135, v123, v168
	v_add_f32_e32 v3, v3, v150
	v_mul_f32_e32 v8, v127, v151
	v_fma_f32 v4, v124, v158, -v4
	v_add_f32_e32 v2, v2, v5
	v_mul_f32_e32 v117, v126, v151
	v_fmac_f32_e32 v144, v125, v158
	v_add_f32_e32 v3, v3, v135
	s_waitcnt lgkmcnt(0)
	v_mul_f32_e32 v5, v113, v163
	v_fma_f32 v8, v126, v138, -v8
	v_add_f32_e32 v2, v2, v4
	v_mul_f32_e32 v130, v112, v163
	v_fmac_f32_e32 v117, v127, v138
	v_add_f32_e32 v3, v3, v144
	v_mul_f32_e32 v4, v115, v159
	v_fma_f32 v5, v112, v129, -v5
	v_add_f32_e32 v2, v2, v8
	v_mul_f32_e32 v133, v114, v159
	v_fmac_f32_e32 v130, v113, v129
	v_add_f32_e32 v3, v3, v117
	v_mul_f32_e32 v8, v7, v167
	s_waitcnt vmcnt(1)
	v_fma_f32 v4, v114, v169, -v4
	v_add_f32_e32 v2, v2, v5
	v_mul_f32_e32 v140, v6, v167
	v_fmac_f32_e32 v133, v115, v169
	v_add_f32_e32 v3, v3, v130
	v_fma_f32 v5, v6, v141, -v8
	v_add_f32_e32 v2, v2, v4
	v_fmac_f32_e32 v140, v7, v141
	v_add_f32_e32 v3, v3, v133
	v_add_f32_e32 v2, v2, v5
	;; [unrolled: 1-line block ×3, first 2 shown]
	s_waitcnt vmcnt(0)
	v_sub_f32_e32 v2, v145, v2
	v_sub_f32_e32 v3, v160, v3
	buffer_store_dword v2, off, s[0:3], 0 offset:40
	buffer_store_dword v3, off, s[0:3], 0 offset:44
	v_cmpx_lt_u32_e32 4, v0
	s_cbranch_execz .LBB114_311
; %bb.310:
	s_clause 0x1
	buffer_load_dword v2, off, s[0:3], 0 offset:32
	buffer_load_dword v3, off, s[0:3], 0 offset:36
	buffer_store_dword v1, off, s[0:3], 0 offset:32
	buffer_store_dword v1, off, s[0:3], 0 offset:36
	s_waitcnt vmcnt(0)
	ds_write_b64 v111, v[2:3]
.LBB114_311:
	s_or_b32 exec_lo, exec_lo, s4
	s_waitcnt lgkmcnt(0)
	s_waitcnt_vscnt null, 0x0
	s_barrier
	buffer_gl0_inv
	s_clause 0x2c
	buffer_load_dword v142, off, s[0:3], 0 offset:44
	buffer_load_dword v143, off, s[0:3], 0 offset:52
	;; [unrolled: 1-line block ×45, first 2 shown]
	ds_read2_b64 v[148:151], v1 offset0:57 offset1:58
	ds_read2_b64 v[152:155], v1 offset0:59 offset1:60
	buffer_load_dword v160, off, s[0:3], 0 offset:36
	s_mov_b32 s4, exec_lo
	s_waitcnt vmcnt(45) lgkmcnt(1)
	v_mul_f32_e32 v145, v148, v142
	v_mul_f32_e32 v159, v149, v142
	s_waitcnt vmcnt(44)
	v_mul_f32_e32 v142, v150, v143
	v_mul_f32_e32 v143, v151, v143
	s_waitcnt vmcnt(41)
	v_fmac_f32_e32 v145, v149, v113
	v_fma_f32 v159, v148, v113, -v159
	v_fmac_f32_e32 v142, v151, v7
	v_fma_f32 v143, v150, v7, -v143
	ds_read2_b64 v[148:151], v1 offset0:61 offset1:62
	s_waitcnt vmcnt(40) lgkmcnt(1)
	v_mul_f32_e32 v161, v152, v4
	s_waitcnt vmcnt(39)
	v_mul_f32_e32 v162, v154, v5
	v_mul_f32_e32 v4, v153, v4
	;; [unrolled: 1-line block ×3, first 2 shown]
	v_fmac_f32_e32 v161, v153, v2
	s_waitcnt vmcnt(35)
	v_fmac_f32_e32 v162, v155, v116
	v_fma_f32 v163, v152, v2, -v4
	v_fma_f32 v116, v154, v116, -v5
	ds_read2_b64 v[152:155], v1 offset0:63 offset1:64
	s_waitcnt vmcnt(34) lgkmcnt(1)
	v_mul_f32_e32 v164, v148, v115
	s_waitcnt vmcnt(33)
	v_mul_f32_e32 v165, v150, v114
	v_mul_f32_e32 v4, v151, v114
	;; [unrolled: 1-line block ×3, first 2 shown]
	v_fmac_f32_e32 v164, v149, v112
	v_fmac_f32_e32 v165, v151, v6
	v_fma_f32 v149, v150, v6, -v4
	ds_read2_b64 v[4:7], v1 offset0:65 offset1:66
	v_fma_f32 v148, v148, v112, -v2
	s_waitcnt vmcnt(32) lgkmcnt(1)
	v_mul_f32_e32 v150, v152, v8
	v_mul_f32_e32 v2, v153, v8
	s_waitcnt vmcnt(31)
	v_mul_f32_e32 v8, v154, v117
	v_mul_f32_e32 v112, v155, v117
	v_fmac_f32_e32 v150, v153, v3
	v_fma_f32 v117, v152, v3, -v2
	s_waitcnt vmcnt(27)
	v_fmac_f32_e32 v8, v155, v125
	v_fma_f32 v125, v154, v125, -v112
	ds_read2_b64 v[112:115], v1 offset0:67 offset1:68
	buffer_load_dword v155, off, s[0:3], 0 offset:228
	s_waitcnt vmcnt(27) lgkmcnt(1)
	v_mul_f32_e32 v151, v4, v123
	v_mul_f32_e32 v2, v5, v123
	s_waitcnt vmcnt(26)
	v_mul_f32_e32 v3, v7, v122
	v_mul_f32_e32 v123, v6, v122
	v_fmac_f32_e32 v151, v5, v121
	v_fma_f32 v121, v4, v121, -v2
	v_fma_f32 v6, v6, v119, -v3
	ds_read2_b64 v[2:5], v1 offset0:69 offset1:70
	v_fmac_f32_e32 v123, v7, v119
	s_waitcnt vmcnt(25) lgkmcnt(1)
	v_mul_f32_e32 v7, v112, v120
	v_mul_f32_e32 v119, v113, v120
	s_waitcnt vmcnt(24)
	v_mul_f32_e32 v120, v114, v124
	v_mul_f32_e32 v122, v115, v124
	v_fmac_f32_e32 v7, v113, v118
	v_fma_f32 v118, v112, v118, -v119
	s_waitcnt vmcnt(20)
	v_fmac_f32_e32 v120, v115, v133
	v_fma_f32 v119, v114, v133, -v122
	ds_read2_b64 v[112:115], v1 offset0:71 offset1:72
	s_waitcnt vmcnt(19) lgkmcnt(1)
	v_mul_f32_e32 v122, v2, v131
	v_mul_f32_e32 v124, v3, v131
	s_waitcnt vmcnt(18)
	v_mul_f32_e32 v131, v4, v130
	v_mul_f32_e32 v130, v5, v130
	v_fmac_f32_e32 v122, v3, v129
	v_fma_f32 v124, v2, v129, -v124
	v_fmac_f32_e32 v131, v5, v127
	v_fma_f32 v127, v4, v127, -v130
	ds_read2_b64 v[2:5], v1 offset0:73 offset1:74
	s_waitcnt vmcnt(17) lgkmcnt(1)
	v_mul_f32_e32 v129, v112, v128
	v_mul_f32_e32 v128, v113, v128
	s_waitcnt vmcnt(16)
	v_mul_f32_e32 v130, v114, v132
	v_mul_f32_e32 v132, v115, v132
	v_fmac_f32_e32 v129, v113, v126
	v_fma_f32 v126, v112, v126, -v128
	s_waitcnt vmcnt(12)
	v_fmac_f32_e32 v130, v115, v141
	v_fma_f32 v128, v114, v141, -v132
	ds_read2_b64 v[112:115], v1 offset0:75 offset1:76
	buffer_load_dword v141, off, s[0:3], 0 offset:220
	s_waitcnt vmcnt(12) lgkmcnt(1)
	v_mul_f32_e32 v132, v2, v139
	v_mul_f32_e32 v133, v3, v139
	s_waitcnt vmcnt(11)
	v_mul_f32_e32 v139, v4, v138
	v_mul_f32_e32 v138, v5, v138
	v_fmac_f32_e32 v132, v3, v137
	v_fma_f32 v133, v2, v137, -v133
	v_fmac_f32_e32 v139, v5, v135
	v_fma_f32 v135, v4, v135, -v138
	ds_read2_b64 v[2:5], v1 offset0:77 offset1:78
	s_waitcnt vmcnt(10) lgkmcnt(1)
	v_mul_f32_e32 v137, v112, v136
	v_mul_f32_e32 v136, v113, v136
	s_waitcnt vmcnt(9)
	v_mul_f32_e32 v138, v114, v140
	v_mul_f32_e32 v140, v115, v140
	v_fmac_f32_e32 v137, v113, v134
	v_fma_f32 v134, v112, v134, -v136
	s_waitcnt vmcnt(5)
	v_fmac_f32_e32 v138, v115, v156
	v_fma_f32 v136, v114, v156, -v140
	ds_read2_b64 v[112:115], v1 offset0:79 offset1:80
	s_waitcnt vmcnt(4) lgkmcnt(1)
	v_mul_f32_e32 v140, v2, v157
	v_mul_f32_e32 v152, v3, v157
	s_waitcnt vmcnt(3)
	v_mul_f32_e32 v153, v4, v158
	v_mul_f32_e32 v154, v5, v158
	v_fmac_f32_e32 v140, v3, v147
	v_fma_f32 v147, v2, v147, -v152
	v_fmac_f32_e32 v153, v5, v146
	v_fma_f32 v146, v4, v146, -v154
	s_clause 0x5
	buffer_load_dword v152, off, s[0:3], 0 offset:248
	buffer_load_dword v154, off, s[0:3], 0 offset:240
	;; [unrolled: 1-line block ×6, first 2 shown]
	v_add_f32_e32 v2, 0, v145
	v_add_f32_e32 v3, 0, v159
	;; [unrolled: 1-line block ×3, first 2 shown]
	buffer_load_dword v142, off, s[0:3], 0 offset:252
	v_add_f32_e32 v3, v3, v143
	buffer_load_dword v143, off, s[0:3], 0 offset:260
	v_add_f32_e32 v2, v2, v161
	v_add_f32_e32 v3, v3, v163
	;; [unrolled: 1-line block ×4, first 2 shown]
	s_clause 0x4
	buffer_load_dword v145, off, s[0:3], 0 offset:280
	buffer_load_dword v116, off, s[0:3], 0 offset:272
	;; [unrolled: 1-line block ×5, first 2 shown]
	v_add_f32_e32 v2, v2, v164
	v_add_f32_e32 v3, v3, v148
	s_clause 0x1
	buffer_load_dword v148, off, s[0:3], 0 offset:276
	buffer_load_dword v163, off, s[0:3], 0 offset:284
	v_add_f32_e32 v2, v2, v165
	v_add_f32_e32 v3, v3, v149
	;; [unrolled: 1-line block ×10, first 2 shown]
	s_waitcnt vmcnt(16) lgkmcnt(0)
	v_mul_f32_e32 v117, v115, v155
	s_waitcnt vmcnt(15)
	v_mul_f32_e32 v149, v112, v141
	v_mul_f32_e32 v4, v113, v141
	;; [unrolled: 1-line block ×3, first 2 shown]
	v_fmac_f32_e32 v149, v113, v144
	v_fma_f32 v144, v112, v144, -v4
	v_add_f32_e32 v112, v3, v125
	ds_read2_b64 v[2:5], v1 offset0:81 offset1:82
	v_add_f32_e32 v112, v112, v121
	s_clause 0x4
	buffer_load_dword v121, off, s[0:3], 0 offset:292
	buffer_load_dword v150, off, s[0:3], 0 offset:312
	;; [unrolled: 1-line block ×5, first 2 shown]
	v_add_f32_e32 v6, v112, v6
	v_add_f32_e32 v6, v6, v118
	;; [unrolled: 1-line block ×5, first 2 shown]
	s_waitcnt vmcnt(16)
	v_fmac_f32_e32 v141, v115, v157
	v_fma_f32 v117, v114, v157, -v117
	s_clause 0x2
	buffer_load_dword v8, off, s[0:3], 0 offset:300
	buffer_load_dword v157, off, s[0:3], 0 offset:308
	;; [unrolled: 1-line block ×3, first 2 shown]
	ds_read2_b64 v[112:115], v1 offset0:83 offset1:84
	s_waitcnt vmcnt(18) lgkmcnt(1)
	v_mul_f32_e32 v118, v2, v158
	v_mul_f32_e32 v119, v3, v158
	s_waitcnt vmcnt(17)
	v_mul_f32_e32 v120, v4, v166
	v_mul_f32_e32 v122, v5, v166
	v_fmac_f32_e32 v118, v3, v156
	v_add_f32_e32 v3, v7, v131
	v_fma_f32 v7, v2, v156, -v119
	v_fmac_f32_e32 v120, v5, v154
	v_fma_f32 v122, v4, v154, -v122
	v_add_f32_e32 v2, v3, v129
	v_add_f32_e32 v3, v6, v126
	s_clause 0x7
	buffer_load_dword v6, off, s[0:3], 0 offset:324
	buffer_load_dword v154, off, s[0:3], 0 offset:332
	;; [unrolled: 1-line block ×8, first 2 shown]
	v_add_f32_e32 v2, v2, v130
	v_add_f32_e32 v3, v3, v128
	s_waitcnt vmcnt(24) lgkmcnt(0)
	v_mul_f32_e32 v123, v112, v142
	v_mul_f32_e32 v4, v113, v142
	v_add_f32_e32 v2, v2, v132
	s_clause 0x3
	buffer_load_dword v142, off, s[0:3], 0 offset:356
	buffer_load_dword v169, off, s[0:3], 0 offset:364
	;; [unrolled: 1-line block ×4, first 2 shown]
	s_waitcnt vmcnt(27)
	v_mul_f32_e32 v126, v114, v143
	v_fmac_f32_e32 v123, v113, v152
	v_fma_f32 v124, v112, v152, -v4
	v_add_f32_e32 v112, v3, v133
	v_add_f32_e32 v113, v2, v139
	v_mul_f32_e32 v3, v115, v143
	s_clause 0x2
	buffer_load_dword v132, off, s[0:3], 0 offset:388
	buffer_load_dword v152, off, s[0:3], 0 offset:396
	;; [unrolled: 1-line block ×3, first 2 shown]
	v_add_f32_e32 v112, v112, v135
	v_add_f32_e32 v113, v113, v137
	s_waitcnt vmcnt(26)
	v_fma_f32 v127, v114, v161, -v3
	ds_read2_b64 v[2:5], v1 offset0:85 offset1:86
	v_fmac_f32_e32 v126, v115, v161
	v_add_f32_e32 v112, v112, v134
	v_add_f32_e32 v113, v113, v138
	s_clause 0x3
	buffer_load_dword v134, off, s[0:3], 0 offset:376
	buffer_load_dword v135, off, s[0:3], 0 offset:368
	;; [unrolled: 1-line block ×4, first 2 shown]
	v_add_f32_e32 v112, v112, v136
	v_add_f32_e32 v119, v113, v140
	;; [unrolled: 1-line block ×3, first 2 shown]
	ds_read2_b64 v[112:115], v1 offset0:87 offset1:88
	s_clause 0x3
	buffer_load_dword v136, off, s[0:3], 0 offset:400
	buffer_load_dword v139, off, s[0:3], 0 offset:392
	;; [unrolled: 1-line block ×4, first 2 shown]
	v_add_f32_e32 v119, v119, v153
	s_waitcnt vmcnt(33) lgkmcnt(1)
	v_mul_f32_e32 v130, v3, v162
	v_mul_f32_e32 v129, v2, v162
	v_fma_f32 v130, v2, v159, -v130
	v_add_f32_e32 v2, v128, v146
	v_fmac_f32_e32 v129, v3, v159
	v_add_f32_e32 v3, v119, v149
	s_waitcnt vmcnt(32)
	v_mul_f32_e32 v128, v4, v148
	v_mul_f32_e32 v119, v5, v148
	v_add_f32_e32 v2, v2, v144
	v_add_f32_e32 v3, v3, v141
	v_fmac_f32_e32 v128, v5, v116
	v_fma_f32 v131, v4, v116, -v119
	v_add_f32_e32 v117, v2, v117
	s_waitcnt vmcnt(31) lgkmcnt(0)
	v_mul_f32_e32 v144, v113, v163
	v_add_f32_e32 v141, v3, v118
	ds_read2_b64 v[2:5], v1 offset0:89 offset1:90
	v_add_f32_e32 v7, v117, v7
	ds_read2_b64 v[116:119], v1 offset0:91 offset1:92
	v_add_f32_e32 v120, v141, v120
	v_mul_f32_e32 v141, v112, v163
	v_fma_f32 v144, v112, v145, -v144
	v_add_f32_e32 v7, v7, v122
	v_fmac_f32_e32 v141, v113, v145
	v_add_f32_e32 v145, v120, v123
	v_add_f32_e32 v7, v7, v124
	;; [unrolled: 1-line block ×8, first 2 shown]
	s_waitcnt vmcnt(30)
	v_mul_f32_e32 v146, v114, v121
	v_mul_f32_e32 v121, v115, v121
	s_waitcnt vmcnt(26)
	v_fmac_f32_e32 v146, v115, v155
	v_fma_f32 v147, v114, v155, -v121
	ds_read2_b64 v[112:115], v1 offset0:93 offset1:94
	ds_read2_b64 v[120:123], v1 offset0:95 offset1:96
	s_waitcnt vmcnt(25) lgkmcnt(3)
	v_mul_f32_e32 v145, v2, v8
	s_waitcnt vmcnt(24)
	v_mul_f32_e32 v148, v4, v157
	v_mul_f32_e32 v8, v3, v8
	;; [unrolled: 1-line block ×3, first 2 shown]
	s_waitcnt vmcnt(23) lgkmcnt(2)
	v_mul_f32_e32 v149, v116, v164
	v_mul_f32_e32 v129, v117, v164
	v_fmac_f32_e32 v145, v3, v151
	v_fmac_f32_e32 v148, v5, v125
	v_fma_f32 v8, v2, v151, -v8
	v_fma_f32 v151, v4, v125, -v126
	ds_read2_b64 v[2:5], v1 offset0:97 offset1:98
	ds_read2_b64 v[124:127], v1 offset0:99 offset1:100
	v_fmac_f32_e32 v149, v117, v150
	v_fma_f32 v116, v116, v150, -v129
	v_add_f32_e32 v117, v128, v141
	ds_read2_b64 v[128:131], v1 offset0:101 offset1:102
	v_add_f32_e32 v1, v7, v144
	s_waitcnt vmcnt(22)
	v_mul_f32_e32 v7, v118, v6
	v_mul_f32_e32 v6, v119, v6
	v_add_f32_e32 v117, v117, v146
	s_waitcnt vmcnt(21) lgkmcnt(4)
	v_mul_f32_e32 v146, v113, v154
	v_add_f32_e32 v1, v1, v147
	v_mul_f32_e32 v141, v112, v154
	s_waitcnt vmcnt(15)
	v_fma_f32 v6, v118, v168, -v6
	v_fmac_f32_e32 v7, v119, v168
	v_fma_f32 v112, v112, v167, -v146
	v_add_f32_e32 v1, v1, v8
	v_add_f32_e32 v8, v117, v145
	v_mul_f32_e32 v144, v114, v156
	v_fmac_f32_e32 v141, v113, v167
	s_waitcnt lgkmcnt(3)
	v_mul_f32_e32 v118, v120, v158
	v_add_f32_e32 v1, v1, v151
	v_add_f32_e32 v8, v8, v148
	v_mul_f32_e32 v148, v115, v156
	v_fmac_f32_e32 v144, v115, v166
	s_waitcnt vmcnt(14)
	v_mul_f32_e32 v119, v122, v142
	v_add_f32_e32 v1, v1, v116
	v_add_f32_e32 v8, v8, v149
	v_fmac_f32_e32 v118, v121, v165
	s_waitcnt vmcnt(13) lgkmcnt(2)
	v_mul_f32_e32 v117, v2, v169
	s_waitcnt vmcnt(12)
	v_mul_f32_e32 v145, v4, v170
	v_add_f32_e32 v1, v1, v6
	v_add_f32_e32 v6, v8, v7
	v_mul_f32_e32 v7, v121, v158
	v_fma_f32 v8, v114, v166, -v148
	s_waitcnt vmcnt(4)
	v_fmac_f32_e32 v119, v123, v138
	v_add_f32_e32 v1, v1, v112
	v_add_f32_e32 v6, v6, v141
	v_mul_f32_e32 v112, v123, v142
	v_fma_f32 v7, v120, v165, -v7
	v_fmac_f32_e32 v117, v3, v137
	v_add_f32_e32 v1, v1, v8
	v_add_f32_e32 v6, v6, v144
	v_mul_f32_e32 v8, v3, v169
	v_fma_f32 v112, v122, v138, -v112
	s_waitcnt lgkmcnt(1)
	v_mul_f32_e32 v147, v124, v171
	v_add_f32_e32 v1, v1, v7
	v_add_f32_e32 v6, v6, v118
	v_mul_f32_e32 v7, v5, v170
	v_fma_f32 v2, v2, v137, -v8
	v_fmac_f32_e32 v145, v5, v135
	v_add_f32_e32 v1, v1, v112
	v_add_f32_e32 v3, v6, v119
	v_mul_f32_e32 v6, v125, v171
	v_fma_f32 v4, v4, v135, -v7
	v_mul_f32_e32 v150, v126, v132
	v_add_f32_e32 v1, v1, v2
	v_add_f32_e32 v2, v3, v117
	v_mul_f32_e32 v3, v127, v132
	v_fma_f32 v5, v124, v134, -v6
	v_fmac_f32_e32 v147, v125, v134
	v_add_f32_e32 v1, v1, v4
	v_add_f32_e32 v2, v2, v145
	s_waitcnt lgkmcnt(0)
	v_mul_f32_e32 v4, v129, v152
	s_waitcnt vmcnt(1)
	v_fma_f32 v3, v126, v140, -v3
	v_mul_f32_e32 v151, v128, v152
	v_add_f32_e32 v1, v1, v5
	v_fmac_f32_e32 v150, v127, v140
	v_add_f32_e32 v2, v2, v147
	v_mul_f32_e32 v5, v131, v133
	v_fma_f32 v4, v128, v139, -v4
	v_add_f32_e32 v1, v1, v3
	v_mul_f32_e32 v116, v130, v133
	v_fmac_f32_e32 v151, v129, v139
	v_add_f32_e32 v2, v2, v150
	v_fma_f32 v3, v130, v136, -v5
	v_add_f32_e32 v1, v1, v4
	v_fmac_f32_e32 v116, v131, v136
	v_add_f32_e32 v2, v2, v151
	v_add_f32_e32 v1, v1, v3
	v_add_f32_e32 v2, v2, v116
	s_waitcnt vmcnt(0)
	v_sub_f32_e32 v1, v143, v1
	v_sub_f32_e32 v2, v160, v2
	buffer_store_dword v1, off, s[0:3], 0 offset:32
	buffer_store_dword v2, off, s[0:3], 0 offset:36
	v_cmpx_lt_u32_e32 3, v0
	s_cbranch_execz .LBB114_313
; %bb.312:
	s_clause 0x1
	buffer_load_dword v1, off, s[0:3], 0 offset:24
	buffer_load_dword v2, off, s[0:3], 0 offset:28
	v_mov_b32_e32 v3, 0
	buffer_store_dword v3, off, s[0:3], 0 offset:24
	buffer_store_dword v3, off, s[0:3], 0 offset:28
	s_waitcnt vmcnt(0)
	ds_write_b64 v111, v[1:2]
.LBB114_313:
	s_or_b32 exec_lo, exec_lo, s4
	s_waitcnt lgkmcnt(0)
	s_waitcnt_vscnt null, 0x0
	s_barrier
	buffer_gl0_inv
	s_clause 0x2c
	buffer_load_dword v142, off, s[0:3], 0 offset:36
	buffer_load_dword v143, off, s[0:3], 0 offset:44
	buffer_load_dword v2, off, s[0:3], 0 offset:48
	buffer_load_dword v7, off, s[0:3], 0 offset:40
	buffer_load_dword v113, off, s[0:3], 0 offset:32
	buffer_load_dword v4, off, s[0:3], 0 offset:52
	buffer_load_dword v5, off, s[0:3], 0 offset:60
	buffer_load_dword v3, off, s[0:3], 0 offset:80
	buffer_load_dword v6, off, s[0:3], 0 offset:72
	buffer_load_dword v112, off, s[0:3], 0 offset:64
	buffer_load_dword v116, off, s[0:3], 0 offset:56
	buffer_load_dword v115, off, s[0:3], 0 offset:68
	buffer_load_dword v114, off, s[0:3], 0 offset:76
	buffer_load_dword v8, off, s[0:3], 0 offset:84
	buffer_load_dword v117, off, s[0:3], 0 offset:92
	buffer_load_dword v118, off, s[0:3], 0 offset:112
	buffer_load_dword v119, off, s[0:3], 0 offset:104
	buffer_load_dword v121, off, s[0:3], 0 offset:96
	buffer_load_dword v125, off, s[0:3], 0 offset:88
	buffer_load_dword v123, off, s[0:3], 0 offset:100
	buffer_load_dword v122, off, s[0:3], 0 offset:108
	buffer_load_dword v120, off, s[0:3], 0 offset:116
	buffer_load_dword v124, off, s[0:3], 0 offset:124
	buffer_load_dword v126, off, s[0:3], 0 offset:144
	buffer_load_dword v127, off, s[0:3], 0 offset:136
	buffer_load_dword v129, off, s[0:3], 0 offset:128
	buffer_load_dword v133, off, s[0:3], 0 offset:120
	buffer_load_dword v131, off, s[0:3], 0 offset:132
	buffer_load_dword v130, off, s[0:3], 0 offset:140
	buffer_load_dword v128, off, s[0:3], 0 offset:148
	buffer_load_dword v132, off, s[0:3], 0 offset:156
	buffer_load_dword v134, off, s[0:3], 0 offset:176
	buffer_load_dword v135, off, s[0:3], 0 offset:168
	buffer_load_dword v137, off, s[0:3], 0 offset:160
	buffer_load_dword v140, off, s[0:3], 0 offset:152
	buffer_load_dword v139, off, s[0:3], 0 offset:164
	buffer_load_dword v138, off, s[0:3], 0 offset:172
	buffer_load_dword v136, off, s[0:3], 0 offset:180
	buffer_load_dword v141, off, s[0:3], 0 offset:188
	buffer_load_dword v145, off, s[0:3], 0 offset:208
	buffer_load_dword v146, off, s[0:3], 0 offset:200
	buffer_load_dword v147, off, s[0:3], 0 offset:192
	buffer_load_dword v150, off, s[0:3], 0 offset:184
	buffer_load_dword v149, off, s[0:3], 0 offset:196
	buffer_load_dword v148, off, s[0:3], 0 offset:204
	v_mov_b32_e32 v1, 0
	ds_read_b128 v[151:154], v1 offset:448
	ds_read_b128 v[155:158], v1 offset:464
	buffer_load_dword v160, off, s[0:3], 0 offset:28
	s_mov_b32 s4, exec_lo
	s_waitcnt vmcnt(45) lgkmcnt(1)
	v_mul_f32_e32 v144, v151, v142
	v_mul_f32_e32 v159, v152, v142
	s_waitcnt vmcnt(44)
	v_mul_f32_e32 v142, v153, v143
	v_mul_f32_e32 v143, v154, v143
	s_waitcnt vmcnt(41)
	v_fmac_f32_e32 v144, v152, v113
	v_fma_f32 v159, v151, v113, -v159
	v_fmac_f32_e32 v142, v154, v7
	v_fma_f32 v143, v153, v7, -v143
	ds_read_b128 v[151:154], v1 offset:480
	s_waitcnt vmcnt(40) lgkmcnt(1)
	v_mul_f32_e32 v161, v155, v4
	s_waitcnt vmcnt(39)
	v_mul_f32_e32 v162, v157, v5
	v_mul_f32_e32 v4, v156, v4
	;; [unrolled: 1-line block ×3, first 2 shown]
	v_fmac_f32_e32 v161, v156, v2
	s_waitcnt vmcnt(35)
	v_fmac_f32_e32 v162, v158, v116
	v_fma_f32 v163, v155, v2, -v4
	v_fma_f32 v116, v157, v116, -v5
	ds_read_b128 v[155:158], v1 offset:496
	s_waitcnt vmcnt(34) lgkmcnt(1)
	v_mul_f32_e32 v164, v151, v115
	s_waitcnt vmcnt(33)
	v_mul_f32_e32 v165, v153, v114
	v_mul_f32_e32 v4, v154, v114
	v_mul_f32_e32 v2, v152, v115
	v_fmac_f32_e32 v164, v152, v112
	v_fmac_f32_e32 v165, v154, v6
	v_fma_f32 v152, v153, v6, -v4
	ds_read_b128 v[4:7], v1 offset:512
	v_fma_f32 v151, v151, v112, -v2
	s_waitcnt vmcnt(32) lgkmcnt(1)
	v_mul_f32_e32 v153, v155, v8
	v_mul_f32_e32 v2, v156, v8
	s_waitcnt vmcnt(31)
	v_mul_f32_e32 v8, v157, v117
	v_mul_f32_e32 v112, v158, v117
	v_fmac_f32_e32 v153, v156, v3
	v_fma_f32 v117, v155, v3, -v2
	s_waitcnt vmcnt(27)
	v_fmac_f32_e32 v8, v158, v125
	v_fma_f32 v125, v157, v125, -v112
	ds_read_b128 v[112:115], v1 offset:528
	buffer_load_dword v155, off, s[0:3], 0 offset:220
	s_waitcnt vmcnt(27) lgkmcnt(1)
	v_mul_f32_e32 v154, v4, v123
	v_mul_f32_e32 v2, v5, v123
	s_waitcnt vmcnt(26)
	v_mul_f32_e32 v3, v7, v122
	v_mul_f32_e32 v123, v6, v122
	v_fmac_f32_e32 v154, v5, v121
	v_fma_f32 v121, v4, v121, -v2
	v_fma_f32 v6, v6, v119, -v3
	ds_read_b128 v[2:5], v1 offset:544
	v_fmac_f32_e32 v123, v7, v119
	s_waitcnt vmcnt(25) lgkmcnt(1)
	v_mul_f32_e32 v7, v112, v120
	v_mul_f32_e32 v119, v113, v120
	s_waitcnt vmcnt(24)
	v_mul_f32_e32 v120, v114, v124
	v_mul_f32_e32 v122, v115, v124
	v_fmac_f32_e32 v7, v113, v118
	v_fma_f32 v118, v112, v118, -v119
	s_waitcnt vmcnt(20)
	v_fmac_f32_e32 v120, v115, v133
	v_fma_f32 v119, v114, v133, -v122
	ds_read_b128 v[112:115], v1 offset:560
	s_waitcnt vmcnt(19) lgkmcnt(1)
	v_mul_f32_e32 v122, v2, v131
	v_mul_f32_e32 v124, v3, v131
	s_waitcnt vmcnt(18)
	v_mul_f32_e32 v131, v4, v130
	v_mul_f32_e32 v130, v5, v130
	v_fmac_f32_e32 v122, v3, v129
	v_fma_f32 v124, v2, v129, -v124
	v_fmac_f32_e32 v131, v5, v127
	v_fma_f32 v127, v4, v127, -v130
	ds_read_b128 v[2:5], v1 offset:576
	s_waitcnt vmcnt(17) lgkmcnt(1)
	v_mul_f32_e32 v129, v112, v128
	v_mul_f32_e32 v128, v113, v128
	s_waitcnt vmcnt(16)
	v_mul_f32_e32 v130, v114, v132
	v_mul_f32_e32 v132, v115, v132
	v_fmac_f32_e32 v129, v113, v126
	v_fma_f32 v126, v112, v126, -v128
	s_waitcnt vmcnt(12)
	v_fmac_f32_e32 v130, v115, v140
	v_fma_f32 v128, v114, v140, -v132
	ds_read_b128 v[112:115], v1 offset:592
	s_waitcnt vmcnt(11) lgkmcnt(1)
	v_mul_f32_e32 v132, v2, v139
	v_mul_f32_e32 v133, v3, v139
	s_waitcnt vmcnt(10)
	v_mul_f32_e32 v139, v4, v138
	v_mul_f32_e32 v138, v5, v138
	v_fmac_f32_e32 v132, v3, v137
	v_fma_f32 v133, v2, v137, -v133
	v_fmac_f32_e32 v139, v5, v135
	v_fma_f32 v135, v4, v135, -v138
	ds_read_b128 v[2:5], v1 offset:608
	s_waitcnt vmcnt(8) lgkmcnt(1)
	v_mul_f32_e32 v138, v114, v141
	v_mul_f32_e32 v140, v115, v141
	buffer_load_dword v141, off, s[0:3], 0 offset:212
	v_mul_f32_e32 v137, v112, v136
	v_mul_f32_e32 v136, v113, v136
	s_waitcnt vmcnt(5)
	v_fmac_f32_e32 v138, v115, v150
	v_fmac_f32_e32 v137, v113, v134
	v_fma_f32 v134, v112, v134, -v136
	v_fma_f32 v136, v114, v150, -v140
	ds_read_b128 v[112:115], v1 offset:624
	s_waitcnt vmcnt(4) lgkmcnt(1)
	v_mul_f32_e32 v140, v2, v149
	v_mul_f32_e32 v149, v3, v149
	s_waitcnt vmcnt(3)
	v_mul_f32_e32 v150, v4, v148
	v_mul_f32_e32 v148, v5, v148
	v_fmac_f32_e32 v140, v3, v147
	v_fma_f32 v147, v2, v147, -v149
	v_fmac_f32_e32 v150, v5, v146
	v_fma_f32 v146, v4, v146, -v148
	s_clause 0x4
	buffer_load_dword v148, off, s[0:3], 0 offset:240
	buffer_load_dword v149, off, s[0:3], 0 offset:232
	;; [unrolled: 1-line block ×5, first 2 shown]
	s_waitcnt vmcnt(5) lgkmcnt(0)
	v_mul_f32_e32 v158, v112, v141
	v_mul_f32_e32 v3, v113, v141
	v_fmac_f32_e32 v158, v113, v145
	v_fma_f32 v141, v112, v145, -v3
	v_mul_f32_e32 v145, v114, v155
	v_mul_f32_e32 v3, v115, v155
	s_waitcnt vmcnt(1)
	v_fmac_f32_e32 v145, v115, v2
	v_fma_f32 v155, v114, v2, -v3
	ds_read_b128 v[2:5], v1 offset:640
	ds_read_b128 v[112:115], v1 offset:656
	s_waitcnt vmcnt(0) lgkmcnt(1)
	v_mul_f32_e32 v166, v2, v157
	v_mul_f32_e32 v157, v3, v157
	v_fmac_f32_e32 v166, v3, v156
	v_fma_f32 v156, v2, v156, -v157
	buffer_load_dword v2, off, s[0:3], 0 offset:236
	s_waitcnt vmcnt(0)
	v_mul_f32_e32 v157, v4, v2
	v_mul_f32_e32 v2, v5, v2
	v_fmac_f32_e32 v157, v5, v149
	v_fma_f32 v149, v4, v149, -v2
	buffer_load_dword v2, off, s[0:3], 0 offset:244
	s_waitcnt vmcnt(0) lgkmcnt(0)
	v_mul_f32_e32 v167, v112, v2
	v_mul_f32_e32 v2, v113, v2
	v_fmac_f32_e32 v167, v113, v148
	v_fma_f32 v148, v112, v148, -v2
	s_clause 0x5
	buffer_load_dword v2, off, s[0:3], 0 offset:252
	buffer_load_dword v168, off, s[0:3], 0 offset:272
	;; [unrolled: 1-line block ×6, first 2 shown]
	s_waitcnt vmcnt(5)
	v_mul_f32_e32 v171, v114, v2
	v_mul_f32_e32 v2, v115, v2
	s_waitcnt vmcnt(1)
	v_fmac_f32_e32 v171, v115, v3
	v_fma_f32 v172, v114, v3, -v2
	ds_read_b128 v[2:5], v1 offset:672
	ds_read_b128 v[112:115], v1 offset:688
	s_waitcnt vmcnt(0) lgkmcnt(1)
	v_mul_f32_e32 v174, v2, v173
	v_mul_f32_e32 v173, v3, v173
	v_fmac_f32_e32 v174, v3, v170
	v_fma_f32 v170, v2, v170, -v173
	buffer_load_dword v2, off, s[0:3], 0 offset:268
	s_waitcnt vmcnt(0)
	v_mul_f32_e32 v173, v4, v2
	v_mul_f32_e32 v2, v5, v2
	v_fmac_f32_e32 v173, v5, v169
	v_fma_f32 v169, v4, v169, -v2
	buffer_load_dword v2, off, s[0:3], 0 offset:276
	s_waitcnt vmcnt(0) lgkmcnt(0)
	v_mul_f32_e32 v175, v112, v2
	v_mul_f32_e32 v2, v113, v2
	v_fmac_f32_e32 v175, v113, v168
	v_fma_f32 v168, v112, v168, -v2
	s_clause 0x4
	buffer_load_dword v2, off, s[0:3], 0 offset:284
	buffer_load_dword v176, off, s[0:3], 0 offset:304
	;; [unrolled: 1-line block ×5, first 2 shown]
	s_waitcnt vmcnt(4)
	v_mul_f32_e32 v179, v114, v2
	v_mul_f32_e32 v2, v115, v2
	s_waitcnt vmcnt(0)
	v_fmac_f32_e32 v179, v115, v3
	v_fma_f32 v180, v114, v3, -v2
	v_add_f32_e32 v2, 0, v144
	v_add_f32_e32 v3, 0, v159
	;; [unrolled: 1-line block ×8, first 2 shown]
	buffer_load_dword v116, off, s[0:3], 0 offset:292
	v_add_f32_e32 v2, v2, v164
	v_add_f32_e32 v3, v3, v151
	;; [unrolled: 1-line block ×6, first 2 shown]
	buffer_load_dword v117, off, s[0:3], 0 offset:300
	v_add_f32_e32 v2, v2, v8
	v_add_f32_e32 v3, v3, v125
	s_clause 0x1
	buffer_load_dword v8, off, s[0:3], 0 offset:308
	buffer_load_dword v125, off, s[0:3], 0 offset:316
	v_add_f32_e32 v2, v2, v154
	v_add_f32_e32 v3, v3, v121
	;; [unrolled: 1-line block ×4, first 2 shown]
	s_clause 0x6
	buffer_load_dword v142, off, s[0:3], 0 offset:336
	buffer_load_dword v143, off, s[0:3], 0 offset:328
	;; [unrolled: 1-line block ×7, first 2 shown]
	v_add_f32_e32 v2, v2, v7
	v_add_f32_e32 v3, v3, v118
	;; [unrolled: 1-line block ×8, first 2 shown]
	s_clause 0x3
	buffer_load_dword v131, off, s[0:3], 0 offset:348
	buffer_load_dword v154, off, s[0:3], 0 offset:356
	;; [unrolled: 1-line block ×4, first 2 shown]
	v_add_f32_e32 v2, v2, v129
	v_add_f32_e32 v3, v3, v126
	s_clause 0x1
	buffer_load_dword v129, off, s[0:3], 0 offset:380
	buffer_load_dword v162, off, s[0:3], 0 offset:388
	v_add_f32_e32 v2, v2, v130
	v_add_f32_e32 v3, v3, v128
	s_clause 0x1
	buffer_load_dword v130, off, s[0:3], 0 offset:396
	buffer_load_dword v163, off, s[0:3], 0 offset:404
	v_add_f32_e32 v2, v2, v132
	v_add_f32_e32 v3, v3, v133
	;; [unrolled: 1-line block ×3, first 2 shown]
	s_clause 0x3
	buffer_load_dword v128, off, s[0:3], 0 offset:368
	buffer_load_dword v132, off, s[0:3], 0 offset:360
	;; [unrolled: 1-line block ×4, first 2 shown]
	v_add_f32_e32 v3, v3, v135
	v_add_f32_e32 v2, v2, v137
	;; [unrolled: 1-line block ×4, first 2 shown]
	s_clause 0x3
	buffer_load_dword v134, off, s[0:3], 0 offset:400
	buffer_load_dword v135, off, s[0:3], 0 offset:392
	;; [unrolled: 1-line block ×4, first 2 shown]
	v_add_f32_e32 v3, v3, v136
	buffer_load_dword v136, off, s[0:3], 0 offset:24
	v_add_f32_e32 v2, v2, v140
	v_add_f32_e32 v3, v3, v147
	;; [unrolled: 1-line block ×4, first 2 shown]
	ds_read_b128 v[2:5], v1 offset:704
	v_add_f32_e32 v7, v7, v158
	v_add_f32_e32 v112, v112, v141
	;; [unrolled: 1-line block ×6, first 2 shown]
	ds_read_b128 v[112:115], v1 offset:720
	v_add_f32_e32 v7, v7, v157
	v_add_f32_e32 v118, v118, v149
	;; [unrolled: 1-line block ×8, first 2 shown]
	s_waitcnt vmcnt(27) lgkmcnt(1)
	v_mul_f32_e32 v140, v2, v116
	v_mul_f32_e32 v116, v3, v116
	v_fmac_f32_e32 v140, v3, v178
	v_add_f32_e32 v3, v118, v148
	v_fma_f32 v145, v2, v178, -v116
	v_add_f32_e32 v140, v150, v140
	v_add_f32_e32 v124, v3, v172
	s_waitcnt vmcnt(26)
	v_mul_f32_e32 v141, v4, v117
	v_add_f32_e32 v124, v124, v170
	v_mul_f32_e32 v117, v5, v117
	s_waitcnt vmcnt(25) lgkmcnt(0)
	v_mul_f32_e32 v147, v112, v8
	v_mul_f32_e32 v8, v113, v8
	v_add_f32_e32 v124, v124, v169
	v_fmac_f32_e32 v141, v5, v177
	v_fma_f32 v146, v4, v177, -v117
	ds_read_b128 v[2:5], v1 offset:736
	ds_read_b128 v[116:119], v1 offset:752
	v_fma_f32 v8, v112, v176, -v8
	v_add_f32_e32 v112, v124, v168
	s_waitcnt vmcnt(24)
	v_mul_f32_e32 v149, v115, v125
	v_mul_f32_e32 v148, v114, v125
	v_fmac_f32_e32 v147, v113, v176
	v_add_f32_e32 v140, v140, v141
	v_add_f32_e32 v155, v112, v180
	ds_read_b128 v[120:123], v1 offset:768
	ds_read_b128 v[124:127], v1 offset:784
	s_waitcnt vmcnt(20)
	v_fma_f32 v149, v114, v6, -v149
	v_fmac_f32_e32 v148, v115, v6
	v_add_f32_e32 v145, v155, v145
	v_add_f32_e32 v140, v140, v147
	ds_read_b128 v[112:115], v1 offset:800
	ds_read_b64 v[6:7], v1 offset:816
	v_add_f32_e32 v145, v145, v146
	v_add_f32_e32 v140, v140, v148
	s_waitcnt vmcnt(19) lgkmcnt(5)
	v_mul_f32_e32 v156, v2, v151
	v_mul_f32_e32 v151, v3, v151
	s_waitcnt vmcnt(18)
	v_mul_f32_e32 v157, v4, v152
	v_add_f32_e32 v8, v145, v8
	v_mul_f32_e32 v152, v5, v152
	v_fmac_f32_e32 v156, v3, v144
	v_fma_f32 v2, v2, v144, -v151
	s_waitcnt vmcnt(17) lgkmcnt(4)
	v_mul_f32_e32 v150, v116, v153
	v_add_f32_e32 v8, v8, v149
	v_mul_f32_e32 v149, v117, v153
	v_fma_f32 v4, v4, v143, -v152
	v_fmac_f32_e32 v157, v5, v143
	v_add_f32_e32 v5, v140, v156
	v_add_f32_e32 v2, v8, v2
	s_waitcnt vmcnt(16)
	v_mul_f32_e32 v8, v119, v131
	v_fma_f32 v116, v116, v142, -v149
	v_mul_f32_e32 v146, v118, v131
	v_fmac_f32_e32 v150, v117, v142
	v_add_f32_e32 v2, v2, v4
	v_add_f32_e32 v4, v5, v157
	s_waitcnt vmcnt(15) lgkmcnt(3)
	v_mul_f32_e32 v5, v121, v154
	v_mul_f32_e32 v155, v120, v154
	s_waitcnt vmcnt(14)
	v_mul_f32_e32 v141, v122, v159
	v_add_f32_e32 v2, v2, v116
	v_add_f32_e32 v4, v4, v150
	s_waitcnt vmcnt(5)
	v_fma_f32 v8, v118, v139, -v8
	v_fmac_f32_e32 v146, v119, v139
	v_mul_f32_e32 v116, v123, v159
	v_fma_f32 v5, v120, v133, -v5
	v_fmac_f32_e32 v155, v121, v133
	v_add_f32_e32 v2, v2, v8
	v_add_f32_e32 v4, v4, v146
	s_waitcnt lgkmcnt(2)
	v_mul_f32_e32 v8, v125, v161
	v_fma_f32 v116, v122, v132, -v116
	v_mul_f32_e32 v145, v124, v161
	v_add_f32_e32 v2, v2, v5
	v_fmac_f32_e32 v141, v123, v132
	v_add_f32_e32 v4, v4, v155
	v_mul_f32_e32 v5, v127, v129
	v_fma_f32 v8, v124, v128, -v8
	v_add_f32_e32 v2, v2, v116
	v_mul_f32_e32 v3, v126, v129
	v_fmac_f32_e32 v145, v125, v128
	v_add_f32_e32 v4, v4, v141
	s_waitcnt lgkmcnt(1)
	v_mul_f32_e32 v116, v113, v162
	s_waitcnt vmcnt(1)
	v_fma_f32 v5, v126, v138, -v5
	v_add_f32_e32 v2, v2, v8
	v_mul_f32_e32 v144, v112, v162
	v_fmac_f32_e32 v3, v127, v138
	v_add_f32_e32 v4, v4, v145
	v_mul_f32_e32 v8, v115, v130
	v_fma_f32 v112, v112, v137, -v116
	v_add_f32_e32 v2, v2, v5
	v_mul_f32_e32 v147, v114, v130
	v_fmac_f32_e32 v144, v113, v137
	v_add_f32_e32 v3, v4, v3
	s_waitcnt lgkmcnt(0)
	v_mul_f32_e32 v4, v7, v163
	v_fma_f32 v5, v114, v135, -v8
	v_add_f32_e32 v2, v2, v112
	v_mul_f32_e32 v148, v6, v163
	v_fmac_f32_e32 v147, v115, v135
	v_add_f32_e32 v3, v3, v144
	v_fma_f32 v4, v6, v134, -v4
	v_add_f32_e32 v2, v2, v5
	v_fmac_f32_e32 v148, v7, v134
	v_add_f32_e32 v3, v3, v147
	v_add_f32_e32 v2, v2, v4
	v_add_f32_e32 v3, v3, v148
	s_waitcnt vmcnt(0)
	v_sub_f32_e32 v2, v136, v2
	v_sub_f32_e32 v3, v160, v3
	buffer_store_dword v2, off, s[0:3], 0 offset:24
	buffer_store_dword v3, off, s[0:3], 0 offset:28
	v_cmpx_lt_u32_e32 2, v0
	s_cbranch_execz .LBB114_315
; %bb.314:
	s_clause 0x1
	buffer_load_dword v2, off, s[0:3], 0 offset:16
	buffer_load_dword v3, off, s[0:3], 0 offset:20
	buffer_store_dword v1, off, s[0:3], 0 offset:16
	buffer_store_dword v1, off, s[0:3], 0 offset:20
	s_waitcnt vmcnt(0)
	ds_write_b64 v111, v[2:3]
.LBB114_315:
	s_or_b32 exec_lo, exec_lo, s4
	s_waitcnt lgkmcnt(0)
	s_waitcnt_vscnt null, 0x0
	s_barrier
	buffer_gl0_inv
	s_clause 0x2c
	buffer_load_dword v142, off, s[0:3], 0 offset:28
	buffer_load_dword v143, off, s[0:3], 0 offset:36
	;; [unrolled: 1-line block ×45, first 2 shown]
	ds_read2_b64 v[151:154], v1 offset0:55 offset1:56
	ds_read2_b64 v[155:158], v1 offset0:57 offset1:58
	s_mov_b32 s4, exec_lo
	s_waitcnt vmcnt(44) lgkmcnt(1)
	v_mul_f32_e32 v144, v151, v142
	v_mul_f32_e32 v159, v152, v142
	s_waitcnt vmcnt(43)
	v_mul_f32_e32 v142, v153, v143
	v_mul_f32_e32 v160, v154, v143
	buffer_load_dword v143, off, s[0:3], 0 offset:20
	s_waitcnt vmcnt(41)
	v_fmac_f32_e32 v144, v152, v113
	v_fma_f32 v159, v151, v113, -v159
	v_fmac_f32_e32 v142, v154, v7
	v_fma_f32 v160, v153, v7, -v160
	ds_read2_b64 v[151:154], v1 offset0:59 offset1:60
	s_waitcnt vmcnt(40) lgkmcnt(1)
	v_mul_f32_e32 v161, v155, v4
	s_waitcnt vmcnt(39)
	v_mul_f32_e32 v162, v157, v5
	v_mul_f32_e32 v4, v156, v4
	;; [unrolled: 1-line block ×3, first 2 shown]
	v_fmac_f32_e32 v161, v156, v2
	s_waitcnt vmcnt(35)
	v_fmac_f32_e32 v162, v158, v116
	v_fma_f32 v163, v155, v2, -v4
	v_fma_f32 v116, v157, v116, -v5
	ds_read2_b64 v[155:158], v1 offset0:61 offset1:62
	s_waitcnt vmcnt(34) lgkmcnt(1)
	v_mul_f32_e32 v164, v151, v115
	s_waitcnt vmcnt(33)
	v_mul_f32_e32 v165, v153, v114
	v_mul_f32_e32 v4, v154, v114
	;; [unrolled: 1-line block ×3, first 2 shown]
	v_fmac_f32_e32 v164, v152, v112
	v_fmac_f32_e32 v165, v154, v6
	v_fma_f32 v152, v153, v6, -v4
	ds_read2_b64 v[4:7], v1 offset0:63 offset1:64
	v_fma_f32 v151, v151, v112, -v2
	s_waitcnt vmcnt(32) lgkmcnt(1)
	v_mul_f32_e32 v153, v155, v8
	v_mul_f32_e32 v2, v156, v8
	s_waitcnt vmcnt(31)
	v_mul_f32_e32 v8, v157, v117
	v_mul_f32_e32 v112, v158, v117
	v_fmac_f32_e32 v153, v156, v3
	v_fma_f32 v117, v155, v3, -v2
	s_waitcnt vmcnt(27)
	v_fmac_f32_e32 v8, v158, v125
	v_fma_f32 v125, v157, v125, -v112
	ds_read2_b64 v[112:115], v1 offset0:65 offset1:66
	buffer_load_dword v155, off, s[0:3], 0 offset:212
	s_waitcnt vmcnt(27) lgkmcnt(1)
	v_mul_f32_e32 v154, v4, v123
	v_mul_f32_e32 v2, v5, v123
	s_waitcnt vmcnt(26)
	v_mul_f32_e32 v3, v7, v122
	v_mul_f32_e32 v123, v6, v122
	v_fmac_f32_e32 v154, v5, v121
	v_fma_f32 v121, v4, v121, -v2
	v_fma_f32 v6, v6, v119, -v3
	ds_read2_b64 v[2:5], v1 offset0:67 offset1:68
	v_fmac_f32_e32 v123, v7, v119
	s_waitcnt vmcnt(25) lgkmcnt(1)
	v_mul_f32_e32 v7, v112, v120
	v_mul_f32_e32 v119, v113, v120
	s_waitcnt vmcnt(24)
	v_mul_f32_e32 v120, v114, v124
	v_mul_f32_e32 v122, v115, v124
	v_fmac_f32_e32 v7, v113, v118
	v_fma_f32 v118, v112, v118, -v119
	s_waitcnt vmcnt(20)
	v_fmac_f32_e32 v120, v115, v133
	v_fma_f32 v119, v114, v133, -v122
	ds_read2_b64 v[112:115], v1 offset0:69 offset1:70
	s_waitcnt vmcnt(19) lgkmcnt(1)
	v_mul_f32_e32 v122, v2, v131
	v_mul_f32_e32 v124, v3, v131
	s_waitcnt vmcnt(18)
	v_mul_f32_e32 v131, v4, v130
	v_mul_f32_e32 v130, v5, v130
	v_fmac_f32_e32 v122, v3, v129
	v_fma_f32 v124, v2, v129, -v124
	v_fmac_f32_e32 v131, v5, v127
	v_fma_f32 v127, v4, v127, -v130
	ds_read2_b64 v[2:5], v1 offset0:71 offset1:72
	s_waitcnt vmcnt(17) lgkmcnt(1)
	v_mul_f32_e32 v129, v112, v128
	v_mul_f32_e32 v128, v113, v128
	s_waitcnt vmcnt(16)
	v_mul_f32_e32 v130, v114, v132
	v_mul_f32_e32 v132, v115, v132
	v_fmac_f32_e32 v129, v113, v126
	v_fma_f32 v126, v112, v126, -v128
	s_waitcnt vmcnt(12)
	v_fmac_f32_e32 v130, v115, v141
	v_fma_f32 v128, v114, v141, -v132
	ds_read2_b64 v[112:115], v1 offset0:73 offset1:74
	buffer_load_dword v141, off, s[0:3], 0 offset:204
	s_waitcnt vmcnt(12) lgkmcnt(1)
	v_mul_f32_e32 v132, v2, v139
	v_mul_f32_e32 v133, v3, v139
	s_waitcnt vmcnt(11)
	v_mul_f32_e32 v139, v4, v138
	v_mul_f32_e32 v138, v5, v138
	v_fmac_f32_e32 v132, v3, v137
	v_fma_f32 v133, v2, v137, -v133
	v_fmac_f32_e32 v139, v5, v135
	v_fma_f32 v135, v4, v135, -v138
	ds_read2_b64 v[2:5], v1 offset0:75 offset1:76
	s_waitcnt vmcnt(10) lgkmcnt(1)
	v_mul_f32_e32 v137, v112, v136
	v_mul_f32_e32 v136, v113, v136
	s_waitcnt vmcnt(9)
	v_mul_f32_e32 v138, v114, v140
	v_mul_f32_e32 v140, v115, v140
	v_fmac_f32_e32 v137, v113, v134
	v_fma_f32 v134, v112, v134, -v136
	s_waitcnt vmcnt(5)
	v_fmac_f32_e32 v138, v115, v150
	v_fma_f32 v136, v114, v150, -v140
	ds_read2_b64 v[112:115], v1 offset0:77 offset1:78
	s_waitcnt vmcnt(4) lgkmcnt(1)
	v_mul_f32_e32 v140, v2, v149
	v_mul_f32_e32 v149, v3, v149
	s_waitcnt vmcnt(3)
	v_mul_f32_e32 v150, v4, v148
	v_mul_f32_e32 v148, v5, v148
	v_fmac_f32_e32 v140, v3, v147
	v_fma_f32 v147, v2, v147, -v149
	v_fmac_f32_e32 v150, v5, v146
	v_fma_f32 v146, v4, v146, -v148
	s_clause 0x4
	buffer_load_dword v148, off, s[0:3], 0 offset:232
	buffer_load_dword v149, off, s[0:3], 0 offset:224
	;; [unrolled: 1-line block ×5, first 2 shown]
	s_waitcnt vmcnt(5) lgkmcnt(0)
	v_mul_f32_e32 v158, v112, v141
	v_mul_f32_e32 v3, v113, v141
	v_fmac_f32_e32 v158, v113, v145
	v_fma_f32 v141, v112, v145, -v3
	v_mul_f32_e32 v145, v114, v155
	v_mul_f32_e32 v3, v115, v155
	s_waitcnt vmcnt(1)
	v_fmac_f32_e32 v145, v115, v2
	v_fma_f32 v155, v114, v2, -v3
	ds_read2_b64 v[2:5], v1 offset0:79 offset1:80
	ds_read2_b64 v[112:115], v1 offset0:81 offset1:82
	s_waitcnt vmcnt(0) lgkmcnt(1)
	v_mul_f32_e32 v166, v2, v157
	v_mul_f32_e32 v157, v3, v157
	v_fmac_f32_e32 v166, v3, v156
	v_fma_f32 v156, v2, v156, -v157
	buffer_load_dword v2, off, s[0:3], 0 offset:228
	s_waitcnt vmcnt(0)
	v_mul_f32_e32 v157, v4, v2
	v_mul_f32_e32 v2, v5, v2
	v_fmac_f32_e32 v157, v5, v149
	v_fma_f32 v149, v4, v149, -v2
	buffer_load_dword v2, off, s[0:3], 0 offset:236
	s_waitcnt vmcnt(0) lgkmcnt(0)
	v_mul_f32_e32 v167, v112, v2
	v_mul_f32_e32 v2, v113, v2
	v_fmac_f32_e32 v167, v113, v148
	v_fma_f32 v148, v112, v148, -v2
	s_clause 0x5
	buffer_load_dword v2, off, s[0:3], 0 offset:244
	buffer_load_dword v168, off, s[0:3], 0 offset:264
	;; [unrolled: 1-line block ×6, first 2 shown]
	s_waitcnt vmcnt(5)
	v_mul_f32_e32 v171, v114, v2
	v_mul_f32_e32 v2, v115, v2
	s_waitcnt vmcnt(1)
	v_fmac_f32_e32 v171, v115, v3
	v_fma_f32 v172, v114, v3, -v2
	ds_read2_b64 v[2:5], v1 offset0:83 offset1:84
	ds_read2_b64 v[112:115], v1 offset0:85 offset1:86
	s_waitcnt vmcnt(0) lgkmcnt(1)
	v_mul_f32_e32 v174, v2, v173
	v_mul_f32_e32 v173, v3, v173
	v_fmac_f32_e32 v174, v3, v170
	v_fma_f32 v170, v2, v170, -v173
	buffer_load_dword v2, off, s[0:3], 0 offset:260
	v_add_f32_e32 v3, 0, v159
	v_add_f32_e32 v3, v3, v160
	;; [unrolled: 1-line block ×22, first 2 shown]
	s_waitcnt vmcnt(0)
	v_mul_f32_e32 v173, v4, v2
	v_mul_f32_e32 v2, v5, v2
	v_fmac_f32_e32 v173, v5, v169
	v_fma_f32 v169, v4, v169, -v2
	s_clause 0x1
	buffer_load_dword v4, off, s[0:3], 0 offset:268
	buffer_load_dword v5, off, s[0:3], 0 offset:276
	v_add_f32_e32 v2, 0, v144
	v_add_f32_e32 v2, v2, v142
	;; [unrolled: 1-line block ×8, first 2 shown]
	s_clause 0x6
	buffer_load_dword v8, off, s[0:3], 0 offset:296
	buffer_load_dword v116, off, s[0:3], 0 offset:288
	;; [unrolled: 1-line block ×7, first 2 shown]
	v_add_f32_e32 v2, v2, v154
	v_add_f32_e32 v2, v2, v123
	;; [unrolled: 1-line block ×3, first 2 shown]
	buffer_load_dword v7, off, s[0:3], 0 offset:308
	v_add_f32_e32 v2, v2, v120
	s_clause 0x7
	buffer_load_dword v151, off, s[0:3], 0 offset:328
	buffer_load_dword v152, off, s[0:3], 0 offset:320
	;; [unrolled: 1-line block ×8, first 2 shown]
	v_add_f32_e32 v2, v2, v122
	s_clause 0x2
	buffer_load_dword v162, off, s[0:3], 0 offset:348
	buffer_load_dword v163, off, s[0:3], 0 offset:356
	;; [unrolled: 1-line block ×3, first 2 shown]
	v_add_f32_e32 v2, v2, v131
	v_add_f32_e32 v2, v2, v129
	;; [unrolled: 1-line block ×9, first 2 shown]
	s_waitcnt vmcnt(20) lgkmcnt(0)
	v_mul_f32_e32 v123, v112, v4
	v_mul_f32_e32 v4, v113, v4
	s_waitcnt vmcnt(19)
	v_mul_f32_e32 v124, v114, v5
	v_fmac_f32_e32 v123, v113, v168
	v_fma_f32 v144, v112, v168, -v4
	s_clause 0xe
	buffer_load_dword v165, off, s[0:3], 0 offset:372
	buffer_load_dword v168, off, s[0:3], 0 offset:380
	;; [unrolled: 1-line block ×15, first 2 shown]
	v_mul_f32_e32 v4, v115, v5
	v_add_f32_e32 v112, v2, v158
	v_add_f32_e32 v113, v3, v141
	;; [unrolled: 1-line block ×8, first 2 shown]
	s_waitcnt vmcnt(30)
	v_fma_f32 v131, v114, v125, -v4
	ds_read2_b64 v[2:5], v1 offset0:87 offset1:88
	v_fmac_f32_e32 v124, v115, v125
	ds_read2_b64 v[112:115], v1 offset0:89 offset1:90
	s_waitcnt vmcnt(29) lgkmcnt(1)
	v_mul_f32_e32 v128, v2, v142
	v_mul_f32_e32 v122, v3, v142
	s_waitcnt vmcnt(28)
	v_mul_f32_e32 v141, v4, v121
	v_mul_f32_e32 v121, v5, v121
	s_waitcnt vmcnt(27) lgkmcnt(0)
	v_mul_f32_e32 v146, v112, v6
	v_fmac_f32_e32 v128, v3, v117
	v_fma_f32 v142, v2, v117, -v122
	v_add_f32_e32 v117, v118, v167
	v_fma_f32 v145, v4, v116, -v121
	v_add_f32_e32 v121, v119, v148
	v_fmac_f32_e32 v141, v5, v116
	ds_read2_b64 v[2:5], v1 offset0:91 offset1:92
	v_add_f32_e32 v122, v117, v171
	v_mul_f32_e32 v6, v113, v6
	v_add_f32_e32 v121, v121, v172
	v_fmac_f32_e32 v146, v113, v8
	ds_read2_b64 v[116:119], v1 offset0:93 offset1:94
	v_add_f32_e32 v122, v122, v174
	v_fma_f32 v6, v112, v8, -v6
	v_add_f32_e32 v121, v121, v170
	s_waitcnt vmcnt(26)
	v_mul_f32_e32 v148, v114, v7
	v_mul_f32_e32 v7, v115, v7
	v_add_f32_e32 v113, v122, v173
	v_add_f32_e32 v8, v121, v169
	s_waitcnt vmcnt(22)
	v_fmac_f32_e32 v148, v115, v120
	v_fma_f32 v7, v114, v120, -v7
	v_add_f32_e32 v125, v113, v123
	ds_read2_b64 v[112:115], v1 offset0:95 offset1:96
	ds_read2_b64 v[120:123], v1 offset0:97 offset1:98
	v_add_f32_e32 v8, v8, v144
	s_waitcnt vmcnt(21) lgkmcnt(3)
	v_mul_f32_e32 v144, v2, v154
	v_mul_f32_e32 v129, v3, v154
	v_add_f32_e32 v130, v125, v124
	v_add_f32_e32 v8, v8, v131
	ds_read2_b64 v[124:127], v1 offset0:99 offset1:100
	v_fmac_f32_e32 v144, v3, v153
	v_fma_f32 v2, v2, v153, -v129
	v_add_f32_e32 v3, v130, v128
	ds_read2_b64 v[128:131], v1 offset0:101 offset1:102
	v_add_f32_e32 v1, v8, v142
	s_waitcnt vmcnt(20)
	v_mul_f32_e32 v142, v5, v159
	v_mul_f32_e32 v8, v4, v159
	v_add_f32_e32 v3, v3, v141
	s_waitcnt vmcnt(19) lgkmcnt(4)
	v_mul_f32_e32 v149, v117, v160
	v_add_f32_e32 v1, v1, v145
	v_fma_f32 v4, v4, v152, -v142
	v_mul_f32_e32 v141, v116, v160
	v_add_f32_e32 v3, v3, v146
	v_fmac_f32_e32 v8, v5, v152
	v_add_f32_e32 v1, v1, v6
	v_fma_f32 v116, v116, v151, -v149
	s_waitcnt vmcnt(18)
	v_mul_f32_e32 v145, v118, v161
	v_add_f32_e32 v3, v3, v148
	v_fmac_f32_e32 v141, v117, v151
	v_add_f32_e32 v1, v1, v7
	v_mul_f32_e32 v7, v119, v161
	s_waitcnt vmcnt(17) lgkmcnt(3)
	v_mul_f32_e32 v5, v112, v162
	s_waitcnt vmcnt(16)
	v_mul_f32_e32 v142, v114, v163
	s_waitcnt vmcnt(15) lgkmcnt(2)
	v_mul_f32_e32 v6, v120, v164
	v_add_f32_e32 v1, v1, v2
	v_add_f32_e32 v2, v3, v144
	;; [unrolled: 1-line block ×4, first 2 shown]
	v_mul_f32_e32 v4, v113, v162
	v_mul_f32_e32 v8, v115, v163
	v_add_f32_e32 v1, v1, v116
	v_add_f32_e32 v2, v2, v141
	s_waitcnt vmcnt(14)
	v_mul_f32_e32 v146, v122, v165
	s_waitcnt vmcnt(13) lgkmcnt(1)
	v_mul_f32_e32 v150, v124, v168
	s_waitcnt vmcnt(9)
	v_fmac_f32_e32 v6, v121, v133
	s_waitcnt vmcnt(8)
	v_fma_f32 v8, v114, v135, -v8
	s_waitcnt vmcnt(7)
	v_fma_f32 v4, v112, v139, -v4
	;; [unrolled: 2-line block ×3, first 2 shown]
	v_fmac_f32_e32 v145, v119, v177
	v_fmac_f32_e32 v5, v113, v139
	;; [unrolled: 1-line block ×3, first 2 shown]
	s_waitcnt vmcnt(2)
	v_fmac_f32_e32 v146, v123, v138
	v_add_f32_e32 v1, v1, v7
	v_add_f32_e32 v2, v2, v145
	v_mul_f32_e32 v7, v121, v164
	v_mul_f32_e32 v148, v126, v175
	v_fmac_f32_e32 v150, v125, v137
	v_add_f32_e32 v1, v1, v4
	v_add_f32_e32 v2, v2, v5
	v_mul_f32_e32 v4, v123, v165
	v_fma_f32 v5, v120, v133, -v7
	v_mul_f32_e32 v7, v125, v168
	v_add_f32_e32 v1, v1, v8
	v_add_f32_e32 v2, v2, v142
	v_fma_f32 v4, v122, v138, -v4
	s_waitcnt lgkmcnt(0)
	v_mul_f32_e32 v152, v128, v176
	v_fmac_f32_e32 v148, v127, v136
	v_add_f32_e32 v1, v1, v5
	v_add_f32_e32 v2, v2, v6
	v_mul_f32_e32 v5, v127, v175
	v_fma_f32 v6, v124, v137, -v7
	v_mul_f32_e32 v3, v130, v132
	v_add_f32_e32 v1, v1, v4
	v_add_f32_e32 v2, v2, v146
	v_mul_f32_e32 v4, v129, v176
	v_fma_f32 v5, v126, v136, -v5
	v_fmac_f32_e32 v152, v129, v134
	v_add_f32_e32 v1, v1, v6
	v_add_f32_e32 v2, v2, v150
	v_mul_f32_e32 v6, v131, v132
	v_fma_f32 v4, v128, v134, -v4
	s_waitcnt vmcnt(1)
	v_fmac_f32_e32 v3, v131, v140
	v_add_f32_e32 v1, v1, v5
	v_add_f32_e32 v2, v2, v148
	v_fma_f32 v5, v130, v140, -v6
	v_add_f32_e32 v1, v1, v4
	v_add_f32_e32 v2, v2, v152
	;; [unrolled: 1-line block ×4, first 2 shown]
	s_waitcnt vmcnt(0)
	v_sub_f32_e32 v1, v147, v1
	v_sub_f32_e32 v2, v143, v2
	buffer_store_dword v1, off, s[0:3], 0 offset:16
	buffer_store_dword v2, off, s[0:3], 0 offset:20
	v_cmpx_lt_u32_e32 1, v0
	s_cbranch_execz .LBB114_317
; %bb.316:
	s_clause 0x1
	buffer_load_dword v1, off, s[0:3], 0 offset:8
	buffer_load_dword v2, off, s[0:3], 0 offset:12
	v_mov_b32_e32 v3, 0
	buffer_store_dword v3, off, s[0:3], 0 offset:8
	buffer_store_dword v3, off, s[0:3], 0 offset:12
	s_waitcnt vmcnt(0)
	ds_write_b64 v111, v[1:2]
.LBB114_317:
	s_or_b32 exec_lo, exec_lo, s4
	s_waitcnt lgkmcnt(0)
	s_waitcnt_vscnt null, 0x0
	s_barrier
	buffer_gl0_inv
	s_clause 0x2c
	buffer_load_dword v142, off, s[0:3], 0 offset:20
	buffer_load_dword v143, off, s[0:3], 0 offset:28
	;; [unrolled: 1-line block ×45, first 2 shown]
	v_mov_b32_e32 v1, 0
	ds_read_b128 v[151:154], v1 offset:432
	ds_read_b128 v[155:158], v1 offset:448
	s_mov_b32 s4, exec_lo
	s_waitcnt vmcnt(44) lgkmcnt(1)
	v_mul_f32_e32 v144, v151, v142
	v_mul_f32_e32 v159, v152, v142
	s_waitcnt vmcnt(43)
	v_mul_f32_e32 v142, v153, v143
	v_mul_f32_e32 v160, v154, v143
	buffer_load_dword v143, off, s[0:3], 0 offset:12
	s_waitcnt vmcnt(41)
	v_fmac_f32_e32 v144, v152, v113
	v_fma_f32 v159, v151, v113, -v159
	v_fmac_f32_e32 v142, v154, v7
	v_fma_f32 v160, v153, v7, -v160
	ds_read_b128 v[151:154], v1 offset:464
	s_waitcnt vmcnt(40) lgkmcnt(1)
	v_mul_f32_e32 v161, v155, v4
	s_waitcnt vmcnt(39)
	v_mul_f32_e32 v162, v157, v5
	v_mul_f32_e32 v4, v156, v4
	;; [unrolled: 1-line block ×3, first 2 shown]
	v_fmac_f32_e32 v161, v156, v2
	s_waitcnt vmcnt(35)
	v_fmac_f32_e32 v162, v158, v116
	v_fma_f32 v163, v155, v2, -v4
	v_fma_f32 v116, v157, v116, -v5
	ds_read_b128 v[155:158], v1 offset:480
	s_waitcnt vmcnt(34) lgkmcnt(1)
	v_mul_f32_e32 v164, v151, v115
	s_waitcnt vmcnt(33)
	v_mul_f32_e32 v165, v153, v114
	v_mul_f32_e32 v4, v154, v114
	v_mul_f32_e32 v2, v152, v115
	v_fmac_f32_e32 v164, v152, v112
	v_fmac_f32_e32 v165, v154, v6
	v_fma_f32 v152, v153, v6, -v4
	ds_read_b128 v[4:7], v1 offset:496
	v_fma_f32 v151, v151, v112, -v2
	s_waitcnt vmcnt(32) lgkmcnt(1)
	v_mul_f32_e32 v153, v155, v8
	v_mul_f32_e32 v2, v156, v8
	s_waitcnt vmcnt(31)
	v_mul_f32_e32 v8, v157, v117
	v_mul_f32_e32 v112, v158, v117
	v_fmac_f32_e32 v153, v156, v3
	v_fma_f32 v117, v155, v3, -v2
	s_waitcnt vmcnt(27)
	v_fmac_f32_e32 v8, v158, v125
	v_fma_f32 v125, v157, v125, -v112
	ds_read_b128 v[112:115], v1 offset:512
	buffer_load_dword v155, off, s[0:3], 0 offset:204
	s_waitcnt vmcnt(27) lgkmcnt(1)
	v_mul_f32_e32 v154, v4, v123
	v_mul_f32_e32 v2, v5, v123
	s_waitcnt vmcnt(26)
	v_mul_f32_e32 v3, v7, v122
	v_mul_f32_e32 v123, v6, v122
	v_fmac_f32_e32 v154, v5, v121
	v_fma_f32 v121, v4, v121, -v2
	v_fma_f32 v6, v6, v119, -v3
	ds_read_b128 v[2:5], v1 offset:528
	v_fmac_f32_e32 v123, v7, v119
	s_waitcnt vmcnt(25) lgkmcnt(1)
	v_mul_f32_e32 v7, v112, v120
	v_mul_f32_e32 v119, v113, v120
	s_waitcnt vmcnt(24)
	v_mul_f32_e32 v120, v114, v124
	v_mul_f32_e32 v122, v115, v124
	v_fmac_f32_e32 v7, v113, v118
	v_fma_f32 v118, v112, v118, -v119
	s_waitcnt vmcnt(20)
	v_fmac_f32_e32 v120, v115, v133
	v_fma_f32 v119, v114, v133, -v122
	ds_read_b128 v[112:115], v1 offset:544
	s_waitcnt vmcnt(19) lgkmcnt(1)
	v_mul_f32_e32 v122, v2, v131
	v_mul_f32_e32 v124, v3, v131
	s_waitcnt vmcnt(18)
	v_mul_f32_e32 v131, v4, v130
	v_mul_f32_e32 v130, v5, v130
	v_fmac_f32_e32 v122, v3, v129
	v_fma_f32 v124, v2, v129, -v124
	v_fmac_f32_e32 v131, v5, v127
	v_fma_f32 v127, v4, v127, -v130
	ds_read_b128 v[2:5], v1 offset:560
	s_waitcnt vmcnt(17) lgkmcnt(1)
	v_mul_f32_e32 v129, v112, v128
	v_mul_f32_e32 v128, v113, v128
	s_waitcnt vmcnt(16)
	v_mul_f32_e32 v130, v114, v132
	v_mul_f32_e32 v132, v115, v132
	v_fmac_f32_e32 v129, v113, v126
	v_fma_f32 v126, v112, v126, -v128
	s_waitcnt vmcnt(12)
	v_fmac_f32_e32 v130, v115, v140
	v_fma_f32 v128, v114, v140, -v132
	ds_read_b128 v[112:115], v1 offset:576
	s_waitcnt vmcnt(11) lgkmcnt(1)
	v_mul_f32_e32 v132, v2, v139
	v_mul_f32_e32 v133, v3, v139
	s_waitcnt vmcnt(10)
	v_mul_f32_e32 v139, v4, v138
	v_mul_f32_e32 v138, v5, v138
	v_fmac_f32_e32 v132, v3, v137
	v_fma_f32 v133, v2, v137, -v133
	v_fmac_f32_e32 v139, v5, v135
	v_fma_f32 v135, v4, v135, -v138
	ds_read_b128 v[2:5], v1 offset:592
	s_waitcnt vmcnt(8) lgkmcnt(1)
	v_mul_f32_e32 v138, v114, v141
	v_mul_f32_e32 v140, v115, v141
	buffer_load_dword v141, off, s[0:3], 0 offset:196
	v_mul_f32_e32 v137, v112, v136
	v_mul_f32_e32 v136, v113, v136
	s_waitcnt vmcnt(5)
	v_fmac_f32_e32 v138, v115, v150
	v_fmac_f32_e32 v137, v113, v134
	v_fma_f32 v134, v112, v134, -v136
	v_fma_f32 v136, v114, v150, -v140
	ds_read_b128 v[112:115], v1 offset:608
	s_waitcnt vmcnt(4) lgkmcnt(1)
	v_mul_f32_e32 v140, v2, v149
	v_mul_f32_e32 v149, v3, v149
	s_waitcnt vmcnt(3)
	v_mul_f32_e32 v150, v4, v148
	v_mul_f32_e32 v148, v5, v148
	v_fmac_f32_e32 v140, v3, v147
	v_fma_f32 v147, v2, v147, -v149
	v_fmac_f32_e32 v150, v5, v146
	v_fma_f32 v146, v4, v146, -v148
	s_clause 0x4
	buffer_load_dword v148, off, s[0:3], 0 offset:224
	buffer_load_dword v149, off, s[0:3], 0 offset:216
	;; [unrolled: 1-line block ×5, first 2 shown]
	s_waitcnt vmcnt(5) lgkmcnt(0)
	v_mul_f32_e32 v158, v112, v141
	v_mul_f32_e32 v3, v113, v141
	v_fmac_f32_e32 v158, v113, v145
	v_fma_f32 v141, v112, v145, -v3
	v_mul_f32_e32 v145, v114, v155
	v_mul_f32_e32 v3, v115, v155
	s_waitcnt vmcnt(1)
	v_fmac_f32_e32 v145, v115, v2
	v_fma_f32 v155, v114, v2, -v3
	ds_read_b128 v[2:5], v1 offset:624
	ds_read_b128 v[112:115], v1 offset:640
	s_waitcnt vmcnt(0) lgkmcnt(1)
	v_mul_f32_e32 v166, v2, v157
	v_mul_f32_e32 v157, v3, v157
	v_fmac_f32_e32 v166, v3, v156
	v_fma_f32 v156, v2, v156, -v157
	s_clause 0x1
	buffer_load_dword v2, off, s[0:3], 0 offset:220
	buffer_load_dword v3, off, s[0:3], 0 offset:228
	s_waitcnt vmcnt(1)
	v_mul_f32_e32 v157, v4, v2
	v_mul_f32_e32 v2, v5, v2
	v_fmac_f32_e32 v157, v5, v149
	v_fma_f32 v149, v4, v149, -v2
	v_add_f32_e32 v4, 0, v159
	v_add_f32_e32 v2, 0, v144
	;; [unrolled: 1-line block ×4, first 2 shown]
	buffer_load_dword v142, off, s[0:3], 0 offset:236
	v_add_f32_e32 v4, v4, v163
	v_add_f32_e32 v2, v2, v161
	;; [unrolled: 1-line block ×3, first 2 shown]
	s_clause 0x4
	buffer_load_dword v116, off, s[0:3], 0 offset:256
	buffer_load_dword v144, off, s[0:3], 0 offset:248
	;; [unrolled: 1-line block ×5, first 2 shown]
	v_add_f32_e32 v2, v2, v162
	buffer_load_dword v162, off, s[0:3], 0 offset:260
	v_add_f32_e32 v4, v4, v151
	buffer_load_dword v151, off, s[0:3], 0 offset:252
	v_add_f32_e32 v2, v2, v164
	v_add_f32_e32 v4, v4, v152
	buffer_load_dword v152, off, s[0:3], 0 offset:268
	v_add_f32_e32 v2, v2, v165
	v_add_f32_e32 v4, v4, v117
	;; [unrolled: 1-line block ×5, first 2 shown]
	s_clause 0x3
	buffer_load_dword v8, off, s[0:3], 0 offset:288
	buffer_load_dword v117, off, s[0:3], 0 offset:280
	;; [unrolled: 1-line block ×4, first 2 shown]
	v_add_f32_e32 v4, v4, v121
	s_waitcnt vmcnt(13) lgkmcnt(0)
	v_mul_f32_e32 v121, v112, v3
	v_mul_f32_e32 v3, v113, v3
	v_add_f32_e32 v2, v2, v154
	buffer_load_dword v154, off, s[0:3], 0 offset:276
	v_add_f32_e32 v6, v4, v6
	v_fmac_f32_e32 v121, v113, v148
	v_add_f32_e32 v2, v2, v123
	v_fma_f32 v123, v112, v148, -v3
	v_add_f32_e32 v6, v6, v118
	buffer_load_dword v118, off, s[0:3], 0 offset:284
	v_add_f32_e32 v7, v2, v7
	ds_read_b128 v[2:5], v1 offset:656
	v_add_f32_e32 v6, v6, v119
	buffer_load_dword v119, off, s[0:3], 0 offset:292
	v_add_f32_e32 v7, v7, v120
	v_add_f32_e32 v6, v6, v124
	;; [unrolled: 1-line block ×3, first 2 shown]
	buffer_load_dword v122, off, s[0:3], 0 offset:300
	v_add_f32_e32 v6, v6, v127
	v_add_f32_e32 v7, v7, v131
	;; [unrolled: 1-line block ×3, first 2 shown]
	s_waitcnt vmcnt(16)
	v_mul_f32_e32 v120, v114, v142
	v_mul_f32_e32 v112, v115, v142
	s_waitcnt vmcnt(12)
	v_fmac_f32_e32 v120, v115, v160
	v_fma_f32 v142, v114, v160, -v112
	ds_read_b128 v[112:115], v1 offset:672
	s_waitcnt vmcnt(11) lgkmcnt(1)
	v_mul_f32_e32 v131, v3, v161
	v_mul_f32_e32 v124, v2, v161
	s_clause 0x3
	buffer_load_dword v129, off, s[0:3], 0 offset:320
	buffer_load_dword v148, off, s[0:3], 0 offset:312
	;; [unrolled: 1-line block ×4, first 2 shown]
	v_fma_f32 v131, v2, v159, -v131
	v_add_f32_e32 v2, v6, v126
	s_clause 0x1
	buffer_load_dword v6, off, s[0:3], 0 offset:308
	buffer_load_dword v126, off, s[0:3], 0 offset:316
	v_fmac_f32_e32 v124, v3, v159
	v_add_f32_e32 v3, v7, v130
	s_waitcnt vmcnt(15)
	v_mul_f32_e32 v7, v4, v151
	v_add_f32_e32 v2, v2, v128
	buffer_load_dword v128, off, s[0:3], 0 offset:324
	v_mul_f32_e32 v130, v5, v151
	v_add_f32_e32 v3, v3, v132
	v_fmac_f32_e32 v7, v5, v144
	v_add_f32_e32 v132, v2, v133
	v_fma_f32 v130, v4, v144, -v130
	v_add_f32_e32 v139, v3, v139
	s_waitcnt lgkmcnt(0)
	v_mul_f32_e32 v161, v113, v162
	v_add_f32_e32 v132, v132, v135
	v_mul_f32_e32 v135, v112, v162
	s_clause 0x3
	buffer_load_dword v133, off, s[0:3], 0 offset:332
	buffer_load_dword v144, off, s[0:3], 0 offset:340
	;; [unrolled: 1-line block ×4, first 2 shown]
	v_add_f32_e32 v137, v139, v137
	ds_read_b128 v[2:5], v1 offset:688
	v_add_f32_e32 v132, v132, v134
	s_waitcnt vmcnt(19)
	v_mul_f32_e32 v139, v114, v152
	v_mul_f32_e32 v134, v115, v152
	v_fma_f32 v152, v112, v116, -v161
	v_add_f32_e32 v112, v137, v138
	v_fmac_f32_e32 v135, v113, v116
	v_add_f32_e32 v113, v132, v136
	s_clause 0x3
	buffer_load_dword v132, off, s[0:3], 0 offset:364
	buffer_load_dword v136, off, s[0:3], 0 offset:372
	;; [unrolled: 1-line block ×4, first 2 shown]
	s_waitcnt vmcnt(19)
	v_fmac_f32_e32 v139, v115, v153
	v_add_f32_e32 v112, v112, v140
	v_fma_f32 v134, v114, v153, -v134
	buffer_load_dword v153, off, s[0:3], 0 offset:396
	v_add_f32_e32 v113, v113, v147
	s_clause 0x4
	buffer_load_dword v140, off, s[0:3], 0 offset:352
	buffer_load_dword v147, off, s[0:3], 0 offset:344
	;; [unrolled: 1-line block ×5, first 2 shown]
	v_add_f32_e32 v112, v112, v150
	v_add_f32_e32 v116, v113, v146
	;; [unrolled: 1-line block ×3, first 2 shown]
	s_waitcnt vmcnt(24) lgkmcnt(0)
	v_mul_f32_e32 v150, v3, v154
	ds_read_b128 v[112:115], v1 offset:704
	v_add_f32_e32 v116, v116, v141
	v_mul_f32_e32 v141, v2, v154
	v_add_f32_e32 v145, v146, v145
	v_fmac_f32_e32 v141, v3, v125
	v_fma_f32 v125, v2, v125, -v150
	v_add_f32_e32 v3, v145, v166
	s_clause 0x3
	buffer_load_dword v145, off, s[0:3], 0 offset:384
	buffer_load_dword v146, off, s[0:3], 0 offset:376
	;; [unrolled: 1-line block ×4, first 2 shown]
	v_add_f32_e32 v2, v116, v155
	v_add_f32_e32 v3, v3, v157
	s_waitcnt vmcnt(27)
	v_mul_f32_e32 v157, v4, v118
	v_add_f32_e32 v2, v2, v156
	s_clause 0x1
	buffer_load_dword v155, off, s[0:3], 0 offset:400
	buffer_load_dword v156, off, s[0:3], 0 offset:392
	v_add_f32_e32 v116, v3, v121
	v_mul_f32_e32 v3, v5, v118
	v_add_f32_e32 v2, v2, v149
	buffer_load_dword v149, off, s[0:3], 0 offset:8
	v_fmac_f32_e32 v157, v5, v117
	v_add_f32_e32 v116, v116, v120
	v_fma_f32 v158, v4, v117, -v3
	v_add_f32_e32 v118, v2, v123
	ds_read_b128 v[2:5], v1 offset:720
	s_waitcnt vmcnt(29) lgkmcnt(1)
	v_mul_f32_e32 v120, v113, v119
	v_add_f32_e32 v121, v116, v124
	s_waitcnt vmcnt(28)
	v_mul_f32_e32 v164, v114, v122
	v_add_f32_e32 v117, v118, v142
	v_mul_f32_e32 v142, v112, v119
	v_mul_f32_e32 v122, v115, v122
	v_add_f32_e32 v7, v121, v7
	v_add_f32_e32 v123, v117, v131
	ds_read_b128 v[116:119], v1 offset:736
	v_fmac_f32_e32 v142, v113, v8
	v_add_f32_e32 v7, v7, v135
	v_fma_f32 v8, v112, v8, -v120
	v_add_f32_e32 v124, v123, v130
	v_add_f32_e32 v124, v124, v152
	;; [unrolled: 1-line block ×3, first 2 shown]
	s_waitcnt vmcnt(24)
	v_fma_f32 v130, v114, v160, -v122
	v_fmac_f32_e32 v164, v115, v160
	ds_read_b128 v[112:115], v1 offset:752
	ds_read_b128 v[120:123], v1 offset:768
	s_waitcnt vmcnt(23) lgkmcnt(3)
	v_mul_f32_e32 v131, v2, v6
	v_mul_f32_e32 v6, v3, v6
	s_waitcnt vmcnt(22)
	v_mul_f32_e32 v135, v4, v126
	v_mul_f32_e32 v134, v5, v126
	v_fmac_f32_e32 v131, v3, v127
	v_fma_f32 v152, v2, v127, -v6
	v_add_f32_e32 v2, v7, v139
	v_add_f32_e32 v6, v124, v125
	v_fmac_f32_e32 v135, v5, v148
	v_fma_f32 v134, v4, v148, -v134
	s_waitcnt vmcnt(21) lgkmcnt(2)
	v_mul_f32_e32 v148, v116, v128
	v_add_f32_e32 v139, v2, v141
	v_add_f32_e32 v141, v6, v158
	v_mul_f32_e32 v128, v117, v128
	ds_read_b128 v[124:127], v1 offset:784
	ds_read_b128 v[2:5], v1 offset:800
	v_add_f32_e32 v139, v139, v157
	v_add_f32_e32 v8, v141, v8
	v_fma_f32 v116, v116, v129, -v128
	s_waitcnt vmcnt(20)
	v_mul_f32_e32 v157, v118, v133
	v_mul_f32_e32 v133, v119, v133
	v_add_f32_e32 v139, v139, v142
	v_add_f32_e32 v8, v8, v130
	v_fmac_f32_e32 v148, v117, v129
	s_waitcnt vmcnt(19) lgkmcnt(3)
	v_mul_f32_e32 v141, v112, v144
	s_waitcnt vmcnt(18)
	v_mul_f32_e32 v130, v114, v151
	v_add_f32_e32 v139, v139, v164
	v_add_f32_e32 v8, v8, v152
	s_waitcnt vmcnt(17) lgkmcnt(2)
	v_mul_f32_e32 v142, v120, v159
	s_waitcnt vmcnt(16)
	v_mul_f32_e32 v158, v122, v132
	s_waitcnt vmcnt(9)
	v_fmac_f32_e32 v141, v113, v161
	v_add_f32_e32 v128, v139, v131
	v_add_f32_e32 v8, v8, v134
	v_mul_f32_e32 v134, v113, v144
	s_waitcnt vmcnt(8)
	v_fma_f32 v118, v118, v162, -v133
	v_fmac_f32_e32 v157, v119, v162
	v_add_f32_e32 v128, v128, v135
	v_add_f32_e32 v8, v8, v116
	v_mul_f32_e32 v119, v115, v151
	v_fma_f32 v112, v112, v161, -v134
	v_fmac_f32_e32 v130, v115, v147
	v_add_f32_e32 v116, v128, v148
	v_add_f32_e32 v8, v8, v118
	v_fma_f32 v114, v114, v147, -v119
	v_fmac_f32_e32 v142, v121, v140
	ds_read_b64 v[6:7], v1 offset:816
	v_add_f32_e32 v113, v116, v157
	v_mul_f32_e32 v116, v121, v159
	v_add_f32_e32 v8, v8, v112
	s_waitcnt lgkmcnt(2)
	v_mul_f32_e32 v152, v124, v136
	s_waitcnt vmcnt(3)
	v_fmac_f32_e32 v158, v123, v154
	v_add_f32_e32 v112, v113, v141
	v_mul_f32_e32 v113, v123, v132
	v_fma_f32 v115, v120, v140, -v116
	v_add_f32_e32 v8, v8, v114
	v_mul_f32_e32 v114, v125, v136
	v_add_f32_e32 v112, v112, v130
	v_fma_f32 v113, v122, v154, -v113
	v_mul_f32_e32 v117, v126, v137
	v_add_f32_e32 v8, v8, v115
	v_mul_f32_e32 v115, v127, v137
	v_add_f32_e32 v112, v112, v142
	v_fma_f32 v114, v124, v150, -v114
	v_fmac_f32_e32 v152, v125, v150
	v_add_f32_e32 v8, v8, v113
	s_waitcnt lgkmcnt(1)
	v_mul_f32_e32 v129, v2, v138
	v_add_f32_e32 v112, v112, v158
	v_mul_f32_e32 v113, v3, v138
	v_fma_f32 v115, v126, v146, -v115
	v_add_f32_e32 v8, v8, v114
	v_fmac_f32_e32 v117, v127, v146
	v_add_f32_e32 v112, v112, v152
	v_mul_f32_e32 v114, v5, v153
	v_fmac_f32_e32 v129, v3, v145
	v_fma_f32 v2, v2, v145, -v113
	v_add_f32_e32 v3, v8, v115
	v_mul_f32_e32 v131, v4, v153
	v_add_f32_e32 v8, v112, v117
	s_waitcnt lgkmcnt(0)
	v_mul_f32_e32 v112, v7, v163
	s_waitcnt vmcnt(1)
	v_fma_f32 v4, v4, v156, -v114
	v_add_f32_e32 v2, v3, v2
	v_mul_f32_e32 v135, v6, v163
	v_fmac_f32_e32 v131, v5, v156
	v_add_f32_e32 v3, v8, v129
	v_fma_f32 v5, v6, v155, -v112
	v_add_f32_e32 v2, v2, v4
	v_fmac_f32_e32 v135, v7, v155
	v_add_f32_e32 v3, v3, v131
	v_add_f32_e32 v2, v2, v5
	;; [unrolled: 1-line block ×3, first 2 shown]
	s_waitcnt vmcnt(0)
	v_sub_f32_e32 v2, v149, v2
	v_sub_f32_e32 v3, v143, v3
	buffer_store_dword v2, off, s[0:3], 0 offset:8
	buffer_store_dword v3, off, s[0:3], 0 offset:12
	v_cmpx_ne_u32_e32 0, v0
	s_cbranch_execz .LBB114_319
; %bb.318:
	s_clause 0x1
	buffer_load_dword v2, off, s[0:3], 0
	buffer_load_dword v3, off, s[0:3], 0 offset:4
	buffer_store_dword v1, off, s[0:3], 0
	buffer_store_dword v1, off, s[0:3], 0 offset:4
	s_waitcnt vmcnt(0)
	ds_write_b64 v111, v[2:3]
.LBB114_319:
	s_or_b32 exec_lo, exec_lo, s4
	s_waitcnt lgkmcnt(0)
	s_waitcnt_vscnt null, 0x0
	s_barrier
	buffer_gl0_inv
	s_clause 0x2c
	buffer_load_dword v141, off, s[0:3], 0 offset:12
	buffer_load_dword v0, off, s[0:3], 0 offset:24
	;; [unrolled: 1-line block ×45, first 2 shown]
	ds_read2_b64 v[149:152], v1 offset0:53 offset1:54
	ds_read2_b64 v[153:156], v1 offset0:55 offset1:56
	;; [unrolled: 1-line block ×3, first 2 shown]
	s_and_b32 vcc_lo, exec_lo, s16
	s_waitcnt vmcnt(44) lgkmcnt(2)
	v_mul_f32_e32 v142, v149, v141
	v_mul_f32_e32 v161, v150, v141
	buffer_load_dword v141, off, s[0:3], 0 offset:4
	s_waitcnt vmcnt(41)
	v_mul_f32_e32 v162, v151, v8
	v_mul_f32_e32 v8, v152, v8
	v_fmac_f32_e32 v142, v150, v111
	v_fma_f32 v161, v149, v111, -v161
	s_waitcnt vmcnt(40) lgkmcnt(1)
	v_mul_f32_e32 v163, v153, v6
	v_fmac_f32_e32 v162, v152, v4
	v_fma_f32 v8, v151, v4, -v8
	ds_read2_b64 v[149:152], v1 offset0:59 offset1:60
	v_mul_f32_e32 v4, v154, v6
	s_waitcnt vmcnt(39)
	v_mul_f32_e32 v164, v155, v3
	v_mul_f32_e32 v3, v156, v3
	v_fmac_f32_e32 v163, v154, v0
	s_waitcnt vmcnt(34) lgkmcnt(1)
	v_mul_f32_e32 v166, v157, v114
	v_fma_f32 v0, v153, v0, -v4
	v_fmac_f32_e32 v164, v156, v115
	v_fma_f32 v165, v155, v115, -v3
	v_mul_f32_e32 v3, v158, v114
	ds_read2_b64 v[153:156], v1 offset0:61 offset1:62
	v_fmac_f32_e32 v166, v158, v112
	s_waitcnt vmcnt(33)
	v_mul_f32_e32 v158, v159, v113
	v_fma_f32 v157, v157, v112, -v3
	v_mul_f32_e32 v3, v160, v113
	ds_read2_b64 v[111:114], v1 offset0:65 offset1:66
	v_fmac_f32_e32 v158, v160, v5
	v_fma_f32 v159, v159, v5, -v3
	s_waitcnt vmcnt(32) lgkmcnt(2)
	v_mul_f32_e32 v160, v149, v7
	v_mul_f32_e32 v7, v150, v7
	ds_read2_b64 v[3:6], v1 offset0:63 offset1:64
	v_fmac_f32_e32 v160, v150, v2
	v_fma_f32 v7, v149, v2, -v7
	s_waitcnt vmcnt(31)
	v_mul_f32_e32 v149, v151, v116
	v_mul_f32_e32 v2, v152, v116
	s_waitcnt vmcnt(26) lgkmcnt(2)
	v_mul_f32_e32 v150, v153, v123
	v_fmac_f32_e32 v149, v152, v124
	v_fma_f32 v124, v151, v124, -v2
	v_mul_f32_e32 v2, v154, v123
	s_waitcnt vmcnt(25)
	v_mul_f32_e32 v151, v155, v121
	v_fmac_f32_e32 v150, v154, v120
	v_fma_f32 v123, v153, v120, -v2
	v_mul_f32_e32 v2, v156, v121
	v_fmac_f32_e32 v151, v156, v118
	s_waitcnt vmcnt(24) lgkmcnt(0)
	v_mul_f32_e32 v153, v3, v119
	v_fma_f32 v152, v155, v118, -v2
	v_mul_f32_e32 v2, v4, v119
	ds_read2_b64 v[118:121], v1 offset0:67 offset1:68
	s_waitcnt vmcnt(23)
	v_mul_f32_e32 v155, v5, v122
	s_waitcnt vmcnt(18)
	v_mul_f32_e32 v115, v112, v131
	v_fmac_f32_e32 v153, v4, v117
	v_fma_f32 v154, v3, v117, -v2
	v_mul_f32_e32 v2, v6, v122
	v_mul_f32_e32 v122, v111, v131
	v_fmac_f32_e32 v155, v6, v132
	s_waitcnt vmcnt(17)
	v_mul_f32_e32 v131, v113, v129
	v_fma_f32 v6, v5, v132, -v2
	ds_read2_b64 v[2:5], v1 offset0:69 offset1:70
	v_fmac_f32_e32 v122, v112, v128
	v_fma_f32 v128, v111, v128, -v115
	v_mul_f32_e32 v111, v114, v129
	v_fmac_f32_e32 v131, v114, v126
	v_fma_f32 v126, v113, v126, -v111
	s_waitcnt vmcnt(16) lgkmcnt(1)
	v_mul_f32_e32 v129, v118, v127
	v_mul_f32_e32 v115, v119, v127
	ds_read2_b64 v[111:114], v1 offset0:71 offset1:72
	v_fmac_f32_e32 v129, v119, v125
	v_fma_f32 v119, v118, v125, -v115
	s_waitcnt vmcnt(15)
	v_mul_f32_e32 v115, v121, v130
	v_mul_f32_e32 v125, v120, v130
	s_waitcnt vmcnt(10) lgkmcnt(1)
	v_mul_f32_e32 v127, v3, v138
	v_fma_f32 v120, v120, v139, -v115
	ds_read2_b64 v[115:118], v1 offset0:73 offset1:74
	v_fmac_f32_e32 v125, v121, v139
	v_mul_f32_e32 v121, v2, v138
	v_fma_f32 v127, v2, v136, -v127
	s_waitcnt vmcnt(9)
	v_mul_f32_e32 v130, v4, v137
	v_mul_f32_e32 v2, v5, v137
	v_fmac_f32_e32 v121, v3, v136
	buffer_load_dword v136, off, s[0:3], 0 offset:188
	s_waitcnt vmcnt(8) lgkmcnt(1)
	v_mul_f32_e32 v3, v114, v140
	v_fmac_f32_e32 v130, v5, v134
	v_fma_f32 v132, v4, v134, -v2
	v_mul_f32_e32 v134, v111, v135
	v_mul_f32_e32 v2, v112, v135
	;; [unrolled: 1-line block ×3, first 2 shown]
	s_waitcnt vmcnt(4)
	v_fma_f32 v137, v113, v148, -v3
	buffer_load_dword v113, off, s[0:3], 0 offset:196
	v_fmac_f32_e32 v134, v112, v133
	v_fma_f32 v133, v111, v133, -v2
	ds_read2_b64 v[2:5], v1 offset0:75 offset1:76
	s_waitcnt vmcnt(4) lgkmcnt(1)
	v_mul_f32_e32 v138, v115, v147
	v_mul_f32_e32 v111, v116, v147
	s_waitcnt vmcnt(3)
	v_mul_f32_e32 v139, v117, v146
	v_mul_f32_e32 v112, v118, v146
	v_fmac_f32_e32 v135, v114, v148
	v_fmac_f32_e32 v138, v116, v145
	v_fma_f32 v115, v115, v145, -v111
	v_fmac_f32_e32 v139, v118, v144
	v_fma_f32 v116, v117, v144, -v112
	s_clause 0x4
	buffer_load_dword v117, off, s[0:3], 0 offset:216
	buffer_load_dword v118, off, s[0:3], 0 offset:208
	;; [unrolled: 1-line block ×5, first 2 shown]
	s_waitcnt vmcnt(6) lgkmcnt(0)
	v_mul_f32_e32 v145, v2, v136
	v_mul_f32_e32 v112, v3, v136
	v_fmac_f32_e32 v145, v3, v143
	v_fma_f32 v143, v2, v143, -v112
	s_waitcnt vmcnt(5)
	v_mul_f32_e32 v136, v4, v113
	v_mul_f32_e32 v113, v5, v113
	s_waitcnt vmcnt(1)
	v_fmac_f32_e32 v136, v5, v111
	v_fma_f32 v146, v4, v111, -v113
	ds_read2_b64 v[2:5], v1 offset0:77 offset1:78
	ds_read2_b64 v[111:114], v1 offset0:79 offset1:80
	s_waitcnt vmcnt(0) lgkmcnt(1)
	v_mul_f32_e32 v147, v2, v144
	v_mul_f32_e32 v144, v3, v144
	v_fmac_f32_e32 v147, v3, v140
	v_fma_f32 v140, v2, v140, -v144
	buffer_load_dword v2, off, s[0:3], 0 offset:212
	v_add_f32_e32 v3, 0, v161
	v_add_f32_e32 v3, v3, v8
	;; [unrolled: 1-line block ×25, first 2 shown]
	s_waitcnt vmcnt(0)
	v_mul_f32_e32 v144, v4, v2
	v_mul_f32_e32 v2, v5, v2
	v_fmac_f32_e32 v144, v5, v118
	v_fma_f32 v118, v4, v118, -v2
	s_clause 0x1
	buffer_load_dword v4, off, s[0:3], 0 offset:220
	buffer_load_dword v5, off, s[0:3], 0 offset:228
	v_add_f32_e32 v2, 0, v142
	s_clause 0x6
	buffer_load_dword v8, off, s[0:3], 0 offset:248
	buffer_load_dword v142, off, s[0:3], 0 offset:240
	;; [unrolled: 1-line block ×7, first 2 shown]
	v_add_f32_e32 v2, v2, v162
	v_add_f32_e32 v0, v0, v118
	;; [unrolled: 1-line block ×6, first 2 shown]
	buffer_load_dword v158, off, s[0:3], 0 offset:260
	v_add_f32_e32 v2, v2, v160
	v_add_f32_e32 v2, v2, v149
	s_clause 0x4
	buffer_load_dword v7, off, s[0:3], 0 offset:280
	buffer_load_dword v149, off, s[0:3], 0 offset:272
	;; [unrolled: 1-line block ×5, first 2 shown]
	v_add_f32_e32 v2, v2, v150
	s_clause 0x1
	buffer_load_dword v123, off, s[0:3], 0 offset:276
	buffer_load_dword v150, off, s[0:3], 0 offset:284
	v_add_f32_e32 v2, v2, v151
	buffer_load_dword v151, off, s[0:3], 0 offset:292
	v_add_f32_e32 v2, v2, v153
	s_waitcnt vmcnt(17) lgkmcnt(0)
	v_mul_f32_e32 v152, v111, v4
	v_mul_f32_e32 v4, v112, v4
	s_waitcnt vmcnt(16)
	v_mul_f32_e32 v153, v113, v5
	v_mul_f32_e32 v5, v114, v5
	v_fmac_f32_e32 v152, v112, v117
	v_fma_f32 v117, v111, v117, -v4
	v_add_f32_e32 v111, v2, v155
	s_waitcnt vmcnt(12)
	v_fmac_f32_e32 v153, v114, v3
	v_fma_f32 v154, v113, v3, -v5
	ds_read2_b64 v[2:5], v1 offset0:81 offset1:82
	v_add_f32_e32 v0, v0, v117
	v_add_f32_e32 v6, v111, v122
	s_clause 0x4
	buffer_load_dword v155, off, s[0:3], 0 offset:312
	buffer_load_dword v162, off, s[0:3], 0 offset:304
	;; [unrolled: 1-line block ×5, first 2 shown]
	v_add_f32_e32 v0, v0, v154
	v_add_f32_e32 v6, v6, v131
	s_clause 0x1
	buffer_load_dword v128, off, s[0:3], 0 offset:308
	buffer_load_dword v131, off, s[0:3], 0 offset:316
	ds_read2_b64 v[111:114], v1 offset0:83 offset1:84
	v_add_f32_e32 v6, v6, v129
	v_add_f32_e32 v6, v6, v125
	s_waitcnt vmcnt(18) lgkmcnt(1)
	v_mul_f32_e32 v119, v2, v156
	v_mul_f32_e32 v125, v3, v156
	s_waitcnt vmcnt(17)
	v_mul_f32_e32 v120, v4, v161
	v_mul_f32_e32 v129, v5, v161
	v_fmac_f32_e32 v119, v3, v148
	v_add_f32_e32 v3, v6, v121
	v_fma_f32 v6, v2, v148, -v125
	v_fmac_f32_e32 v120, v5, v142
	v_fma_f32 v121, v4, v142, -v129
	s_clause 0x7
	buffer_load_dword v142, off, s[0:3], 0 offset:324
	buffer_load_dword v148, off, s[0:3], 0 offset:332
	;; [unrolled: 1-line block ×8, first 2 shown]
	v_add_f32_e32 v2, v3, v130
	s_waitcnt vmcnt(24) lgkmcnt(0)
	v_mul_f32_e32 v125, v111, v157
	v_mul_f32_e32 v3, v112, v157
	buffer_load_dword v132, off, s[0:3], 0 offset:356
	s_waitcnt vmcnt(24)
	v_mul_f32_e32 v127, v113, v158
	v_add_f32_e32 v2, v2, v134
	v_fmac_f32_e32 v125, v112, v8
	v_fma_f32 v8, v111, v8, -v3
	v_add_f32_e32 v0, v0, v6
	s_waitcnt vmcnt(20)
	v_fmac_f32_e32 v127, v114, v160
	v_add_f32_e32 v2, v2, v135
	s_clause 0x4
	buffer_load_dword v133, off, s[0:3], 0 offset:364
	buffer_load_dword v134, off, s[0:3], 0 offset:372
	;; [unrolled: 1-line block ×5, first 2 shown]
	v_add_f32_e32 v0, v0, v121
	v_add_f32_e32 v111, v2, v138
	v_mul_f32_e32 v2, v114, v158
	buffer_load_dword v138, off, s[0:3], 0 offset:404
	v_add_f32_e32 v0, v0, v8
	v_add_f32_e32 v111, v111, v139
	v_fma_f32 v129, v113, v160, -v2
	ds_read2_b64 v[2:5], v1 offset0:85 offset1:86
	v_add_f32_e32 v111, v111, v145
	s_clause 0x3
	buffer_load_dword v139, off, s[0:3], 0 offset:376
	buffer_load_dword v143, off, s[0:3], 0 offset:368
	;; [unrolled: 1-line block ×4, first 2 shown]
	v_add_f32_e32 v0, v0, v129
	v_add_f32_e32 v111, v111, v136
	v_add_f32_e32 v115, v111, v147
	ds_read2_b64 v[111:114], v1 offset0:87 offset1:88
	s_waitcnt vmcnt(29) lgkmcnt(1)
	v_mul_f32_e32 v116, v3, v124
	v_mul_f32_e32 v130, v2, v124
	s_waitcnt vmcnt(28)
	v_mul_f32_e32 v147, v4, v123
	v_fma_f32 v124, v2, v159, -v116
	v_add_f32_e32 v2, v115, v144
	s_clause 0x3
	buffer_load_dword v136, off, s[0:3], 0 offset:400
	buffer_load_dword v140, off, s[0:3], 0 offset:392
	;; [unrolled: 1-line block ×3, first 2 shown]
	buffer_load_dword v146, off, s[0:3], 0
	v_fmac_f32_e32 v130, v3, v159
	v_mul_f32_e32 v3, v5, v123
	v_add_f32_e32 v2, v2, v152
	v_fmac_f32_e32 v147, v5, v149
	v_add_f32_e32 v0, v0, v124
	s_waitcnt vmcnt(31) lgkmcnt(0)
	v_mul_f32_e32 v152, v111, v150
	v_fma_f32 v149, v4, v149, -v3
	v_add_f32_e32 v115, v2, v153
	ds_read2_b64 v[2:5], v1 offset0:89 offset1:90
	v_fmac_f32_e32 v152, v112, v7
	v_add_f32_e32 v0, v0, v149
	v_add_f32_e32 v115, v115, v119
	v_mul_f32_e32 v119, v112, v150
	s_waitcnt vmcnt(30)
	v_mul_f32_e32 v150, v113, v151
	v_add_f32_e32 v6, v115, v120
	ds_read2_b64 v[115:118], v1 offset0:91 offset1:92
	v_mul_f32_e32 v120, v114, v151
	v_fma_f32 v7, v111, v7, -v119
	v_add_f32_e32 v6, v6, v125
	v_add_f32_e32 v0, v0, v7
	;; [unrolled: 1-line block ×3, first 2 shown]
	s_waitcnt vmcnt(26)
	v_fma_f32 v151, v113, v122, -v120
	s_waitcnt vmcnt(25) lgkmcnt(1)
	v_mul_f32_e32 v8, v2, v126
	v_mul_f32_e32 v123, v3, v126
	v_fmac_f32_e32 v150, v114, v122
	s_waitcnt vmcnt(24)
	v_mul_f32_e32 v153, v4, v128
	v_mul_f32_e32 v125, v5, v128
	v_fmac_f32_e32 v8, v3, v163
	v_add_f32_e32 v3, v6, v130
	ds_read2_b64 v[111:114], v1 offset0:93 offset1:94
	ds_read2_b64 v[119:122], v1 offset0:95 offset1:96
	v_fmac_f32_e32 v153, v5, v162
	v_fma_f32 v6, v2, v163, -v123
	v_fma_f32 v154, v4, v162, -v125
	v_add_f32_e32 v147, v3, v147
	ds_read2_b64 v[2:5], v1 offset0:97 offset1:98
	ds_read2_b64 v[123:126], v1 offset0:99 offset1:100
	;; [unrolled: 1-line block ×3, first 2 shown]
	v_add_f32_e32 v0, v0, v151
	v_add_f32_e32 v1, v147, v152
	s_waitcnt vmcnt(23) lgkmcnt(5)
	v_mul_f32_e32 v147, v115, v131
	v_mul_f32_e32 v131, v116, v131
	v_add_f32_e32 v0, v0, v6
	s_waitcnt vmcnt(22)
	v_mul_f32_e32 v7, v117, v142
	v_add_f32_e32 v1, v1, v150
	v_mul_f32_e32 v142, v118, v142
	v_fma_f32 v115, v115, v155, -v131
	v_add_f32_e32 v0, v0, v154
	v_fmac_f32_e32 v147, v116, v155
	v_add_f32_e32 v1, v1, v8
	s_waitcnt vmcnt(21) lgkmcnt(4)
	v_mul_f32_e32 v149, v111, v148
	v_mul_f32_e32 v148, v112, v148
	s_waitcnt vmcnt(15)
	v_fma_f32 v117, v117, v167, -v142
	v_add_f32_e32 v0, v0, v115
	v_add_f32_e32 v1, v1, v153
	v_fmac_f32_e32 v7, v118, v167
	v_mul_f32_e32 v152, v114, v156
	v_fma_f32 v111, v111, v166, -v148
	v_add_f32_e32 v0, v0, v117
	v_add_f32_e32 v1, v1, v147
	v_mul_f32_e32 v116, v113, v156
	v_fmac_f32_e32 v149, v112, v166
	v_fma_f32 v112, v113, v165, -v152
	v_add_f32_e32 v0, v0, v111
	v_add_f32_e32 v1, v1, v7
	s_waitcnt lgkmcnt(3)
	v_mul_f32_e32 v7, v120, v161
	v_mul_f32_e32 v131, v119, v161
	v_fmac_f32_e32 v116, v114, v165
	s_waitcnt vmcnt(14)
	v_mul_f32_e32 v111, v122, v132
	v_add_f32_e32 v1, v1, v149
	v_fma_f32 v7, v119, v164, -v7
	v_add_f32_e32 v0, v0, v112
	v_mul_f32_e32 v8, v121, v132
	v_fmac_f32_e32 v131, v120, v164
	v_add_f32_e32 v1, v1, v116
	s_waitcnt vmcnt(13) lgkmcnt(2)
	v_mul_f32_e32 v112, v3, v133
	s_waitcnt vmcnt(4)
	v_fma_f32 v111, v121, v158, -v111
	v_add_f32_e32 v0, v0, v7
	v_mul_f32_e32 v6, v2, v133
	v_fmac_f32_e32 v8, v122, v158
	v_add_f32_e32 v1, v1, v131
	v_mul_f32_e32 v7, v5, v134
	v_fma_f32 v2, v2, v145, -v112
	v_add_f32_e32 v0, v0, v111
	v_mul_f32_e32 v118, v4, v134
	v_fmac_f32_e32 v6, v3, v145
	v_add_f32_e32 v1, v1, v8
	s_waitcnt lgkmcnt(1)
	v_mul_f32_e32 v3, v124, v135
	v_fma_f32 v4, v4, v143, -v7
	v_add_f32_e32 v0, v0, v2
	v_mul_f32_e32 v142, v123, v135
	v_fmac_f32_e32 v118, v5, v143
	v_add_f32_e32 v1, v1, v6
	v_mul_f32_e32 v2, v126, v137
	v_fma_f32 v3, v123, v139, -v3
	v_add_f32_e32 v0, v0, v4
	v_mul_f32_e32 v150, v125, v137
	v_fmac_f32_e32 v142, v124, v139
	v_add_f32_e32 v1, v1, v118
	s_waitcnt lgkmcnt(0)
	v_mul_f32_e32 v4, v128, v157
	s_waitcnt vmcnt(1)
	v_fma_f32 v2, v125, v144, -v2
	v_add_f32_e32 v0, v0, v3
	v_mul_f32_e32 v151, v127, v157
	v_fmac_f32_e32 v150, v126, v144
	v_add_f32_e32 v1, v1, v142
	v_mul_f32_e32 v3, v130, v138
	v_fma_f32 v4, v127, v140, -v4
	v_add_f32_e32 v0, v0, v2
	v_mul_f32_e32 v115, v129, v138
	v_fmac_f32_e32 v151, v128, v140
	v_add_f32_e32 v1, v1, v150
	v_fma_f32 v2, v129, v136, -v3
	v_add_f32_e32 v0, v0, v4
	v_fmac_f32_e32 v115, v130, v136
	v_add_f32_e32 v1, v1, v151
	v_add_f32_e32 v0, v0, v2
	;; [unrolled: 1-line block ×3, first 2 shown]
	s_waitcnt vmcnt(0)
	v_sub_f32_e32 v0, v146, v0
	v_sub_f32_e32 v1, v141, v1
	buffer_store_dword v0, off, s[0:3], 0
	buffer_store_dword v1, off, s[0:3], 0 offset:4
	s_cbranch_vccz .LBB114_420
; %bb.320:
	v_mov_b32_e32 v0, 0
	global_load_dword v1, v0, s[12:13] offset:196
	s_waitcnt vmcnt(0)
	v_add_nc_u32_e32 v1, -1, v1
	v_cmp_ne_u32_e32 vcc_lo, 49, v1
	s_cbranch_vccz .LBB114_322
; %bb.321:
	v_lshlrev_b32_e32 v1, 3, v1
	s_clause 0x3
	buffer_load_dword v2, v1, s[0:3], 0 offen
	buffer_load_dword v3, v1, s[0:3], 0 offen offset:4
	buffer_load_dword v4, off, s[0:3], 0 offset:392
	buffer_load_dword v5, off, s[0:3], 0 offset:396
	s_waitcnt vmcnt(3)
	buffer_store_dword v2, off, s[0:3], 0 offset:392
	s_waitcnt vmcnt(2)
	buffer_store_dword v3, off, s[0:3], 0 offset:396
	s_waitcnt vmcnt(1)
	buffer_store_dword v4, v1, s[0:3], 0 offen
	s_waitcnt vmcnt(0)
	buffer_store_dword v5, v1, s[0:3], 0 offen offset:4
.LBB114_322:
	global_load_dword v0, v0, s[12:13] offset:192
	s_waitcnt vmcnt(0)
	v_add_nc_u32_e32 v0, -1, v0
	v_cmp_eq_u32_e32 vcc_lo, 48, v0
	s_cbranch_vccnz .LBB114_324
; %bb.323:
	v_lshlrev_b32_e32 v0, 3, v0
	s_clause 0x3
	buffer_load_dword v1, v0, s[0:3], 0 offen
	buffer_load_dword v2, v0, s[0:3], 0 offen offset:4
	buffer_load_dword v3, off, s[0:3], 0 offset:388
	buffer_load_dword v4, off, s[0:3], 0 offset:384
	s_waitcnt vmcnt(3)
	buffer_store_dword v1, off, s[0:3], 0 offset:384
	s_waitcnt vmcnt(2)
	buffer_store_dword v2, off, s[0:3], 0 offset:388
	s_waitcnt vmcnt(1)
	buffer_store_dword v3, v0, s[0:3], 0 offen offset:4
	s_waitcnt vmcnt(0)
	buffer_store_dword v4, v0, s[0:3], 0 offen
.LBB114_324:
	v_mov_b32_e32 v0, 0
	global_load_dword v1, v0, s[12:13] offset:188
	s_waitcnt vmcnt(0)
	v_add_nc_u32_e32 v1, -1, v1
	v_cmp_eq_u32_e32 vcc_lo, 47, v1
	s_cbranch_vccnz .LBB114_326
; %bb.325:
	v_lshlrev_b32_e32 v1, 3, v1
	s_clause 0x3
	buffer_load_dword v2, v1, s[0:3], 0 offen
	buffer_load_dword v3, v1, s[0:3], 0 offen offset:4
	buffer_load_dword v4, off, s[0:3], 0 offset:376
	buffer_load_dword v5, off, s[0:3], 0 offset:380
	s_waitcnt vmcnt(3)
	buffer_store_dword v2, off, s[0:3], 0 offset:376
	s_waitcnt vmcnt(2)
	buffer_store_dword v3, off, s[0:3], 0 offset:380
	s_waitcnt vmcnt(1)
	buffer_store_dword v4, v1, s[0:3], 0 offen
	s_waitcnt vmcnt(0)
	buffer_store_dword v5, v1, s[0:3], 0 offen offset:4
.LBB114_326:
	global_load_dword v0, v0, s[12:13] offset:184
	s_waitcnt vmcnt(0)
	v_add_nc_u32_e32 v0, -1, v0
	v_cmp_eq_u32_e32 vcc_lo, 46, v0
	s_cbranch_vccnz .LBB114_328
; %bb.327:
	v_lshlrev_b32_e32 v0, 3, v0
	s_clause 0x3
	buffer_load_dword v1, v0, s[0:3], 0 offen
	buffer_load_dword v2, v0, s[0:3], 0 offen offset:4
	buffer_load_dword v3, off, s[0:3], 0 offset:372
	buffer_load_dword v4, off, s[0:3], 0 offset:368
	s_waitcnt vmcnt(3)
	buffer_store_dword v1, off, s[0:3], 0 offset:368
	s_waitcnt vmcnt(2)
	buffer_store_dword v2, off, s[0:3], 0 offset:372
	s_waitcnt vmcnt(1)
	buffer_store_dword v3, v0, s[0:3], 0 offen offset:4
	s_waitcnt vmcnt(0)
	buffer_store_dword v4, v0, s[0:3], 0 offen
.LBB114_328:
	v_mov_b32_e32 v0, 0
	global_load_dword v1, v0, s[12:13] offset:180
	s_waitcnt vmcnt(0)
	v_add_nc_u32_e32 v1, -1, v1
	v_cmp_eq_u32_e32 vcc_lo, 45, v1
	s_cbranch_vccnz .LBB114_330
; %bb.329:
	v_lshlrev_b32_e32 v1, 3, v1
	s_clause 0x3
	buffer_load_dword v2, v1, s[0:3], 0 offen
	buffer_load_dword v3, v1, s[0:3], 0 offen offset:4
	buffer_load_dword v4, off, s[0:3], 0 offset:360
	buffer_load_dword v5, off, s[0:3], 0 offset:364
	s_waitcnt vmcnt(3)
	buffer_store_dword v2, off, s[0:3], 0 offset:360
	s_waitcnt vmcnt(2)
	buffer_store_dword v3, off, s[0:3], 0 offset:364
	s_waitcnt vmcnt(1)
	buffer_store_dword v4, v1, s[0:3], 0 offen
	s_waitcnt vmcnt(0)
	buffer_store_dword v5, v1, s[0:3], 0 offen offset:4
.LBB114_330:
	;; [unrolled: 43-line block ×24, first 2 shown]
	global_load_dword v0, v0, s[12:13]
	s_waitcnt vmcnt(0)
	v_add_nc_u32_e32 v0, -1, v0
	v_cmp_eq_u32_e32 vcc_lo, 0, v0
	s_cbranch_vccnz .LBB114_420
; %bb.419:
	v_lshlrev_b32_e32 v0, 3, v0
	s_clause 0x3
	buffer_load_dword v1, v0, s[0:3], 0 offen
	buffer_load_dword v2, v0, s[0:3], 0 offen offset:4
	buffer_load_dword v3, off, s[0:3], 0 offset:4
	buffer_load_dword v4, off, s[0:3], 0
	s_waitcnt vmcnt(3)
	buffer_store_dword v1, off, s[0:3], 0
	s_waitcnt vmcnt(2)
	buffer_store_dword v2, off, s[0:3], 0 offset:4
	s_waitcnt vmcnt(1)
	buffer_store_dword v3, v0, s[0:3], 0 offen offset:4
	s_waitcnt vmcnt(0)
	buffer_store_dword v4, v0, s[0:3], 0 offen
.LBB114_420:
	s_clause 0x1
	buffer_load_dword v0, off, s[0:3], 0
	buffer_load_dword v1, off, s[0:3], 0 offset:4
	s_waitcnt vmcnt(0)
	flat_store_dwordx2 v[9:10], v[0:1]
	s_clause 0x1
	buffer_load_dword v0, off, s[0:3], 0 offset:8
	buffer_load_dword v1, off, s[0:3], 0 offset:12
	s_waitcnt vmcnt(0)
	flat_store_dwordx2 v[11:12], v[0:1]
	s_clause 0x1
	buffer_load_dword v0, off, s[0:3], 0 offset:16
	;; [unrolled: 5-line block ×50, first 2 shown]
	buffer_load_dword v1, off, s[0:3], 0 offset:404
	s_waitcnt vmcnt(0)
	flat_store_dwordx2 v[109:110], v[0:1]
	s_endpgm
	.section	.rodata,"a",@progbits
	.p2align	6, 0x0
	.amdhsa_kernel _ZN9rocsolver6v33100L18getri_kernel_smallILi51E19rocblas_complex_numIfEPKPS3_EEvT1_iilPiilS8_bb
		.amdhsa_group_segment_fixed_size 824
		.amdhsa_private_segment_fixed_size 416
		.amdhsa_kernarg_size 60
		.amdhsa_user_sgpr_count 6
		.amdhsa_user_sgpr_private_segment_buffer 1
		.amdhsa_user_sgpr_dispatch_ptr 0
		.amdhsa_user_sgpr_queue_ptr 0
		.amdhsa_user_sgpr_kernarg_segment_ptr 1
		.amdhsa_user_sgpr_dispatch_id 0
		.amdhsa_user_sgpr_flat_scratch_init 0
		.amdhsa_user_sgpr_private_segment_size 0
		.amdhsa_wavefront_size32 1
		.amdhsa_uses_dynamic_stack 0
		.amdhsa_system_sgpr_private_segment_wavefront_offset 1
		.amdhsa_system_sgpr_workgroup_id_x 1
		.amdhsa_system_sgpr_workgroup_id_y 0
		.amdhsa_system_sgpr_workgroup_id_z 0
		.amdhsa_system_sgpr_workgroup_info 0
		.amdhsa_system_vgpr_workitem_id 0
		.amdhsa_next_free_vgpr 252
		.amdhsa_next_free_sgpr 20
		.amdhsa_reserve_vcc 1
		.amdhsa_reserve_flat_scratch 0
		.amdhsa_float_round_mode_32 0
		.amdhsa_float_round_mode_16_64 0
		.amdhsa_float_denorm_mode_32 3
		.amdhsa_float_denorm_mode_16_64 3
		.amdhsa_dx10_clamp 1
		.amdhsa_ieee_mode 1
		.amdhsa_fp16_overflow 0
		.amdhsa_workgroup_processor_mode 1
		.amdhsa_memory_ordered 1
		.amdhsa_forward_progress 1
		.amdhsa_shared_vgpr_count 0
		.amdhsa_exception_fp_ieee_invalid_op 0
		.amdhsa_exception_fp_denorm_src 0
		.amdhsa_exception_fp_ieee_div_zero 0
		.amdhsa_exception_fp_ieee_overflow 0
		.amdhsa_exception_fp_ieee_underflow 0
		.amdhsa_exception_fp_ieee_inexact 0
		.amdhsa_exception_int_div_zero 0
	.end_amdhsa_kernel
	.section	.text._ZN9rocsolver6v33100L18getri_kernel_smallILi51E19rocblas_complex_numIfEPKPS3_EEvT1_iilPiilS8_bb,"axG",@progbits,_ZN9rocsolver6v33100L18getri_kernel_smallILi51E19rocblas_complex_numIfEPKPS3_EEvT1_iilPiilS8_bb,comdat
.Lfunc_end114:
	.size	_ZN9rocsolver6v33100L18getri_kernel_smallILi51E19rocblas_complex_numIfEPKPS3_EEvT1_iilPiilS8_bb, .Lfunc_end114-_ZN9rocsolver6v33100L18getri_kernel_smallILi51E19rocblas_complex_numIfEPKPS3_EEvT1_iilPiilS8_bb
                                        ; -- End function
	.set _ZN9rocsolver6v33100L18getri_kernel_smallILi51E19rocblas_complex_numIfEPKPS3_EEvT1_iilPiilS8_bb.num_vgpr, 252
	.set _ZN9rocsolver6v33100L18getri_kernel_smallILi51E19rocblas_complex_numIfEPKPS3_EEvT1_iilPiilS8_bb.num_agpr, 0
	.set _ZN9rocsolver6v33100L18getri_kernel_smallILi51E19rocblas_complex_numIfEPKPS3_EEvT1_iilPiilS8_bb.numbered_sgpr, 20
	.set _ZN9rocsolver6v33100L18getri_kernel_smallILi51E19rocblas_complex_numIfEPKPS3_EEvT1_iilPiilS8_bb.num_named_barrier, 0
	.set _ZN9rocsolver6v33100L18getri_kernel_smallILi51E19rocblas_complex_numIfEPKPS3_EEvT1_iilPiilS8_bb.private_seg_size, 416
	.set _ZN9rocsolver6v33100L18getri_kernel_smallILi51E19rocblas_complex_numIfEPKPS3_EEvT1_iilPiilS8_bb.uses_vcc, 1
	.set _ZN9rocsolver6v33100L18getri_kernel_smallILi51E19rocblas_complex_numIfEPKPS3_EEvT1_iilPiilS8_bb.uses_flat_scratch, 0
	.set _ZN9rocsolver6v33100L18getri_kernel_smallILi51E19rocblas_complex_numIfEPKPS3_EEvT1_iilPiilS8_bb.has_dyn_sized_stack, 0
	.set _ZN9rocsolver6v33100L18getri_kernel_smallILi51E19rocblas_complex_numIfEPKPS3_EEvT1_iilPiilS8_bb.has_recursion, 0
	.set _ZN9rocsolver6v33100L18getri_kernel_smallILi51E19rocblas_complex_numIfEPKPS3_EEvT1_iilPiilS8_bb.has_indirect_call, 0
	.section	.AMDGPU.csdata,"",@progbits
; Kernel info:
; codeLenInByte = 100440
; TotalNumSgprs: 22
; NumVgprs: 252
; ScratchSize: 416
; MemoryBound: 0
; FloatMode: 240
; IeeeMode: 1
; LDSByteSize: 824 bytes/workgroup (compile time only)
; SGPRBlocks: 0
; VGPRBlocks: 31
; NumSGPRsForWavesPerEU: 22
; NumVGPRsForWavesPerEU: 252
; Occupancy: 4
; WaveLimiterHint : 1
; COMPUTE_PGM_RSRC2:SCRATCH_EN: 1
; COMPUTE_PGM_RSRC2:USER_SGPR: 6
; COMPUTE_PGM_RSRC2:TRAP_HANDLER: 0
; COMPUTE_PGM_RSRC2:TGID_X_EN: 1
; COMPUTE_PGM_RSRC2:TGID_Y_EN: 0
; COMPUTE_PGM_RSRC2:TGID_Z_EN: 0
; COMPUTE_PGM_RSRC2:TIDIG_COMP_CNT: 0
	.section	.text._ZN9rocsolver6v33100L18getri_kernel_smallILi52E19rocblas_complex_numIfEPKPS3_EEvT1_iilPiilS8_bb,"axG",@progbits,_ZN9rocsolver6v33100L18getri_kernel_smallILi52E19rocblas_complex_numIfEPKPS3_EEvT1_iilPiilS8_bb,comdat
	.globl	_ZN9rocsolver6v33100L18getri_kernel_smallILi52E19rocblas_complex_numIfEPKPS3_EEvT1_iilPiilS8_bb ; -- Begin function _ZN9rocsolver6v33100L18getri_kernel_smallILi52E19rocblas_complex_numIfEPKPS3_EEvT1_iilPiilS8_bb
	.p2align	8
	.type	_ZN9rocsolver6v33100L18getri_kernel_smallILi52E19rocblas_complex_numIfEPKPS3_EEvT1_iilPiilS8_bb,@function
_ZN9rocsolver6v33100L18getri_kernel_smallILi52E19rocblas_complex_numIfEPKPS3_EEvT1_iilPiilS8_bb: ; @_ZN9rocsolver6v33100L18getri_kernel_smallILi52E19rocblas_complex_numIfEPKPS3_EEvT1_iilPiilS8_bb
; %bb.0:
	s_add_u32 s0, s0, s7
	s_addc_u32 s1, s1, 0
	s_mov_b32 s7, exec_lo
	v_cmpx_gt_u32_e32 52, v0
	s_cbranch_execz .LBB115_222
; %bb.1:
	s_clause 0x2
	s_load_dword s17, s[4:5], 0x38
	s_load_dwordx2 s[12:13], s[4:5], 0x0
	s_load_dwordx4 s[8:11], s[4:5], 0x28
	s_waitcnt lgkmcnt(0)
	s_bitcmp1_b32 s17, 8
	s_cselect_b32 s16, -1, 0
	s_ashr_i32 s7, s6, 31
	s_lshl_b64 s[14:15], s[6:7], 3
	s_add_u32 s12, s12, s14
	s_addc_u32 s13, s13, s15
	s_load_dwordx2 s[14:15], s[12:13], 0x0
	s_bfe_u32 s12, s17, 0x10008
	s_cmp_eq_u32 s12, 0
                                        ; implicit-def: $sgpr12_sgpr13
	s_cbranch_scc1 .LBB115_3
; %bb.2:
	s_clause 0x1
	s_load_dword s12, s[4:5], 0x20
	s_load_dwordx2 s[18:19], s[4:5], 0x18
	s_mul_i32 s13, s8, s7
	s_mul_hi_u32 s17, s8, s6
	s_mul_i32 s9, s9, s6
	s_add_i32 s13, s17, s13
	s_mul_i32 s8, s8, s6
	s_add_i32 s9, s13, s9
	s_lshl_b64 s[8:9], s[8:9], 2
	s_waitcnt lgkmcnt(0)
	s_ashr_i32 s13, s12, 31
	s_add_u32 s17, s18, s8
	s_addc_u32 s18, s19, s9
	s_lshl_b64 s[8:9], s[12:13], 2
	s_add_u32 s12, s17, s8
	s_addc_u32 s13, s18, s9
.LBB115_3:
	s_clause 0x1
	s_load_dwordx2 s[8:9], s[4:5], 0x8
	s_load_dword s17, s[4:5], 0x38
	v_lshlrev_b32_e32 v3, 3, v0
	s_waitcnt lgkmcnt(0)
	s_ashr_i32 s5, s8, 31
	s_mov_b32 s4, s8
	v_add3_u32 v4, s9, s9, v0
	s_lshl_b64 s[4:5], s[4:5], 3
	s_add_u32 s4, s14, s4
	s_addc_u32 s5, s15, s5
	v_add_co_u32 v9, s8, s4, v3
	v_add_co_ci_u32_e64 v10, null, s5, 0, s8
	s_mov_b32 s14, s9
	s_ashr_i32 s15, s9, 31
	v_ashrrev_i32_e32 v5, 31, v4
	flat_load_dwordx2 v[1:2], v[9:10]
	s_lshl_b64 s[14:15], s[14:15], 3
	s_bitcmp0_b32 s17, 0
	v_add_co_u32 v11, vcc_lo, v9, s14
	v_add_co_ci_u32_e64 v12, null, s15, v10, vcc_lo
	v_lshlrev_b64 v[5:6], 3, v[4:5]
	v_add_nc_u32_e32 v4, s9, v4
	s_waitcnt vmcnt(0) lgkmcnt(0)
	buffer_store_dword v2, off, s[0:3], 0 offset:4
	buffer_store_dword v1, off, s[0:3], 0
	flat_load_dwordx2 v[1:2], v[11:12]
	v_add_co_u32 v13, vcc_lo, s4, v5
	v_add_co_ci_u32_e64 v14, null, s5, v6, vcc_lo
	v_ashrrev_i32_e32 v5, 31, v4
	s_waitcnt vmcnt(0) lgkmcnt(0)
	buffer_store_dword v2, off, s[0:3], 0 offset:12
	buffer_store_dword v1, off, s[0:3], 0 offset:8
	flat_load_dwordx2 v[1:2], v[13:14]
	v_lshlrev_b64 v[5:6], 3, v[4:5]
	v_add_nc_u32_e32 v4, s9, v4
	s_waitcnt vmcnt(0) lgkmcnt(0)
	buffer_store_dword v2, off, s[0:3], 0 offset:20
	buffer_store_dword v1, off, s[0:3], 0 offset:16
	v_add_co_u32 v15, vcc_lo, s4, v5
	v_add_co_ci_u32_e64 v16, null, s5, v6, vcc_lo
	v_ashrrev_i32_e32 v5, 31, v4
	flat_load_dwordx2 v[1:2], v[15:16]
	s_waitcnt vmcnt(0) lgkmcnt(0)
	buffer_store_dword v2, off, s[0:3], 0 offset:28
	buffer_store_dword v1, off, s[0:3], 0 offset:24
	v_lshlrev_b64 v[5:6], 3, v[4:5]
	v_add_nc_u32_e32 v4, s9, v4
	v_add_co_u32 v17, vcc_lo, s4, v5
	v_add_co_ci_u32_e64 v18, null, s5, v6, vcc_lo
	v_ashrrev_i32_e32 v5, 31, v4
	flat_load_dwordx2 v[1:2], v[17:18]
	s_waitcnt vmcnt(0) lgkmcnt(0)
	buffer_store_dword v2, off, s[0:3], 0 offset:36
	buffer_store_dword v1, off, s[0:3], 0 offset:32
	v_lshlrev_b64 v[5:6], 3, v[4:5]
	v_add_nc_u32_e32 v4, s9, v4
	;; [unrolled: 9-line block ×47, first 2 shown]
	v_add_co_u32 v109, vcc_lo, s4, v5
	v_add_co_ci_u32_e64 v110, null, s5, v6, vcc_lo
	v_ashrrev_i32_e32 v5, 31, v4
	flat_load_dwordx2 v[1:2], v[109:110]
	s_waitcnt vmcnt(0) lgkmcnt(0)
	buffer_store_dword v2, off, s[0:3], 0 offset:404
	buffer_store_dword v1, off, s[0:3], 0 offset:400
	v_lshlrev_b64 v[4:5], 3, v[4:5]
	v_add_co_u32 v111, vcc_lo, s4, v4
	v_add_co_ci_u32_e64 v112, null, s5, v5, vcc_lo
	s_mov_b32 s5, -1
	flat_load_dwordx2 v[1:2], v[111:112]
	s_waitcnt vmcnt(0) lgkmcnt(0)
	buffer_store_dword v2, off, s[0:3], 0 offset:412
	buffer_store_dword v1, off, s[0:3], 0 offset:408
	s_cbranch_scc1 .LBB115_220
; %bb.4:
	v_cmp_eq_u32_e64 s4, 0, v0
	s_and_saveexec_b32 s5, s4
; %bb.5:
	v_mov_b32_e32 v1, 0
	ds_write_b32 v1, v1 offset:832
; %bb.6:
	s_or_b32 exec_lo, exec_lo, s5
	v_lshl_add_u32 v5, v0, 3, 0
	s_waitcnt lgkmcnt(0)
	s_waitcnt_vscnt null, 0x0
	s_barrier
	buffer_gl0_inv
	s_clause 0x1
	buffer_load_dword v1, v5, s[0:3], 0 offen
	buffer_load_dword v2, v5, s[0:3], 0 offen offset:4
	s_waitcnt vmcnt(1)
	v_cmp_eq_f32_e32 vcc_lo, 0, v1
	s_waitcnt vmcnt(0)
	v_cmp_eq_f32_e64 s5, 0, v2
	s_and_b32 s5, vcc_lo, s5
	s_and_saveexec_b32 s8, s5
	s_cbranch_execz .LBB115_10
; %bb.7:
	v_mov_b32_e32 v1, 0
	s_mov_b32 s9, 0
	ds_read_b32 v2, v1 offset:832
	s_waitcnt lgkmcnt(0)
	v_readfirstlane_b32 s5, v2
	v_add_nc_u32_e32 v2, 1, v0
	s_cmp_eq_u32 s5, 0
	v_cmp_gt_i32_e32 vcc_lo, s5, v2
	s_cselect_b32 s14, -1, 0
	s_or_b32 s14, s14, vcc_lo
	s_and_b32 exec_lo, exec_lo, s14
	s_cbranch_execz .LBB115_10
; %bb.8:
	v_mov_b32_e32 v4, s5
.LBB115_9:                              ; =>This Inner Loop Header: Depth=1
	ds_cmpst_rtn_b32 v4, v1, v4, v2 offset:832
	s_waitcnt lgkmcnt(0)
	v_cmp_ne_u32_e32 vcc_lo, 0, v4
	v_cmp_le_i32_e64 s5, v4, v2
	s_and_b32 s5, vcc_lo, s5
	s_and_b32 s5, exec_lo, s5
	s_or_b32 s9, s5, s9
	s_andn2_b32 exec_lo, exec_lo, s9
	s_cbranch_execnz .LBB115_9
.LBB115_10:
	s_or_b32 exec_lo, exec_lo, s8
	v_mov_b32_e32 v1, 0
	s_barrier
	buffer_gl0_inv
	ds_read_b32 v2, v1 offset:832
	s_and_saveexec_b32 s5, s4
	s_cbranch_execz .LBB115_12
; %bb.11:
	s_lshl_b64 s[8:9], s[6:7], 2
	s_add_u32 s8, s10, s8
	s_addc_u32 s9, s11, s9
	s_waitcnt lgkmcnt(0)
	global_store_dword v1, v2, s[8:9]
.LBB115_12:
	s_or_b32 exec_lo, exec_lo, s5
	s_waitcnt lgkmcnt(0)
	v_cmp_ne_u32_e32 vcc_lo, 0, v2
	s_mov_b32 s5, 0
	s_cbranch_vccnz .LBB115_220
; %bb.13:
	s_clause 0x1
	buffer_load_dword v2, v5, s[0:3], 0 offen
	buffer_load_dword v4, v5, s[0:3], 0 offen offset:4
                                        ; implicit-def: $vgpr7
                                        ; implicit-def: $vgpr6
                                        ; implicit-def: $vgpr1
	s_waitcnt vmcnt(0)
	v_cmp_ngt_f32_e64 s5, |v2|, |v4|
	s_and_saveexec_b32 s8, s5
	s_xor_b32 s5, exec_lo, s8
	s_cbranch_execz .LBB115_15
; %bb.14:
	v_div_scale_f32 v1, null, v4, v4, v2
	v_div_scale_f32 v8, vcc_lo, v2, v4, v2
	v_rcp_f32_e32 v6, v1
	v_fma_f32 v7, -v1, v6, 1.0
	v_fmac_f32_e32 v6, v7, v6
	v_mul_f32_e32 v7, v8, v6
	v_fma_f32 v113, -v1, v7, v8
	v_fmac_f32_e32 v7, v113, v6
	v_fma_f32 v1, -v1, v7, v8
	v_div_fmas_f32 v1, v1, v6, v7
	v_div_fixup_f32 v1, v1, v4, v2
	v_fmac_f32_e32 v4, v2, v1
	v_div_scale_f32 v2, null, v4, v4, 1.0
	v_rcp_f32_e32 v6, v2
	v_fma_f32 v7, -v2, v6, 1.0
	v_fmac_f32_e32 v6, v7, v6
	v_div_scale_f32 v7, vcc_lo, 1.0, v4, 1.0
	v_mul_f32_e32 v8, v7, v6
	v_fma_f32 v113, -v2, v8, v7
	v_fmac_f32_e32 v8, v113, v6
	v_fma_f32 v2, -v2, v8, v7
	v_div_fmas_f32 v2, v2, v6, v8
	v_div_fixup_f32 v2, v2, v4, 1.0
                                        ; implicit-def: $vgpr4
	v_mul_f32_e32 v7, v1, v2
	v_xor_b32_e32 v6, 0x80000000, v2
                                        ; implicit-def: $vgpr2
	v_xor_b32_e32 v1, 0x80000000, v7
.LBB115_15:
	s_andn2_saveexec_b32 s5, s5
	s_cbranch_execz .LBB115_17
; %bb.16:
	v_div_scale_f32 v1, null, v2, v2, v4
	v_div_scale_f32 v8, vcc_lo, v4, v2, v4
	v_rcp_f32_e32 v6, v1
	v_fma_f32 v7, -v1, v6, 1.0
	v_fmac_f32_e32 v6, v7, v6
	v_mul_f32_e32 v7, v8, v6
	v_fma_f32 v113, -v1, v7, v8
	v_fmac_f32_e32 v7, v113, v6
	v_fma_f32 v1, -v1, v7, v8
	v_div_fmas_f32 v1, v1, v6, v7
	v_div_fixup_f32 v6, v1, v2, v4
	v_fmac_f32_e32 v2, v4, v6
	v_div_scale_f32 v1, null, v2, v2, 1.0
	v_div_scale_f32 v8, vcc_lo, 1.0, v2, 1.0
	v_rcp_f32_e32 v4, v1
	v_fma_f32 v7, -v1, v4, 1.0
	v_fmac_f32_e32 v4, v7, v4
	v_mul_f32_e32 v7, v8, v4
	v_fma_f32 v113, -v1, v7, v8
	v_fmac_f32_e32 v7, v113, v4
	v_fma_f32 v1, -v1, v7, v8
	v_div_fmas_f32 v1, v1, v4, v7
	v_div_fixup_f32 v7, v1, v2, 1.0
	v_xor_b32_e32 v1, 0x80000000, v7
	v_mul_f32_e64 v6, v6, -v7
.LBB115_17:
	s_or_b32 exec_lo, exec_lo, s5
	buffer_store_dword v7, v5, s[0:3], 0 offen
	buffer_store_dword v6, v5, s[0:3], 0 offen offset:4
	s_clause 0x1
	buffer_load_dword v8, off, s[0:3], 0 offset:12
	buffer_load_dword v7, off, s[0:3], 0 offset:8
	v_xor_b32_e32 v2, 0x80000000, v6
	v_add_nc_u32_e32 v4, 0x1a0, v3
	s_waitcnt vmcnt(0)
	ds_write2_b64 v3, v[1:2], v[7:8] offset1:52
	s_waitcnt lgkmcnt(0)
	s_waitcnt_vscnt null, 0x0
	s_barrier
	buffer_gl0_inv
	s_and_saveexec_b32 s5, s4
	s_cbranch_execz .LBB115_19
; %bb.18:
	s_clause 0x1
	buffer_load_dword v8, v5, s[0:3], 0 offen offset:4
	buffer_load_dword v113, v5, s[0:3], 0 offen
	ds_read_b64 v[1:2], v4
	v_mov_b32_e32 v6, 0
	ds_read_b64 v[6:7], v6 offset:8
	s_waitcnt vmcnt(1) lgkmcnt(1)
	v_mul_f32_e32 v114, v1, v8
	v_mul_f32_e32 v8, v2, v8
	s_waitcnt vmcnt(0)
	v_fmac_f32_e32 v114, v2, v113
	v_fma_f32 v1, v1, v113, -v8
	v_add_f32_e32 v2, 0, v114
	v_add_f32_e32 v1, 0, v1
	s_waitcnt lgkmcnt(0)
	v_mul_f32_e32 v8, v2, v7
	v_mul_f32_e32 v7, v1, v7
	v_fma_f32 v1, v1, v6, -v8
	v_fmac_f32_e32 v7, v2, v6
	buffer_store_dword v1, off, s[0:3], 0 offset:8
	buffer_store_dword v7, off, s[0:3], 0 offset:12
.LBB115_19:
	s_or_b32 exec_lo, exec_lo, s5
	s_waitcnt_vscnt null, 0x0
	s_barrier
	buffer_gl0_inv
	s_clause 0x1
	buffer_load_dword v1, off, s[0:3], 0 offset:16
	buffer_load_dword v2, off, s[0:3], 0 offset:20
	s_mov_b32 s5, exec_lo
	s_waitcnt vmcnt(0)
	ds_write_b64 v4, v[1:2]
	s_waitcnt lgkmcnt(0)
	s_barrier
	buffer_gl0_inv
	v_cmpx_gt_u32_e32 2, v0
	s_cbranch_execz .LBB115_23
; %bb.20:
	s_clause 0x1
	buffer_load_dword v6, v5, s[0:3], 0 offen offset:4
	buffer_load_dword v5, v5, s[0:3], 0 offen
	ds_read_b64 v[1:2], v4
	s_waitcnt vmcnt(1) lgkmcnt(0)
	v_mul_f32_e32 v7, v2, v6
	v_mul_f32_e32 v6, v1, v6
	s_waitcnt vmcnt(0)
	v_fma_f32 v1, v1, v5, -v7
	v_fmac_f32_e32 v6, v2, v5
	v_add_f32_e32 v2, 0, v1
	v_add_f32_e32 v1, 0, v6
	s_and_saveexec_b32 s8, s4
	s_cbranch_execz .LBB115_22
; %bb.21:
	s_clause 0x1
	buffer_load_dword v7, off, s[0:3], 0 offset:12
	buffer_load_dword v8, off, s[0:3], 0 offset:8
	v_mov_b32_e32 v5, 0
	ds_read_b64 v[5:6], v5 offset:424
	s_waitcnt vmcnt(1) lgkmcnt(0)
	v_mul_f32_e32 v113, v5, v7
	v_mul_f32_e32 v7, v6, v7
	s_waitcnt vmcnt(0)
	v_fmac_f32_e32 v113, v6, v8
	v_fma_f32 v5, v5, v8, -v7
	v_add_f32_e32 v1, v1, v113
	v_add_f32_e32 v2, v2, v5
.LBB115_22:
	s_or_b32 exec_lo, exec_lo, s8
	v_mov_b32_e32 v5, 0
	ds_read_b64 v[5:6], v5 offset:16
	s_waitcnt lgkmcnt(0)
	v_mul_f32_e32 v7, v1, v6
	v_mul_f32_e32 v6, v2, v6
	v_fma_f32 v2, v2, v5, -v7
	v_fmac_f32_e32 v6, v1, v5
	buffer_store_dword v2, off, s[0:3], 0 offset:16
	buffer_store_dword v6, off, s[0:3], 0 offset:20
.LBB115_23:
	s_or_b32 exec_lo, exec_lo, s5
	s_waitcnt_vscnt null, 0x0
	s_barrier
	buffer_gl0_inv
	s_clause 0x1
	buffer_load_dword v5, off, s[0:3], 0 offset:24
	buffer_load_dword v6, off, s[0:3], 0 offset:28
	v_add_nc_u32_e32 v1, -1, v0
	s_mov_b32 s4, exec_lo
	s_waitcnt vmcnt(0)
	ds_write_b64 v4, v[5:6]
	s_waitcnt lgkmcnt(0)
	s_barrier
	buffer_gl0_inv
	v_cmpx_gt_u32_e32 3, v0
	s_cbranch_execz .LBB115_27
; %bb.24:
	v_add_nc_u32_e32 v5, -1, v0
	v_add_nc_u32_e32 v6, 0x1a0, v3
	v_mov_b32_e32 v7, v3
	v_mov_b32_e32 v2, 0
	;; [unrolled: 1-line block ×3, first 2 shown]
	s_mov_b32 s5, 0
	.p2align	6
.LBB115_25:                             ; =>This Inner Loop Header: Depth=1
	s_clause 0x1
	buffer_load_dword v115, v7, s[0:3], 0 offen offset:4
	buffer_load_dword v116, v7, s[0:3], 0 offen
	ds_read_b64 v[113:114], v6
	v_add_nc_u32_e32 v5, 1, v5
	v_add_nc_u32_e32 v6, 8, v6
	;; [unrolled: 1-line block ×3, first 2 shown]
	v_cmp_lt_u32_e32 vcc_lo, 1, v5
	s_or_b32 s5, vcc_lo, s5
	s_waitcnt vmcnt(1) lgkmcnt(0)
	v_mul_f32_e32 v117, v114, v115
	v_mul_f32_e32 v115, v113, v115
	s_waitcnt vmcnt(0)
	v_fma_f32 v113, v113, v116, -v117
	v_fmac_f32_e32 v115, v114, v116
	v_add_f32_e32 v8, v8, v113
	v_add_f32_e32 v2, v2, v115
	s_andn2_b32 exec_lo, exec_lo, s5
	s_cbranch_execnz .LBB115_25
; %bb.26:
	s_or_b32 exec_lo, exec_lo, s5
	v_mov_b32_e32 v5, 0
	ds_read_b64 v[5:6], v5 offset:24
	s_waitcnt lgkmcnt(0)
	v_mul_f32_e32 v7, v2, v6
	v_mul_f32_e32 v6, v8, v6
	v_fma_f32 v7, v8, v5, -v7
	v_fmac_f32_e32 v6, v2, v5
	buffer_store_dword v7, off, s[0:3], 0 offset:24
	buffer_store_dword v6, off, s[0:3], 0 offset:28
.LBB115_27:
	s_or_b32 exec_lo, exec_lo, s4
	s_waitcnt_vscnt null, 0x0
	s_barrier
	buffer_gl0_inv
	s_clause 0x1
	buffer_load_dword v5, off, s[0:3], 0 offset:32
	buffer_load_dword v6, off, s[0:3], 0 offset:36
	s_mov_b32 s4, exec_lo
	s_waitcnt vmcnt(0)
	ds_write_b64 v4, v[5:6]
	s_waitcnt lgkmcnt(0)
	s_barrier
	buffer_gl0_inv
	v_cmpx_gt_u32_e32 4, v0
	s_cbranch_execz .LBB115_31
; %bb.28:
	v_add_nc_u32_e32 v5, -1, v0
	v_add_nc_u32_e32 v6, 0x1a0, v3
	v_mov_b32_e32 v7, v3
	v_mov_b32_e32 v2, 0
	;; [unrolled: 1-line block ×3, first 2 shown]
	s_mov_b32 s5, 0
	.p2align	6
.LBB115_29:                             ; =>This Inner Loop Header: Depth=1
	s_clause 0x1
	buffer_load_dword v115, v7, s[0:3], 0 offen offset:4
	buffer_load_dword v116, v7, s[0:3], 0 offen
	ds_read_b64 v[113:114], v6
	v_add_nc_u32_e32 v5, 1, v5
	v_add_nc_u32_e32 v6, 8, v6
	;; [unrolled: 1-line block ×3, first 2 shown]
	v_cmp_lt_u32_e32 vcc_lo, 2, v5
	s_or_b32 s5, vcc_lo, s5
	s_waitcnt vmcnt(1) lgkmcnt(0)
	v_mul_f32_e32 v117, v114, v115
	v_mul_f32_e32 v115, v113, v115
	s_waitcnt vmcnt(0)
	v_fma_f32 v113, v113, v116, -v117
	v_fmac_f32_e32 v115, v114, v116
	v_add_f32_e32 v8, v8, v113
	v_add_f32_e32 v2, v2, v115
	s_andn2_b32 exec_lo, exec_lo, s5
	s_cbranch_execnz .LBB115_29
; %bb.30:
	s_or_b32 exec_lo, exec_lo, s5
	v_mov_b32_e32 v5, 0
	ds_read_b64 v[5:6], v5 offset:32
	s_waitcnt lgkmcnt(0)
	v_mul_f32_e32 v7, v2, v6
	v_mul_f32_e32 v6, v8, v6
	v_fma_f32 v7, v8, v5, -v7
	v_fmac_f32_e32 v6, v2, v5
	buffer_store_dword v7, off, s[0:3], 0 offset:32
	buffer_store_dword v6, off, s[0:3], 0 offset:36
.LBB115_31:
	s_or_b32 exec_lo, exec_lo, s4
	s_waitcnt_vscnt null, 0x0
	s_barrier
	buffer_gl0_inv
	s_clause 0x1
	buffer_load_dword v5, off, s[0:3], 0 offset:40
	buffer_load_dword v6, off, s[0:3], 0 offset:44
	s_mov_b32 s4, exec_lo
	s_waitcnt vmcnt(0)
	ds_write_b64 v4, v[5:6]
	s_waitcnt lgkmcnt(0)
	s_barrier
	buffer_gl0_inv
	v_cmpx_gt_u32_e32 5, v0
	s_cbranch_execz .LBB115_35
; %bb.32:
	v_add_nc_u32_e32 v5, -1, v0
	v_add_nc_u32_e32 v6, 0x1a0, v3
	v_mov_b32_e32 v7, v3
	v_mov_b32_e32 v2, 0
	v_mov_b32_e32 v8, 0
	s_mov_b32 s5, 0
	.p2align	6
.LBB115_33:                             ; =>This Inner Loop Header: Depth=1
	s_clause 0x1
	buffer_load_dword v115, v7, s[0:3], 0 offen offset:4
	buffer_load_dword v116, v7, s[0:3], 0 offen
	ds_read_b64 v[113:114], v6
	v_add_nc_u32_e32 v5, 1, v5
	v_add_nc_u32_e32 v6, 8, v6
	;; [unrolled: 1-line block ×3, first 2 shown]
	v_cmp_lt_u32_e32 vcc_lo, 3, v5
	s_or_b32 s5, vcc_lo, s5
	s_waitcnt vmcnt(1) lgkmcnt(0)
	v_mul_f32_e32 v117, v114, v115
	v_mul_f32_e32 v115, v113, v115
	s_waitcnt vmcnt(0)
	v_fma_f32 v113, v113, v116, -v117
	v_fmac_f32_e32 v115, v114, v116
	v_add_f32_e32 v8, v8, v113
	v_add_f32_e32 v2, v2, v115
	s_andn2_b32 exec_lo, exec_lo, s5
	s_cbranch_execnz .LBB115_33
; %bb.34:
	s_or_b32 exec_lo, exec_lo, s5
	v_mov_b32_e32 v5, 0
	ds_read_b64 v[5:6], v5 offset:40
	s_waitcnt lgkmcnt(0)
	v_mul_f32_e32 v7, v2, v6
	v_mul_f32_e32 v6, v8, v6
	v_fma_f32 v7, v8, v5, -v7
	v_fmac_f32_e32 v6, v2, v5
	buffer_store_dword v7, off, s[0:3], 0 offset:40
	buffer_store_dword v6, off, s[0:3], 0 offset:44
.LBB115_35:
	s_or_b32 exec_lo, exec_lo, s4
	s_waitcnt_vscnt null, 0x0
	s_barrier
	buffer_gl0_inv
	s_clause 0x1
	buffer_load_dword v5, off, s[0:3], 0 offset:48
	buffer_load_dword v6, off, s[0:3], 0 offset:52
	s_mov_b32 s4, exec_lo
	s_waitcnt vmcnt(0)
	ds_write_b64 v4, v[5:6]
	s_waitcnt lgkmcnt(0)
	s_barrier
	buffer_gl0_inv
	v_cmpx_gt_u32_e32 6, v0
	s_cbranch_execz .LBB115_39
; %bb.36:
	v_add_nc_u32_e32 v5, -1, v0
	v_add_nc_u32_e32 v6, 0x1a0, v3
	v_mov_b32_e32 v7, v3
	v_mov_b32_e32 v2, 0
	v_mov_b32_e32 v8, 0
	s_mov_b32 s5, 0
	.p2align	6
.LBB115_37:                             ; =>This Inner Loop Header: Depth=1
	s_clause 0x1
	buffer_load_dword v115, v7, s[0:3], 0 offen offset:4
	buffer_load_dword v116, v7, s[0:3], 0 offen
	ds_read_b64 v[113:114], v6
	v_add_nc_u32_e32 v5, 1, v5
	v_add_nc_u32_e32 v6, 8, v6
	;; [unrolled: 1-line block ×3, first 2 shown]
	v_cmp_lt_u32_e32 vcc_lo, 4, v5
	s_or_b32 s5, vcc_lo, s5
	s_waitcnt vmcnt(1) lgkmcnt(0)
	v_mul_f32_e32 v117, v114, v115
	v_mul_f32_e32 v115, v113, v115
	s_waitcnt vmcnt(0)
	v_fma_f32 v113, v113, v116, -v117
	v_fmac_f32_e32 v115, v114, v116
	v_add_f32_e32 v8, v8, v113
	v_add_f32_e32 v2, v2, v115
	s_andn2_b32 exec_lo, exec_lo, s5
	s_cbranch_execnz .LBB115_37
; %bb.38:
	s_or_b32 exec_lo, exec_lo, s5
	v_mov_b32_e32 v5, 0
	ds_read_b64 v[5:6], v5 offset:48
	s_waitcnt lgkmcnt(0)
	v_mul_f32_e32 v7, v2, v6
	v_mul_f32_e32 v6, v8, v6
	v_fma_f32 v7, v8, v5, -v7
	v_fmac_f32_e32 v6, v2, v5
	buffer_store_dword v7, off, s[0:3], 0 offset:48
	buffer_store_dword v6, off, s[0:3], 0 offset:52
.LBB115_39:
	s_or_b32 exec_lo, exec_lo, s4
	s_waitcnt_vscnt null, 0x0
	s_barrier
	buffer_gl0_inv
	s_clause 0x1
	buffer_load_dword v5, off, s[0:3], 0 offset:56
	buffer_load_dword v6, off, s[0:3], 0 offset:60
	s_mov_b32 s4, exec_lo
	s_waitcnt vmcnt(0)
	ds_write_b64 v4, v[5:6]
	s_waitcnt lgkmcnt(0)
	s_barrier
	buffer_gl0_inv
	v_cmpx_gt_u32_e32 7, v0
	s_cbranch_execz .LBB115_43
; %bb.40:
	v_add_nc_u32_e32 v5, -1, v0
	v_add_nc_u32_e32 v6, 0x1a0, v3
	v_mov_b32_e32 v7, v3
	v_mov_b32_e32 v2, 0
	;; [unrolled: 1-line block ×3, first 2 shown]
	s_mov_b32 s5, 0
	.p2align	6
.LBB115_41:                             ; =>This Inner Loop Header: Depth=1
	s_clause 0x1
	buffer_load_dword v115, v7, s[0:3], 0 offen offset:4
	buffer_load_dword v116, v7, s[0:3], 0 offen
	ds_read_b64 v[113:114], v6
	v_add_nc_u32_e32 v5, 1, v5
	v_add_nc_u32_e32 v6, 8, v6
	;; [unrolled: 1-line block ×3, first 2 shown]
	v_cmp_lt_u32_e32 vcc_lo, 5, v5
	s_or_b32 s5, vcc_lo, s5
	s_waitcnt vmcnt(1) lgkmcnt(0)
	v_mul_f32_e32 v117, v114, v115
	v_mul_f32_e32 v115, v113, v115
	s_waitcnt vmcnt(0)
	v_fma_f32 v113, v113, v116, -v117
	v_fmac_f32_e32 v115, v114, v116
	v_add_f32_e32 v8, v8, v113
	v_add_f32_e32 v2, v2, v115
	s_andn2_b32 exec_lo, exec_lo, s5
	s_cbranch_execnz .LBB115_41
; %bb.42:
	s_or_b32 exec_lo, exec_lo, s5
	v_mov_b32_e32 v5, 0
	ds_read_b64 v[5:6], v5 offset:56
	s_waitcnt lgkmcnt(0)
	v_mul_f32_e32 v7, v2, v6
	v_mul_f32_e32 v6, v8, v6
	v_fma_f32 v7, v8, v5, -v7
	v_fmac_f32_e32 v6, v2, v5
	buffer_store_dword v7, off, s[0:3], 0 offset:56
	buffer_store_dword v6, off, s[0:3], 0 offset:60
.LBB115_43:
	s_or_b32 exec_lo, exec_lo, s4
	s_waitcnt_vscnt null, 0x0
	s_barrier
	buffer_gl0_inv
	s_clause 0x1
	buffer_load_dword v5, off, s[0:3], 0 offset:64
	buffer_load_dword v6, off, s[0:3], 0 offset:68
	s_mov_b32 s4, exec_lo
	s_waitcnt vmcnt(0)
	ds_write_b64 v4, v[5:6]
	s_waitcnt lgkmcnt(0)
	s_barrier
	buffer_gl0_inv
	v_cmpx_gt_u32_e32 8, v0
	s_cbranch_execz .LBB115_47
; %bb.44:
	v_add_nc_u32_e32 v5, -1, v0
	v_add_nc_u32_e32 v6, 0x1a0, v3
	v_mov_b32_e32 v7, v3
	v_mov_b32_e32 v2, 0
	;; [unrolled: 1-line block ×3, first 2 shown]
	s_mov_b32 s5, 0
	.p2align	6
.LBB115_45:                             ; =>This Inner Loop Header: Depth=1
	s_clause 0x1
	buffer_load_dword v115, v7, s[0:3], 0 offen offset:4
	buffer_load_dword v116, v7, s[0:3], 0 offen
	ds_read_b64 v[113:114], v6
	v_add_nc_u32_e32 v5, 1, v5
	v_add_nc_u32_e32 v6, 8, v6
	;; [unrolled: 1-line block ×3, first 2 shown]
	v_cmp_lt_u32_e32 vcc_lo, 6, v5
	s_or_b32 s5, vcc_lo, s5
	s_waitcnt vmcnt(1) lgkmcnt(0)
	v_mul_f32_e32 v117, v114, v115
	v_mul_f32_e32 v115, v113, v115
	s_waitcnt vmcnt(0)
	v_fma_f32 v113, v113, v116, -v117
	v_fmac_f32_e32 v115, v114, v116
	v_add_f32_e32 v8, v8, v113
	v_add_f32_e32 v2, v2, v115
	s_andn2_b32 exec_lo, exec_lo, s5
	s_cbranch_execnz .LBB115_45
; %bb.46:
	s_or_b32 exec_lo, exec_lo, s5
	v_mov_b32_e32 v5, 0
	ds_read_b64 v[5:6], v5 offset:64
	s_waitcnt lgkmcnt(0)
	v_mul_f32_e32 v7, v2, v6
	v_mul_f32_e32 v6, v8, v6
	v_fma_f32 v7, v8, v5, -v7
	v_fmac_f32_e32 v6, v2, v5
	buffer_store_dword v7, off, s[0:3], 0 offset:64
	buffer_store_dword v6, off, s[0:3], 0 offset:68
.LBB115_47:
	s_or_b32 exec_lo, exec_lo, s4
	s_waitcnt_vscnt null, 0x0
	s_barrier
	buffer_gl0_inv
	s_clause 0x1
	buffer_load_dword v5, off, s[0:3], 0 offset:72
	buffer_load_dword v6, off, s[0:3], 0 offset:76
	s_mov_b32 s4, exec_lo
	s_waitcnt vmcnt(0)
	ds_write_b64 v4, v[5:6]
	s_waitcnt lgkmcnt(0)
	s_barrier
	buffer_gl0_inv
	v_cmpx_gt_u32_e32 9, v0
	s_cbranch_execz .LBB115_51
; %bb.48:
	v_add_nc_u32_e32 v5, -1, v0
	v_add_nc_u32_e32 v6, 0x1a0, v3
	v_mov_b32_e32 v7, v3
	v_mov_b32_e32 v2, 0
	;; [unrolled: 1-line block ×3, first 2 shown]
	s_mov_b32 s5, 0
	.p2align	6
.LBB115_49:                             ; =>This Inner Loop Header: Depth=1
	s_clause 0x1
	buffer_load_dword v115, v7, s[0:3], 0 offen offset:4
	buffer_load_dword v116, v7, s[0:3], 0 offen
	ds_read_b64 v[113:114], v6
	v_add_nc_u32_e32 v5, 1, v5
	v_add_nc_u32_e32 v6, 8, v6
	;; [unrolled: 1-line block ×3, first 2 shown]
	v_cmp_lt_u32_e32 vcc_lo, 7, v5
	s_or_b32 s5, vcc_lo, s5
	s_waitcnt vmcnt(1) lgkmcnt(0)
	v_mul_f32_e32 v117, v114, v115
	v_mul_f32_e32 v115, v113, v115
	s_waitcnt vmcnt(0)
	v_fma_f32 v113, v113, v116, -v117
	v_fmac_f32_e32 v115, v114, v116
	v_add_f32_e32 v8, v8, v113
	v_add_f32_e32 v2, v2, v115
	s_andn2_b32 exec_lo, exec_lo, s5
	s_cbranch_execnz .LBB115_49
; %bb.50:
	s_or_b32 exec_lo, exec_lo, s5
	v_mov_b32_e32 v5, 0
	ds_read_b64 v[5:6], v5 offset:72
	s_waitcnt lgkmcnt(0)
	v_mul_f32_e32 v7, v2, v6
	v_mul_f32_e32 v6, v8, v6
	v_fma_f32 v7, v8, v5, -v7
	v_fmac_f32_e32 v6, v2, v5
	buffer_store_dword v7, off, s[0:3], 0 offset:72
	buffer_store_dword v6, off, s[0:3], 0 offset:76
.LBB115_51:
	s_or_b32 exec_lo, exec_lo, s4
	s_waitcnt_vscnt null, 0x0
	s_barrier
	buffer_gl0_inv
	s_clause 0x1
	buffer_load_dword v5, off, s[0:3], 0 offset:80
	buffer_load_dword v6, off, s[0:3], 0 offset:84
	s_mov_b32 s4, exec_lo
	s_waitcnt vmcnt(0)
	ds_write_b64 v4, v[5:6]
	s_waitcnt lgkmcnt(0)
	s_barrier
	buffer_gl0_inv
	v_cmpx_gt_u32_e32 10, v0
	s_cbranch_execz .LBB115_55
; %bb.52:
	v_add_nc_u32_e32 v5, -1, v0
	v_add_nc_u32_e32 v6, 0x1a0, v3
	v_mov_b32_e32 v7, v3
	v_mov_b32_e32 v2, 0
	;; [unrolled: 1-line block ×3, first 2 shown]
	s_mov_b32 s5, 0
	.p2align	6
.LBB115_53:                             ; =>This Inner Loop Header: Depth=1
	s_clause 0x1
	buffer_load_dword v115, v7, s[0:3], 0 offen offset:4
	buffer_load_dword v116, v7, s[0:3], 0 offen
	ds_read_b64 v[113:114], v6
	v_add_nc_u32_e32 v5, 1, v5
	v_add_nc_u32_e32 v6, 8, v6
	;; [unrolled: 1-line block ×3, first 2 shown]
	v_cmp_lt_u32_e32 vcc_lo, 8, v5
	s_or_b32 s5, vcc_lo, s5
	s_waitcnt vmcnt(1) lgkmcnt(0)
	v_mul_f32_e32 v117, v114, v115
	v_mul_f32_e32 v115, v113, v115
	s_waitcnt vmcnt(0)
	v_fma_f32 v113, v113, v116, -v117
	v_fmac_f32_e32 v115, v114, v116
	v_add_f32_e32 v8, v8, v113
	v_add_f32_e32 v2, v2, v115
	s_andn2_b32 exec_lo, exec_lo, s5
	s_cbranch_execnz .LBB115_53
; %bb.54:
	s_or_b32 exec_lo, exec_lo, s5
	v_mov_b32_e32 v5, 0
	ds_read_b64 v[5:6], v5 offset:80
	s_waitcnt lgkmcnt(0)
	v_mul_f32_e32 v7, v2, v6
	v_mul_f32_e32 v6, v8, v6
	v_fma_f32 v7, v8, v5, -v7
	v_fmac_f32_e32 v6, v2, v5
	buffer_store_dword v7, off, s[0:3], 0 offset:80
	buffer_store_dword v6, off, s[0:3], 0 offset:84
.LBB115_55:
	s_or_b32 exec_lo, exec_lo, s4
	s_waitcnt_vscnt null, 0x0
	s_barrier
	buffer_gl0_inv
	s_clause 0x1
	buffer_load_dword v5, off, s[0:3], 0 offset:88
	buffer_load_dword v6, off, s[0:3], 0 offset:92
	s_mov_b32 s4, exec_lo
	s_waitcnt vmcnt(0)
	ds_write_b64 v4, v[5:6]
	s_waitcnt lgkmcnt(0)
	s_barrier
	buffer_gl0_inv
	v_cmpx_gt_u32_e32 11, v0
	s_cbranch_execz .LBB115_59
; %bb.56:
	v_add_nc_u32_e32 v5, -1, v0
	v_add_nc_u32_e32 v6, 0x1a0, v3
	v_mov_b32_e32 v7, v3
	v_mov_b32_e32 v2, 0
	;; [unrolled: 1-line block ×3, first 2 shown]
	s_mov_b32 s5, 0
	.p2align	6
.LBB115_57:                             ; =>This Inner Loop Header: Depth=1
	s_clause 0x1
	buffer_load_dword v115, v7, s[0:3], 0 offen offset:4
	buffer_load_dword v116, v7, s[0:3], 0 offen
	ds_read_b64 v[113:114], v6
	v_add_nc_u32_e32 v5, 1, v5
	v_add_nc_u32_e32 v6, 8, v6
	;; [unrolled: 1-line block ×3, first 2 shown]
	v_cmp_lt_u32_e32 vcc_lo, 9, v5
	s_or_b32 s5, vcc_lo, s5
	s_waitcnt vmcnt(1) lgkmcnt(0)
	v_mul_f32_e32 v117, v114, v115
	v_mul_f32_e32 v115, v113, v115
	s_waitcnt vmcnt(0)
	v_fma_f32 v113, v113, v116, -v117
	v_fmac_f32_e32 v115, v114, v116
	v_add_f32_e32 v8, v8, v113
	v_add_f32_e32 v2, v2, v115
	s_andn2_b32 exec_lo, exec_lo, s5
	s_cbranch_execnz .LBB115_57
; %bb.58:
	s_or_b32 exec_lo, exec_lo, s5
	v_mov_b32_e32 v5, 0
	ds_read_b64 v[5:6], v5 offset:88
	s_waitcnt lgkmcnt(0)
	v_mul_f32_e32 v7, v2, v6
	v_mul_f32_e32 v6, v8, v6
	v_fma_f32 v7, v8, v5, -v7
	v_fmac_f32_e32 v6, v2, v5
	buffer_store_dword v7, off, s[0:3], 0 offset:88
	buffer_store_dword v6, off, s[0:3], 0 offset:92
.LBB115_59:
	s_or_b32 exec_lo, exec_lo, s4
	s_waitcnt_vscnt null, 0x0
	s_barrier
	buffer_gl0_inv
	s_clause 0x1
	buffer_load_dword v5, off, s[0:3], 0 offset:96
	buffer_load_dword v6, off, s[0:3], 0 offset:100
	s_mov_b32 s4, exec_lo
	s_waitcnt vmcnt(0)
	ds_write_b64 v4, v[5:6]
	s_waitcnt lgkmcnt(0)
	s_barrier
	buffer_gl0_inv
	v_cmpx_gt_u32_e32 12, v0
	s_cbranch_execz .LBB115_63
; %bb.60:
	v_add_nc_u32_e32 v5, -1, v0
	v_add_nc_u32_e32 v6, 0x1a0, v3
	v_mov_b32_e32 v7, v3
	v_mov_b32_e32 v2, 0
	;; [unrolled: 1-line block ×3, first 2 shown]
	s_mov_b32 s5, 0
	.p2align	6
.LBB115_61:                             ; =>This Inner Loop Header: Depth=1
	s_clause 0x1
	buffer_load_dword v115, v7, s[0:3], 0 offen offset:4
	buffer_load_dword v116, v7, s[0:3], 0 offen
	ds_read_b64 v[113:114], v6
	v_add_nc_u32_e32 v5, 1, v5
	v_add_nc_u32_e32 v6, 8, v6
	;; [unrolled: 1-line block ×3, first 2 shown]
	v_cmp_lt_u32_e32 vcc_lo, 10, v5
	s_or_b32 s5, vcc_lo, s5
	s_waitcnt vmcnt(1) lgkmcnt(0)
	v_mul_f32_e32 v117, v114, v115
	v_mul_f32_e32 v115, v113, v115
	s_waitcnt vmcnt(0)
	v_fma_f32 v113, v113, v116, -v117
	v_fmac_f32_e32 v115, v114, v116
	v_add_f32_e32 v8, v8, v113
	v_add_f32_e32 v2, v2, v115
	s_andn2_b32 exec_lo, exec_lo, s5
	s_cbranch_execnz .LBB115_61
; %bb.62:
	s_or_b32 exec_lo, exec_lo, s5
	v_mov_b32_e32 v5, 0
	ds_read_b64 v[5:6], v5 offset:96
	s_waitcnt lgkmcnt(0)
	v_mul_f32_e32 v7, v2, v6
	v_mul_f32_e32 v6, v8, v6
	v_fma_f32 v7, v8, v5, -v7
	v_fmac_f32_e32 v6, v2, v5
	buffer_store_dword v7, off, s[0:3], 0 offset:96
	buffer_store_dword v6, off, s[0:3], 0 offset:100
.LBB115_63:
	s_or_b32 exec_lo, exec_lo, s4
	s_waitcnt_vscnt null, 0x0
	s_barrier
	buffer_gl0_inv
	s_clause 0x1
	buffer_load_dword v5, off, s[0:3], 0 offset:104
	buffer_load_dword v6, off, s[0:3], 0 offset:108
	s_mov_b32 s4, exec_lo
	s_waitcnt vmcnt(0)
	ds_write_b64 v4, v[5:6]
	s_waitcnt lgkmcnt(0)
	s_barrier
	buffer_gl0_inv
	v_cmpx_gt_u32_e32 13, v0
	s_cbranch_execz .LBB115_67
; %bb.64:
	v_add_nc_u32_e32 v5, -1, v0
	v_add_nc_u32_e32 v6, 0x1a0, v3
	v_mov_b32_e32 v7, v3
	v_mov_b32_e32 v2, 0
	;; [unrolled: 1-line block ×3, first 2 shown]
	s_mov_b32 s5, 0
	.p2align	6
.LBB115_65:                             ; =>This Inner Loop Header: Depth=1
	s_clause 0x1
	buffer_load_dword v115, v7, s[0:3], 0 offen offset:4
	buffer_load_dword v116, v7, s[0:3], 0 offen
	ds_read_b64 v[113:114], v6
	v_add_nc_u32_e32 v5, 1, v5
	v_add_nc_u32_e32 v6, 8, v6
	;; [unrolled: 1-line block ×3, first 2 shown]
	v_cmp_lt_u32_e32 vcc_lo, 11, v5
	s_or_b32 s5, vcc_lo, s5
	s_waitcnt vmcnt(1) lgkmcnt(0)
	v_mul_f32_e32 v117, v114, v115
	v_mul_f32_e32 v115, v113, v115
	s_waitcnt vmcnt(0)
	v_fma_f32 v113, v113, v116, -v117
	v_fmac_f32_e32 v115, v114, v116
	v_add_f32_e32 v8, v8, v113
	v_add_f32_e32 v2, v2, v115
	s_andn2_b32 exec_lo, exec_lo, s5
	s_cbranch_execnz .LBB115_65
; %bb.66:
	s_or_b32 exec_lo, exec_lo, s5
	v_mov_b32_e32 v5, 0
	ds_read_b64 v[5:6], v5 offset:104
	s_waitcnt lgkmcnt(0)
	v_mul_f32_e32 v7, v2, v6
	v_mul_f32_e32 v6, v8, v6
	v_fma_f32 v7, v8, v5, -v7
	v_fmac_f32_e32 v6, v2, v5
	buffer_store_dword v7, off, s[0:3], 0 offset:104
	buffer_store_dword v6, off, s[0:3], 0 offset:108
.LBB115_67:
	s_or_b32 exec_lo, exec_lo, s4
	s_waitcnt_vscnt null, 0x0
	s_barrier
	buffer_gl0_inv
	s_clause 0x1
	buffer_load_dword v5, off, s[0:3], 0 offset:112
	buffer_load_dword v6, off, s[0:3], 0 offset:116
	s_mov_b32 s4, exec_lo
	s_waitcnt vmcnt(0)
	ds_write_b64 v4, v[5:6]
	s_waitcnt lgkmcnt(0)
	s_barrier
	buffer_gl0_inv
	v_cmpx_gt_u32_e32 14, v0
	s_cbranch_execz .LBB115_71
; %bb.68:
	v_add_nc_u32_e32 v5, -1, v0
	v_add_nc_u32_e32 v6, 0x1a0, v3
	v_mov_b32_e32 v7, v3
	v_mov_b32_e32 v2, 0
	v_mov_b32_e32 v8, 0
	s_mov_b32 s5, 0
	.p2align	6
.LBB115_69:                             ; =>This Inner Loop Header: Depth=1
	s_clause 0x1
	buffer_load_dword v115, v7, s[0:3], 0 offen offset:4
	buffer_load_dword v116, v7, s[0:3], 0 offen
	ds_read_b64 v[113:114], v6
	v_add_nc_u32_e32 v5, 1, v5
	v_add_nc_u32_e32 v6, 8, v6
	;; [unrolled: 1-line block ×3, first 2 shown]
	v_cmp_lt_u32_e32 vcc_lo, 12, v5
	s_or_b32 s5, vcc_lo, s5
	s_waitcnt vmcnt(1) lgkmcnt(0)
	v_mul_f32_e32 v117, v114, v115
	v_mul_f32_e32 v115, v113, v115
	s_waitcnt vmcnt(0)
	v_fma_f32 v113, v113, v116, -v117
	v_fmac_f32_e32 v115, v114, v116
	v_add_f32_e32 v8, v8, v113
	v_add_f32_e32 v2, v2, v115
	s_andn2_b32 exec_lo, exec_lo, s5
	s_cbranch_execnz .LBB115_69
; %bb.70:
	s_or_b32 exec_lo, exec_lo, s5
	v_mov_b32_e32 v5, 0
	ds_read_b64 v[5:6], v5 offset:112
	s_waitcnt lgkmcnt(0)
	v_mul_f32_e32 v7, v2, v6
	v_mul_f32_e32 v6, v8, v6
	v_fma_f32 v7, v8, v5, -v7
	v_fmac_f32_e32 v6, v2, v5
	buffer_store_dword v7, off, s[0:3], 0 offset:112
	buffer_store_dword v6, off, s[0:3], 0 offset:116
.LBB115_71:
	s_or_b32 exec_lo, exec_lo, s4
	s_waitcnt_vscnt null, 0x0
	s_barrier
	buffer_gl0_inv
	s_clause 0x1
	buffer_load_dword v5, off, s[0:3], 0 offset:120
	buffer_load_dword v6, off, s[0:3], 0 offset:124
	s_mov_b32 s4, exec_lo
	s_waitcnt vmcnt(0)
	ds_write_b64 v4, v[5:6]
	s_waitcnt lgkmcnt(0)
	s_barrier
	buffer_gl0_inv
	v_cmpx_gt_u32_e32 15, v0
	s_cbranch_execz .LBB115_75
; %bb.72:
	v_add_nc_u32_e32 v5, -1, v0
	v_add_nc_u32_e32 v6, 0x1a0, v3
	v_mov_b32_e32 v7, v3
	v_mov_b32_e32 v2, 0
	;; [unrolled: 1-line block ×3, first 2 shown]
	s_mov_b32 s5, 0
	.p2align	6
.LBB115_73:                             ; =>This Inner Loop Header: Depth=1
	s_clause 0x1
	buffer_load_dword v115, v7, s[0:3], 0 offen offset:4
	buffer_load_dword v116, v7, s[0:3], 0 offen
	ds_read_b64 v[113:114], v6
	v_add_nc_u32_e32 v5, 1, v5
	v_add_nc_u32_e32 v6, 8, v6
	;; [unrolled: 1-line block ×3, first 2 shown]
	v_cmp_lt_u32_e32 vcc_lo, 13, v5
	s_or_b32 s5, vcc_lo, s5
	s_waitcnt vmcnt(1) lgkmcnt(0)
	v_mul_f32_e32 v117, v114, v115
	v_mul_f32_e32 v115, v113, v115
	s_waitcnt vmcnt(0)
	v_fma_f32 v113, v113, v116, -v117
	v_fmac_f32_e32 v115, v114, v116
	v_add_f32_e32 v8, v8, v113
	v_add_f32_e32 v2, v2, v115
	s_andn2_b32 exec_lo, exec_lo, s5
	s_cbranch_execnz .LBB115_73
; %bb.74:
	s_or_b32 exec_lo, exec_lo, s5
	v_mov_b32_e32 v5, 0
	ds_read_b64 v[5:6], v5 offset:120
	s_waitcnt lgkmcnt(0)
	v_mul_f32_e32 v7, v2, v6
	v_mul_f32_e32 v6, v8, v6
	v_fma_f32 v7, v8, v5, -v7
	v_fmac_f32_e32 v6, v2, v5
	buffer_store_dword v7, off, s[0:3], 0 offset:120
	buffer_store_dword v6, off, s[0:3], 0 offset:124
.LBB115_75:
	s_or_b32 exec_lo, exec_lo, s4
	s_waitcnt_vscnt null, 0x0
	s_barrier
	buffer_gl0_inv
	s_clause 0x1
	buffer_load_dword v5, off, s[0:3], 0 offset:128
	buffer_load_dword v6, off, s[0:3], 0 offset:132
	s_mov_b32 s4, exec_lo
	s_waitcnt vmcnt(0)
	ds_write_b64 v4, v[5:6]
	s_waitcnt lgkmcnt(0)
	s_barrier
	buffer_gl0_inv
	v_cmpx_gt_u32_e32 16, v0
	s_cbranch_execz .LBB115_79
; %bb.76:
	v_add_nc_u32_e32 v5, -1, v0
	v_add_nc_u32_e32 v6, 0x1a0, v3
	v_mov_b32_e32 v7, v3
	v_mov_b32_e32 v2, 0
	;; [unrolled: 1-line block ×3, first 2 shown]
	s_mov_b32 s5, 0
	.p2align	6
.LBB115_77:                             ; =>This Inner Loop Header: Depth=1
	s_clause 0x1
	buffer_load_dword v115, v7, s[0:3], 0 offen offset:4
	buffer_load_dword v116, v7, s[0:3], 0 offen
	ds_read_b64 v[113:114], v6
	v_add_nc_u32_e32 v5, 1, v5
	v_add_nc_u32_e32 v6, 8, v6
	;; [unrolled: 1-line block ×3, first 2 shown]
	v_cmp_lt_u32_e32 vcc_lo, 14, v5
	s_or_b32 s5, vcc_lo, s5
	s_waitcnt vmcnt(1) lgkmcnt(0)
	v_mul_f32_e32 v117, v114, v115
	v_mul_f32_e32 v115, v113, v115
	s_waitcnt vmcnt(0)
	v_fma_f32 v113, v113, v116, -v117
	v_fmac_f32_e32 v115, v114, v116
	v_add_f32_e32 v8, v8, v113
	v_add_f32_e32 v2, v2, v115
	s_andn2_b32 exec_lo, exec_lo, s5
	s_cbranch_execnz .LBB115_77
; %bb.78:
	s_or_b32 exec_lo, exec_lo, s5
	v_mov_b32_e32 v5, 0
	ds_read_b64 v[5:6], v5 offset:128
	s_waitcnt lgkmcnt(0)
	v_mul_f32_e32 v7, v2, v6
	v_mul_f32_e32 v6, v8, v6
	v_fma_f32 v7, v8, v5, -v7
	v_fmac_f32_e32 v6, v2, v5
	buffer_store_dword v7, off, s[0:3], 0 offset:128
	buffer_store_dword v6, off, s[0:3], 0 offset:132
.LBB115_79:
	s_or_b32 exec_lo, exec_lo, s4
	s_waitcnt_vscnt null, 0x0
	s_barrier
	buffer_gl0_inv
	s_clause 0x1
	buffer_load_dword v5, off, s[0:3], 0 offset:136
	buffer_load_dword v6, off, s[0:3], 0 offset:140
	s_mov_b32 s4, exec_lo
	s_waitcnt vmcnt(0)
	ds_write_b64 v4, v[5:6]
	s_waitcnt lgkmcnt(0)
	s_barrier
	buffer_gl0_inv
	v_cmpx_gt_u32_e32 17, v0
	s_cbranch_execz .LBB115_83
; %bb.80:
	v_add_nc_u32_e32 v5, -1, v0
	v_add_nc_u32_e32 v6, 0x1a0, v3
	v_mov_b32_e32 v7, v3
	v_mov_b32_e32 v2, 0
	v_mov_b32_e32 v8, 0
	s_mov_b32 s5, 0
	.p2align	6
.LBB115_81:                             ; =>This Inner Loop Header: Depth=1
	s_clause 0x1
	buffer_load_dword v115, v7, s[0:3], 0 offen offset:4
	buffer_load_dword v116, v7, s[0:3], 0 offen
	ds_read_b64 v[113:114], v6
	v_add_nc_u32_e32 v5, 1, v5
	v_add_nc_u32_e32 v6, 8, v6
	v_add_nc_u32_e32 v7, 8, v7
	v_cmp_lt_u32_e32 vcc_lo, 15, v5
	s_or_b32 s5, vcc_lo, s5
	s_waitcnt vmcnt(1) lgkmcnt(0)
	v_mul_f32_e32 v117, v114, v115
	v_mul_f32_e32 v115, v113, v115
	s_waitcnt vmcnt(0)
	v_fma_f32 v113, v113, v116, -v117
	v_fmac_f32_e32 v115, v114, v116
	v_add_f32_e32 v8, v8, v113
	v_add_f32_e32 v2, v2, v115
	s_andn2_b32 exec_lo, exec_lo, s5
	s_cbranch_execnz .LBB115_81
; %bb.82:
	s_or_b32 exec_lo, exec_lo, s5
	v_mov_b32_e32 v5, 0
	ds_read_b64 v[5:6], v5 offset:136
	s_waitcnt lgkmcnt(0)
	v_mul_f32_e32 v7, v2, v6
	v_mul_f32_e32 v6, v8, v6
	v_fma_f32 v7, v8, v5, -v7
	v_fmac_f32_e32 v6, v2, v5
	buffer_store_dword v7, off, s[0:3], 0 offset:136
	buffer_store_dword v6, off, s[0:3], 0 offset:140
.LBB115_83:
	s_or_b32 exec_lo, exec_lo, s4
	s_waitcnt_vscnt null, 0x0
	s_barrier
	buffer_gl0_inv
	s_clause 0x1
	buffer_load_dword v5, off, s[0:3], 0 offset:144
	buffer_load_dword v6, off, s[0:3], 0 offset:148
	s_mov_b32 s4, exec_lo
	s_waitcnt vmcnt(0)
	ds_write_b64 v4, v[5:6]
	s_waitcnt lgkmcnt(0)
	s_barrier
	buffer_gl0_inv
	v_cmpx_gt_u32_e32 18, v0
	s_cbranch_execz .LBB115_87
; %bb.84:
	v_add_nc_u32_e32 v5, -1, v0
	v_add_nc_u32_e32 v6, 0x1a0, v3
	v_mov_b32_e32 v7, v3
	v_mov_b32_e32 v2, 0
	;; [unrolled: 1-line block ×3, first 2 shown]
	s_mov_b32 s5, 0
	.p2align	6
.LBB115_85:                             ; =>This Inner Loop Header: Depth=1
	s_clause 0x1
	buffer_load_dword v115, v7, s[0:3], 0 offen offset:4
	buffer_load_dword v116, v7, s[0:3], 0 offen
	ds_read_b64 v[113:114], v6
	v_add_nc_u32_e32 v5, 1, v5
	v_add_nc_u32_e32 v6, 8, v6
	;; [unrolled: 1-line block ×3, first 2 shown]
	v_cmp_lt_u32_e32 vcc_lo, 16, v5
	s_or_b32 s5, vcc_lo, s5
	s_waitcnt vmcnt(1) lgkmcnt(0)
	v_mul_f32_e32 v117, v114, v115
	v_mul_f32_e32 v115, v113, v115
	s_waitcnt vmcnt(0)
	v_fma_f32 v113, v113, v116, -v117
	v_fmac_f32_e32 v115, v114, v116
	v_add_f32_e32 v8, v8, v113
	v_add_f32_e32 v2, v2, v115
	s_andn2_b32 exec_lo, exec_lo, s5
	s_cbranch_execnz .LBB115_85
; %bb.86:
	s_or_b32 exec_lo, exec_lo, s5
	v_mov_b32_e32 v5, 0
	ds_read_b64 v[5:6], v5 offset:144
	s_waitcnt lgkmcnt(0)
	v_mul_f32_e32 v7, v2, v6
	v_mul_f32_e32 v6, v8, v6
	v_fma_f32 v7, v8, v5, -v7
	v_fmac_f32_e32 v6, v2, v5
	buffer_store_dword v7, off, s[0:3], 0 offset:144
	buffer_store_dword v6, off, s[0:3], 0 offset:148
.LBB115_87:
	s_or_b32 exec_lo, exec_lo, s4
	s_waitcnt_vscnt null, 0x0
	s_barrier
	buffer_gl0_inv
	s_clause 0x1
	buffer_load_dword v5, off, s[0:3], 0 offset:152
	buffer_load_dword v6, off, s[0:3], 0 offset:156
	s_mov_b32 s4, exec_lo
	s_waitcnt vmcnt(0)
	ds_write_b64 v4, v[5:6]
	s_waitcnt lgkmcnt(0)
	s_barrier
	buffer_gl0_inv
	v_cmpx_gt_u32_e32 19, v0
	s_cbranch_execz .LBB115_91
; %bb.88:
	v_add_nc_u32_e32 v5, -1, v0
	v_add_nc_u32_e32 v6, 0x1a0, v3
	v_mov_b32_e32 v7, v3
	v_mov_b32_e32 v2, 0
	;; [unrolled: 1-line block ×3, first 2 shown]
	s_mov_b32 s5, 0
	.p2align	6
.LBB115_89:                             ; =>This Inner Loop Header: Depth=1
	s_clause 0x1
	buffer_load_dword v115, v7, s[0:3], 0 offen offset:4
	buffer_load_dword v116, v7, s[0:3], 0 offen
	ds_read_b64 v[113:114], v6
	v_add_nc_u32_e32 v5, 1, v5
	v_add_nc_u32_e32 v6, 8, v6
	;; [unrolled: 1-line block ×3, first 2 shown]
	v_cmp_lt_u32_e32 vcc_lo, 17, v5
	s_or_b32 s5, vcc_lo, s5
	s_waitcnt vmcnt(1) lgkmcnt(0)
	v_mul_f32_e32 v117, v114, v115
	v_mul_f32_e32 v115, v113, v115
	s_waitcnt vmcnt(0)
	v_fma_f32 v113, v113, v116, -v117
	v_fmac_f32_e32 v115, v114, v116
	v_add_f32_e32 v8, v8, v113
	v_add_f32_e32 v2, v2, v115
	s_andn2_b32 exec_lo, exec_lo, s5
	s_cbranch_execnz .LBB115_89
; %bb.90:
	s_or_b32 exec_lo, exec_lo, s5
	v_mov_b32_e32 v5, 0
	ds_read_b64 v[5:6], v5 offset:152
	s_waitcnt lgkmcnt(0)
	v_mul_f32_e32 v7, v2, v6
	v_mul_f32_e32 v6, v8, v6
	v_fma_f32 v7, v8, v5, -v7
	v_fmac_f32_e32 v6, v2, v5
	buffer_store_dword v7, off, s[0:3], 0 offset:152
	buffer_store_dword v6, off, s[0:3], 0 offset:156
.LBB115_91:
	s_or_b32 exec_lo, exec_lo, s4
	s_waitcnt_vscnt null, 0x0
	s_barrier
	buffer_gl0_inv
	s_clause 0x1
	buffer_load_dword v5, off, s[0:3], 0 offset:160
	buffer_load_dword v6, off, s[0:3], 0 offset:164
	s_mov_b32 s4, exec_lo
	s_waitcnt vmcnt(0)
	ds_write_b64 v4, v[5:6]
	s_waitcnt lgkmcnt(0)
	s_barrier
	buffer_gl0_inv
	v_cmpx_gt_u32_e32 20, v0
	s_cbranch_execz .LBB115_95
; %bb.92:
	v_add_nc_u32_e32 v5, -1, v0
	v_add_nc_u32_e32 v6, 0x1a0, v3
	v_mov_b32_e32 v7, v3
	v_mov_b32_e32 v2, 0
	;; [unrolled: 1-line block ×3, first 2 shown]
	s_mov_b32 s5, 0
	.p2align	6
.LBB115_93:                             ; =>This Inner Loop Header: Depth=1
	s_clause 0x1
	buffer_load_dword v115, v7, s[0:3], 0 offen offset:4
	buffer_load_dword v116, v7, s[0:3], 0 offen
	ds_read_b64 v[113:114], v6
	v_add_nc_u32_e32 v5, 1, v5
	v_add_nc_u32_e32 v6, 8, v6
	;; [unrolled: 1-line block ×3, first 2 shown]
	v_cmp_lt_u32_e32 vcc_lo, 18, v5
	s_or_b32 s5, vcc_lo, s5
	s_waitcnt vmcnt(1) lgkmcnt(0)
	v_mul_f32_e32 v117, v114, v115
	v_mul_f32_e32 v115, v113, v115
	s_waitcnt vmcnt(0)
	v_fma_f32 v113, v113, v116, -v117
	v_fmac_f32_e32 v115, v114, v116
	v_add_f32_e32 v8, v8, v113
	v_add_f32_e32 v2, v2, v115
	s_andn2_b32 exec_lo, exec_lo, s5
	s_cbranch_execnz .LBB115_93
; %bb.94:
	s_or_b32 exec_lo, exec_lo, s5
	v_mov_b32_e32 v5, 0
	ds_read_b64 v[5:6], v5 offset:160
	s_waitcnt lgkmcnt(0)
	v_mul_f32_e32 v7, v2, v6
	v_mul_f32_e32 v6, v8, v6
	v_fma_f32 v7, v8, v5, -v7
	v_fmac_f32_e32 v6, v2, v5
	buffer_store_dword v7, off, s[0:3], 0 offset:160
	buffer_store_dword v6, off, s[0:3], 0 offset:164
.LBB115_95:
	s_or_b32 exec_lo, exec_lo, s4
	s_waitcnt_vscnt null, 0x0
	s_barrier
	buffer_gl0_inv
	s_clause 0x1
	buffer_load_dword v5, off, s[0:3], 0 offset:168
	buffer_load_dword v6, off, s[0:3], 0 offset:172
	s_mov_b32 s4, exec_lo
	s_waitcnt vmcnt(0)
	ds_write_b64 v4, v[5:6]
	s_waitcnt lgkmcnt(0)
	s_barrier
	buffer_gl0_inv
	v_cmpx_gt_u32_e32 21, v0
	s_cbranch_execz .LBB115_99
; %bb.96:
	v_add_nc_u32_e32 v5, -1, v0
	v_add_nc_u32_e32 v6, 0x1a0, v3
	v_mov_b32_e32 v7, v3
	v_mov_b32_e32 v2, 0
	v_mov_b32_e32 v8, 0
	s_mov_b32 s5, 0
	.p2align	6
.LBB115_97:                             ; =>This Inner Loop Header: Depth=1
	s_clause 0x1
	buffer_load_dword v115, v7, s[0:3], 0 offen offset:4
	buffer_load_dword v116, v7, s[0:3], 0 offen
	ds_read_b64 v[113:114], v6
	v_add_nc_u32_e32 v5, 1, v5
	v_add_nc_u32_e32 v6, 8, v6
	;; [unrolled: 1-line block ×3, first 2 shown]
	v_cmp_lt_u32_e32 vcc_lo, 19, v5
	s_or_b32 s5, vcc_lo, s5
	s_waitcnt vmcnt(1) lgkmcnt(0)
	v_mul_f32_e32 v117, v114, v115
	v_mul_f32_e32 v115, v113, v115
	s_waitcnt vmcnt(0)
	v_fma_f32 v113, v113, v116, -v117
	v_fmac_f32_e32 v115, v114, v116
	v_add_f32_e32 v8, v8, v113
	v_add_f32_e32 v2, v2, v115
	s_andn2_b32 exec_lo, exec_lo, s5
	s_cbranch_execnz .LBB115_97
; %bb.98:
	s_or_b32 exec_lo, exec_lo, s5
	v_mov_b32_e32 v5, 0
	ds_read_b64 v[5:6], v5 offset:168
	s_waitcnt lgkmcnt(0)
	v_mul_f32_e32 v7, v2, v6
	v_mul_f32_e32 v6, v8, v6
	v_fma_f32 v7, v8, v5, -v7
	v_fmac_f32_e32 v6, v2, v5
	buffer_store_dword v7, off, s[0:3], 0 offset:168
	buffer_store_dword v6, off, s[0:3], 0 offset:172
.LBB115_99:
	s_or_b32 exec_lo, exec_lo, s4
	s_waitcnt_vscnt null, 0x0
	s_barrier
	buffer_gl0_inv
	s_clause 0x1
	buffer_load_dword v5, off, s[0:3], 0 offset:176
	buffer_load_dword v6, off, s[0:3], 0 offset:180
	s_mov_b32 s4, exec_lo
	s_waitcnt vmcnt(0)
	ds_write_b64 v4, v[5:6]
	s_waitcnt lgkmcnt(0)
	s_barrier
	buffer_gl0_inv
	v_cmpx_gt_u32_e32 22, v0
	s_cbranch_execz .LBB115_103
; %bb.100:
	v_add_nc_u32_e32 v5, -1, v0
	v_add_nc_u32_e32 v6, 0x1a0, v3
	v_mov_b32_e32 v7, v3
	v_mov_b32_e32 v2, 0
	;; [unrolled: 1-line block ×3, first 2 shown]
	s_mov_b32 s5, 0
	.p2align	6
.LBB115_101:                            ; =>This Inner Loop Header: Depth=1
	s_clause 0x1
	buffer_load_dword v115, v7, s[0:3], 0 offen offset:4
	buffer_load_dword v116, v7, s[0:3], 0 offen
	ds_read_b64 v[113:114], v6
	v_add_nc_u32_e32 v5, 1, v5
	v_add_nc_u32_e32 v6, 8, v6
	;; [unrolled: 1-line block ×3, first 2 shown]
	v_cmp_lt_u32_e32 vcc_lo, 20, v5
	s_or_b32 s5, vcc_lo, s5
	s_waitcnt vmcnt(1) lgkmcnt(0)
	v_mul_f32_e32 v117, v114, v115
	v_mul_f32_e32 v115, v113, v115
	s_waitcnt vmcnt(0)
	v_fma_f32 v113, v113, v116, -v117
	v_fmac_f32_e32 v115, v114, v116
	v_add_f32_e32 v8, v8, v113
	v_add_f32_e32 v2, v2, v115
	s_andn2_b32 exec_lo, exec_lo, s5
	s_cbranch_execnz .LBB115_101
; %bb.102:
	s_or_b32 exec_lo, exec_lo, s5
	v_mov_b32_e32 v5, 0
	ds_read_b64 v[5:6], v5 offset:176
	s_waitcnt lgkmcnt(0)
	v_mul_f32_e32 v7, v2, v6
	v_mul_f32_e32 v6, v8, v6
	v_fma_f32 v7, v8, v5, -v7
	v_fmac_f32_e32 v6, v2, v5
	buffer_store_dword v7, off, s[0:3], 0 offset:176
	buffer_store_dword v6, off, s[0:3], 0 offset:180
.LBB115_103:
	s_or_b32 exec_lo, exec_lo, s4
	s_waitcnt_vscnt null, 0x0
	s_barrier
	buffer_gl0_inv
	s_clause 0x1
	buffer_load_dword v5, off, s[0:3], 0 offset:184
	buffer_load_dword v6, off, s[0:3], 0 offset:188
	s_mov_b32 s4, exec_lo
	s_waitcnt vmcnt(0)
	ds_write_b64 v4, v[5:6]
	s_waitcnt lgkmcnt(0)
	s_barrier
	buffer_gl0_inv
	v_cmpx_gt_u32_e32 23, v0
	s_cbranch_execz .LBB115_107
; %bb.104:
	v_add_nc_u32_e32 v5, -1, v0
	v_add_nc_u32_e32 v6, 0x1a0, v3
	v_mov_b32_e32 v7, v3
	v_mov_b32_e32 v2, 0
	;; [unrolled: 1-line block ×3, first 2 shown]
	s_mov_b32 s5, 0
	.p2align	6
.LBB115_105:                            ; =>This Inner Loop Header: Depth=1
	s_clause 0x1
	buffer_load_dword v115, v7, s[0:3], 0 offen offset:4
	buffer_load_dword v116, v7, s[0:3], 0 offen
	ds_read_b64 v[113:114], v6
	v_add_nc_u32_e32 v5, 1, v5
	v_add_nc_u32_e32 v6, 8, v6
	;; [unrolled: 1-line block ×3, first 2 shown]
	v_cmp_lt_u32_e32 vcc_lo, 21, v5
	s_or_b32 s5, vcc_lo, s5
	s_waitcnt vmcnt(1) lgkmcnt(0)
	v_mul_f32_e32 v117, v114, v115
	v_mul_f32_e32 v115, v113, v115
	s_waitcnt vmcnt(0)
	v_fma_f32 v113, v113, v116, -v117
	v_fmac_f32_e32 v115, v114, v116
	v_add_f32_e32 v8, v8, v113
	v_add_f32_e32 v2, v2, v115
	s_andn2_b32 exec_lo, exec_lo, s5
	s_cbranch_execnz .LBB115_105
; %bb.106:
	s_or_b32 exec_lo, exec_lo, s5
	v_mov_b32_e32 v5, 0
	ds_read_b64 v[5:6], v5 offset:184
	s_waitcnt lgkmcnt(0)
	v_mul_f32_e32 v7, v2, v6
	v_mul_f32_e32 v6, v8, v6
	v_fma_f32 v7, v8, v5, -v7
	v_fmac_f32_e32 v6, v2, v5
	buffer_store_dword v7, off, s[0:3], 0 offset:184
	buffer_store_dword v6, off, s[0:3], 0 offset:188
.LBB115_107:
	s_or_b32 exec_lo, exec_lo, s4
	s_waitcnt_vscnt null, 0x0
	s_barrier
	buffer_gl0_inv
	s_clause 0x1
	buffer_load_dword v5, off, s[0:3], 0 offset:192
	buffer_load_dword v6, off, s[0:3], 0 offset:196
	s_mov_b32 s4, exec_lo
	s_waitcnt vmcnt(0)
	ds_write_b64 v4, v[5:6]
	s_waitcnt lgkmcnt(0)
	s_barrier
	buffer_gl0_inv
	v_cmpx_gt_u32_e32 24, v0
	s_cbranch_execz .LBB115_111
; %bb.108:
	v_add_nc_u32_e32 v5, -1, v0
	v_add_nc_u32_e32 v6, 0x1a0, v3
	v_mov_b32_e32 v7, v3
	v_mov_b32_e32 v2, 0
	;; [unrolled: 1-line block ×3, first 2 shown]
	s_mov_b32 s5, 0
	.p2align	6
.LBB115_109:                            ; =>This Inner Loop Header: Depth=1
	s_clause 0x1
	buffer_load_dword v115, v7, s[0:3], 0 offen offset:4
	buffer_load_dword v116, v7, s[0:3], 0 offen
	ds_read_b64 v[113:114], v6
	v_add_nc_u32_e32 v5, 1, v5
	v_add_nc_u32_e32 v6, 8, v6
	;; [unrolled: 1-line block ×3, first 2 shown]
	v_cmp_lt_u32_e32 vcc_lo, 22, v5
	s_or_b32 s5, vcc_lo, s5
	s_waitcnt vmcnt(1) lgkmcnt(0)
	v_mul_f32_e32 v117, v114, v115
	v_mul_f32_e32 v115, v113, v115
	s_waitcnt vmcnt(0)
	v_fma_f32 v113, v113, v116, -v117
	v_fmac_f32_e32 v115, v114, v116
	v_add_f32_e32 v8, v8, v113
	v_add_f32_e32 v2, v2, v115
	s_andn2_b32 exec_lo, exec_lo, s5
	s_cbranch_execnz .LBB115_109
; %bb.110:
	s_or_b32 exec_lo, exec_lo, s5
	v_mov_b32_e32 v5, 0
	ds_read_b64 v[5:6], v5 offset:192
	s_waitcnt lgkmcnt(0)
	v_mul_f32_e32 v7, v2, v6
	v_mul_f32_e32 v6, v8, v6
	v_fma_f32 v7, v8, v5, -v7
	v_fmac_f32_e32 v6, v2, v5
	buffer_store_dword v7, off, s[0:3], 0 offset:192
	buffer_store_dword v6, off, s[0:3], 0 offset:196
.LBB115_111:
	s_or_b32 exec_lo, exec_lo, s4
	s_waitcnt_vscnt null, 0x0
	s_barrier
	buffer_gl0_inv
	s_clause 0x1
	buffer_load_dword v5, off, s[0:3], 0 offset:200
	buffer_load_dword v6, off, s[0:3], 0 offset:204
	s_mov_b32 s4, exec_lo
	s_waitcnt vmcnt(0)
	ds_write_b64 v4, v[5:6]
	s_waitcnt lgkmcnt(0)
	s_barrier
	buffer_gl0_inv
	v_cmpx_gt_u32_e32 25, v0
	s_cbranch_execz .LBB115_115
; %bb.112:
	v_add_nc_u32_e32 v5, -1, v0
	v_add_nc_u32_e32 v6, 0x1a0, v3
	v_mov_b32_e32 v7, v3
	v_mov_b32_e32 v2, 0
	;; [unrolled: 1-line block ×3, first 2 shown]
	s_mov_b32 s5, 0
	.p2align	6
.LBB115_113:                            ; =>This Inner Loop Header: Depth=1
	s_clause 0x1
	buffer_load_dword v115, v7, s[0:3], 0 offen offset:4
	buffer_load_dword v116, v7, s[0:3], 0 offen
	ds_read_b64 v[113:114], v6
	v_add_nc_u32_e32 v5, 1, v5
	v_add_nc_u32_e32 v6, 8, v6
	;; [unrolled: 1-line block ×3, first 2 shown]
	v_cmp_lt_u32_e32 vcc_lo, 23, v5
	s_or_b32 s5, vcc_lo, s5
	s_waitcnt vmcnt(1) lgkmcnt(0)
	v_mul_f32_e32 v117, v114, v115
	v_mul_f32_e32 v115, v113, v115
	s_waitcnt vmcnt(0)
	v_fma_f32 v113, v113, v116, -v117
	v_fmac_f32_e32 v115, v114, v116
	v_add_f32_e32 v8, v8, v113
	v_add_f32_e32 v2, v2, v115
	s_andn2_b32 exec_lo, exec_lo, s5
	s_cbranch_execnz .LBB115_113
; %bb.114:
	s_or_b32 exec_lo, exec_lo, s5
	v_mov_b32_e32 v5, 0
	ds_read_b64 v[5:6], v5 offset:200
	s_waitcnt lgkmcnt(0)
	v_mul_f32_e32 v7, v2, v6
	v_mul_f32_e32 v6, v8, v6
	v_fma_f32 v7, v8, v5, -v7
	v_fmac_f32_e32 v6, v2, v5
	buffer_store_dword v7, off, s[0:3], 0 offset:200
	buffer_store_dword v6, off, s[0:3], 0 offset:204
.LBB115_115:
	s_or_b32 exec_lo, exec_lo, s4
	s_waitcnt_vscnt null, 0x0
	s_barrier
	buffer_gl0_inv
	s_clause 0x1
	buffer_load_dword v5, off, s[0:3], 0 offset:208
	buffer_load_dword v6, off, s[0:3], 0 offset:212
	s_mov_b32 s4, exec_lo
	s_waitcnt vmcnt(0)
	ds_write_b64 v4, v[5:6]
	s_waitcnt lgkmcnt(0)
	s_barrier
	buffer_gl0_inv
	v_cmpx_gt_u32_e32 26, v0
	s_cbranch_execz .LBB115_119
; %bb.116:
	v_add_nc_u32_e32 v5, -1, v0
	v_add_nc_u32_e32 v6, 0x1a0, v3
	v_mov_b32_e32 v7, v3
	v_mov_b32_e32 v2, 0
	;; [unrolled: 1-line block ×3, first 2 shown]
	s_mov_b32 s5, 0
	.p2align	6
.LBB115_117:                            ; =>This Inner Loop Header: Depth=1
	s_clause 0x1
	buffer_load_dword v115, v7, s[0:3], 0 offen offset:4
	buffer_load_dword v116, v7, s[0:3], 0 offen
	ds_read_b64 v[113:114], v6
	v_add_nc_u32_e32 v5, 1, v5
	v_add_nc_u32_e32 v6, 8, v6
	;; [unrolled: 1-line block ×3, first 2 shown]
	v_cmp_lt_u32_e32 vcc_lo, 24, v5
	s_or_b32 s5, vcc_lo, s5
	s_waitcnt vmcnt(1) lgkmcnt(0)
	v_mul_f32_e32 v117, v114, v115
	v_mul_f32_e32 v115, v113, v115
	s_waitcnt vmcnt(0)
	v_fma_f32 v113, v113, v116, -v117
	v_fmac_f32_e32 v115, v114, v116
	v_add_f32_e32 v8, v8, v113
	v_add_f32_e32 v2, v2, v115
	s_andn2_b32 exec_lo, exec_lo, s5
	s_cbranch_execnz .LBB115_117
; %bb.118:
	s_or_b32 exec_lo, exec_lo, s5
	v_mov_b32_e32 v5, 0
	ds_read_b64 v[5:6], v5 offset:208
	s_waitcnt lgkmcnt(0)
	v_mul_f32_e32 v7, v2, v6
	v_mul_f32_e32 v6, v8, v6
	v_fma_f32 v7, v8, v5, -v7
	v_fmac_f32_e32 v6, v2, v5
	buffer_store_dword v7, off, s[0:3], 0 offset:208
	buffer_store_dword v6, off, s[0:3], 0 offset:212
.LBB115_119:
	s_or_b32 exec_lo, exec_lo, s4
	s_waitcnt_vscnt null, 0x0
	s_barrier
	buffer_gl0_inv
	s_clause 0x1
	buffer_load_dword v5, off, s[0:3], 0 offset:216
	buffer_load_dword v6, off, s[0:3], 0 offset:220
	s_mov_b32 s4, exec_lo
	s_waitcnt vmcnt(0)
	ds_write_b64 v4, v[5:6]
	s_waitcnt lgkmcnt(0)
	s_barrier
	buffer_gl0_inv
	v_cmpx_gt_u32_e32 27, v0
	s_cbranch_execz .LBB115_123
; %bb.120:
	v_add_nc_u32_e32 v5, -1, v0
	v_add_nc_u32_e32 v6, 0x1a0, v3
	v_mov_b32_e32 v7, v3
	v_mov_b32_e32 v2, 0
	;; [unrolled: 1-line block ×3, first 2 shown]
	s_mov_b32 s5, 0
	.p2align	6
.LBB115_121:                            ; =>This Inner Loop Header: Depth=1
	s_clause 0x1
	buffer_load_dword v115, v7, s[0:3], 0 offen offset:4
	buffer_load_dword v116, v7, s[0:3], 0 offen
	ds_read_b64 v[113:114], v6
	v_add_nc_u32_e32 v5, 1, v5
	v_add_nc_u32_e32 v6, 8, v6
	;; [unrolled: 1-line block ×3, first 2 shown]
	v_cmp_lt_u32_e32 vcc_lo, 25, v5
	s_or_b32 s5, vcc_lo, s5
	s_waitcnt vmcnt(1) lgkmcnt(0)
	v_mul_f32_e32 v117, v114, v115
	v_mul_f32_e32 v115, v113, v115
	s_waitcnt vmcnt(0)
	v_fma_f32 v113, v113, v116, -v117
	v_fmac_f32_e32 v115, v114, v116
	v_add_f32_e32 v8, v8, v113
	v_add_f32_e32 v2, v2, v115
	s_andn2_b32 exec_lo, exec_lo, s5
	s_cbranch_execnz .LBB115_121
; %bb.122:
	s_or_b32 exec_lo, exec_lo, s5
	v_mov_b32_e32 v5, 0
	ds_read_b64 v[5:6], v5 offset:216
	s_waitcnt lgkmcnt(0)
	v_mul_f32_e32 v7, v2, v6
	v_mul_f32_e32 v6, v8, v6
	v_fma_f32 v7, v8, v5, -v7
	v_fmac_f32_e32 v6, v2, v5
	buffer_store_dword v7, off, s[0:3], 0 offset:216
	buffer_store_dword v6, off, s[0:3], 0 offset:220
.LBB115_123:
	s_or_b32 exec_lo, exec_lo, s4
	s_waitcnt_vscnt null, 0x0
	s_barrier
	buffer_gl0_inv
	s_clause 0x1
	buffer_load_dword v5, off, s[0:3], 0 offset:224
	buffer_load_dword v6, off, s[0:3], 0 offset:228
	s_mov_b32 s4, exec_lo
	s_waitcnt vmcnt(0)
	ds_write_b64 v4, v[5:6]
	s_waitcnt lgkmcnt(0)
	s_barrier
	buffer_gl0_inv
	v_cmpx_gt_u32_e32 28, v0
	s_cbranch_execz .LBB115_127
; %bb.124:
	v_add_nc_u32_e32 v5, -1, v0
	v_add_nc_u32_e32 v6, 0x1a0, v3
	v_mov_b32_e32 v7, v3
	v_mov_b32_e32 v2, 0
	;; [unrolled: 1-line block ×3, first 2 shown]
	s_mov_b32 s5, 0
	.p2align	6
.LBB115_125:                            ; =>This Inner Loop Header: Depth=1
	s_clause 0x1
	buffer_load_dword v115, v7, s[0:3], 0 offen offset:4
	buffer_load_dword v116, v7, s[0:3], 0 offen
	ds_read_b64 v[113:114], v6
	v_add_nc_u32_e32 v5, 1, v5
	v_add_nc_u32_e32 v6, 8, v6
	;; [unrolled: 1-line block ×3, first 2 shown]
	v_cmp_lt_u32_e32 vcc_lo, 26, v5
	s_or_b32 s5, vcc_lo, s5
	s_waitcnt vmcnt(1) lgkmcnt(0)
	v_mul_f32_e32 v117, v114, v115
	v_mul_f32_e32 v115, v113, v115
	s_waitcnt vmcnt(0)
	v_fma_f32 v113, v113, v116, -v117
	v_fmac_f32_e32 v115, v114, v116
	v_add_f32_e32 v8, v8, v113
	v_add_f32_e32 v2, v2, v115
	s_andn2_b32 exec_lo, exec_lo, s5
	s_cbranch_execnz .LBB115_125
; %bb.126:
	s_or_b32 exec_lo, exec_lo, s5
	v_mov_b32_e32 v5, 0
	ds_read_b64 v[5:6], v5 offset:224
	s_waitcnt lgkmcnt(0)
	v_mul_f32_e32 v7, v2, v6
	v_mul_f32_e32 v6, v8, v6
	v_fma_f32 v7, v8, v5, -v7
	v_fmac_f32_e32 v6, v2, v5
	buffer_store_dword v7, off, s[0:3], 0 offset:224
	buffer_store_dword v6, off, s[0:3], 0 offset:228
.LBB115_127:
	s_or_b32 exec_lo, exec_lo, s4
	s_waitcnt_vscnt null, 0x0
	s_barrier
	buffer_gl0_inv
	s_clause 0x1
	buffer_load_dword v5, off, s[0:3], 0 offset:232
	buffer_load_dword v6, off, s[0:3], 0 offset:236
	s_mov_b32 s4, exec_lo
	s_waitcnt vmcnt(0)
	ds_write_b64 v4, v[5:6]
	s_waitcnt lgkmcnt(0)
	s_barrier
	buffer_gl0_inv
	v_cmpx_gt_u32_e32 29, v0
	s_cbranch_execz .LBB115_131
; %bb.128:
	v_add_nc_u32_e32 v5, -1, v0
	v_add_nc_u32_e32 v6, 0x1a0, v3
	v_mov_b32_e32 v7, v3
	v_mov_b32_e32 v2, 0
	;; [unrolled: 1-line block ×3, first 2 shown]
	s_mov_b32 s5, 0
	.p2align	6
.LBB115_129:                            ; =>This Inner Loop Header: Depth=1
	s_clause 0x1
	buffer_load_dword v115, v7, s[0:3], 0 offen offset:4
	buffer_load_dword v116, v7, s[0:3], 0 offen
	ds_read_b64 v[113:114], v6
	v_add_nc_u32_e32 v5, 1, v5
	v_add_nc_u32_e32 v6, 8, v6
	;; [unrolled: 1-line block ×3, first 2 shown]
	v_cmp_lt_u32_e32 vcc_lo, 27, v5
	s_or_b32 s5, vcc_lo, s5
	s_waitcnt vmcnt(1) lgkmcnt(0)
	v_mul_f32_e32 v117, v114, v115
	v_mul_f32_e32 v115, v113, v115
	s_waitcnt vmcnt(0)
	v_fma_f32 v113, v113, v116, -v117
	v_fmac_f32_e32 v115, v114, v116
	v_add_f32_e32 v8, v8, v113
	v_add_f32_e32 v2, v2, v115
	s_andn2_b32 exec_lo, exec_lo, s5
	s_cbranch_execnz .LBB115_129
; %bb.130:
	s_or_b32 exec_lo, exec_lo, s5
	v_mov_b32_e32 v5, 0
	ds_read_b64 v[5:6], v5 offset:232
	s_waitcnt lgkmcnt(0)
	v_mul_f32_e32 v7, v2, v6
	v_mul_f32_e32 v6, v8, v6
	v_fma_f32 v7, v8, v5, -v7
	v_fmac_f32_e32 v6, v2, v5
	buffer_store_dword v7, off, s[0:3], 0 offset:232
	buffer_store_dword v6, off, s[0:3], 0 offset:236
.LBB115_131:
	s_or_b32 exec_lo, exec_lo, s4
	s_waitcnt_vscnt null, 0x0
	s_barrier
	buffer_gl0_inv
	s_clause 0x1
	buffer_load_dword v5, off, s[0:3], 0 offset:240
	buffer_load_dword v6, off, s[0:3], 0 offset:244
	s_mov_b32 s4, exec_lo
	s_waitcnt vmcnt(0)
	ds_write_b64 v4, v[5:6]
	s_waitcnt lgkmcnt(0)
	s_barrier
	buffer_gl0_inv
	v_cmpx_gt_u32_e32 30, v0
	s_cbranch_execz .LBB115_135
; %bb.132:
	v_add_nc_u32_e32 v5, -1, v0
	v_add_nc_u32_e32 v6, 0x1a0, v3
	v_mov_b32_e32 v7, v3
	v_mov_b32_e32 v2, 0
	;; [unrolled: 1-line block ×3, first 2 shown]
	s_mov_b32 s5, 0
	.p2align	6
.LBB115_133:                            ; =>This Inner Loop Header: Depth=1
	s_clause 0x1
	buffer_load_dword v115, v7, s[0:3], 0 offen offset:4
	buffer_load_dword v116, v7, s[0:3], 0 offen
	ds_read_b64 v[113:114], v6
	v_add_nc_u32_e32 v5, 1, v5
	v_add_nc_u32_e32 v6, 8, v6
	;; [unrolled: 1-line block ×3, first 2 shown]
	v_cmp_lt_u32_e32 vcc_lo, 28, v5
	s_or_b32 s5, vcc_lo, s5
	s_waitcnt vmcnt(1) lgkmcnt(0)
	v_mul_f32_e32 v117, v114, v115
	v_mul_f32_e32 v115, v113, v115
	s_waitcnt vmcnt(0)
	v_fma_f32 v113, v113, v116, -v117
	v_fmac_f32_e32 v115, v114, v116
	v_add_f32_e32 v8, v8, v113
	v_add_f32_e32 v2, v2, v115
	s_andn2_b32 exec_lo, exec_lo, s5
	s_cbranch_execnz .LBB115_133
; %bb.134:
	s_or_b32 exec_lo, exec_lo, s5
	v_mov_b32_e32 v5, 0
	ds_read_b64 v[5:6], v5 offset:240
	s_waitcnt lgkmcnt(0)
	v_mul_f32_e32 v7, v2, v6
	v_mul_f32_e32 v6, v8, v6
	v_fma_f32 v7, v8, v5, -v7
	v_fmac_f32_e32 v6, v2, v5
	buffer_store_dword v7, off, s[0:3], 0 offset:240
	buffer_store_dword v6, off, s[0:3], 0 offset:244
.LBB115_135:
	s_or_b32 exec_lo, exec_lo, s4
	s_waitcnt_vscnt null, 0x0
	s_barrier
	buffer_gl0_inv
	s_clause 0x1
	buffer_load_dword v5, off, s[0:3], 0 offset:248
	buffer_load_dword v6, off, s[0:3], 0 offset:252
	s_mov_b32 s4, exec_lo
	s_waitcnt vmcnt(0)
	ds_write_b64 v4, v[5:6]
	s_waitcnt lgkmcnt(0)
	s_barrier
	buffer_gl0_inv
	v_cmpx_gt_u32_e32 31, v0
	s_cbranch_execz .LBB115_139
; %bb.136:
	v_add_nc_u32_e32 v5, -1, v0
	v_add_nc_u32_e32 v6, 0x1a0, v3
	v_mov_b32_e32 v7, v3
	v_mov_b32_e32 v2, 0
	;; [unrolled: 1-line block ×3, first 2 shown]
	s_mov_b32 s5, 0
	.p2align	6
.LBB115_137:                            ; =>This Inner Loop Header: Depth=1
	s_clause 0x1
	buffer_load_dword v115, v7, s[0:3], 0 offen offset:4
	buffer_load_dword v116, v7, s[0:3], 0 offen
	ds_read_b64 v[113:114], v6
	v_add_nc_u32_e32 v5, 1, v5
	v_add_nc_u32_e32 v6, 8, v6
	;; [unrolled: 1-line block ×3, first 2 shown]
	v_cmp_lt_u32_e32 vcc_lo, 29, v5
	s_or_b32 s5, vcc_lo, s5
	s_waitcnt vmcnt(1) lgkmcnt(0)
	v_mul_f32_e32 v117, v114, v115
	v_mul_f32_e32 v115, v113, v115
	s_waitcnt vmcnt(0)
	v_fma_f32 v113, v113, v116, -v117
	v_fmac_f32_e32 v115, v114, v116
	v_add_f32_e32 v8, v8, v113
	v_add_f32_e32 v2, v2, v115
	s_andn2_b32 exec_lo, exec_lo, s5
	s_cbranch_execnz .LBB115_137
; %bb.138:
	s_or_b32 exec_lo, exec_lo, s5
	v_mov_b32_e32 v5, 0
	ds_read_b64 v[5:6], v5 offset:248
	s_waitcnt lgkmcnt(0)
	v_mul_f32_e32 v7, v2, v6
	v_mul_f32_e32 v6, v8, v6
	v_fma_f32 v7, v8, v5, -v7
	v_fmac_f32_e32 v6, v2, v5
	buffer_store_dword v7, off, s[0:3], 0 offset:248
	buffer_store_dword v6, off, s[0:3], 0 offset:252
.LBB115_139:
	s_or_b32 exec_lo, exec_lo, s4
	s_waitcnt_vscnt null, 0x0
	s_barrier
	buffer_gl0_inv
	s_clause 0x1
	buffer_load_dword v5, off, s[0:3], 0 offset:256
	buffer_load_dword v6, off, s[0:3], 0 offset:260
	s_mov_b32 s4, exec_lo
	s_waitcnt vmcnt(0)
	ds_write_b64 v4, v[5:6]
	s_waitcnt lgkmcnt(0)
	s_barrier
	buffer_gl0_inv
	v_cmpx_gt_u32_e32 32, v0
	s_cbranch_execz .LBB115_143
; %bb.140:
	v_add_nc_u32_e32 v5, -1, v0
	v_add_nc_u32_e32 v6, 0x1a0, v3
	v_mov_b32_e32 v7, v3
	v_mov_b32_e32 v2, 0
	;; [unrolled: 1-line block ×3, first 2 shown]
	s_mov_b32 s5, 0
	.p2align	6
.LBB115_141:                            ; =>This Inner Loop Header: Depth=1
	s_clause 0x1
	buffer_load_dword v115, v7, s[0:3], 0 offen offset:4
	buffer_load_dword v116, v7, s[0:3], 0 offen
	ds_read_b64 v[113:114], v6
	v_add_nc_u32_e32 v5, 1, v5
	v_add_nc_u32_e32 v6, 8, v6
	;; [unrolled: 1-line block ×3, first 2 shown]
	v_cmp_lt_u32_e32 vcc_lo, 30, v5
	s_or_b32 s5, vcc_lo, s5
	s_waitcnt vmcnt(1) lgkmcnt(0)
	v_mul_f32_e32 v117, v114, v115
	v_mul_f32_e32 v115, v113, v115
	s_waitcnt vmcnt(0)
	v_fma_f32 v113, v113, v116, -v117
	v_fmac_f32_e32 v115, v114, v116
	v_add_f32_e32 v8, v8, v113
	v_add_f32_e32 v2, v2, v115
	s_andn2_b32 exec_lo, exec_lo, s5
	s_cbranch_execnz .LBB115_141
; %bb.142:
	s_or_b32 exec_lo, exec_lo, s5
	v_mov_b32_e32 v5, 0
	ds_read_b64 v[5:6], v5 offset:256
	s_waitcnt lgkmcnt(0)
	v_mul_f32_e32 v7, v2, v6
	v_mul_f32_e32 v6, v8, v6
	v_fma_f32 v7, v8, v5, -v7
	v_fmac_f32_e32 v6, v2, v5
	buffer_store_dword v7, off, s[0:3], 0 offset:256
	buffer_store_dword v6, off, s[0:3], 0 offset:260
.LBB115_143:
	s_or_b32 exec_lo, exec_lo, s4
	s_waitcnt_vscnt null, 0x0
	s_barrier
	buffer_gl0_inv
	s_clause 0x1
	buffer_load_dword v5, off, s[0:3], 0 offset:264
	buffer_load_dword v6, off, s[0:3], 0 offset:268
	s_mov_b32 s4, exec_lo
	s_waitcnt vmcnt(0)
	ds_write_b64 v4, v[5:6]
	s_waitcnt lgkmcnt(0)
	s_barrier
	buffer_gl0_inv
	v_cmpx_gt_u32_e32 33, v0
	s_cbranch_execz .LBB115_147
; %bb.144:
	v_add_nc_u32_e32 v5, -1, v0
	v_add_nc_u32_e32 v6, 0x1a0, v3
	v_mov_b32_e32 v7, v3
	v_mov_b32_e32 v2, 0
	;; [unrolled: 1-line block ×3, first 2 shown]
	s_mov_b32 s5, 0
	.p2align	6
.LBB115_145:                            ; =>This Inner Loop Header: Depth=1
	s_clause 0x1
	buffer_load_dword v115, v7, s[0:3], 0 offen offset:4
	buffer_load_dword v116, v7, s[0:3], 0 offen
	ds_read_b64 v[113:114], v6
	v_add_nc_u32_e32 v5, 1, v5
	v_add_nc_u32_e32 v6, 8, v6
	;; [unrolled: 1-line block ×3, first 2 shown]
	v_cmp_lt_u32_e32 vcc_lo, 31, v5
	s_or_b32 s5, vcc_lo, s5
	s_waitcnt vmcnt(1) lgkmcnt(0)
	v_mul_f32_e32 v117, v114, v115
	v_mul_f32_e32 v115, v113, v115
	s_waitcnt vmcnt(0)
	v_fma_f32 v113, v113, v116, -v117
	v_fmac_f32_e32 v115, v114, v116
	v_add_f32_e32 v8, v8, v113
	v_add_f32_e32 v2, v2, v115
	s_andn2_b32 exec_lo, exec_lo, s5
	s_cbranch_execnz .LBB115_145
; %bb.146:
	s_or_b32 exec_lo, exec_lo, s5
	v_mov_b32_e32 v5, 0
	ds_read_b64 v[5:6], v5 offset:264
	s_waitcnt lgkmcnt(0)
	v_mul_f32_e32 v7, v2, v6
	v_mul_f32_e32 v6, v8, v6
	v_fma_f32 v7, v8, v5, -v7
	v_fmac_f32_e32 v6, v2, v5
	buffer_store_dword v7, off, s[0:3], 0 offset:264
	buffer_store_dword v6, off, s[0:3], 0 offset:268
.LBB115_147:
	s_or_b32 exec_lo, exec_lo, s4
	s_waitcnt_vscnt null, 0x0
	s_barrier
	buffer_gl0_inv
	s_clause 0x1
	buffer_load_dword v5, off, s[0:3], 0 offset:272
	buffer_load_dword v6, off, s[0:3], 0 offset:276
	s_mov_b32 s4, exec_lo
	s_waitcnt vmcnt(0)
	ds_write_b64 v4, v[5:6]
	s_waitcnt lgkmcnt(0)
	s_barrier
	buffer_gl0_inv
	v_cmpx_gt_u32_e32 34, v0
	s_cbranch_execz .LBB115_151
; %bb.148:
	v_add_nc_u32_e32 v5, -1, v0
	v_add_nc_u32_e32 v6, 0x1a0, v3
	v_mov_b32_e32 v7, v3
	v_mov_b32_e32 v2, 0
	;; [unrolled: 1-line block ×3, first 2 shown]
	s_mov_b32 s5, 0
	.p2align	6
.LBB115_149:                            ; =>This Inner Loop Header: Depth=1
	s_clause 0x1
	buffer_load_dword v115, v7, s[0:3], 0 offen offset:4
	buffer_load_dword v116, v7, s[0:3], 0 offen
	ds_read_b64 v[113:114], v6
	v_add_nc_u32_e32 v5, 1, v5
	v_add_nc_u32_e32 v6, 8, v6
	;; [unrolled: 1-line block ×3, first 2 shown]
	v_cmp_lt_u32_e32 vcc_lo, 32, v5
	s_or_b32 s5, vcc_lo, s5
	s_waitcnt vmcnt(1) lgkmcnt(0)
	v_mul_f32_e32 v117, v114, v115
	v_mul_f32_e32 v115, v113, v115
	s_waitcnt vmcnt(0)
	v_fma_f32 v113, v113, v116, -v117
	v_fmac_f32_e32 v115, v114, v116
	v_add_f32_e32 v8, v8, v113
	v_add_f32_e32 v2, v2, v115
	s_andn2_b32 exec_lo, exec_lo, s5
	s_cbranch_execnz .LBB115_149
; %bb.150:
	s_or_b32 exec_lo, exec_lo, s5
	v_mov_b32_e32 v5, 0
	ds_read_b64 v[5:6], v5 offset:272
	s_waitcnt lgkmcnt(0)
	v_mul_f32_e32 v7, v2, v6
	v_mul_f32_e32 v6, v8, v6
	v_fma_f32 v7, v8, v5, -v7
	v_fmac_f32_e32 v6, v2, v5
	buffer_store_dword v7, off, s[0:3], 0 offset:272
	buffer_store_dword v6, off, s[0:3], 0 offset:276
.LBB115_151:
	s_or_b32 exec_lo, exec_lo, s4
	s_waitcnt_vscnt null, 0x0
	s_barrier
	buffer_gl0_inv
	s_clause 0x1
	buffer_load_dword v5, off, s[0:3], 0 offset:280
	buffer_load_dword v6, off, s[0:3], 0 offset:284
	s_mov_b32 s4, exec_lo
	s_waitcnt vmcnt(0)
	ds_write_b64 v4, v[5:6]
	s_waitcnt lgkmcnt(0)
	s_barrier
	buffer_gl0_inv
	v_cmpx_gt_u32_e32 35, v0
	s_cbranch_execz .LBB115_155
; %bb.152:
	v_add_nc_u32_e32 v5, -1, v0
	v_add_nc_u32_e32 v6, 0x1a0, v3
	v_mov_b32_e32 v7, v3
	v_mov_b32_e32 v2, 0
	;; [unrolled: 1-line block ×3, first 2 shown]
	s_mov_b32 s5, 0
	.p2align	6
.LBB115_153:                            ; =>This Inner Loop Header: Depth=1
	s_clause 0x1
	buffer_load_dword v115, v7, s[0:3], 0 offen offset:4
	buffer_load_dword v116, v7, s[0:3], 0 offen
	ds_read_b64 v[113:114], v6
	v_add_nc_u32_e32 v5, 1, v5
	v_add_nc_u32_e32 v6, 8, v6
	v_add_nc_u32_e32 v7, 8, v7
	v_cmp_lt_u32_e32 vcc_lo, 33, v5
	s_or_b32 s5, vcc_lo, s5
	s_waitcnt vmcnt(1) lgkmcnt(0)
	v_mul_f32_e32 v117, v114, v115
	v_mul_f32_e32 v115, v113, v115
	s_waitcnt vmcnt(0)
	v_fma_f32 v113, v113, v116, -v117
	v_fmac_f32_e32 v115, v114, v116
	v_add_f32_e32 v8, v8, v113
	v_add_f32_e32 v2, v2, v115
	s_andn2_b32 exec_lo, exec_lo, s5
	s_cbranch_execnz .LBB115_153
; %bb.154:
	s_or_b32 exec_lo, exec_lo, s5
	v_mov_b32_e32 v5, 0
	ds_read_b64 v[5:6], v5 offset:280
	s_waitcnt lgkmcnt(0)
	v_mul_f32_e32 v7, v2, v6
	v_mul_f32_e32 v6, v8, v6
	v_fma_f32 v7, v8, v5, -v7
	v_fmac_f32_e32 v6, v2, v5
	buffer_store_dword v7, off, s[0:3], 0 offset:280
	buffer_store_dword v6, off, s[0:3], 0 offset:284
.LBB115_155:
	s_or_b32 exec_lo, exec_lo, s4
	s_waitcnt_vscnt null, 0x0
	s_barrier
	buffer_gl0_inv
	s_clause 0x1
	buffer_load_dword v5, off, s[0:3], 0 offset:288
	buffer_load_dword v6, off, s[0:3], 0 offset:292
	s_mov_b32 s4, exec_lo
	s_waitcnt vmcnt(0)
	ds_write_b64 v4, v[5:6]
	s_waitcnt lgkmcnt(0)
	s_barrier
	buffer_gl0_inv
	v_cmpx_gt_u32_e32 36, v0
	s_cbranch_execz .LBB115_159
; %bb.156:
	v_add_nc_u32_e32 v5, -1, v0
	v_add_nc_u32_e32 v6, 0x1a0, v3
	v_mov_b32_e32 v7, v3
	v_mov_b32_e32 v2, 0
	v_mov_b32_e32 v8, 0
	s_mov_b32 s5, 0
	.p2align	6
.LBB115_157:                            ; =>This Inner Loop Header: Depth=1
	s_clause 0x1
	buffer_load_dword v115, v7, s[0:3], 0 offen offset:4
	buffer_load_dword v116, v7, s[0:3], 0 offen
	ds_read_b64 v[113:114], v6
	v_add_nc_u32_e32 v5, 1, v5
	v_add_nc_u32_e32 v6, 8, v6
	;; [unrolled: 1-line block ×3, first 2 shown]
	v_cmp_lt_u32_e32 vcc_lo, 34, v5
	s_or_b32 s5, vcc_lo, s5
	s_waitcnt vmcnt(1) lgkmcnt(0)
	v_mul_f32_e32 v117, v114, v115
	v_mul_f32_e32 v115, v113, v115
	s_waitcnt vmcnt(0)
	v_fma_f32 v113, v113, v116, -v117
	v_fmac_f32_e32 v115, v114, v116
	v_add_f32_e32 v8, v8, v113
	v_add_f32_e32 v2, v2, v115
	s_andn2_b32 exec_lo, exec_lo, s5
	s_cbranch_execnz .LBB115_157
; %bb.158:
	s_or_b32 exec_lo, exec_lo, s5
	v_mov_b32_e32 v5, 0
	ds_read_b64 v[5:6], v5 offset:288
	s_waitcnt lgkmcnt(0)
	v_mul_f32_e32 v7, v2, v6
	v_mul_f32_e32 v6, v8, v6
	v_fma_f32 v7, v8, v5, -v7
	v_fmac_f32_e32 v6, v2, v5
	buffer_store_dword v7, off, s[0:3], 0 offset:288
	buffer_store_dword v6, off, s[0:3], 0 offset:292
.LBB115_159:
	s_or_b32 exec_lo, exec_lo, s4
	s_waitcnt_vscnt null, 0x0
	s_barrier
	buffer_gl0_inv
	s_clause 0x1
	buffer_load_dword v5, off, s[0:3], 0 offset:296
	buffer_load_dword v6, off, s[0:3], 0 offset:300
	s_mov_b32 s4, exec_lo
	s_waitcnt vmcnt(0)
	ds_write_b64 v4, v[5:6]
	s_waitcnt lgkmcnt(0)
	s_barrier
	buffer_gl0_inv
	v_cmpx_gt_u32_e32 37, v0
	s_cbranch_execz .LBB115_163
; %bb.160:
	v_add_nc_u32_e32 v5, -1, v0
	v_add_nc_u32_e32 v6, 0x1a0, v3
	v_mov_b32_e32 v7, v3
	v_mov_b32_e32 v2, 0
	;; [unrolled: 1-line block ×3, first 2 shown]
	s_mov_b32 s5, 0
	.p2align	6
.LBB115_161:                            ; =>This Inner Loop Header: Depth=1
	s_clause 0x1
	buffer_load_dword v115, v7, s[0:3], 0 offen offset:4
	buffer_load_dword v116, v7, s[0:3], 0 offen
	ds_read_b64 v[113:114], v6
	v_add_nc_u32_e32 v5, 1, v5
	v_add_nc_u32_e32 v6, 8, v6
	v_add_nc_u32_e32 v7, 8, v7
	v_cmp_lt_u32_e32 vcc_lo, 35, v5
	s_or_b32 s5, vcc_lo, s5
	s_waitcnt vmcnt(1) lgkmcnt(0)
	v_mul_f32_e32 v117, v114, v115
	v_mul_f32_e32 v115, v113, v115
	s_waitcnt vmcnt(0)
	v_fma_f32 v113, v113, v116, -v117
	v_fmac_f32_e32 v115, v114, v116
	v_add_f32_e32 v8, v8, v113
	v_add_f32_e32 v2, v2, v115
	s_andn2_b32 exec_lo, exec_lo, s5
	s_cbranch_execnz .LBB115_161
; %bb.162:
	s_or_b32 exec_lo, exec_lo, s5
	v_mov_b32_e32 v5, 0
	ds_read_b64 v[5:6], v5 offset:296
	s_waitcnt lgkmcnt(0)
	v_mul_f32_e32 v7, v2, v6
	v_mul_f32_e32 v6, v8, v6
	v_fma_f32 v7, v8, v5, -v7
	v_fmac_f32_e32 v6, v2, v5
	buffer_store_dword v7, off, s[0:3], 0 offset:296
	buffer_store_dword v6, off, s[0:3], 0 offset:300
.LBB115_163:
	s_or_b32 exec_lo, exec_lo, s4
	s_waitcnt_vscnt null, 0x0
	s_barrier
	buffer_gl0_inv
	s_clause 0x1
	buffer_load_dword v5, off, s[0:3], 0 offset:304
	buffer_load_dword v6, off, s[0:3], 0 offset:308
	s_mov_b32 s4, exec_lo
	s_waitcnt vmcnt(0)
	ds_write_b64 v4, v[5:6]
	s_waitcnt lgkmcnt(0)
	s_barrier
	buffer_gl0_inv
	v_cmpx_gt_u32_e32 38, v0
	s_cbranch_execz .LBB115_167
; %bb.164:
	v_add_nc_u32_e32 v5, -1, v0
	v_add_nc_u32_e32 v6, 0x1a0, v3
	v_mov_b32_e32 v7, v3
	v_mov_b32_e32 v2, 0
	;; [unrolled: 1-line block ×3, first 2 shown]
	s_mov_b32 s5, 0
	.p2align	6
.LBB115_165:                            ; =>This Inner Loop Header: Depth=1
	s_clause 0x1
	buffer_load_dword v115, v7, s[0:3], 0 offen offset:4
	buffer_load_dword v116, v7, s[0:3], 0 offen
	ds_read_b64 v[113:114], v6
	v_add_nc_u32_e32 v5, 1, v5
	v_add_nc_u32_e32 v6, 8, v6
	;; [unrolled: 1-line block ×3, first 2 shown]
	v_cmp_lt_u32_e32 vcc_lo, 36, v5
	s_or_b32 s5, vcc_lo, s5
	s_waitcnt vmcnt(1) lgkmcnt(0)
	v_mul_f32_e32 v117, v114, v115
	v_mul_f32_e32 v115, v113, v115
	s_waitcnt vmcnt(0)
	v_fma_f32 v113, v113, v116, -v117
	v_fmac_f32_e32 v115, v114, v116
	v_add_f32_e32 v8, v8, v113
	v_add_f32_e32 v2, v2, v115
	s_andn2_b32 exec_lo, exec_lo, s5
	s_cbranch_execnz .LBB115_165
; %bb.166:
	s_or_b32 exec_lo, exec_lo, s5
	v_mov_b32_e32 v5, 0
	ds_read_b64 v[5:6], v5 offset:304
	s_waitcnt lgkmcnt(0)
	v_mul_f32_e32 v7, v2, v6
	v_mul_f32_e32 v6, v8, v6
	v_fma_f32 v7, v8, v5, -v7
	v_fmac_f32_e32 v6, v2, v5
	buffer_store_dword v7, off, s[0:3], 0 offset:304
	buffer_store_dword v6, off, s[0:3], 0 offset:308
.LBB115_167:
	s_or_b32 exec_lo, exec_lo, s4
	s_waitcnt_vscnt null, 0x0
	s_barrier
	buffer_gl0_inv
	s_clause 0x1
	buffer_load_dword v5, off, s[0:3], 0 offset:312
	buffer_load_dword v6, off, s[0:3], 0 offset:316
	s_mov_b32 s4, exec_lo
	s_waitcnt vmcnt(0)
	ds_write_b64 v4, v[5:6]
	s_waitcnt lgkmcnt(0)
	s_barrier
	buffer_gl0_inv
	v_cmpx_gt_u32_e32 39, v0
	s_cbranch_execz .LBB115_171
; %bb.168:
	v_add_nc_u32_e32 v5, -1, v0
	v_add_nc_u32_e32 v6, 0x1a0, v3
	v_mov_b32_e32 v7, v3
	v_mov_b32_e32 v2, 0
	v_mov_b32_e32 v8, 0
	s_mov_b32 s5, 0
	.p2align	6
.LBB115_169:                            ; =>This Inner Loop Header: Depth=1
	s_clause 0x1
	buffer_load_dword v115, v7, s[0:3], 0 offen offset:4
	buffer_load_dword v116, v7, s[0:3], 0 offen
	ds_read_b64 v[113:114], v6
	v_add_nc_u32_e32 v5, 1, v5
	v_add_nc_u32_e32 v6, 8, v6
	;; [unrolled: 1-line block ×3, first 2 shown]
	v_cmp_lt_u32_e32 vcc_lo, 37, v5
	s_or_b32 s5, vcc_lo, s5
	s_waitcnt vmcnt(1) lgkmcnt(0)
	v_mul_f32_e32 v117, v114, v115
	v_mul_f32_e32 v115, v113, v115
	s_waitcnt vmcnt(0)
	v_fma_f32 v113, v113, v116, -v117
	v_fmac_f32_e32 v115, v114, v116
	v_add_f32_e32 v8, v8, v113
	v_add_f32_e32 v2, v2, v115
	s_andn2_b32 exec_lo, exec_lo, s5
	s_cbranch_execnz .LBB115_169
; %bb.170:
	s_or_b32 exec_lo, exec_lo, s5
	v_mov_b32_e32 v5, 0
	ds_read_b64 v[5:6], v5 offset:312
	s_waitcnt lgkmcnt(0)
	v_mul_f32_e32 v7, v2, v6
	v_mul_f32_e32 v6, v8, v6
	v_fma_f32 v7, v8, v5, -v7
	v_fmac_f32_e32 v6, v2, v5
	buffer_store_dword v7, off, s[0:3], 0 offset:312
	buffer_store_dword v6, off, s[0:3], 0 offset:316
.LBB115_171:
	s_or_b32 exec_lo, exec_lo, s4
	s_waitcnt_vscnt null, 0x0
	s_barrier
	buffer_gl0_inv
	s_clause 0x1
	buffer_load_dword v5, off, s[0:3], 0 offset:320
	buffer_load_dword v6, off, s[0:3], 0 offset:324
	s_mov_b32 s4, exec_lo
	s_waitcnt vmcnt(0)
	ds_write_b64 v4, v[5:6]
	s_waitcnt lgkmcnt(0)
	s_barrier
	buffer_gl0_inv
	v_cmpx_gt_u32_e32 40, v0
	s_cbranch_execz .LBB115_175
; %bb.172:
	v_add_nc_u32_e32 v5, -1, v0
	v_add_nc_u32_e32 v6, 0x1a0, v3
	v_mov_b32_e32 v7, v3
	v_mov_b32_e32 v2, 0
	;; [unrolled: 1-line block ×3, first 2 shown]
	s_mov_b32 s5, 0
	.p2align	6
.LBB115_173:                            ; =>This Inner Loop Header: Depth=1
	s_clause 0x1
	buffer_load_dword v115, v7, s[0:3], 0 offen offset:4
	buffer_load_dword v116, v7, s[0:3], 0 offen
	ds_read_b64 v[113:114], v6
	v_add_nc_u32_e32 v5, 1, v5
	v_add_nc_u32_e32 v6, 8, v6
	;; [unrolled: 1-line block ×3, first 2 shown]
	v_cmp_lt_u32_e32 vcc_lo, 38, v5
	s_or_b32 s5, vcc_lo, s5
	s_waitcnt vmcnt(1) lgkmcnt(0)
	v_mul_f32_e32 v117, v114, v115
	v_mul_f32_e32 v115, v113, v115
	s_waitcnt vmcnt(0)
	v_fma_f32 v113, v113, v116, -v117
	v_fmac_f32_e32 v115, v114, v116
	v_add_f32_e32 v8, v8, v113
	v_add_f32_e32 v2, v2, v115
	s_andn2_b32 exec_lo, exec_lo, s5
	s_cbranch_execnz .LBB115_173
; %bb.174:
	s_or_b32 exec_lo, exec_lo, s5
	v_mov_b32_e32 v5, 0
	ds_read_b64 v[5:6], v5 offset:320
	s_waitcnt lgkmcnt(0)
	v_mul_f32_e32 v7, v2, v6
	v_mul_f32_e32 v6, v8, v6
	v_fma_f32 v7, v8, v5, -v7
	v_fmac_f32_e32 v6, v2, v5
	buffer_store_dword v7, off, s[0:3], 0 offset:320
	buffer_store_dword v6, off, s[0:3], 0 offset:324
.LBB115_175:
	s_or_b32 exec_lo, exec_lo, s4
	s_waitcnt_vscnt null, 0x0
	s_barrier
	buffer_gl0_inv
	s_clause 0x1
	buffer_load_dword v5, off, s[0:3], 0 offset:328
	buffer_load_dword v6, off, s[0:3], 0 offset:332
	s_mov_b32 s4, exec_lo
	s_waitcnt vmcnt(0)
	ds_write_b64 v4, v[5:6]
	s_waitcnt lgkmcnt(0)
	s_barrier
	buffer_gl0_inv
	v_cmpx_gt_u32_e32 41, v0
	s_cbranch_execz .LBB115_179
; %bb.176:
	v_add_nc_u32_e32 v5, -1, v0
	v_add_nc_u32_e32 v6, 0x1a0, v3
	v_mov_b32_e32 v7, v3
	v_mov_b32_e32 v2, 0
	;; [unrolled: 1-line block ×3, first 2 shown]
	s_mov_b32 s5, 0
	.p2align	6
.LBB115_177:                            ; =>This Inner Loop Header: Depth=1
	s_clause 0x1
	buffer_load_dword v115, v7, s[0:3], 0 offen offset:4
	buffer_load_dword v116, v7, s[0:3], 0 offen
	ds_read_b64 v[113:114], v6
	v_add_nc_u32_e32 v5, 1, v5
	v_add_nc_u32_e32 v6, 8, v6
	;; [unrolled: 1-line block ×3, first 2 shown]
	v_cmp_lt_u32_e32 vcc_lo, 39, v5
	s_or_b32 s5, vcc_lo, s5
	s_waitcnt vmcnt(1) lgkmcnt(0)
	v_mul_f32_e32 v117, v114, v115
	v_mul_f32_e32 v115, v113, v115
	s_waitcnt vmcnt(0)
	v_fma_f32 v113, v113, v116, -v117
	v_fmac_f32_e32 v115, v114, v116
	v_add_f32_e32 v8, v8, v113
	v_add_f32_e32 v2, v2, v115
	s_andn2_b32 exec_lo, exec_lo, s5
	s_cbranch_execnz .LBB115_177
; %bb.178:
	s_or_b32 exec_lo, exec_lo, s5
	v_mov_b32_e32 v5, 0
	ds_read_b64 v[5:6], v5 offset:328
	s_waitcnt lgkmcnt(0)
	v_mul_f32_e32 v7, v2, v6
	v_mul_f32_e32 v6, v8, v6
	v_fma_f32 v7, v8, v5, -v7
	v_fmac_f32_e32 v6, v2, v5
	buffer_store_dword v7, off, s[0:3], 0 offset:328
	buffer_store_dword v6, off, s[0:3], 0 offset:332
.LBB115_179:
	s_or_b32 exec_lo, exec_lo, s4
	s_waitcnt_vscnt null, 0x0
	s_barrier
	buffer_gl0_inv
	s_clause 0x1
	buffer_load_dword v5, off, s[0:3], 0 offset:336
	buffer_load_dword v6, off, s[0:3], 0 offset:340
	s_mov_b32 s4, exec_lo
	s_waitcnt vmcnt(0)
	ds_write_b64 v4, v[5:6]
	s_waitcnt lgkmcnt(0)
	s_barrier
	buffer_gl0_inv
	v_cmpx_gt_u32_e32 42, v0
	s_cbranch_execz .LBB115_183
; %bb.180:
	v_add_nc_u32_e32 v5, -1, v0
	v_add_nc_u32_e32 v6, 0x1a0, v3
	v_mov_b32_e32 v7, v3
	v_mov_b32_e32 v2, 0
	;; [unrolled: 1-line block ×3, first 2 shown]
	s_mov_b32 s5, 0
	.p2align	6
.LBB115_181:                            ; =>This Inner Loop Header: Depth=1
	s_clause 0x1
	buffer_load_dword v115, v7, s[0:3], 0 offen offset:4
	buffer_load_dword v116, v7, s[0:3], 0 offen
	ds_read_b64 v[113:114], v6
	v_add_nc_u32_e32 v5, 1, v5
	v_add_nc_u32_e32 v6, 8, v6
	;; [unrolled: 1-line block ×3, first 2 shown]
	v_cmp_lt_u32_e32 vcc_lo, 40, v5
	s_or_b32 s5, vcc_lo, s5
	s_waitcnt vmcnt(1) lgkmcnt(0)
	v_mul_f32_e32 v117, v114, v115
	v_mul_f32_e32 v115, v113, v115
	s_waitcnt vmcnt(0)
	v_fma_f32 v113, v113, v116, -v117
	v_fmac_f32_e32 v115, v114, v116
	v_add_f32_e32 v8, v8, v113
	v_add_f32_e32 v2, v2, v115
	s_andn2_b32 exec_lo, exec_lo, s5
	s_cbranch_execnz .LBB115_181
; %bb.182:
	s_or_b32 exec_lo, exec_lo, s5
	v_mov_b32_e32 v5, 0
	ds_read_b64 v[5:6], v5 offset:336
	s_waitcnt lgkmcnt(0)
	v_mul_f32_e32 v7, v2, v6
	v_mul_f32_e32 v6, v8, v6
	v_fma_f32 v7, v8, v5, -v7
	v_fmac_f32_e32 v6, v2, v5
	buffer_store_dword v7, off, s[0:3], 0 offset:336
	buffer_store_dword v6, off, s[0:3], 0 offset:340
.LBB115_183:
	s_or_b32 exec_lo, exec_lo, s4
	s_waitcnt_vscnt null, 0x0
	s_barrier
	buffer_gl0_inv
	s_clause 0x1
	buffer_load_dword v5, off, s[0:3], 0 offset:344
	buffer_load_dword v6, off, s[0:3], 0 offset:348
	s_mov_b32 s4, exec_lo
	s_waitcnt vmcnt(0)
	ds_write_b64 v4, v[5:6]
	s_waitcnt lgkmcnt(0)
	s_barrier
	buffer_gl0_inv
	v_cmpx_gt_u32_e32 43, v0
	s_cbranch_execz .LBB115_187
; %bb.184:
	v_add_nc_u32_e32 v5, -1, v0
	v_add_nc_u32_e32 v6, 0x1a0, v3
	v_mov_b32_e32 v7, v3
	v_mov_b32_e32 v2, 0
	;; [unrolled: 1-line block ×3, first 2 shown]
	s_mov_b32 s5, 0
	.p2align	6
.LBB115_185:                            ; =>This Inner Loop Header: Depth=1
	s_clause 0x1
	buffer_load_dword v115, v7, s[0:3], 0 offen offset:4
	buffer_load_dword v116, v7, s[0:3], 0 offen
	ds_read_b64 v[113:114], v6
	v_add_nc_u32_e32 v5, 1, v5
	v_add_nc_u32_e32 v6, 8, v6
	;; [unrolled: 1-line block ×3, first 2 shown]
	v_cmp_lt_u32_e32 vcc_lo, 41, v5
	s_or_b32 s5, vcc_lo, s5
	s_waitcnt vmcnt(1) lgkmcnt(0)
	v_mul_f32_e32 v117, v114, v115
	v_mul_f32_e32 v115, v113, v115
	s_waitcnt vmcnt(0)
	v_fma_f32 v113, v113, v116, -v117
	v_fmac_f32_e32 v115, v114, v116
	v_add_f32_e32 v8, v8, v113
	v_add_f32_e32 v2, v2, v115
	s_andn2_b32 exec_lo, exec_lo, s5
	s_cbranch_execnz .LBB115_185
; %bb.186:
	s_or_b32 exec_lo, exec_lo, s5
	v_mov_b32_e32 v5, 0
	ds_read_b64 v[5:6], v5 offset:344
	s_waitcnt lgkmcnt(0)
	v_mul_f32_e32 v7, v2, v6
	v_mul_f32_e32 v6, v8, v6
	v_fma_f32 v7, v8, v5, -v7
	v_fmac_f32_e32 v6, v2, v5
	buffer_store_dword v7, off, s[0:3], 0 offset:344
	buffer_store_dword v6, off, s[0:3], 0 offset:348
.LBB115_187:
	s_or_b32 exec_lo, exec_lo, s4
	s_waitcnt_vscnt null, 0x0
	s_barrier
	buffer_gl0_inv
	s_clause 0x1
	buffer_load_dword v5, off, s[0:3], 0 offset:352
	buffer_load_dword v6, off, s[0:3], 0 offset:356
	s_mov_b32 s4, exec_lo
	s_waitcnt vmcnt(0)
	ds_write_b64 v4, v[5:6]
	s_waitcnt lgkmcnt(0)
	s_barrier
	buffer_gl0_inv
	v_cmpx_gt_u32_e32 44, v0
	s_cbranch_execz .LBB115_191
; %bb.188:
	v_add_nc_u32_e32 v5, -1, v0
	v_add_nc_u32_e32 v6, 0x1a0, v3
	v_mov_b32_e32 v7, v3
	v_mov_b32_e32 v2, 0
	;; [unrolled: 1-line block ×3, first 2 shown]
	s_mov_b32 s5, 0
	.p2align	6
.LBB115_189:                            ; =>This Inner Loop Header: Depth=1
	s_clause 0x1
	buffer_load_dword v115, v7, s[0:3], 0 offen offset:4
	buffer_load_dword v116, v7, s[0:3], 0 offen
	ds_read_b64 v[113:114], v6
	v_add_nc_u32_e32 v5, 1, v5
	v_add_nc_u32_e32 v6, 8, v6
	;; [unrolled: 1-line block ×3, first 2 shown]
	v_cmp_lt_u32_e32 vcc_lo, 42, v5
	s_or_b32 s5, vcc_lo, s5
	s_waitcnt vmcnt(1) lgkmcnt(0)
	v_mul_f32_e32 v117, v114, v115
	v_mul_f32_e32 v115, v113, v115
	s_waitcnt vmcnt(0)
	v_fma_f32 v113, v113, v116, -v117
	v_fmac_f32_e32 v115, v114, v116
	v_add_f32_e32 v8, v8, v113
	v_add_f32_e32 v2, v2, v115
	s_andn2_b32 exec_lo, exec_lo, s5
	s_cbranch_execnz .LBB115_189
; %bb.190:
	s_or_b32 exec_lo, exec_lo, s5
	v_mov_b32_e32 v5, 0
	ds_read_b64 v[5:6], v5 offset:352
	s_waitcnt lgkmcnt(0)
	v_mul_f32_e32 v7, v2, v6
	v_mul_f32_e32 v6, v8, v6
	v_fma_f32 v7, v8, v5, -v7
	v_fmac_f32_e32 v6, v2, v5
	buffer_store_dword v7, off, s[0:3], 0 offset:352
	buffer_store_dword v6, off, s[0:3], 0 offset:356
.LBB115_191:
	s_or_b32 exec_lo, exec_lo, s4
	s_waitcnt_vscnt null, 0x0
	s_barrier
	buffer_gl0_inv
	s_clause 0x1
	buffer_load_dword v5, off, s[0:3], 0 offset:360
	buffer_load_dword v6, off, s[0:3], 0 offset:364
	s_mov_b32 s4, exec_lo
	s_waitcnt vmcnt(0)
	ds_write_b64 v4, v[5:6]
	s_waitcnt lgkmcnt(0)
	s_barrier
	buffer_gl0_inv
	v_cmpx_gt_u32_e32 45, v0
	s_cbranch_execz .LBB115_195
; %bb.192:
	v_add_nc_u32_e32 v5, -1, v0
	v_add_nc_u32_e32 v6, 0x1a0, v3
	v_mov_b32_e32 v7, v3
	v_mov_b32_e32 v2, 0
	;; [unrolled: 1-line block ×3, first 2 shown]
	s_mov_b32 s5, 0
	.p2align	6
.LBB115_193:                            ; =>This Inner Loop Header: Depth=1
	s_clause 0x1
	buffer_load_dword v115, v7, s[0:3], 0 offen offset:4
	buffer_load_dword v116, v7, s[0:3], 0 offen
	ds_read_b64 v[113:114], v6
	v_add_nc_u32_e32 v5, 1, v5
	v_add_nc_u32_e32 v6, 8, v6
	v_add_nc_u32_e32 v7, 8, v7
	v_cmp_lt_u32_e32 vcc_lo, 43, v5
	s_or_b32 s5, vcc_lo, s5
	s_waitcnt vmcnt(1) lgkmcnt(0)
	v_mul_f32_e32 v117, v114, v115
	v_mul_f32_e32 v115, v113, v115
	s_waitcnt vmcnt(0)
	v_fma_f32 v113, v113, v116, -v117
	v_fmac_f32_e32 v115, v114, v116
	v_add_f32_e32 v8, v8, v113
	v_add_f32_e32 v2, v2, v115
	s_andn2_b32 exec_lo, exec_lo, s5
	s_cbranch_execnz .LBB115_193
; %bb.194:
	s_or_b32 exec_lo, exec_lo, s5
	v_mov_b32_e32 v5, 0
	ds_read_b64 v[5:6], v5 offset:360
	s_waitcnt lgkmcnt(0)
	v_mul_f32_e32 v7, v2, v6
	v_mul_f32_e32 v6, v8, v6
	v_fma_f32 v7, v8, v5, -v7
	v_fmac_f32_e32 v6, v2, v5
	buffer_store_dword v7, off, s[0:3], 0 offset:360
	buffer_store_dword v6, off, s[0:3], 0 offset:364
.LBB115_195:
	s_or_b32 exec_lo, exec_lo, s4
	s_waitcnt_vscnt null, 0x0
	s_barrier
	buffer_gl0_inv
	s_clause 0x1
	buffer_load_dword v5, off, s[0:3], 0 offset:368
	buffer_load_dword v6, off, s[0:3], 0 offset:372
	s_mov_b32 s4, exec_lo
	s_waitcnt vmcnt(0)
	ds_write_b64 v4, v[5:6]
	s_waitcnt lgkmcnt(0)
	s_barrier
	buffer_gl0_inv
	v_cmpx_gt_u32_e32 46, v0
	s_cbranch_execz .LBB115_199
; %bb.196:
	v_add_nc_u32_e32 v5, -1, v0
	v_add_nc_u32_e32 v6, 0x1a0, v3
	v_mov_b32_e32 v7, v3
	v_mov_b32_e32 v2, 0
	;; [unrolled: 1-line block ×3, first 2 shown]
	s_mov_b32 s5, 0
	.p2align	6
.LBB115_197:                            ; =>This Inner Loop Header: Depth=1
	s_clause 0x1
	buffer_load_dword v115, v7, s[0:3], 0 offen offset:4
	buffer_load_dword v116, v7, s[0:3], 0 offen
	ds_read_b64 v[113:114], v6
	v_add_nc_u32_e32 v5, 1, v5
	v_add_nc_u32_e32 v6, 8, v6
	;; [unrolled: 1-line block ×3, first 2 shown]
	v_cmp_lt_u32_e32 vcc_lo, 44, v5
	s_or_b32 s5, vcc_lo, s5
	s_waitcnt vmcnt(1) lgkmcnt(0)
	v_mul_f32_e32 v117, v114, v115
	v_mul_f32_e32 v115, v113, v115
	s_waitcnt vmcnt(0)
	v_fma_f32 v113, v113, v116, -v117
	v_fmac_f32_e32 v115, v114, v116
	v_add_f32_e32 v8, v8, v113
	v_add_f32_e32 v2, v2, v115
	s_andn2_b32 exec_lo, exec_lo, s5
	s_cbranch_execnz .LBB115_197
; %bb.198:
	s_or_b32 exec_lo, exec_lo, s5
	v_mov_b32_e32 v5, 0
	ds_read_b64 v[5:6], v5 offset:368
	s_waitcnt lgkmcnt(0)
	v_mul_f32_e32 v7, v2, v6
	v_mul_f32_e32 v6, v8, v6
	v_fma_f32 v7, v8, v5, -v7
	v_fmac_f32_e32 v6, v2, v5
	buffer_store_dword v7, off, s[0:3], 0 offset:368
	buffer_store_dword v6, off, s[0:3], 0 offset:372
.LBB115_199:
	s_or_b32 exec_lo, exec_lo, s4
	s_waitcnt_vscnt null, 0x0
	s_barrier
	buffer_gl0_inv
	s_clause 0x1
	buffer_load_dword v5, off, s[0:3], 0 offset:376
	buffer_load_dword v6, off, s[0:3], 0 offset:380
	s_mov_b32 s4, exec_lo
	s_waitcnt vmcnt(0)
	ds_write_b64 v4, v[5:6]
	s_waitcnt lgkmcnt(0)
	s_barrier
	buffer_gl0_inv
	v_cmpx_gt_u32_e32 47, v0
	s_cbranch_execz .LBB115_203
; %bb.200:
	v_add_nc_u32_e32 v5, -1, v0
	v_add_nc_u32_e32 v6, 0x1a0, v3
	v_mov_b32_e32 v7, v3
	v_mov_b32_e32 v2, 0
	v_mov_b32_e32 v8, 0
	s_mov_b32 s5, 0
	.p2align	6
.LBB115_201:                            ; =>This Inner Loop Header: Depth=1
	s_clause 0x1
	buffer_load_dword v115, v7, s[0:3], 0 offen offset:4
	buffer_load_dword v116, v7, s[0:3], 0 offen
	ds_read_b64 v[113:114], v6
	v_add_nc_u32_e32 v5, 1, v5
	v_add_nc_u32_e32 v6, 8, v6
	;; [unrolled: 1-line block ×3, first 2 shown]
	v_cmp_lt_u32_e32 vcc_lo, 45, v5
	s_or_b32 s5, vcc_lo, s5
	s_waitcnt vmcnt(1) lgkmcnt(0)
	v_mul_f32_e32 v117, v114, v115
	v_mul_f32_e32 v115, v113, v115
	s_waitcnt vmcnt(0)
	v_fma_f32 v113, v113, v116, -v117
	v_fmac_f32_e32 v115, v114, v116
	v_add_f32_e32 v8, v8, v113
	v_add_f32_e32 v2, v2, v115
	s_andn2_b32 exec_lo, exec_lo, s5
	s_cbranch_execnz .LBB115_201
; %bb.202:
	s_or_b32 exec_lo, exec_lo, s5
	v_mov_b32_e32 v5, 0
	ds_read_b64 v[5:6], v5 offset:376
	s_waitcnt lgkmcnt(0)
	v_mul_f32_e32 v7, v2, v6
	v_mul_f32_e32 v6, v8, v6
	v_fma_f32 v7, v8, v5, -v7
	v_fmac_f32_e32 v6, v2, v5
	buffer_store_dword v7, off, s[0:3], 0 offset:376
	buffer_store_dword v6, off, s[0:3], 0 offset:380
.LBB115_203:
	s_or_b32 exec_lo, exec_lo, s4
	s_waitcnt_vscnt null, 0x0
	s_barrier
	buffer_gl0_inv
	s_clause 0x1
	buffer_load_dword v5, off, s[0:3], 0 offset:384
	buffer_load_dword v6, off, s[0:3], 0 offset:388
	s_mov_b32 s4, exec_lo
	s_waitcnt vmcnt(0)
	ds_write_b64 v4, v[5:6]
	s_waitcnt lgkmcnt(0)
	s_barrier
	buffer_gl0_inv
	v_cmpx_gt_u32_e32 48, v0
	s_cbranch_execz .LBB115_207
; %bb.204:
	v_add_nc_u32_e32 v5, -1, v0
	v_add_nc_u32_e32 v6, 0x1a0, v3
	v_mov_b32_e32 v7, v3
	v_mov_b32_e32 v2, 0
	;; [unrolled: 1-line block ×3, first 2 shown]
	s_mov_b32 s5, 0
	.p2align	6
.LBB115_205:                            ; =>This Inner Loop Header: Depth=1
	s_clause 0x1
	buffer_load_dword v115, v7, s[0:3], 0 offen offset:4
	buffer_load_dword v116, v7, s[0:3], 0 offen
	ds_read_b64 v[113:114], v6
	v_add_nc_u32_e32 v5, 1, v5
	v_add_nc_u32_e32 v6, 8, v6
	;; [unrolled: 1-line block ×3, first 2 shown]
	v_cmp_lt_u32_e32 vcc_lo, 46, v5
	s_or_b32 s5, vcc_lo, s5
	s_waitcnt vmcnt(1) lgkmcnt(0)
	v_mul_f32_e32 v117, v114, v115
	v_mul_f32_e32 v115, v113, v115
	s_waitcnt vmcnt(0)
	v_fma_f32 v113, v113, v116, -v117
	v_fmac_f32_e32 v115, v114, v116
	v_add_f32_e32 v8, v8, v113
	v_add_f32_e32 v2, v2, v115
	s_andn2_b32 exec_lo, exec_lo, s5
	s_cbranch_execnz .LBB115_205
; %bb.206:
	s_or_b32 exec_lo, exec_lo, s5
	v_mov_b32_e32 v5, 0
	ds_read_b64 v[5:6], v5 offset:384
	s_waitcnt lgkmcnt(0)
	v_mul_f32_e32 v7, v2, v6
	v_mul_f32_e32 v6, v8, v6
	v_fma_f32 v7, v8, v5, -v7
	v_fmac_f32_e32 v6, v2, v5
	buffer_store_dword v7, off, s[0:3], 0 offset:384
	buffer_store_dword v6, off, s[0:3], 0 offset:388
.LBB115_207:
	s_or_b32 exec_lo, exec_lo, s4
	s_waitcnt_vscnt null, 0x0
	s_barrier
	buffer_gl0_inv
	s_clause 0x1
	buffer_load_dword v5, off, s[0:3], 0 offset:392
	buffer_load_dword v6, off, s[0:3], 0 offset:396
	s_mov_b32 s4, exec_lo
	s_waitcnt vmcnt(0)
	ds_write_b64 v4, v[5:6]
	s_waitcnt lgkmcnt(0)
	s_barrier
	buffer_gl0_inv
	v_cmpx_gt_u32_e32 49, v0
	s_cbranch_execz .LBB115_211
; %bb.208:
	v_add_nc_u32_e32 v5, -1, v0
	v_add_nc_u32_e32 v6, 0x1a0, v3
	v_mov_b32_e32 v7, v3
	v_mov_b32_e32 v2, 0
	;; [unrolled: 1-line block ×3, first 2 shown]
	s_mov_b32 s5, 0
	.p2align	6
.LBB115_209:                            ; =>This Inner Loop Header: Depth=1
	s_clause 0x1
	buffer_load_dword v115, v7, s[0:3], 0 offen offset:4
	buffer_load_dword v116, v7, s[0:3], 0 offen
	ds_read_b64 v[113:114], v6
	v_add_nc_u32_e32 v5, 1, v5
	v_add_nc_u32_e32 v6, 8, v6
	;; [unrolled: 1-line block ×3, first 2 shown]
	v_cmp_lt_u32_e32 vcc_lo, 47, v5
	s_or_b32 s5, vcc_lo, s5
	s_waitcnt vmcnt(1) lgkmcnt(0)
	v_mul_f32_e32 v117, v114, v115
	v_mul_f32_e32 v115, v113, v115
	s_waitcnt vmcnt(0)
	v_fma_f32 v113, v113, v116, -v117
	v_fmac_f32_e32 v115, v114, v116
	v_add_f32_e32 v8, v8, v113
	v_add_f32_e32 v2, v2, v115
	s_andn2_b32 exec_lo, exec_lo, s5
	s_cbranch_execnz .LBB115_209
; %bb.210:
	s_or_b32 exec_lo, exec_lo, s5
	v_mov_b32_e32 v5, 0
	ds_read_b64 v[5:6], v5 offset:392
	s_waitcnt lgkmcnt(0)
	v_mul_f32_e32 v7, v2, v6
	v_mul_f32_e32 v6, v8, v6
	v_fma_f32 v7, v8, v5, -v7
	v_fmac_f32_e32 v6, v2, v5
	buffer_store_dword v7, off, s[0:3], 0 offset:392
	buffer_store_dword v6, off, s[0:3], 0 offset:396
.LBB115_211:
	s_or_b32 exec_lo, exec_lo, s4
	s_waitcnt_vscnt null, 0x0
	s_barrier
	buffer_gl0_inv
	s_clause 0x1
	buffer_load_dword v5, off, s[0:3], 0 offset:400
	buffer_load_dword v6, off, s[0:3], 0 offset:404
	s_mov_b32 s4, exec_lo
	s_waitcnt vmcnt(0)
	ds_write_b64 v4, v[5:6]
	s_waitcnt lgkmcnt(0)
	s_barrier
	buffer_gl0_inv
	v_cmpx_gt_u32_e32 50, v0
	s_cbranch_execz .LBB115_215
; %bb.212:
	v_add_nc_u32_e32 v5, -1, v0
	v_add_nc_u32_e32 v6, 0x1a0, v3
	v_mov_b32_e32 v7, v3
	v_mov_b32_e32 v2, 0
	;; [unrolled: 1-line block ×3, first 2 shown]
	s_mov_b32 s5, 0
	.p2align	6
.LBB115_213:                            ; =>This Inner Loop Header: Depth=1
	s_clause 0x1
	buffer_load_dword v115, v7, s[0:3], 0 offen offset:4
	buffer_load_dword v116, v7, s[0:3], 0 offen
	ds_read_b64 v[113:114], v6
	v_add_nc_u32_e32 v5, 1, v5
	v_add_nc_u32_e32 v6, 8, v6
	;; [unrolled: 1-line block ×3, first 2 shown]
	v_cmp_lt_u32_e32 vcc_lo, 48, v5
	s_or_b32 s5, vcc_lo, s5
	s_waitcnt vmcnt(1) lgkmcnt(0)
	v_mul_f32_e32 v117, v114, v115
	v_mul_f32_e32 v115, v113, v115
	s_waitcnt vmcnt(0)
	v_fma_f32 v113, v113, v116, -v117
	v_fmac_f32_e32 v115, v114, v116
	v_add_f32_e32 v8, v8, v113
	v_add_f32_e32 v2, v2, v115
	s_andn2_b32 exec_lo, exec_lo, s5
	s_cbranch_execnz .LBB115_213
; %bb.214:
	s_or_b32 exec_lo, exec_lo, s5
	v_mov_b32_e32 v5, 0
	ds_read_b64 v[5:6], v5 offset:400
	s_waitcnt lgkmcnt(0)
	v_mul_f32_e32 v7, v2, v6
	v_mul_f32_e32 v6, v8, v6
	v_fma_f32 v7, v8, v5, -v7
	v_fmac_f32_e32 v6, v2, v5
	buffer_store_dword v7, off, s[0:3], 0 offset:400
	buffer_store_dword v6, off, s[0:3], 0 offset:404
.LBB115_215:
	s_or_b32 exec_lo, exec_lo, s4
	s_waitcnt_vscnt null, 0x0
	s_barrier
	buffer_gl0_inv
	s_clause 0x1
	buffer_load_dword v5, off, s[0:3], 0 offset:408
	buffer_load_dword v6, off, s[0:3], 0 offset:412
	s_mov_b32 s4, exec_lo
	s_waitcnt vmcnt(0)
	ds_write_b64 v4, v[5:6]
	s_waitcnt lgkmcnt(0)
	s_barrier
	buffer_gl0_inv
	v_cmpx_ne_u32_e32 51, v0
	s_cbranch_execz .LBB115_219
; %bb.216:
	v_mov_b32_e32 v2, 0
	v_mov_b32_e32 v5, 0
	s_mov_b32 s5, 0
	.p2align	6
.LBB115_217:                            ; =>This Inner Loop Header: Depth=1
	s_clause 0x1
	buffer_load_dword v8, v3, s[0:3], 0 offen offset:4
	buffer_load_dword v113, v3, s[0:3], 0 offen
	ds_read_b64 v[6:7], v4
	v_add_nc_u32_e32 v1, 1, v1
	v_add_nc_u32_e32 v4, 8, v4
	;; [unrolled: 1-line block ×3, first 2 shown]
	v_cmp_lt_u32_e32 vcc_lo, 49, v1
	s_or_b32 s5, vcc_lo, s5
	s_waitcnt vmcnt(1) lgkmcnt(0)
	v_mul_f32_e32 v114, v7, v8
	v_mul_f32_e32 v8, v6, v8
	s_waitcnt vmcnt(0)
	v_fma_f32 v6, v6, v113, -v114
	v_fmac_f32_e32 v8, v7, v113
	v_add_f32_e32 v5, v5, v6
	v_add_f32_e32 v2, v2, v8
	s_andn2_b32 exec_lo, exec_lo, s5
	s_cbranch_execnz .LBB115_217
; %bb.218:
	s_or_b32 exec_lo, exec_lo, s5
	v_mov_b32_e32 v1, 0
	ds_read_b64 v[3:4], v1 offset:408
	s_waitcnt lgkmcnt(0)
	v_mul_f32_e32 v1, v2, v4
	v_mul_f32_e32 v4, v5, v4
	v_fma_f32 v1, v5, v3, -v1
	v_fmac_f32_e32 v4, v2, v3
	buffer_store_dword v1, off, s[0:3], 0 offset:408
	buffer_store_dword v4, off, s[0:3], 0 offset:412
.LBB115_219:
	s_or_b32 exec_lo, exec_lo, s4
	s_mov_b32 s5, -1
	s_waitcnt_vscnt null, 0x0
	s_barrier
	buffer_gl0_inv
.LBB115_220:
	s_and_b32 vcc_lo, exec_lo, s5
	s_cbranch_vccz .LBB115_222
; %bb.221:
	s_lshl_b64 s[4:5], s[6:7], 2
	v_mov_b32_e32 v1, 0
	s_add_u32 s4, s10, s4
	s_addc_u32 s5, s11, s5
	global_load_dword v1, v1, s[4:5]
	s_waitcnt vmcnt(0)
	v_cmp_ne_u32_e32 vcc_lo, 0, v1
	s_cbranch_vccz .LBB115_223
.LBB115_222:
	s_endpgm
.LBB115_223:
	v_lshl_add_u32 v113, v0, 3, 0x1a0
	s_mov_b32 s4, exec_lo
	v_cmpx_eq_u32_e32 51, v0
	s_cbranch_execz .LBB115_225
; %bb.224:
	s_clause 0x1
	buffer_load_dword v1, off, s[0:3], 0 offset:400
	buffer_load_dword v2, off, s[0:3], 0 offset:404
	v_mov_b32_e32 v3, 0
	buffer_store_dword v3, off, s[0:3], 0 offset:400
	buffer_store_dword v3, off, s[0:3], 0 offset:404
	s_waitcnt vmcnt(0)
	ds_write_b64 v113, v[1:2]
.LBB115_225:
	s_or_b32 exec_lo, exec_lo, s4
	s_waitcnt lgkmcnt(0)
	s_waitcnt_vscnt null, 0x0
	s_barrier
	buffer_gl0_inv
	s_clause 0x3
	buffer_load_dword v4, off, s[0:3], 0 offset:412
	buffer_load_dword v5, off, s[0:3], 0 offset:408
	;; [unrolled: 1-line block ×4, first 2 shown]
	v_mov_b32_e32 v1, 0
	s_mov_b32 s4, exec_lo
	ds_read_b64 v[2:3], v1 offset:824
	s_waitcnt vmcnt(3) lgkmcnt(0)
	v_mul_f32_e32 v8, v3, v4
	v_mul_f32_e32 v4, v2, v4
	s_waitcnt vmcnt(2)
	v_fma_f32 v2, v2, v5, -v8
	v_fmac_f32_e32 v4, v3, v5
	v_add_f32_e32 v2, 0, v2
	v_add_f32_e32 v3, 0, v4
	s_waitcnt vmcnt(1)
	v_sub_f32_e32 v2, v6, v2
	s_waitcnt vmcnt(0)
	v_sub_f32_e32 v3, v7, v3
	buffer_store_dword v2, off, s[0:3], 0 offset:400
	buffer_store_dword v3, off, s[0:3], 0 offset:404
	v_cmpx_lt_u32_e32 49, v0
	s_cbranch_execz .LBB115_227
; %bb.226:
	s_clause 0x1
	buffer_load_dword v2, off, s[0:3], 0 offset:392
	buffer_load_dword v3, off, s[0:3], 0 offset:396
	buffer_store_dword v1, off, s[0:3], 0 offset:392
	buffer_store_dword v1, off, s[0:3], 0 offset:396
	s_waitcnt vmcnt(0)
	ds_write_b64 v113, v[2:3]
.LBB115_227:
	s_or_b32 exec_lo, exec_lo, s4
	s_waitcnt lgkmcnt(0)
	s_waitcnt_vscnt null, 0x0
	s_barrier
	buffer_gl0_inv
	s_clause 0x5
	buffer_load_dword v5, off, s[0:3], 0 offset:404
	buffer_load_dword v6, off, s[0:3], 0 offset:412
	;; [unrolled: 1-line block ×6, first 2 shown]
	ds_read_b128 v[1:4], v1 offset:816
	s_mov_b32 s4, exec_lo
	s_waitcnt vmcnt(5) lgkmcnt(0)
	v_mul_f32_e32 v116, v2, v5
	v_mul_f32_e32 v5, v1, v5
	s_waitcnt vmcnt(4)
	v_mul_f32_e32 v117, v3, v6
	v_mul_f32_e32 v6, v4, v6
	s_waitcnt vmcnt(3)
	v_fma_f32 v1, v1, v7, -v116
	v_fmac_f32_e32 v5, v2, v7
	s_waitcnt vmcnt(2)
	v_fmac_f32_e32 v117, v4, v8
	v_fma_f32 v2, v3, v8, -v6
	v_add_f32_e32 v1, 0, v1
	v_add_f32_e32 v3, 0, v5
	;; [unrolled: 1-line block ×4, first 2 shown]
	s_waitcnt vmcnt(1)
	v_sub_f32_e32 v1, v114, v1
	s_waitcnt vmcnt(0)
	v_sub_f32_e32 v2, v115, v2
	buffer_store_dword v1, off, s[0:3], 0 offset:392
	buffer_store_dword v2, off, s[0:3], 0 offset:396
	v_cmpx_lt_u32_e32 48, v0
	s_cbranch_execz .LBB115_229
; %bb.228:
	s_clause 0x1
	buffer_load_dword v1, off, s[0:3], 0 offset:384
	buffer_load_dword v2, off, s[0:3], 0 offset:388
	v_mov_b32_e32 v3, 0
	buffer_store_dword v3, off, s[0:3], 0 offset:384
	buffer_store_dword v3, off, s[0:3], 0 offset:388
	s_waitcnt vmcnt(0)
	ds_write_b64 v113, v[1:2]
.LBB115_229:
	s_or_b32 exec_lo, exec_lo, s4
	s_waitcnt lgkmcnt(0)
	s_waitcnt_vscnt null, 0x0
	s_barrier
	buffer_gl0_inv
	s_clause 0x7
	buffer_load_dword v8, off, s[0:3], 0 offset:396
	buffer_load_dword v114, off, s[0:3], 0 offset:404
	;; [unrolled: 1-line block ×8, first 2 shown]
	v_mov_b32_e32 v1, 0
	ds_read2_b64 v[2:5], v1 offset0:101 offset1:102
	ds_read_b64 v[6:7], v1 offset:824
	s_mov_b32 s4, exec_lo
	s_waitcnt vmcnt(7) lgkmcnt(1)
	v_mul_f32_e32 v121, v3, v8
	v_mul_f32_e32 v8, v2, v8
	s_waitcnt vmcnt(6)
	v_mul_f32_e32 v122, v4, v114
	v_mul_f32_e32 v114, v5, v114
	s_waitcnt vmcnt(5) lgkmcnt(0)
	v_mul_f32_e32 v123, v6, v115
	s_waitcnt vmcnt(4)
	v_fma_f32 v2, v2, v116, -v121
	v_fmac_f32_e32 v8, v3, v116
	v_mul_f32_e32 v3, v7, v115
	s_waitcnt vmcnt(3)
	v_fma_f32 v4, v4, v117, -v114
	v_fmac_f32_e32 v122, v5, v117
	v_add_f32_e32 v2, 0, v2
	v_add_f32_e32 v5, 0, v8
	s_waitcnt vmcnt(2)
	v_fma_f32 v3, v6, v118, -v3
	v_fmac_f32_e32 v123, v7, v118
	v_add_f32_e32 v2, v2, v4
	v_add_f32_e32 v4, v5, v122
	;; [unrolled: 1-line block ×4, first 2 shown]
	s_waitcnt vmcnt(1)
	v_sub_f32_e32 v2, v119, v2
	s_waitcnt vmcnt(0)
	v_sub_f32_e32 v3, v120, v3
	buffer_store_dword v2, off, s[0:3], 0 offset:384
	buffer_store_dword v3, off, s[0:3], 0 offset:388
	v_cmpx_lt_u32_e32 47, v0
	s_cbranch_execz .LBB115_231
; %bb.230:
	s_clause 0x1
	buffer_load_dword v2, off, s[0:3], 0 offset:376
	buffer_load_dword v3, off, s[0:3], 0 offset:380
	buffer_store_dword v1, off, s[0:3], 0 offset:376
	buffer_store_dword v1, off, s[0:3], 0 offset:380
	s_waitcnt vmcnt(0)
	ds_write_b64 v113, v[2:3]
.LBB115_231:
	s_or_b32 exec_lo, exec_lo, s4
	s_waitcnt lgkmcnt(0)
	s_waitcnt_vscnt null, 0x0
	s_barrier
	buffer_gl0_inv
	s_clause 0x9
	buffer_load_dword v6, off, s[0:3], 0 offset:388
	buffer_load_dword v7, off, s[0:3], 0 offset:396
	;; [unrolled: 1-line block ×10, first 2 shown]
	ds_read_b128 v[2:5], v1 offset:800
	ds_read_b128 v[114:117], v1 offset:816
	s_mov_b32 s4, exec_lo
	s_waitcnt vmcnt(9) lgkmcnt(1)
	v_mul_f32_e32 v1, v2, v6
	v_mul_f32_e32 v6, v3, v6
	s_waitcnt vmcnt(8)
	v_mul_f32_e32 v125, v4, v7
	v_mul_f32_e32 v7, v5, v7
	s_waitcnt vmcnt(7) lgkmcnt(0)
	v_mul_f32_e32 v126, v114, v8
	s_waitcnt vmcnt(5)
	v_fmac_f32_e32 v1, v3, v119
	v_fma_f32 v2, v2, v119, -v6
	v_mul_f32_e32 v3, v115, v8
	s_waitcnt vmcnt(4)
	v_fma_f32 v4, v4, v120, -v7
	v_fmac_f32_e32 v125, v5, v120
	v_add_f32_e32 v1, 0, v1
	v_add_f32_e32 v2, 0, v2
	v_mul_f32_e32 v5, v117, v118
	s_waitcnt vmcnt(3)
	v_fma_f32 v3, v114, v121, -v3
	v_mul_f32_e32 v127, v116, v118
	v_fmac_f32_e32 v126, v115, v121
	v_add_f32_e32 v2, v2, v4
	v_add_f32_e32 v1, v1, v125
	s_waitcnt vmcnt(2)
	v_fma_f32 v4, v116, v122, -v5
	v_fmac_f32_e32 v127, v117, v122
	v_add_f32_e32 v2, v2, v3
	v_add_f32_e32 v1, v1, v126
	v_add_f32_e32 v2, v2, v4
	v_add_f32_e32 v1, v1, v127
	s_waitcnt vmcnt(1)
	v_sub_f32_e32 v2, v123, v2
	s_waitcnt vmcnt(0)
	v_sub_f32_e32 v1, v124, v1
	buffer_store_dword v2, off, s[0:3], 0 offset:376
	buffer_store_dword v1, off, s[0:3], 0 offset:380
	v_cmpx_lt_u32_e32 46, v0
	s_cbranch_execz .LBB115_233
; %bb.232:
	s_clause 0x1
	buffer_load_dword v1, off, s[0:3], 0 offset:368
	buffer_load_dword v2, off, s[0:3], 0 offset:372
	v_mov_b32_e32 v3, 0
	buffer_store_dword v3, off, s[0:3], 0 offset:368
	buffer_store_dword v3, off, s[0:3], 0 offset:372
	s_waitcnt vmcnt(0)
	ds_write_b64 v113, v[1:2]
.LBB115_233:
	s_or_b32 exec_lo, exec_lo, s4
	s_waitcnt lgkmcnt(0)
	s_waitcnt_vscnt null, 0x0
	s_barrier
	buffer_gl0_inv
	s_clause 0xb
	buffer_load_dword v8, off, s[0:3], 0 offset:380
	buffer_load_dword v118, off, s[0:3], 0 offset:388
	;; [unrolled: 1-line block ×12, first 2 shown]
	v_mov_b32_e32 v1, 0
	ds_read2_b64 v[2:5], v1 offset0:99 offset1:100
	ds_read2_b64 v[114:117], v1 offset0:101 offset1:102
	ds_read_b64 v[6:7], v1 offset:824
	s_mov_b32 s4, exec_lo
	s_waitcnt vmcnt(11) lgkmcnt(2)
	v_mul_f32_e32 v129, v2, v8
	v_mul_f32_e32 v8, v3, v8
	s_waitcnt vmcnt(10)
	v_mul_f32_e32 v130, v4, v118
	v_mul_f32_e32 v118, v5, v118
	s_waitcnt vmcnt(9) lgkmcnt(1)
	v_mul_f32_e32 v131, v114, v119
	s_waitcnt vmcnt(6)
	v_fmac_f32_e32 v129, v3, v122
	v_fma_f32 v2, v2, v122, -v8
	v_mul_f32_e32 v3, v115, v119
	s_waitcnt vmcnt(5)
	v_fma_f32 v4, v4, v123, -v118
	v_fmac_f32_e32 v130, v5, v123
	v_add_f32_e32 v5, 0, v129
	v_add_f32_e32 v2, 0, v2
	v_mul_f32_e32 v8, v117, v120
	s_waitcnt vmcnt(4)
	v_fma_f32 v3, v114, v124, -v3
	v_mul_f32_e32 v132, v116, v120
	v_fmac_f32_e32 v131, v115, v124
	v_add_f32_e32 v2, v2, v4
	v_add_f32_e32 v4, v5, v130
	s_waitcnt lgkmcnt(0)
	v_mul_f32_e32 v5, v7, v121
	s_waitcnt vmcnt(3)
	v_fma_f32 v8, v116, v125, -v8
	v_mul_f32_e32 v133, v6, v121
	v_add_f32_e32 v2, v2, v3
	v_fmac_f32_e32 v132, v117, v125
	v_add_f32_e32 v3, v4, v131
	s_waitcnt vmcnt(2)
	v_fma_f32 v4, v6, v126, -v5
	v_fmac_f32_e32 v133, v7, v126
	v_add_f32_e32 v2, v2, v8
	v_add_f32_e32 v3, v3, v132
	;; [unrolled: 1-line block ×4, first 2 shown]
	s_waitcnt vmcnt(1)
	v_sub_f32_e32 v2, v127, v2
	s_waitcnt vmcnt(0)
	v_sub_f32_e32 v3, v128, v3
	buffer_store_dword v2, off, s[0:3], 0 offset:368
	buffer_store_dword v3, off, s[0:3], 0 offset:372
	v_cmpx_lt_u32_e32 45, v0
	s_cbranch_execz .LBB115_235
; %bb.234:
	s_clause 0x1
	buffer_load_dword v2, off, s[0:3], 0 offset:360
	buffer_load_dword v3, off, s[0:3], 0 offset:364
	buffer_store_dword v1, off, s[0:3], 0 offset:360
	buffer_store_dword v1, off, s[0:3], 0 offset:364
	s_waitcnt vmcnt(0)
	ds_write_b64 v113, v[2:3]
.LBB115_235:
	s_or_b32 exec_lo, exec_lo, s4
	s_waitcnt lgkmcnt(0)
	s_waitcnt_vscnt null, 0x0
	s_barrier
	buffer_gl0_inv
	s_clause 0xd
	buffer_load_dword v6, off, s[0:3], 0 offset:372
	buffer_load_dword v7, off, s[0:3], 0 offset:380
	;; [unrolled: 1-line block ×14, first 2 shown]
	ds_read_b128 v[2:5], v1 offset:784
	ds_read_b128 v[114:117], v1 offset:800
	;; [unrolled: 1-line block ×3, first 2 shown]
	s_mov_b32 s4, exec_lo
	s_waitcnt vmcnt(13) lgkmcnt(2)
	v_mul_f32_e32 v1, v2, v6
	v_mul_f32_e32 v6, v3, v6
	s_waitcnt vmcnt(12)
	v_mul_f32_e32 v133, v4, v7
	v_mul_f32_e32 v7, v5, v7
	s_waitcnt vmcnt(11) lgkmcnt(1)
	v_mul_f32_e32 v134, v114, v8
	s_waitcnt vmcnt(10)
	v_mul_f32_e32 v135, v116, v122
	s_waitcnt vmcnt(7)
	v_fma_f32 v2, v2, v125, -v6
	v_fmac_f32_e32 v1, v3, v125
	v_mul_f32_e32 v3, v115, v8
	s_waitcnt vmcnt(6)
	v_fma_f32 v4, v4, v126, -v7
	v_fmac_f32_e32 v133, v5, v126
	v_add_f32_e32 v2, 0, v2
	v_add_f32_e32 v1, 0, v1
	v_mul_f32_e32 v5, v117, v122
	s_waitcnt vmcnt(5)
	v_fma_f32 v3, v114, v127, -v3
	v_fmac_f32_e32 v134, v115, v127
	v_add_f32_e32 v2, v2, v4
	v_add_f32_e32 v1, v1, v133
	s_waitcnt lgkmcnt(0)
	v_mul_f32_e32 v4, v119, v123
	s_waitcnt vmcnt(4)
	v_fma_f32 v5, v116, v128, -v5
	v_mul_f32_e32 v136, v118, v123
	v_add_f32_e32 v2, v2, v3
	v_fmac_f32_e32 v135, v117, v128
	v_add_f32_e32 v1, v1, v134
	v_mul_f32_e32 v3, v121, v124
	s_waitcnt vmcnt(3)
	v_fma_f32 v4, v118, v129, -v4
	v_add_f32_e32 v2, v2, v5
	v_mul_f32_e32 v137, v120, v124
	v_fmac_f32_e32 v136, v119, v129
	v_add_f32_e32 v1, v1, v135
	s_waitcnt vmcnt(2)
	v_fma_f32 v3, v120, v130, -v3
	v_add_f32_e32 v2, v2, v4
	v_fmac_f32_e32 v137, v121, v130
	v_add_f32_e32 v1, v1, v136
	v_add_f32_e32 v2, v2, v3
	;; [unrolled: 1-line block ×3, first 2 shown]
	s_waitcnt vmcnt(1)
	v_sub_f32_e32 v2, v131, v2
	s_waitcnt vmcnt(0)
	v_sub_f32_e32 v1, v132, v1
	buffer_store_dword v2, off, s[0:3], 0 offset:360
	buffer_store_dword v1, off, s[0:3], 0 offset:364
	v_cmpx_lt_u32_e32 44, v0
	s_cbranch_execz .LBB115_237
; %bb.236:
	s_clause 0x1
	buffer_load_dword v1, off, s[0:3], 0 offset:352
	buffer_load_dword v2, off, s[0:3], 0 offset:356
	v_mov_b32_e32 v3, 0
	buffer_store_dword v3, off, s[0:3], 0 offset:352
	buffer_store_dword v3, off, s[0:3], 0 offset:356
	s_waitcnt vmcnt(0)
	ds_write_b64 v113, v[1:2]
.LBB115_237:
	s_or_b32 exec_lo, exec_lo, s4
	s_waitcnt lgkmcnt(0)
	s_waitcnt_vscnt null, 0x0
	s_barrier
	buffer_gl0_inv
	s_clause 0xf
	buffer_load_dword v8, off, s[0:3], 0 offset:364
	buffer_load_dword v122, off, s[0:3], 0 offset:372
	;; [unrolled: 1-line block ×16, first 2 shown]
	v_mov_b32_e32 v1, 0
	ds_read2_b64 v[2:5], v1 offset0:97 offset1:98
	ds_read2_b64 v[114:117], v1 offset0:99 offset1:100
	;; [unrolled: 1-line block ×3, first 2 shown]
	ds_read_b64 v[6:7], v1 offset:824
	s_mov_b32 s4, exec_lo
	s_waitcnt vmcnt(15) lgkmcnt(3)
	v_mul_f32_e32 v137, v2, v8
	v_mul_f32_e32 v8, v3, v8
	s_waitcnt vmcnt(14)
	v_mul_f32_e32 v138, v4, v122
	v_mul_f32_e32 v122, v5, v122
	s_waitcnt vmcnt(13) lgkmcnt(2)
	v_mul_f32_e32 v139, v114, v123
	s_waitcnt vmcnt(12)
	v_mul_f32_e32 v140, v116, v124
	s_waitcnt vmcnt(11) lgkmcnt(1)
	v_mul_f32_e32 v141, v118, v125
	s_waitcnt vmcnt(8)
	v_fma_f32 v2, v2, v128, -v8
	v_fmac_f32_e32 v137, v3, v128
	v_mul_f32_e32 v3, v115, v123
	s_waitcnt vmcnt(7)
	v_fma_f32 v4, v4, v129, -v122
	v_fmac_f32_e32 v138, v5, v129
	v_add_f32_e32 v2, 0, v2
	v_add_f32_e32 v5, 0, v137
	v_mul_f32_e32 v8, v117, v124
	s_waitcnt vmcnt(6)
	v_fma_f32 v3, v114, v130, -v3
	v_fmac_f32_e32 v139, v115, v130
	v_add_f32_e32 v2, v2, v4
	v_add_f32_e32 v4, v5, v138
	v_mul_f32_e32 v5, v119, v125
	s_waitcnt vmcnt(5)
	v_fma_f32 v8, v116, v131, -v8
	v_fmac_f32_e32 v140, v117, v131
	v_add_f32_e32 v2, v2, v3
	v_add_f32_e32 v3, v4, v139
	v_mul_f32_e32 v4, v121, v126
	s_waitcnt vmcnt(4)
	v_fma_f32 v5, v118, v132, -v5
	v_mul_f32_e32 v142, v120, v126
	v_add_f32_e32 v2, v2, v8
	v_fmac_f32_e32 v141, v119, v132
	v_add_f32_e32 v3, v3, v140
	s_waitcnt lgkmcnt(0)
	v_mul_f32_e32 v8, v7, v127
	s_waitcnt vmcnt(3)
	v_fma_f32 v4, v120, v133, -v4
	v_add_f32_e32 v2, v2, v5
	v_mul_f32_e32 v143, v6, v127
	v_fmac_f32_e32 v142, v121, v133
	v_add_f32_e32 v3, v3, v141
	s_waitcnt vmcnt(2)
	v_fma_f32 v5, v6, v134, -v8
	v_add_f32_e32 v2, v2, v4
	v_fmac_f32_e32 v143, v7, v134
	v_add_f32_e32 v3, v3, v142
	v_add_f32_e32 v2, v2, v5
	v_add_f32_e32 v3, v3, v143
	s_waitcnt vmcnt(1)
	v_sub_f32_e32 v2, v135, v2
	s_waitcnt vmcnt(0)
	v_sub_f32_e32 v3, v136, v3
	buffer_store_dword v2, off, s[0:3], 0 offset:352
	buffer_store_dword v3, off, s[0:3], 0 offset:356
	v_cmpx_lt_u32_e32 43, v0
	s_cbranch_execz .LBB115_239
; %bb.238:
	s_clause 0x1
	buffer_load_dword v2, off, s[0:3], 0 offset:344
	buffer_load_dword v3, off, s[0:3], 0 offset:348
	buffer_store_dword v1, off, s[0:3], 0 offset:344
	buffer_store_dword v1, off, s[0:3], 0 offset:348
	s_waitcnt vmcnt(0)
	ds_write_b64 v113, v[2:3]
.LBB115_239:
	s_or_b32 exec_lo, exec_lo, s4
	s_waitcnt lgkmcnt(0)
	s_waitcnt_vscnt null, 0x0
	s_barrier
	buffer_gl0_inv
	s_clause 0x11
	buffer_load_dword v6, off, s[0:3], 0 offset:356
	buffer_load_dword v7, off, s[0:3], 0 offset:364
	;; [unrolled: 1-line block ×18, first 2 shown]
	ds_read_b128 v[2:5], v1 offset:768
	ds_read_b128 v[114:117], v1 offset:784
	;; [unrolled: 1-line block ×4, first 2 shown]
	s_mov_b32 s4, exec_lo
	s_waitcnt vmcnt(17) lgkmcnt(3)
	v_mul_f32_e32 v1, v2, v6
	v_mul_f32_e32 v6, v3, v6
	s_waitcnt vmcnt(16)
	v_mul_f32_e32 v141, v4, v7
	v_mul_f32_e32 v7, v5, v7
	s_waitcnt vmcnt(15) lgkmcnt(2)
	v_mul_f32_e32 v142, v114, v8
	s_waitcnt vmcnt(14)
	v_mul_f32_e32 v143, v116, v126
	s_waitcnt vmcnt(13) lgkmcnt(1)
	v_mul_f32_e32 v144, v118, v127
	s_waitcnt vmcnt(12)
	v_mul_f32_e32 v145, v120, v128
	s_waitcnt vmcnt(9)
	v_fma_f32 v2, v2, v131, -v6
	v_fmac_f32_e32 v1, v3, v131
	v_mul_f32_e32 v3, v115, v8
	s_waitcnt vmcnt(8)
	v_fma_f32 v4, v4, v132, -v7
	v_fmac_f32_e32 v141, v5, v132
	v_add_f32_e32 v2, 0, v2
	v_add_f32_e32 v1, 0, v1
	v_mul_f32_e32 v5, v117, v126
	s_waitcnt vmcnt(7)
	v_fma_f32 v3, v114, v133, -v3
	v_fmac_f32_e32 v142, v115, v133
	v_add_f32_e32 v2, v2, v4
	v_add_f32_e32 v1, v1, v141
	;; [unrolled: 6-line block ×4, first 2 shown]
	s_waitcnt lgkmcnt(0)
	v_mul_f32_e32 v5, v123, v129
	s_waitcnt vmcnt(4)
	v_fma_f32 v3, v120, v136, -v3
	v_mul_f32_e32 v146, v122, v129
	v_add_f32_e32 v2, v2, v4
	v_fmac_f32_e32 v145, v121, v136
	v_add_f32_e32 v1, v1, v144
	v_mul_f32_e32 v4, v125, v130
	s_waitcnt vmcnt(3)
	v_fma_f32 v5, v122, v137, -v5
	v_add_f32_e32 v2, v2, v3
	v_mul_f32_e32 v147, v124, v130
	v_fmac_f32_e32 v146, v123, v137
	v_add_f32_e32 v1, v1, v145
	s_waitcnt vmcnt(2)
	v_fma_f32 v3, v124, v138, -v4
	v_add_f32_e32 v2, v2, v5
	v_fmac_f32_e32 v147, v125, v138
	v_add_f32_e32 v1, v1, v146
	v_add_f32_e32 v2, v2, v3
	;; [unrolled: 1-line block ×3, first 2 shown]
	s_waitcnt vmcnt(1)
	v_sub_f32_e32 v2, v139, v2
	s_waitcnt vmcnt(0)
	v_sub_f32_e32 v1, v140, v1
	buffer_store_dword v2, off, s[0:3], 0 offset:344
	buffer_store_dword v1, off, s[0:3], 0 offset:348
	v_cmpx_lt_u32_e32 42, v0
	s_cbranch_execz .LBB115_241
; %bb.240:
	s_clause 0x1
	buffer_load_dword v1, off, s[0:3], 0 offset:336
	buffer_load_dword v2, off, s[0:3], 0 offset:340
	v_mov_b32_e32 v3, 0
	buffer_store_dword v3, off, s[0:3], 0 offset:336
	buffer_store_dword v3, off, s[0:3], 0 offset:340
	s_waitcnt vmcnt(0)
	ds_write_b64 v113, v[1:2]
.LBB115_241:
	s_or_b32 exec_lo, exec_lo, s4
	s_waitcnt lgkmcnt(0)
	s_waitcnt_vscnt null, 0x0
	s_barrier
	buffer_gl0_inv
	s_clause 0x13
	buffer_load_dword v8, off, s[0:3], 0 offset:348
	buffer_load_dword v126, off, s[0:3], 0 offset:356
	;; [unrolled: 1-line block ×20, first 2 shown]
	v_mov_b32_e32 v1, 0
	ds_read2_b64 v[2:5], v1 offset0:95 offset1:96
	ds_read2_b64 v[114:117], v1 offset0:97 offset1:98
	;; [unrolled: 1-line block ×4, first 2 shown]
	ds_read_b64 v[6:7], v1 offset:824
	s_mov_b32 s4, exec_lo
	s_waitcnt vmcnt(19) lgkmcnt(4)
	v_mul_f32_e32 v145, v2, v8
	v_mul_f32_e32 v8, v3, v8
	s_waitcnt vmcnt(18)
	v_mul_f32_e32 v146, v4, v126
	v_mul_f32_e32 v126, v5, v126
	s_waitcnt vmcnt(17) lgkmcnt(3)
	v_mul_f32_e32 v147, v114, v127
	s_waitcnt vmcnt(16)
	v_mul_f32_e32 v148, v116, v128
	s_waitcnt vmcnt(15) lgkmcnt(2)
	v_mul_f32_e32 v149, v118, v129
	s_waitcnt vmcnt(14)
	;; [unrolled: 4-line block ×3, first 2 shown]
	v_fma_f32 v2, v2, v134, -v8
	v_fmac_f32_e32 v145, v3, v134
	v_mul_f32_e32 v3, v115, v127
	s_waitcnt vmcnt(9)
	v_fma_f32 v4, v4, v135, -v126
	v_fmac_f32_e32 v146, v5, v135
	v_add_f32_e32 v2, 0, v2
	v_add_f32_e32 v5, 0, v145
	v_mul_f32_e32 v8, v117, v128
	s_waitcnt vmcnt(8)
	v_fma_f32 v3, v114, v136, -v3
	v_fmac_f32_e32 v147, v115, v136
	v_add_f32_e32 v2, v2, v4
	v_add_f32_e32 v4, v5, v146
	v_mul_f32_e32 v5, v119, v129
	s_waitcnt vmcnt(7)
	v_fma_f32 v8, v116, v137, -v8
	v_fmac_f32_e32 v148, v117, v137
	v_add_f32_e32 v2, v2, v3
	v_add_f32_e32 v3, v4, v147
	v_mul_f32_e32 v4, v121, v130
	s_waitcnt vmcnt(6)
	v_fma_f32 v5, v118, v138, -v5
	v_fmac_f32_e32 v149, v119, v138
	v_add_f32_e32 v2, v2, v8
	v_add_f32_e32 v3, v3, v148
	v_mul_f32_e32 v8, v123, v131
	s_waitcnt vmcnt(5)
	v_fma_f32 v4, v120, v139, -v4
	v_fmac_f32_e32 v150, v121, v139
	v_add_f32_e32 v2, v2, v5
	v_add_f32_e32 v3, v3, v149
	v_mul_f32_e32 v5, v125, v132
	s_waitcnt vmcnt(4)
	v_fma_f32 v8, v122, v140, -v8
	v_mul_f32_e32 v152, v124, v132
	v_add_f32_e32 v2, v2, v4
	v_fmac_f32_e32 v151, v123, v140
	v_add_f32_e32 v3, v3, v150
	s_waitcnt lgkmcnt(0)
	v_mul_f32_e32 v4, v7, v133
	s_waitcnt vmcnt(3)
	v_fma_f32 v5, v124, v141, -v5
	v_add_f32_e32 v2, v2, v8
	v_mul_f32_e32 v153, v6, v133
	v_fmac_f32_e32 v152, v125, v141
	v_add_f32_e32 v3, v3, v151
	s_waitcnt vmcnt(2)
	v_fma_f32 v4, v6, v142, -v4
	v_add_f32_e32 v2, v2, v5
	v_fmac_f32_e32 v153, v7, v142
	v_add_f32_e32 v3, v3, v152
	v_add_f32_e32 v2, v2, v4
	;; [unrolled: 1-line block ×3, first 2 shown]
	s_waitcnt vmcnt(1)
	v_sub_f32_e32 v2, v143, v2
	s_waitcnt vmcnt(0)
	v_sub_f32_e32 v3, v144, v3
	buffer_store_dword v2, off, s[0:3], 0 offset:336
	buffer_store_dword v3, off, s[0:3], 0 offset:340
	v_cmpx_lt_u32_e32 41, v0
	s_cbranch_execz .LBB115_243
; %bb.242:
	s_clause 0x1
	buffer_load_dword v2, off, s[0:3], 0 offset:328
	buffer_load_dword v3, off, s[0:3], 0 offset:332
	buffer_store_dword v1, off, s[0:3], 0 offset:328
	buffer_store_dword v1, off, s[0:3], 0 offset:332
	s_waitcnt vmcnt(0)
	ds_write_b64 v113, v[2:3]
.LBB115_243:
	s_or_b32 exec_lo, exec_lo, s4
	s_waitcnt lgkmcnt(0)
	s_waitcnt_vscnt null, 0x0
	s_barrier
	buffer_gl0_inv
	s_clause 0x15
	buffer_load_dword v6, off, s[0:3], 0 offset:340
	buffer_load_dword v7, off, s[0:3], 0 offset:348
	;; [unrolled: 1-line block ×22, first 2 shown]
	ds_read_b128 v[2:5], v1 offset:752
	ds_read_b128 v[114:117], v1 offset:768
	;; [unrolled: 1-line block ×5, first 2 shown]
	s_mov_b32 s4, exec_lo
	s_waitcnt vmcnt(21) lgkmcnt(4)
	v_mul_f32_e32 v1, v2, v6
	v_mul_f32_e32 v6, v3, v6
	s_waitcnt vmcnt(20)
	v_mul_f32_e32 v149, v4, v7
	v_mul_f32_e32 v7, v5, v7
	s_waitcnt vmcnt(19) lgkmcnt(3)
	v_mul_f32_e32 v150, v114, v8
	s_waitcnt vmcnt(18)
	v_mul_f32_e32 v151, v116, v130
	s_waitcnt vmcnt(17) lgkmcnt(2)
	v_mul_f32_e32 v152, v118, v131
	s_waitcnt vmcnt(16)
	;; [unrolled: 4-line block ×3, first 2 shown]
	v_mul_f32_e32 v155, v124, v134
	s_waitcnt vmcnt(11)
	v_fma_f32 v2, v2, v137, -v6
	v_fmac_f32_e32 v1, v3, v137
	v_mul_f32_e32 v3, v115, v8
	s_waitcnt vmcnt(10)
	v_fma_f32 v4, v4, v138, -v7
	v_fmac_f32_e32 v149, v5, v138
	v_add_f32_e32 v2, 0, v2
	v_add_f32_e32 v1, 0, v1
	v_mul_f32_e32 v5, v117, v130
	s_waitcnt vmcnt(9)
	v_fma_f32 v3, v114, v139, -v3
	v_fmac_f32_e32 v150, v115, v139
	v_add_f32_e32 v2, v2, v4
	v_add_f32_e32 v1, v1, v149
	;; [unrolled: 6-line block ×6, first 2 shown]
	s_waitcnt lgkmcnt(0)
	v_mul_f32_e32 v3, v127, v135
	s_waitcnt vmcnt(4)
	v_fma_f32 v4, v124, v144, -v4
	v_mul_f32_e32 v156, v126, v135
	v_add_f32_e32 v2, v2, v5
	v_fmac_f32_e32 v155, v125, v144
	v_add_f32_e32 v1, v1, v154
	v_mul_f32_e32 v5, v129, v136
	s_waitcnt vmcnt(3)
	v_fma_f32 v3, v126, v145, -v3
	v_add_f32_e32 v2, v2, v4
	v_mul_f32_e32 v157, v128, v136
	v_fmac_f32_e32 v156, v127, v145
	v_add_f32_e32 v1, v1, v155
	s_waitcnt vmcnt(2)
	v_fma_f32 v4, v128, v146, -v5
	v_add_f32_e32 v2, v2, v3
	v_fmac_f32_e32 v157, v129, v146
	v_add_f32_e32 v1, v1, v156
	v_add_f32_e32 v2, v2, v4
	;; [unrolled: 1-line block ×3, first 2 shown]
	s_waitcnt vmcnt(1)
	v_sub_f32_e32 v2, v147, v2
	s_waitcnt vmcnt(0)
	v_sub_f32_e32 v1, v148, v1
	buffer_store_dword v2, off, s[0:3], 0 offset:328
	buffer_store_dword v1, off, s[0:3], 0 offset:332
	v_cmpx_lt_u32_e32 40, v0
	s_cbranch_execz .LBB115_245
; %bb.244:
	s_clause 0x1
	buffer_load_dword v1, off, s[0:3], 0 offset:320
	buffer_load_dword v2, off, s[0:3], 0 offset:324
	v_mov_b32_e32 v3, 0
	buffer_store_dword v3, off, s[0:3], 0 offset:320
	buffer_store_dword v3, off, s[0:3], 0 offset:324
	s_waitcnt vmcnt(0)
	ds_write_b64 v113, v[1:2]
.LBB115_245:
	s_or_b32 exec_lo, exec_lo, s4
	s_waitcnt lgkmcnt(0)
	s_waitcnt_vscnt null, 0x0
	s_barrier
	buffer_gl0_inv
	s_clause 0x17
	buffer_load_dword v8, off, s[0:3], 0 offset:332
	buffer_load_dword v130, off, s[0:3], 0 offset:340
	;; [unrolled: 1-line block ×24, first 2 shown]
	v_mov_b32_e32 v1, 0
	ds_read2_b64 v[2:5], v1 offset0:93 offset1:94
	ds_read2_b64 v[114:117], v1 offset0:95 offset1:96
	;; [unrolled: 1-line block ×5, first 2 shown]
	ds_read_b64 v[6:7], v1 offset:824
	s_mov_b32 s4, exec_lo
	s_waitcnt vmcnt(23) lgkmcnt(5)
	v_mul_f32_e32 v153, v2, v8
	v_mul_f32_e32 v8, v3, v8
	s_waitcnt vmcnt(22)
	v_mul_f32_e32 v154, v4, v130
	v_mul_f32_e32 v130, v5, v130
	s_waitcnt vmcnt(21) lgkmcnt(4)
	v_mul_f32_e32 v155, v114, v131
	s_waitcnt vmcnt(20)
	v_mul_f32_e32 v156, v116, v132
	s_waitcnt vmcnt(19) lgkmcnt(3)
	v_mul_f32_e32 v157, v118, v133
	s_waitcnt vmcnt(18)
	;; [unrolled: 4-line block ×4, first 2 shown]
	v_fma_f32 v2, v2, v140, -v8
	v_fmac_f32_e32 v153, v3, v140
	v_mul_f32_e32 v3, v115, v131
	s_waitcnt vmcnt(11)
	v_fma_f32 v4, v4, v141, -v130
	v_fmac_f32_e32 v154, v5, v141
	v_add_f32_e32 v2, 0, v2
	v_add_f32_e32 v5, 0, v153
	v_mul_f32_e32 v8, v117, v132
	s_waitcnt vmcnt(10)
	v_fma_f32 v3, v114, v142, -v3
	v_fmac_f32_e32 v155, v115, v142
	v_add_f32_e32 v2, v2, v4
	v_add_f32_e32 v4, v5, v154
	;; [unrolled: 6-line block ×7, first 2 shown]
	v_mul_f32_e32 v8, v129, v138
	s_waitcnt vmcnt(4)
	v_fma_f32 v4, v126, v148, -v4
	v_mul_f32_e32 v162, v128, v138
	v_add_f32_e32 v2, v2, v5
	v_fmac_f32_e32 v161, v127, v148
	v_add_f32_e32 v3, v3, v160
	s_waitcnt lgkmcnt(0)
	v_mul_f32_e32 v5, v7, v139
	s_waitcnt vmcnt(3)
	v_fma_f32 v8, v128, v149, -v8
	v_add_f32_e32 v2, v2, v4
	v_mul_f32_e32 v163, v6, v139
	v_fmac_f32_e32 v162, v129, v149
	v_add_f32_e32 v3, v3, v161
	s_waitcnt vmcnt(2)
	v_fma_f32 v4, v6, v150, -v5
	v_add_f32_e32 v2, v2, v8
	v_fmac_f32_e32 v163, v7, v150
	v_add_f32_e32 v3, v3, v162
	v_add_f32_e32 v2, v2, v4
	;; [unrolled: 1-line block ×3, first 2 shown]
	s_waitcnt vmcnt(1)
	v_sub_f32_e32 v2, v151, v2
	s_waitcnt vmcnt(0)
	v_sub_f32_e32 v3, v152, v3
	buffer_store_dword v2, off, s[0:3], 0 offset:320
	buffer_store_dword v3, off, s[0:3], 0 offset:324
	v_cmpx_lt_u32_e32 39, v0
	s_cbranch_execz .LBB115_247
; %bb.246:
	s_clause 0x1
	buffer_load_dword v2, off, s[0:3], 0 offset:312
	buffer_load_dword v3, off, s[0:3], 0 offset:316
	buffer_store_dword v1, off, s[0:3], 0 offset:312
	buffer_store_dword v1, off, s[0:3], 0 offset:316
	s_waitcnt vmcnt(0)
	ds_write_b64 v113, v[2:3]
.LBB115_247:
	s_or_b32 exec_lo, exec_lo, s4
	s_waitcnt lgkmcnt(0)
	s_waitcnt_vscnt null, 0x0
	s_barrier
	buffer_gl0_inv
	s_clause 0x19
	buffer_load_dword v6, off, s[0:3], 0 offset:324
	buffer_load_dword v7, off, s[0:3], 0 offset:332
	;; [unrolled: 1-line block ×26, first 2 shown]
	ds_read_b128 v[2:5], v1 offset:736
	ds_read_b128 v[114:117], v1 offset:752
	;; [unrolled: 1-line block ×6, first 2 shown]
	s_mov_b32 s4, exec_lo
	s_waitcnt vmcnt(25) lgkmcnt(5)
	v_mul_f32_e32 v1, v2, v6
	v_mul_f32_e32 v6, v3, v6
	s_waitcnt vmcnt(24)
	v_mul_f32_e32 v157, v4, v7
	v_mul_f32_e32 v7, v5, v7
	s_waitcnt vmcnt(23) lgkmcnt(4)
	v_mul_f32_e32 v158, v114, v8
	s_waitcnt vmcnt(22)
	v_mul_f32_e32 v159, v116, v134
	s_waitcnt vmcnt(21) lgkmcnt(3)
	v_mul_f32_e32 v160, v118, v135
	s_waitcnt vmcnt(20)
	;; [unrolled: 4-line block ×4, first 2 shown]
	v_mul_f32_e32 v165, v128, v140
	s_waitcnt vmcnt(13)
	v_fma_f32 v2, v2, v143, -v6
	v_fmac_f32_e32 v1, v3, v143
	v_mul_f32_e32 v3, v115, v8
	s_waitcnt vmcnt(12)
	v_fma_f32 v4, v4, v144, -v7
	v_fmac_f32_e32 v157, v5, v144
	v_add_f32_e32 v2, 0, v2
	v_add_f32_e32 v1, 0, v1
	v_mul_f32_e32 v5, v117, v134
	s_waitcnt vmcnt(11)
	v_fma_f32 v3, v114, v145, -v3
	v_fmac_f32_e32 v158, v115, v145
	v_add_f32_e32 v2, v2, v4
	v_add_f32_e32 v1, v1, v157
	;; [unrolled: 6-line block ×8, first 2 shown]
	s_waitcnt lgkmcnt(0)
	v_mul_f32_e32 v4, v131, v141
	s_waitcnt vmcnt(4)
	v_fma_f32 v5, v128, v152, -v5
	v_mul_f32_e32 v166, v130, v141
	v_add_f32_e32 v2, v2, v3
	v_fmac_f32_e32 v165, v129, v152
	v_add_f32_e32 v1, v1, v164
	v_mul_f32_e32 v3, v133, v142
	s_waitcnt vmcnt(3)
	v_fma_f32 v4, v130, v153, -v4
	v_add_f32_e32 v2, v2, v5
	v_mul_f32_e32 v167, v132, v142
	v_fmac_f32_e32 v166, v131, v153
	v_add_f32_e32 v1, v1, v165
	s_waitcnt vmcnt(2)
	v_fma_f32 v3, v132, v154, -v3
	v_add_f32_e32 v2, v2, v4
	v_fmac_f32_e32 v167, v133, v154
	v_add_f32_e32 v1, v1, v166
	v_add_f32_e32 v2, v2, v3
	;; [unrolled: 1-line block ×3, first 2 shown]
	s_waitcnt vmcnt(1)
	v_sub_f32_e32 v2, v155, v2
	s_waitcnt vmcnt(0)
	v_sub_f32_e32 v1, v156, v1
	buffer_store_dword v2, off, s[0:3], 0 offset:312
	buffer_store_dword v1, off, s[0:3], 0 offset:316
	v_cmpx_lt_u32_e32 38, v0
	s_cbranch_execz .LBB115_249
; %bb.248:
	s_clause 0x1
	buffer_load_dword v1, off, s[0:3], 0 offset:304
	buffer_load_dword v2, off, s[0:3], 0 offset:308
	v_mov_b32_e32 v3, 0
	buffer_store_dword v3, off, s[0:3], 0 offset:304
	buffer_store_dword v3, off, s[0:3], 0 offset:308
	s_waitcnt vmcnt(0)
	ds_write_b64 v113, v[1:2]
.LBB115_249:
	s_or_b32 exec_lo, exec_lo, s4
	s_waitcnt lgkmcnt(0)
	s_waitcnt_vscnt null, 0x0
	s_barrier
	buffer_gl0_inv
	s_clause 0x1b
	buffer_load_dword v8, off, s[0:3], 0 offset:316
	buffer_load_dword v134, off, s[0:3], 0 offset:324
	;; [unrolled: 1-line block ×28, first 2 shown]
	v_mov_b32_e32 v1, 0
	ds_read2_b64 v[2:5], v1 offset0:91 offset1:92
	ds_read2_b64 v[114:117], v1 offset0:93 offset1:94
	ds_read2_b64 v[118:121], v1 offset0:95 offset1:96
	ds_read2_b64 v[122:125], v1 offset0:97 offset1:98
	ds_read2_b64 v[126:129], v1 offset0:99 offset1:100
	ds_read2_b64 v[130:133], v1 offset0:101 offset1:102
	ds_read_b64 v[6:7], v1 offset:824
	s_mov_b32 s4, exec_lo
	s_waitcnt vmcnt(27) lgkmcnt(6)
	v_mul_f32_e32 v161, v2, v8
	v_mul_f32_e32 v8, v3, v8
	s_waitcnt vmcnt(26)
	v_mul_f32_e32 v162, v4, v134
	v_mul_f32_e32 v134, v5, v134
	s_waitcnt vmcnt(25) lgkmcnt(5)
	v_mul_f32_e32 v163, v114, v135
	s_waitcnt vmcnt(24)
	v_mul_f32_e32 v164, v116, v136
	s_waitcnt vmcnt(23) lgkmcnt(4)
	v_mul_f32_e32 v165, v118, v137
	s_waitcnt vmcnt(22)
	;; [unrolled: 4-line block ×5, first 2 shown]
	v_fma_f32 v2, v2, v146, -v8
	v_fmac_f32_e32 v161, v3, v146
	v_mul_f32_e32 v3, v115, v135
	s_waitcnt vmcnt(13)
	v_fma_f32 v4, v4, v147, -v134
	v_fmac_f32_e32 v162, v5, v147
	v_add_f32_e32 v2, 0, v2
	v_add_f32_e32 v5, 0, v161
	v_mul_f32_e32 v8, v117, v136
	s_waitcnt vmcnt(12)
	v_fma_f32 v3, v114, v148, -v3
	v_fmac_f32_e32 v163, v115, v148
	v_add_f32_e32 v2, v2, v4
	v_add_f32_e32 v4, v5, v162
	;; [unrolled: 6-line block ×9, first 2 shown]
	v_mul_f32_e32 v4, v133, v144
	s_waitcnt vmcnt(4)
	v_fma_f32 v5, v130, v156, -v5
	v_mul_f32_e32 v172, v132, v144
	v_add_f32_e32 v2, v2, v8
	v_fmac_f32_e32 v171, v131, v156
	v_add_f32_e32 v3, v3, v170
	s_waitcnt lgkmcnt(0)
	v_mul_f32_e32 v8, v7, v145
	s_waitcnt vmcnt(3)
	v_fma_f32 v4, v132, v157, -v4
	v_add_f32_e32 v2, v2, v5
	v_mul_f32_e32 v173, v6, v145
	v_fmac_f32_e32 v172, v133, v157
	v_add_f32_e32 v3, v3, v171
	s_waitcnt vmcnt(2)
	v_fma_f32 v5, v6, v158, -v8
	v_add_f32_e32 v2, v2, v4
	v_fmac_f32_e32 v173, v7, v158
	v_add_f32_e32 v3, v3, v172
	v_add_f32_e32 v2, v2, v5
	;; [unrolled: 1-line block ×3, first 2 shown]
	s_waitcnt vmcnt(1)
	v_sub_f32_e32 v2, v159, v2
	s_waitcnt vmcnt(0)
	v_sub_f32_e32 v3, v160, v3
	buffer_store_dword v2, off, s[0:3], 0 offset:304
	buffer_store_dword v3, off, s[0:3], 0 offset:308
	v_cmpx_lt_u32_e32 37, v0
	s_cbranch_execz .LBB115_251
; %bb.250:
	s_clause 0x1
	buffer_load_dword v2, off, s[0:3], 0 offset:296
	buffer_load_dword v3, off, s[0:3], 0 offset:300
	buffer_store_dword v1, off, s[0:3], 0 offset:296
	buffer_store_dword v1, off, s[0:3], 0 offset:300
	s_waitcnt vmcnt(0)
	ds_write_b64 v113, v[2:3]
.LBB115_251:
	s_or_b32 exec_lo, exec_lo, s4
	s_waitcnt lgkmcnt(0)
	s_waitcnt_vscnt null, 0x0
	s_barrier
	buffer_gl0_inv
	s_clause 0x1d
	buffer_load_dword v6, off, s[0:3], 0 offset:308
	buffer_load_dword v7, off, s[0:3], 0 offset:316
	;; [unrolled: 1-line block ×30, first 2 shown]
	ds_read_b128 v[2:5], v1 offset:720
	ds_read_b128 v[114:117], v1 offset:736
	;; [unrolled: 1-line block ×7, first 2 shown]
	s_mov_b32 s4, exec_lo
	s_waitcnt vmcnt(29) lgkmcnt(6)
	v_mul_f32_e32 v1, v2, v6
	v_mul_f32_e32 v6, v3, v6
	s_waitcnt vmcnt(28)
	v_mul_f32_e32 v165, v4, v7
	v_mul_f32_e32 v7, v5, v7
	s_waitcnt vmcnt(27) lgkmcnt(5)
	v_mul_f32_e32 v166, v114, v8
	s_waitcnt vmcnt(26)
	v_mul_f32_e32 v167, v116, v138
	s_waitcnt vmcnt(25) lgkmcnt(4)
	v_mul_f32_e32 v168, v118, v139
	s_waitcnt vmcnt(24)
	;; [unrolled: 4-line block ×5, first 2 shown]
	v_mul_f32_e32 v175, v132, v146
	s_waitcnt vmcnt(15)
	v_fma_f32 v2, v2, v149, -v6
	v_fmac_f32_e32 v1, v3, v149
	v_mul_f32_e32 v3, v115, v8
	s_waitcnt vmcnt(14)
	v_fma_f32 v4, v4, v150, -v7
	v_fmac_f32_e32 v165, v5, v150
	v_add_f32_e32 v2, 0, v2
	v_add_f32_e32 v1, 0, v1
	v_mul_f32_e32 v5, v117, v138
	s_waitcnt vmcnt(13)
	v_fma_f32 v3, v114, v151, -v3
	v_fmac_f32_e32 v166, v115, v151
	v_add_f32_e32 v2, v2, v4
	v_add_f32_e32 v1, v1, v165
	;; [unrolled: 6-line block ×10, first 2 shown]
	s_waitcnt lgkmcnt(0)
	v_mul_f32_e32 v5, v135, v147
	s_waitcnt vmcnt(4)
	v_fma_f32 v3, v132, v160, -v3
	v_mul_f32_e32 v176, v134, v147
	v_add_f32_e32 v2, v2, v4
	v_fmac_f32_e32 v175, v133, v160
	v_add_f32_e32 v1, v1, v174
	v_mul_f32_e32 v4, v137, v148
	s_waitcnt vmcnt(3)
	v_fma_f32 v5, v134, v161, -v5
	v_add_f32_e32 v2, v2, v3
	v_mul_f32_e32 v177, v136, v148
	v_fmac_f32_e32 v176, v135, v161
	v_add_f32_e32 v1, v1, v175
	s_waitcnt vmcnt(2)
	v_fma_f32 v3, v136, v162, -v4
	v_add_f32_e32 v2, v2, v5
	v_fmac_f32_e32 v177, v137, v162
	v_add_f32_e32 v1, v1, v176
	v_add_f32_e32 v2, v2, v3
	;; [unrolled: 1-line block ×3, first 2 shown]
	s_waitcnt vmcnt(1)
	v_sub_f32_e32 v2, v163, v2
	s_waitcnt vmcnt(0)
	v_sub_f32_e32 v1, v164, v1
	buffer_store_dword v2, off, s[0:3], 0 offset:296
	buffer_store_dword v1, off, s[0:3], 0 offset:300
	v_cmpx_lt_u32_e32 36, v0
	s_cbranch_execz .LBB115_253
; %bb.252:
	s_clause 0x1
	buffer_load_dword v1, off, s[0:3], 0 offset:288
	buffer_load_dword v2, off, s[0:3], 0 offset:292
	v_mov_b32_e32 v3, 0
	buffer_store_dword v3, off, s[0:3], 0 offset:288
	buffer_store_dword v3, off, s[0:3], 0 offset:292
	s_waitcnt vmcnt(0)
	ds_write_b64 v113, v[1:2]
.LBB115_253:
	s_or_b32 exec_lo, exec_lo, s4
	s_waitcnt lgkmcnt(0)
	s_waitcnt_vscnt null, 0x0
	s_barrier
	buffer_gl0_inv
	s_clause 0x1f
	buffer_load_dword v8, off, s[0:3], 0 offset:300
	buffer_load_dword v138, off, s[0:3], 0 offset:308
	;; [unrolled: 1-line block ×32, first 2 shown]
	v_mov_b32_e32 v1, 0
	ds_read2_b64 v[2:5], v1 offset0:89 offset1:90
	ds_read2_b64 v[114:117], v1 offset0:91 offset1:92
	;; [unrolled: 1-line block ×7, first 2 shown]
	ds_read_b64 v[6:7], v1 offset:824
	s_mov_b32 s4, exec_lo
	s_waitcnt vmcnt(31) lgkmcnt(7)
	v_mul_f32_e32 v169, v2, v8
	v_mul_f32_e32 v8, v3, v8
	s_waitcnt vmcnt(30)
	v_mul_f32_e32 v170, v4, v138
	v_mul_f32_e32 v138, v5, v138
	s_waitcnt vmcnt(29) lgkmcnt(6)
	v_mul_f32_e32 v171, v114, v139
	s_waitcnt vmcnt(28)
	v_mul_f32_e32 v172, v116, v140
	s_waitcnt vmcnt(27) lgkmcnt(5)
	v_mul_f32_e32 v173, v118, v141
	s_waitcnt vmcnt(26)
	;; [unrolled: 4-line block ×6, first 2 shown]
	v_fma_f32 v2, v2, v152, -v8
	v_fmac_f32_e32 v169, v3, v152
	v_mul_f32_e32 v3, v115, v139
	s_waitcnt vmcnt(15)
	v_fma_f32 v4, v4, v153, -v138
	v_fmac_f32_e32 v170, v5, v153
	v_add_f32_e32 v2, 0, v2
	v_add_f32_e32 v5, 0, v169
	v_mul_f32_e32 v8, v117, v140
	s_waitcnt vmcnt(14)
	v_fma_f32 v3, v114, v154, -v3
	v_fmac_f32_e32 v171, v115, v154
	v_add_f32_e32 v2, v2, v4
	v_add_f32_e32 v4, v5, v170
	;; [unrolled: 6-line block ×11, first 2 shown]
	v_mul_f32_e32 v5, v137, v150
	s_waitcnt vmcnt(4)
	v_fma_f32 v8, v134, v164, -v8
	v_mul_f32_e32 v182, v136, v150
	v_add_f32_e32 v2, v2, v4
	v_fmac_f32_e32 v181, v135, v164
	v_add_f32_e32 v3, v3, v180
	s_waitcnt lgkmcnt(0)
	v_mul_f32_e32 v4, v7, v151
	s_waitcnt vmcnt(3)
	v_fma_f32 v5, v136, v165, -v5
	v_add_f32_e32 v2, v2, v8
	v_mul_f32_e32 v183, v6, v151
	v_fmac_f32_e32 v182, v137, v165
	v_add_f32_e32 v3, v3, v181
	s_waitcnt vmcnt(2)
	v_fma_f32 v4, v6, v166, -v4
	v_add_f32_e32 v2, v2, v5
	v_fmac_f32_e32 v183, v7, v166
	v_add_f32_e32 v3, v3, v182
	v_add_f32_e32 v2, v2, v4
	;; [unrolled: 1-line block ×3, first 2 shown]
	s_waitcnt vmcnt(1)
	v_sub_f32_e32 v2, v167, v2
	s_waitcnt vmcnt(0)
	v_sub_f32_e32 v3, v168, v3
	buffer_store_dword v2, off, s[0:3], 0 offset:288
	buffer_store_dword v3, off, s[0:3], 0 offset:292
	v_cmpx_lt_u32_e32 35, v0
	s_cbranch_execz .LBB115_255
; %bb.254:
	s_clause 0x1
	buffer_load_dword v2, off, s[0:3], 0 offset:280
	buffer_load_dword v3, off, s[0:3], 0 offset:284
	buffer_store_dword v1, off, s[0:3], 0 offset:280
	buffer_store_dword v1, off, s[0:3], 0 offset:284
	s_waitcnt vmcnt(0)
	ds_write_b64 v113, v[2:3]
.LBB115_255:
	s_or_b32 exec_lo, exec_lo, s4
	s_waitcnt lgkmcnt(0)
	s_waitcnt_vscnt null, 0x0
	s_barrier
	buffer_gl0_inv
	s_clause 0x21
	buffer_load_dword v6, off, s[0:3], 0 offset:292
	buffer_load_dword v7, off, s[0:3], 0 offset:300
	;; [unrolled: 1-line block ×34, first 2 shown]
	ds_read_b128 v[2:5], v1 offset:704
	ds_read_b128 v[114:117], v1 offset:720
	;; [unrolled: 1-line block ×8, first 2 shown]
	s_mov_b32 s4, exec_lo
	s_waitcnt vmcnt(33) lgkmcnt(7)
	v_mul_f32_e32 v1, v2, v6
	v_mul_f32_e32 v6, v3, v6
	s_waitcnt vmcnt(32)
	v_mul_f32_e32 v173, v4, v7
	v_mul_f32_e32 v7, v5, v7
	s_waitcnt vmcnt(31) lgkmcnt(6)
	v_mul_f32_e32 v174, v114, v8
	s_waitcnt vmcnt(30)
	v_mul_f32_e32 v175, v116, v142
	s_waitcnt vmcnt(29) lgkmcnt(5)
	v_mul_f32_e32 v176, v118, v143
	s_waitcnt vmcnt(28)
	;; [unrolled: 4-line block ×6, first 2 shown]
	v_mul_f32_e32 v185, v136, v152
	s_waitcnt vmcnt(17)
	v_fma_f32 v2, v2, v155, -v6
	v_fmac_f32_e32 v1, v3, v155
	v_mul_f32_e32 v3, v115, v8
	s_waitcnt vmcnt(16)
	v_fma_f32 v4, v4, v156, -v7
	v_fmac_f32_e32 v173, v5, v156
	v_add_f32_e32 v2, 0, v2
	v_add_f32_e32 v1, 0, v1
	v_mul_f32_e32 v5, v117, v142
	s_waitcnt vmcnt(15)
	v_fma_f32 v3, v114, v157, -v3
	v_fmac_f32_e32 v174, v115, v157
	v_add_f32_e32 v2, v2, v4
	v_add_f32_e32 v1, v1, v173
	;; [unrolled: 6-line block ×12, first 2 shown]
	s_waitcnt lgkmcnt(0)
	v_mul_f32_e32 v3, v139, v153
	s_waitcnt vmcnt(4)
	v_fma_f32 v4, v136, v168, -v4
	v_mul_f32_e32 v186, v138, v153
	v_add_f32_e32 v2, v2, v5
	v_fmac_f32_e32 v185, v137, v168
	v_add_f32_e32 v1, v1, v184
	v_mul_f32_e32 v5, v141, v154
	s_waitcnt vmcnt(3)
	v_fma_f32 v3, v138, v169, -v3
	v_add_f32_e32 v2, v2, v4
	v_mul_f32_e32 v187, v140, v154
	v_fmac_f32_e32 v186, v139, v169
	v_add_f32_e32 v1, v1, v185
	s_waitcnt vmcnt(2)
	v_fma_f32 v4, v140, v170, -v5
	v_add_f32_e32 v2, v2, v3
	v_fmac_f32_e32 v187, v141, v170
	v_add_f32_e32 v1, v1, v186
	v_add_f32_e32 v2, v2, v4
	;; [unrolled: 1-line block ×3, first 2 shown]
	s_waitcnt vmcnt(1)
	v_sub_f32_e32 v2, v171, v2
	s_waitcnt vmcnt(0)
	v_sub_f32_e32 v1, v172, v1
	buffer_store_dword v2, off, s[0:3], 0 offset:280
	buffer_store_dword v1, off, s[0:3], 0 offset:284
	v_cmpx_lt_u32_e32 34, v0
	s_cbranch_execz .LBB115_257
; %bb.256:
	s_clause 0x1
	buffer_load_dword v1, off, s[0:3], 0 offset:272
	buffer_load_dword v2, off, s[0:3], 0 offset:276
	v_mov_b32_e32 v3, 0
	buffer_store_dword v3, off, s[0:3], 0 offset:272
	buffer_store_dword v3, off, s[0:3], 0 offset:276
	s_waitcnt vmcnt(0)
	ds_write_b64 v113, v[1:2]
.LBB115_257:
	s_or_b32 exec_lo, exec_lo, s4
	s_waitcnt lgkmcnt(0)
	s_waitcnt_vscnt null, 0x0
	s_barrier
	buffer_gl0_inv
	s_clause 0x23
	buffer_load_dword v8, off, s[0:3], 0 offset:284
	buffer_load_dword v142, off, s[0:3], 0 offset:292
	;; [unrolled: 1-line block ×36, first 2 shown]
	v_mov_b32_e32 v1, 0
	ds_read2_b64 v[2:5], v1 offset0:87 offset1:88
	ds_read2_b64 v[114:117], v1 offset0:89 offset1:90
	;; [unrolled: 1-line block ×8, first 2 shown]
	ds_read_b64 v[6:7], v1 offset:824
	s_mov_b32 s4, exec_lo
	s_waitcnt vmcnt(35) lgkmcnt(8)
	v_mul_f32_e32 v177, v2, v8
	v_mul_f32_e32 v8, v3, v8
	s_waitcnt vmcnt(34)
	v_mul_f32_e32 v178, v4, v142
	v_mul_f32_e32 v142, v5, v142
	s_waitcnt vmcnt(33) lgkmcnt(7)
	v_mul_f32_e32 v179, v114, v143
	s_waitcnt vmcnt(32)
	v_mul_f32_e32 v180, v116, v144
	s_waitcnt vmcnt(31) lgkmcnt(6)
	v_mul_f32_e32 v181, v118, v145
	s_waitcnt vmcnt(30)
	;; [unrolled: 4-line block ×7, first 2 shown]
	v_fma_f32 v2, v2, v158, -v8
	v_fmac_f32_e32 v177, v3, v158
	v_mul_f32_e32 v3, v115, v143
	s_waitcnt vmcnt(17)
	v_fma_f32 v4, v4, v159, -v142
	v_fmac_f32_e32 v178, v5, v159
	v_add_f32_e32 v2, 0, v2
	v_add_f32_e32 v5, 0, v177
	v_mul_f32_e32 v8, v117, v144
	s_waitcnt vmcnt(16)
	v_fma_f32 v3, v114, v160, -v3
	v_fmac_f32_e32 v179, v115, v160
	v_add_f32_e32 v2, v2, v4
	v_add_f32_e32 v4, v5, v178
	;; [unrolled: 6-line block ×13, first 2 shown]
	v_mul_f32_e32 v8, v141, v156
	s_waitcnt vmcnt(4)
	v_fma_f32 v4, v138, v172, -v4
	v_mul_f32_e32 v192, v140, v156
	v_add_f32_e32 v2, v2, v5
	v_fmac_f32_e32 v191, v139, v172
	v_add_f32_e32 v3, v3, v190
	s_waitcnt lgkmcnt(0)
	v_mul_f32_e32 v5, v7, v157
	s_waitcnt vmcnt(3)
	v_fma_f32 v8, v140, v173, -v8
	v_add_f32_e32 v2, v2, v4
	v_mul_f32_e32 v193, v6, v157
	v_fmac_f32_e32 v192, v141, v173
	v_add_f32_e32 v3, v3, v191
	s_waitcnt vmcnt(2)
	v_fma_f32 v4, v6, v174, -v5
	v_add_f32_e32 v2, v2, v8
	v_fmac_f32_e32 v193, v7, v174
	v_add_f32_e32 v3, v3, v192
	v_add_f32_e32 v2, v2, v4
	;; [unrolled: 1-line block ×3, first 2 shown]
	s_waitcnt vmcnt(1)
	v_sub_f32_e32 v2, v175, v2
	s_waitcnt vmcnt(0)
	v_sub_f32_e32 v3, v176, v3
	buffer_store_dword v2, off, s[0:3], 0 offset:272
	buffer_store_dword v3, off, s[0:3], 0 offset:276
	v_cmpx_lt_u32_e32 33, v0
	s_cbranch_execz .LBB115_259
; %bb.258:
	s_clause 0x1
	buffer_load_dword v2, off, s[0:3], 0 offset:264
	buffer_load_dword v3, off, s[0:3], 0 offset:268
	buffer_store_dword v1, off, s[0:3], 0 offset:264
	buffer_store_dword v1, off, s[0:3], 0 offset:268
	s_waitcnt vmcnt(0)
	ds_write_b64 v113, v[2:3]
.LBB115_259:
	s_or_b32 exec_lo, exec_lo, s4
	s_waitcnt lgkmcnt(0)
	s_waitcnt_vscnt null, 0x0
	s_barrier
	buffer_gl0_inv
	s_clause 0x25
	buffer_load_dword v6, off, s[0:3], 0 offset:276
	buffer_load_dword v7, off, s[0:3], 0 offset:284
	;; [unrolled: 1-line block ×38, first 2 shown]
	ds_read_b128 v[2:5], v1 offset:688
	ds_read_b128 v[114:117], v1 offset:704
	;; [unrolled: 1-line block ×9, first 2 shown]
	s_mov_b32 s4, exec_lo
	s_waitcnt vmcnt(37) lgkmcnt(8)
	v_mul_f32_e32 v1, v2, v6
	v_mul_f32_e32 v6, v3, v6
	s_waitcnt vmcnt(36)
	v_mul_f32_e32 v181, v4, v7
	v_mul_f32_e32 v7, v5, v7
	s_waitcnt vmcnt(35) lgkmcnt(7)
	v_mul_f32_e32 v182, v114, v8
	s_waitcnt vmcnt(34)
	v_mul_f32_e32 v183, v116, v146
	s_waitcnt vmcnt(33) lgkmcnt(6)
	v_mul_f32_e32 v184, v118, v147
	s_waitcnt vmcnt(32)
	;; [unrolled: 4-line block ×7, first 2 shown]
	v_mul_f32_e32 v195, v140, v158
	s_waitcnt vmcnt(19)
	v_fma_f32 v2, v2, v161, -v6
	v_fmac_f32_e32 v1, v3, v161
	v_mul_f32_e32 v3, v115, v8
	s_waitcnt vmcnt(18)
	v_fma_f32 v4, v4, v162, -v7
	v_fmac_f32_e32 v181, v5, v162
	v_add_f32_e32 v2, 0, v2
	v_add_f32_e32 v1, 0, v1
	v_mul_f32_e32 v5, v117, v146
	s_waitcnt vmcnt(17)
	v_fma_f32 v3, v114, v163, -v3
	v_fmac_f32_e32 v182, v115, v163
	v_add_f32_e32 v2, v2, v4
	v_add_f32_e32 v1, v1, v181
	;; [unrolled: 6-line block ×14, first 2 shown]
	s_waitcnt lgkmcnt(0)
	v_mul_f32_e32 v4, v143, v159
	s_waitcnt vmcnt(4)
	v_fma_f32 v5, v140, v176, -v5
	v_mul_f32_e32 v196, v142, v159
	v_add_f32_e32 v2, v2, v3
	v_fmac_f32_e32 v195, v141, v176
	v_add_f32_e32 v1, v1, v194
	v_mul_f32_e32 v3, v145, v160
	s_waitcnt vmcnt(3)
	v_fma_f32 v4, v142, v177, -v4
	v_add_f32_e32 v2, v2, v5
	v_mul_f32_e32 v197, v144, v160
	v_fmac_f32_e32 v196, v143, v177
	v_add_f32_e32 v1, v1, v195
	s_waitcnt vmcnt(2)
	v_fma_f32 v3, v144, v178, -v3
	v_add_f32_e32 v2, v2, v4
	v_fmac_f32_e32 v197, v145, v178
	v_add_f32_e32 v1, v1, v196
	v_add_f32_e32 v2, v2, v3
	v_add_f32_e32 v1, v1, v197
	s_waitcnt vmcnt(1)
	v_sub_f32_e32 v2, v179, v2
	s_waitcnt vmcnt(0)
	v_sub_f32_e32 v1, v180, v1
	buffer_store_dword v2, off, s[0:3], 0 offset:264
	buffer_store_dword v1, off, s[0:3], 0 offset:268
	v_cmpx_lt_u32_e32 32, v0
	s_cbranch_execz .LBB115_261
; %bb.260:
	s_clause 0x1
	buffer_load_dword v1, off, s[0:3], 0 offset:256
	buffer_load_dword v2, off, s[0:3], 0 offset:260
	v_mov_b32_e32 v3, 0
	buffer_store_dword v3, off, s[0:3], 0 offset:256
	buffer_store_dword v3, off, s[0:3], 0 offset:260
	s_waitcnt vmcnt(0)
	ds_write_b64 v113, v[1:2]
.LBB115_261:
	s_or_b32 exec_lo, exec_lo, s4
	s_waitcnt lgkmcnt(0)
	s_waitcnt_vscnt null, 0x0
	s_barrier
	buffer_gl0_inv
	s_clause 0x27
	buffer_load_dword v8, off, s[0:3], 0 offset:268
	buffer_load_dword v146, off, s[0:3], 0 offset:276
	;; [unrolled: 1-line block ×40, first 2 shown]
	v_mov_b32_e32 v1, 0
	ds_read2_b64 v[2:5], v1 offset0:85 offset1:86
	ds_read2_b64 v[114:117], v1 offset0:87 offset1:88
	;; [unrolled: 1-line block ×9, first 2 shown]
	ds_read_b64 v[6:7], v1 offset:824
	s_mov_b32 s4, exec_lo
	s_waitcnt vmcnt(39) lgkmcnt(9)
	v_mul_f32_e32 v185, v2, v8
	v_mul_f32_e32 v8, v3, v8
	s_waitcnt vmcnt(38)
	v_mul_f32_e32 v186, v4, v146
	v_mul_f32_e32 v146, v5, v146
	s_waitcnt vmcnt(37) lgkmcnt(8)
	v_mul_f32_e32 v187, v114, v147
	s_waitcnt vmcnt(36)
	v_mul_f32_e32 v188, v116, v148
	s_waitcnt vmcnt(35) lgkmcnt(7)
	v_mul_f32_e32 v189, v118, v149
	s_waitcnt vmcnt(34)
	;; [unrolled: 4-line block ×8, first 2 shown]
	v_fma_f32 v2, v2, v164, -v8
	v_fmac_f32_e32 v185, v3, v164
	v_mul_f32_e32 v3, v115, v147
	s_waitcnt vmcnt(19)
	v_fma_f32 v4, v4, v165, -v146
	v_fmac_f32_e32 v186, v5, v165
	v_add_f32_e32 v2, 0, v2
	v_add_f32_e32 v5, 0, v185
	v_mul_f32_e32 v8, v117, v148
	s_waitcnt vmcnt(18)
	v_fma_f32 v3, v114, v166, -v3
	v_fmac_f32_e32 v187, v115, v166
	v_add_f32_e32 v2, v2, v4
	v_add_f32_e32 v4, v5, v186
	;; [unrolled: 6-line block ×15, first 2 shown]
	v_mul_f32_e32 v4, v145, v162
	s_waitcnt vmcnt(4)
	v_fma_f32 v5, v142, v180, -v5
	v_mul_f32_e32 v202, v144, v162
	v_add_f32_e32 v2, v2, v8
	v_fmac_f32_e32 v201, v143, v180
	v_add_f32_e32 v3, v3, v200
	s_waitcnt lgkmcnt(0)
	v_mul_f32_e32 v8, v7, v163
	s_waitcnt vmcnt(3)
	v_fma_f32 v4, v144, v181, -v4
	v_add_f32_e32 v2, v2, v5
	v_mul_f32_e32 v203, v6, v163
	v_fmac_f32_e32 v202, v145, v181
	v_add_f32_e32 v3, v3, v201
	s_waitcnt vmcnt(2)
	v_fma_f32 v5, v6, v182, -v8
	v_add_f32_e32 v2, v2, v4
	v_fmac_f32_e32 v203, v7, v182
	v_add_f32_e32 v3, v3, v202
	v_add_f32_e32 v2, v2, v5
	;; [unrolled: 1-line block ×3, first 2 shown]
	s_waitcnt vmcnt(1)
	v_sub_f32_e32 v2, v183, v2
	s_waitcnt vmcnt(0)
	v_sub_f32_e32 v3, v184, v3
	buffer_store_dword v2, off, s[0:3], 0 offset:256
	buffer_store_dword v3, off, s[0:3], 0 offset:260
	v_cmpx_lt_u32_e32 31, v0
	s_cbranch_execz .LBB115_263
; %bb.262:
	s_clause 0x1
	buffer_load_dword v2, off, s[0:3], 0 offset:248
	buffer_load_dword v3, off, s[0:3], 0 offset:252
	buffer_store_dword v1, off, s[0:3], 0 offset:248
	buffer_store_dword v1, off, s[0:3], 0 offset:252
	s_waitcnt vmcnt(0)
	ds_write_b64 v113, v[2:3]
.LBB115_263:
	s_or_b32 exec_lo, exec_lo, s4
	s_waitcnt lgkmcnt(0)
	s_waitcnt_vscnt null, 0x0
	s_barrier
	buffer_gl0_inv
	s_clause 0x29
	buffer_load_dword v6, off, s[0:3], 0 offset:260
	buffer_load_dword v7, off, s[0:3], 0 offset:268
	;; [unrolled: 1-line block ×42, first 2 shown]
	ds_read_b128 v[2:5], v1 offset:672
	ds_read_b128 v[114:117], v1 offset:688
	;; [unrolled: 1-line block ×10, first 2 shown]
	s_mov_b32 s4, exec_lo
	s_waitcnt vmcnt(41) lgkmcnt(9)
	v_mul_f32_e32 v1, v2, v6
	v_mul_f32_e32 v6, v3, v6
	s_waitcnt vmcnt(40)
	v_mul_f32_e32 v189, v4, v7
	v_mul_f32_e32 v7, v5, v7
	s_waitcnt vmcnt(39) lgkmcnt(8)
	v_mul_f32_e32 v190, v114, v8
	s_waitcnt vmcnt(38)
	v_mul_f32_e32 v191, v116, v150
	s_waitcnt vmcnt(37) lgkmcnt(7)
	v_mul_f32_e32 v192, v118, v151
	s_waitcnt vmcnt(36)
	;; [unrolled: 4-line block ×8, first 2 shown]
	v_mul_f32_e32 v205, v144, v164
	s_waitcnt vmcnt(21)
	v_fma_f32 v2, v2, v167, -v6
	v_fmac_f32_e32 v1, v3, v167
	v_mul_f32_e32 v3, v115, v8
	s_waitcnt vmcnt(20)
	v_fma_f32 v4, v4, v168, -v7
	v_fmac_f32_e32 v189, v5, v168
	v_add_f32_e32 v2, 0, v2
	v_add_f32_e32 v1, 0, v1
	v_mul_f32_e32 v5, v117, v150
	s_waitcnt vmcnt(19)
	v_fma_f32 v3, v114, v169, -v3
	v_fmac_f32_e32 v190, v115, v169
	v_add_f32_e32 v2, v2, v4
	v_add_f32_e32 v1, v1, v189
	;; [unrolled: 6-line block ×16, first 2 shown]
	s_waitcnt lgkmcnt(0)
	v_mul_f32_e32 v5, v147, v165
	s_waitcnt vmcnt(4)
	v_fma_f32 v3, v144, v184, -v3
	v_mul_f32_e32 v206, v146, v165
	v_add_f32_e32 v2, v2, v4
	v_fmac_f32_e32 v205, v145, v184
	v_add_f32_e32 v1, v1, v204
	v_mul_f32_e32 v4, v149, v166
	s_waitcnt vmcnt(3)
	v_fma_f32 v5, v146, v185, -v5
	v_add_f32_e32 v2, v2, v3
	v_mul_f32_e32 v207, v148, v166
	v_fmac_f32_e32 v206, v147, v185
	v_add_f32_e32 v1, v1, v205
	s_waitcnt vmcnt(2)
	v_fma_f32 v3, v148, v186, -v4
	v_add_f32_e32 v2, v2, v5
	v_fmac_f32_e32 v207, v149, v186
	v_add_f32_e32 v1, v1, v206
	v_add_f32_e32 v2, v2, v3
	;; [unrolled: 1-line block ×3, first 2 shown]
	s_waitcnt vmcnt(1)
	v_sub_f32_e32 v2, v187, v2
	s_waitcnt vmcnt(0)
	v_sub_f32_e32 v1, v188, v1
	buffer_store_dword v2, off, s[0:3], 0 offset:248
	buffer_store_dword v1, off, s[0:3], 0 offset:252
	v_cmpx_lt_u32_e32 30, v0
	s_cbranch_execz .LBB115_265
; %bb.264:
	s_clause 0x1
	buffer_load_dword v1, off, s[0:3], 0 offset:240
	buffer_load_dword v2, off, s[0:3], 0 offset:244
	v_mov_b32_e32 v3, 0
	buffer_store_dword v3, off, s[0:3], 0 offset:240
	buffer_store_dword v3, off, s[0:3], 0 offset:244
	s_waitcnt vmcnt(0)
	ds_write_b64 v113, v[1:2]
.LBB115_265:
	s_or_b32 exec_lo, exec_lo, s4
	s_waitcnt lgkmcnt(0)
	s_waitcnt_vscnt null, 0x0
	s_barrier
	buffer_gl0_inv
	s_clause 0x2b
	buffer_load_dword v8, off, s[0:3], 0 offset:252
	buffer_load_dword v150, off, s[0:3], 0 offset:260
	;; [unrolled: 1-line block ×44, first 2 shown]
	v_mov_b32_e32 v1, 0
	ds_read2_b64 v[2:5], v1 offset0:83 offset1:84
	ds_read2_b64 v[114:117], v1 offset0:85 offset1:86
	;; [unrolled: 1-line block ×10, first 2 shown]
	ds_read_b64 v[6:7], v1 offset:824
	s_mov_b32 s4, exec_lo
	s_waitcnt vmcnt(43) lgkmcnt(10)
	v_mul_f32_e32 v193, v2, v8
	v_mul_f32_e32 v8, v3, v8
	s_waitcnt vmcnt(42)
	v_mul_f32_e32 v194, v4, v150
	v_mul_f32_e32 v150, v5, v150
	s_waitcnt vmcnt(41) lgkmcnt(9)
	v_mul_f32_e32 v195, v114, v151
	s_waitcnt vmcnt(40)
	v_mul_f32_e32 v196, v116, v152
	s_waitcnt vmcnt(39) lgkmcnt(8)
	v_mul_f32_e32 v197, v118, v153
	s_waitcnt vmcnt(38)
	;; [unrolled: 4-line block ×9, first 2 shown]
	v_fma_f32 v2, v2, v170, -v8
	v_fmac_f32_e32 v193, v3, v170
	v_mul_f32_e32 v3, v115, v151
	s_waitcnt vmcnt(21)
	v_fma_f32 v4, v4, v171, -v150
	v_fmac_f32_e32 v194, v5, v171
	v_add_f32_e32 v2, 0, v2
	v_add_f32_e32 v5, 0, v193
	v_mul_f32_e32 v8, v117, v152
	s_waitcnt vmcnt(20)
	v_fma_f32 v3, v114, v172, -v3
	v_fmac_f32_e32 v195, v115, v172
	v_add_f32_e32 v2, v2, v4
	v_add_f32_e32 v4, v5, v194
	;; [unrolled: 6-line block ×17, first 2 shown]
	v_mul_f32_e32 v5, v149, v168
	s_waitcnt vmcnt(4)
	v_fma_f32 v8, v146, v188, -v8
	v_mul_f32_e32 v212, v148, v168
	v_add_f32_e32 v2, v2, v4
	v_fmac_f32_e32 v211, v147, v188
	v_add_f32_e32 v3, v3, v210
	s_waitcnt lgkmcnt(0)
	v_mul_f32_e32 v4, v7, v169
	s_waitcnt vmcnt(3)
	v_fma_f32 v5, v148, v189, -v5
	v_add_f32_e32 v2, v2, v8
	v_mul_f32_e32 v213, v6, v169
	v_fmac_f32_e32 v212, v149, v189
	v_add_f32_e32 v3, v3, v211
	s_waitcnt vmcnt(2)
	v_fma_f32 v4, v6, v190, -v4
	v_add_f32_e32 v2, v2, v5
	v_fmac_f32_e32 v213, v7, v190
	v_add_f32_e32 v3, v3, v212
	v_add_f32_e32 v2, v2, v4
	;; [unrolled: 1-line block ×3, first 2 shown]
	s_waitcnt vmcnt(1)
	v_sub_f32_e32 v2, v191, v2
	s_waitcnt vmcnt(0)
	v_sub_f32_e32 v3, v192, v3
	buffer_store_dword v2, off, s[0:3], 0 offset:240
	buffer_store_dword v3, off, s[0:3], 0 offset:244
	v_cmpx_lt_u32_e32 29, v0
	s_cbranch_execz .LBB115_267
; %bb.266:
	s_clause 0x1
	buffer_load_dword v2, off, s[0:3], 0 offset:232
	buffer_load_dword v3, off, s[0:3], 0 offset:236
	buffer_store_dword v1, off, s[0:3], 0 offset:232
	buffer_store_dword v1, off, s[0:3], 0 offset:236
	s_waitcnt vmcnt(0)
	ds_write_b64 v113, v[2:3]
.LBB115_267:
	s_or_b32 exec_lo, exec_lo, s4
	s_waitcnt lgkmcnt(0)
	s_waitcnt_vscnt null, 0x0
	s_barrier
	buffer_gl0_inv
	s_clause 0x2d
	buffer_load_dword v6, off, s[0:3], 0 offset:244
	buffer_load_dword v7, off, s[0:3], 0 offset:252
	buffer_load_dword v8, off, s[0:3], 0 offset:260
	buffer_load_dword v154, off, s[0:3], 0 offset:268
	buffer_load_dword v155, off, s[0:3], 0 offset:276
	buffer_load_dword v156, off, s[0:3], 0 offset:284
	buffer_load_dword v157, off, s[0:3], 0 offset:292
	buffer_load_dword v158, off, s[0:3], 0 offset:300
	buffer_load_dword v159, off, s[0:3], 0 offset:308
	buffer_load_dword v160, off, s[0:3], 0 offset:316
	buffer_load_dword v161, off, s[0:3], 0 offset:324
	buffer_load_dword v162, off, s[0:3], 0 offset:332
	buffer_load_dword v163, off, s[0:3], 0 offset:340
	buffer_load_dword v164, off, s[0:3], 0 offset:348
	buffer_load_dword v165, off, s[0:3], 0 offset:356
	buffer_load_dword v166, off, s[0:3], 0 offset:364
	buffer_load_dword v167, off, s[0:3], 0 offset:372
	buffer_load_dword v168, off, s[0:3], 0 offset:380
	buffer_load_dword v169, off, s[0:3], 0 offset:388
	buffer_load_dword v170, off, s[0:3], 0 offset:396
	buffer_load_dword v171, off, s[0:3], 0 offset:404
	buffer_load_dword v172, off, s[0:3], 0 offset:412
	buffer_load_dword v173, off, s[0:3], 0 offset:240
	buffer_load_dword v174, off, s[0:3], 0 offset:248
	buffer_load_dword v175, off, s[0:3], 0 offset:256
	buffer_load_dword v176, off, s[0:3], 0 offset:264
	buffer_load_dword v177, off, s[0:3], 0 offset:272
	buffer_load_dword v178, off, s[0:3], 0 offset:280
	buffer_load_dword v179, off, s[0:3], 0 offset:288
	buffer_load_dword v180, off, s[0:3], 0 offset:296
	buffer_load_dword v181, off, s[0:3], 0 offset:304
	buffer_load_dword v182, off, s[0:3], 0 offset:312
	buffer_load_dword v183, off, s[0:3], 0 offset:320
	buffer_load_dword v184, off, s[0:3], 0 offset:328
	buffer_load_dword v185, off, s[0:3], 0 offset:336
	buffer_load_dword v186, off, s[0:3], 0 offset:344
	buffer_load_dword v187, off, s[0:3], 0 offset:352
	buffer_load_dword v188, off, s[0:3], 0 offset:360
	buffer_load_dword v189, off, s[0:3], 0 offset:368
	buffer_load_dword v190, off, s[0:3], 0 offset:376
	buffer_load_dword v191, off, s[0:3], 0 offset:384
	buffer_load_dword v192, off, s[0:3], 0 offset:392
	buffer_load_dword v193, off, s[0:3], 0 offset:400
	buffer_load_dword v194, off, s[0:3], 0 offset:408
	buffer_load_dword v195, off, s[0:3], 0 offset:232
	buffer_load_dword v196, off, s[0:3], 0 offset:236
	ds_read_b128 v[2:5], v1 offset:656
	ds_read_b128 v[114:117], v1 offset:672
	;; [unrolled: 1-line block ×11, first 2 shown]
	s_mov_b32 s4, exec_lo
	s_waitcnt vmcnt(45) lgkmcnt(10)
	v_mul_f32_e32 v1, v2, v6
	v_mul_f32_e32 v6, v3, v6
	s_waitcnt vmcnt(44)
	v_mul_f32_e32 v197, v4, v7
	v_mul_f32_e32 v7, v5, v7
	s_waitcnt vmcnt(43) lgkmcnt(9)
	v_mul_f32_e32 v198, v114, v8
	s_waitcnt vmcnt(42)
	v_mul_f32_e32 v199, v116, v154
	s_waitcnt vmcnt(41) lgkmcnt(8)
	v_mul_f32_e32 v200, v118, v155
	s_waitcnt vmcnt(40)
	;; [unrolled: 4-line block ×9, first 2 shown]
	v_mul_f32_e32 v215, v148, v170
	s_waitcnt vmcnt(23)
	v_fma_f32 v2, v2, v173, -v6
	v_fmac_f32_e32 v1, v3, v173
	v_mul_f32_e32 v3, v115, v8
	s_waitcnt vmcnt(22)
	v_fma_f32 v4, v4, v174, -v7
	v_fmac_f32_e32 v197, v5, v174
	v_add_f32_e32 v2, 0, v2
	v_add_f32_e32 v1, 0, v1
	v_mul_f32_e32 v5, v117, v154
	s_waitcnt vmcnt(21)
	v_fma_f32 v3, v114, v175, -v3
	v_fmac_f32_e32 v198, v115, v175
	v_add_f32_e32 v2, v2, v4
	v_add_f32_e32 v1, v1, v197
	;; [unrolled: 6-line block ×18, first 2 shown]
	s_waitcnt lgkmcnt(0)
	v_mul_f32_e32 v3, v151, v171
	s_waitcnt vmcnt(4)
	v_fma_f32 v4, v148, v192, -v4
	v_mul_f32_e32 v216, v150, v171
	v_add_f32_e32 v2, v2, v5
	v_fmac_f32_e32 v215, v149, v192
	v_add_f32_e32 v1, v1, v214
	v_mul_f32_e32 v5, v153, v172
	s_waitcnt vmcnt(3)
	v_fma_f32 v3, v150, v193, -v3
	v_add_f32_e32 v2, v2, v4
	v_mul_f32_e32 v217, v152, v172
	v_fmac_f32_e32 v216, v151, v193
	v_add_f32_e32 v1, v1, v215
	s_waitcnt vmcnt(2)
	v_fma_f32 v4, v152, v194, -v5
	v_add_f32_e32 v2, v2, v3
	v_fmac_f32_e32 v217, v153, v194
	v_add_f32_e32 v1, v1, v216
	v_add_f32_e32 v2, v2, v4
	v_add_f32_e32 v1, v1, v217
	s_waitcnt vmcnt(1)
	v_sub_f32_e32 v2, v195, v2
	s_waitcnt vmcnt(0)
	v_sub_f32_e32 v1, v196, v1
	buffer_store_dword v2, off, s[0:3], 0 offset:232
	buffer_store_dword v1, off, s[0:3], 0 offset:236
	v_cmpx_lt_u32_e32 28, v0
	s_cbranch_execz .LBB115_269
; %bb.268:
	s_clause 0x1
	buffer_load_dword v1, off, s[0:3], 0 offset:224
	buffer_load_dword v2, off, s[0:3], 0 offset:228
	v_mov_b32_e32 v3, 0
	buffer_store_dword v3, off, s[0:3], 0 offset:224
	buffer_store_dword v3, off, s[0:3], 0 offset:228
	s_waitcnt vmcnt(0)
	ds_write_b64 v113, v[1:2]
.LBB115_269:
	s_or_b32 exec_lo, exec_lo, s4
	s_waitcnt lgkmcnt(0)
	s_waitcnt_vscnt null, 0x0
	s_barrier
	buffer_gl0_inv
	s_clause 0x2f
	buffer_load_dword v8, off, s[0:3], 0 offset:236
	buffer_load_dword v154, off, s[0:3], 0 offset:244
	;; [unrolled: 1-line block ×48, first 2 shown]
	v_mov_b32_e32 v1, 0
	ds_read2_b64 v[2:5], v1 offset0:81 offset1:82
	ds_read2_b64 v[114:117], v1 offset0:83 offset1:84
	;; [unrolled: 1-line block ×11, first 2 shown]
	ds_read_b64 v[6:7], v1 offset:824
	s_mov_b32 s4, exec_lo
	s_waitcnt vmcnt(47) lgkmcnt(11)
	v_mul_f32_e32 v201, v2, v8
	v_mul_f32_e32 v8, v3, v8
	s_waitcnt vmcnt(46)
	v_mul_f32_e32 v202, v4, v154
	v_mul_f32_e32 v154, v5, v154
	s_waitcnt vmcnt(45) lgkmcnt(10)
	v_mul_f32_e32 v203, v114, v155
	s_waitcnt vmcnt(44)
	v_mul_f32_e32 v204, v116, v156
	s_waitcnt vmcnt(43) lgkmcnt(9)
	v_mul_f32_e32 v205, v118, v157
	s_waitcnt vmcnt(42)
	;; [unrolled: 4-line block ×10, first 2 shown]
	v_fma_f32 v2, v2, v176, -v8
	v_fmac_f32_e32 v201, v3, v176
	v_mul_f32_e32 v3, v115, v155
	s_waitcnt vmcnt(23)
	v_fma_f32 v4, v4, v177, -v154
	v_fmac_f32_e32 v202, v5, v177
	v_add_f32_e32 v2, 0, v2
	v_add_f32_e32 v5, 0, v201
	v_mul_f32_e32 v8, v117, v156
	s_waitcnt vmcnt(22)
	v_fma_f32 v3, v114, v178, -v3
	v_fmac_f32_e32 v203, v115, v178
	v_add_f32_e32 v2, v2, v4
	v_add_f32_e32 v4, v5, v202
	;; [unrolled: 6-line block ×19, first 2 shown]
	v_mul_f32_e32 v8, v153, v174
	s_waitcnt vmcnt(4)
	v_fma_f32 v4, v150, v196, -v4
	v_mul_f32_e32 v222, v152, v174
	v_add_f32_e32 v2, v2, v5
	v_fmac_f32_e32 v221, v151, v196
	v_add_f32_e32 v3, v3, v220
	s_waitcnt lgkmcnt(0)
	v_mul_f32_e32 v5, v7, v175
	s_waitcnt vmcnt(3)
	v_fma_f32 v8, v152, v197, -v8
	v_add_f32_e32 v2, v2, v4
	v_mul_f32_e32 v223, v6, v175
	v_fmac_f32_e32 v222, v153, v197
	v_add_f32_e32 v3, v3, v221
	s_waitcnt vmcnt(2)
	v_fma_f32 v4, v6, v198, -v5
	v_add_f32_e32 v2, v2, v8
	v_fmac_f32_e32 v223, v7, v198
	v_add_f32_e32 v3, v3, v222
	v_add_f32_e32 v2, v2, v4
	;; [unrolled: 1-line block ×3, first 2 shown]
	s_waitcnt vmcnt(1)
	v_sub_f32_e32 v2, v199, v2
	s_waitcnt vmcnt(0)
	v_sub_f32_e32 v3, v200, v3
	buffer_store_dword v2, off, s[0:3], 0 offset:224
	buffer_store_dword v3, off, s[0:3], 0 offset:228
	v_cmpx_lt_u32_e32 27, v0
	s_cbranch_execz .LBB115_271
; %bb.270:
	s_clause 0x1
	buffer_load_dword v2, off, s[0:3], 0 offset:216
	buffer_load_dword v3, off, s[0:3], 0 offset:220
	buffer_store_dword v1, off, s[0:3], 0 offset:216
	buffer_store_dword v1, off, s[0:3], 0 offset:220
	s_waitcnt vmcnt(0)
	ds_write_b64 v113, v[2:3]
.LBB115_271:
	s_or_b32 exec_lo, exec_lo, s4
	s_waitcnt lgkmcnt(0)
	s_waitcnt_vscnt null, 0x0
	s_barrier
	buffer_gl0_inv
	s_clause 0x31
	buffer_load_dword v6, off, s[0:3], 0 offset:228
	buffer_load_dword v7, off, s[0:3], 0 offset:236
	;; [unrolled: 1-line block ×50, first 2 shown]
	ds_read_b128 v[2:5], v1 offset:640
	ds_read_b128 v[114:117], v1 offset:656
	;; [unrolled: 1-line block ×12, first 2 shown]
	s_mov_b32 s4, exec_lo
	s_waitcnt vmcnt(49) lgkmcnt(11)
	v_mul_f32_e32 v1, v2, v6
	v_mul_f32_e32 v6, v3, v6
	s_waitcnt vmcnt(48)
	v_mul_f32_e32 v205, v4, v7
	v_mul_f32_e32 v7, v5, v7
	s_waitcnt vmcnt(47) lgkmcnt(10)
	v_mul_f32_e32 v206, v114, v8
	s_waitcnt vmcnt(46)
	v_mul_f32_e32 v207, v116, v158
	s_waitcnt vmcnt(45) lgkmcnt(9)
	v_mul_f32_e32 v208, v118, v159
	s_waitcnt vmcnt(44)
	;; [unrolled: 4-line block ×10, first 2 shown]
	v_mul_f32_e32 v225, v152, v176
	s_waitcnt vmcnt(25)
	v_fma_f32 v2, v2, v179, -v6
	v_fmac_f32_e32 v1, v3, v179
	v_mul_f32_e32 v3, v115, v8
	s_waitcnt vmcnt(24)
	v_fma_f32 v4, v4, v180, -v7
	v_fmac_f32_e32 v205, v5, v180
	v_add_f32_e32 v2, 0, v2
	v_add_f32_e32 v1, 0, v1
	v_mul_f32_e32 v5, v117, v158
	s_waitcnt vmcnt(23)
	v_fma_f32 v3, v114, v181, -v3
	v_fmac_f32_e32 v206, v115, v181
	v_add_f32_e32 v2, v2, v4
	v_add_f32_e32 v1, v1, v205
	;; [unrolled: 6-line block ×20, first 2 shown]
	s_waitcnt lgkmcnt(0)
	v_mul_f32_e32 v4, v155, v177
	s_waitcnt vmcnt(4)
	v_fma_f32 v5, v152, v200, -v5
	v_mul_f32_e32 v226, v154, v177
	v_add_f32_e32 v2, v2, v3
	v_fmac_f32_e32 v225, v153, v200
	v_add_f32_e32 v1, v1, v224
	v_mul_f32_e32 v3, v157, v178
	s_waitcnt vmcnt(3)
	v_fma_f32 v4, v154, v201, -v4
	v_add_f32_e32 v2, v2, v5
	v_mul_f32_e32 v227, v156, v178
	v_fmac_f32_e32 v226, v155, v201
	v_add_f32_e32 v1, v1, v225
	s_waitcnt vmcnt(2)
	v_fma_f32 v3, v156, v202, -v3
	v_add_f32_e32 v2, v2, v4
	v_fmac_f32_e32 v227, v157, v202
	v_add_f32_e32 v1, v1, v226
	v_add_f32_e32 v2, v2, v3
	v_add_f32_e32 v1, v1, v227
	s_waitcnt vmcnt(1)
	v_sub_f32_e32 v2, v203, v2
	s_waitcnt vmcnt(0)
	v_sub_f32_e32 v1, v204, v1
	buffer_store_dword v2, off, s[0:3], 0 offset:216
	buffer_store_dword v1, off, s[0:3], 0 offset:220
	v_cmpx_lt_u32_e32 26, v0
	s_cbranch_execz .LBB115_273
; %bb.272:
	s_clause 0x1
	buffer_load_dword v1, off, s[0:3], 0 offset:208
	buffer_load_dword v2, off, s[0:3], 0 offset:212
	v_mov_b32_e32 v3, 0
	buffer_store_dword v3, off, s[0:3], 0 offset:208
	buffer_store_dword v3, off, s[0:3], 0 offset:212
	s_waitcnt vmcnt(0)
	ds_write_b64 v113, v[1:2]
.LBB115_273:
	s_or_b32 exec_lo, exec_lo, s4
	s_waitcnt lgkmcnt(0)
	s_waitcnt_vscnt null, 0x0
	s_barrier
	buffer_gl0_inv
	s_clause 0x33
	buffer_load_dword v8, off, s[0:3], 0 offset:220
	buffer_load_dword v158, off, s[0:3], 0 offset:228
	;; [unrolled: 1-line block ×52, first 2 shown]
	v_mov_b32_e32 v1, 0
	ds_read2_b64 v[2:5], v1 offset0:79 offset1:80
	ds_read2_b64 v[114:117], v1 offset0:81 offset1:82
	;; [unrolled: 1-line block ×12, first 2 shown]
	ds_read_b64 v[6:7], v1 offset:824
	s_mov_b32 s4, exec_lo
	s_waitcnt vmcnt(51) lgkmcnt(12)
	v_mul_f32_e32 v209, v2, v8
	v_mul_f32_e32 v8, v3, v8
	s_waitcnt vmcnt(50)
	v_mul_f32_e32 v210, v4, v158
	v_mul_f32_e32 v158, v5, v158
	s_waitcnt vmcnt(49) lgkmcnt(11)
	v_mul_f32_e32 v211, v114, v159
	s_waitcnt vmcnt(48)
	v_mul_f32_e32 v212, v116, v160
	s_waitcnt vmcnt(47) lgkmcnt(10)
	v_mul_f32_e32 v213, v118, v161
	s_waitcnt vmcnt(46)
	;; [unrolled: 4-line block ×11, first 2 shown]
	v_fma_f32 v2, v2, v182, -v8
	v_fmac_f32_e32 v209, v3, v182
	v_mul_f32_e32 v3, v115, v159
	s_waitcnt vmcnt(25)
	v_fma_f32 v4, v4, v183, -v158
	v_fmac_f32_e32 v210, v5, v183
	v_add_f32_e32 v2, 0, v2
	v_add_f32_e32 v5, 0, v209
	v_mul_f32_e32 v8, v117, v160
	s_waitcnt vmcnt(24)
	v_fma_f32 v3, v114, v184, -v3
	v_fmac_f32_e32 v211, v115, v184
	v_add_f32_e32 v2, v2, v4
	v_add_f32_e32 v4, v5, v210
	v_mul_f32_e32 v5, v119, v161
	s_waitcnt vmcnt(23)
	v_fma_f32 v8, v116, v185, -v8
	v_fmac_f32_e32 v212, v117, v185
	v_add_f32_e32 v2, v2, v3
	v_add_f32_e32 v3, v4, v211
	v_mul_f32_e32 v4, v121, v162
	s_waitcnt vmcnt(22)
	v_fma_f32 v5, v118, v186, -v5
	v_fmac_f32_e32 v213, v119, v186
	v_add_f32_e32 v2, v2, v8
	v_add_f32_e32 v3, v3, v212
	v_mul_f32_e32 v8, v123, v163
	s_waitcnt vmcnt(21)
	v_fma_f32 v4, v120, v187, -v4
	v_fmac_f32_e32 v214, v121, v187
	v_add_f32_e32 v2, v2, v5
	v_add_f32_e32 v3, v3, v213
	v_mul_f32_e32 v5, v125, v164
	s_waitcnt vmcnt(20)
	v_fma_f32 v8, v122, v188, -v8
	v_fmac_f32_e32 v215, v123, v188
	v_add_f32_e32 v2, v2, v4
	v_add_f32_e32 v3, v3, v214
	v_mul_f32_e32 v4, v127, v165
	s_waitcnt vmcnt(19)
	v_fma_f32 v5, v124, v189, -v5
	v_fmac_f32_e32 v216, v125, v189
	v_add_f32_e32 v2, v2, v8
	v_add_f32_e32 v3, v3, v215
	v_mul_f32_e32 v8, v129, v166
	s_waitcnt vmcnt(18)
	v_fma_f32 v4, v126, v190, -v4
	v_fmac_f32_e32 v217, v127, v190
	v_add_f32_e32 v2, v2, v5
	v_add_f32_e32 v3, v3, v216
	v_mul_f32_e32 v5, v131, v167
	s_waitcnt vmcnt(17)
	v_fma_f32 v8, v128, v191, -v8
	v_fmac_f32_e32 v218, v129, v191
	v_add_f32_e32 v2, v2, v4
	v_add_f32_e32 v3, v3, v217
	v_mul_f32_e32 v4, v133, v168
	s_waitcnt vmcnt(16)
	v_fma_f32 v5, v130, v192, -v5
	v_fmac_f32_e32 v219, v131, v192
	v_add_f32_e32 v2, v2, v8
	v_add_f32_e32 v3, v3, v218
	v_mul_f32_e32 v8, v135, v169
	s_waitcnt vmcnt(15)
	v_fma_f32 v4, v132, v193, -v4
	v_fmac_f32_e32 v220, v133, v193
	v_add_f32_e32 v2, v2, v5
	v_add_f32_e32 v3, v3, v219
	v_mul_f32_e32 v5, v137, v170
	s_waitcnt vmcnt(14)
	v_fma_f32 v8, v134, v194, -v8
	v_fmac_f32_e32 v221, v135, v194
	v_add_f32_e32 v2, v2, v4
	v_add_f32_e32 v3, v3, v220
	v_mul_f32_e32 v4, v139, v171
	s_waitcnt vmcnt(13)
	v_fma_f32 v5, v136, v195, -v5
	v_fmac_f32_e32 v222, v137, v195
	v_add_f32_e32 v2, v2, v8
	v_add_f32_e32 v3, v3, v221
	v_mul_f32_e32 v8, v141, v172
	s_waitcnt vmcnt(12)
	v_fma_f32 v4, v138, v196, -v4
	v_fmac_f32_e32 v223, v139, v196
	v_add_f32_e32 v2, v2, v5
	v_add_f32_e32 v3, v3, v222
	v_mul_f32_e32 v5, v143, v173
	s_waitcnt vmcnt(11)
	v_fma_f32 v8, v140, v197, -v8
	v_fmac_f32_e32 v224, v141, v197
	v_add_f32_e32 v2, v2, v4
	v_add_f32_e32 v3, v3, v223
	v_mul_f32_e32 v4, v145, v174
	s_waitcnt vmcnt(10)
	v_fma_f32 v5, v142, v198, -v5
	v_fmac_f32_e32 v225, v143, v198
	v_add_f32_e32 v2, v2, v8
	v_add_f32_e32 v3, v3, v224
	v_mul_f32_e32 v8, v147, v175
	s_waitcnt vmcnt(9)
	v_fma_f32 v4, v144, v199, -v4
	v_fmac_f32_e32 v226, v145, v199
	v_add_f32_e32 v2, v2, v5
	v_add_f32_e32 v3, v3, v225
	v_mul_f32_e32 v5, v149, v176
	s_waitcnt vmcnt(8)
	v_fma_f32 v8, v146, v200, -v8
	v_fmac_f32_e32 v227, v147, v200
	v_add_f32_e32 v2, v2, v4
	v_add_f32_e32 v3, v3, v226
	v_mul_f32_e32 v4, v151, v177
	s_waitcnt vmcnt(7)
	v_fma_f32 v5, v148, v201, -v5
	v_fmac_f32_e32 v228, v149, v201
	v_add_f32_e32 v2, v2, v8
	v_add_f32_e32 v3, v3, v227
	v_mul_f32_e32 v8, v153, v178
	s_waitcnt vmcnt(6)
	v_fma_f32 v4, v150, v202, -v4
	v_fmac_f32_e32 v229, v151, v202
	v_add_f32_e32 v2, v2, v5
	v_add_f32_e32 v3, v3, v228
	v_mul_f32_e32 v5, v155, v179
	s_waitcnt vmcnt(5)
	v_fma_f32 v8, v152, v203, -v8
	v_fmac_f32_e32 v230, v153, v203
	v_add_f32_e32 v2, v2, v4
	v_add_f32_e32 v3, v3, v229
	v_mul_f32_e32 v4, v157, v180
	s_waitcnt vmcnt(4)
	v_fma_f32 v5, v154, v204, -v5
	v_mul_f32_e32 v232, v156, v180
	v_add_f32_e32 v2, v2, v8
	v_fmac_f32_e32 v231, v155, v204
	v_add_f32_e32 v3, v3, v230
	s_waitcnt lgkmcnt(0)
	v_mul_f32_e32 v8, v7, v181
	s_waitcnt vmcnt(3)
	v_fma_f32 v4, v156, v205, -v4
	v_add_f32_e32 v2, v2, v5
	v_mul_f32_e32 v233, v6, v181
	v_fmac_f32_e32 v232, v157, v205
	v_add_f32_e32 v3, v3, v231
	s_waitcnt vmcnt(2)
	v_fma_f32 v5, v6, v206, -v8
	v_add_f32_e32 v2, v2, v4
	v_fmac_f32_e32 v233, v7, v206
	v_add_f32_e32 v3, v3, v232
	v_add_f32_e32 v2, v2, v5
	;; [unrolled: 1-line block ×3, first 2 shown]
	s_waitcnt vmcnt(1)
	v_sub_f32_e32 v2, v207, v2
	s_waitcnt vmcnt(0)
	v_sub_f32_e32 v3, v208, v3
	buffer_store_dword v2, off, s[0:3], 0 offset:208
	buffer_store_dword v3, off, s[0:3], 0 offset:212
	v_cmpx_lt_u32_e32 25, v0
	s_cbranch_execz .LBB115_275
; %bb.274:
	s_clause 0x1
	buffer_load_dword v2, off, s[0:3], 0 offset:200
	buffer_load_dword v3, off, s[0:3], 0 offset:204
	buffer_store_dword v1, off, s[0:3], 0 offset:200
	buffer_store_dword v1, off, s[0:3], 0 offset:204
	s_waitcnt vmcnt(0)
	ds_write_b64 v113, v[2:3]
.LBB115_275:
	s_or_b32 exec_lo, exec_lo, s4
	s_waitcnt lgkmcnt(0)
	s_waitcnt_vscnt null, 0x0
	s_barrier
	buffer_gl0_inv
	s_clause 0x35
	buffer_load_dword v6, off, s[0:3], 0 offset:212
	buffer_load_dword v7, off, s[0:3], 0 offset:220
	;; [unrolled: 1-line block ×54, first 2 shown]
	ds_read_b128 v[2:5], v1 offset:624
	ds_read_b128 v[114:117], v1 offset:640
	;; [unrolled: 1-line block ×13, first 2 shown]
	s_mov_b32 s4, exec_lo
	s_waitcnt vmcnt(53) lgkmcnt(12)
	v_mul_f32_e32 v1, v2, v6
	v_mul_f32_e32 v6, v3, v6
	s_waitcnt vmcnt(52)
	v_mul_f32_e32 v213, v4, v7
	v_mul_f32_e32 v7, v5, v7
	s_waitcnt vmcnt(51) lgkmcnt(11)
	v_mul_f32_e32 v214, v114, v8
	s_waitcnt vmcnt(50)
	v_mul_f32_e32 v215, v116, v162
	s_waitcnt vmcnt(49) lgkmcnt(10)
	v_mul_f32_e32 v216, v118, v163
	s_waitcnt vmcnt(48)
	;; [unrolled: 4-line block ×11, first 2 shown]
	v_mul_f32_e32 v235, v156, v182
	s_waitcnt vmcnt(27)
	v_fma_f32 v2, v2, v185, -v6
	v_fmac_f32_e32 v1, v3, v185
	v_mul_f32_e32 v3, v115, v8
	s_waitcnt vmcnt(26)
	v_fma_f32 v4, v4, v186, -v7
	v_fmac_f32_e32 v213, v5, v186
	v_add_f32_e32 v2, 0, v2
	v_add_f32_e32 v1, 0, v1
	v_mul_f32_e32 v5, v117, v162
	s_waitcnt vmcnt(25)
	v_fma_f32 v3, v114, v187, -v3
	v_fmac_f32_e32 v214, v115, v187
	v_add_f32_e32 v2, v2, v4
	v_add_f32_e32 v1, v1, v213
	;; [unrolled: 6-line block ×22, first 2 shown]
	s_waitcnt lgkmcnt(0)
	v_mul_f32_e32 v5, v159, v183
	s_waitcnt vmcnt(4)
	v_fma_f32 v3, v156, v208, -v3
	v_mul_f32_e32 v236, v158, v183
	v_add_f32_e32 v2, v2, v4
	v_fmac_f32_e32 v235, v157, v208
	v_add_f32_e32 v1, v1, v234
	v_mul_f32_e32 v4, v161, v184
	s_waitcnt vmcnt(3)
	v_fma_f32 v5, v158, v209, -v5
	v_add_f32_e32 v2, v2, v3
	v_mul_f32_e32 v237, v160, v184
	v_fmac_f32_e32 v236, v159, v209
	v_add_f32_e32 v1, v1, v235
	s_waitcnt vmcnt(2)
	v_fma_f32 v3, v160, v210, -v4
	v_add_f32_e32 v2, v2, v5
	v_fmac_f32_e32 v237, v161, v210
	v_add_f32_e32 v1, v1, v236
	v_add_f32_e32 v2, v2, v3
	;; [unrolled: 1-line block ×3, first 2 shown]
	s_waitcnt vmcnt(1)
	v_sub_f32_e32 v2, v211, v2
	s_waitcnt vmcnt(0)
	v_sub_f32_e32 v1, v212, v1
	buffer_store_dword v2, off, s[0:3], 0 offset:200
	buffer_store_dword v1, off, s[0:3], 0 offset:204
	v_cmpx_lt_u32_e32 24, v0
	s_cbranch_execz .LBB115_277
; %bb.276:
	s_clause 0x1
	buffer_load_dword v1, off, s[0:3], 0 offset:192
	buffer_load_dword v2, off, s[0:3], 0 offset:196
	v_mov_b32_e32 v3, 0
	buffer_store_dword v3, off, s[0:3], 0 offset:192
	buffer_store_dword v3, off, s[0:3], 0 offset:196
	s_waitcnt vmcnt(0)
	ds_write_b64 v113, v[1:2]
.LBB115_277:
	s_or_b32 exec_lo, exec_lo, s4
	s_waitcnt lgkmcnt(0)
	s_waitcnt_vscnt null, 0x0
	s_barrier
	buffer_gl0_inv
	s_clause 0x37
	buffer_load_dword v8, off, s[0:3], 0 offset:204
	buffer_load_dword v162, off, s[0:3], 0 offset:212
	buffer_load_dword v163, off, s[0:3], 0 offset:220
	buffer_load_dword v164, off, s[0:3], 0 offset:228
	buffer_load_dword v165, off, s[0:3], 0 offset:236
	buffer_load_dword v166, off, s[0:3], 0 offset:244
	buffer_load_dword v167, off, s[0:3], 0 offset:252
	buffer_load_dword v168, off, s[0:3], 0 offset:260
	buffer_load_dword v169, off, s[0:3], 0 offset:268
	buffer_load_dword v170, off, s[0:3], 0 offset:276
	buffer_load_dword v171, off, s[0:3], 0 offset:284
	buffer_load_dword v172, off, s[0:3], 0 offset:292
	buffer_load_dword v173, off, s[0:3], 0 offset:300
	buffer_load_dword v174, off, s[0:3], 0 offset:308
	buffer_load_dword v175, off, s[0:3], 0 offset:316
	buffer_load_dword v176, off, s[0:3], 0 offset:324
	buffer_load_dword v177, off, s[0:3], 0 offset:332
	buffer_load_dword v178, off, s[0:3], 0 offset:340
	buffer_load_dword v179, off, s[0:3], 0 offset:348
	buffer_load_dword v180, off, s[0:3], 0 offset:356
	buffer_load_dword v181, off, s[0:3], 0 offset:364
	buffer_load_dword v182, off, s[0:3], 0 offset:372
	buffer_load_dword v183, off, s[0:3], 0 offset:380
	buffer_load_dword v184, off, s[0:3], 0 offset:388
	buffer_load_dword v185, off, s[0:3], 0 offset:396
	buffer_load_dword v186, off, s[0:3], 0 offset:404
	buffer_load_dword v187, off, s[0:3], 0 offset:412
	buffer_load_dword v188, off, s[0:3], 0 offset:200
	buffer_load_dword v189, off, s[0:3], 0 offset:208
	buffer_load_dword v190, off, s[0:3], 0 offset:216
	buffer_load_dword v191, off, s[0:3], 0 offset:224
	buffer_load_dword v192, off, s[0:3], 0 offset:232
	buffer_load_dword v193, off, s[0:3], 0 offset:240
	buffer_load_dword v194, off, s[0:3], 0 offset:248
	buffer_load_dword v195, off, s[0:3], 0 offset:256
	buffer_load_dword v196, off, s[0:3], 0 offset:264
	buffer_load_dword v197, off, s[0:3], 0 offset:272
	buffer_load_dword v198, off, s[0:3], 0 offset:280
	buffer_load_dword v199, off, s[0:3], 0 offset:288
	buffer_load_dword v200, off, s[0:3], 0 offset:296
	buffer_load_dword v201, off, s[0:3], 0 offset:304
	buffer_load_dword v202, off, s[0:3], 0 offset:312
	buffer_load_dword v203, off, s[0:3], 0 offset:320
	buffer_load_dword v204, off, s[0:3], 0 offset:328
	buffer_load_dword v205, off, s[0:3], 0 offset:336
	buffer_load_dword v206, off, s[0:3], 0 offset:344
	buffer_load_dword v207, off, s[0:3], 0 offset:352
	buffer_load_dword v208, off, s[0:3], 0 offset:360
	buffer_load_dword v209, off, s[0:3], 0 offset:368
	buffer_load_dword v210, off, s[0:3], 0 offset:376
	buffer_load_dword v211, off, s[0:3], 0 offset:384
	buffer_load_dword v212, off, s[0:3], 0 offset:392
	buffer_load_dword v213, off, s[0:3], 0 offset:400
	buffer_load_dword v214, off, s[0:3], 0 offset:408
	buffer_load_dword v215, off, s[0:3], 0 offset:192
	buffer_load_dword v216, off, s[0:3], 0 offset:196
	v_mov_b32_e32 v1, 0
	ds_read2_b64 v[2:5], v1 offset0:77 offset1:78
	ds_read2_b64 v[114:117], v1 offset0:79 offset1:80
	ds_read2_b64 v[118:121], v1 offset0:81 offset1:82
	ds_read2_b64 v[122:125], v1 offset0:83 offset1:84
	ds_read2_b64 v[126:129], v1 offset0:85 offset1:86
	ds_read2_b64 v[130:133], v1 offset0:87 offset1:88
	ds_read2_b64 v[134:137], v1 offset0:89 offset1:90
	ds_read2_b64 v[138:141], v1 offset0:91 offset1:92
	ds_read2_b64 v[142:145], v1 offset0:93 offset1:94
	ds_read2_b64 v[146:149], v1 offset0:95 offset1:96
	ds_read2_b64 v[150:153], v1 offset0:97 offset1:98
	ds_read2_b64 v[154:157], v1 offset0:99 offset1:100
	ds_read2_b64 v[158:161], v1 offset0:101 offset1:102
	ds_read_b64 v[6:7], v1 offset:824
	s_mov_b32 s4, exec_lo
	s_waitcnt vmcnt(55) lgkmcnt(13)
	v_mul_f32_e32 v217, v2, v8
	v_mul_f32_e32 v8, v3, v8
	s_waitcnt vmcnt(54)
	v_mul_f32_e32 v218, v4, v162
	v_mul_f32_e32 v162, v5, v162
	s_waitcnt vmcnt(53) lgkmcnt(12)
	v_mul_f32_e32 v219, v114, v163
	s_waitcnt vmcnt(52)
	v_mul_f32_e32 v220, v116, v164
	s_waitcnt vmcnt(51) lgkmcnt(11)
	v_mul_f32_e32 v221, v118, v165
	s_waitcnt vmcnt(50)
	;; [unrolled: 4-line block ×12, first 2 shown]
	v_fma_f32 v2, v2, v188, -v8
	v_fmac_f32_e32 v217, v3, v188
	v_mul_f32_e32 v3, v115, v163
	s_waitcnt vmcnt(27)
	v_fma_f32 v4, v4, v189, -v162
	v_fmac_f32_e32 v218, v5, v189
	v_add_f32_e32 v2, 0, v2
	v_add_f32_e32 v5, 0, v217
	v_mul_f32_e32 v8, v117, v164
	s_waitcnt vmcnt(26)
	v_fma_f32 v3, v114, v190, -v3
	v_fmac_f32_e32 v219, v115, v190
	v_add_f32_e32 v2, v2, v4
	v_add_f32_e32 v4, v5, v218
	;; [unrolled: 6-line block ×23, first 2 shown]
	v_mul_f32_e32 v5, v161, v186
	s_waitcnt vmcnt(4)
	v_fma_f32 v8, v158, v212, -v8
	v_mul_f32_e32 v242, v160, v186
	v_add_f32_e32 v2, v2, v4
	v_fmac_f32_e32 v241, v159, v212
	v_add_f32_e32 v3, v3, v240
	s_waitcnt lgkmcnt(0)
	v_mul_f32_e32 v4, v7, v187
	s_waitcnt vmcnt(3)
	v_fma_f32 v5, v160, v213, -v5
	v_add_f32_e32 v2, v2, v8
	v_mul_f32_e32 v243, v6, v187
	v_fmac_f32_e32 v242, v161, v213
	v_add_f32_e32 v3, v3, v241
	s_waitcnt vmcnt(2)
	v_fma_f32 v4, v6, v214, -v4
	v_add_f32_e32 v2, v2, v5
	v_fmac_f32_e32 v243, v7, v214
	v_add_f32_e32 v3, v3, v242
	v_add_f32_e32 v2, v2, v4
	;; [unrolled: 1-line block ×3, first 2 shown]
	s_waitcnt vmcnt(1)
	v_sub_f32_e32 v2, v215, v2
	s_waitcnt vmcnt(0)
	v_sub_f32_e32 v3, v216, v3
	buffer_store_dword v2, off, s[0:3], 0 offset:192
	buffer_store_dword v3, off, s[0:3], 0 offset:196
	v_cmpx_lt_u32_e32 23, v0
	s_cbranch_execz .LBB115_279
; %bb.278:
	s_clause 0x1
	buffer_load_dword v2, off, s[0:3], 0 offset:184
	buffer_load_dword v3, off, s[0:3], 0 offset:188
	buffer_store_dword v1, off, s[0:3], 0 offset:184
	buffer_store_dword v1, off, s[0:3], 0 offset:188
	s_waitcnt vmcnt(0)
	ds_write_b64 v113, v[2:3]
.LBB115_279:
	s_or_b32 exec_lo, exec_lo, s4
	s_waitcnt lgkmcnt(0)
	s_waitcnt_vscnt null, 0x0
	s_barrier
	buffer_gl0_inv
	s_clause 0x39
	buffer_load_dword v6, off, s[0:3], 0 offset:196
	buffer_load_dword v7, off, s[0:3], 0 offset:204
	;; [unrolled: 1-line block ×58, first 2 shown]
	ds_read_b128 v[2:5], v1 offset:608
	ds_read_b128 v[114:117], v1 offset:624
	;; [unrolled: 1-line block ×14, first 2 shown]
	s_mov_b32 s4, exec_lo
	s_waitcnt vmcnt(57) lgkmcnt(13)
	v_mul_f32_e32 v1, v2, v6
	v_mul_f32_e32 v6, v3, v6
	s_waitcnt vmcnt(56)
	v_mul_f32_e32 v221, v4, v7
	v_mul_f32_e32 v7, v5, v7
	s_waitcnt vmcnt(55) lgkmcnt(12)
	v_mul_f32_e32 v222, v114, v8
	s_waitcnt vmcnt(54)
	v_mul_f32_e32 v223, v116, v166
	s_waitcnt vmcnt(53) lgkmcnt(11)
	v_mul_f32_e32 v224, v118, v167
	s_waitcnt vmcnt(52)
	;; [unrolled: 4-line block ×12, first 2 shown]
	v_mul_f32_e32 v245, v160, v188
	s_waitcnt vmcnt(29)
	v_fma_f32 v2, v2, v191, -v6
	v_fmac_f32_e32 v1, v3, v191
	v_mul_f32_e32 v3, v115, v8
	s_waitcnt vmcnt(28)
	v_fma_f32 v4, v4, v192, -v7
	v_fmac_f32_e32 v221, v5, v192
	v_add_f32_e32 v2, 0, v2
	v_add_f32_e32 v1, 0, v1
	v_mul_f32_e32 v5, v117, v166
	s_waitcnt vmcnt(27)
	v_fma_f32 v3, v114, v193, -v3
	v_fmac_f32_e32 v222, v115, v193
	v_add_f32_e32 v2, v2, v4
	v_add_f32_e32 v1, v1, v221
	;; [unrolled: 6-line block ×24, first 2 shown]
	s_waitcnt lgkmcnt(0)
	v_mul_f32_e32 v3, v163, v189
	s_waitcnt vmcnt(4)
	v_fma_f32 v4, v160, v216, -v4
	v_mul_f32_e32 v246, v162, v189
	v_add_f32_e32 v2, v2, v5
	v_fmac_f32_e32 v245, v161, v216
	v_add_f32_e32 v1, v1, v244
	v_mul_f32_e32 v5, v165, v190
	s_waitcnt vmcnt(3)
	v_fma_f32 v3, v162, v217, -v3
	v_add_f32_e32 v2, v2, v4
	v_mul_f32_e32 v247, v164, v190
	v_fmac_f32_e32 v246, v163, v217
	v_add_f32_e32 v1, v1, v245
	s_waitcnt vmcnt(2)
	v_fma_f32 v4, v164, v218, -v5
	v_add_f32_e32 v2, v2, v3
	v_fmac_f32_e32 v247, v165, v218
	v_add_f32_e32 v1, v1, v246
	v_add_f32_e32 v2, v2, v4
	;; [unrolled: 1-line block ×3, first 2 shown]
	s_waitcnt vmcnt(1)
	v_sub_f32_e32 v2, v219, v2
	s_waitcnt vmcnt(0)
	v_sub_f32_e32 v1, v220, v1
	buffer_store_dword v2, off, s[0:3], 0 offset:184
	buffer_store_dword v1, off, s[0:3], 0 offset:188
	v_cmpx_lt_u32_e32 22, v0
	s_cbranch_execz .LBB115_281
; %bb.280:
	s_clause 0x1
	buffer_load_dword v1, off, s[0:3], 0 offset:176
	buffer_load_dword v2, off, s[0:3], 0 offset:180
	v_mov_b32_e32 v3, 0
	buffer_store_dword v3, off, s[0:3], 0 offset:176
	buffer_store_dword v3, off, s[0:3], 0 offset:180
	s_waitcnt vmcnt(0)
	ds_write_b64 v113, v[1:2]
.LBB115_281:
	s_or_b32 exec_lo, exec_lo, s4
	s_waitcnt lgkmcnt(0)
	s_waitcnt_vscnt null, 0x0
	s_barrier
	buffer_gl0_inv
	s_clause 0x3b
	buffer_load_dword v8, off, s[0:3], 0 offset:188
	buffer_load_dword v166, off, s[0:3], 0 offset:196
	;; [unrolled: 1-line block ×60, first 2 shown]
	v_mov_b32_e32 v1, 0
	ds_read2_b64 v[2:5], v1 offset0:75 offset1:76
	ds_read2_b64 v[114:117], v1 offset0:77 offset1:78
	;; [unrolled: 1-line block ×14, first 2 shown]
	ds_read_b64 v[6:7], v1 offset:824
	s_mov_b32 s4, exec_lo
	s_waitcnt vmcnt(59) lgkmcnt(14)
	v_mul_f32_e32 v225, v2, v8
	v_mul_f32_e32 v8, v3, v8
	s_waitcnt vmcnt(58)
	v_mul_f32_e32 v226, v4, v166
	v_mul_f32_e32 v166, v5, v166
	s_waitcnt vmcnt(57) lgkmcnt(13)
	v_mul_f32_e32 v227, v114, v167
	s_waitcnt vmcnt(56)
	v_mul_f32_e32 v228, v116, v168
	s_waitcnt vmcnt(55) lgkmcnt(12)
	v_mul_f32_e32 v229, v118, v169
	s_waitcnt vmcnt(54)
	;; [unrolled: 4-line block ×13, first 2 shown]
	v_fma_f32 v2, v2, v194, -v8
	v_fmac_f32_e32 v225, v3, v194
	v_mul_f32_e32 v3, v115, v167
	s_waitcnt vmcnt(29)
	v_fma_f32 v4, v4, v195, -v166
	v_fmac_f32_e32 v226, v5, v195
	v_add_f32_e32 v2, 0, v2
	v_add_f32_e32 v5, 0, v225
	v_mul_f32_e32 v8, v117, v168
	s_waitcnt vmcnt(28)
	v_fma_f32 v3, v114, v196, -v3
	v_fmac_f32_e32 v227, v115, v196
	v_add_f32_e32 v2, v2, v4
	v_add_f32_e32 v4, v5, v226
	v_mul_f32_e32 v5, v119, v169
	s_waitcnt vmcnt(27)
	v_fma_f32 v8, v116, v197, -v8
	v_fmac_f32_e32 v228, v117, v197
	v_add_f32_e32 v2, v2, v3
	v_add_f32_e32 v3, v4, v227
	v_mul_f32_e32 v4, v121, v170
	s_waitcnt vmcnt(26)
	v_fma_f32 v5, v118, v198, -v5
	v_fmac_f32_e32 v229, v119, v198
	v_add_f32_e32 v2, v2, v8
	v_add_f32_e32 v3, v3, v228
	v_mul_f32_e32 v8, v123, v171
	s_waitcnt vmcnt(25)
	v_fma_f32 v4, v120, v199, -v4
	v_fmac_f32_e32 v230, v121, v199
	v_add_f32_e32 v2, v2, v5
	v_add_f32_e32 v3, v3, v229
	v_mul_f32_e32 v5, v125, v172
	s_waitcnt vmcnt(24)
	v_fma_f32 v8, v122, v200, -v8
	v_fmac_f32_e32 v231, v123, v200
	v_add_f32_e32 v2, v2, v4
	v_add_f32_e32 v3, v3, v230
	v_mul_f32_e32 v4, v127, v173
	s_waitcnt vmcnt(23)
	v_fma_f32 v5, v124, v201, -v5
	v_fmac_f32_e32 v232, v125, v201
	v_add_f32_e32 v2, v2, v8
	v_add_f32_e32 v3, v3, v231
	v_mul_f32_e32 v8, v129, v174
	s_waitcnt vmcnt(22)
	v_fma_f32 v4, v126, v202, -v4
	v_fmac_f32_e32 v233, v127, v202
	v_add_f32_e32 v2, v2, v5
	v_add_f32_e32 v3, v3, v232
	v_mul_f32_e32 v5, v131, v175
	s_waitcnt vmcnt(21)
	v_fma_f32 v8, v128, v203, -v8
	v_fmac_f32_e32 v234, v129, v203
	v_add_f32_e32 v2, v2, v4
	v_add_f32_e32 v3, v3, v233
	v_mul_f32_e32 v4, v133, v176
	s_waitcnt vmcnt(20)
	v_fma_f32 v5, v130, v204, -v5
	v_fmac_f32_e32 v235, v131, v204
	v_add_f32_e32 v2, v2, v8
	v_add_f32_e32 v3, v3, v234
	v_mul_f32_e32 v8, v135, v177
	s_waitcnt vmcnt(19)
	v_fma_f32 v4, v132, v205, -v4
	v_fmac_f32_e32 v236, v133, v205
	v_add_f32_e32 v2, v2, v5
	v_add_f32_e32 v3, v3, v235
	v_mul_f32_e32 v5, v137, v178
	s_waitcnt vmcnt(18)
	v_fma_f32 v8, v134, v206, -v8
	v_fmac_f32_e32 v237, v135, v206
	v_add_f32_e32 v2, v2, v4
	v_add_f32_e32 v3, v3, v236
	v_mul_f32_e32 v4, v139, v179
	s_waitcnt vmcnt(17)
	v_fma_f32 v5, v136, v207, -v5
	v_fmac_f32_e32 v238, v137, v207
	v_add_f32_e32 v2, v2, v8
	v_add_f32_e32 v3, v3, v237
	v_mul_f32_e32 v8, v141, v180
	s_waitcnt vmcnt(16)
	v_fma_f32 v4, v138, v208, -v4
	v_fmac_f32_e32 v239, v139, v208
	v_add_f32_e32 v2, v2, v5
	v_add_f32_e32 v3, v3, v238
	v_mul_f32_e32 v5, v143, v181
	s_waitcnt vmcnt(15)
	v_fma_f32 v8, v140, v209, -v8
	v_fmac_f32_e32 v240, v141, v209
	v_add_f32_e32 v2, v2, v4
	v_add_f32_e32 v3, v3, v239
	v_mul_f32_e32 v4, v145, v182
	s_waitcnt vmcnt(14)
	v_fma_f32 v5, v142, v210, -v5
	v_fmac_f32_e32 v241, v143, v210
	v_add_f32_e32 v2, v2, v8
	v_add_f32_e32 v3, v3, v240
	v_mul_f32_e32 v8, v147, v183
	s_waitcnt vmcnt(13)
	v_fma_f32 v4, v144, v211, -v4
	v_fmac_f32_e32 v242, v145, v211
	v_add_f32_e32 v2, v2, v5
	v_add_f32_e32 v3, v3, v241
	v_mul_f32_e32 v5, v149, v184
	s_waitcnt vmcnt(12)
	v_fma_f32 v8, v146, v212, -v8
	v_fmac_f32_e32 v243, v147, v212
	v_add_f32_e32 v2, v2, v4
	v_add_f32_e32 v3, v3, v242
	v_mul_f32_e32 v4, v151, v185
	s_waitcnt vmcnt(11)
	v_fma_f32 v5, v148, v213, -v5
	v_fmac_f32_e32 v244, v149, v213
	v_add_f32_e32 v2, v2, v8
	v_add_f32_e32 v3, v3, v243
	v_mul_f32_e32 v8, v153, v186
	s_waitcnt vmcnt(10)
	v_fma_f32 v4, v150, v214, -v4
	v_fmac_f32_e32 v245, v151, v214
	v_add_f32_e32 v2, v2, v5
	v_add_f32_e32 v3, v3, v244
	v_mul_f32_e32 v5, v155, v187
	s_waitcnt vmcnt(9)
	v_fma_f32 v8, v152, v215, -v8
	v_fmac_f32_e32 v246, v153, v215
	v_add_f32_e32 v2, v2, v4
	v_add_f32_e32 v3, v3, v245
	v_mul_f32_e32 v4, v157, v188
	s_waitcnt vmcnt(8)
	v_fma_f32 v5, v154, v216, -v5
	v_fmac_f32_e32 v247, v155, v216
	v_add_f32_e32 v2, v2, v8
	v_add_f32_e32 v3, v3, v246
	v_mul_f32_e32 v8, v159, v189
	s_waitcnt vmcnt(7)
	v_fma_f32 v4, v156, v217, -v4
	v_fmac_f32_e32 v248, v157, v217
	v_add_f32_e32 v2, v2, v5
	v_add_f32_e32 v3, v3, v247
	v_mul_f32_e32 v5, v161, v190
	s_waitcnt vmcnt(6)
	v_fma_f32 v8, v158, v218, -v8
	v_fmac_f32_e32 v249, v159, v218
	v_add_f32_e32 v2, v2, v4
	v_add_f32_e32 v3, v3, v248
	v_mul_f32_e32 v4, v163, v191
	s_waitcnt vmcnt(5)
	v_fma_f32 v5, v160, v219, -v5
	v_fmac_f32_e32 v250, v161, v219
	v_add_f32_e32 v2, v2, v8
	v_add_f32_e32 v3, v3, v249
	v_mul_f32_e32 v8, v165, v192
	s_waitcnt vmcnt(4)
	v_fma_f32 v4, v162, v220, -v4
	v_mul_f32_e32 v252, v164, v192
	v_add_f32_e32 v2, v2, v5
	v_fmac_f32_e32 v251, v163, v220
	v_add_f32_e32 v3, v3, v250
	s_waitcnt lgkmcnt(0)
	v_mul_f32_e32 v5, v7, v193
	s_waitcnt vmcnt(3)
	v_fma_f32 v8, v164, v221, -v8
	v_add_f32_e32 v2, v2, v4
	v_mul_f32_e32 v253, v6, v193
	v_fmac_f32_e32 v252, v165, v221
	v_add_f32_e32 v3, v3, v251
	s_waitcnt vmcnt(2)
	v_fma_f32 v4, v6, v222, -v5
	v_add_f32_e32 v2, v2, v8
	v_fmac_f32_e32 v253, v7, v222
	v_add_f32_e32 v3, v3, v252
	v_add_f32_e32 v2, v2, v4
	;; [unrolled: 1-line block ×3, first 2 shown]
	s_waitcnt vmcnt(1)
	v_sub_f32_e32 v2, v223, v2
	s_waitcnt vmcnt(0)
	v_sub_f32_e32 v3, v224, v3
	buffer_store_dword v2, off, s[0:3], 0 offset:176
	buffer_store_dword v3, off, s[0:3], 0 offset:180
	v_cmpx_lt_u32_e32 21, v0
	s_cbranch_execz .LBB115_283
; %bb.282:
	s_clause 0x1
	buffer_load_dword v2, off, s[0:3], 0 offset:168
	buffer_load_dword v3, off, s[0:3], 0 offset:172
	buffer_store_dword v1, off, s[0:3], 0 offset:168
	buffer_store_dword v1, off, s[0:3], 0 offset:172
	s_waitcnt vmcnt(0)
	ds_write_b64 v113, v[2:3]
.LBB115_283:
	s_or_b32 exec_lo, exec_lo, s4
	s_waitcnt lgkmcnt(0)
	s_waitcnt_vscnt null, 0x0
	s_barrier
	buffer_gl0_inv
	s_clause 0x1b
	buffer_load_dword v3, off, s[0:3], 0 offset:180
	buffer_load_dword v4, off, s[0:3], 0 offset:188
	;; [unrolled: 1-line block ×28, first 2 shown]
	ds_read_b128 v[137:140], v1 offset:592
	ds_read_b128 v[141:144], v1 offset:608
	s_clause 0x1
	buffer_load_dword v133, off, s[0:3], 0 offset:284
	buffer_load_dword v130, off, s[0:3], 0 offset:292
	ds_read_b128 v[145:148], v1 offset:624
	ds_read_b128 v[149:152], v1 offset:640
	;; [unrolled: 1-line block ×3, first 2 shown]
	buffer_load_dword v157, off, s[0:3], 0 offset:172
	s_mov_b32 s4, exec_lo
	s_waitcnt vmcnt(30) lgkmcnt(4)
	v_mul_f32_e32 v158, v137, v3
	s_waitcnt vmcnt(29)
	v_mul_f32_e32 v159, v139, v4
	v_mul_f32_e32 v3, v138, v3
	;; [unrolled: 1-line block ×3, first 2 shown]
	s_waitcnt vmcnt(28) lgkmcnt(3)
	v_mul_f32_e32 v160, v141, v5
	v_mul_f32_e32 v5, v142, v5
	s_waitcnt vmcnt(24)
	v_fmac_f32_e32 v158, v138, v8
	v_fmac_f32_e32 v159, v140, v7
	v_fma_f32 v8, v137, v8, -v3
	v_fma_f32 v7, v139, v7, -v4
	s_clause 0x7
	buffer_load_dword v137, off, s[0:3], 0 offset:300
	buffer_load_dword v138, off, s[0:3], 0 offset:304
	;; [unrolled: 1-line block ×8, first 2 shown]
	v_mul_f32_e32 v161, v143, v6
	v_mul_f32_e32 v6, v144, v6
	v_fmac_f32_e32 v160, v142, v2
	v_fma_f32 v141, v141, v2, -v5
	ds_read_b128 v[2:5], v1 offset:672
	s_waitcnt vmcnt(28)
	v_fmac_f32_e32 v161, v144, v121
	v_fma_f32 v6, v143, v121, -v6
	s_waitcnt vmcnt(27) lgkmcnt(3)
	v_mul_f32_e32 v121, v145, v119
	v_mul_f32_e32 v119, v146, v119
	s_waitcnt vmcnt(26)
	v_mul_f32_e32 v142, v147, v120
	v_mul_f32_e32 v120, v148, v120
	s_waitcnt vmcnt(25) lgkmcnt(2)
	v_mul_f32_e32 v143, v149, v118
	v_mul_f32_e32 v118, v150, v118
	v_fmac_f32_e32 v121, v146, v116
	v_fma_f32 v116, v145, v116, -v119
	s_waitcnt vmcnt(24)
	v_mul_f32_e32 v119, v151, v117
	v_mul_f32_e32 v117, v152, v117
	v_fmac_f32_e32 v142, v148, v115
	v_fma_f32 v120, v147, v115, -v120
	s_waitcnt vmcnt(23) lgkmcnt(1)
	v_mul_f32_e32 v144, v153, v122
	s_waitcnt vmcnt(22)
	v_mul_f32_e32 v145, v155, v125
	v_mul_f32_e32 v115, v154, v122
	v_mul_f32_e32 v122, v156, v125
	v_fmac_f32_e32 v143, v150, v114
	v_fma_f32 v118, v149, v114, -v118
	s_waitcnt vmcnt(18)
	v_fmac_f32_e32 v119, v152, v132
	v_fma_f32 v125, v151, v132, -v117
	s_clause 0x7
	buffer_load_dword v146, off, s[0:3], 0 offset:332
	buffer_load_dword v147, off, s[0:3], 0 offset:336
	;; [unrolled: 1-line block ×8, first 2 shown]
	v_fmac_f32_e32 v145, v156, v128
	v_fma_f32 v122, v155, v128, -v122
	s_waitcnt vmcnt(25) lgkmcnt(0)
	v_mul_f32_e32 v128, v2, v127
	v_mul_f32_e32 v114, v3, v127
	v_fmac_f32_e32 v144, v154, v129
	v_fma_f32 v129, v153, v129, -v115
	v_add_f32_e32 v115, 0, v158
	v_fmac_f32_e32 v128, v3, v123
	v_fma_f32 v123, v2, v123, -v114
	s_waitcnt vmcnt(24)
	v_mul_f32_e32 v127, v4, v126
	v_mul_f32_e32 v2, v5, v126
	v_add_f32_e32 v8, 0, v8
	s_clause 0x5
	buffer_load_dword v153, off, s[0:3], 0 offset:364
	buffer_load_dword v154, off, s[0:3], 0 offset:372
	;; [unrolled: 1-line block ×6, first 2 shown]
	v_add_f32_e32 v114, v115, v159
	s_waitcnt vmcnt(26)
	v_fmac_f32_e32 v127, v5, v136
	v_fma_f32 v126, v4, v136, -v2
	ds_read_b128 v[2:5], v1 offset:688
	v_add_f32_e32 v7, v8, v7
	buffer_load_dword v158, off, s[0:3], 0 offset:412
	v_add_f32_e32 v8, v114, v160
	v_add_f32_e32 v7, v7, v141
	s_clause 0x3
	buffer_load_dword v136, off, s[0:3], 0 offset:384
	buffer_load_dword v141, off, s[0:3], 0 offset:376
	;; [unrolled: 1-line block ×4, first 2 shown]
	v_add_f32_e32 v8, v8, v161
	v_add_f32_e32 v6, v7, v6
	;; [unrolled: 1-line block ×4, first 2 shown]
	ds_read_b128 v[114:117], v1 offset:704
	v_add_f32_e32 v7, v7, v142
	s_waitcnt vmcnt(30) lgkmcnt(1)
	v_mul_f32_e32 v8, v2, v135
	v_mul_f32_e32 v121, v3, v135
	s_waitcnt vmcnt(29)
	v_mul_f32_e32 v142, v4, v133
	v_fmac_f32_e32 v8, v3, v134
	v_fma_f32 v132, v2, v134, -v121
	v_add_f32_e32 v2, v6, v120
	v_add_f32_e32 v3, v7, v143
	s_clause 0x3
	buffer_load_dword v6, off, s[0:3], 0 offset:408
	buffer_load_dword v7, off, s[0:3], 0 offset:400
	;; [unrolled: 1-line block ×4, first 2 shown]
	v_fmac_f32_e32 v142, v5, v131
	v_add_f32_e32 v2, v2, v118
	v_add_f32_e32 v3, v3, v119
	v_mul_f32_e32 v118, v5, v133
	v_add_f32_e32 v119, v2, v125
	v_add_f32_e32 v125, v3, v144
	v_fma_f32 v131, v4, v131, -v118
	ds_read_b128 v[2:5], v1 offset:720
	s_waitcnt vmcnt(32) lgkmcnt(1)
	v_mul_f32_e32 v133, v114, v130
	v_add_f32_e32 v129, v119, v129
	ds_read_b128 v[118:121], v1 offset:736
	v_add_f32_e32 v125, v125, v145
	v_mul_f32_e32 v130, v115, v130
	v_fmac_f32_e32 v133, v115, v124
	v_add_f32_e32 v122, v129, v122
	v_add_f32_e32 v128, v125, v128
	;; [unrolled: 1-line block ×6, first 2 shown]
	s_waitcnt vmcnt(30)
	v_mul_f32_e32 v129, v117, v137
	v_mul_f32_e32 v143, v116, v137
	v_fma_f32 v137, v114, v124, -v130
	s_waitcnt vmcnt(28) lgkmcnt(1)
	v_mul_f32_e32 v145, v2, v139
	s_waitcnt vmcnt(27)
	v_mul_f32_e32 v161, v4, v140
	v_mul_f32_e32 v128, v3, v139
	s_waitcnt vmcnt(26) lgkmcnt(0)
	v_mul_f32_e32 v130, v119, v162
	s_waitcnt vmcnt(23)
	v_fma_f32 v144, v116, v165, -v129
	v_add_f32_e32 v129, v122, v123
	v_fmac_f32_e32 v143, v117, v165
	ds_read_b128 v[114:117], v1 offset:752
	ds_read_b128 v[122:125], v1 offset:768
	v_mul_f32_e32 v139, v118, v162
	v_fmac_f32_e32 v145, v3, v138
	v_add_f32_e32 v126, v129, v126
	v_mul_f32_e32 v129, v5, v140
	v_fmac_f32_e32 v161, v5, v164
	v_fma_f32 v138, v2, v138, -v128
	v_fma_f32 v118, v118, v163, -v130
	v_add_f32_e32 v132, v126, v132
	v_fma_f32 v140, v4, v164, -v129
	ds_read_b128 v[2:5], v1 offset:784
	ds_read_b128 v[126:129], v1 offset:800
	v_add_f32_e32 v8, v8, v143
	v_fmac_f32_e32 v139, v119, v163
	v_add_f32_e32 v142, v132, v131
	ds_read_b128 v[130:133], v1 offset:816
	v_add_f32_e32 v8, v8, v145
	v_add_f32_e32 v1, v142, v137
	s_waitcnt vmcnt(22)
	v_mul_f32_e32 v137, v121, v146
	v_mul_f32_e32 v119, v120, v146
	v_add_f32_e32 v8, v8, v161
	s_waitcnt vmcnt(20) lgkmcnt(4)
	v_mul_f32_e32 v142, v114, v148
	v_add_f32_e32 v1, v1, v144
	v_mul_f32_e32 v144, v115, v148
	s_waitcnt vmcnt(15)
	v_fma_f32 v120, v120, v166, -v137
	v_fmac_f32_e32 v119, v121, v166
	v_add_f32_e32 v8, v8, v139
	v_add_f32_e32 v1, v1, v138
	v_fma_f32 v114, v114, v147, -v144
	v_mul_f32_e32 v143, v116, v149
	v_fmac_f32_e32 v142, v115, v147
	v_add_f32_e32 v8, v8, v119
	v_add_f32_e32 v1, v1, v140
	v_mul_f32_e32 v140, v117, v149
	s_waitcnt lgkmcnt(3)
	v_mul_f32_e32 v115, v123, v150
	v_mul_f32_e32 v121, v122, v150
	v_fmac_f32_e32 v143, v117, v152
	v_add_f32_e32 v1, v1, v118
	v_fma_f32 v116, v116, v152, -v140
	v_add_f32_e32 v8, v8, v142
	v_fma_f32 v115, v122, v151, -v115
	s_waitcnt vmcnt(14)
	v_mul_f32_e32 v137, v124, v153
	v_add_f32_e32 v1, v1, v120
	v_fmac_f32_e32 v121, v123, v151
	v_add_f32_e32 v8, v8, v143
	s_waitcnt vmcnt(13) lgkmcnt(2)
	v_mul_f32_e32 v138, v2, v154
	s_waitcnt vmcnt(12)
	v_mul_f32_e32 v145, v4, v155
	v_add_f32_e32 v1, v1, v114
	v_mul_f32_e32 v114, v125, v153
	s_waitcnt vmcnt(4)
	v_fmac_f32_e32 v137, v125, v160
	v_add_f32_e32 v8, v8, v121
	v_fmac_f32_e32 v138, v3, v159
	v_add_f32_e32 v1, v1, v116
	v_mul_f32_e32 v116, v3, v154
	v_fma_f32 v114, v124, v160, -v114
	v_add_f32_e32 v3, v8, v137
	s_waitcnt lgkmcnt(1)
	v_mul_f32_e32 v8, v127, v156
	v_add_f32_e32 v1, v1, v115
	v_mul_f32_e32 v115, v5, v155
	v_fma_f32 v2, v2, v159, -v116
	v_mul_f32_e32 v146, v126, v156
	v_fmac_f32_e32 v145, v5, v141
	v_add_f32_e32 v1, v1, v114
	v_fma_f32 v4, v4, v141, -v115
	v_fma_f32 v5, v126, v136, -v8
	v_mul_f32_e32 v148, v128, v167
	v_fmac_f32_e32 v146, v127, v136
	v_add_f32_e32 v1, v1, v2
	v_add_f32_e32 v2, v3, v138
	v_mul_f32_e32 v3, v129, v167
	s_waitcnt lgkmcnt(0)
	v_mul_f32_e32 v149, v130, v168
	s_waitcnt vmcnt(1)
	v_fmac_f32_e32 v148, v129, v134
	v_add_f32_e32 v1, v1, v4
	v_add_f32_e32 v2, v2, v145
	v_mul_f32_e32 v4, v131, v168
	v_fma_f32 v3, v128, v134, -v3
	v_mul_f32_e32 v118, v132, v158
	v_add_f32_e32 v1, v1, v5
	v_add_f32_e32 v2, v2, v146
	v_mul_f32_e32 v5, v133, v158
	v_fma_f32 v4, v130, v7, -v4
	v_fmac_f32_e32 v149, v131, v7
	v_add_f32_e32 v1, v1, v3
	v_add_f32_e32 v2, v2, v148
	v_fma_f32 v3, v132, v6, -v5
	v_fmac_f32_e32 v118, v133, v6
	v_add_f32_e32 v1, v1, v4
	v_add_f32_e32 v2, v2, v149
	;; [unrolled: 1-line block ×4, first 2 shown]
	s_waitcnt vmcnt(0)
	v_sub_f32_e32 v1, v135, v1
	v_sub_f32_e32 v2, v157, v2
	buffer_store_dword v1, off, s[0:3], 0 offset:168
	buffer_store_dword v2, off, s[0:3], 0 offset:172
	v_cmpx_lt_u32_e32 20, v0
	s_cbranch_execz .LBB115_285
; %bb.284:
	s_clause 0x1
	buffer_load_dword v1, off, s[0:3], 0 offset:160
	buffer_load_dword v2, off, s[0:3], 0 offset:164
	v_mov_b32_e32 v3, 0
	buffer_store_dword v3, off, s[0:3], 0 offset:160
	buffer_store_dword v3, off, s[0:3], 0 offset:164
	s_waitcnt vmcnt(0)
	ds_write_b64 v113, v[1:2]
.LBB115_285:
	s_or_b32 exec_lo, exec_lo, s4
	s_waitcnt lgkmcnt(0)
	s_waitcnt_vscnt null, 0x0
	s_barrier
	buffer_gl0_inv
	s_clause 0x23
	buffer_load_dword v3, off, s[0:3], 0 offset:172
	buffer_load_dword v4, off, s[0:3], 0 offset:180
	;; [unrolled: 1-line block ×36, first 2 shown]
	v_mov_b32_e32 v1, 0
	ds_read2_b64 v[138:141], v1 offset0:73 offset1:74
	ds_read2_b64 v[142:145], v1 offset0:75 offset1:76
	;; [unrolled: 1-line block ×3, first 2 shown]
	s_clause 0x3
	buffer_load_dword v159, off, s[0:3], 0 offset:300
	buffer_load_dword v160, off, s[0:3], 0 offset:308
	;; [unrolled: 1-line block ×4, first 2 shown]
	ds_read2_b64 v[150:153], v1 offset0:79 offset1:80
	s_mov_b32 s4, exec_lo
	s_waitcnt vmcnt(39) lgkmcnt(3)
	v_mul_f32_e32 v163, v138, v3
	v_mul_f32_e32 v3, v139, v3
	s_waitcnt vmcnt(38)
	v_mul_f32_e32 v164, v140, v4
	v_mul_f32_e32 v4, v141, v4
	s_waitcnt vmcnt(35)
	v_fmac_f32_e32 v163, v139, v114
	v_fma_f32 v165, v138, v114, -v3
	s_waitcnt vmcnt(34) lgkmcnt(2)
	v_mul_f32_e32 v166, v142, v8
	v_mul_f32_e32 v3, v143, v8
	v_fmac_f32_e32 v164, v141, v5
	v_fma_f32 v8, v140, v5, -v4
	ds_read2_b64 v[138:141], v1 offset0:81 offset1:82
	s_waitcnt vmcnt(33)
	v_mul_f32_e32 v4, v145, v6
	v_mul_f32_e32 v167, v144, v6
	v_fmac_f32_e32 v166, v143, v2
	v_fma_f32 v6, v142, v2, -v3
	s_waitcnt vmcnt(32) lgkmcnt(2)
	v_mul_f32_e32 v142, v146, v7
	s_waitcnt vmcnt(28)
	v_fma_f32 v143, v144, v121, -v4
	ds_read2_b64 v[2:5], v1 offset0:83 offset1:84
	v_mul_f32_e32 v7, v147, v7
	s_waitcnt vmcnt(27)
	v_mul_f32_e32 v114, v149, v120
	v_mul_f32_e32 v144, v148, v120
	v_fmac_f32_e32 v167, v145, v121
	s_waitcnt vmcnt(26) lgkmcnt(2)
	v_mul_f32_e32 v145, v150, v117
	v_fma_f32 v7, v146, v119, -v7
	v_fma_f32 v146, v148, v116, -v114
	v_mul_f32_e32 v114, v151, v117
	v_fmac_f32_e32 v144, v149, v116
	v_fmac_f32_e32 v142, v147, v119
	s_waitcnt vmcnt(25)
	v_mul_f32_e32 v147, v152, v118
	v_mul_f32_e32 v116, v153, v118
	v_fma_f32 v149, v150, v115, -v114
	s_waitcnt vmcnt(19) lgkmcnt(1)
	v_mul_f32_e32 v150, v140, v128
	v_mul_f32_e32 v128, v141, v128
	;; [unrolled: 1-line block ×4, first 2 shown]
	v_fmac_f32_e32 v145, v151, v115
	v_fmac_f32_e32 v150, v141, v124
	v_fma_f32 v124, v140, v124, -v128
	s_waitcnt vmcnt(17) lgkmcnt(0)
	v_mul_f32_e32 v128, v4, v125
	v_mul_f32_e32 v125, v5, v125
	v_fmac_f32_e32 v147, v153, v129
	v_fma_f32 v129, v152, v129, -v116
	ds_read2_b64 v[114:117], v1 offset0:85 offset1:86
	ds_read2_b64 v[118:121], v1 offset0:87 offset1:88
	v_fmac_f32_e32 v148, v139, v126
	v_fma_f32 v122, v138, v126, -v122
	s_waitcnt vmcnt(13)
	v_fmac_f32_e32 v128, v5, v137
	v_fma_f32 v125, v4, v137, -v125
	s_clause 0x6
	buffer_load_dword v137, off, s[0:3], 0 offset:320
	buffer_load_dword v138, off, s[0:3], 0 offset:332
	buffer_load_dword v139, off, s[0:3], 0 offset:340
	buffer_load_dword v140, off, s[0:3], 0 offset:348
	buffer_load_dword v141, off, s[0:3], 0 offset:344
	buffer_load_dword v151, off, s[0:3], 0 offset:336
	buffer_load_dword v152, off, s[0:3], 0 offset:328
	v_mul_f32_e32 v126, v2, v127
	v_mul_f32_e32 v127, v3, v127
	v_fmac_f32_e32 v126, v3, v123
	v_fma_f32 v123, v2, v123, -v127
	s_waitcnt vmcnt(19) lgkmcnt(1)
	v_mul_f32_e32 v127, v114, v136
	v_mul_f32_e32 v2, v115, v136
	s_waitcnt vmcnt(16) lgkmcnt(0)
	v_mul_f32_e32 v170, v120, v134
	v_mul_f32_e32 v136, v116, v135
	;; [unrolled: 1-line block ×3, first 2 shown]
	v_fmac_f32_e32 v127, v115, v132
	v_fma_f32 v132, v114, v132, -v2
	v_mul_f32_e32 v2, v121, v134
	s_waitcnt vmcnt(11)
	v_fmac_f32_e32 v170, v121, v158
	v_mul_f32_e32 v135, v118, v133
	v_mul_f32_e32 v4, v119, v133
	s_clause 0x3
	buffer_load_dword v133, off, s[0:3], 0 offset:356
	buffer_load_dword v153, off, s[0:3], 0 offset:364
	;; [unrolled: 1-line block ×4, first 2 shown]
	v_fma_f32 v158, v120, v158, -v2
	v_add_f32_e32 v2, 0, v163
	s_clause 0x3
	buffer_load_dword v134, off, s[0:3], 0 offset:388
	buffer_load_dword v171, off, s[0:3], 0 offset:396
	;; [unrolled: 1-line block ×4, first 2 shown]
	v_fmac_f32_e32 v136, v117, v131
	v_fma_f32 v131, v116, v131, -v3
	v_add_f32_e32 v2, v2, v164
	s_clause 0x3
	buffer_load_dword v163, off, s[0:3], 0 offset:376
	buffer_load_dword v164, off, s[0:3], 0 offset:368
	;; [unrolled: 1-line block ×4, first 2 shown]
	v_add_f32_e32 v3, 0, v165
	v_fmac_f32_e32 v135, v119, v130
	v_fma_f32 v130, v118, v130, -v4
	v_add_f32_e32 v2, v2, v166
	v_add_f32_e32 v3, v3, v8
	;; [unrolled: 1-line block ×3, first 2 shown]
	s_clause 0x3
	buffer_load_dword v8, off, s[0:3], 0 offset:408
	buffer_load_dword v165, off, s[0:3], 0 offset:400
	;; [unrolled: 1-line block ×4, first 2 shown]
	v_add_f32_e32 v3, v3, v6
	ds_read2_b64 v[114:117], v1 offset0:91 offset1:92
	v_add_f32_e32 v2, v2, v142
	v_add_f32_e32 v3, v3, v143
	buffer_load_dword v143, off, s[0:3], 0 offset:160
	v_add_f32_e32 v6, v2, v144
	v_add_f32_e32 v3, v3, v7
	;; [unrolled: 1-line block ×4, first 2 shown]
	ds_read2_b64 v[2:5], v1 offset0:89 offset1:90
	v_add_f32_e32 v6, v6, v147
	v_add_f32_e32 v7, v7, v149
	s_waitcnt vmcnt(25) lgkmcnt(1)
	v_mul_f32_e32 v147, v116, v161
	v_add_f32_e32 v6, v6, v148
	v_add_f32_e32 v7, v7, v129
	;; [unrolled: 1-line block ×5, first 2 shown]
	v_mul_f32_e32 v126, v115, v155
	v_add_f32_e32 v7, v7, v124
	s_waitcnt lgkmcnt(0)
	v_mul_f32_e32 v142, v2, v159
	v_mul_f32_e32 v118, v3, v159
	v_add_f32_e32 v6, v6, v128
	v_mul_f32_e32 v144, v4, v160
	v_mul_f32_e32 v119, v5, v160
	v_fmac_f32_e32 v142, v3, v157
	v_add_f32_e32 v3, v7, v123
	v_add_f32_e32 v6, v6, v127
	v_fma_f32 v145, v2, v157, -v118
	v_fmac_f32_e32 v144, v5, v156
	v_fma_f32 v146, v4, v156, -v119
	v_add_f32_e32 v7, v3, v125
	v_add_f32_e32 v6, v6, v136
	ds_read2_b64 v[2:5], v1 offset0:93 offset1:94
	ds_read2_b64 v[118:121], v1 offset0:95 offset1:96
	v_fma_f32 v148, v114, v154, -v126
	ds_read2_b64 v[122:125], v1 offset0:97 offset1:98
	ds_read2_b64 v[126:129], v1 offset0:99 offset1:100
	v_add_f32_e32 v7, v7, v132
	v_mul_f32_e32 v132, v114, v155
	v_add_f32_e32 v7, v7, v131
	v_mul_f32_e32 v131, v117, v161
	v_fmac_f32_e32 v132, v115, v154
	v_add_f32_e32 v7, v7, v130
	s_waitcnt vmcnt(23)
	v_fma_f32 v130, v116, v137, -v131
	v_add_f32_e32 v131, v6, v135
	v_add_f32_e32 v135, v7, v158
	s_waitcnt vmcnt(22) lgkmcnt(3)
	v_mul_f32_e32 v136, v2, v138
	v_mul_f32_e32 v138, v3, v138
	v_fmac_f32_e32 v147, v117, v137
	v_add_f32_e32 v131, v131, v170
	v_add_f32_e32 v135, v135, v145
	s_waitcnt vmcnt(21)
	v_mul_f32_e32 v137, v4, v139
	v_mul_f32_e32 v139, v5, v139
	s_waitcnt vmcnt(17)
	v_fma_f32 v2, v2, v152, -v138
	v_add_f32_e32 v131, v131, v142
	v_add_f32_e32 v135, v135, v146
	v_fmac_f32_e32 v136, v3, v152
	s_waitcnt lgkmcnt(2)
	v_mul_f32_e32 v138, v119, v140
	v_fma_f32 v4, v4, v151, -v139
	v_add_f32_e32 v131, v131, v144
	v_add_f32_e32 v135, v135, v148
	v_mul_f32_e32 v142, v118, v140
	v_fmac_f32_e32 v137, v5, v151
	v_fma_f32 v118, v118, v141, -v138
	v_add_f32_e32 v131, v131, v132
	v_add_f32_e32 v130, v135, v130
	v_fmac_f32_e32 v142, v119, v141
	ds_read2_b64 v[114:117], v1 offset0:101 offset1:102
	ds_read_b64 v[6:7], v1 offset:824
	v_add_f32_e32 v131, v131, v147
	v_add_f32_e32 v2, v130, v2
	s_waitcnt vmcnt(16)
	v_mul_f32_e32 v130, v121, v133
	v_mul_f32_e32 v145, v120, v133
	s_waitcnt vmcnt(15) lgkmcnt(3)
	v_mul_f32_e32 v146, v122, v153
	v_add_f32_e32 v5, v131, v136
	v_add_f32_e32 v2, v2, v4
	s_waitcnt vmcnt(14)
	v_mul_f32_e32 v144, v124, v168
	s_waitcnt vmcnt(13) lgkmcnt(2)
	v_mul_f32_e32 v148, v126, v169
	s_waitcnt vmcnt(12)
	v_mul_f32_e32 v3, v128, v134
	v_add_f32_e32 v4, v5, v137
	v_mul_f32_e32 v5, v123, v153
	v_add_f32_e32 v2, v2, v118
	s_waitcnt vmcnt(5)
	v_fma_f32 v119, v120, v175, -v130
	v_fmac_f32_e32 v145, v121, v175
	v_add_f32_e32 v4, v4, v142
	v_mul_f32_e32 v118, v125, v168
	v_fma_f32 v5, v122, v174, -v5
	v_add_f32_e32 v2, v2, v119
	v_fmac_f32_e32 v146, v123, v174
	v_add_f32_e32 v4, v4, v145
	v_mul_f32_e32 v119, v127, v169
	v_fma_f32 v118, v124, v164, -v118
	v_add_f32_e32 v2, v2, v5
	;; [unrolled: 5-line block ×3, first 2 shown]
	v_fmac_f32_e32 v148, v127, v163
	v_add_f32_e32 v4, v4, v144
	s_waitcnt lgkmcnt(1)
	v_mul_f32_e32 v118, v115, v171
	s_waitcnt vmcnt(1)
	v_fma_f32 v5, v128, v167, -v5
	v_add_f32_e32 v2, v2, v119
	v_mul_f32_e32 v132, v114, v171
	v_fmac_f32_e32 v3, v129, v167
	v_add_f32_e32 v4, v4, v148
	v_mul_f32_e32 v119, v117, v172
	v_fma_f32 v114, v114, v166, -v118
	v_add_f32_e32 v2, v2, v5
	v_mul_f32_e32 v135, v116, v172
	v_fmac_f32_e32 v132, v115, v166
	v_add_f32_e32 v3, v4, v3
	s_waitcnt lgkmcnt(0)
	v_mul_f32_e32 v4, v7, v173
	v_fma_f32 v5, v116, v165, -v119
	v_add_f32_e32 v2, v2, v114
	v_mul_f32_e32 v140, v6, v173
	v_fmac_f32_e32 v135, v117, v165
	v_add_f32_e32 v3, v3, v132
	v_fma_f32 v4, v6, v8, -v4
	v_add_f32_e32 v2, v2, v5
	v_fmac_f32_e32 v140, v7, v8
	v_add_f32_e32 v3, v3, v135
	v_add_f32_e32 v2, v2, v4
	;; [unrolled: 1-line block ×3, first 2 shown]
	s_waitcnt vmcnt(0)
	v_sub_f32_e32 v2, v143, v2
	v_sub_f32_e32 v3, v162, v3
	buffer_store_dword v2, off, s[0:3], 0 offset:160
	buffer_store_dword v3, off, s[0:3], 0 offset:164
	v_cmpx_lt_u32_e32 19, v0
	s_cbranch_execz .LBB115_287
; %bb.286:
	s_clause 0x1
	buffer_load_dword v2, off, s[0:3], 0 offset:152
	buffer_load_dword v3, off, s[0:3], 0 offset:156
	buffer_store_dword v1, off, s[0:3], 0 offset:152
	buffer_store_dword v1, off, s[0:3], 0 offset:156
	s_waitcnt vmcnt(0)
	ds_write_b64 v113, v[2:3]
.LBB115_287:
	s_or_b32 exec_lo, exec_lo, s4
	s_waitcnt lgkmcnt(0)
	s_waitcnt_vscnt null, 0x0
	s_barrier
	buffer_gl0_inv
	s_clause 0x23
	buffer_load_dword v3, off, s[0:3], 0 offset:164
	buffer_load_dword v4, off, s[0:3], 0 offset:172
	;; [unrolled: 1-line block ×36, first 2 shown]
	ds_read_b128 v[138:141], v1 offset:576
	ds_read_b128 v[142:145], v1 offset:592
	s_clause 0x1
	buffer_load_dword v159, off, s[0:3], 0 offset:292
	buffer_load_dword v160, off, s[0:3], 0 offset:300
	ds_read_b128 v[146:149], v1 offset:608
	ds_read_b128 v[150:153], v1 offset:624
	buffer_load_dword v161, off, s[0:3], 0 offset:156
	s_mov_b32 s4, exec_lo
	s_waitcnt vmcnt(38) lgkmcnt(3)
	v_mul_f32_e32 v162, v138, v3
	v_mul_f32_e32 v3, v139, v3
	s_waitcnt vmcnt(37)
	v_mul_f32_e32 v163, v140, v4
	v_mul_f32_e32 v4, v141, v4
	s_waitcnt vmcnt(36) lgkmcnt(2)
	v_mul_f32_e32 v164, v142, v5
	s_waitcnt vmcnt(33)
	v_fmac_f32_e32 v162, v139, v8
	v_fma_f32 v8, v138, v8, -v3
	v_mul_f32_e32 v3, v143, v5
	s_waitcnt vmcnt(32)
	v_mul_f32_e32 v5, v145, v7
	v_mul_f32_e32 v165, v144, v7
	v_fmac_f32_e32 v163, v141, v6
	v_fma_f32 v6, v140, v6, -v4
	v_fmac_f32_e32 v164, v143, v2
	v_fma_f32 v7, v142, v2, -v3
	s_waitcnt vmcnt(28)
	v_fma_f32 v142, v144, v121, -v5
	ds_read_b128 v[2:5], v1 offset:640
	ds_read_b128 v[138:141], v1 offset:656
	s_waitcnt vmcnt(27) lgkmcnt(3)
	v_mul_f32_e32 v143, v146, v120
	v_mul_f32_e32 v120, v147, v120
	v_fmac_f32_e32 v165, v145, v121
	s_waitcnt vmcnt(26)
	v_mul_f32_e32 v144, v148, v119
	v_mul_f32_e32 v119, v149, v119
	s_waitcnt vmcnt(25) lgkmcnt(2)
	v_mul_f32_e32 v145, v150, v117
	v_fmac_f32_e32 v143, v147, v116
	v_fma_f32 v146, v146, v116, -v120
	s_waitcnt vmcnt(24)
	v_mul_f32_e32 v147, v152, v118
	v_mul_f32_e32 v116, v151, v117
	;; [unrolled: 1-line block ×3, first 2 shown]
	v_fmac_f32_e32 v144, v149, v115
	v_fma_f32 v148, v148, v115, -v119
	v_fmac_f32_e32 v145, v151, v114
	s_waitcnt vmcnt(20)
	v_fmac_f32_e32 v147, v153, v129
	v_fma_f32 v149, v150, v114, -v116
	v_fma_f32 v129, v152, v129, -v117
	ds_read_b128 v[114:117], v1 offset:672
	ds_read_b128 v[118:121], v1 offset:688
	s_waitcnt vmcnt(19) lgkmcnt(3)
	v_mul_f32_e32 v150, v2, v127
	s_waitcnt vmcnt(18)
	v_mul_f32_e32 v151, v4, v128
	v_mul_f32_e32 v127, v3, v127
	;; [unrolled: 1-line block ×3, first 2 shown]
	buffer_load_dword v152, off, s[0:3], 0 offset:316
	v_fmac_f32_e32 v150, v3, v126
	v_fmac_f32_e32 v151, v5, v125
	v_fma_f32 v126, v2, v126, -v127
	v_fma_f32 v125, v4, v125, -v128
	s_clause 0x3
	buffer_load_dword v153, off, s[0:3], 0 offset:336
	buffer_load_dword v166, off, s[0:3], 0 offset:328
	;; [unrolled: 1-line block ×4, first 2 shown]
	s_waitcnt vmcnt(22) lgkmcnt(2)
	v_mul_f32_e32 v128, v138, v124
	v_mul_f32_e32 v2, v139, v124
	s_waitcnt vmcnt(21)
	v_mul_f32_e32 v3, v141, v123
	v_mul_f32_e32 v124, v140, v123
	v_fmac_f32_e32 v128, v139, v122
	v_fma_f32 v122, v138, v122, -v2
	buffer_load_dword v138, off, s[0:3], 0 offset:324
	s_waitcnt vmcnt(18)
	v_fma_f32 v123, v140, v137, -v3
	s_waitcnt vmcnt(17) lgkmcnt(1)
	v_mul_f32_e32 v140, v114, v135
	v_mul_f32_e32 v2, v115, v135
	v_fmac_f32_e32 v124, v141, v137
	s_clause 0x1
	buffer_load_dword v137, off, s[0:3], 0 offset:332
	buffer_load_dword v139, off, s[0:3], 0 offset:340
	s_waitcnt vmcnt(18)
	v_mul_f32_e32 v141, v116, v136
	v_mul_f32_e32 v3, v117, v136
	v_fmac_f32_e32 v140, v115, v133
	v_fma_f32 v133, v114, v133, -v2
	s_waitcnt vmcnt(16) lgkmcnt(0)
	v_mul_f32_e32 v2, v121, v132
	v_fmac_f32_e32 v141, v117, v131
	v_fma_f32 v131, v116, v131, -v3
	v_mul_f32_e32 v170, v120, v132
	v_add_f32_e32 v3, 0, v8
	s_waitcnt vmcnt(11)
	v_fma_f32 v132, v120, v158, -v2
	v_add_f32_e32 v2, 0, v162
	v_mul_f32_e32 v135, v118, v134
	v_mul_f32_e32 v4, v119, v134
	s_clause 0x5
	buffer_load_dword v134, off, s[0:3], 0 offset:348
	buffer_load_dword v136, off, s[0:3], 0 offset:356
	;; [unrolled: 1-line block ×6, first 2 shown]
	v_fmac_f32_e32 v170, v121, v158
	s_clause 0x2
	buffer_load_dword v158, off, s[0:3], 0 offset:396
	buffer_load_dword v173, off, s[0:3], 0 offset:404
	buffer_load_dword v8, off, s[0:3], 0 offset:412
	v_add_f32_e32 v2, v2, v163
	v_add_f32_e32 v3, v3, v6
	s_clause 0x3
	buffer_load_dword v6, off, s[0:3], 0 offset:368
	buffer_load_dword v162, off, s[0:3], 0 offset:360
	;; [unrolled: 1-line block ×4, first 2 shown]
	v_fmac_f32_e32 v135, v119, v130
	v_fma_f32 v130, v118, v130, -v4
	v_add_f32_e32 v2, v2, v164
	v_add_f32_e32 v3, v3, v7
	;; [unrolled: 1-line block ×4, first 2 shown]
	s_clause 0x3
	buffer_load_dword v7, off, s[0:3], 0 offset:400
	buffer_load_dword v142, off, s[0:3], 0 offset:392
	;; [unrolled: 1-line block ×4, first 2 shown]
	v_add_f32_e32 v2, v2, v143
	buffer_load_dword v143, off, s[0:3], 0 offset:408
	v_add_f32_e32 v3, v3, v146
	buffer_load_dword v146, off, s[0:3], 0 offset:152
	v_add_f32_e32 v2, v2, v144
	v_add_f32_e32 v3, v3, v148
	;; [unrolled: 1-line block ×4, first 2 shown]
	ds_read_b128 v[2:5], v1 offset:704
	v_add_f32_e32 v114, v114, v147
	v_add_f32_e32 v115, v115, v129
	;; [unrolled: 1-line block ×4, first 2 shown]
	ds_read_b128 v[114:117], v1 offset:720
	v_add_f32_e32 v118, v118, v151
	v_add_f32_e32 v119, v119, v125
	v_add_f32_e32 v118, v118, v128
	v_add_f32_e32 v122, v119, v122
	s_waitcnt vmcnt(29) lgkmcnt(1)
	v_mul_f32_e32 v144, v2, v159
	v_mul_f32_e32 v120, v3, v159
	s_waitcnt vmcnt(28)
	v_mul_f32_e32 v145, v4, v160
	v_mul_f32_e32 v121, v5, v160
	v_add_f32_e32 v124, v118, v124
	v_fmac_f32_e32 v144, v3, v157
	v_fma_f32 v147, v2, v157, -v120
	v_fmac_f32_e32 v145, v5, v156
	v_fma_f32 v148, v4, v156, -v121
	ds_read_b128 v[2:5], v1 offset:736
	ds_read_b128 v[118:121], v1 offset:752
	v_add_f32_e32 v122, v122, v123
	s_waitcnt lgkmcnt(2)
	v_mul_f32_e32 v149, v114, v155
	v_add_f32_e32 v123, v124, v140
	v_mul_f32_e32 v124, v115, v155
	v_add_f32_e32 v122, v122, v133
	v_fmac_f32_e32 v149, v115, v154
	v_add_f32_e32 v115, v123, v141
	v_fma_f32 v140, v114, v154, -v124
	v_add_f32_e32 v126, v122, v131
	v_add_f32_e32 v130, v126, v130
	s_waitcnt vmcnt(26)
	v_mul_f32_e32 v150, v116, v152
	v_mul_f32_e32 v125, v117, v152
	s_waitcnt vmcnt(22)
	v_fmac_f32_e32 v150, v117, v127
	v_fma_f32 v141, v116, v127, -v125
	v_add_f32_e32 v127, v115, v135
	ds_read_b128 v[114:117], v1 offset:768
	ds_read_b128 v[122:125], v1 offset:784
	v_add_f32_e32 v133, v127, v170
	s_waitcnt vmcnt(21) lgkmcnt(3)
	v_mul_f32_e32 v135, v2, v138
	v_mul_f32_e32 v131, v3, v138
	v_add_f32_e32 v138, v130, v132
	ds_read_b128 v[126:129], v1 offset:800
	v_fmac_f32_e32 v135, v3, v167
	v_fma_f32 v2, v2, v167, -v131
	v_add_f32_e32 v3, v133, v144
	ds_read_b128 v[130:133], v1 offset:816
	v_add_f32_e32 v1, v138, v147
	s_waitcnt vmcnt(20)
	v_mul_f32_e32 v138, v4, v137
	v_mul_f32_e32 v137, v5, v137
	v_add_f32_e32 v3, v3, v145
	s_waitcnt vmcnt(19) lgkmcnt(4)
	v_mul_f32_e32 v144, v118, v139
	v_add_f32_e32 v1, v1, v148
	v_mul_f32_e32 v139, v119, v139
	v_fma_f32 v4, v4, v166, -v137
	v_add_f32_e32 v3, v3, v149
	v_fmac_f32_e32 v138, v5, v166
	v_add_f32_e32 v1, v1, v140
	s_waitcnt vmcnt(18)
	v_mul_f32_e32 v145, v120, v134
	v_mul_f32_e32 v134, v121, v134
	v_add_f32_e32 v3, v3, v150
	v_fma_f32 v118, v118, v153, -v139
	v_add_f32_e32 v1, v1, v141
	v_fmac_f32_e32 v144, v119, v153
	s_waitcnt vmcnt(6)
	v_fma_f32 v119, v120, v174, -v134
	s_waitcnt lgkmcnt(3)
	v_mul_f32_e32 v5, v114, v136
	v_fmac_f32_e32 v145, v121, v174
	v_add_f32_e32 v1, v1, v2
	v_add_f32_e32 v2, v3, v135
	v_mul_f32_e32 v137, v116, v168
	v_fmac_f32_e32 v5, v115, v163
	s_waitcnt lgkmcnt(2)
	v_mul_f32_e32 v140, v122, v169
	v_add_f32_e32 v1, v1, v4
	v_add_f32_e32 v2, v2, v138
	v_mul_f32_e32 v4, v115, v136
	v_fmac_f32_e32 v137, v117, v162
	v_mul_f32_e32 v147, v124, v171
	v_add_f32_e32 v1, v1, v118
	v_add_f32_e32 v2, v2, v144
	v_mul_f32_e32 v118, v117, v168
	v_fma_f32 v4, v114, v163, -v4
	v_mul_f32_e32 v114, v123, v169
	v_add_f32_e32 v1, v1, v119
	v_add_f32_e32 v2, v2, v145
	v_fma_f32 v115, v116, v162, -v118
	v_fmac_f32_e32 v140, v123, v6
	s_waitcnt lgkmcnt(1)
	v_mul_f32_e32 v148, v126, v172
	v_add_f32_e32 v1, v1, v4
	v_add_f32_e32 v2, v2, v5
	v_mul_f32_e32 v4, v125, v171
	v_fma_f32 v5, v122, v6, -v114
	v_mul_f32_e32 v6, v127, v172
	v_add_f32_e32 v1, v1, v115
	v_add_f32_e32 v2, v2, v137
	s_waitcnt vmcnt(2)
	v_fma_f32 v4, v124, v165, -v4
	v_fmac_f32_e32 v147, v125, v165
	v_fma_f32 v6, v126, v164, -v6
	v_add_f32_e32 v1, v1, v5
	v_add_f32_e32 v2, v2, v140
	v_mul_f32_e32 v5, v129, v158
	v_mul_f32_e32 v141, v128, v158
	v_fmac_f32_e32 v148, v127, v164
	v_add_f32_e32 v1, v1, v4
	v_add_f32_e32 v2, v2, v147
	s_waitcnt lgkmcnt(0)
	v_mul_f32_e32 v4, v131, v173
	v_fma_f32 v5, v128, v142, -v5
	v_mul_f32_e32 v149, v130, v173
	v_add_f32_e32 v1, v1, v6
	v_fmac_f32_e32 v141, v129, v142
	v_add_f32_e32 v2, v2, v148
	v_mul_f32_e32 v6, v133, v8
	v_fma_f32 v4, v130, v7, -v4
	v_add_f32_e32 v1, v1, v5
	v_mul_f32_e32 v3, v132, v8
	v_fmac_f32_e32 v149, v131, v7
	v_add_f32_e32 v2, v2, v141
	s_waitcnt vmcnt(1)
	v_fma_f32 v5, v132, v143, -v6
	v_add_f32_e32 v1, v1, v4
	v_fmac_f32_e32 v3, v133, v143
	v_add_f32_e32 v2, v2, v149
	v_add_f32_e32 v1, v1, v5
	v_add_f32_e32 v2, v2, v3
	s_waitcnt vmcnt(0)
	v_sub_f32_e32 v1, v146, v1
	v_sub_f32_e32 v2, v161, v2
	buffer_store_dword v1, off, s[0:3], 0 offset:152
	buffer_store_dword v2, off, s[0:3], 0 offset:156
	v_cmpx_lt_u32_e32 18, v0
	s_cbranch_execz .LBB115_289
; %bb.288:
	s_clause 0x1
	buffer_load_dword v1, off, s[0:3], 0 offset:144
	buffer_load_dword v2, off, s[0:3], 0 offset:148
	v_mov_b32_e32 v3, 0
	buffer_store_dword v3, off, s[0:3], 0 offset:144
	buffer_store_dword v3, off, s[0:3], 0 offset:148
	s_waitcnt vmcnt(0)
	ds_write_b64 v113, v[1:2]
.LBB115_289:
	s_or_b32 exec_lo, exec_lo, s4
	s_waitcnt lgkmcnt(0)
	s_waitcnt_vscnt null, 0x0
	s_barrier
	buffer_gl0_inv
	s_clause 0x23
	buffer_load_dword v115, off, s[0:3], 0 offset:156
	buffer_load_dword v117, off, s[0:3], 0 offset:164
	;; [unrolled: 1-line block ×36, first 2 shown]
	v_mov_b32_e32 v114, 0
	ds_read2_b64 v[5:8], v114 offset0:71 offset1:72
	ds_read2_b64 v[1:4], v114 offset0:73 offset1:74
	buffer_load_dword v159, off, s[0:3], 0 offset:148
	ds_read2_b64 v[151:154], v114 offset0:75 offset1:76
	ds_read2_b64 v[155:158], v114 offset0:77 offset1:78
	s_mov_b32 s4, exec_lo
	s_waitcnt vmcnt(36) lgkmcnt(3)
	v_mul_f32_e32 v160, v5, v115
	s_waitcnt vmcnt(35)
	v_mul_f32_e32 v161, v7, v117
	v_mul_f32_e32 v115, v6, v115
	;; [unrolled: 1-line block ×3, first 2 shown]
	s_waitcnt vmcnt(34) lgkmcnt(2)
	v_mul_f32_e32 v162, v1, v118
	v_mul_f32_e32 v118, v2, v118
	s_waitcnt vmcnt(30)
	v_mul_f32_e32 v163, v3, v119
	v_mul_f32_e32 v119, v4, v119
	v_fmac_f32_e32 v160, v6, v121
	v_fmac_f32_e32 v161, v8, v120
	v_fma_f32 v121, v5, v121, -v115
	v_fma_f32 v120, v7, v120, -v117
	ds_read2_b64 v[5:8], v114 offset0:79 offset1:80
	v_fmac_f32_e32 v162, v2, v116
	v_fma_f32 v164, v1, v116, -v118
	ds_read2_b64 v[115:118], v114 offset0:81 offset1:82
	s_waitcnt vmcnt(26)
	v_fmac_f32_e32 v163, v4, v130
	v_fma_f32 v119, v3, v130, -v119
	s_waitcnt vmcnt(25) lgkmcnt(3)
	v_mul_f32_e32 v130, v151, v128
	s_waitcnt vmcnt(24)
	v_mul_f32_e32 v165, v153, v129
	v_mul_f32_e32 v1, v152, v128
	;; [unrolled: 1-line block ×3, first 2 shown]
	s_clause 0x1
	buffer_load_dword v128, off, s[0:3], 0 offset:292
	buffer_load_dword v129, off, s[0:3], 0 offset:300
	v_fmac_f32_e32 v130, v152, v125
	v_fmac_f32_e32 v165, v154, v123
	v_fma_f32 v125, v151, v125, -v1
	v_fma_f32 v123, v153, v123, -v2
	ds_read2_b64 v[1:4], v114 offset0:83 offset1:84
	s_waitcnt vmcnt(25) lgkmcnt(3)
	v_mul_f32_e32 v151, v155, v126
	v_mul_f32_e32 v126, v156, v126
	s_waitcnt vmcnt(24)
	v_mul_f32_e32 v152, v157, v124
	v_mul_f32_e32 v124, v158, v124
	s_waitcnt vmcnt(23) lgkmcnt(2)
	v_mul_f32_e32 v153, v5, v127
	v_fmac_f32_e32 v151, v156, v122
	v_fma_f32 v122, v155, v122, -v126
	s_waitcnt vmcnt(22)
	v_mul_f32_e32 v126, v7, v131
	v_mul_f32_e32 v127, v6, v127
	;; [unrolled: 1-line block ×3, first 2 shown]
	s_waitcnt vmcnt(18)
	v_fma_f32 v124, v157, v138, -v124
	v_fmac_f32_e32 v153, v6, v136
	v_fmac_f32_e32 v126, v8, v135
	v_fma_f32 v127, v5, v136, -v127
	v_fma_f32 v131, v7, v135, -v131
	s_clause 0x5
	buffer_load_dword v135, off, s[0:3], 0 offset:308
	buffer_load_dword v136, off, s[0:3], 0 offset:316
	;; [unrolled: 1-line block ×6, first 2 shown]
	v_fmac_f32_e32 v152, v158, v138
	s_waitcnt vmcnt(23) lgkmcnt(1)
	v_mul_f32_e32 v138, v115, v137
	v_mul_f32_e32 v137, v116, v137
	s_waitcnt vmcnt(22)
	v_mul_f32_e32 v158, v117, v133
	v_mul_f32_e32 v133, v118, v133
	ds_read2_b64 v[5:8], v114 offset0:85 offset1:86
	v_fmac_f32_e32 v138, v116, v132
	v_fma_f32 v115, v115, v132, -v137
	s_waitcnt vmcnt(18)
	v_fmac_f32_e32 v158, v118, v149
	v_fma_f32 v116, v117, v149, -v133
	s_waitcnt vmcnt(17) lgkmcnt(1)
	v_mul_f32_e32 v117, v1, v147
	v_mul_f32_e32 v118, v2, v147
	s_clause 0x1
	buffer_load_dword v137, off, s[0:3], 0 offset:324
	buffer_load_dword v147, off, s[0:3], 0 offset:332
	v_add_f32_e32 v121, 0, v121
	s_waitcnt vmcnt(18)
	v_mul_f32_e32 v132, v3, v148
	v_mul_f32_e32 v133, v4, v148
	v_fma_f32 v118, v1, v144, -v118
	v_add_f32_e32 v1, 0, v160
	v_add_f32_e32 v120, v121, v120
	v_fmac_f32_e32 v117, v2, v144
	v_fmac_f32_e32 v132, v4, v143
	v_fma_f32 v133, v3, v143, -v133
	v_add_f32_e32 v160, v1, v161
	s_clause 0x3
	buffer_load_dword v143, off, s[0:3], 0 offset:340
	buffer_load_dword v144, off, s[0:3], 0 offset:348
	;; [unrolled: 1-line block ×4, first 2 shown]
	ds_read2_b64 v[1:4], v114 offset0:87 offset1:88
	s_waitcnt vmcnt(21) lgkmcnt(1)
	v_mul_f32_e32 v161, v5, v142
	v_mul_f32_e32 v121, v6, v142
	v_add_f32_e32 v142, v160, v162
	s_waitcnt vmcnt(20)
	v_mul_f32_e32 v160, v7, v141
	v_mul_f32_e32 v141, v8, v141
	v_fmac_f32_e32 v161, v6, v139
	v_fma_f32 v139, v5, v139, -v121
	v_add_f32_e32 v5, v142, v163
	v_add_f32_e32 v120, v120, v164
	s_clause 0x3
	buffer_load_dword v142, off, s[0:3], 0 offset:372
	buffer_load_dword v162, off, s[0:3], 0 offset:380
	;; [unrolled: 1-line block ×4, first 2 shown]
	s_waitcnt vmcnt(20)
	v_fmac_f32_e32 v160, v8, v150
	v_fma_f32 v141, v7, v150, -v141
	v_add_f32_e32 v5, v5, v130
	s_clause 0x5
	buffer_load_dword v150, off, s[0:3], 0 offset:404
	buffer_load_dword v130, off, s[0:3], 0 offset:360
	buffer_load_dword v166, off, s[0:3], 0 offset:352
	buffer_load_dword v167, off, s[0:3], 0 offset:344
	buffer_load_dword v168, off, s[0:3], 0 offset:336
	buffer_load_dword v169, off, s[0:3], 0 offset:412
	v_add_f32_e32 v6, v120, v119
	v_add_f32_e32 v5, v5, v165
	s_waitcnt vmcnt(25) lgkmcnt(0)
	v_mul_f32_e32 v121, v2, v146
	v_add_f32_e32 v6, v6, v125
	v_add_f32_e32 v120, v5, v151
	v_mul_f32_e32 v151, v1, v146
	v_add_f32_e32 v119, v6, v123
	ds_read2_b64 v[5:8], v114 offset0:89 offset1:90
	v_add_f32_e32 v120, v120, v152
	v_fmac_f32_e32 v151, v2, v145
	v_fma_f32 v123, v1, v145, -v121
	v_add_f32_e32 v119, v119, v122
	v_add_f32_e32 v2, v120, v153
	s_clause 0x5
	buffer_load_dword v145, off, s[0:3], 0 offset:392
	buffer_load_dword v146, off, s[0:3], 0 offset:384
	;; [unrolled: 1-line block ×6, first 2 shown]
	v_add_f32_e32 v1, v119, v124
	v_add_f32_e32 v2, v2, v126
	v_add_f32_e32 v1, v1, v127
	v_add_f32_e32 v119, v2, v138
	v_add_f32_e32 v1, v1, v131
	buffer_load_dword v131, off, s[0:3], 0 offset:144
	v_add_f32_e32 v119, v119, v158
	v_add_f32_e32 v115, v1, v115
	;; [unrolled: 1-line block ×6, first 2 shown]
	ds_read2_b64 v[115:118], v114 offset0:93 offset1:94
	v_add_f32_e32 v125, v125, v161
	v_add_f32_e32 v124, v121, v133
	;; [unrolled: 1-line block ×4, first 2 shown]
	s_waitcnt vmcnt(30)
	v_mul_f32_e32 v138, v3, v128
	v_mul_f32_e32 v2, v4, v128
	s_waitcnt vmcnt(29) lgkmcnt(1)
	v_mul_f32_e32 v120, v6, v129
	v_fmac_f32_e32 v138, v4, v140
	v_fma_f32 v127, v3, v140, -v2
	ds_read2_b64 v[1:4], v114 offset0:91 offset1:92
	v_mul_f32_e32 v140, v5, v129
	v_fmac_f32_e32 v140, v6, v134
	v_fma_f32 v134, v5, v134, -v120
	s_waitcnt vmcnt(28)
	v_mul_f32_e32 v129, v7, v135
	v_mul_f32_e32 v122, v8, v135
	s_waitcnt vmcnt(23)
	v_fmac_f32_e32 v129, v8, v157
	v_fma_f32 v133, v7, v157, -v122
	ds_read2_b64 v[5:8], v114 offset0:95 offset1:96
	ds_read2_b64 v[119:122], v114 offset0:97 offset1:98
	s_waitcnt lgkmcnt(2)
	v_mul_f32_e32 v126, v2, v136
	v_mul_f32_e32 v132, v1, v136
	v_fma_f32 v136, v1, v156, -v126
	v_add_f32_e32 v1, v125, v160
	s_waitcnt vmcnt(22)
	v_mul_f32_e32 v135, v3, v137
	v_mul_f32_e32 v128, v4, v137
	v_add_f32_e32 v137, v124, v123
	v_fmac_f32_e32 v132, v2, v156
	v_add_f32_e32 v141, v1, v151
	v_fmac_f32_e32 v135, v4, v155
	v_fma_f32 v139, v3, v155, -v128
	v_add_f32_e32 v137, v137, v127
	s_waitcnt vmcnt(21)
	v_mul_f32_e32 v151, v115, v147
	v_add_f32_e32 v138, v141, v138
	s_waitcnt vmcnt(20)
	v_mul_f32_e32 v141, v117, v143
	v_mul_f32_e32 v143, v118, v143
	v_add_f32_e32 v134, v137, v134
	v_mul_f32_e32 v137, v116, v147
	v_add_f32_e32 v138, v138, v140
	v_fmac_f32_e32 v151, v116, v154
	ds_read2_b64 v[123:126], v114 offset0:99 offset1:100
	ds_read2_b64 v[1:4], v114 offset0:101 offset1:102
	v_add_f32_e32 v133, v134, v133
	v_add_f32_e32 v129, v138, v129
	v_fma_f32 v115, v115, v154, -v137
	s_waitcnt vmcnt(19) lgkmcnt(3)
	v_mul_f32_e32 v140, v5, v144
	s_waitcnt vmcnt(18)
	v_mul_f32_e32 v134, v7, v148
	v_add_f32_e32 v133, v133, v136
	v_add_f32_e32 v129, v129, v132
	s_waitcnt vmcnt(17) lgkmcnt(2)
	v_mul_f32_e32 v147, v119, v149
	s_waitcnt vmcnt(9)
	v_fmac_f32_e32 v140, v6, v167
	s_waitcnt vmcnt(8)
	v_fma_f32 v117, v117, v168, -v143
	v_add_f32_e32 v133, v133, v139
	v_add_f32_e32 v129, v129, v135
	v_mul_f32_e32 v139, v6, v144
	v_fmac_f32_e32 v141, v118, v168
	v_fmac_f32_e32 v134, v8, v166
	v_add_f32_e32 v115, v133, v115
	v_add_f32_e32 v118, v129, v151
	v_mul_f32_e32 v129, v8, v148
	v_fma_f32 v5, v5, v167, -v139
	v_mul_f32_e32 v8, v122, v142
	v_add_f32_e32 v6, v115, v117
	v_add_f32_e32 v115, v118, v141
	v_mul_f32_e32 v117, v120, v149
	v_fma_f32 v7, v7, v166, -v129
	v_mul_f32_e32 v138, v121, v142
	v_add_f32_e32 v5, v6, v5
	v_add_f32_e32 v6, v115, v140
	v_fma_f32 v115, v119, v130, -v117
	v_fmac_f32_e32 v147, v120, v130
	ds_read_b64 v[127:128], v114 offset:824
	v_add_f32_e32 v5, v5, v7
	v_add_f32_e32 v6, v6, v134
	s_waitcnt lgkmcnt(2)
	v_mul_f32_e32 v7, v124, v162
	s_waitcnt vmcnt(3)
	v_fma_f32 v8, v121, v153, -v8
	v_mul_f32_e32 v136, v123, v162
	v_add_f32_e32 v5, v5, v115
	v_fmac_f32_e32 v138, v122, v153
	v_add_f32_e32 v6, v6, v147
	v_mul_f32_e32 v115, v126, v163
	v_fma_f32 v7, v123, v152, -v7
	v_add_f32_e32 v5, v5, v8
	v_mul_f32_e32 v116, v125, v163
	v_fmac_f32_e32 v136, v124, v152
	v_add_f32_e32 v6, v6, v138
	s_waitcnt lgkmcnt(1)
	v_mul_f32_e32 v132, v1, v164
	v_mul_f32_e32 v8, v2, v164
	v_fma_f32 v115, v125, v146, -v115
	v_add_f32_e32 v5, v5, v7
	v_fmac_f32_e32 v116, v126, v146
	v_add_f32_e32 v6, v6, v136
	v_mul_f32_e32 v7, v4, v150
	v_fmac_f32_e32 v132, v2, v145
	v_fma_f32 v1, v1, v145, -v8
	v_add_f32_e32 v2, v5, v115
	v_mul_f32_e32 v137, v3, v150
	v_add_f32_e32 v5, v6, v116
	s_waitcnt lgkmcnt(0)
	v_mul_f32_e32 v6, v128, v169
	s_waitcnt vmcnt(1)
	v_fma_f32 v3, v3, v170, -v7
	v_add_f32_e32 v1, v2, v1
	v_mul_f32_e32 v135, v127, v169
	v_fmac_f32_e32 v137, v4, v170
	v_add_f32_e32 v2, v5, v132
	v_fma_f32 v4, v127, v165, -v6
	v_add_f32_e32 v1, v1, v3
	v_fmac_f32_e32 v135, v128, v165
	v_add_f32_e32 v2, v2, v137
	v_add_f32_e32 v1, v1, v4
	;; [unrolled: 1-line block ×3, first 2 shown]
	s_waitcnt vmcnt(0)
	v_sub_f32_e32 v1, v131, v1
	v_sub_f32_e32 v2, v159, v2
	buffer_store_dword v1, off, s[0:3], 0 offset:144
	buffer_store_dword v2, off, s[0:3], 0 offset:148
	v_cmpx_lt_u32_e32 17, v0
	s_cbranch_execz .LBB115_291
; %bb.290:
	s_clause 0x1
	buffer_load_dword v1, off, s[0:3], 0 offset:136
	buffer_load_dword v2, off, s[0:3], 0 offset:140
	buffer_store_dword v114, off, s[0:3], 0 offset:136
	buffer_store_dword v114, off, s[0:3], 0 offset:140
	s_waitcnt vmcnt(0)
	ds_write_b64 v113, v[1:2]
.LBB115_291:
	s_or_b32 exec_lo, exec_lo, s4
	s_waitcnt lgkmcnt(0)
	s_waitcnt_vscnt null, 0x0
	s_barrier
	buffer_gl0_inv
	s_clause 0x23
	buffer_load_dword v149, off, s[0:3], 0 offset:148
	buffer_load_dword v150, off, s[0:3], 0 offset:156
	;; [unrolled: 1-line block ×36, first 2 shown]
	ds_read_b128 v[5:8], v114 offset:560
	ds_read_b128 v[1:4], v114 offset:576
	;; [unrolled: 1-line block ×3, first 2 shown]
	s_clause 0x1
	buffer_load_dword v159, off, s[0:3], 0 offset:284
	buffer_load_dword v160, off, s[0:3], 0 offset:292
	ds_read_b128 v[155:158], v114 offset:608
	buffer_load_dword v163, off, s[0:3], 0 offset:140
	s_mov_b32 s4, exec_lo
	s_waitcnt vmcnt(38) lgkmcnt(3)
	v_mul_f32_e32 v161, v5, v149
	s_waitcnt vmcnt(37)
	v_mul_f32_e32 v162, v7, v150
	v_mul_f32_e32 v149, v6, v149
	;; [unrolled: 1-line block ×3, first 2 shown]
	s_waitcnt vmcnt(34)
	v_fmac_f32_e32 v161, v6, v121
	v_fmac_f32_e32 v162, v8, v120
	v_fma_f32 v121, v5, v121, -v149
	v_fma_f32 v120, v7, v120, -v150
	ds_read_b128 v[5:8], v114 offset:624
	s_waitcnt vmcnt(33) lgkmcnt(3)
	v_mul_f32_e32 v149, v1, v118
	v_mul_f32_e32 v118, v2, v118
	s_waitcnt vmcnt(32)
	v_mul_f32_e32 v150, v3, v117
	v_mul_f32_e32 v117, v4, v117
	s_waitcnt vmcnt(31) lgkmcnt(2)
	v_mul_f32_e32 v164, v151, v116
	v_fmac_f32_e32 v149, v2, v115
	v_fma_f32 v165, v1, v115, -v118
	s_waitcnt vmcnt(30)
	v_mul_f32_e32 v166, v153, v119
	v_mul_f32_e32 v115, v152, v116
	;; [unrolled: 1-line block ×3, first 2 shown]
	s_waitcnt vmcnt(26)
	v_fmac_f32_e32 v150, v4, v127
	v_fma_f32 v119, v3, v127, -v117
	ds_read_b128 v[1:4], v114 offset:640
	v_fmac_f32_e32 v164, v152, v126
	v_fma_f32 v126, v151, v126, -v115
	s_waitcnt vmcnt(25) lgkmcnt(2)
	v_mul_f32_e32 v127, v155, v123
	s_waitcnt vmcnt(24)
	v_mul_f32_e32 v151, v157, v124
	v_mul_f32_e32 v123, v156, v123
	;; [unrolled: 1-line block ×3, first 2 shown]
	v_fmac_f32_e32 v166, v154, v125
	v_fma_f32 v125, v153, v125, -v116
	ds_read_b128 v[115:118], v114 offset:656
	v_fmac_f32_e32 v127, v156, v122
	s_waitcnt vmcnt(19)
	v_fmac_f32_e32 v151, v158, v138
	v_fma_f32 v122, v155, v122, -v123
	v_fma_f32 v123, v157, v138, -v124
	s_clause 0x4
	buffer_load_dword v124, off, s[0:3], 0 offset:300
	buffer_load_dword v138, off, s[0:3], 0 offset:320
	;; [unrolled: 1-line block ×5, first 2 shown]
	s_waitcnt lgkmcnt(2)
	v_mul_f32_e32 v152, v5, v128
	v_mul_f32_e32 v128, v6, v128
	s_waitcnt vmcnt(23)
	v_mul_f32_e32 v156, v7, v134
	v_mul_f32_e32 v134, v8, v134
	v_fmac_f32_e32 v152, v6, v133
	v_fma_f32 v5, v5, v133, -v128
	s_waitcnt vmcnt(22) lgkmcnt(1)
	v_mul_f32_e32 v128, v1, v131
	v_fmac_f32_e32 v156, v8, v130
	v_fma_f32 v130, v7, v130, -v134
	s_waitcnt vmcnt(21)
	v_mul_f32_e32 v133, v3, v132
	v_mul_f32_e32 v6, v2, v131
	;; [unrolled: 1-line block ×3, first 2 shown]
	s_clause 0x2
	buffer_load_dword v131, off, s[0:3], 0 offset:308
	buffer_load_dword v132, off, s[0:3], 0 offset:316
	;; [unrolled: 1-line block ×3, first 2 shown]
	v_fmac_f32_e32 v128, v2, v129
	s_waitcnt vmcnt(20)
	v_fmac_f32_e32 v133, v4, v147
	v_fma_f32 v129, v1, v129, -v6
	v_fma_f32 v147, v3, v147, -v7
	ds_read_b128 v[1:4], v114 offset:672
	v_add_f32_e32 v6, 0, v161
	v_add_f32_e32 v7, 0, v121
	s_waitcnt vmcnt(19) lgkmcnt(1)
	v_mul_f32_e32 v157, v115, v144
	s_waitcnt vmcnt(18)
	v_mul_f32_e32 v158, v117, v145
	v_mul_f32_e32 v8, v116, v144
	v_add_f32_e32 v6, v6, v162
	v_mul_f32_e32 v121, v118, v145
	v_add_f32_e32 v7, v7, v120
	v_fmac_f32_e32 v157, v116, v142
	v_fmac_f32_e32 v158, v118, v141
	v_add_f32_e32 v6, v6, v149
	v_fma_f32 v115, v115, v142, -v8
	v_fma_f32 v120, v117, v141, -v121
	v_add_f32_e32 v7, v7, v165
	s_clause 0x7
	buffer_load_dword v141, off, s[0:3], 0 offset:332
	buffer_load_dword v142, off, s[0:3], 0 offset:340
	;; [unrolled: 1-line block ×8, first 2 shown]
	v_add_f32_e32 v6, v6, v150
	v_add_f32_e32 v7, v7, v119
	s_waitcnt vmcnt(25) lgkmcnt(0)
	v_mul_f32_e32 v8, v2, v139
	v_mul_f32_e32 v121, v1, v139
	s_clause 0x3
	buffer_load_dword v139, off, s[0:3], 0 offset:364
	buffer_load_dword v150, off, s[0:3], 0 offset:372
	;; [unrolled: 1-line block ×4, first 2 shown]
	v_fma_f32 v119, v1, v136, -v8
	v_add_f32_e32 v1, v6, v164
	v_fmac_f32_e32 v121, v2, v136
	v_add_f32_e32 v6, v7, v126
	s_waitcnt vmcnt(28)
	v_mul_f32_e32 v126, v3, v137
	v_mul_f32_e32 v2, v4, v137
	v_add_f32_e32 v7, v1, v166
	s_clause 0x2
	buffer_load_dword v136, off, s[0:3], 0 offset:396
	buffer_load_dword v164, off, s[0:3], 0 offset:404
	;; [unrolled: 1-line block ×3, first 2 shown]
	s_waitcnt vmcnt(27)
	v_fmac_f32_e32 v126, v4, v148
	v_fma_f32 v148, v3, v148, -v2
	ds_read_b128 v[1:4], v114 offset:688
	v_add_f32_e32 v7, v7, v127
	v_add_f32_e32 v6, v6, v125
	;; [unrolled: 1-line block ×3, first 2 shown]
	s_clause 0x3
	buffer_load_dword v151, off, s[0:3], 0 offset:384
	buffer_load_dword v166, off, s[0:3], 0 offset:376
	;; [unrolled: 1-line block ×4, first 2 shown]
	v_add_f32_e32 v6, v6, v122
	v_add_f32_e32 v116, v7, v152
	;; [unrolled: 1-line block ×5, first 2 shown]
	ds_read_b128 v[5:8], v114 offset:704
	s_waitcnt vmcnt(30) lgkmcnt(1)
	v_mul_f32_e32 v123, v1, v146
	v_mul_f32_e32 v118, v2, v146
	s_waitcnt vmcnt(29)
	v_mul_f32_e32 v127, v3, v159
	v_fmac_f32_e32 v123, v2, v143
	v_fma_f32 v125, v1, v143, -v118
	s_clause 0x3
	buffer_load_dword v143, off, s[0:3], 0 offset:408
	buffer_load_dword v146, off, s[0:3], 0 offset:400
	;; [unrolled: 1-line block ×4, first 2 shown]
	v_add_f32_e32 v1, v117, v130
	v_add_f32_e32 v2, v116, v128
	v_mul_f32_e32 v116, v4, v159
	v_fmac_f32_e32 v127, v4, v140
	v_add_f32_e32 v1, v1, v129
	v_add_f32_e32 v2, v2, v133
	v_fma_f32 v128, v3, v140, -v116
	v_add_f32_e32 v117, v1, v147
	v_add_f32_e32 v122, v2, v157
	ds_read_b128 v[1:4], v114 offset:720
	s_waitcnt vmcnt(32) lgkmcnt(1)
	v_mul_f32_e32 v130, v5, v160
	v_mul_f32_e32 v133, v6, v160
	v_add_f32_e32 v129, v117, v115
	ds_read_b128 v[115:118], v114 offset:736
	v_add_f32_e32 v122, v122, v158
	v_fmac_f32_e32 v130, v6, v135
	v_fma_f32 v133, v5, v135, -v133
	v_add_f32_e32 v120, v129, v120
	v_add_f32_e32 v129, v122, v121
	;; [unrolled: 1-line block ×5, first 2 shown]
	s_waitcnt vmcnt(30)
	v_mul_f32_e32 v140, v7, v124
	v_mul_f32_e32 v124, v8, v124
	s_waitcnt vmcnt(26)
	v_fmac_f32_e32 v140, v8, v155
	v_fma_f32 v135, v7, v155, -v124
	v_add_f32_e32 v124, v120, v119
	ds_read_b128 v[5:8], v114 offset:752
	ds_read_b128 v[119:122], v114 offset:768
	v_add_f32_e32 v124, v124, v148
	s_waitcnt vmcnt(25) lgkmcnt(3)
	v_mul_f32_e32 v147, v1, v131
	v_mul_f32_e32 v129, v2, v131
	s_waitcnt vmcnt(24)
	v_mul_f32_e32 v148, v3, v132
	v_mul_f32_e32 v131, v4, v132
	s_waitcnt vmcnt(23) lgkmcnt(2)
	v_mul_f32_e32 v132, v115, v134
	v_fmac_f32_e32 v147, v2, v154
	v_fma_f32 v154, v1, v154, -v129
	v_add_f32_e32 v129, v124, v125
	v_fmac_f32_e32 v148, v4, v153
	v_fma_f32 v131, v3, v153, -v131
	v_mul_f32_e32 v134, v116, v134
	ds_read_b128 v[1:4], v114 offset:784
	ds_read_b128 v[123:126], v114 offset:800
	v_add_f32_e32 v153, v129, v128
	v_fmac_f32_e32 v132, v116, v138
	v_add_f32_e32 v116, v127, v130
	ds_read_b128 v[127:130], v114 offset:816
	v_fma_f32 v115, v115, v138, -v134
	v_add_f32_e32 v114, v153, v133
	s_waitcnt vmcnt(22)
	v_mul_f32_e32 v134, v118, v141
	v_add_f32_e32 v116, v116, v140
	v_mul_f32_e32 v133, v117, v141
	s_waitcnt vmcnt(21) lgkmcnt(4)
	v_mul_f32_e32 v138, v5, v142
	v_add_f32_e32 v114, v114, v135
	v_mul_f32_e32 v140, v6, v142
	v_add_f32_e32 v116, v116, v147
	s_waitcnt vmcnt(15)
	v_fma_f32 v117, v117, v165, -v134
	v_fmac_f32_e32 v133, v118, v165
	v_add_f32_e32 v114, v114, v154
	v_fmac_f32_e32 v138, v6, v162
	v_add_f32_e32 v116, v116, v148
	v_fma_f32 v5, v5, v162, -v140
	v_mul_f32_e32 v135, v7, v144
	v_add_f32_e32 v114, v114, v131
	v_mul_f32_e32 v131, v8, v144
	s_waitcnt lgkmcnt(3)
	v_mul_f32_e32 v118, v119, v145
	s_waitcnt vmcnt(14)
	v_mul_f32_e32 v134, v121, v139
	v_fmac_f32_e32 v135, v8, v161
	v_add_f32_e32 v114, v114, v115
	v_add_f32_e32 v115, v116, v132
	v_fma_f32 v7, v7, v161, -v131
	v_mul_f32_e32 v8, v122, v139
	v_fmac_f32_e32 v118, v120, v149
	v_add_f32_e32 v6, v114, v117
	v_add_f32_e32 v114, v115, v133
	v_mul_f32_e32 v115, v120, v145
	s_waitcnt vmcnt(13) lgkmcnt(2)
	v_mul_f32_e32 v141, v1, v150
	s_waitcnt vmcnt(12)
	v_mul_f32_e32 v142, v3, v167
	v_add_f32_e32 v5, v6, v5
	v_add_f32_e32 v6, v114, v138
	v_fma_f32 v114, v119, v149, -v115
	s_waitcnt vmcnt(4)
	v_fma_f32 v8, v121, v170, -v8
	v_fmac_f32_e32 v134, v122, v170
	v_add_f32_e32 v5, v5, v7
	v_add_f32_e32 v6, v6, v135
	v_mul_f32_e32 v7, v2, v150
	v_fmac_f32_e32 v141, v2, v169
	s_waitcnt lgkmcnt(1)
	v_mul_f32_e32 v147, v123, v168
	v_add_f32_e32 v5, v5, v114
	v_add_f32_e32 v6, v6, v118
	v_mul_f32_e32 v114, v4, v167
	v_fma_f32 v1, v1, v169, -v7
	v_fmac_f32_e32 v142, v4, v166
	v_add_f32_e32 v2, v5, v8
	v_add_f32_e32 v5, v6, v134
	v_mul_f32_e32 v6, v124, v168
	v_fma_f32 v3, v3, v166, -v114
	v_mul_f32_e32 v4, v126, v136
	v_add_f32_e32 v1, v2, v1
	v_add_f32_e32 v2, v5, v141
	v_fma_f32 v5, v123, v151, -v6
	v_mul_f32_e32 v144, v125, v136
	v_fmac_f32_e32 v147, v124, v151
	v_add_f32_e32 v1, v1, v3
	v_add_f32_e32 v2, v2, v142
	s_waitcnt lgkmcnt(0)
	v_mul_f32_e32 v3, v128, v164
	s_waitcnt vmcnt(1)
	v_fma_f32 v4, v125, v152, -v4
	v_mul_f32_e32 v148, v127, v164
	v_add_f32_e32 v1, v1, v5
	v_fmac_f32_e32 v144, v126, v152
	v_add_f32_e32 v2, v2, v147
	v_mul_f32_e32 v5, v130, v137
	v_fma_f32 v3, v127, v146, -v3
	v_add_f32_e32 v1, v1, v4
	v_mul_f32_e32 v116, v129, v137
	v_fmac_f32_e32 v148, v128, v146
	v_add_f32_e32 v2, v2, v144
	v_fma_f32 v4, v129, v143, -v5
	v_add_f32_e32 v1, v1, v3
	v_fmac_f32_e32 v116, v130, v143
	v_add_f32_e32 v2, v2, v148
	v_add_f32_e32 v1, v1, v4
	;; [unrolled: 1-line block ×3, first 2 shown]
	s_waitcnt vmcnt(0)
	v_sub_f32_e32 v1, v156, v1
	v_sub_f32_e32 v2, v163, v2
	buffer_store_dword v1, off, s[0:3], 0 offset:136
	buffer_store_dword v2, off, s[0:3], 0 offset:140
	v_cmpx_lt_u32_e32 16, v0
	s_cbranch_execz .LBB115_293
; %bb.292:
	s_clause 0x1
	buffer_load_dword v1, off, s[0:3], 0 offset:128
	buffer_load_dword v2, off, s[0:3], 0 offset:132
	v_mov_b32_e32 v3, 0
	buffer_store_dword v3, off, s[0:3], 0 offset:128
	buffer_store_dword v3, off, s[0:3], 0 offset:132
	s_waitcnt vmcnt(0)
	ds_write_b64 v113, v[1:2]
.LBB115_293:
	s_or_b32 exec_lo, exec_lo, s4
	s_waitcnt lgkmcnt(0)
	s_waitcnt_vscnt null, 0x0
	s_barrier
	buffer_gl0_inv
	s_clause 0x2a
	buffer_load_dword v7, off, s[0:3], 0 offset:140
	buffer_load_dword v8, off, s[0:3], 0 offset:148
	;; [unrolled: 1-line block ×43, first 2 shown]
	v_mov_b32_e32 v1, 0
	ds_read2_b64 v[146:149], v1 offset0:69 offset1:70
	ds_read2_b64 v[150:153], v1 offset0:71 offset1:72
	;; [unrolled: 1-line block ×3, first 2 shown]
	buffer_load_dword v164, off, s[0:3], 0 offset:132
	s_mov_b32 s4, exec_lo
	s_waitcnt vmcnt(43) lgkmcnt(2)
	v_mul_f32_e32 v162, v146, v7
	s_waitcnt vmcnt(42)
	v_mul_f32_e32 v163, v148, v8
	v_mul_f32_e32 v7, v147, v7
	;; [unrolled: 1-line block ×3, first 2 shown]
	s_waitcnt vmcnt(39)
	v_fmac_f32_e32 v162, v147, v6
	v_fmac_f32_e32 v163, v149, v5
	v_fma_f32 v165, v146, v6, -v7
	v_fma_f32 v166, v148, v5, -v8
	ds_read2_b64 v[5:8], v1 offset0:75 offset1:76
	ds_read2_b64 v[146:149], v1 offset0:77 offset1:78
	s_waitcnt vmcnt(38) lgkmcnt(3)
	v_mul_f32_e32 v167, v150, v3
	v_mul_f32_e32 v3, v151, v3
	s_waitcnt vmcnt(37)
	v_mul_f32_e32 v168, v152, v4
	v_mul_f32_e32 v4, v153, v4
	s_waitcnt vmcnt(32) lgkmcnt(2)
	v_mul_f32_e32 v170, v154, v121
	v_fmac_f32_e32 v167, v151, v2
	v_fma_f32 v169, v150, v2, -v3
	v_mul_f32_e32 v2, v155, v121
	s_waitcnt vmcnt(31)
	v_mul_f32_e32 v171, v156, v120
	v_mul_f32_e32 v3, v157, v120
	v_fmac_f32_e32 v168, v153, v122
	v_fma_f32 v122, v152, v122, -v4
	v_fmac_f32_e32 v170, v155, v117
	v_fma_f32 v154, v154, v117, -v2
	;; [unrolled: 2-line block ×3, first 2 shown]
	ds_read2_b64 v[150:153], v1 offset0:79 offset1:80
	s_waitcnt vmcnt(30) lgkmcnt(2)
	v_mul_f32_e32 v155, v5, v118
	v_mul_f32_e32 v2, v6, v118
	s_waitcnt vmcnt(29)
	v_mul_f32_e32 v157, v7, v116
	v_mul_f32_e32 v3, v8, v116
	s_waitcnt vmcnt(28) lgkmcnt(1)
	v_mul_f32_e32 v172, v146, v119
	v_fmac_f32_e32 v155, v6, v114
	v_fma_f32 v6, v5, v114, -v2
	s_waitcnt vmcnt(24)
	v_fmac_f32_e32 v157, v8, v129
	v_fma_f32 v7, v7, v129, -v3
	s_waitcnt vmcnt(23)
	v_mul_f32_e32 v8, v148, v128
	v_mul_f32_e32 v114, v147, v119
	;; [unrolled: 1-line block ×3, first 2 shown]
	ds_read2_b64 v[2:5], v1 offset0:81 offset1:82
	v_fmac_f32_e32 v172, v147, v127
	v_fmac_f32_e32 v8, v149, v124
	v_fma_f32 v127, v146, v127, -v114
	v_fma_f32 v124, v148, v124, -v115
	ds_read2_b64 v[114:117], v1 offset0:83 offset1:84
	s_waitcnt vmcnt(22) lgkmcnt(2)
	v_mul_f32_e32 v128, v150, v126
	v_mul_f32_e32 v118, v151, v126
	s_waitcnt vmcnt(21)
	v_mul_f32_e32 v126, v152, v125
	v_mul_f32_e32 v119, v153, v125
	buffer_load_dword v125, off, s[0:3], 0 offset:300
	v_fmac_f32_e32 v128, v151, v123
	v_fma_f32 v123, v150, v123, -v118
	s_waitcnt vmcnt(18)
	v_fmac_f32_e32 v126, v153, v137
	v_fma_f32 v129, v152, v137, -v119
	s_waitcnt vmcnt(17) lgkmcnt(1)
	v_mul_f32_e32 v137, v2, v135
	s_waitcnt vmcnt(16)
	v_mul_f32_e32 v146, v4, v136
	v_mul_f32_e32 v118, v3, v135
	;; [unrolled: 1-line block ×3, first 2 shown]
	v_fmac_f32_e32 v137, v3, v132
	v_fmac_f32_e32 v146, v5, v131
	v_fma_f32 v132, v2, v132, -v118
	v_fma_f32 v131, v4, v131, -v119
	ds_read2_b64 v[2:5], v1 offset0:85 offset1:86
	s_waitcnt vmcnt(15) lgkmcnt(1)
	v_mul_f32_e32 v135, v114, v134
	v_mul_f32_e32 v120, v115, v134
	s_waitcnt vmcnt(14)
	v_mul_f32_e32 v134, v116, v133
	v_mul_f32_e32 v133, v117, v133
	v_fmac_f32_e32 v135, v115, v130
	v_fma_f32 v130, v114, v130, -v120
	ds_read2_b64 v[118:121], v1 offset0:87 offset1:88
	s_waitcnt vmcnt(10)
	v_fmac_f32_e32 v134, v117, v145
	v_fma_f32 v133, v116, v145, -v133
	s_clause 0x1
	buffer_load_dword v136, off, s[0:3], 0 offset:308
	buffer_load_dword v145, off, s[0:3], 0 offset:316
	s_waitcnt vmcnt(11) lgkmcnt(1)
	v_mul_f32_e32 v147, v2, v144
	v_mul_f32_e32 v114, v3, v144
	s_waitcnt vmcnt(10)
	v_mul_f32_e32 v148, v4, v143
	v_mul_f32_e32 v115, v5, v143
	buffer_load_dword v144, off, s[0:3], 0 offset:324
	v_fmac_f32_e32 v147, v3, v141
	v_fma_f32 v141, v2, v141, -v114
	v_fmac_f32_e32 v148, v5, v139
	s_waitcnt vmcnt(10) lgkmcnt(0)
	v_mul_f32_e32 v143, v118, v142
	v_mul_f32_e32 v2, v119, v142
	s_waitcnt vmcnt(9)
	v_mul_f32_e32 v3, v121, v140
	s_clause 0x3
	buffer_load_dword v142, off, s[0:3], 0 offset:344
	buffer_load_dword v149, off, s[0:3], 0 offset:336
	;; [unrolled: 1-line block ×4, first 2 shown]
	v_mul_f32_e32 v152, v120, v140
	v_fmac_f32_e32 v143, v119, v138
	v_fma_f32 v138, v118, v138, -v2
	v_add_f32_e32 v2, 0, v162
	s_clause 0x1
	buffer_load_dword v140, off, s[0:3], 0 offset:332
	buffer_load_dword v162, off, s[0:3], 0 offset:348
	s_waitcnt vmcnt(11)
	v_fma_f32 v153, v120, v161, -v3
	v_add_f32_e32 v3, 0, v165
	v_add_f32_e32 v2, v2, v163
	v_fmac_f32_e32 v152, v121, v161
	s_clause 0x4
	buffer_load_dword v161, off, s[0:3], 0 offset:340
	buffer_load_dword v163, off, s[0:3], 0 offset:356
	;; [unrolled: 1-line block ×5, first 2 shown]
	v_add_f32_e32 v3, v3, v166
	v_add_f32_e32 v2, v2, v167
	s_clause 0x1
	buffer_load_dword v166, off, s[0:3], 0 offset:388
	buffer_load_dword v167, off, s[0:3], 0 offset:396
	v_fma_f32 v139, v4, v139, -v115
	v_add_f32_e32 v3, v3, v169
	v_add_f32_e32 v2, v2, v168
	s_clause 0x1
	buffer_load_dword v168, off, s[0:3], 0 offset:404
	buffer_load_dword v169, off, s[0:3], 0 offset:412
	v_add_f32_e32 v3, v3, v122
	v_add_f32_e32 v2, v2, v170
	v_add_f32_e32 v3, v3, v154
	v_add_f32_e32 v2, v2, v171
	s_clause 0x3
	buffer_load_dword v154, off, s[0:3], 0 offset:376
	buffer_load_dword v170, off, s[0:3], 0 offset:368
	buffer_load_dword v171, off, s[0:3], 0 offset:360
	buffer_load_dword v175, off, s[0:3], 0 offset:352
	v_add_f32_e32 v3, v3, v156
	v_add_f32_e32 v2, v2, v155
	;; [unrolled: 1-line block ×4, first 2 shown]
	s_clause 0x4
	buffer_load_dword v155, off, s[0:3], 0 offset:408
	buffer_load_dword v156, off, s[0:3], 0 offset:400
	;; [unrolled: 1-line block ×5, first 2 shown]
	ds_read2_b64 v[114:117], v1 offset0:91 offset1:92
	v_add_f32_e32 v3, v3, v7
	v_add_f32_e32 v2, v2, v172
	;; [unrolled: 1-line block ×5, first 2 shown]
	ds_read2_b64 v[2:5], v1 offset0:89 offset1:90
	v_add_f32_e32 v6, v6, v128
	v_add_f32_e32 v7, v7, v123
	v_add_f32_e32 v6, v6, v126
	v_add_f32_e32 v7, v7, v129
	v_add_f32_e32 v6, v6, v137
	v_add_f32_e32 v7, v7, v132
	v_add_f32_e32 v6, v6, v146
	v_add_f32_e32 v7, v7, v131
	v_add_f32_e32 v6, v6, v135
	v_add_f32_e32 v6, v6, v134
	v_add_f32_e32 v6, v6, v147
	v_add_f32_e32 v6, v6, v148
	v_add_f32_e32 v137, v6, v143
	v_add_f32_e32 v137, v137, v152
	s_waitcnt vmcnt(27) lgkmcnt(0)
	v_mul_f32_e32 v8, v2, v125
	v_mul_f32_e32 v118, v3, v125
	v_fmac_f32_e32 v8, v3, v160
	v_add_f32_e32 v3, v7, v130
	v_fma_f32 v130, v2, v160, -v118
	v_add_f32_e32 v8, v137, v8
	v_add_f32_e32 v7, v3, v133
	;; [unrolled: 1-line block ×5, first 2 shown]
	s_waitcnt vmcnt(26)
	v_mul_f32_e32 v131, v4, v136
	v_mul_f32_e32 v119, v5, v136
	v_add_f32_e32 v138, v7, v153
	s_waitcnt vmcnt(25)
	v_mul_f32_e32 v126, v115, v145
	v_mul_f32_e32 v133, v114, v145
	v_fmac_f32_e32 v131, v5, v159
	v_fma_f32 v132, v4, v159, -v119
	ds_read2_b64 v[2:5], v1 offset0:93 offset1:94
	ds_read2_b64 v[118:121], v1 offset0:95 offset1:96
	v_add_f32_e32 v130, v138, v130
	v_fma_f32 v136, v114, v158, -v126
	v_fmac_f32_e32 v133, v115, v158
	v_add_f32_e32 v8, v8, v131
	ds_read2_b64 v[122:125], v1 offset0:97 offset1:98
	ds_read2_b64 v[126:129], v1 offset0:99 offset1:100
	s_waitcnt vmcnt(24)
	v_mul_f32_e32 v135, v117, v144
	v_add_f32_e32 v130, v130, v132
	v_mul_f32_e32 v134, v116, v144
	v_add_f32_e32 v8, v8, v133
	v_add_f32_e32 v130, v130, v136
	s_waitcnt vmcnt(20)
	v_fma_f32 v135, v116, v151, -v135
	v_fmac_f32_e32 v134, v117, v151
	ds_read2_b64 v[114:117], v1 offset0:101 offset1:102
	ds_read_b64 v[6:7], v1 offset:824
	s_waitcnt vmcnt(19) lgkmcnt(5)
	v_mul_f32_e32 v138, v3, v140
	v_mul_f32_e32 v139, v2, v140
	v_add_f32_e32 v130, v130, v135
	v_add_f32_e32 v8, v8, v134
	s_waitcnt vmcnt(18) lgkmcnt(4)
	v_mul_f32_e32 v137, v118, v162
	v_fma_f32 v2, v2, v150, -v138
	s_waitcnt vmcnt(17)
	v_mul_f32_e32 v140, v5, v161
	v_mul_f32_e32 v141, v4, v161
	v_fmac_f32_e32 v139, v3, v150
	v_mul_f32_e32 v138, v119, v162
	v_add_f32_e32 v2, v130, v2
	v_fma_f32 v4, v4, v149, -v140
	v_fmac_f32_e32 v141, v5, v149
	v_add_f32_e32 v5, v8, v139
	s_waitcnt vmcnt(16)
	v_mul_f32_e32 v8, v121, v163
	v_fma_f32 v118, v118, v142, -v138
	v_add_f32_e32 v2, v2, v4
	v_mul_f32_e32 v132, v120, v163
	v_fmac_f32_e32 v137, v119, v142
	v_add_f32_e32 v4, v5, v141
	s_waitcnt vmcnt(15) lgkmcnt(3)
	v_mul_f32_e32 v5, v123, v165
	v_add_f32_e32 v2, v2, v118
	v_mul_f32_e32 v143, v122, v165
	s_waitcnt vmcnt(14)
	v_mul_f32_e32 v118, v125, v173
	v_add_f32_e32 v4, v4, v137
	s_waitcnt vmcnt(5)
	v_fma_f32 v8, v120, v175, -v8
	v_fmac_f32_e32 v132, v121, v175
	v_fma_f32 v5, v122, v171, -v5
	v_mul_f32_e32 v131, v124, v173
	v_fmac_f32_e32 v143, v123, v171
	v_add_f32_e32 v2, v2, v8
	v_add_f32_e32 v4, v4, v132
	s_waitcnt lgkmcnt(2)
	v_mul_f32_e32 v8, v127, v174
	v_fma_f32 v118, v124, v170, -v118
	v_mul_f32_e32 v136, v126, v174
	v_add_f32_e32 v2, v2, v5
	v_fmac_f32_e32 v131, v125, v170
	v_add_f32_e32 v4, v4, v143
	v_mul_f32_e32 v5, v129, v166
	v_fma_f32 v8, v126, v154, -v8
	v_add_f32_e32 v2, v2, v118
	v_mul_f32_e32 v3, v128, v166
	v_fmac_f32_e32 v136, v127, v154
	v_add_f32_e32 v4, v4, v131
	s_waitcnt lgkmcnt(1)
	v_mul_f32_e32 v118, v115, v167
	s_waitcnt vmcnt(1)
	v_fma_f32 v5, v128, v176, -v5
	v_add_f32_e32 v2, v2, v8
	v_mul_f32_e32 v133, v114, v167
	v_fmac_f32_e32 v3, v129, v176
	v_add_f32_e32 v4, v4, v136
	v_mul_f32_e32 v8, v117, v168
	v_fma_f32 v114, v114, v157, -v118
	v_add_f32_e32 v2, v2, v5
	v_mul_f32_e32 v135, v116, v168
	v_fmac_f32_e32 v133, v115, v157
	v_add_f32_e32 v3, v4, v3
	s_waitcnt lgkmcnt(0)
	v_mul_f32_e32 v4, v7, v169
	v_fma_f32 v5, v116, v156, -v8
	v_add_f32_e32 v2, v2, v114
	v_mul_f32_e32 v134, v6, v169
	v_fmac_f32_e32 v135, v117, v156
	v_add_f32_e32 v3, v3, v133
	v_fma_f32 v4, v6, v155, -v4
	v_add_f32_e32 v2, v2, v5
	v_fmac_f32_e32 v134, v7, v155
	v_add_f32_e32 v3, v3, v135
	v_add_f32_e32 v2, v2, v4
	;; [unrolled: 1-line block ×3, first 2 shown]
	s_waitcnt vmcnt(0)
	v_sub_f32_e32 v2, v177, v2
	v_sub_f32_e32 v3, v164, v3
	buffer_store_dword v2, off, s[0:3], 0 offset:128
	buffer_store_dword v3, off, s[0:3], 0 offset:132
	v_cmpx_lt_u32_e32 15, v0
	s_cbranch_execz .LBB115_295
; %bb.294:
	s_clause 0x1
	buffer_load_dword v2, off, s[0:3], 0 offset:120
	buffer_load_dword v3, off, s[0:3], 0 offset:124
	buffer_store_dword v1, off, s[0:3], 0 offset:120
	buffer_store_dword v1, off, s[0:3], 0 offset:124
	s_waitcnt vmcnt(0)
	ds_write_b64 v113, v[2:3]
.LBB115_295:
	s_or_b32 exec_lo, exec_lo, s4
	s_waitcnt lgkmcnt(0)
	s_waitcnt_vscnt null, 0x0
	s_barrier
	buffer_gl0_inv
	s_clause 0x2a
	buffer_load_dword v8, off, s[0:3], 0 offset:132
	buffer_load_dword v114, off, s[0:3], 0 offset:140
	;; [unrolled: 1-line block ×43, first 2 shown]
	ds_read_b128 v[146:149], v1 offset:544
	ds_read_b128 v[150:153], v1 offset:560
	;; [unrolled: 1-line block ×3, first 2 shown]
	buffer_load_dword v164, off, s[0:3], 0 offset:124
	s_mov_b32 s4, exec_lo
	s_waitcnt vmcnt(43) lgkmcnt(2)
	v_mul_f32_e32 v162, v146, v8
	s_waitcnt vmcnt(42)
	v_mul_f32_e32 v163, v148, v114
	v_mul_f32_e32 v8, v147, v8
	;; [unrolled: 1-line block ×3, first 2 shown]
	s_waitcnt vmcnt(39)
	v_fmac_f32_e32 v162, v147, v6
	v_fmac_f32_e32 v163, v149, v5
	v_fma_f32 v6, v146, v6, -v8
	v_fma_f32 v8, v148, v5, -v114
	ds_read_b128 v[146:149], v1 offset:592
	s_waitcnt vmcnt(38) lgkmcnt(2)
	v_mul_f32_e32 v165, v150, v3
	s_waitcnt vmcnt(37)
	v_mul_f32_e32 v166, v152, v4
	v_mul_f32_e32 v3, v151, v3
	v_mul_f32_e32 v4, v153, v4
	s_waitcnt vmcnt(32) lgkmcnt(1)
	v_mul_f32_e32 v114, v155, v119
	v_fmac_f32_e32 v165, v151, v2
	v_fmac_f32_e32 v166, v153, v121
	v_fma_f32 v150, v150, v2, -v3
	v_fma_f32 v151, v152, v121, -v4
	ds_read_b128 v[2:5], v1 offset:608
	v_mul_f32_e32 v152, v154, v119
	s_waitcnt vmcnt(31)
	v_mul_f32_e32 v153, v156, v120
	v_mul_f32_e32 v119, v157, v120
	v_fma_f32 v154, v154, v118, -v114
	v_fmac_f32_e32 v152, v155, v118
	v_fmac_f32_e32 v153, v157, v115
	v_fma_f32 v155, v156, v115, -v119
	ds_read_b128 v[118:121], v1 offset:624
	s_waitcnt vmcnt(30) lgkmcnt(2)
	v_mul_f32_e32 v156, v146, v116
	s_waitcnt vmcnt(29)
	v_mul_f32_e32 v157, v148, v117
	v_mul_f32_e32 v114, v147, v116
	;; [unrolled: 1-line block ×3, first 2 shown]
	v_fmac_f32_e32 v156, v147, v7
	s_waitcnt vmcnt(25)
	v_fmac_f32_e32 v157, v149, v129
	v_fma_f32 v7, v146, v7, -v114
	v_fma_f32 v129, v148, v129, -v115
	ds_read_b128 v[114:117], v1 offset:640
	s_waitcnt vmcnt(24) lgkmcnt(2)
	v_mul_f32_e32 v146, v2, v127
	s_waitcnt vmcnt(23)
	v_mul_f32_e32 v147, v4, v128
	v_mul_f32_e32 v127, v3, v127
	;; [unrolled: 1-line block ×3, first 2 shown]
	v_fmac_f32_e32 v146, v3, v126
	v_fmac_f32_e32 v147, v5, v123
	v_fma_f32 v126, v2, v126, -v127
	v_fma_f32 v123, v4, v123, -v128
	ds_read_b128 v[2:5], v1 offset:656
	s_waitcnt vmcnt(22) lgkmcnt(2)
	v_mul_f32_e32 v127, v118, v124
	s_waitcnt vmcnt(21)
	v_mul_f32_e32 v128, v120, v125
	v_mul_f32_e32 v124, v119, v124
	;; [unrolled: 1-line block ×3, first 2 shown]
	v_fmac_f32_e32 v127, v119, v122
	s_waitcnt vmcnt(17)
	v_fmac_f32_e32 v128, v121, v137
	v_fma_f32 v122, v118, v122, -v124
	v_fma_f32 v124, v120, v137, -v125
	s_waitcnt vmcnt(16) lgkmcnt(1)
	v_mul_f32_e32 v125, v114, v135
	v_mul_f32_e32 v135, v115, v135
	ds_read_b128 v[118:121], v1 offset:672
	s_waitcnt vmcnt(15)
	v_mul_f32_e32 v137, v116, v136
	v_mul_f32_e32 v136, v117, v136
	v_fmac_f32_e32 v125, v115, v134
	v_fma_f32 v114, v114, v134, -v135
	s_clause 0x1
	buffer_load_dword v134, off, s[0:3], 0 offset:292
	buffer_load_dword v135, off, s[0:3], 0 offset:300
	v_fmac_f32_e32 v137, v117, v131
	v_fma_f32 v131, v116, v131, -v136
	s_waitcnt vmcnt(16) lgkmcnt(1)
	v_mul_f32_e32 v136, v2, v132
	s_waitcnt vmcnt(15)
	v_mul_f32_e32 v148, v4, v133
	v_mul_f32_e32 v115, v3, v132
	;; [unrolled: 1-line block ×3, first 2 shown]
	buffer_load_dword v133, off, s[0:3], 0 offset:308
	v_fmac_f32_e32 v136, v3, v130
	s_waitcnt vmcnt(12)
	v_fmac_f32_e32 v148, v5, v145
	v_fma_f32 v130, v2, v130, -v115
	v_fma_f32 v132, v4, v145, -v116
	ds_read_b128 v[2:5], v1 offset:688
	s_waitcnt vmcnt(11) lgkmcnt(1)
	v_mul_f32_e32 v145, v118, v143
	s_waitcnt vmcnt(10)
	v_mul_f32_e32 v149, v120, v144
	v_mul_f32_e32 v115, v119, v143
	;; [unrolled: 1-line block ×3, first 2 shown]
	s_clause 0x5
	buffer_load_dword v143, off, s[0:3], 0 offset:316
	buffer_load_dword v144, off, s[0:3], 0 offset:336
	;; [unrolled: 1-line block ×6, first 2 shown]
	v_fmac_f32_e32 v145, v119, v142
	v_fma_f32 v142, v118, v142, -v115
	v_fmac_f32_e32 v149, v121, v141
	v_fma_f32 v141, v120, v141, -v116
	s_waitcnt vmcnt(15) lgkmcnt(0)
	v_mul_f32_e32 v170, v2, v140
	v_mul_f32_e32 v115, v3, v140
	v_fmac_f32_e32 v170, v3, v138
	v_add_f32_e32 v3, 0, v162
	v_fma_f32 v138, v2, v138, -v115
	v_add_f32_e32 v2, 0, v6
	s_waitcnt vmcnt(14)
	v_mul_f32_e32 v6, v4, v139
	v_mul_f32_e32 v115, v5, v139
	v_add_f32_e32 v3, v3, v163
	buffer_load_dword v139, off, s[0:3], 0 offset:332
	v_add_f32_e32 v2, v2, v8
	buffer_load_dword v8, off, s[0:3], 0 offset:340
	s_waitcnt vmcnt(12)
	v_fmac_f32_e32 v6, v5, v161
	v_add_f32_e32 v3, v3, v165
	v_fma_f32 v140, v4, v161, -v115
	v_add_f32_e32 v2, v2, v150
	s_clause 0x3
	buffer_load_dword v161, off, s[0:3], 0 offset:348
	buffer_load_dword v150, off, s[0:3], 0 offset:356
	;; [unrolled: 1-line block ×4, first 2 shown]
	v_add_f32_e32 v3, v3, v166
	v_add_f32_e32 v2, v2, v151
	s_clause 0x3
	buffer_load_dword v151, off, s[0:3], 0 offset:380
	buffer_load_dword v165, off, s[0:3], 0 offset:388
	;; [unrolled: 1-line block ×4, first 2 shown]
	v_add_f32_e32 v3, v3, v152
	buffer_load_dword v152, off, s[0:3], 0 offset:412
	v_add_f32_e32 v2, v2, v154
	v_add_f32_e32 v3, v3, v153
	;; [unrolled: 1-line block ×3, first 2 shown]
	s_clause 0x3
	buffer_load_dword v153, off, s[0:3], 0 offset:368
	buffer_load_dword v154, off, s[0:3], 0 offset:360
	;; [unrolled: 1-line block ×4, first 2 shown]
	v_add_f32_e32 v3, v3, v156
	v_add_f32_e32 v2, v2, v7
	;; [unrolled: 1-line block ×3, first 2 shown]
	s_clause 0x4
	buffer_load_dword v7, off, s[0:3], 0 offset:400
	buffer_load_dword v156, off, s[0:3], 0 offset:392
	;; [unrolled: 1-line block ×5, first 2 shown]
	v_add_f32_e32 v2, v2, v129
	v_add_f32_e32 v3, v3, v146
	buffer_load_dword v146, off, s[0:3], 0 offset:408
	v_add_f32_e32 v2, v2, v126
	v_add_f32_e32 v3, v3, v147
	;; [unrolled: 1-line block ×5, first 2 shown]
	ds_read_b128 v[2:5], v1 offset:704
	v_add_f32_e32 v115, v115, v128
	v_add_f32_e32 v116, v116, v124
	;; [unrolled: 1-line block ×4, first 2 shown]
	ds_read_b128 v[114:117], v1 offset:720
	v_add_f32_e32 v118, v118, v137
	v_add_f32_e32 v119, v119, v131
	;; [unrolled: 1-line block ×11, first 2 shown]
	s_waitcnt vmcnt(29) lgkmcnt(1)
	v_mul_f32_e32 v137, v2, v134
	v_mul_f32_e32 v120, v3, v134
	s_waitcnt vmcnt(28)
	v_mul_f32_e32 v134, v4, v135
	v_mul_f32_e32 v121, v5, v135
	v_fmac_f32_e32 v137, v3, v160
	v_fma_f32 v135, v2, v160, -v120
	v_fmac_f32_e32 v134, v5, v159
	v_fma_f32 v136, v4, v159, -v121
	ds_read_b128 v[2:5], v1 offset:736
	ds_read_b128 v[118:121], v1 offset:752
	s_waitcnt vmcnt(27) lgkmcnt(2)
	v_mul_f32_e32 v147, v114, v133
	v_mul_f32_e32 v124, v115, v133
	v_fmac_f32_e32 v147, v115, v158
	v_add_f32_e32 v115, v123, v149
	v_fma_f32 v142, v114, v158, -v124
	s_waitcnt vmcnt(26)
	v_mul_f32_e32 v148, v116, v143
	v_mul_f32_e32 v125, v117, v143
	v_add_f32_e32 v127, v115, v170
	s_waitcnt vmcnt(22)
	v_fmac_f32_e32 v148, v117, v169
	v_fma_f32 v141, v116, v169, -v125
	v_add_f32_e32 v6, v127, v6
	ds_read_b128 v[114:117], v1 offset:768
	ds_read_b128 v[122:125], v1 offset:784
	s_waitcnt vmcnt(21) lgkmcnt(3)
	v_mul_f32_e32 v131, v3, v171
	v_mul_f32_e32 v138, v2, v171
	ds_read_b128 v[126:129], v1 offset:800
	v_fma_f32 v2, v2, v168, -v131
	ds_read_b128 v[130:133], v1 offset:816
	v_add_f32_e32 v1, v140, v135
	v_fmac_f32_e32 v138, v3, v168
	v_add_f32_e32 v3, v6, v137
	v_add_f32_e32 v1, v1, v136
	;; [unrolled: 1-line block ×3, first 2 shown]
	s_waitcnt vmcnt(20)
	v_mul_f32_e32 v135, v5, v139
	v_add_f32_e32 v1, v1, v142
	v_mul_f32_e32 v6, v4, v139
	v_add_f32_e32 v3, v3, v147
	s_waitcnt vmcnt(19) lgkmcnt(4)
	v_mul_f32_e32 v134, v118, v8
	v_mul_f32_e32 v8, v119, v8
	v_add_f32_e32 v1, v1, v141
	v_fma_f32 v4, v4, v167, -v135
	v_add_f32_e32 v3, v3, v148
	v_fmac_f32_e32 v6, v5, v167
	s_waitcnt vmcnt(18)
	v_mul_f32_e32 v141, v121, v161
	v_add_f32_e32 v1, v1, v2
	v_fma_f32 v8, v118, v144, -v8
	v_add_f32_e32 v2, v3, v138
	v_mul_f32_e32 v136, v120, v161
	v_fmac_f32_e32 v134, v119, v144
	v_add_f32_e32 v1, v1, v4
	s_waitcnt vmcnt(17) lgkmcnt(3)
	v_mul_f32_e32 v4, v115, v150
	v_add_f32_e32 v2, v2, v6
	v_mul_f32_e32 v5, v114, v150
	s_waitcnt vmcnt(16)
	v_mul_f32_e32 v135, v116, v162
	v_add_f32_e32 v1, v1, v8
	s_waitcnt vmcnt(6)
	v_fma_f32 v6, v120, v173, -v141
	v_fmac_f32_e32 v136, v121, v173
	v_add_f32_e32 v2, v2, v134
	v_mul_f32_e32 v8, v117, v162
	v_fma_f32 v4, v114, v155, -v4
	v_add_f32_e32 v1, v1, v6
	v_fmac_f32_e32 v5, v115, v155
	v_add_f32_e32 v2, v2, v136
	s_waitcnt lgkmcnt(2)
	v_mul_f32_e32 v6, v123, v163
	v_fma_f32 v8, v116, v154, -v8
	v_add_f32_e32 v1, v1, v4
	v_mul_f32_e32 v137, v122, v163
	v_fmac_f32_e32 v135, v117, v154
	v_add_f32_e32 v2, v2, v5
	v_mul_f32_e32 v4, v125, v151
	v_fma_f32 v5, v122, v153, -v6
	v_add_f32_e32 v1, v1, v8
	v_mul_f32_e32 v139, v124, v151
	v_fmac_f32_e32 v137, v123, v153
	v_add_f32_e32 v2, v2, v135
	s_waitcnt lgkmcnt(1)
	v_mul_f32_e32 v6, v127, v165
	s_waitcnt vmcnt(2)
	v_fma_f32 v4, v124, v174, -v4
	v_add_f32_e32 v1, v1, v5
	v_mul_f32_e32 v140, v126, v165
	v_fmac_f32_e32 v139, v125, v174
	v_add_f32_e32 v2, v2, v137
	v_mul_f32_e32 v5, v129, v166
	v_fma_f32 v6, v126, v157, -v6
	v_add_f32_e32 v1, v1, v4
	v_mul_f32_e32 v142, v128, v166
	v_fmac_f32_e32 v140, v127, v157
	v_add_f32_e32 v2, v2, v139
	s_waitcnt lgkmcnt(0)
	v_mul_f32_e32 v4, v131, v172
	v_fma_f32 v5, v128, v156, -v5
	v_add_f32_e32 v1, v1, v6
	v_mul_f32_e32 v143, v130, v172
	v_fmac_f32_e32 v142, v129, v156
	v_add_f32_e32 v2, v2, v140
	v_mul_f32_e32 v6, v133, v152
	v_fma_f32 v4, v130, v7, -v4
	v_add_f32_e32 v1, v1, v5
	v_mul_f32_e32 v3, v132, v152
	v_fmac_f32_e32 v143, v131, v7
	v_add_f32_e32 v2, v2, v142
	s_waitcnt vmcnt(0)
	v_fma_f32 v5, v132, v146, -v6
	v_add_f32_e32 v1, v1, v4
	v_fmac_f32_e32 v3, v133, v146
	v_add_f32_e32 v2, v2, v143
	v_add_f32_e32 v1, v1, v5
	;; [unrolled: 1-line block ×3, first 2 shown]
	v_sub_f32_e32 v1, v175, v1
	v_sub_f32_e32 v2, v164, v2
	buffer_store_dword v1, off, s[0:3], 0 offset:120
	buffer_store_dword v2, off, s[0:3], 0 offset:124
	v_cmpx_lt_u32_e32 14, v0
	s_cbranch_execz .LBB115_297
; %bb.296:
	s_clause 0x1
	buffer_load_dword v1, off, s[0:3], 0 offset:112
	buffer_load_dword v2, off, s[0:3], 0 offset:116
	v_mov_b32_e32 v3, 0
	buffer_store_dword v3, off, s[0:3], 0 offset:112
	buffer_store_dword v3, off, s[0:3], 0 offset:116
	s_waitcnt vmcnt(0)
	ds_write_b64 v113, v[1:2]
.LBB115_297:
	s_or_b32 exec_lo, exec_lo, s4
	s_waitcnt lgkmcnt(0)
	s_waitcnt_vscnt null, 0x0
	s_barrier
	buffer_gl0_inv
	s_clause 0x2b
	buffer_load_dword v6, off, s[0:3], 0 offset:124
	buffer_load_dword v7, off, s[0:3], 0 offset:136
	;; [unrolled: 1-line block ×44, first 2 shown]
	v_mov_b32_e32 v1, 0
	ds_read2_b64 v[2:5], v1 offset0:67 offset1:68
	ds_read2_b64 v[114:117], v1 offset0:69 offset1:70
	;; [unrolled: 1-line block ×3, first 2 shown]
	buffer_load_dword v164, off, s[0:3], 0 offset:116
	s_mov_b32 s4, exec_lo
	s_waitcnt vmcnt(44) lgkmcnt(2)
	v_mul_f32_e32 v163, v3, v6
	v_mul_f32_e32 v6, v2, v6
	s_waitcnt vmcnt(41)
	v_fma_f32 v163, v2, v122, -v163
	v_fmac_f32_e32 v6, v3, v122
	s_waitcnt vmcnt(40)
	v_mul_f32_e32 v122, v4, v123
	v_mul_f32_e32 v2, v5, v123
	s_waitcnt vmcnt(39) lgkmcnt(1)
	v_mul_f32_e32 v123, v114, v124
	v_mul_f32_e32 v124, v115, v124
	v_add_f32_e32 v6, 0, v6
	v_fmac_f32_e32 v122, v5, v8
	v_fma_f32 v8, v4, v8, -v2
	ds_read2_b64 v[2:5], v1 offset0:73 offset1:74
	v_fmac_f32_e32 v123, v115, v7
	v_fma_f32 v7, v114, v7, -v124
	s_waitcnt vmcnt(38)
	v_mul_f32_e32 v124, v116, v125
	v_mul_f32_e32 v114, v117, v125
	v_add_f32_e32 v6, v6, v122
	s_waitcnt vmcnt(34)
	v_fmac_f32_e32 v124, v117, v129
	v_fma_f32 v125, v116, v129, -v114
	s_waitcnt vmcnt(33) lgkmcnt(1)
	v_mul_f32_e32 v129, v118, v130
	v_mul_f32_e32 v130, v119, v130
	ds_read2_b64 v[114:117], v1 offset0:75 offset1:76
	v_add_f32_e32 v6, v6, v123
	v_fmac_f32_e32 v129, v119, v128
	v_fma_f32 v128, v118, v128, -v130
	s_waitcnt vmcnt(32)
	v_mul_f32_e32 v130, v120, v131
	v_mul_f32_e32 v118, v121, v131
	v_add_f32_e32 v6, v6, v124
	s_waitcnt vmcnt(31) lgkmcnt(1)
	v_mul_f32_e32 v131, v2, v132
	v_mul_f32_e32 v132, v3, v132
	v_fmac_f32_e32 v130, v121, v127
	v_fma_f32 v127, v120, v127, -v118
	ds_read2_b64 v[118:121], v1 offset0:77 offset1:78
	v_fmac_f32_e32 v131, v3, v126
	v_fma_f32 v126, v2, v126, -v132
	s_waitcnt vmcnt(30)
	v_mul_f32_e32 v132, v4, v133
	v_mul_f32_e32 v2, v5, v133
	v_add_f32_e32 v6, v6, v129
	s_waitcnt vmcnt(26)
	v_fmac_f32_e32 v132, v5, v137
	v_fma_f32 v133, v4, v137, -v2
	ds_read2_b64 v[2:5], v1 offset0:79 offset1:80
	s_waitcnt vmcnt(25) lgkmcnt(2)
	v_mul_f32_e32 v137, v114, v138
	v_mul_f32_e32 v138, v115, v138
	v_add_f32_e32 v6, v6, v130
	v_fmac_f32_e32 v137, v115, v136
	v_fma_f32 v136, v114, v136, -v138
	s_waitcnt vmcnt(24)
	v_mul_f32_e32 v138, v116, v139
	v_mul_f32_e32 v114, v117, v139
	s_waitcnt vmcnt(23) lgkmcnt(1)
	v_mul_f32_e32 v139, v118, v140
	v_mul_f32_e32 v140, v119, v140
	v_add_f32_e32 v6, v6, v131
	v_fmac_f32_e32 v138, v117, v135
	v_fma_f32 v135, v116, v135, -v114
	ds_read2_b64 v[114:117], v1 offset0:81 offset1:82
	v_fmac_f32_e32 v139, v119, v134
	v_fma_f32 v134, v118, v134, -v140
	s_waitcnt vmcnt(22)
	v_mul_f32_e32 v140, v120, v141
	v_mul_f32_e32 v118, v121, v141
	s_waitcnt vmcnt(18)
	v_fmac_f32_e32 v140, v121, v145
	v_fma_f32 v141, v120, v145, -v118
	s_waitcnt vmcnt(17) lgkmcnt(1)
	v_mul_f32_e32 v145, v2, v146
	v_mul_f32_e32 v118, v3, v146
	s_waitcnt vmcnt(16)
	v_mul_f32_e32 v146, v4, v147
	v_mul_f32_e32 v147, v5, v147
	v_fmac_f32_e32 v145, v3, v144
	v_fma_f32 v144, v2, v144, -v118
	ds_read2_b64 v[118:121], v1 offset0:83 offset1:84
	v_fmac_f32_e32 v146, v5, v143
	v_fma_f32 v143, v4, v143, -v147
	s_clause 0x1
	buffer_load_dword v147, off, s[0:3], 0 offset:292
	buffer_load_dword v165, off, s[0:3], 0 offset:300
	v_add_f32_e32 v4, 0, v163
	s_waitcnt vmcnt(17) lgkmcnt(1)
	v_mul_f32_e32 v166, v114, v148
	v_mul_f32_e32 v2, v115, v148
	s_waitcnt vmcnt(16)
	v_mul_f32_e32 v3, v117, v149
	v_mul_f32_e32 v148, v116, v149
	v_add_f32_e32 v8, v4, v8
	v_fmac_f32_e32 v166, v115, v142
	v_fma_f32 v142, v114, v142, -v2
	s_waitcnt vmcnt(12)
	v_fma_f32 v149, v116, v153, -v3
	ds_read2_b64 v[2:5], v1 offset0:85 offset1:86
	v_add_f32_e32 v7, v8, v7
	buffer_load_dword v167, off, s[0:3], 0 offset:308
	v_fmac_f32_e32 v148, v117, v153
	v_add_f32_e32 v7, v7, v125
	s_waitcnt vmcnt(12) lgkmcnt(1)
	v_mul_f32_e32 v153, v118, v154
	v_mul_f32_e32 v114, v119, v154
	s_clause 0x3
	buffer_load_dword v8, off, s[0:3], 0 offset:328
	buffer_load_dword v154, off, s[0:3], 0 offset:320
	;; [unrolled: 1-line block ×4, first 2 shown]
	s_waitcnt vmcnt(15)
	v_mul_f32_e32 v123, v120, v155
	v_add_f32_e32 v7, v7, v128
	v_fmac_f32_e32 v153, v119, v152
	v_fma_f32 v118, v118, v152, -v114
	s_clause 0x1
	buffer_load_dword v152, off, s[0:3], 0 offset:316
	buffer_load_dword v168, off, s[0:3], 0 offset:324
	v_mul_f32_e32 v114, v121, v155
	buffer_load_dword v155, off, s[0:3], 0 offset:332
	v_add_f32_e32 v7, v7, v127
	v_fmac_f32_e32 v123, v121, v151
	s_waitcnt vmcnt(17) lgkmcnt(0)
	v_mul_f32_e32 v127, v2, v156
	v_mul_f32_e32 v119, v3, v156
	v_add_f32_e32 v7, v7, v126
	v_fma_f32 v124, v120, v151, -v114
	s_waitcnt vmcnt(16)
	v_mul_f32_e32 v126, v4, v157
	v_mul_f32_e32 v120, v5, v157
	v_fmac_f32_e32 v127, v3, v150
	v_fma_f32 v128, v2, v150, -v119
	v_add_f32_e32 v2, v7, v133
	v_add_f32_e32 v3, v6, v132
	s_clause 0x3
	buffer_load_dword v151, off, s[0:3], 0 offset:340
	buffer_load_dword v169, off, s[0:3], 0 offset:348
	;; [unrolled: 1-line block ×4, first 2 shown]
	ds_read2_b64 v[114:117], v1 offset0:87 offset1:88
	s_clause 0x3
	buffer_load_dword v130, off, s[0:3], 0 offset:372
	buffer_load_dword v131, off, s[0:3], 0 offset:380
	;; [unrolled: 1-line block ×4, first 2 shown]
	s_waitcnt vmcnt(20)
	v_fmac_f32_e32 v126, v5, v161
	v_fma_f32 v6, v4, v161, -v120
	buffer_load_dword v150, off, s[0:3], 0 offset:404
	v_add_f32_e32 v2, v2, v136
	v_add_f32_e32 v3, v3, v137
	s_clause 0x4
	buffer_load_dword v136, off, s[0:3], 0 offset:360
	buffer_load_dword v137, off, s[0:3], 0 offset:352
	;; [unrolled: 1-line block ×5, first 2 shown]
	v_add_f32_e32 v2, v2, v135
	v_add_f32_e32 v7, v3, v138
	;; [unrolled: 1-line block ×4, first 2 shown]
	ds_read2_b64 v[2:5], v1 offset0:89 offset1:90
	s_waitcnt vmcnt(25) lgkmcnt(1)
	v_mul_f32_e32 v120, v115, v162
	v_add_f32_e32 v7, v7, v140
	s_clause 0x3
	buffer_load_dword v135, off, s[0:3], 0 offset:392
	buffer_load_dword v138, off, s[0:3], 0 offset:384
	;; [unrolled: 1-line block ×4, first 2 shown]
	v_add_f32_e32 v119, v119, v141
	v_mul_f32_e32 v134, v114, v162
	v_fma_f32 v129, v114, v160, -v120
	v_add_f32_e32 v7, v7, v145
	v_add_f32_e32 v114, v119, v144
	v_fmac_f32_e32 v134, v115, v160
	v_add_f32_e32 v7, v7, v146
	v_add_f32_e32 v114, v114, v143
	s_clause 0x2
	buffer_load_dword v141, off, s[0:3], 0 offset:408
	buffer_load_dword v143, off, s[0:3], 0 offset:400
	buffer_load_dword v144, off, s[0:3], 0 offset:112
	v_add_f32_e32 v7, v7, v166
	v_add_f32_e32 v119, v114, v142
	;; [unrolled: 1-line block ×6, first 2 shown]
	ds_read2_b64 v[118:121], v1 offset0:93 offset1:94
	v_add_f32_e32 v7, v7, v123
	v_add_f32_e32 v148, v148, v124
	;; [unrolled: 1-line block ×8, first 2 shown]
	s_waitcnt vmcnt(30)
	v_mul_f32_e32 v142, v116, v147
	v_mul_f32_e32 v114, v117, v147
	s_waitcnt vmcnt(29) lgkmcnt(1)
	v_mul_f32_e32 v125, v3, v165
	v_mul_f32_e32 v146, v2, v165
	v_fmac_f32_e32 v142, v117, v159
	v_fma_f32 v145, v116, v159, -v114
	ds_read2_b64 v[114:117], v1 offset0:91 offset1:92
	v_fma_f32 v153, v2, v158, -v125
	v_fmac_f32_e32 v146, v3, v158
	v_add_f32_e32 v134, v134, v142
	v_add_f32_e32 v145, v6, v145
	s_waitcnt vmcnt(28)
	v_mul_f32_e32 v149, v5, v167
	v_mul_f32_e32 v147, v4, v167
	v_add_f32_e32 v134, v134, v146
	v_add_f32_e32 v145, v145, v153
	s_waitcnt vmcnt(24)
	v_fma_f32 v149, v4, v122, -v149
	v_fmac_f32_e32 v147, v5, v122
	ds_read2_b64 v[2:5], v1 offset0:95 offset1:96
	ds_read2_b64 v[122:125], v1 offset0:97 offset1:98
	;; [unrolled: 1-line block ×3, first 2 shown]
	ds_read_b64 v[6:7], v1 offset:824
	v_add_f32_e32 v145, v145, v149
	v_add_f32_e32 v134, v134, v147
	s_waitcnt vmcnt(23) lgkmcnt(4)
	v_mul_f32_e32 v148, v114, v152
	v_mul_f32_e32 v152, v115, v152
	s_waitcnt vmcnt(22)
	v_mul_f32_e32 v158, v116, v168
	v_mul_f32_e32 v159, v117, v168
	s_waitcnt vmcnt(21)
	v_mul_f32_e32 v153, v119, v155
	v_fmac_f32_e32 v148, v115, v163
	v_fma_f32 v152, v114, v163, -v152
	v_fmac_f32_e32 v158, v117, v154
	v_fma_f32 v154, v116, v154, -v159
	v_mul_f32_e32 v159, v118, v155
	ds_read2_b64 v[114:117], v1 offset0:101 offset1:102
	v_add_f32_e32 v145, v145, v152
	s_waitcnt vmcnt(20)
	v_mul_f32_e32 v142, v120, v151
	v_mul_f32_e32 v151, v121, v151
	v_fmac_f32_e32 v159, v119, v8
	v_add_f32_e32 v119, v134, v148
	v_fma_f32 v8, v118, v8, -v153
	v_add_f32_e32 v145, v145, v154
	s_waitcnt vmcnt(19) lgkmcnt(4)
	v_mul_f32_e32 v146, v2, v169
	v_mul_f32_e32 v153, v3, v169
	v_add_f32_e32 v119, v119, v158
	s_waitcnt vmcnt(8)
	v_fma_f32 v120, v120, v157, -v151
	v_add_f32_e32 v8, v145, v8
	v_fmac_f32_e32 v142, v121, v157
	v_mul_f32_e32 v121, v5, v170
	v_add_f32_e32 v119, v119, v159
	v_fmac_f32_e32 v146, v3, v156
	v_fma_f32 v2, v2, v156, -v153
	v_add_f32_e32 v3, v8, v120
	v_mul_f32_e32 v149, v4, v170
	v_add_f32_e32 v8, v119, v142
	s_waitcnt lgkmcnt(3)
	v_mul_f32_e32 v119, v123, v171
	v_fma_f32 v4, v4, v137, -v121
	v_add_f32_e32 v2, v3, v2
	v_mul_f32_e32 v155, v122, v171
	v_fmac_f32_e32 v149, v5, v137
	v_add_f32_e32 v3, v8, v146
	v_mul_f32_e32 v5, v125, v130
	v_fma_f32 v8, v122, v136, -v119
	v_add_f32_e32 v2, v2, v4
	v_mul_f32_e32 v147, v124, v130
	v_fmac_f32_e32 v155, v123, v136
	v_add_f32_e32 v3, v3, v149
	s_waitcnt lgkmcnt(2)
	v_mul_f32_e32 v4, v127, v131
	s_waitcnt vmcnt(3)
	v_fma_f32 v5, v124, v140, -v5
	v_add_f32_e32 v2, v2, v8
	v_mul_f32_e32 v152, v126, v131
	v_fmac_f32_e32 v147, v125, v140
	v_add_f32_e32 v3, v3, v155
	v_mul_f32_e32 v8, v129, v132
	v_fma_f32 v4, v126, v139, -v4
	v_add_f32_e32 v2, v2, v5
	v_mul_f32_e32 v118, v128, v132
	v_fmac_f32_e32 v152, v127, v139
	v_add_f32_e32 v3, v3, v147
	s_waitcnt lgkmcnt(0)
	v_mul_f32_e32 v5, v115, v133
	v_fma_f32 v8, v128, v138, -v8
	v_add_f32_e32 v2, v2, v4
	v_mul_f32_e32 v134, v114, v133
	v_fmac_f32_e32 v118, v129, v138
	v_add_f32_e32 v3, v3, v152
	v_mul_f32_e32 v4, v117, v150
	v_fma_f32 v5, v114, v135, -v5
	v_add_f32_e32 v2, v2, v8
	v_mul_f32_e32 v148, v116, v150
	v_fmac_f32_e32 v134, v115, v135
	v_add_f32_e32 v3, v3, v118
	v_mul_f32_e32 v8, v7, v161
	s_waitcnt vmcnt(1)
	v_fma_f32 v4, v116, v143, -v4
	v_add_f32_e32 v2, v2, v5
	v_mul_f32_e32 v154, v6, v161
	v_fmac_f32_e32 v148, v117, v143
	v_add_f32_e32 v3, v3, v134
	v_fma_f32 v5, v6, v141, -v8
	v_add_f32_e32 v2, v2, v4
	v_fmac_f32_e32 v154, v7, v141
	v_add_f32_e32 v3, v3, v148
	v_add_f32_e32 v2, v2, v5
	;; [unrolled: 1-line block ×3, first 2 shown]
	s_waitcnt vmcnt(0)
	v_sub_f32_e32 v2, v144, v2
	v_sub_f32_e32 v3, v164, v3
	buffer_store_dword v2, off, s[0:3], 0 offset:112
	buffer_store_dword v3, off, s[0:3], 0 offset:116
	v_cmpx_lt_u32_e32 13, v0
	s_cbranch_execz .LBB115_299
; %bb.298:
	s_clause 0x1
	buffer_load_dword v2, off, s[0:3], 0 offset:104
	buffer_load_dword v3, off, s[0:3], 0 offset:108
	buffer_store_dword v1, off, s[0:3], 0 offset:104
	buffer_store_dword v1, off, s[0:3], 0 offset:108
	s_waitcnt vmcnt(0)
	ds_write_b64 v113, v[2:3]
.LBB115_299:
	s_or_b32 exec_lo, exec_lo, s4
	s_waitcnt lgkmcnt(0)
	s_waitcnt_vscnt null, 0x0
	s_barrier
	buffer_gl0_inv
	s_clause 0x2b
	buffer_load_dword v6, off, s[0:3], 0 offset:116
	buffer_load_dword v7, off, s[0:3], 0 offset:128
	;; [unrolled: 1-line block ×44, first 2 shown]
	ds_read_b128 v[2:5], v1 offset:528
	ds_read_b128 v[114:117], v1 offset:544
	;; [unrolled: 1-line block ×3, first 2 shown]
	buffer_load_dword v164, off, s[0:3], 0 offset:108
	s_mov_b32 s4, exec_lo
	s_waitcnt vmcnt(44) lgkmcnt(2)
	v_mul_f32_e32 v163, v3, v6
	v_mul_f32_e32 v6, v2, v6
	s_waitcnt vmcnt(41)
	v_fma_f32 v163, v2, v122, -v163
	v_fmac_f32_e32 v6, v3, v122
	s_waitcnt vmcnt(40)
	v_mul_f32_e32 v122, v4, v123
	v_mul_f32_e32 v2, v5, v123
	s_waitcnt vmcnt(39) lgkmcnt(1)
	v_mul_f32_e32 v123, v114, v124
	v_mul_f32_e32 v124, v115, v124
	v_add_f32_e32 v6, 0, v6
	v_fmac_f32_e32 v122, v5, v8
	v_fma_f32 v8, v4, v8, -v2
	ds_read_b128 v[2:5], v1 offset:576
	v_fmac_f32_e32 v123, v115, v7
	v_fma_f32 v7, v114, v7, -v124
	s_waitcnt vmcnt(38)
	v_mul_f32_e32 v124, v116, v125
	v_mul_f32_e32 v114, v117, v125
	v_add_f32_e32 v6, v6, v122
	s_waitcnt vmcnt(34)
	v_fmac_f32_e32 v124, v117, v129
	v_fma_f32 v125, v116, v129, -v114
	s_waitcnt vmcnt(33) lgkmcnt(1)
	v_mul_f32_e32 v129, v118, v130
	v_mul_f32_e32 v130, v119, v130
	ds_read_b128 v[114:117], v1 offset:592
	v_add_f32_e32 v6, v6, v123
	v_fmac_f32_e32 v129, v119, v128
	v_fma_f32 v128, v118, v128, -v130
	s_waitcnt vmcnt(32)
	v_mul_f32_e32 v130, v120, v131
	v_mul_f32_e32 v118, v121, v131
	v_add_f32_e32 v6, v6, v124
	s_waitcnt vmcnt(31) lgkmcnt(1)
	v_mul_f32_e32 v131, v2, v132
	v_mul_f32_e32 v132, v3, v132
	v_fmac_f32_e32 v130, v121, v127
	v_fma_f32 v127, v120, v127, -v118
	ds_read_b128 v[118:121], v1 offset:608
	v_fmac_f32_e32 v131, v3, v126
	v_fma_f32 v126, v2, v126, -v132
	s_waitcnt vmcnt(30)
	v_mul_f32_e32 v132, v4, v133
	v_mul_f32_e32 v2, v5, v133
	v_add_f32_e32 v6, v6, v129
	s_waitcnt vmcnt(26)
	v_fmac_f32_e32 v132, v5, v137
	v_fma_f32 v133, v4, v137, -v2
	s_waitcnt vmcnt(25) lgkmcnt(1)
	v_mul_f32_e32 v137, v114, v138
	v_mul_f32_e32 v2, v115, v138
	s_waitcnt vmcnt(24)
	v_mul_f32_e32 v138, v116, v139
	v_mul_f32_e32 v139, v117, v139
	v_add_f32_e32 v6, v6, v130
	v_fmac_f32_e32 v137, v115, v136
	v_fma_f32 v136, v114, v136, -v2
	ds_read_b128 v[2:5], v1 offset:624
	v_fmac_f32_e32 v138, v117, v135
	v_fma_f32 v135, v116, v135, -v139
	ds_read_b128 v[114:117], v1 offset:640
	s_waitcnt vmcnt(23) lgkmcnt(2)
	v_mul_f32_e32 v139, v118, v140
	v_mul_f32_e32 v140, v119, v140
	v_fmac_f32_e32 v139, v119, v134
	v_fma_f32 v118, v118, v134, -v140
	s_waitcnt vmcnt(22)
	v_mul_f32_e32 v119, v120, v141
	v_mul_f32_e32 v134, v121, v141
	s_waitcnt vmcnt(18)
	v_fmac_f32_e32 v119, v121, v145
	v_fma_f32 v120, v120, v145, -v134
	s_clause 0x1
	buffer_load_dword v121, off, s[0:3], 0 offset:284
	buffer_load_dword v134, off, s[0:3], 0 offset:292
	s_waitcnt vmcnt(19) lgkmcnt(1)
	v_mul_f32_e32 v140, v2, v146
	v_mul_f32_e32 v141, v3, v146
	s_waitcnt vmcnt(18)
	v_mul_f32_e32 v145, v4, v147
	v_mul_f32_e32 v146, v5, v147
	s_waitcnt vmcnt(17) lgkmcnt(0)
	v_mul_f32_e32 v147, v114, v148
	v_mul_f32_e32 v148, v115, v148
	v_fmac_f32_e32 v140, v3, v144
	v_fma_f32 v141, v2, v144, -v141
	v_fmac_f32_e32 v145, v5, v143
	v_fmac_f32_e32 v147, v115, v142
	v_fma_f32 v142, v114, v142, -v148
	v_add_f32_e32 v114, 0, v163
	v_fma_f32 v143, v4, v143, -v146
	ds_read_b128 v[2:5], v1 offset:656
	s_waitcnt vmcnt(16)
	v_mul_f32_e32 v144, v116, v149
	v_mul_f32_e32 v149, v117, v149
	v_add_f32_e32 v8, v114, v8
	s_waitcnt vmcnt(12)
	v_fmac_f32_e32 v144, v117, v153
	v_fma_f32 v146, v116, v153, -v149
	s_clause 0x4
	buffer_load_dword v148, off, s[0:3], 0 offset:300
	buffer_load_dword v149, off, s[0:3], 0 offset:320
	;; [unrolled: 1-line block ×5, first 2 shown]
	v_add_f32_e32 v7, v8, v7
	s_clause 0x2
	buffer_load_dword v8, off, s[0:3], 0 offset:308
	buffer_load_dword v166, off, s[0:3], 0 offset:316
	;; [unrolled: 1-line block ×3, first 2 shown]
	ds_read_b128 v[114:117], v1 offset:672
	v_add_f32_e32 v7, v7, v125
	v_add_f32_e32 v7, v7, v128
	s_waitcnt vmcnt(19) lgkmcnt(1)
	v_mul_f32_e32 v122, v2, v154
	v_mul_f32_e32 v123, v3, v154
	s_waitcnt vmcnt(18)
	v_mul_f32_e32 v124, v4, v155
	v_mul_f32_e32 v125, v5, v155
	v_fmac_f32_e32 v122, v3, v152
	v_add_f32_e32 v3, v7, v127
	v_fma_f32 v7, v2, v152, -v123
	v_fmac_f32_e32 v124, v5, v151
	v_fma_f32 v123, v4, v151, -v125
	v_add_f32_e32 v2, v3, v126
	v_add_f32_e32 v3, v6, v131
	s_clause 0x7
	buffer_load_dword v6, off, s[0:3], 0 offset:332
	buffer_load_dword v151, off, s[0:3], 0 offset:340
	;; [unrolled: 1-line block ×8, first 2 shown]
	s_waitcnt vmcnt(25) lgkmcnt(0)
	v_mul_f32_e32 v4, v115, v156
	v_mul_f32_e32 v125, v114, v156
	v_add_f32_e32 v2, v2, v133
	v_add_f32_e32 v3, v3, v132
	s_clause 0x3
	buffer_load_dword v156, off, s[0:3], 0 offset:364
	buffer_load_dword v171, off, s[0:3], 0 offset:372
	;; [unrolled: 1-line block ×4, first 2 shown]
	v_fma_f32 v126, v114, v150, -v4
	v_fmac_f32_e32 v125, v115, v150
	v_add_f32_e32 v2, v2, v136
	v_add_f32_e32 v114, v3, v137
	s_waitcnt vmcnt(28)
	v_mul_f32_e32 v3, v117, v157
	s_clause 0x1
	buffer_load_dword v136, off, s[0:3], 0 offset:396
	buffer_load_dword v150, off, s[0:3], 0 offset:404
	v_mul_f32_e32 v127, v116, v157
	v_add_f32_e32 v115, v2, v135
	v_add_f32_e32 v114, v114, v138
	s_waitcnt vmcnt(26)
	v_fma_f32 v128, v116, v161, -v3
	ds_read_b128 v[2:5], v1 offset:688
	buffer_load_dword v135, off, s[0:3], 0 offset:412
	v_add_f32_e32 v115, v115, v118
	v_add_f32_e32 v114, v114, v139
	s_clause 0x3
	buffer_load_dword v137, off, s[0:3], 0 offset:384
	buffer_load_dword v138, off, s[0:3], 0 offset:376
	;; [unrolled: 1-line block ×4, first 2 shown]
	v_fmac_f32_e32 v127, v117, v161
	v_add_f32_e32 v115, v115, v120
	v_add_f32_e32 v114, v114, v119
	;; [unrolled: 1-line block ×4, first 2 shown]
	ds_read_b128 v[114:117], v1 offset:704
	v_add_f32_e32 v118, v118, v143
	s_waitcnt vmcnt(30) lgkmcnt(1)
	v_mul_f32_e32 v129, v2, v162
	v_mul_f32_e32 v120, v3, v162
	v_fmac_f32_e32 v129, v3, v160
	v_add_f32_e32 v3, v118, v142
	s_clause 0x3
	buffer_load_dword v140, off, s[0:3], 0 offset:408
	buffer_load_dword v141, off, s[0:3], 0 offset:400
	;; [unrolled: 1-line block ×4, first 2 shown]
	v_fma_f32 v130, v2, v160, -v120
	v_add_f32_e32 v2, v119, v145
	v_add_f32_e32 v3, v3, v146
	;; [unrolled: 1-line block ×13, first 2 shown]
	s_waitcnt vmcnt(32)
	v_mul_f32_e32 v131, v4, v121
	v_mul_f32_e32 v118, v5, v121
	s_waitcnt vmcnt(31) lgkmcnt(0)
	v_mul_f32_e32 v144, v114, v134
	v_mul_f32_e32 v123, v115, v134
	v_fmac_f32_e32 v131, v5, v159
	v_fma_f32 v132, v4, v159, -v118
	ds_read_b128 v[2:5], v1 offset:720
	ds_read_b128 v[118:121], v1 offset:736
	v_fmac_f32_e32 v144, v115, v158
	v_fma_f32 v133, v114, v158, -v123
	v_add_f32_e32 v158, v126, v129
	v_add_f32_e32 v7, v7, v132
	;; [unrolled: 1-line block ×4, first 2 shown]
	s_waitcnt vmcnt(30)
	v_mul_f32_e32 v124, v117, v148
	v_mul_f32_e32 v134, v116, v148
	s_waitcnt vmcnt(26)
	v_fma_f32 v145, v116, v165, -v124
	v_fmac_f32_e32 v134, v117, v165
	s_waitcnt vmcnt(25) lgkmcnt(1)
	v_mul_f32_e32 v146, v2, v8
	v_mul_f32_e32 v8, v3, v8
	s_waitcnt vmcnt(24)
	v_mul_f32_e32 v147, v4, v166
	v_mul_f32_e32 v127, v5, v166
	s_waitcnt vmcnt(23) lgkmcnt(0)
	v_mul_f32_e32 v130, v119, v167
	ds_read_b128 v[114:117], v1 offset:752
	ds_read_b128 v[122:125], v1 offset:768
	v_mul_f32_e32 v148, v118, v167
	v_fmac_f32_e32 v146, v3, v163
	v_fma_f32 v8, v2, v163, -v8
	v_fmac_f32_e32 v147, v5, v153
	v_fma_f32 v153, v4, v153, -v127
	ds_read_b128 v[2:5], v1 offset:784
	ds_read_b128 v[126:129], v1 offset:800
	v_fma_f32 v118, v118, v149, -v130
	ds_read_b128 v[130:133], v1 offset:816
	v_add_f32_e32 v1, v158, v144
	v_add_f32_e32 v7, v7, v145
	v_fmac_f32_e32 v148, v119, v149
	s_waitcnt vmcnt(22)
	v_mul_f32_e32 v119, v120, v6
	v_mul_f32_e32 v6, v121, v6
	v_add_f32_e32 v1, v1, v134
	v_add_f32_e32 v7, v7, v8
	s_waitcnt vmcnt(15)
	v_fmac_f32_e32 v119, v121, v170
	v_fma_f32 v6, v120, v170, -v6
	v_add_f32_e32 v1, v1, v146
	v_add_f32_e32 v7, v7, v153
	s_waitcnt lgkmcnt(4)
	v_mul_f32_e32 v145, v115, v151
	v_mul_f32_e32 v144, v114, v151
	;; [unrolled: 1-line block ×3, first 2 shown]
	v_add_f32_e32 v1, v1, v147
	v_add_f32_e32 v7, v7, v118
	v_mul_f32_e32 v147, v117, v152
	v_fma_f32 v114, v114, v169, -v145
	v_fmac_f32_e32 v144, v115, v169
	v_add_f32_e32 v1, v1, v148
	v_add_f32_e32 v6, v7, v6
	s_waitcnt lgkmcnt(3)
	v_mul_f32_e32 v7, v123, v154
	v_fma_f32 v115, v116, v168, -v147
	v_mul_f32_e32 v120, v122, v154
	v_add_f32_e32 v1, v1, v119
	v_add_f32_e32 v6, v6, v114
	v_fmac_f32_e32 v134, v117, v168
	s_waitcnt vmcnt(14)
	v_mul_f32_e32 v114, v125, v156
	v_fma_f32 v7, v122, v155, -v7
	v_add_f32_e32 v1, v1, v144
	v_add_f32_e32 v6, v6, v115
	v_mul_f32_e32 v121, v124, v156
	v_fmac_f32_e32 v120, v123, v155
	s_waitcnt vmcnt(13) lgkmcnt(2)
	v_mul_f32_e32 v8, v2, v171
	v_add_f32_e32 v1, v1, v134
	v_mul_f32_e32 v115, v3, v171
	s_waitcnt vmcnt(4)
	v_fma_f32 v114, v124, v157, -v114
	v_add_f32_e32 v6, v6, v7
	v_fmac_f32_e32 v121, v125, v157
	v_add_f32_e32 v1, v1, v120
	v_mul_f32_e32 v7, v5, v172
	v_fmac_f32_e32 v8, v3, v139
	v_fma_f32 v2, v2, v139, -v115
	v_add_f32_e32 v3, v6, v114
	v_mul_f32_e32 v146, v4, v172
	v_add_f32_e32 v1, v1, v121
	s_waitcnt lgkmcnt(1)
	v_mul_f32_e32 v6, v127, v173
	v_fma_f32 v4, v4, v138, -v7
	v_add_f32_e32 v2, v3, v2
	v_mul_f32_e32 v149, v126, v173
	v_fmac_f32_e32 v146, v5, v138
	v_add_f32_e32 v1, v1, v8
	v_mul_f32_e32 v3, v129, v136
	v_fma_f32 v5, v126, v137, -v6
	v_add_f32_e32 v2, v2, v4
	v_mul_f32_e32 v151, v128, v136
	v_fmac_f32_e32 v149, v127, v137
	v_add_f32_e32 v1, v1, v146
	s_waitcnt lgkmcnt(0)
	v_mul_f32_e32 v4, v131, v150
	s_waitcnt vmcnt(1)
	v_fma_f32 v3, v128, v142, -v3
	v_add_f32_e32 v2, v2, v5
	v_mul_f32_e32 v152, v130, v150
	v_fmac_f32_e32 v151, v129, v142
	v_add_f32_e32 v1, v1, v149
	v_mul_f32_e32 v5, v133, v135
	v_fma_f32 v4, v130, v141, -v4
	v_add_f32_e32 v2, v2, v3
	v_mul_f32_e32 v118, v132, v135
	v_fmac_f32_e32 v152, v131, v141
	v_add_f32_e32 v1, v1, v151
	v_fma_f32 v3, v132, v140, -v5
	v_add_f32_e32 v2, v2, v4
	v_fmac_f32_e32 v118, v133, v140
	v_add_f32_e32 v1, v1, v152
	v_add_f32_e32 v2, v2, v3
	;; [unrolled: 1-line block ×3, first 2 shown]
	s_waitcnt vmcnt(0)
	v_sub_f32_e32 v2, v143, v2
	v_sub_f32_e32 v1, v164, v1
	buffer_store_dword v2, off, s[0:3], 0 offset:104
	buffer_store_dword v1, off, s[0:3], 0 offset:108
	v_cmpx_lt_u32_e32 12, v0
	s_cbranch_execz .LBB115_301
; %bb.300:
	s_clause 0x1
	buffer_load_dword v1, off, s[0:3], 0 offset:96
	buffer_load_dword v2, off, s[0:3], 0 offset:100
	v_mov_b32_e32 v3, 0
	buffer_store_dword v3, off, s[0:3], 0 offset:96
	buffer_store_dword v3, off, s[0:3], 0 offset:100
	s_waitcnt vmcnt(0)
	ds_write_b64 v113, v[1:2]
.LBB115_301:
	s_or_b32 exec_lo, exec_lo, s4
	s_waitcnt lgkmcnt(0)
	s_waitcnt_vscnt null, 0x0
	s_barrier
	buffer_gl0_inv
	s_clause 0x2c
	buffer_load_dword v6, off, s[0:3], 0 offset:108
	buffer_load_dword v7, off, s[0:3], 0 offset:116
	;; [unrolled: 1-line block ×45, first 2 shown]
	v_mov_b32_e32 v1, 0
	ds_read2_b64 v[2:5], v1 offset0:65 offset1:66
	ds_read2_b64 v[114:117], v1 offset0:67 offset1:68
	s_clause 0x2
	buffer_load_dword v162, off, s[0:3], 0 offset:100
	buffer_load_dword v163, off, s[0:3], 0 offset:284
	;; [unrolled: 1-line block ×3, first 2 shown]
	s_mov_b32 s4, exec_lo
	s_waitcnt vmcnt(47) lgkmcnt(1)
	v_mul_f32_e32 v160, v3, v6
	v_mul_f32_e32 v6, v2, v6
	s_waitcnt vmcnt(46)
	v_mul_f32_e32 v161, v4, v7
	v_mul_f32_e32 v7, v5, v7
	s_waitcnt vmcnt(43)
	v_fma_f32 v160, v2, v119, -v160
	v_fmac_f32_e32 v6, v3, v119
	v_fmac_f32_e32 v161, v5, v118
	v_fma_f32 v7, v4, v118, -v7
	ds_read2_b64 v[2:5], v1 offset0:69 offset1:70
	s_waitcnt vmcnt(42) lgkmcnt(1)
	v_mul_f32_e32 v118, v114, v120
	v_mul_f32_e32 v119, v115, v120
	s_waitcnt vmcnt(41)
	v_mul_f32_e32 v120, v116, v121
	v_mul_f32_e32 v121, v117, v121
	v_fmac_f32_e32 v118, v115, v8
	v_fma_f32 v8, v114, v8, -v119
	s_waitcnt vmcnt(37)
	v_fmac_f32_e32 v120, v117, v125
	v_fma_f32 v119, v116, v125, -v121
	ds_read2_b64 v[114:117], v1 offset0:71 offset1:72
	s_waitcnt vmcnt(36) lgkmcnt(1)
	v_mul_f32_e32 v121, v2, v126
	v_mul_f32_e32 v125, v3, v126
	s_waitcnt vmcnt(35)
	v_mul_f32_e32 v126, v4, v127
	v_mul_f32_e32 v127, v5, v127
	v_fmac_f32_e32 v121, v3, v124
	v_fma_f32 v124, v2, v124, -v125
	v_fmac_f32_e32 v126, v5, v123
	v_fma_f32 v123, v4, v123, -v127
	ds_read2_b64 v[2:5], v1 offset0:73 offset1:74
	s_waitcnt vmcnt(34) lgkmcnt(1)
	v_mul_f32_e32 v125, v114, v128
	v_mul_f32_e32 v127, v115, v128
	s_waitcnt vmcnt(33)
	v_mul_f32_e32 v128, v116, v129
	v_mul_f32_e32 v129, v117, v129
	v_fmac_f32_e32 v125, v115, v122
	v_fma_f32 v122, v114, v122, -v127
	s_waitcnt vmcnt(29)
	v_fmac_f32_e32 v128, v117, v133
	v_fma_f32 v127, v116, v133, -v129
	ds_read2_b64 v[114:117], v1 offset0:75 offset1:76
	s_waitcnt vmcnt(28) lgkmcnt(1)
	v_mul_f32_e32 v129, v2, v134
	v_mul_f32_e32 v133, v3, v134
	s_waitcnt vmcnt(27)
	v_mul_f32_e32 v134, v4, v135
	v_mul_f32_e32 v135, v5, v135
	v_fmac_f32_e32 v129, v3, v132
	v_fma_f32 v132, v2, v132, -v133
	v_fmac_f32_e32 v134, v5, v131
	v_fma_f32 v131, v4, v131, -v135
	ds_read2_b64 v[2:5], v1 offset0:77 offset1:78
	s_waitcnt vmcnt(26) lgkmcnt(1)
	v_mul_f32_e32 v133, v114, v136
	v_mul_f32_e32 v135, v115, v136
	s_waitcnt vmcnt(25)
	v_mul_f32_e32 v136, v116, v137
	v_mul_f32_e32 v137, v117, v137
	v_fmac_f32_e32 v133, v115, v130
	v_fma_f32 v130, v114, v130, -v135
	s_waitcnt vmcnt(21)
	v_fmac_f32_e32 v136, v117, v141
	v_fma_f32 v135, v116, v141, -v137
	ds_read2_b64 v[114:117], v1 offset0:79 offset1:80
	s_waitcnt vmcnt(20) lgkmcnt(1)
	v_mul_f32_e32 v137, v2, v142
	v_mul_f32_e32 v141, v3, v142
	s_waitcnt vmcnt(19)
	v_mul_f32_e32 v142, v4, v143
	v_mul_f32_e32 v143, v5, v143
	v_fmac_f32_e32 v137, v3, v140
	v_fma_f32 v140, v2, v140, -v141
	v_fmac_f32_e32 v142, v5, v139
	v_fma_f32 v139, v4, v139, -v143
	ds_read2_b64 v[2:5], v1 offset0:81 offset1:82
	s_waitcnt vmcnt(18) lgkmcnt(1)
	v_mul_f32_e32 v141, v114, v144
	v_mul_f32_e32 v143, v115, v144
	s_waitcnt vmcnt(17)
	v_mul_f32_e32 v144, v116, v145
	v_mul_f32_e32 v145, v117, v145
	v_fmac_f32_e32 v141, v115, v138
	v_fma_f32 v138, v114, v138, -v143
	s_waitcnt vmcnt(13)
	v_fmac_f32_e32 v144, v117, v149
	v_fma_f32 v143, v116, v149, -v145
	ds_read2_b64 v[114:117], v1 offset0:83 offset1:84
	s_waitcnt vmcnt(12) lgkmcnt(1)
	v_mul_f32_e32 v145, v2, v150
	v_mul_f32_e32 v149, v3, v150
	s_waitcnt vmcnt(11)
	v_mul_f32_e32 v150, v4, v151
	v_mul_f32_e32 v151, v5, v151
	v_fmac_f32_e32 v145, v3, v148
	v_fma_f32 v148, v2, v148, -v149
	v_fmac_f32_e32 v150, v5, v147
	v_fma_f32 v147, v4, v147, -v151
	ds_read2_b64 v[2:5], v1 offset0:85 offset1:86
	s_waitcnt vmcnt(10) lgkmcnt(1)
	v_mul_f32_e32 v149, v114, v152
	v_mul_f32_e32 v151, v115, v152
	s_waitcnt vmcnt(9)
	v_mul_f32_e32 v152, v116, v153
	v_mul_f32_e32 v153, v117, v153
	v_fmac_f32_e32 v149, v115, v146
	v_fma_f32 v146, v114, v146, -v151
	s_waitcnt vmcnt(5)
	v_fmac_f32_e32 v152, v117, v157
	v_fma_f32 v151, v116, v157, -v153
	ds_read2_b64 v[114:117], v1 offset0:87 offset1:88
	s_waitcnt vmcnt(4) lgkmcnt(1)
	v_mul_f32_e32 v153, v2, v158
	v_mul_f32_e32 v157, v3, v158
	s_waitcnt vmcnt(3)
	v_mul_f32_e32 v158, v4, v159
	v_mul_f32_e32 v159, v5, v159
	v_fmac_f32_e32 v153, v3, v156
	v_fma_f32 v156, v2, v156, -v157
	v_fmac_f32_e32 v158, v5, v155
	v_fma_f32 v155, v4, v155, -v159
	s_clause 0x3
	buffer_load_dword v157, off, s[0:3], 0 offset:312
	buffer_load_dword v159, off, s[0:3], 0 offset:304
	buffer_load_dword v165, off, s[0:3], 0 offset:296
	buffer_load_dword v2, off, s[0:3], 0 offset:288
	s_waitcnt vmcnt(5) lgkmcnt(0)
	v_mul_f32_e32 v166, v114, v163
	v_mul_f32_e32 v3, v115, v163
	s_waitcnt vmcnt(4)
	v_mul_f32_e32 v163, v116, v164
	v_mul_f32_e32 v4, v117, v164
	s_clause 0x1
	buffer_load_dword v164, off, s[0:3], 0 offset:300
	buffer_load_dword v168, off, s[0:3], 0 offset:308
	v_fmac_f32_e32 v166, v115, v154
	v_fma_f32 v154, v114, v154, -v3
	v_add_f32_e32 v3, 0, v6
	buffer_load_dword v6, off, s[0:3], 0 offset:324
	v_add_f32_e32 v3, v3, v161
	v_add_f32_e32 v3, v3, v118
	;; [unrolled: 1-line block ×17, first 2 shown]
	s_waitcnt vmcnt(3)
	v_fmac_f32_e32 v163, v117, v2
	v_fma_f32 v167, v116, v2, -v4
	v_add_f32_e32 v2, 0, v160
	buffer_load_dword v160, off, s[0:3], 0 offset:316
	v_add_f32_e32 v2, v2, v7
	v_add_f32_e32 v2, v2, v8
	s_clause 0xa
	buffer_load_dword v8, off, s[0:3], 0 offset:344
	buffer_load_dword v161, off, s[0:3], 0 offset:336
	;; [unrolled: 1-line block ×11, first 2 shown]
	v_add_f32_e32 v2, v2, v119
	s_clause 0x3
	buffer_load_dword v177, off, s[0:3], 0 offset:388
	buffer_load_dword v178, off, s[0:3], 0 offset:396
	;; [unrolled: 1-line block ×4, first 2 shown]
	v_add_f32_e32 v2, v2, v124
	v_add_f32_e32 v2, v2, v123
	;; [unrolled: 1-line block ×9, first 2 shown]
	s_clause 0x3
	buffer_load_dword v131, off, s[0:3], 0 offset:376
	buffer_load_dword v132, off, s[0:3], 0 offset:368
	;; [unrolled: 1-line block ×4, first 2 shown]
	v_add_f32_e32 v2, v2, v130
	v_add_f32_e32 v2, v2, v135
	s_clause 0x4
	buffer_load_dword v130, off, s[0:3], 0 offset:408
	buffer_load_dword v133, off, s[0:3], 0 offset:400
	;; [unrolled: 1-line block ×5, first 2 shown]
	v_add_f32_e32 v2, v2, v140
	v_add_f32_e32 v114, v2, v139
	ds_read2_b64 v[2:5], v1 offset0:89 offset1:90
	v_add_f32_e32 v114, v114, v138
	v_add_f32_e32 v114, v114, v143
	;; [unrolled: 1-line block ×3, first 2 shown]
	ds_read2_b64 v[114:117], v1 offset0:91 offset1:92
	v_add_f32_e32 v119, v119, v147
	s_waitcnt vmcnt(27) lgkmcnt(1)
	v_mul_f32_e32 v137, v2, v164
	v_mul_f32_e32 v120, v3, v164
	s_waitcnt vmcnt(26)
	v_mul_f32_e32 v138, v4, v168
	v_mul_f32_e32 v121, v5, v168
	v_fmac_f32_e32 v137, v3, v165
	v_add_f32_e32 v3, v119, v146
	v_fma_f32 v139, v2, v165, -v120
	v_fmac_f32_e32 v138, v5, v159
	v_fma_f32 v140, v4, v159, -v121
	v_add_f32_e32 v126, v3, v151
	ds_read2_b64 v[2:5], v1 offset0:93 offset1:94
	ds_read2_b64 v[118:121], v1 offset0:95 offset1:96
	;; [unrolled: 1-line block ×3, first 2 shown]
	s_waitcnt vmcnt(25) lgkmcnt(3)
	v_mul_f32_e32 v142, v116, v6
	v_add_f32_e32 v126, v126, v156
	v_mul_f32_e32 v6, v117, v6
	v_add_f32_e32 v126, v126, v155
	s_waitcnt vmcnt(24)
	v_mul_f32_e32 v128, v115, v160
	v_mul_f32_e32 v141, v114, v160
	v_fma_f32 v143, v114, v157, -v128
	v_add_f32_e32 v114, v127, v158
	v_fmac_f32_e32 v141, v115, v157
	v_add_f32_e32 v115, v126, v154
	ds_read2_b64 v[126:129], v1 offset0:99 offset1:100
	s_waitcnt vmcnt(20)
	v_fma_f32 v144, v116, v7, -v6
	v_add_f32_e32 v145, v114, v166
	v_fmac_f32_e32 v142, v117, v7
	v_add_f32_e32 v146, v115, v167
	s_waitcnt vmcnt(19) lgkmcnt(3)
	v_mul_f32_e32 v147, v2, v170
	s_waitcnt vmcnt(18)
	v_mul_f32_e32 v149, v5, v171
	v_add_f32_e32 v145, v145, v163
	v_mul_f32_e32 v148, v4, v171
	v_add_f32_e32 v139, v146, v139
	v_mul_f32_e32 v146, v3, v170
	v_fmac_f32_e32 v147, v3, v169
	v_add_f32_e32 v137, v145, v137
	s_waitcnt vmcnt(17) lgkmcnt(2)
	v_mul_f32_e32 v145, v118, v172
	v_add_f32_e32 v139, v139, v140
	v_fma_f32 v2, v2, v169, -v146
	v_mul_f32_e32 v146, v119, v172
	v_add_f32_e32 v137, v137, v138
	v_fma_f32 v4, v4, v161, -v149
	v_add_f32_e32 v139, v139, v143
	v_fmac_f32_e32 v148, v5, v161
	v_fmac_f32_e32 v145, v119, v8
	v_add_f32_e32 v137, v137, v141
	v_fma_f32 v8, v118, v8, -v146
	v_add_f32_e32 v139, v139, v144
	s_waitcnt vmcnt(16)
	v_mul_f32_e32 v140, v120, v173
	ds_read2_b64 v[114:117], v1 offset0:101 offset1:102
	ds_read_b64 v[6:7], v1 offset:824
	v_add_f32_e32 v137, v137, v142
	s_waitcnt vmcnt(15) lgkmcnt(3)
	v_mul_f32_e32 v150, v122, v174
	v_add_f32_e32 v2, v139, v2
	s_waitcnt vmcnt(14)
	v_mul_f32_e32 v138, v124, v175
	s_waitcnt vmcnt(13) lgkmcnt(2)
	v_mul_f32_e32 v143, v126, v176
	v_add_f32_e32 v5, v137, v147
	v_mul_f32_e32 v137, v121, v173
	v_add_f32_e32 v2, v2, v4
	s_waitcnt vmcnt(6)
	v_fmac_f32_e32 v150, v123, v181
	s_waitcnt vmcnt(5)
	v_fmac_f32_e32 v140, v121, v182
	v_add_f32_e32 v4, v5, v148
	v_mul_f32_e32 v5, v123, v174
	v_fma_f32 v118, v120, v182, -v137
	v_add_f32_e32 v2, v2, v8
	v_mul_f32_e32 v8, v125, v175
	v_add_f32_e32 v4, v4, v145
	v_fma_f32 v5, v122, v181, -v5
	v_fmac_f32_e32 v138, v125, v132
	v_add_f32_e32 v2, v2, v118
	v_mul_f32_e32 v118, v127, v176
	v_add_f32_e32 v4, v4, v140
	v_fma_f32 v8, v124, v132, -v8
	v_mul_f32_e32 v3, v128, v177
	v_add_f32_e32 v2, v2, v5
	v_mul_f32_e32 v5, v129, v177
	v_add_f32_e32 v4, v4, v150
	v_fma_f32 v118, v126, v131, -v118
	v_fmac_f32_e32 v143, v127, v131
	v_add_f32_e32 v2, v2, v8
	s_waitcnt lgkmcnt(1)
	v_mul_f32_e32 v8, v115, v178
	v_add_f32_e32 v4, v4, v138
	s_waitcnt vmcnt(1)
	v_fma_f32 v5, v128, v135, -v5
	v_mul_f32_e32 v141, v114, v178
	v_add_f32_e32 v2, v2, v118
	v_fmac_f32_e32 v3, v129, v135
	v_add_f32_e32 v4, v4, v143
	v_mul_f32_e32 v118, v117, v179
	v_fma_f32 v8, v114, v134, -v8
	v_add_f32_e32 v2, v2, v5
	v_mul_f32_e32 v144, v116, v179
	v_fmac_f32_e32 v141, v115, v134
	v_add_f32_e32 v3, v4, v3
	s_waitcnt lgkmcnt(0)
	v_mul_f32_e32 v4, v7, v180
	v_fma_f32 v5, v116, v133, -v118
	v_add_f32_e32 v2, v2, v8
	v_mul_f32_e32 v142, v6, v180
	v_fmac_f32_e32 v144, v117, v133
	v_add_f32_e32 v3, v3, v141
	v_fma_f32 v4, v6, v130, -v4
	v_add_f32_e32 v2, v2, v5
	v_fmac_f32_e32 v142, v7, v130
	v_add_f32_e32 v3, v3, v144
	v_add_f32_e32 v2, v2, v4
	;; [unrolled: 1-line block ×3, first 2 shown]
	s_waitcnt vmcnt(0)
	v_sub_f32_e32 v2, v136, v2
	v_sub_f32_e32 v3, v162, v3
	buffer_store_dword v2, off, s[0:3], 0 offset:96
	buffer_store_dword v3, off, s[0:3], 0 offset:100
	v_cmpx_lt_u32_e32 11, v0
	s_cbranch_execz .LBB115_303
; %bb.302:
	s_clause 0x1
	buffer_load_dword v2, off, s[0:3], 0 offset:88
	buffer_load_dword v3, off, s[0:3], 0 offset:92
	buffer_store_dword v1, off, s[0:3], 0 offset:88
	buffer_store_dword v1, off, s[0:3], 0 offset:92
	s_waitcnt vmcnt(0)
	ds_write_b64 v113, v[2:3]
.LBB115_303:
	s_or_b32 exec_lo, exec_lo, s4
	s_waitcnt lgkmcnt(0)
	s_waitcnt_vscnt null, 0x0
	s_barrier
	buffer_gl0_inv
	s_clause 0x2c
	buffer_load_dword v6, off, s[0:3], 0 offset:100
	buffer_load_dword v7, off, s[0:3], 0 offset:108
	;; [unrolled: 1-line block ×45, first 2 shown]
	ds_read_b128 v[2:5], v1 offset:512
	ds_read_b128 v[114:117], v1 offset:528
	s_clause 0x2
	buffer_load_dword v162, off, s[0:3], 0 offset:92
	buffer_load_dword v163, off, s[0:3], 0 offset:276
	;; [unrolled: 1-line block ×3, first 2 shown]
	s_mov_b32 s4, exec_lo
	s_waitcnt vmcnt(47) lgkmcnt(1)
	v_mul_f32_e32 v160, v3, v6
	v_mul_f32_e32 v6, v2, v6
	s_waitcnt vmcnt(46)
	v_mul_f32_e32 v161, v4, v7
	v_mul_f32_e32 v7, v5, v7
	s_waitcnt vmcnt(43)
	v_fma_f32 v160, v2, v119, -v160
	v_fmac_f32_e32 v6, v3, v119
	v_fmac_f32_e32 v161, v5, v118
	v_fma_f32 v7, v4, v118, -v7
	ds_read_b128 v[2:5], v1 offset:544
	s_waitcnt vmcnt(42) lgkmcnt(1)
	v_mul_f32_e32 v118, v114, v120
	v_mul_f32_e32 v119, v115, v120
	s_waitcnt vmcnt(41)
	v_mul_f32_e32 v120, v116, v121
	v_mul_f32_e32 v121, v117, v121
	v_fmac_f32_e32 v118, v115, v8
	v_fma_f32 v8, v114, v8, -v119
	s_waitcnt vmcnt(37)
	v_fmac_f32_e32 v120, v117, v125
	v_fma_f32 v119, v116, v125, -v121
	ds_read_b128 v[114:117], v1 offset:560
	s_waitcnt vmcnt(36) lgkmcnt(1)
	v_mul_f32_e32 v121, v2, v126
	v_mul_f32_e32 v125, v3, v126
	s_waitcnt vmcnt(35)
	v_mul_f32_e32 v126, v4, v127
	v_mul_f32_e32 v127, v5, v127
	v_fmac_f32_e32 v121, v3, v124
	v_fma_f32 v124, v2, v124, -v125
	v_fmac_f32_e32 v126, v5, v123
	v_fma_f32 v123, v4, v123, -v127
	ds_read_b128 v[2:5], v1 offset:576
	s_waitcnt vmcnt(34) lgkmcnt(1)
	v_mul_f32_e32 v125, v114, v128
	v_mul_f32_e32 v127, v115, v128
	s_waitcnt vmcnt(33)
	v_mul_f32_e32 v128, v116, v129
	v_mul_f32_e32 v129, v117, v129
	v_fmac_f32_e32 v125, v115, v122
	v_fma_f32 v122, v114, v122, -v127
	s_waitcnt vmcnt(29)
	v_fmac_f32_e32 v128, v117, v133
	v_fma_f32 v127, v116, v133, -v129
	ds_read_b128 v[114:117], v1 offset:592
	s_waitcnt vmcnt(28) lgkmcnt(1)
	v_mul_f32_e32 v129, v2, v134
	v_mul_f32_e32 v133, v3, v134
	s_waitcnt vmcnt(27)
	v_mul_f32_e32 v134, v4, v135
	v_mul_f32_e32 v135, v5, v135
	v_fmac_f32_e32 v129, v3, v132
	v_fma_f32 v132, v2, v132, -v133
	v_fmac_f32_e32 v134, v5, v131
	v_fma_f32 v131, v4, v131, -v135
	ds_read_b128 v[2:5], v1 offset:608
	s_waitcnt vmcnt(26) lgkmcnt(1)
	v_mul_f32_e32 v133, v114, v136
	v_mul_f32_e32 v135, v115, v136
	s_waitcnt vmcnt(25)
	v_mul_f32_e32 v136, v116, v137
	v_mul_f32_e32 v137, v117, v137
	v_fmac_f32_e32 v133, v115, v130
	v_fma_f32 v130, v114, v130, -v135
	s_waitcnt vmcnt(21)
	v_fmac_f32_e32 v136, v117, v141
	v_fma_f32 v135, v116, v141, -v137
	ds_read_b128 v[114:117], v1 offset:624
	s_waitcnt vmcnt(20) lgkmcnt(1)
	v_mul_f32_e32 v137, v2, v142
	v_mul_f32_e32 v141, v3, v142
	s_waitcnt vmcnt(19)
	v_mul_f32_e32 v142, v4, v143
	v_mul_f32_e32 v143, v5, v143
	v_fmac_f32_e32 v137, v3, v140
	v_fma_f32 v140, v2, v140, -v141
	v_fmac_f32_e32 v142, v5, v139
	v_fma_f32 v139, v4, v139, -v143
	ds_read_b128 v[2:5], v1 offset:640
	s_waitcnt vmcnt(18) lgkmcnt(1)
	v_mul_f32_e32 v141, v114, v144
	v_mul_f32_e32 v143, v115, v144
	s_waitcnt vmcnt(17)
	v_mul_f32_e32 v144, v116, v145
	v_mul_f32_e32 v145, v117, v145
	v_fmac_f32_e32 v141, v115, v138
	v_fma_f32 v138, v114, v138, -v143
	s_waitcnt vmcnt(13)
	v_fmac_f32_e32 v144, v117, v149
	v_fma_f32 v143, v116, v149, -v145
	ds_read_b128 v[114:117], v1 offset:656
	s_waitcnt vmcnt(12) lgkmcnt(1)
	v_mul_f32_e32 v145, v2, v150
	v_mul_f32_e32 v149, v3, v150
	s_waitcnt vmcnt(11)
	v_mul_f32_e32 v150, v4, v151
	v_mul_f32_e32 v151, v5, v151
	v_fmac_f32_e32 v145, v3, v148
	v_fma_f32 v148, v2, v148, -v149
	v_fmac_f32_e32 v150, v5, v147
	v_fma_f32 v147, v4, v147, -v151
	ds_read_b128 v[2:5], v1 offset:672
	s_waitcnt vmcnt(10) lgkmcnt(1)
	v_mul_f32_e32 v149, v114, v152
	v_mul_f32_e32 v151, v115, v152
	s_waitcnt vmcnt(9)
	v_mul_f32_e32 v152, v116, v153
	v_mul_f32_e32 v153, v117, v153
	v_fmac_f32_e32 v149, v115, v146
	v_fma_f32 v146, v114, v146, -v151
	s_waitcnt vmcnt(5)
	v_fmac_f32_e32 v152, v117, v157
	v_fma_f32 v151, v116, v157, -v153
	ds_read_b128 v[114:117], v1 offset:688
	s_waitcnt vmcnt(4) lgkmcnt(1)
	v_mul_f32_e32 v153, v2, v158
	v_mul_f32_e32 v157, v3, v158
	s_waitcnt vmcnt(3)
	v_mul_f32_e32 v158, v4, v159
	v_mul_f32_e32 v159, v5, v159
	v_fmac_f32_e32 v153, v3, v156
	v_fma_f32 v156, v2, v156, -v157
	v_fmac_f32_e32 v158, v5, v155
	v_fma_f32 v155, v4, v155, -v159
	s_clause 0x5
	buffer_load_dword v157, off, s[0:3], 0 offset:304
	buffer_load_dword v159, off, s[0:3], 0 offset:296
	;; [unrolled: 1-line block ×6, first 2 shown]
	v_add_f32_e32 v4, 0, v6
	buffer_load_dword v6, off, s[0:3], 0 offset:308
	v_add_f32_e32 v3, 0, v160
	s_waitcnt vmcnt(8) lgkmcnt(0)
	v_mul_f32_e32 v5, v115, v163
	s_waitcnt vmcnt(7)
	v_mul_f32_e32 v170, v116, v164
	v_add_f32_e32 v4, v4, v161
	v_add_f32_e32 v3, v3, v7
	v_mul_f32_e32 v7, v114, v163
	v_add_f32_e32 v4, v4, v118
	v_add_f32_e32 v3, v3, v8
	s_clause 0x7
	buffer_load_dword v8, off, s[0:3], 0 offset:316
	buffer_load_dword v160, off, s[0:3], 0 offset:336
	buffer_load_dword v161, off, s[0:3], 0 offset:328
	buffer_load_dword v163, off, s[0:3], 0 offset:320
	buffer_load_dword v168, off, s[0:3], 0 offset:312
	buffer_load_dword v169, off, s[0:3], 0 offset:324
	buffer_load_dword v171, off, s[0:3], 0 offset:340
	buffer_load_dword v172, off, s[0:3], 0 offset:348
	v_add_f32_e32 v3, v3, v119
	v_add_f32_e32 v4, v4, v120
	v_fmac_f32_e32 v7, v115, v154
	v_fma_f32 v154, v114, v154, -v5
	v_mul_f32_e32 v5, v117, v164
	v_add_f32_e32 v3, v3, v124
	v_add_f32_e32 v4, v4, v121
	s_clause 0x7
	buffer_load_dword v164, off, s[0:3], 0 offset:332
	buffer_load_dword v173, off, s[0:3], 0 offset:356
	buffer_load_dword v174, off, s[0:3], 0 offset:364
	buffer_load_dword v175, off, s[0:3], 0 offset:372
	buffer_load_dword v176, off, s[0:3], 0 offset:380
	buffer_load_dword v177, off, s[0:3], 0 offset:388
	buffer_load_dword v178, off, s[0:3], 0 offset:396
	buffer_load_dword v179, off, s[0:3], 0 offset:404
	v_add_f32_e32 v3, v3, v123
	v_add_f32_e32 v4, v4, v126
	buffer_load_dword v180, off, s[0:3], 0 offset:412
	s_waitcnt vmcnt(20)
	v_fmac_f32_e32 v170, v117, v2
	v_fma_f32 v126, v116, v2, -v5
	v_add_f32_e32 v2, v3, v122
	v_add_f32_e32 v3, v4, v125
	;; [unrolled: 1-line block ×8, first 2 shown]
	s_clause 0x3
	buffer_load_dword v134, off, s[0:3], 0 offset:368
	buffer_load_dword v181, off, s[0:3], 0 offset:360
	buffer_load_dword v182, off, s[0:3], 0 offset:352
	buffer_load_dword v183, off, s[0:3], 0 offset:344
	v_add_f32_e32 v2, v2, v130
	v_add_f32_e32 v3, v3, v133
	;; [unrolled: 1-line block ×4, first 2 shown]
	s_clause 0x3
	buffer_load_dword v135, off, s[0:3], 0 offset:400
	buffer_load_dword v136, off, s[0:3], 0 offset:392
	;; [unrolled: 1-line block ×4, first 2 shown]
	v_add_f32_e32 v2, v2, v140
	buffer_load_dword v140, off, s[0:3], 0 offset:408
	v_add_f32_e32 v3, v3, v137
	buffer_load_dword v137, off, s[0:3], 0 offset:88
	v_add_f32_e32 v2, v2, v139
	v_add_f32_e32 v3, v3, v142
	;; [unrolled: 1-line block ×4, first 2 shown]
	ds_read_b128 v[2:5], v1 offset:704
	v_add_f32_e32 v114, v114, v143
	v_add_f32_e32 v115, v115, v144
	;; [unrolled: 1-line block ×4, first 2 shown]
	ds_read_b128 v[114:117], v1 offset:720
	v_add_f32_e32 v118, v118, v147
	v_add_f32_e32 v119, v119, v150
	;; [unrolled: 1-line block ×4, first 2 shown]
	s_waitcnt vmcnt(29) lgkmcnt(1)
	v_mul_f32_e32 v138, v2, v166
	v_mul_f32_e32 v120, v3, v166
	s_waitcnt vmcnt(28)
	v_mul_f32_e32 v139, v4, v167
	v_mul_f32_e32 v121, v5, v167
	v_add_f32_e32 v123, v118, v151
	v_fmac_f32_e32 v138, v3, v165
	v_fma_f32 v130, v2, v165, -v120
	v_fmac_f32_e32 v139, v5, v159
	v_fma_f32 v141, v4, v159, -v121
	ds_read_b128 v[2:5], v1 offset:736
	ds_read_b128 v[118:121], v1 offset:752
	v_add_f32_e32 v122, v122, v152
	s_waitcnt vmcnt(27) lgkmcnt(2)
	v_mul_f32_e32 v142, v114, v6
	v_add_f32_e32 v123, v123, v156
	v_mul_f32_e32 v6, v115, v6
	s_waitcnt vmcnt(26)
	v_mul_f32_e32 v143, v116, v8
	v_add_f32_e32 v122, v122, v153
	v_fmac_f32_e32 v142, v115, v157
	v_add_f32_e32 v115, v123, v155
	v_mul_f32_e32 v8, v117, v8
	v_fma_f32 v6, v114, v157, -v6
	v_add_f32_e32 v127, v122, v158
	s_waitcnt vmcnt(22)
	v_fmac_f32_e32 v143, v117, v168
	v_add_f32_e32 v128, v115, v154
	v_fma_f32 v8, v116, v168, -v8
	ds_read_b128 v[114:117], v1 offset:768
	ds_read_b128 v[122:125], v1 offset:784
	v_add_f32_e32 v7, v127, v7
	v_add_f32_e32 v132, v128, v126
	s_waitcnt vmcnt(21) lgkmcnt(3)
	v_mul_f32_e32 v144, v2, v169
	v_mul_f32_e32 v131, v3, v169
	v_add_f32_e32 v7, v7, v170
	ds_read_b128 v[126:129], v1 offset:800
	s_waitcnt vmcnt(20) lgkmcnt(3)
	v_mul_f32_e32 v145, v119, v171
	v_fmac_f32_e32 v144, v3, v163
	v_add_f32_e32 v3, v132, v130
	v_fma_f32 v2, v2, v163, -v131
	ds_read_b128 v[130:133], v1 offset:816
	v_add_f32_e32 v1, v7, v138
	s_waitcnt vmcnt(18)
	v_mul_f32_e32 v138, v5, v164
	v_add_f32_e32 v3, v3, v141
	v_mul_f32_e32 v7, v4, v164
	v_mul_f32_e32 v141, v118, v171
	v_add_f32_e32 v1, v1, v139
	v_fma_f32 v4, v4, v161, -v138
	v_add_f32_e32 v3, v3, v6
	v_fmac_f32_e32 v7, v5, v161
	v_fma_f32 v118, v118, v160, -v145
	v_add_f32_e32 v1, v1, v142
	v_mul_f32_e32 v139, v120, v172
	v_add_f32_e32 v3, v3, v8
	v_mul_f32_e32 v8, v121, v172
	v_fmac_f32_e32 v141, v119, v160
	v_add_f32_e32 v1, v1, v143
	s_waitcnt vmcnt(17) lgkmcnt(3)
	v_mul_f32_e32 v5, v114, v173
	v_add_f32_e32 v2, v3, v2
	s_waitcnt vmcnt(16)
	v_mul_f32_e32 v138, v116, v174
	s_waitcnt vmcnt(15) lgkmcnt(2)
	v_mul_f32_e32 v6, v122, v175
	v_add_f32_e32 v1, v1, v144
	s_waitcnt vmcnt(14)
	v_mul_f32_e32 v142, v124, v176
	v_add_f32_e32 v2, v2, v4
	v_mul_f32_e32 v4, v115, v173
	s_waitcnt vmcnt(13) lgkmcnt(1)
	v_mul_f32_e32 v146, v126, v177
	v_add_f32_e32 v1, v1, v7
	s_waitcnt vmcnt(12)
	v_mul_f32_e32 v143, v128, v178
	v_add_f32_e32 v2, v2, v118
	s_waitcnt vmcnt(11) lgkmcnt(0)
	v_mul_f32_e32 v147, v130, v179
	s_waitcnt vmcnt(10)
	v_mul_f32_e32 v3, v132, v180
	v_add_f32_e32 v1, v1, v141
	s_waitcnt vmcnt(9)
	v_fmac_f32_e32 v6, v123, v134
	s_waitcnt vmcnt(8)
	v_fmac_f32_e32 v138, v117, v181
	s_waitcnt vmcnt(7)
	v_fma_f32 v4, v114, v182, -v4
	s_waitcnt vmcnt(6)
	v_fma_f32 v7, v120, v183, -v8
	v_fmac_f32_e32 v139, v121, v183
	v_mul_f32_e32 v8, v117, v174
	v_fmac_f32_e32 v5, v115, v182
	v_add_f32_e32 v2, v2, v7
	v_add_f32_e32 v1, v1, v139
	v_mul_f32_e32 v7, v123, v175
	v_fma_f32 v8, v116, v181, -v8
	s_waitcnt vmcnt(3)
	v_fmac_f32_e32 v146, v127, v184
	v_add_f32_e32 v2, v2, v4
	v_add_f32_e32 v1, v1, v5
	v_mul_f32_e32 v4, v125, v176
	v_fma_f32 v5, v122, v134, -v7
	v_mul_f32_e32 v7, v127, v177
	v_add_f32_e32 v2, v2, v8
	v_add_f32_e32 v1, v1, v138
	s_waitcnt vmcnt(2)
	v_fma_f32 v4, v124, v185, -v4
	v_fmac_f32_e32 v142, v125, v185
	v_fmac_f32_e32 v143, v129, v136
	v_add_f32_e32 v2, v2, v5
	v_add_f32_e32 v1, v1, v6
	v_mul_f32_e32 v5, v129, v178
	v_fma_f32 v6, v126, v184, -v7
	v_fmac_f32_e32 v147, v131, v135
	v_add_f32_e32 v2, v2, v4
	v_add_f32_e32 v1, v1, v142
	v_mul_f32_e32 v4, v131, v179
	v_fma_f32 v5, v128, v136, -v5
	s_waitcnt vmcnt(1)
	v_fmac_f32_e32 v3, v133, v140
	v_add_f32_e32 v2, v2, v6
	v_add_f32_e32 v1, v1, v146
	v_mul_f32_e32 v6, v133, v180
	v_fma_f32 v4, v130, v135, -v4
	v_add_f32_e32 v2, v2, v5
	v_add_f32_e32 v1, v1, v143
	v_fma_f32 v5, v132, v140, -v6
	v_add_f32_e32 v2, v2, v4
	v_add_f32_e32 v1, v1, v147
	;; [unrolled: 1-line block ×4, first 2 shown]
	s_waitcnt vmcnt(0)
	v_sub_f32_e32 v2, v137, v2
	v_sub_f32_e32 v1, v162, v1
	buffer_store_dword v2, off, s[0:3], 0 offset:88
	buffer_store_dword v1, off, s[0:3], 0 offset:92
	v_cmpx_lt_u32_e32 10, v0
	s_cbranch_execz .LBB115_305
; %bb.304:
	s_clause 0x1
	buffer_load_dword v1, off, s[0:3], 0 offset:80
	buffer_load_dword v2, off, s[0:3], 0 offset:84
	v_mov_b32_e32 v3, 0
	buffer_store_dword v3, off, s[0:3], 0 offset:80
	buffer_store_dword v3, off, s[0:3], 0 offset:84
	s_waitcnt vmcnt(0)
	ds_write_b64 v113, v[1:2]
.LBB115_305:
	s_or_b32 exec_lo, exec_lo, s4
	s_waitcnt lgkmcnt(0)
	s_waitcnt_vscnt null, 0x0
	s_barrier
	buffer_gl0_inv
	s_clause 0x24
	buffer_load_dword v2, off, s[0:3], 0 offset:92
	buffer_load_dword v3, off, s[0:3], 0 offset:100
	;; [unrolled: 1-line block ×37, first 2 shown]
	v_mov_b32_e32 v1, 0
	ds_read2_b64 v[122:125], v1 offset0:63 offset1:64
	ds_read2_b64 v[126:129], v1 offset0:65 offset1:66
	;; [unrolled: 1-line block ×3, first 2 shown]
	s_clause 0x1
	buffer_load_dword v160, off, s[0:3], 0 offset:236
	buffer_load_dword v161, off, s[0:3], 0 offset:84
	ds_read2_b64 v[134:137], v1 offset0:69 offset1:70
	s_mov_b32 s4, exec_lo
	s_waitcnt vmcnt(38) lgkmcnt(3)
	v_mul_f32_e32 v162, v123, v2
	v_mul_f32_e32 v2, v122, v2
	s_waitcnt vmcnt(37)
	v_mul_f32_e32 v163, v124, v3
	v_mul_f32_e32 v3, v125, v3
	s_waitcnt vmcnt(34)
	v_fma_f32 v162, v122, v140, -v162
	v_fmac_f32_e32 v2, v123, v140
	v_fmac_f32_e32 v163, v125, v139
	v_fma_f32 v3, v124, v139, -v3
	ds_read2_b64 v[122:125], v1 offset0:71 offset1:72
	s_waitcnt vmcnt(33) lgkmcnt(3)
	v_mul_f32_e32 v139, v126, v141
	v_mul_f32_e32 v140, v127, v141
	s_waitcnt vmcnt(32)
	v_mul_f32_e32 v141, v128, v142
	v_mul_f32_e32 v142, v129, v142
	s_waitcnt vmcnt(31) lgkmcnt(2)
	v_mul_f32_e32 v164, v130, v143
	v_fmac_f32_e32 v139, v127, v138
	v_fma_f32 v138, v126, v138, -v140
	s_waitcnt vmcnt(26)
	v_fmac_f32_e32 v141, v129, v148
	v_fma_f32 v142, v128, v148, -v142
	ds_read2_b64 v[126:129], v1 offset0:73 offset1:74
	v_mul_f32_e32 v143, v131, v143
	v_mul_f32_e32 v140, v132, v144
	;; [unrolled: 1-line block ×3, first 2 shown]
	v_fmac_f32_e32 v164, v131, v147
	s_waitcnt vmcnt(24) lgkmcnt(2)
	v_mul_f32_e32 v148, v136, v150
	v_fma_f32 v143, v130, v147, -v143
	v_fmac_f32_e32 v140, v133, v146
	v_fma_f32 v144, v132, v146, -v144
	v_mul_f32_e32 v146, v134, v149
	v_mul_f32_e32 v147, v135, v149
	;; [unrolled: 1-line block ×3, first 2 shown]
	ds_read2_b64 v[130:133], v1 offset0:75 offset1:76
	s_waitcnt vmcnt(19)
	v_fmac_f32_e32 v148, v137, v153
	v_fmac_f32_e32 v146, v135, v145
	v_fma_f32 v134, v134, v145, -v147
	v_fma_f32 v135, v136, v153, -v149
	s_clause 0x4
	buffer_load_dword v136, off, s[0:3], 0 offset:244
	buffer_load_dword v137, off, s[0:3], 0 offset:264
	;; [unrolled: 1-line block ×5, first 2 shown]
	s_waitcnt lgkmcnt(2)
	v_mul_f32_e32 v150, v122, v151
	v_mul_f32_e32 v151, v123, v151
	s_waitcnt vmcnt(23)
	v_mul_f32_e32 v153, v124, v154
	v_mul_f32_e32 v154, v125, v154
	s_waitcnt vmcnt(21) lgkmcnt(1)
	v_mul_f32_e32 v165, v128, v156
	v_fmac_f32_e32 v150, v123, v152
	v_fma_f32 v151, v122, v152, -v151
	v_mul_f32_e32 v152, v126, v155
	v_mul_f32_e32 v122, v127, v155
	buffer_load_dword v155, off, s[0:3], 0 offset:252
	v_fmac_f32_e32 v153, v125, v119
	v_fma_f32 v154, v124, v119, -v154
	v_mul_f32_e32 v119, v129, v156
	v_fmac_f32_e32 v152, v127, v8
	v_fma_f32 v8, v126, v8, -v122
	ds_read2_b64 v[122:125], v1 offset0:77 offset1:78
	s_waitcnt vmcnt(18)
	v_fmac_f32_e32 v165, v129, v157
	v_fma_f32 v156, v128, v157, -v119
	ds_read2_b64 v[126:129], v1 offset0:79 offset1:80
	s_waitcnt vmcnt(17) lgkmcnt(2)
	v_mul_f32_e32 v157, v130, v158
	v_mul_f32_e32 v119, v131, v158
	s_waitcnt vmcnt(16)
	v_mul_f32_e32 v158, v132, v159
	v_mul_f32_e32 v159, v133, v159
	v_add_f32_e32 v2, 0, v2
	v_fmac_f32_e32 v157, v131, v120
	v_fma_f32 v130, v130, v120, -v119
	v_fmac_f32_e32 v158, v133, v114
	v_fma_f32 v131, v132, v114, -v159
	s_clause 0x2
	buffer_load_dword v132, off, s[0:3], 0 offset:260
	buffer_load_dword v133, off, s[0:3], 0 offset:268
	;; [unrolled: 1-line block ×3, first 2 shown]
	s_waitcnt vmcnt(18) lgkmcnt(1)
	v_mul_f32_e32 v159, v122, v116
	v_mul_f32_e32 v114, v123, v116
	s_waitcnt vmcnt(17)
	v_mul_f32_e32 v166, v124, v115
	v_mul_f32_e32 v115, v125, v115
	v_fmac_f32_e32 v159, v123, v5
	v_fma_f32 v123, v122, v5, -v114
	s_waitcnt vmcnt(13)
	v_fmac_f32_e32 v166, v125, v121
	s_waitcnt vmcnt(12) lgkmcnt(0)
	v_mul_f32_e32 v125, v126, v118
	v_mul_f32_e32 v5, v127, v118
	s_waitcnt vmcnt(11)
	v_mul_f32_e32 v118, v128, v117
	v_mul_f32_e32 v114, v129, v117
	v_fma_f32 v124, v124, v121, -v115
	ds_read2_b64 v[119:122], v1 offset0:81 offset1:82
	v_fmac_f32_e32 v125, v127, v7
	v_fma_f32 v7, v126, v7, -v5
	v_fmac_f32_e32 v118, v129, v6
	v_fma_f32 v6, v128, v6, -v114
	s_clause 0x4
	buffer_load_dword v126, off, s[0:3], 0 offset:296
	buffer_load_dword v127, off, s[0:3], 0 offset:288
	;; [unrolled: 1-line block ×5, first 2 shown]
	v_add_f32_e32 v5, 0, v162
	v_add_f32_e32 v3, v5, v3
	v_add_f32_e32 v115, v3, v138
	s_waitcnt vmcnt(15) lgkmcnt(0)
	v_mul_f32_e32 v162, v119, v160
	v_mul_f32_e32 v114, v120, v160
	v_add_f32_e32 v115, v115, v142
	v_fmac_f32_e32 v162, v120, v4
	buffer_load_dword v120, off, s[0:3], 0 offset:292
	v_fma_f32 v119, v119, v4, -v114
	v_add_f32_e32 v114, v2, v163
	ds_read2_b64 v[2:5], v1 offset0:83 offset1:84
	v_add_f32_e32 v115, v115, v143
	v_add_f32_e32 v114, v114, v139
	buffer_load_dword v139, off, s[0:3], 0 offset:308
	v_add_f32_e32 v114, v114, v141
	v_add_f32_e32 v141, v115, v144
	;; [unrolled: 1-line block ×3, first 2 shown]
	s_waitcnt vmcnt(15)
	v_mul_f32_e32 v138, v121, v136
	v_mul_f32_e32 v116, v122, v136
	buffer_load_dword v136, off, s[0:3], 0 offset:300
	s_waitcnt vmcnt(12)
	v_fmac_f32_e32 v138, v122, v149
	v_add_f32_e32 v122, v114, v164
	v_fma_f32 v121, v121, v149, -v116
	ds_read2_b64 v[114:117], v1 offset0:85 offset1:86
	v_add_f32_e32 v122, v122, v140
	s_clause 0x3
	buffer_load_dword v140, off, s[0:3], 0 offset:328
	buffer_load_dword v141, off, s[0:3], 0 offset:320
	;; [unrolled: 1-line block ×4, first 2 shown]
	s_waitcnt vmcnt(15) lgkmcnt(1)
	v_mul_f32_e32 v142, v2, v155
	v_mul_f32_e32 v143, v3, v155
	v_fmac_f32_e32 v142, v3, v147
	v_fma_f32 v143, v2, v147, -v143
	v_add_f32_e32 v2, v122, v146
	s_clause 0x1
	buffer_load_dword v146, off, s[0:3], 0 offset:316
	buffer_load_dword v147, off, s[0:3], 0 offset:324
	v_add_f32_e32 v3, v134, v135
	buffer_load_dword v134, off, s[0:3], 0 offset:332
	v_add_f32_e32 v2, v2, v148
	v_add_f32_e32 v3, v3, v151
	v_add_f32_e32 v135, v2, v150
	s_waitcnt vmcnt(17)
	v_mul_f32_e32 v122, v4, v132
	v_add_f32_e32 v154, v3, v154
	v_mul_f32_e32 v132, v5, v132
	v_add_f32_e32 v135, v135, v153
	s_waitcnt vmcnt(16) lgkmcnt(0)
	v_mul_f32_e32 v153, v114, v133
	v_add_f32_e32 v8, v154, v8
	v_mul_f32_e32 v133, v115, v133
	v_fmac_f32_e32 v122, v5, v145
	v_add_f32_e32 v135, v135, v152
	v_fma_f32 v132, v4, v145, -v132
	s_clause 0x3
	buffer_load_dword v145, off, s[0:3], 0 offset:340
	buffer_load_dword v148, off, s[0:3], 0 offset:348
	;; [unrolled: 1-line block ×4, first 2 shown]
	ds_read2_b64 v[2:5], v1 offset0:87 offset1:88
	v_add_f32_e32 v8, v8, v156
	s_waitcnt vmcnt(19)
	v_mul_f32_e32 v154, v116, v167
	v_mul_f32_e32 v152, v117, v167
	v_fma_f32 v133, v114, v137, -v133
	v_add_f32_e32 v114, v135, v165
	v_add_f32_e32 v8, v8, v130
	v_fmac_f32_e32 v153, v115, v137
	s_clause 0x3
	buffer_load_dword v135, off, s[0:3], 0 offset:372
	buffer_load_dword v137, off, s[0:3], 0 offset:380
	;; [unrolled: 1-line block ×4, first 2 shown]
	v_add_f32_e32 v114, v114, v157
	v_add_f32_e32 v8, v8, v131
	s_waitcnt vmcnt(19)
	v_fmac_f32_e32 v154, v117, v129
	v_fma_f32 v129, v116, v129, -v152
	s_clause 0x5
	buffer_load_dword v152, off, s[0:3], 0 offset:404
	buffer_load_dword v130, off, s[0:3], 0 offset:360
	;; [unrolled: 1-line block ×6, first 2 shown]
	v_add_f32_e32 v131, v114, v158
	v_add_f32_e32 v8, v8, v123
	ds_read2_b64 v[114:117], v1 offset0:89 offset1:90
	s_waitcnt vmcnt(24) lgkmcnt(1)
	v_mul_f32_e32 v158, v3, v168
	v_add_f32_e32 v123, v131, v159
	v_mul_f32_e32 v131, v2, v168
	v_add_f32_e32 v8, v8, v124
	v_fmac_f32_e32 v131, v3, v128
	v_fma_f32 v128, v2, v128, -v158
	v_add_f32_e32 v3, v8, v7
	s_clause 0x3
	buffer_load_dword v8, off, s[0:3], 0 offset:392
	buffer_load_dword v158, off, s[0:3], 0 offset:384
	;; [unrolled: 1-line block ×4, first 2 shown]
	v_add_f32_e32 v2, v123, v166
	s_clause 0x2
	buffer_load_dword v166, off, s[0:3], 0 offset:408
	buffer_load_dword v167, off, s[0:3], 0 offset:400
	;; [unrolled: 1-line block ×3, first 2 shown]
	v_add_f32_e32 v3, v3, v6
	s_waitcnt vmcnt(30)
	v_mul_f32_e32 v169, v4, v120
	v_add_f32_e32 v2, v2, v125
	v_add_f32_e32 v6, v3, v119
	v_mul_f32_e32 v3, v5, v120
	v_add_f32_e32 v2, v2, v118
	v_fmac_f32_e32 v169, v5, v127
	s_waitcnt vmcnt(29) lgkmcnt(0)
	v_mul_f32_e32 v124, v117, v139
	v_add_f32_e32 v6, v6, v121
	ds_read2_b64 v[118:121], v1 offset0:93 offset1:94
	v_add_f32_e32 v7, v2, v162
	v_fma_f32 v162, v4, v127, -v3
	ds_read2_b64 v[2:5], v1 offset0:91 offset1:92
	v_add_f32_e32 v6, v6, v143
	v_add_f32_e32 v7, v7, v138
	;; [unrolled: 1-line block ×9, first 2 shown]
	s_waitcnt vmcnt(28)
	v_mul_f32_e32 v138, v114, v136
	v_mul_f32_e32 v123, v115, v136
	;; [unrolled: 1-line block ×3, first 2 shown]
	v_fmac_f32_e32 v138, v115, v126
	v_fma_f32 v139, v114, v126, -v123
	s_waitcnt vmcnt(24)
	v_fma_f32 v132, v116, v149, -v124
	v_fmac_f32_e32 v136, v117, v149
	ds_read2_b64 v[114:117], v1 offset0:95 offset1:96
	ds_read2_b64 v[122:125], v1 offset0:97 offset1:98
	s_waitcnt vmcnt(23) lgkmcnt(2)
	v_mul_f32_e32 v133, v2, v146
	v_mul_f32_e32 v126, v3, v146
	s_waitcnt vmcnt(22)
	v_mul_f32_e32 v142, v4, v147
	v_mul_f32_e32 v143, v5, v147
	s_waitcnt vmcnt(21)
	v_mul_f32_e32 v146, v118, v134
	v_fmac_f32_e32 v133, v3, v144
	v_fma_f32 v144, v2, v144, -v126
	v_add_f32_e32 v2, v7, v154
	v_fmac_f32_e32 v142, v5, v141
	v_fma_f32 v141, v4, v141, -v143
	v_add_f32_e32 v143, v6, v162
	v_mul_f32_e32 v134, v119, v134
	v_add_f32_e32 v131, v2, v131
	v_fmac_f32_e32 v146, v119, v140
	ds_read2_b64 v[126:129], v1 offset0:99 offset1:100
	ds_read2_b64 v[2:5], v1 offset0:101 offset1:102
	v_add_f32_e32 v139, v143, v139
	v_add_f32_e32 v131, v131, v169
	v_fma_f32 v118, v118, v140, -v134
	s_waitcnt vmcnt(20)
	v_mul_f32_e32 v143, v121, v145
	v_mul_f32_e32 v147, v120, v145
	v_add_f32_e32 v132, v139, v132
	v_add_f32_e32 v131, v131, v138
	s_waitcnt vmcnt(19) lgkmcnt(3)
	v_mul_f32_e32 v138, v114, v148
	v_mul_f32_e32 v140, v115, v148
	s_waitcnt vmcnt(18)
	v_mul_f32_e32 v139, v116, v150
	v_add_f32_e32 v132, v132, v144
	v_add_f32_e32 v131, v131, v136
	s_waitcnt vmcnt(17) lgkmcnt(2)
	v_mul_f32_e32 v145, v122, v151
	s_waitcnt vmcnt(16)
	v_mul_f32_e32 v136, v124, v135
	ds_read_b64 v[6:7], v1 offset:824
	v_add_f32_e32 v132, v132, v141
	v_add_f32_e32 v131, v131, v133
	s_waitcnt vmcnt(15) lgkmcnt(2)
	v_mul_f32_e32 v144, v126, v137
	s_waitcnt vmcnt(11)
	v_fmac_f32_e32 v145, v123, v130
	v_add_f32_e32 v118, v132, v118
	v_add_f32_e32 v131, v131, v142
	s_waitcnt vmcnt(8)
	v_fma_f32 v120, v120, v163, -v143
	v_fmac_f32_e32 v147, v121, v163
	v_fmac_f32_e32 v138, v115, v160
	v_fma_f32 v114, v114, v160, -v140
	v_add_f32_e32 v121, v131, v146
	v_mul_f32_e32 v131, v117, v150
	v_add_f32_e32 v115, v118, v120
	v_mul_f32_e32 v120, v123, v151
	v_fmac_f32_e32 v139, v117, v157
	v_add_f32_e32 v118, v121, v147
	v_fma_f32 v116, v116, v157, -v131
	v_add_f32_e32 v114, v115, v114
	v_mul_f32_e32 v117, v125, v135
	v_mul_f32_e32 v119, v128, v155
	v_add_f32_e32 v115, v118, v138
	v_fma_f32 v118, v122, v130, -v120
	v_add_f32_e32 v114, v114, v116
	v_mul_f32_e32 v116, v127, v137
	s_waitcnt vmcnt(3)
	v_fma_f32 v117, v124, v165, -v117
	v_add_f32_e32 v115, v115, v139
	v_fmac_f32_e32 v136, v125, v165
	v_add_f32_e32 v114, v114, v118
	v_mul_f32_e32 v118, v129, v155
	v_fma_f32 v116, v126, v159, -v116
	v_add_f32_e32 v115, v115, v145
	v_fmac_f32_e32 v144, v127, v159
	v_add_f32_e32 v114, v114, v117
	s_waitcnt lgkmcnt(1)
	v_mul_f32_e32 v133, v2, v156
	v_mul_f32_e32 v117, v3, v156
	v_add_f32_e32 v115, v115, v136
	v_fma_f32 v118, v128, v158, -v118
	v_add_f32_e32 v114, v114, v116
	v_fmac_f32_e32 v119, v129, v158
	v_mul_f32_e32 v116, v5, v152
	v_add_f32_e32 v115, v115, v144
	v_fmac_f32_e32 v133, v3, v8
	v_fma_f32 v2, v2, v8, -v117
	v_add_f32_e32 v3, v114, v118
	v_mul_f32_e32 v134, v4, v152
	v_add_f32_e32 v8, v115, v119
	s_waitcnt lgkmcnt(0)
	v_mul_f32_e32 v114, v7, v164
	s_waitcnt vmcnt(1)
	v_fma_f32 v4, v4, v167, -v116
	v_add_f32_e32 v2, v3, v2
	v_mul_f32_e32 v141, v6, v164
	v_fmac_f32_e32 v134, v5, v167
	v_add_f32_e32 v3, v8, v133
	v_fma_f32 v5, v6, v166, -v114
	v_add_f32_e32 v2, v2, v4
	v_fmac_f32_e32 v141, v7, v166
	v_add_f32_e32 v3, v3, v134
	v_add_f32_e32 v2, v2, v5
	;; [unrolled: 1-line block ×3, first 2 shown]
	s_waitcnt vmcnt(0)
	v_sub_f32_e32 v2, v168, v2
	v_sub_f32_e32 v3, v161, v3
	buffer_store_dword v2, off, s[0:3], 0 offset:80
	buffer_store_dword v3, off, s[0:3], 0 offset:84
	v_cmpx_lt_u32_e32 9, v0
	s_cbranch_execz .LBB115_307
; %bb.306:
	s_clause 0x1
	buffer_load_dword v2, off, s[0:3], 0 offset:72
	buffer_load_dword v3, off, s[0:3], 0 offset:76
	buffer_store_dword v1, off, s[0:3], 0 offset:72
	buffer_store_dword v1, off, s[0:3], 0 offset:76
	s_waitcnt vmcnt(0)
	ds_write_b64 v113, v[2:3]
.LBB115_307:
	s_or_b32 exec_lo, exec_lo, s4
	s_waitcnt lgkmcnt(0)
	s_waitcnt_vscnt null, 0x0
	s_barrier
	buffer_gl0_inv
	s_clause 0x24
	buffer_load_dword v142, off, s[0:3], 0 offset:84
	buffer_load_dword v2, off, s[0:3], 0 offset:92
	;; [unrolled: 1-line block ×37, first 2 shown]
	ds_read_b128 v[126:129], v1 offset:496
	ds_read_b128 v[130:133], v1 offset:512
	;; [unrolled: 1-line block ×3, first 2 shown]
	s_clause 0x1
	buffer_load_dword v160, off, s[0:3], 0 offset:228
	buffer_load_dword v161, off, s[0:3], 0 offset:236
	ds_read_b128 v[138:141], v1 offset:544
	buffer_load_dword v163, off, s[0:3], 0 offset:76
	s_mov_b32 s4, exec_lo
	s_waitcnt vmcnt(39) lgkmcnt(3)
	v_mul_f32_e32 v162, v127, v142
	v_mul_f32_e32 v142, v126, v142
	s_waitcnt vmcnt(38)
	v_mul_f32_e32 v164, v128, v2
	v_mul_f32_e32 v2, v129, v2
	s_waitcnt vmcnt(35)
	v_fma_f32 v162, v126, v145, -v162
	v_fmac_f32_e32 v142, v127, v145
	v_fmac_f32_e32 v164, v129, v144
	v_fma_f32 v2, v128, v144, -v2
	s_waitcnt vmcnt(33) lgkmcnt(2)
	v_mul_f32_e32 v144, v132, v147
	v_mul_f32_e32 v127, v133, v147
	;; [unrolled: 1-line block ×4, first 2 shown]
	s_waitcnt vmcnt(32) lgkmcnt(1)
	v_mul_f32_e32 v146, v134, v148
	v_mul_f32_e32 v147, v135, v148
	s_waitcnt vmcnt(28)
	v_fmac_f32_e32 v144, v133, v151
	v_fma_f32 v148, v132, v151, -v127
	s_waitcnt vmcnt(27)
	v_mul_f32_e32 v151, v136, v152
	v_mul_f32_e32 v152, v137, v152
	v_fmac_f32_e32 v145, v131, v143
	v_fma_f32 v143, v130, v143, -v126
	ds_read_b128 v[126:129], v1 offset:560
	ds_read_b128 v[130:133], v1 offset:576
	v_fmac_f32_e32 v146, v135, v150
	v_fma_f32 v147, v134, v150, -v147
	s_waitcnt vmcnt(26) lgkmcnt(2)
	v_mul_f32_e32 v150, v138, v153
	v_mul_f32_e32 v134, v139, v153
	v_fmac_f32_e32 v151, v137, v149
	v_fma_f32 v149, v136, v149, -v152
	s_waitcnt vmcnt(25)
	v_mul_f32_e32 v152, v140, v154
	v_mul_f32_e32 v135, v141, v154
	s_clause 0x3
	buffer_load_dword v153, off, s[0:3], 0 offset:256
	buffer_load_dword v154, off, s[0:3], 0 offset:248
	;; [unrolled: 1-line block ×4, first 2 shown]
	v_fmac_f32_e32 v150, v139, v116
	v_fma_f32 v138, v138, v116, -v134
	s_waitcnt vmcnt(25)
	v_fmac_f32_e32 v152, v141, v155
	v_fma_f32 v139, v140, v155, -v135
	ds_read_b128 v[134:137], v1 offset:592
	s_clause 0x1
	buffer_load_dword v167, off, s[0:3], 0 offset:244
	buffer_load_dword v168, off, s[0:3], 0 offset:252
	s_waitcnt vmcnt(26) lgkmcnt(2)
	v_mul_f32_e32 v140, v126, v156
	v_mul_f32_e32 v116, v127, v156
	s_waitcnt vmcnt(25)
	v_mul_f32_e32 v141, v128, v157
	v_mul_f32_e32 v155, v129, v157
	s_waitcnt vmcnt(24) lgkmcnt(1)
	v_mul_f32_e32 v157, v130, v158
	v_fmac_f32_e32 v140, v127, v123
	v_fma_f32 v156, v126, v123, -v116
	v_fmac_f32_e32 v141, v129, v117
	v_fma_f32 v155, v128, v117, -v155
	ds_read_b128 v[126:129], v1 offset:608
	v_mul_f32_e32 v116, v131, v158
	s_waitcnt vmcnt(23)
	v_mul_f32_e32 v117, v133, v122
	v_mul_f32_e32 v158, v132, v122
	v_fmac_f32_e32 v157, v131, v6
	v_fma_f32 v6, v130, v6, -v116
	s_waitcnt vmcnt(19)
	v_fma_f32 v130, v132, v159, -v117
	s_waitcnt vmcnt(18) lgkmcnt(1)
	v_mul_f32_e32 v131, v134, v125
	v_mul_f32_e32 v116, v135, v125
	s_waitcnt vmcnt(17)
	v_mul_f32_e32 v132, v136, v124
	v_mul_f32_e32 v117, v137, v124
	ds_read_b128 v[122:125], v1 offset:624
	v_fmac_f32_e32 v158, v133, v159
	v_fmac_f32_e32 v131, v135, v118
	buffer_load_dword v133, off, s[0:3], 0 offset:260
	v_fma_f32 v118, v134, v118, -v116
	v_fmac_f32_e32 v132, v137, v8
	v_fma_f32 v8, v136, v8, -v117
	s_waitcnt vmcnt(16) lgkmcnt(1)
	v_mul_f32_e32 v135, v128, v114
	v_mul_f32_e32 v114, v129, v114
	v_mul_f32_e32 v134, v126, v115
	v_mul_f32_e32 v115, v127, v115
	s_waitcnt vmcnt(12)
	v_fmac_f32_e32 v135, v129, v121
	v_fma_f32 v121, v128, v121, -v114
	buffer_load_dword v128, off, s[0:3], 0 offset:268
	v_fmac_f32_e32 v134, v127, v4
	v_fma_f32 v126, v126, v4, -v115
	ds_read_b128 v[114:117], v1 offset:640
	s_waitcnt vmcnt(12) lgkmcnt(1)
	v_mul_f32_e32 v127, v122, v120
	v_mul_f32_e32 v4, v123, v120
	s_waitcnt vmcnt(11)
	v_mul_f32_e32 v120, v124, v119
	v_mul_f32_e32 v119, v125, v119
	v_fmac_f32_e32 v127, v123, v7
	v_fma_f32 v7, v122, v7, -v4
	v_fmac_f32_e32 v120, v125, v5
	v_fma_f32 v119, v124, v5, -v119
	s_clause 0x4
	buffer_load_dword v122, off, s[0:3], 0 offset:288
	buffer_load_dword v123, off, s[0:3], 0 offset:280
	;; [unrolled: 1-line block ×5, first 2 shown]
	v_add_f32_e32 v4, 0, v162
	v_add_f32_e32 v5, 0, v142
	s_clause 0x1
	buffer_load_dword v136, off, s[0:3], 0 offset:284
	buffer_load_dword v137, off, s[0:3], 0 offset:292
	v_add_f32_e32 v2, v4, v2
	v_add_f32_e32 v4, v5, v164
	s_waitcnt vmcnt(17) lgkmcnt(0)
	v_mul_f32_e32 v142, v114, v160
	v_mul_f32_e32 v5, v115, v160
	v_add_f32_e32 v2, v2, v143
	v_add_f32_e32 v4, v4, v145
	s_waitcnt vmcnt(16)
	v_mul_f32_e32 v145, v117, v161
	v_fmac_f32_e32 v142, v115, v3
	v_fma_f32 v159, v114, v3, -v5
	v_add_f32_e32 v114, v2, v148
	v_add_f32_e32 v115, v4, v144
	ds_read_b128 v[2:5], v1 offset:656
	v_mul_f32_e32 v143, v116, v161
	v_add_f32_e32 v114, v114, v147
	v_add_f32_e32 v115, v115, v146
	;; [unrolled: 1-line block ×10, first 2 shown]
	s_waitcnt vmcnt(11)
	v_fma_f32 v144, v116, v166, -v145
	s_clause 0x7
	buffer_load_dword v145, off, s[0:3], 0 offset:300
	buffer_load_dword v146, off, s[0:3], 0 offset:320
	;; [unrolled: 1-line block ×8, first 2 shown]
	v_fmac_f32_e32 v143, v117, v166
	ds_read_b128 v[114:117], v1 offset:672
	s_waitcnt vmcnt(18) lgkmcnt(1)
	v_mul_f32_e32 v152, v2, v167
	v_mul_f32_e32 v161, v3, v167
	s_waitcnt vmcnt(17)
	v_mul_f32_e32 v151, v4, v168
	v_mul_f32_e32 v156, v5, v168
	v_fmac_f32_e32 v152, v3, v165
	v_add_f32_e32 v3, v139, v155
	v_add_f32_e32 v139, v140, v141
	v_fma_f32 v140, v2, v165, -v161
	v_fmac_f32_e32 v151, v5, v154
	v_fma_f32 v141, v4, v154, -v156
	v_add_f32_e32 v2, v3, v6
	v_add_f32_e32 v3, v139, v157
	s_clause 0x7
	buffer_load_dword v6, off, s[0:3], 0 offset:332
	buffer_load_dword v139, off, s[0:3], 0 offset:340
	;; [unrolled: 1-line block ×8, first 2 shown]
	v_add_f32_e32 v2, v2, v130
	v_add_f32_e32 v3, v3, v158
	s_clause 0x3
	buffer_load_dword v158, off, s[0:3], 0 offset:364
	buffer_load_dword v165, off, s[0:3], 0 offset:372
	;; [unrolled: 1-line block ×4, first 2 shown]
	v_add_f32_e32 v2, v2, v118
	v_add_f32_e32 v8, v2, v8
	s_waitcnt vmcnt(28) lgkmcnt(0)
	v_mul_f32_e32 v4, v115, v133
	v_mul_f32_e32 v164, v114, v133
	v_add_f32_e32 v8, v8, v126
	v_fma_f32 v130, v114, v153, -v4
	v_add_f32_e32 v114, v3, v131
	v_fmac_f32_e32 v164, v115, v153
	s_clause 0x2
	buffer_load_dword v153, off, s[0:3], 0 offset:396
	buffer_load_dword v168, off, s[0:3], 0 offset:404
	buffer_load_dword v169, off, s[0:3], 0 offset:412
	v_add_f32_e32 v8, v8, v121
	v_add_f32_e32 v114, v114, v132
	s_waitcnt vmcnt(30)
	v_mul_f32_e32 v3, v117, v128
	v_mul_f32_e32 v131, v116, v128
	v_add_f32_e32 v7, v8, v7
	v_add_f32_e32 v114, v114, v134
	;; [unrolled: 1-line block ×4, first 2 shown]
	s_waitcnt vmcnt(26)
	v_fma_f32 v128, v116, v125, -v3
	ds_read_b128 v[2:5], v1 offset:688
	s_clause 0x3
	buffer_load_dword v134, off, s[0:3], 0 offset:384
	buffer_load_dword v170, off, s[0:3], 0 offset:376
	;; [unrolled: 1-line block ×4, first 2 shown]
	v_add_f32_e32 v8, v114, v127
	v_fmac_f32_e32 v131, v117, v125
	ds_read_b128 v[114:117], v1 offset:704
	s_waitcnt vmcnt(29) lgkmcnt(1)
	v_mul_f32_e32 v126, v2, v129
	v_mul_f32_e32 v118, v3, v129
	s_waitcnt vmcnt(28)
	v_mul_f32_e32 v132, v4, v136
	s_waitcnt vmcnt(27) lgkmcnt(0)
	v_mul_f32_e32 v125, v115, v137
	v_fmac_f32_e32 v126, v3, v124
	v_fma_f32 v127, v2, v124, -v118
	v_add_f32_e32 v2, v8, v120
	v_add_f32_e32 v3, v7, v159
	s_clause 0x2
	buffer_load_dword v7, off, s[0:3], 0 offset:408
	buffer_load_dword v8, off, s[0:3], 0 offset:400
	buffer_load_dword v135, off, s[0:3], 0 offset:392
	v_mul_f32_e32 v118, v5, v136
	v_fmac_f32_e32 v132, v5, v123
	v_add_f32_e32 v2, v2, v142
	buffer_load_dword v142, off, s[0:3], 0 offset:72
	v_add_f32_e32 v3, v3, v144
	v_fma_f32 v129, v4, v123, -v118
	v_mul_f32_e32 v136, v114, v137
	v_add_f32_e32 v119, v2, v143
	v_add_f32_e32 v123, v3, v140
	ds_read_b128 v[2:5], v1 offset:720
	v_fma_f32 v140, v114, v122, -v125
	v_add_f32_e32 v124, v119, v152
	ds_read_b128 v[118:121], v1 offset:736
	v_add_f32_e32 v123, v123, v141
	v_fmac_f32_e32 v136, v115, v122
	v_add_f32_e32 v124, v124, v151
	v_add_f32_e32 v130, v123, v130
	;; [unrolled: 1-line block ×4, first 2 shown]
	s_waitcnt vmcnt(30)
	v_mul_f32_e32 v133, v117, v145
	v_mul_f32_e32 v137, v116, v145
	s_waitcnt vmcnt(25) lgkmcnt(1)
	v_mul_f32_e32 v143, v2, v138
	v_mul_f32_e32 v130, v3, v138
	v_fma_f32 v141, v116, v160, -v133
	v_add_f32_e32 v133, v124, v164
	s_waitcnt vmcnt(23) lgkmcnt(0)
	v_mul_f32_e32 v144, v118, v150
	v_fmac_f32_e32 v143, v3, v148
	v_fma_f32 v148, v2, v148, -v130
	v_mul_f32_e32 v138, v4, v149
	v_add_f32_e32 v131, v133, v131
	v_mul_f32_e32 v133, v5, v149
	v_mul_f32_e32 v145, v119, v150
	v_fmac_f32_e32 v144, v119, v146
	v_fmac_f32_e32 v137, v117, v160
	v_add_f32_e32 v130, v131, v126
	v_add_f32_e32 v131, v127, v129
	ds_read_b128 v[114:117], v1 offset:752
	ds_read_b128 v[122:125], v1 offset:768
	v_fmac_f32_e32 v138, v5, v147
	v_fma_f32 v147, v4, v147, -v133
	v_add_f32_e32 v149, v130, v132
	v_add_f32_e32 v119, v131, v140
	ds_read_b128 v[2:5], v1 offset:784
	ds_read_b128 v[126:129], v1 offset:800
	;; [unrolled: 1-line block ×3, first 2 shown]
	v_fma_f32 v118, v118, v146, -v145
	v_add_f32_e32 v1, v149, v136
	v_add_f32_e32 v119, v119, v141
	s_waitcnt vmcnt(22)
	v_mul_f32_e32 v136, v120, v6
	v_mul_f32_e32 v6, v121, v6
	v_add_f32_e32 v1, v1, v137
	v_add_f32_e32 v119, v119, v148
	s_waitcnt vmcnt(15)
	v_fmac_f32_e32 v136, v121, v162
	v_fma_f32 v6, v120, v162, -v6
	v_add_f32_e32 v1, v1, v143
	v_add_f32_e32 v119, v119, v147
	s_waitcnt lgkmcnt(4)
	v_mul_f32_e32 v140, v114, v139
	v_mul_f32_e32 v139, v115, v139
	;; [unrolled: 1-line block ×3, first 2 shown]
	v_add_f32_e32 v1, v1, v138
	v_add_f32_e32 v118, v119, v118
	v_mul_f32_e32 v138, v117, v154
	v_fma_f32 v114, v114, v161, -v139
	v_fmac_f32_e32 v140, v115, v161
	v_add_f32_e32 v1, v1, v144
	v_add_f32_e32 v6, v118, v6
	s_waitcnt lgkmcnt(3)
	v_mul_f32_e32 v115, v123, v155
	v_fma_f32 v116, v116, v157, -v138
	v_mul_f32_e32 v120, v122, v155
	v_add_f32_e32 v1, v1, v136
	v_add_f32_e32 v6, v6, v114
	v_fmac_f32_e32 v137, v117, v157
	s_waitcnt vmcnt(14)
	v_mul_f32_e32 v114, v125, v158
	v_fma_f32 v115, v122, v156, -v115
	v_add_f32_e32 v1, v1, v140
	v_add_f32_e32 v6, v6, v116
	v_mul_f32_e32 v121, v124, v158
	v_fmac_f32_e32 v120, v123, v156
	s_waitcnt vmcnt(13) lgkmcnt(2)
	v_mul_f32_e32 v141, v2, v165
	v_add_f32_e32 v1, v1, v137
	v_mul_f32_e32 v116, v3, v165
	v_add_f32_e32 v6, v6, v115
	s_waitcnt vmcnt(4)
	v_fma_f32 v114, v124, v172, -v114
	v_fmac_f32_e32 v121, v125, v172
	v_add_f32_e32 v1, v1, v120
	v_mul_f32_e32 v115, v5, v166
	v_fmac_f32_e32 v141, v3, v171
	v_fma_f32 v2, v2, v171, -v116
	v_add_f32_e32 v3, v6, v114
	v_mul_f32_e32 v143, v4, v166
	v_add_f32_e32 v1, v1, v121
	s_waitcnt lgkmcnt(1)
	v_mul_f32_e32 v6, v127, v167
	v_fma_f32 v4, v4, v170, -v115
	v_add_f32_e32 v2, v3, v2
	v_mul_f32_e32 v145, v126, v167
	v_fmac_f32_e32 v143, v5, v170
	v_add_f32_e32 v1, v1, v141
	v_mul_f32_e32 v3, v129, v153
	v_fma_f32 v5, v126, v134, -v6
	v_add_f32_e32 v2, v2, v4
	v_mul_f32_e32 v146, v128, v153
	v_fmac_f32_e32 v145, v127, v134
	v_add_f32_e32 v1, v1, v143
	s_waitcnt lgkmcnt(0)
	v_mul_f32_e32 v4, v131, v168
	v_add_f32_e32 v2, v2, v5
	v_mul_f32_e32 v147, v130, v168
	v_mul_f32_e32 v5, v133, v169
	v_add_f32_e32 v1, v1, v145
	v_mul_f32_e32 v119, v132, v169
	s_waitcnt vmcnt(2)
	v_fma_f32 v4, v130, v8, -v4
	s_waitcnt vmcnt(1)
	v_fma_f32 v3, v128, v135, -v3
	v_fmac_f32_e32 v146, v129, v135
	v_fmac_f32_e32 v147, v131, v8
	;; [unrolled: 1-line block ×3, first 2 shown]
	v_add_f32_e32 v2, v2, v3
	v_add_f32_e32 v1, v1, v146
	v_fma_f32 v3, v132, v7, -v5
	v_add_f32_e32 v2, v2, v4
	v_add_f32_e32 v1, v1, v147
	;; [unrolled: 1-line block ×4, first 2 shown]
	s_waitcnt vmcnt(0)
	v_sub_f32_e32 v2, v142, v2
	v_sub_f32_e32 v1, v163, v1
	buffer_store_dword v2, off, s[0:3], 0 offset:72
	buffer_store_dword v1, off, s[0:3], 0 offset:76
	v_cmpx_lt_u32_e32 8, v0
	s_cbranch_execz .LBB115_309
; %bb.308:
	s_clause 0x1
	buffer_load_dword v1, off, s[0:3], 0 offset:64
	buffer_load_dword v2, off, s[0:3], 0 offset:68
	v_mov_b32_e32 v3, 0
	buffer_store_dword v3, off, s[0:3], 0 offset:64
	buffer_store_dword v3, off, s[0:3], 0 offset:68
	s_waitcnt vmcnt(0)
	ds_write_b64 v113, v[1:2]
.LBB115_309:
	s_or_b32 exec_lo, exec_lo, s4
	s_waitcnt lgkmcnt(0)
	s_waitcnt_vscnt null, 0x0
	s_barrier
	buffer_gl0_inv
	s_clause 0x2c
	buffer_load_dword v152, off, s[0:3], 0 offset:76
	buffer_load_dword v153, off, s[0:3], 0 offset:84
	;; [unrolled: 1-line block ×45, first 2 shown]
	v_mov_b32_e32 v1, 0
	ds_read2_b64 v[144:147], v1 offset0:61 offset1:62
	ds_read2_b64 v[148:151], v1 offset0:63 offset1:64
	buffer_load_dword v162, off, s[0:3], 0 offset:68
	s_mov_b32 s4, exec_lo
	s_waitcnt vmcnt(45) lgkmcnt(1)
	v_mul_f32_e32 v160, v145, v152
	v_mul_f32_e32 v152, v144, v152
	s_waitcnt vmcnt(44)
	v_mul_f32_e32 v161, v146, v153
	v_mul_f32_e32 v153, v147, v153
	s_waitcnt vmcnt(41)
	v_fma_f32 v160, v144, v141, -v160
	v_fmac_f32_e32 v152, v145, v141
	v_fmac_f32_e32 v161, v147, v137
	v_fma_f32 v153, v146, v137, -v153
	ds_read2_b64 v[144:147], v1 offset0:65 offset1:66
	s_waitcnt vmcnt(40) lgkmcnt(1)
	v_mul_f32_e32 v163, v148, v136
	v_mul_f32_e32 v136, v149, v136
	s_waitcnt vmcnt(39)
	v_mul_f32_e32 v164, v150, v134
	v_mul_f32_e32 v134, v151, v134
	v_fmac_f32_e32 v163, v149, v123
	v_fma_f32 v123, v148, v123, -v136
	s_waitcnt vmcnt(35)
	v_fmac_f32_e32 v164, v151, v142
	v_fma_f32 v165, v150, v142, -v134
	ds_read2_b64 v[148:151], v1 offset0:67 offset1:68
	s_waitcnt vmcnt(34) lgkmcnt(1)
	v_mul_f32_e32 v166, v144, v140
	v_mul_f32_e32 v134, v145, v140
	s_waitcnt vmcnt(33)
	v_mul_f32_e32 v167, v146, v139
	v_mul_f32_e32 v136, v147, v139
	ds_read2_b64 v[139:142], v1 offset0:69 offset1:70
	v_fmac_f32_e32 v166, v145, v131
	v_fma_f32 v131, v144, v131, -v134
	v_fmac_f32_e32 v167, v147, v126
	v_fma_f32 v168, v146, v126, -v136
	ds_read2_b64 v[144:147], v1 offset0:71 offset1:72
	s_waitcnt vmcnt(32) lgkmcnt(2)
	v_mul_f32_e32 v169, v148, v130
	v_mul_f32_e32 v126, v149, v130
	s_waitcnt vmcnt(31)
	v_mul_f32_e32 v130, v150, v128
	v_mul_f32_e32 v128, v151, v128
	v_fmac_f32_e32 v169, v149, v8
	v_fma_f32 v8, v148, v8, -v126
	s_waitcnt vmcnt(27)
	v_fmac_f32_e32 v130, v151, v138
	v_fma_f32 v148, v150, v138, -v128
	s_waitcnt vmcnt(26) lgkmcnt(1)
	v_mul_f32_e32 v149, v139, v135
	v_mul_f32_e32 v126, v140, v135
	s_waitcnt vmcnt(25)
	v_mul_f32_e32 v150, v141, v133
	v_mul_f32_e32 v128, v142, v133
	ds_read2_b64 v[133:136], v1 offset0:73 offset1:74
	v_fmac_f32_e32 v149, v140, v124
	v_fma_f32 v124, v139, v124, -v126
	ds_read2_b64 v[137:140], v1 offset0:75 offset1:76
	v_fmac_f32_e32 v150, v142, v118
	v_fma_f32 v141, v141, v118, -v128
	s_waitcnt vmcnt(24) lgkmcnt(2)
	v_mul_f32_e32 v142, v144, v122
	v_mul_f32_e32 v118, v145, v122
	s_waitcnt vmcnt(23)
	v_mul_f32_e32 v122, v146, v120
	v_mul_f32_e32 v120, v147, v120
	v_fmac_f32_e32 v142, v145, v4
	v_fma_f32 v144, v144, v4, -v118
	s_waitcnt vmcnt(19)
	v_fmac_f32_e32 v122, v147, v132
	v_fma_f32 v132, v146, v132, -v120
	s_waitcnt vmcnt(18) lgkmcnt(1)
	v_mul_f32_e32 v145, v133, v129
	v_mul_f32_e32 v4, v134, v129
	s_waitcnt vmcnt(17)
	v_mul_f32_e32 v146, v135, v127
	v_mul_f32_e32 v118, v136, v127
	ds_read2_b64 v[126:129], v1 offset0:77 offset1:78
	v_fmac_f32_e32 v145, v134, v117
	v_fma_f32 v133, v133, v117, -v4
	v_fmac_f32_e32 v146, v136, v114
	v_fma_f32 v134, v135, v114, -v118
	s_waitcnt vmcnt(15) lgkmcnt(1)
	v_mul_f32_e32 v136, v139, v115
	v_mul_f32_e32 v114, v140, v115
	;; [unrolled: 1-line block ×4, first 2 shown]
	s_waitcnt vmcnt(11)
	v_fmac_f32_e32 v136, v140, v125
	v_fma_f32 v125, v139, v125, -v114
	ds_read2_b64 v[114:117], v1 offset0:79 offset1:80
	v_fmac_f32_e32 v135, v138, v3
	v_fma_f32 v137, v137, v3, -v4
	s_waitcnt vmcnt(10) lgkmcnt(1)
	v_mul_f32_e32 v138, v126, v121
	v_mul_f32_e32 v3, v127, v121
	s_waitcnt vmcnt(9)
	v_mul_f32_e32 v139, v128, v119
	v_mul_f32_e32 v4, v129, v119
	ds_read2_b64 v[118:121], v1 offset0:81 offset1:82
	v_fmac_f32_e32 v138, v127, v7
	v_fma_f32 v7, v126, v7, -v3
	v_fmac_f32_e32 v139, v129, v5
	v_fma_f32 v126, v128, v5, -v4
	buffer_load_dword v128, off, s[0:3], 0 offset:252
	s_waitcnt vmcnt(8) lgkmcnt(1)
	v_mul_f32_e32 v4, v117, v143
	v_mul_f32_e32 v127, v114, v6
	;; [unrolled: 1-line block ×4, first 2 shown]
	s_waitcnt vmcnt(4)
	v_fma_f32 v140, v116, v157, -v4
	buffer_load_dword v116, off, s[0:3], 0 offset:260
	v_fmac_f32_e32 v127, v115, v2
	v_fma_f32 v129, v114, v2, -v3
	ds_read2_b64 v[2:5], v1 offset0:83 offset1:84
	v_fmac_f32_e32 v6, v117, v157
	s_waitcnt vmcnt(4) lgkmcnt(1)
	v_mul_f32_e32 v143, v118, v158
	v_mul_f32_e32 v114, v119, v158
	s_waitcnt vmcnt(3)
	v_mul_f32_e32 v147, v120, v159
	v_mul_f32_e32 v115, v121, v159
	v_fmac_f32_e32 v143, v119, v156
	v_fma_f32 v118, v118, v156, -v114
	v_fmac_f32_e32 v147, v121, v155
	v_fma_f32 v119, v120, v155, -v115
	s_clause 0x4
	buffer_load_dword v120, off, s[0:3], 0 offset:280
	buffer_load_dword v121, off, s[0:3], 0 offset:272
	;; [unrolled: 1-line block ×5, first 2 shown]
	s_waitcnt vmcnt(6) lgkmcnt(0)
	v_mul_f32_e32 v156, v2, v128
	v_mul_f32_e32 v115, v3, v128
	v_fmac_f32_e32 v156, v3, v154
	v_fma_f32 v128, v2, v154, -v115
	s_waitcnt vmcnt(5)
	v_mul_f32_e32 v154, v4, v116
	v_mul_f32_e32 v2, v5, v116
	s_waitcnt vmcnt(1)
	v_fmac_f32_e32 v154, v5, v114
	v_fma_f32 v157, v4, v114, -v2
	ds_read2_b64 v[2:5], v1 offset0:85 offset1:86
	ds_read2_b64 v[114:117], v1 offset0:87 offset1:88
	s_waitcnt vmcnt(0) lgkmcnt(1)
	v_mul_f32_e32 v158, v2, v155
	v_mul_f32_e32 v155, v3, v155
	v_fmac_f32_e32 v158, v3, v151
	v_fma_f32 v151, v2, v151, -v155
	buffer_load_dword v2, off, s[0:3], 0 offset:276
	s_waitcnt vmcnt(0)
	v_mul_f32_e32 v155, v4, v2
	v_mul_f32_e32 v2, v5, v2
	v_fmac_f32_e32 v155, v5, v121
	v_fma_f32 v159, v4, v121, -v2
	buffer_load_dword v2, off, s[0:3], 0 offset:284
	s_waitcnt vmcnt(0) lgkmcnt(0)
	v_mul_f32_e32 v170, v114, v2
	v_mul_f32_e32 v2, v115, v2
	v_fmac_f32_e32 v170, v115, v120
	v_fma_f32 v171, v114, v120, -v2
	s_clause 0x4
	buffer_load_dword v2, off, s[0:3], 0 offset:292
	buffer_load_dword v172, off, s[0:3], 0 offset:312
	;; [unrolled: 1-line block ×5, first 2 shown]
	s_waitcnt vmcnt(4)
	v_mul_f32_e32 v173, v116, v2
	v_mul_f32_e32 v2, v117, v2
	s_waitcnt vmcnt(0)
	v_fmac_f32_e32 v173, v117, v3
	v_fma_f32 v174, v116, v3, -v2
	v_add_f32_e32 v2, 0, v160
	v_add_f32_e32 v3, 0, v152
	buffer_load_dword v152, off, s[0:3], 0 offset:308
	v_add_f32_e32 v2, v2, v153
	v_add_f32_e32 v3, v3, v161
	buffer_load_dword v153, off, s[0:3], 0 offset:324
	v_add_f32_e32 v2, v2, v123
	buffer_load_dword v123, off, s[0:3], 0 offset:300
	v_add_f32_e32 v3, v3, v163
	v_add_f32_e32 v2, v2, v165
	;; [unrolled: 1-line block ×4, first 2 shown]
	buffer_load_dword v131, off, s[0:3], 0 offset:316
	v_add_f32_e32 v3, v3, v166
	v_add_f32_e32 v2, v2, v168
	;; [unrolled: 1-line block ×4, first 2 shown]
	s_clause 0x3
	buffer_load_dword v8, off, s[0:3], 0 offset:344
	buffer_load_dword v160, off, s[0:3], 0 offset:336
	;; [unrolled: 1-line block ×4, first 2 shown]
	v_add_f32_e32 v3, v3, v169
	v_add_f32_e32 v2, v2, v148
	s_clause 0x1
	buffer_load_dword v148, off, s[0:3], 0 offset:332
	buffer_load_dword v164, off, s[0:3], 0 offset:340
	v_add_f32_e32 v3, v3, v130
	buffer_load_dword v130, off, s[0:3], 0 offset:348
	v_add_f32_e32 v2, v2, v124
	v_add_f32_e32 v3, v3, v149
	;; [unrolled: 1-line block ×3, first 2 shown]
	s_clause 0x3
	buffer_load_dword v141, off, s[0:3], 0 offset:356
	buffer_load_dword v149, off, s[0:3], 0 offset:364
	;; [unrolled: 1-line block ×4, first 2 shown]
	v_add_f32_e32 v3, v3, v150
	v_add_f32_e32 v2, v2, v144
	s_clause 0x1
	buffer_load_dword v144, off, s[0:3], 0 offset:388
	buffer_load_dword v150, off, s[0:3], 0 offset:396
	v_add_f32_e32 v3, v3, v142
	v_add_f32_e32 v2, v2, v132
	s_clause 0x1
	buffer_load_dword v132, off, s[0:3], 0 offset:404
	buffer_load_dword v142, off, s[0:3], 0 offset:412
	v_add_f32_e32 v3, v3, v122
	v_add_f32_e32 v2, v2, v133
	;; [unrolled: 1-line block ×4, first 2 shown]
	s_clause 0x3
	buffer_load_dword v133, off, s[0:3], 0 offset:376
	buffer_load_dword v134, off, s[0:3], 0 offset:368
	buffer_load_dword v145, off, s[0:3], 0 offset:360
	buffer_load_dword v167, off, s[0:3], 0 offset:352
	v_add_f32_e32 v3, v3, v146
	v_add_f32_e32 v2, v2, v137
	;; [unrolled: 1-line block ×3, first 2 shown]
	s_clause 0x3
	buffer_load_dword v135, off, s[0:3], 0 offset:408
	buffer_load_dword v137, off, s[0:3], 0 offset:400
	buffer_load_dword v146, off, s[0:3], 0 offset:392
	buffer_load_dword v168, off, s[0:3], 0 offset:384
	v_add_f32_e32 v2, v2, v125
	v_add_f32_e32 v3, v3, v136
	buffer_load_dword v136, off, s[0:3], 0 offset:64
	v_add_f32_e32 v2, v2, v7
	v_add_f32_e32 v3, v3, v138
	;; [unrolled: 1-line block ×4, first 2 shown]
	ds_read2_b64 v[2:5], v1 offset0:89 offset1:90
	v_add_f32_e32 v7, v7, v129
	v_add_f32_e32 v114, v114, v127
	;; [unrolled: 1-line block ×4, first 2 shown]
	ds_read2_b64 v[114:117], v1 offset0:91 offset1:92
	v_add_f32_e32 v7, v7, v118
	v_add_f32_e32 v6, v6, v143
	;; [unrolled: 1-line block ×8, first 2 shown]
	s_waitcnt vmcnt(27) lgkmcnt(1)
	v_mul_f32_e32 v139, v4, v152
	v_mul_f32_e32 v119, v5, v152
	v_fmac_f32_e32 v139, v5, v120
	v_fma_f32 v143, v4, v120, -v119
	s_waitcnt vmcnt(25)
	v_mul_f32_e32 v138, v2, v123
	v_mul_f32_e32 v118, v3, v123
	v_fmac_f32_e32 v138, v3, v121
	v_add_f32_e32 v3, v7, v128
	v_fma_f32 v140, v2, v121, -v118
	s_waitcnt vmcnt(24) lgkmcnt(0)
	v_mul_f32_e32 v147, v114, v131
	v_add_f32_e32 v7, v3, v157
	ds_read2_b64 v[2:5], v1 offset0:93 offset1:94
	ds_read2_b64 v[118:121], v1 offset0:95 offset1:96
	v_mul_f32_e32 v126, v115, v131
	v_mul_f32_e32 v131, v116, v153
	v_fmac_f32_e32 v147, v115, v172
	v_add_f32_e32 v7, v7, v151
	v_mul_f32_e32 v151, v117, v153
	v_add_f32_e32 v153, v6, v170
	v_fma_f32 v152, v114, v172, -v126
	ds_read2_b64 v[122:125], v1 offset0:97 offset1:98
	ds_read2_b64 v[126:129], v1 offset0:99 offset1:100
	v_add_f32_e32 v7, v7, v159
	v_add_f32_e32 v153, v153, v173
	s_waitcnt vmcnt(20)
	v_fma_f32 v151, v116, v163, -v151
	v_fmac_f32_e32 v131, v117, v163
	v_add_f32_e32 v7, v7, v171
	v_add_f32_e32 v138, v153, v138
	s_waitcnt vmcnt(19) lgkmcnt(3)
	v_mul_f32_e32 v155, v2, v148
	v_add_f32_e32 v154, v7, v174
	v_add_f32_e32 v138, v138, v139
	v_mul_f32_e32 v148, v3, v148
	s_waitcnt vmcnt(18)
	v_mul_f32_e32 v156, v4, v164
	v_fmac_f32_e32 v155, v3, v161
	v_add_f32_e32 v140, v154, v140
	v_add_f32_e32 v138, v138, v147
	v_mul_f32_e32 v154, v5, v164
	v_fma_f32 v2, v2, v161, -v148
	s_waitcnt vmcnt(17) lgkmcnt(2)
	v_mul_f32_e32 v153, v118, v130
	v_add_f32_e32 v140, v140, v143
	v_add_f32_e32 v131, v138, v131
	v_mul_f32_e32 v130, v119, v130
	v_fma_f32 v4, v4, v160, -v154
	v_fmac_f32_e32 v156, v5, v160
	v_add_f32_e32 v140, v140, v152
	v_add_f32_e32 v5, v131, v155
	s_waitcnt vmcnt(16)
	v_mul_f32_e32 v131, v121, v141
	v_fmac_f32_e32 v153, v119, v8
	v_fma_f32 v8, v118, v8, -v130
	v_add_f32_e32 v140, v140, v151
	v_mul_f32_e32 v143, v120, v141
	ds_read2_b64 v[114:117], v1 offset0:101 offset1:102
	ds_read_b64 v[6:7], v1 offset:824
	s_waitcnt vmcnt(5)
	v_fma_f32 v118, v120, v167, -v131
	s_waitcnt lgkmcnt(3)
	v_mul_f32_e32 v157, v122, v149
	v_add_f32_e32 v2, v140, v2
	v_fmac_f32_e32 v143, v121, v167
	v_mul_f32_e32 v139, v124, v165
	s_waitcnt lgkmcnt(2)
	v_mul_f32_e32 v152, v126, v166
	v_fmac_f32_e32 v157, v123, v145
	v_add_f32_e32 v2, v2, v4
	v_add_f32_e32 v4, v5, v156
	v_mul_f32_e32 v5, v123, v149
	v_fmac_f32_e32 v139, v125, v134
	v_mul_f32_e32 v3, v128, v144
	v_add_f32_e32 v2, v2, v8
	v_add_f32_e32 v4, v4, v153
	v_mul_f32_e32 v8, v125, v165
	v_fma_f32 v5, v122, v145, -v5
	v_fmac_f32_e32 v152, v127, v133
	v_add_f32_e32 v2, v2, v118
	v_add_f32_e32 v4, v4, v143
	v_mul_f32_e32 v118, v127, v166
	v_fma_f32 v8, v124, v134, -v8
	s_waitcnt lgkmcnt(1)
	v_mul_f32_e32 v147, v114, v150
	v_add_f32_e32 v2, v2, v5
	v_add_f32_e32 v4, v4, v157
	v_mul_f32_e32 v5, v129, v144
	v_fma_f32 v118, v126, v133, -v118
	s_waitcnt vmcnt(1)
	v_fmac_f32_e32 v3, v129, v168
	v_add_f32_e32 v2, v2, v8
	v_add_f32_e32 v4, v4, v139
	v_mul_f32_e32 v8, v115, v150
	v_fma_f32 v5, v128, v168, -v5
	v_mul_f32_e32 v148, v116, v132
	v_add_f32_e32 v2, v2, v118
	v_add_f32_e32 v4, v4, v152
	v_mul_f32_e32 v118, v117, v132
	v_fma_f32 v8, v114, v146, -v8
	v_fmac_f32_e32 v147, v115, v146
	v_add_f32_e32 v2, v2, v5
	v_add_f32_e32 v3, v4, v3
	s_waitcnt lgkmcnt(0)
	v_mul_f32_e32 v4, v7, v142
	v_fma_f32 v5, v116, v137, -v118
	v_mul_f32_e32 v138, v6, v142
	v_add_f32_e32 v2, v2, v8
	v_fmac_f32_e32 v148, v117, v137
	v_add_f32_e32 v3, v3, v147
	v_fma_f32 v4, v6, v135, -v4
	v_fmac_f32_e32 v138, v7, v135
	v_add_f32_e32 v2, v2, v5
	v_add_f32_e32 v3, v3, v148
	v_add_f32_e32 v2, v2, v4
	v_add_f32_e32 v3, v3, v138
	s_waitcnt vmcnt(0)
	v_sub_f32_e32 v2, v136, v2
	v_sub_f32_e32 v3, v162, v3
	buffer_store_dword v2, off, s[0:3], 0 offset:64
	buffer_store_dword v3, off, s[0:3], 0 offset:68
	v_cmpx_lt_u32_e32 7, v0
	s_cbranch_execz .LBB115_311
; %bb.310:
	s_clause 0x1
	buffer_load_dword v2, off, s[0:3], 0 offset:56
	buffer_load_dword v3, off, s[0:3], 0 offset:60
	buffer_store_dword v1, off, s[0:3], 0 offset:56
	buffer_store_dword v1, off, s[0:3], 0 offset:60
	s_waitcnt vmcnt(0)
	ds_write_b64 v113, v[2:3]
.LBB115_311:
	s_or_b32 exec_lo, exec_lo, s4
	s_waitcnt lgkmcnt(0)
	s_waitcnt_vscnt null, 0x0
	s_barrier
	buffer_gl0_inv
	s_clause 0x2c
	buffer_load_dword v152, off, s[0:3], 0 offset:68
	buffer_load_dword v153, off, s[0:3], 0 offset:76
	buffer_load_dword v124, off, s[0:3], 0 offset:80
	buffer_load_dword v138, off, s[0:3], 0 offset:72
	buffer_load_dword v142, off, s[0:3], 0 offset:64
	buffer_load_dword v137, off, s[0:3], 0 offset:84
	buffer_load_dword v135, off, s[0:3], 0 offset:92
	buffer_load_dword v114, off, s[0:3], 0 offset:112
	buffer_load_dword v127, off, s[0:3], 0 offset:104
	buffer_load_dword v132, off, s[0:3], 0 offset:96
	buffer_load_dword v143, off, s[0:3], 0 offset:88
	buffer_load_dword v141, off, s[0:3], 0 offset:100
	buffer_load_dword v140, off, s[0:3], 0 offset:108
	buffer_load_dword v131, off, s[0:3], 0 offset:116
	buffer_load_dword v129, off, s[0:3], 0 offset:124
	buffer_load_dword v4, off, s[0:3], 0 offset:144
	buffer_load_dword v119, off, s[0:3], 0 offset:136
	buffer_load_dword v125, off, s[0:3], 0 offset:128
	buffer_load_dword v139, off, s[0:3], 0 offset:120
	buffer_load_dword v136, off, s[0:3], 0 offset:132
	buffer_load_dword v134, off, s[0:3], 0 offset:140
	buffer_load_dword v123, off, s[0:3], 0 offset:148
	buffer_load_dword v121, off, s[0:3], 0 offset:156
	buffer_load_dword v3, off, s[0:3], 0 offset:176
	buffer_load_dword v115, off, s[0:3], 0 offset:168
	buffer_load_dword v118, off, s[0:3], 0 offset:160
	buffer_load_dword v133, off, s[0:3], 0 offset:152
	buffer_load_dword v130, off, s[0:3], 0 offset:164
	buffer_load_dword v128, off, s[0:3], 0 offset:172
	buffer_load_dword v117, off, s[0:3], 0 offset:180
	buffer_load_dword v116, off, s[0:3], 0 offset:188
	buffer_load_dword v2, off, s[0:3], 0 offset:208
	buffer_load_dword v5, off, s[0:3], 0 offset:200
	buffer_load_dword v8, off, s[0:3], 0 offset:192
	buffer_load_dword v126, off, s[0:3], 0 offset:184
	buffer_load_dword v122, off, s[0:3], 0 offset:196
	buffer_load_dword v120, off, s[0:3], 0 offset:204
	buffer_load_dword v7, off, s[0:3], 0 offset:212
	buffer_load_dword v6, off, s[0:3], 0 offset:220
	buffer_load_dword v154, off, s[0:3], 0 offset:240
	buffer_load_dword v155, off, s[0:3], 0 offset:232
	buffer_load_dword v156, off, s[0:3], 0 offset:224
	buffer_load_dword v157, off, s[0:3], 0 offset:216
	buffer_load_dword v158, off, s[0:3], 0 offset:228
	buffer_load_dword v159, off, s[0:3], 0 offset:236
	ds_read_b128 v[144:147], v1 offset:480
	ds_read_b128 v[148:151], v1 offset:496
	buffer_load_dword v162, off, s[0:3], 0 offset:60
	s_mov_b32 s4, exec_lo
	s_waitcnt vmcnt(45) lgkmcnt(1)
	v_mul_f32_e32 v160, v145, v152
	v_mul_f32_e32 v152, v144, v152
	s_waitcnt vmcnt(44)
	v_mul_f32_e32 v161, v146, v153
	v_mul_f32_e32 v153, v147, v153
	s_waitcnt vmcnt(41)
	v_fma_f32 v160, v144, v142, -v160
	v_fmac_f32_e32 v152, v145, v142
	v_fmac_f32_e32 v161, v147, v138
	v_fma_f32 v153, v146, v138, -v153
	ds_read_b128 v[144:147], v1 offset:512
	s_waitcnt vmcnt(40) lgkmcnt(1)
	v_mul_f32_e32 v163, v148, v137
	v_mul_f32_e32 v137, v149, v137
	s_waitcnt vmcnt(39)
	v_mul_f32_e32 v164, v150, v135
	v_mul_f32_e32 v135, v151, v135
	v_fmac_f32_e32 v163, v149, v124
	v_fma_f32 v124, v148, v124, -v137
	s_waitcnt vmcnt(35)
	v_fmac_f32_e32 v164, v151, v143
	v_fma_f32 v165, v150, v143, -v135
	ds_read_b128 v[148:151], v1 offset:528
	s_waitcnt vmcnt(34) lgkmcnt(1)
	v_mul_f32_e32 v166, v144, v141
	v_mul_f32_e32 v135, v145, v141
	s_waitcnt vmcnt(33)
	v_mul_f32_e32 v167, v146, v140
	v_mul_f32_e32 v137, v147, v140
	ds_read_b128 v[140:143], v1 offset:544
	v_fmac_f32_e32 v166, v145, v132
	v_fma_f32 v132, v144, v132, -v135
	v_fmac_f32_e32 v167, v147, v127
	v_fma_f32 v168, v146, v127, -v137
	ds_read_b128 v[144:147], v1 offset:560
	s_waitcnt vmcnt(32) lgkmcnt(2)
	v_mul_f32_e32 v169, v148, v131
	v_mul_f32_e32 v127, v149, v131
	s_waitcnt vmcnt(31)
	v_mul_f32_e32 v131, v150, v129
	v_mul_f32_e32 v129, v151, v129
	v_fmac_f32_e32 v169, v149, v114
	v_fma_f32 v148, v148, v114, -v127
	s_waitcnt vmcnt(27)
	v_fmac_f32_e32 v131, v151, v139
	v_fma_f32 v149, v150, v139, -v129
	s_waitcnt vmcnt(26) lgkmcnt(1)
	v_mul_f32_e32 v150, v140, v136
	v_mul_f32_e32 v114, v141, v136
	s_waitcnt vmcnt(25)
	v_mul_f32_e32 v151, v142, v134
	v_mul_f32_e32 v127, v143, v134
	ds_read_b128 v[134:137], v1 offset:576
	v_fmac_f32_e32 v150, v141, v125
	v_fma_f32 v125, v140, v125, -v114
	ds_read_b128 v[138:141], v1 offset:592
	v_fmac_f32_e32 v151, v143, v119
	v_fma_f32 v142, v142, v119, -v127
	s_waitcnt vmcnt(24) lgkmcnt(2)
	v_mul_f32_e32 v143, v144, v123
	v_mul_f32_e32 v114, v145, v123
	s_waitcnt vmcnt(23)
	v_mul_f32_e32 v123, v146, v121
	v_mul_f32_e32 v119, v147, v121
	v_fmac_f32_e32 v143, v145, v4
	v_fma_f32 v144, v144, v4, -v114
	s_waitcnt vmcnt(19)
	v_fmac_f32_e32 v123, v147, v133
	v_fma_f32 v133, v146, v133, -v119
	s_waitcnt vmcnt(18) lgkmcnt(1)
	v_mul_f32_e32 v145, v134, v130
	v_mul_f32_e32 v4, v135, v130
	s_waitcnt vmcnt(17)
	v_mul_f32_e32 v146, v136, v128
	v_mul_f32_e32 v114, v137, v128
	ds_read_b128 v[127:130], v1 offset:608
	v_fmac_f32_e32 v145, v135, v118
	v_fma_f32 v134, v134, v118, -v4
	v_fmac_f32_e32 v146, v137, v115
	v_fma_f32 v135, v136, v115, -v114
	s_waitcnt vmcnt(15) lgkmcnt(1)
	v_mul_f32_e32 v137, v140, v116
	v_mul_f32_e32 v114, v141, v116
	;; [unrolled: 1-line block ×4, first 2 shown]
	s_waitcnt vmcnt(11)
	v_fmac_f32_e32 v137, v141, v126
	v_fma_f32 v126, v140, v126, -v114
	ds_read_b128 v[114:117], v1 offset:624
	v_fmac_f32_e32 v136, v139, v3
	v_fma_f32 v138, v138, v3, -v4
	s_waitcnt vmcnt(10) lgkmcnt(1)
	v_mul_f32_e32 v139, v127, v122
	v_mul_f32_e32 v3, v128, v122
	s_waitcnt vmcnt(9)
	v_mul_f32_e32 v122, v129, v120
	v_mul_f32_e32 v4, v130, v120
	ds_read_b128 v[118:121], v1 offset:640
	v_fmac_f32_e32 v139, v128, v8
	v_fma_f32 v8, v127, v8, -v3
	v_fmac_f32_e32 v122, v130, v5
	v_fma_f32 v127, v129, v5, -v4
	s_waitcnt vmcnt(8) lgkmcnt(1)
	v_mul_f32_e32 v128, v114, v7
	v_mul_f32_e32 v3, v115, v7
	s_waitcnt vmcnt(7)
	v_mul_f32_e32 v7, v116, v6
	v_mul_f32_e32 v4, v117, v6
	buffer_load_dword v6, off, s[0:3], 0 offset:244
	v_fmac_f32_e32 v128, v115, v2
	v_fma_f32 v129, v114, v2, -v3
	s_waitcnt vmcnt(4)
	v_fmac_f32_e32 v7, v117, v157
	v_fma_f32 v130, v116, v157, -v4
	buffer_load_dword v116, off, s[0:3], 0 offset:252
	ds_read_b128 v[2:5], v1 offset:656
	s_waitcnt vmcnt(4) lgkmcnt(1)
	v_mul_f32_e32 v140, v118, v158
	v_mul_f32_e32 v114, v119, v158
	s_waitcnt vmcnt(3)
	v_mul_f32_e32 v141, v120, v159
	v_mul_f32_e32 v115, v121, v159
	v_fmac_f32_e32 v140, v119, v156
	v_fma_f32 v118, v118, v156, -v114
	v_fmac_f32_e32 v141, v121, v155
	v_fma_f32 v119, v120, v155, -v115
	s_clause 0x4
	buffer_load_dword v120, off, s[0:3], 0 offset:272
	buffer_load_dword v121, off, s[0:3], 0 offset:264
	;; [unrolled: 1-line block ×5, first 2 shown]
	s_waitcnt vmcnt(6) lgkmcnt(0)
	v_mul_f32_e32 v156, v2, v6
	v_mul_f32_e32 v6, v3, v6
	v_fmac_f32_e32 v156, v3, v154
	v_fma_f32 v6, v2, v154, -v6
	s_waitcnt vmcnt(5)
	v_mul_f32_e32 v154, v4, v116
	v_mul_f32_e32 v2, v5, v116
	s_waitcnt vmcnt(1)
	v_fmac_f32_e32 v154, v5, v114
	v_fma_f32 v157, v4, v114, -v2
	ds_read_b128 v[2:5], v1 offset:672
	ds_read_b128 v[114:117], v1 offset:688
	s_waitcnt vmcnt(0) lgkmcnt(1)
	v_mul_f32_e32 v158, v2, v155
	v_mul_f32_e32 v155, v3, v155
	v_fmac_f32_e32 v158, v3, v147
	v_fma_f32 v147, v2, v147, -v155
	s_clause 0x1
	buffer_load_dword v2, off, s[0:3], 0 offset:268
	buffer_load_dword v3, off, s[0:3], 0 offset:276
	s_waitcnt vmcnt(1)
	v_mul_f32_e32 v155, v4, v2
	v_mul_f32_e32 v2, v5, v2
	v_fmac_f32_e32 v155, v5, v121
	v_fma_f32 v159, v4, v121, -v2
	v_add_f32_e32 v2, 0, v160
	buffer_load_dword v5, off, s[0:3], 0 offset:284
	v_add_f32_e32 v4, 0, v152
	v_add_f32_e32 v2, v2, v153
	;; [unrolled: 1-line block ×4, first 2 shown]
	s_clause 0x3
	buffer_load_dword v124, off, s[0:3], 0 offset:304
	buffer_load_dword v121, off, s[0:3], 0 offset:296
	;; [unrolled: 1-line block ×4, first 2 shown]
	v_add_f32_e32 v4, v4, v163
	s_clause 0x1
	buffer_load_dword v160, off, s[0:3], 0 offset:300
	buffer_load_dword v161, off, s[0:3], 0 offset:308
	v_add_f32_e32 v2, v2, v165
	s_waitcnt vmcnt(7) lgkmcnt(0)
	v_mul_f32_e32 v163, v114, v3
	v_add_f32_e32 v4, v4, v164
	v_mul_f32_e32 v3, v115, v3
	v_add_f32_e32 v2, v2, v132
	buffer_load_dword v132, off, s[0:3], 0 offset:292
	v_add_f32_e32 v4, v4, v166
	v_fma_f32 v164, v114, v120, -v3
	v_fmac_f32_e32 v163, v115, v120
	v_add_f32_e32 v2, v2, v168
	v_add_f32_e32 v4, v4, v167
	;; [unrolled: 1-line block ×3, first 2 shown]
	buffer_load_dword v148, off, s[0:3], 0 offset:316
	v_add_f32_e32 v4, v4, v169
	v_add_f32_e32 v2, v2, v149
	;; [unrolled: 1-line block ×3, first 2 shown]
	s_clause 0x5
	buffer_load_dword v149, off, s[0:3], 0 offset:336
	buffer_load_dword v165, off, s[0:3], 0 offset:328
	buffer_load_dword v131, off, s[0:3], 0 offset:320
	buffer_load_dword v166, off, s[0:3], 0 offset:312
	buffer_load_dword v167, off, s[0:3], 0 offset:324
	buffer_load_dword v168, off, s[0:3], 0 offset:348
	v_add_f32_e32 v2, v2, v125
	v_add_f32_e32 v3, v3, v150
	v_add_f32_e32 v2, v2, v142
	v_add_f32_e32 v3, v3, v151
	s_clause 0x1
	buffer_load_dword v142, off, s[0:3], 0 offset:332
	buffer_load_dword v151, off, s[0:3], 0 offset:340
	v_add_f32_e32 v2, v2, v144
	v_add_f32_e32 v3, v3, v143
	s_clause 0x6
	buffer_load_dword v143, off, s[0:3], 0 offset:356
	buffer_load_dword v144, off, s[0:3], 0 offset:364
	;; [unrolled: 1-line block ×7, first 2 shown]
	v_add_f32_e32 v2, v2, v133
	v_add_f32_e32 v3, v3, v123
	v_add_f32_e32 v2, v2, v134
	v_add_f32_e32 v3, v3, v145
	buffer_load_dword v134, off, s[0:3], 0 offset:412
	v_add_f32_e32 v2, v2, v135
	v_add_f32_e32 v3, v3, v146
	s_clause 0x3
	buffer_load_dword v135, off, s[0:3], 0 offset:368
	buffer_load_dword v145, off, s[0:3], 0 offset:360
	;; [unrolled: 1-line block ×4, first 2 shown]
	v_add_f32_e32 v2, v2, v138
	v_add_f32_e32 v3, v3, v136
	;; [unrolled: 1-line block ×4, first 2 shown]
	s_clause 0x3
	buffer_load_dword v136, off, s[0:3], 0 offset:400
	buffer_load_dword v137, off, s[0:3], 0 offset:392
	;; [unrolled: 1-line block ×4, first 2 shown]
	v_add_f32_e32 v2, v2, v8
	buffer_load_dword v8, off, s[0:3], 0 offset:408
	v_add_f32_e32 v3, v3, v139
	buffer_load_dword v139, off, s[0:3], 0 offset:56
	v_add_f32_e32 v2, v2, v127
	v_add_f32_e32 v3, v3, v122
	;; [unrolled: 1-line block ×20, first 2 shown]
	s_waitcnt vmcnt(34)
	v_mul_f32_e32 v150, v116, v5
	v_mul_f32_e32 v4, v117, v5
	s_waitcnt vmcnt(30)
	v_fmac_f32_e32 v150, v117, v153
	v_fma_f32 v153, v116, v153, -v4
	ds_read_b128 v[2:5], v1 offset:704
	ds_read_b128 v[114:117], v1 offset:720
	v_add_f32_e32 v7, v7, v150
	v_add_f32_e32 v6, v6, v153
	s_waitcnt vmcnt(27) lgkmcnt(1)
	v_mul_f32_e32 v140, v2, v132
	v_mul_f32_e32 v119, v3, v132
	;; [unrolled: 1-line block ×4, first 2 shown]
	s_waitcnt lgkmcnt(0)
	v_mul_f32_e32 v156, v114, v161
	v_fmac_f32_e32 v140, v3, v152
	v_fma_f32 v130, v2, v152, -v119
	v_fmac_f32_e32 v141, v5, v121
	v_fma_f32 v152, v4, v121, -v120
	ds_read_b128 v[2:5], v1 offset:736
	ds_read_b128 v[118:121], v1 offset:752
	v_mul_f32_e32 v122, v115, v161
	s_waitcnt vmcnt(26)
	v_mul_f32_e32 v147, v116, v148
	v_mul_f32_e32 v123, v117, v148
	v_fmac_f32_e32 v156, v115, v124
	v_fma_f32 v148, v114, v124, -v122
	s_waitcnt vmcnt(22)
	v_fmac_f32_e32 v147, v117, v166
	v_fma_f32 v154, v116, v166, -v123
	ds_read_b128 v[114:117], v1 offset:768
	ds_read_b128 v[122:125], v1 offset:784
	;; [unrolled: 1-line block ×3, first 2 shown]
	s_waitcnt vmcnt(21) lgkmcnt(4)
	v_mul_f32_e32 v155, v2, v167
	v_mul_f32_e32 v132, v3, v167
	v_fmac_f32_e32 v155, v3, v131
	v_add_f32_e32 v3, v6, v130
	v_fma_f32 v2, v2, v131, -v132
	ds_read_b128 v[130:133], v1 offset:816
	v_add_f32_e32 v1, v7, v140
	s_waitcnt vmcnt(19)
	v_mul_f32_e32 v7, v5, v142
	v_add_f32_e32 v3, v3, v152
	v_mul_f32_e32 v6, v4, v142
	s_waitcnt vmcnt(18) lgkmcnt(4)
	v_mul_f32_e32 v142, v119, v151
	v_add_f32_e32 v1, v1, v141
	v_fma_f32 v4, v4, v165, -v7
	v_add_f32_e32 v3, v3, v148
	v_mul_f32_e32 v140, v118, v151
	v_fmac_f32_e32 v6, v5, v165
	v_add_f32_e32 v1, v1, v156
	v_fma_f32 v118, v118, v149, -v142
	v_add_f32_e32 v3, v3, v154
	v_mul_f32_e32 v141, v120, v168
	v_fmac_f32_e32 v140, v119, v149
	v_add_f32_e32 v1, v1, v147
	v_mul_f32_e32 v147, v121, v168
	v_add_f32_e32 v2, v3, v2
	s_waitcnt vmcnt(17) lgkmcnt(3)
	v_mul_f32_e32 v5, v114, v143
	s_waitcnt vmcnt(6)
	v_fmac_f32_e32 v141, v121, v174
	v_add_f32_e32 v1, v1, v155
	v_mul_f32_e32 v7, v116, v144
	v_add_f32_e32 v2, v2, v4
	v_mul_f32_e32 v4, v115, v143
	v_fmac_f32_e32 v5, v115, v146
	v_add_f32_e32 v1, v1, v6
	v_fma_f32 v6, v120, v174, -v147
	v_add_f32_e32 v2, v2, v118
	v_mul_f32_e32 v118, v117, v144
	v_fma_f32 v4, v114, v146, -v4
	v_add_f32_e32 v1, v1, v140
	s_waitcnt lgkmcnt(2)
	v_mul_f32_e32 v148, v122, v169
	v_add_f32_e32 v2, v2, v6
	v_mul_f32_e32 v6, v123, v169
	v_fma_f32 v114, v116, v145, -v118
	v_add_f32_e32 v1, v1, v141
	v_fmac_f32_e32 v7, v117, v145
	v_add_f32_e32 v2, v2, v4
	v_mul_f32_e32 v4, v125, v170
	v_mul_f32_e32 v150, v124, v170
	v_add_f32_e32 v1, v1, v5
	v_fma_f32 v5, v122, v135, -v6
	v_add_f32_e32 v2, v2, v114
	v_fmac_f32_e32 v148, v123, v135
	s_waitcnt lgkmcnt(1)
	v_mul_f32_e32 v6, v127, v171
	v_add_f32_e32 v1, v1, v7
	s_waitcnt vmcnt(2)
	v_fma_f32 v4, v124, v175, -v4
	v_add_f32_e32 v2, v2, v5
	v_mul_f32_e32 v151, v126, v171
	v_fmac_f32_e32 v150, v125, v175
	v_add_f32_e32 v1, v1, v148
	v_mul_f32_e32 v5, v129, v172
	v_fma_f32 v6, v126, v138, -v6
	v_add_f32_e32 v2, v2, v4
	v_mul_f32_e32 v152, v128, v172
	v_fmac_f32_e32 v151, v127, v138
	v_add_f32_e32 v1, v1, v150
	s_waitcnt lgkmcnt(0)
	v_mul_f32_e32 v4, v131, v173
	v_fma_f32 v5, v128, v137, -v5
	v_add_f32_e32 v2, v2, v6
	v_mul_f32_e32 v153, v130, v173
	v_fmac_f32_e32 v152, v129, v137
	v_add_f32_e32 v1, v1, v151
	v_mul_f32_e32 v6, v133, v134
	v_fma_f32 v4, v130, v136, -v4
	v_add_f32_e32 v2, v2, v5
	v_mul_f32_e32 v3, v132, v134
	v_fmac_f32_e32 v153, v131, v136
	v_add_f32_e32 v1, v1, v152
	s_waitcnt vmcnt(1)
	v_fma_f32 v5, v132, v8, -v6
	v_add_f32_e32 v2, v2, v4
	v_fmac_f32_e32 v3, v133, v8
	v_add_f32_e32 v1, v1, v153
	v_add_f32_e32 v2, v2, v5
	;; [unrolled: 1-line block ×3, first 2 shown]
	s_waitcnt vmcnt(0)
	v_sub_f32_e32 v2, v139, v2
	v_sub_f32_e32 v1, v162, v1
	buffer_store_dword v2, off, s[0:3], 0 offset:56
	buffer_store_dword v1, off, s[0:3], 0 offset:60
	v_cmpx_lt_u32_e32 6, v0
	s_cbranch_execz .LBB115_313
; %bb.312:
	s_clause 0x1
	buffer_load_dword v1, off, s[0:3], 0 offset:48
	buffer_load_dword v2, off, s[0:3], 0 offset:52
	v_mov_b32_e32 v3, 0
	buffer_store_dword v3, off, s[0:3], 0 offset:48
	buffer_store_dword v3, off, s[0:3], 0 offset:52
	s_waitcnt vmcnt(0)
	ds_write_b64 v113, v[1:2]
.LBB115_313:
	s_or_b32 exec_lo, exec_lo, s4
	s_waitcnt lgkmcnt(0)
	s_waitcnt_vscnt null, 0x0
	s_barrier
	buffer_gl0_inv
	s_clause 0x2c
	buffer_load_dword v152, off, s[0:3], 0 offset:60
	buffer_load_dword v153, off, s[0:3], 0 offset:68
	;; [unrolled: 1-line block ×45, first 2 shown]
	v_mov_b32_e32 v1, 0
	ds_read2_b64 v[144:147], v1 offset0:59 offset1:60
	ds_read2_b64 v[148:151], v1 offset0:61 offset1:62
	buffer_load_dword v162, off, s[0:3], 0 offset:52
	s_mov_b32 s4, exec_lo
	s_waitcnt vmcnt(45) lgkmcnt(1)
	v_mul_f32_e32 v160, v145, v152
	v_mul_f32_e32 v152, v144, v152
	s_waitcnt vmcnt(44)
	v_mul_f32_e32 v161, v146, v153
	v_mul_f32_e32 v153, v147, v153
	s_waitcnt vmcnt(41)
	v_fma_f32 v160, v144, v141, -v160
	v_fmac_f32_e32 v152, v145, v141
	v_fmac_f32_e32 v161, v147, v137
	v_fma_f32 v153, v146, v137, -v153
	ds_read2_b64 v[144:147], v1 offset0:63 offset1:64
	s_waitcnt vmcnt(40) lgkmcnt(1)
	v_mul_f32_e32 v163, v148, v136
	v_mul_f32_e32 v136, v149, v136
	s_waitcnt vmcnt(39)
	v_mul_f32_e32 v164, v150, v134
	v_mul_f32_e32 v134, v151, v134
	v_fmac_f32_e32 v163, v149, v123
	v_fma_f32 v123, v148, v123, -v136
	s_waitcnt vmcnt(35)
	v_fmac_f32_e32 v164, v151, v142
	v_fma_f32 v165, v150, v142, -v134
	ds_read2_b64 v[148:151], v1 offset0:65 offset1:66
	s_waitcnt vmcnt(34) lgkmcnt(1)
	v_mul_f32_e32 v166, v144, v140
	v_mul_f32_e32 v134, v145, v140
	s_waitcnt vmcnt(33)
	v_mul_f32_e32 v167, v146, v139
	v_mul_f32_e32 v136, v147, v139
	ds_read2_b64 v[139:142], v1 offset0:67 offset1:68
	v_fmac_f32_e32 v166, v145, v131
	v_fma_f32 v131, v144, v131, -v134
	v_fmac_f32_e32 v167, v147, v126
	v_fma_f32 v168, v146, v126, -v136
	ds_read2_b64 v[144:147], v1 offset0:69 offset1:70
	s_waitcnt vmcnt(32) lgkmcnt(2)
	v_mul_f32_e32 v169, v148, v130
	v_mul_f32_e32 v126, v149, v130
	s_waitcnt vmcnt(31)
	v_mul_f32_e32 v130, v150, v128
	v_mul_f32_e32 v128, v151, v128
	v_fmac_f32_e32 v169, v149, v8
	v_fma_f32 v8, v148, v8, -v126
	s_waitcnt vmcnt(27)
	v_fmac_f32_e32 v130, v151, v138
	v_fma_f32 v148, v150, v138, -v128
	buffer_load_dword v151, off, s[0:3], 0 offset:244
	s_waitcnt vmcnt(27) lgkmcnt(1)
	v_mul_f32_e32 v149, v139, v135
	v_mul_f32_e32 v126, v140, v135
	s_waitcnt vmcnt(26)
	v_mul_f32_e32 v150, v141, v133
	v_mul_f32_e32 v128, v142, v133
	ds_read2_b64 v[133:136], v1 offset0:71 offset1:72
	v_fmac_f32_e32 v149, v140, v124
	v_fma_f32 v124, v139, v124, -v126
	v_fmac_f32_e32 v150, v142, v118
	v_fma_f32 v141, v141, v118, -v128
	s_waitcnt vmcnt(25) lgkmcnt(1)
	v_mul_f32_e32 v142, v144, v122
	v_mul_f32_e32 v118, v145, v122
	s_waitcnt vmcnt(24)
	v_mul_f32_e32 v122, v146, v120
	v_mul_f32_e32 v120, v147, v120
	ds_read2_b64 v[137:140], v1 offset0:73 offset1:74
	v_fmac_f32_e32 v142, v145, v4
	v_fma_f32 v144, v144, v4, -v118
	s_waitcnt vmcnt(20)
	v_fmac_f32_e32 v122, v147, v132
	v_fma_f32 v132, v146, v132, -v120
	s_waitcnt vmcnt(19) lgkmcnt(1)
	v_mul_f32_e32 v145, v133, v129
	v_mul_f32_e32 v4, v134, v129
	s_waitcnt vmcnt(18)
	v_mul_f32_e32 v146, v135, v127
	v_mul_f32_e32 v118, v136, v127
	ds_read2_b64 v[126:129], v1 offset0:75 offset1:76
	v_fmac_f32_e32 v145, v134, v117
	v_fma_f32 v133, v133, v117, -v4
	v_fmac_f32_e32 v146, v136, v114
	v_fma_f32 v134, v135, v114, -v118
	s_waitcnt vmcnt(17) lgkmcnt(1)
	v_mul_f32_e32 v135, v137, v116
	s_waitcnt vmcnt(16)
	v_mul_f32_e32 v136, v139, v115
	v_mul_f32_e32 v114, v140, v115
	;; [unrolled: 1-line block ×3, first 2 shown]
	v_fmac_f32_e32 v135, v138, v3
	s_waitcnt vmcnt(12)
	v_fmac_f32_e32 v136, v140, v125
	v_fma_f32 v125, v139, v125, -v114
	ds_read2_b64 v[114:117], v1 offset0:77 offset1:78
	v_fma_f32 v137, v137, v3, -v4
	s_waitcnt vmcnt(11) lgkmcnt(1)
	v_mul_f32_e32 v138, v126, v121
	v_mul_f32_e32 v3, v127, v121
	s_waitcnt vmcnt(10)
	v_mul_f32_e32 v139, v128, v119
	v_mul_f32_e32 v4, v129, v119
	ds_read2_b64 v[118:121], v1 offset0:79 offset1:80
	v_fmac_f32_e32 v138, v127, v7
	buffer_load_dword v127, off, s[0:3], 0 offset:236
	v_fma_f32 v7, v126, v7, -v3
	v_fma_f32 v126, v128, v5, -v4
	v_fmac_f32_e32 v139, v129, v5
	s_waitcnt vmcnt(10) lgkmcnt(1)
	v_mul_f32_e32 v128, v114, v6
	v_mul_f32_e32 v3, v115, v6
	s_waitcnt vmcnt(9)
	v_mul_f32_e32 v4, v117, v143
	v_mul_f32_e32 v6, v116, v143
	v_fmac_f32_e32 v128, v115, v2
	v_fma_f32 v129, v114, v2, -v3
	s_waitcnt vmcnt(5)
	v_fma_f32 v140, v116, v157, -v4
	ds_read2_b64 v[2:5], v1 offset0:81 offset1:82
	v_fmac_f32_e32 v6, v117, v157
	s_waitcnt vmcnt(4) lgkmcnt(1)
	v_mul_f32_e32 v143, v118, v158
	v_mul_f32_e32 v114, v119, v158
	s_waitcnt vmcnt(3)
	v_mul_f32_e32 v147, v120, v159
	v_mul_f32_e32 v115, v121, v159
	v_fmac_f32_e32 v143, v119, v156
	v_fma_f32 v118, v118, v156, -v114
	v_fmac_f32_e32 v147, v121, v155
	v_fma_f32 v119, v120, v155, -v115
	s_clause 0x5
	buffer_load_dword v120, off, s[0:3], 0 offset:264
	buffer_load_dword v121, off, s[0:3], 0 offset:256
	;; [unrolled: 1-line block ×6, first 2 shown]
	v_add_f32_e32 v114, 0, v160
	v_add_f32_e32 v115, 0, v152
	buffer_load_dword v152, off, s[0:3], 0 offset:268
	v_add_f32_e32 v114, v114, v153
	buffer_load_dword v153, off, s[0:3], 0 offset:276
	v_add_f32_e32 v115, v115, v161
	v_add_f32_e32 v114, v114, v123
	s_clause 0x3
	buffer_load_dword v123, off, s[0:3], 0 offset:296
	buffer_load_dword v159, off, s[0:3], 0 offset:288
	;; [unrolled: 1-line block ×4, first 2 shown]
	v_add_f32_e32 v115, v115, v163
	v_add_f32_e32 v114, v114, v165
	;; [unrolled: 1-line block ×4, first 2 shown]
	buffer_load_dword v131, off, s[0:3], 0 offset:284
	v_add_f32_e32 v115, v115, v166
	v_add_f32_e32 v114, v114, v168
	s_waitcnt vmcnt(13) lgkmcnt(0)
	v_mul_f32_e32 v163, v2, v127
	v_mul_f32_e32 v116, v3, v127
	v_fmac_f32_e32 v163, v3, v154
	v_fma_f32 v127, v2, v154, -v116
	v_add_f32_e32 v2, v115, v167
	v_add_f32_e32 v3, v114, v8
	ds_read2_b64 v[114:117], v1 offset0:83 offset1:84
	buffer_load_dword v8, off, s[0:3], 0 offset:292
	v_add_f32_e32 v2, v2, v169
	v_add_f32_e32 v3, v3, v148
	v_mul_f32_e32 v148, v4, v151
	v_mul_f32_e32 v151, v5, v151
	v_add_f32_e32 v2, v2, v130
	v_add_f32_e32 v3, v3, v124
	s_clause 0x1
	buffer_load_dword v130, off, s[0:3], 0 offset:300
	buffer_load_dword v124, off, s[0:3], 0 offset:308
	v_add_f32_e32 v149, v2, v149
	v_add_f32_e32 v141, v3, v141
	s_waitcnt vmcnt(12)
	v_fmac_f32_e32 v148, v5, v156
	v_fma_f32 v151, v4, v156, -v151
	ds_read2_b64 v[2:5], v1 offset0:85 offset1:86
	v_add_f32_e32 v149, v149, v150
	s_waitcnt vmcnt(11) lgkmcnt(1)
	v_mul_f32_e32 v154, v114, v157
	v_mul_f32_e32 v156, v115, v157
	v_add_f32_e32 v141, v141, v144
	s_clause 0x3
	buffer_load_dword v144, off, s[0:3], 0 offset:328
	buffer_load_dword v150, off, s[0:3], 0 offset:320
	;; [unrolled: 1-line block ×4, first 2 shown]
	v_fmac_f32_e32 v154, v115, v155
	v_fma_f32 v155, v114, v155, -v156
	v_add_f32_e32 v114, v149, v142
	v_add_f32_e32 v115, v141, v132
	s_waitcnt vmcnt(14)
	v_mul_f32_e32 v132, v116, v158
	v_mul_f32_e32 v141, v117, v158
	s_clause 0x1
	buffer_load_dword v142, off, s[0:3], 0 offset:316
	buffer_load_dword v149, off, s[0:3], 0 offset:324
	v_add_f32_e32 v114, v114, v122
	v_add_f32_e32 v115, v115, v133
	v_fmac_f32_e32 v132, v117, v121
	v_fma_f32 v122, v116, v121, -v141
	buffer_load_dword v156, off, s[0:3], 0 offset:332
	v_add_f32_e32 v121, v114, v145
	v_add_f32_e32 v134, v115, v134
	s_clause 0x3
	buffer_load_dword v133, off, s[0:3], 0 offset:340
	buffer_load_dword v141, off, s[0:3], 0 offset:348
	;; [unrolled: 1-line block ×4, first 2 shown]
	ds_read2_b64 v[114:117], v1 offset0:87 offset1:88
	v_add_f32_e32 v121, v121, v146
	s_waitcnt vmcnt(20) lgkmcnt(1)
	v_mul_f32_e32 v146, v2, v152
	v_mul_f32_e32 v152, v3, v152
	v_add_f32_e32 v134, v134, v137
	s_waitcnt vmcnt(19)
	v_mul_f32_e32 v137, v4, v153
	v_add_f32_e32 v121, v121, v135
	v_mul_f32_e32 v135, v5, v153
	v_fmac_f32_e32 v146, v3, v120
	v_fma_f32 v152, v2, v120, -v152
	v_add_f32_e32 v2, v134, v125
	v_add_f32_e32 v3, v121, v136
	s_clause 0x3
	buffer_load_dword v134, off, s[0:3], 0 offset:372
	buffer_load_dword v136, off, s[0:3], 0 offset:380
	;; [unrolled: 1-line block ×4, first 2 shown]
	s_waitcnt vmcnt(19)
	v_fmac_f32_e32 v137, v5, v161
	v_fma_f32 v135, v4, v161, -v135
	buffer_load_dword v161, off, s[0:3], 0 offset:404
	v_add_f32_e32 v3, v3, v138
	s_clause 0x4
	buffer_load_dword v138, off, s[0:3], 0 offset:360
	buffer_load_dword v166, off, s[0:3], 0 offset:352
	;; [unrolled: 1-line block ×5, first 2 shown]
	v_add_f32_e32 v2, v2, v7
	s_waitcnt vmcnt(24) lgkmcnt(0)
	v_mul_f32_e32 v121, v115, v131
	v_add_f32_e32 v7, v3, v139
	v_mul_f32_e32 v139, v114, v131
	v_add_f32_e32 v2, v2, v126
	v_fma_f32 v126, v114, v160, -v121
	v_add_f32_e32 v7, v7, v128
	v_fmac_f32_e32 v139, v115, v160
	v_add_f32_e32 v120, v2, v129
	ds_read2_b64 v[2:5], v1 offset0:89 offset1:90
	v_add_f32_e32 v6, v7, v6
	v_add_f32_e32 v120, v120, v140
	s_clause 0x3
	buffer_load_dword v131, off, s[0:3], 0 offset:392
	buffer_load_dword v140, off, s[0:3], 0 offset:384
	;; [unrolled: 1-line block ×4, first 2 shown]
	v_add_f32_e32 v6, v6, v143
	s_clause 0x1
	buffer_load_dword v143, off, s[0:3], 0 offset:408
	buffer_load_dword v171, off, s[0:3], 0 offset:400
	v_add_f32_e32 v7, v120, v118
	v_add_f32_e32 v6, v6, v147
	buffer_load_dword v147, off, s[0:3], 0 offset:48
	v_add_f32_e32 v7, v7, v119
	ds_read2_b64 v[118:121], v1 offset0:93 offset1:94
	v_add_f32_e32 v6, v6, v163
	v_add_f32_e32 v7, v7, v127
	;; [unrolled: 1-line block ×14, first 2 shown]
	s_waitcnt vmcnt(30)
	v_mul_f32_e32 v172, v116, v8
	v_mul_f32_e32 v8, v117, v8
	v_fmac_f32_e32 v172, v117, v159
	v_fma_f32 v8, v116, v159, -v8
	ds_read2_b64 v[114:117], v1 offset0:91 offset1:92
	s_waitcnt vmcnt(29) lgkmcnt(2)
	v_mul_f32_e32 v125, v3, v130
	v_mul_f32_e32 v148, v2, v130
	s_waitcnt vmcnt(28)
	v_mul_f32_e32 v130, v4, v124
	v_mul_f32_e32 v124, v5, v124
	v_add_f32_e32 v8, v7, v8
	v_fma_f32 v151, v2, v123, -v125
	v_fmac_f32_e32 v148, v3, v123
	v_add_f32_e32 v137, v137, v172
	v_add_f32_e32 v8, v8, v151
	;; [unrolled: 1-line block ×3, first 2 shown]
	s_waitcnt vmcnt(24)
	v_fma_f32 v154, v4, v164, -v124
	v_fmac_f32_e32 v130, v5, v164
	ds_read2_b64 v[2:5], v1 offset0:95 offset1:96
	ds_read2_b64 v[122:125], v1 offset0:97 offset1:98
	ds_read_b64 v[6:7], v1 offset:824
	v_add_f32_e32 v8, v8, v154
	v_add_f32_e32 v130, v137, v130
	s_waitcnt vmcnt(23) lgkmcnt(3)
	v_mul_f32_e32 v127, v115, v142
	v_mul_f32_e32 v132, v114, v142
	s_waitcnt vmcnt(22)
	v_mul_f32_e32 v142, v116, v149
	v_mul_f32_e32 v135, v117, v149
	v_fma_f32 v146, v114, v157, -v127
	v_fmac_f32_e32 v132, v115, v157
	v_fmac_f32_e32 v142, v117, v150
	v_fma_f32 v135, v116, v150, -v135
	s_waitcnt vmcnt(21)
	v_mul_f32_e32 v150, v119, v156
	v_add_f32_e32 v8, v8, v146
	v_mul_f32_e32 v139, v118, v156
	v_add_f32_e32 v130, v130, v132
	s_waitcnt vmcnt(20)
	v_mul_f32_e32 v149, v120, v133
	v_mul_f32_e32 v133, v121, v133
	v_fma_f32 v118, v118, v144, -v150
	v_add_f32_e32 v8, v8, v135
	v_fmac_f32_e32 v139, v119, v144
	v_add_f32_e32 v130, v130, v142
	ds_read2_b64 v[126:129], v1 offset0:99 offset1:100
	ds_read2_b64 v[114:117], v1 offset0:101 offset1:102
	s_waitcnt vmcnt(19) lgkmcnt(4)
	v_mul_f32_e32 v148, v2, v141
	v_mul_f32_e32 v141, v3, v141
	v_add_f32_e32 v8, v8, v118
	v_add_f32_e32 v118, v130, v139
	s_waitcnt vmcnt(18)
	v_mul_f32_e32 v151, v4, v145
	s_waitcnt vmcnt(9)
	v_fmac_f32_e32 v148, v3, v167
	s_waitcnt vmcnt(8)
	v_fma_f32 v120, v120, v168, -v133
	v_fmac_f32_e32 v149, v121, v168
	v_mul_f32_e32 v121, v5, v145
	v_fma_f32 v2, v2, v167, -v141
	s_waitcnt lgkmcnt(3)
	v_mul_f32_e32 v152, v122, v158
	v_add_f32_e32 v3, v8, v120
	v_add_f32_e32 v8, v118, v149
	v_mul_f32_e32 v118, v123, v158
	v_fma_f32 v4, v4, v166, -v121
	v_fmac_f32_e32 v151, v5, v166
	v_add_f32_e32 v2, v3, v2
	v_add_f32_e32 v3, v8, v148
	v_mul_f32_e32 v5, v125, v134
	v_fma_f32 v8, v122, v138, -v118
	v_mul_f32_e32 v137, v124, v134
	v_add_f32_e32 v2, v2, v4
	v_fmac_f32_e32 v152, v123, v138
	v_add_f32_e32 v3, v3, v151
	s_waitcnt lgkmcnt(1)
	v_mul_f32_e32 v4, v127, v136
	s_waitcnt vmcnt(3)
	v_fma_f32 v5, v124, v170, -v5
	v_add_f32_e32 v2, v2, v8
	v_mul_f32_e32 v146, v126, v136
	v_fmac_f32_e32 v137, v125, v170
	v_add_f32_e32 v3, v3, v152
	v_mul_f32_e32 v8, v129, v153
	v_fma_f32 v4, v126, v160, -v4
	v_add_f32_e32 v2, v2, v5
	v_mul_f32_e32 v119, v128, v153
	v_fmac_f32_e32 v146, v127, v160
	v_add_f32_e32 v3, v3, v137
	s_waitcnt lgkmcnt(0)
	v_mul_f32_e32 v5, v115, v165
	v_fma_f32 v8, v128, v140, -v8
	v_add_f32_e32 v2, v2, v4
	v_mul_f32_e32 v132, v114, v165
	v_fmac_f32_e32 v119, v129, v140
	v_add_f32_e32 v3, v3, v146
	v_mul_f32_e32 v4, v117, v161
	v_fma_f32 v5, v114, v131, -v5
	v_add_f32_e32 v2, v2, v8
	v_mul_f32_e32 v135, v116, v161
	v_fmac_f32_e32 v132, v115, v131
	v_add_f32_e32 v3, v3, v119
	v_mul_f32_e32 v8, v7, v169
	s_waitcnt vmcnt(1)
	v_fma_f32 v4, v116, v171, -v4
	v_add_f32_e32 v2, v2, v5
	v_mul_f32_e32 v142, v6, v169
	v_fmac_f32_e32 v135, v117, v171
	v_add_f32_e32 v3, v3, v132
	v_fma_f32 v5, v6, v143, -v8
	v_add_f32_e32 v2, v2, v4
	v_fmac_f32_e32 v142, v7, v143
	v_add_f32_e32 v3, v3, v135
	v_add_f32_e32 v2, v2, v5
	;; [unrolled: 1-line block ×3, first 2 shown]
	s_waitcnt vmcnt(0)
	v_sub_f32_e32 v2, v147, v2
	v_sub_f32_e32 v3, v162, v3
	buffer_store_dword v2, off, s[0:3], 0 offset:48
	buffer_store_dword v3, off, s[0:3], 0 offset:52
	v_cmpx_lt_u32_e32 5, v0
	s_cbranch_execz .LBB115_315
; %bb.314:
	s_clause 0x1
	buffer_load_dword v2, off, s[0:3], 0 offset:40
	buffer_load_dword v3, off, s[0:3], 0 offset:44
	buffer_store_dword v1, off, s[0:3], 0 offset:40
	buffer_store_dword v1, off, s[0:3], 0 offset:44
	s_waitcnt vmcnt(0)
	ds_write_b64 v113, v[2:3]
.LBB115_315:
	s_or_b32 exec_lo, exec_lo, s4
	s_waitcnt lgkmcnt(0)
	s_waitcnt_vscnt null, 0x0
	s_barrier
	buffer_gl0_inv
	s_clause 0x2c
	buffer_load_dword v144, off, s[0:3], 0 offset:52
	buffer_load_dword v145, off, s[0:3], 0 offset:60
	;; [unrolled: 1-line block ×45, first 2 shown]
	ds_read_b128 v[150:153], v1 offset:464
	ds_read_b128 v[154:157], v1 offset:480
	buffer_load_dword v162, off, s[0:3], 0 offset:44
	s_mov_b32 s4, exec_lo
	s_waitcnt vmcnt(45) lgkmcnt(1)
	v_mul_f32_e32 v147, v150, v144
	v_mul_f32_e32 v161, v151, v144
	s_waitcnt vmcnt(44)
	v_mul_f32_e32 v144, v152, v145
	v_mul_f32_e32 v145, v153, v145
	s_waitcnt vmcnt(41)
	v_fmac_f32_e32 v147, v151, v115
	v_fma_f32 v161, v150, v115, -v161
	v_fmac_f32_e32 v144, v153, v7
	v_fma_f32 v145, v152, v7, -v145
	ds_read_b128 v[150:153], v1 offset:496
	s_waitcnt vmcnt(40) lgkmcnt(1)
	v_mul_f32_e32 v163, v154, v4
	s_waitcnt vmcnt(39)
	v_mul_f32_e32 v164, v156, v5
	v_mul_f32_e32 v4, v155, v4
	;; [unrolled: 1-line block ×3, first 2 shown]
	v_fmac_f32_e32 v163, v155, v2
	s_waitcnt vmcnt(35)
	v_fmac_f32_e32 v164, v157, v118
	v_fma_f32 v165, v154, v2, -v4
	v_fma_f32 v118, v156, v118, -v5
	ds_read_b128 v[154:157], v1 offset:512
	s_waitcnt vmcnt(34) lgkmcnt(1)
	v_mul_f32_e32 v166, v150, v117
	s_waitcnt vmcnt(33)
	v_mul_f32_e32 v167, v152, v116
	v_mul_f32_e32 v4, v153, v116
	;; [unrolled: 1-line block ×3, first 2 shown]
	v_fmac_f32_e32 v166, v151, v114
	v_fmac_f32_e32 v167, v153, v6
	v_fma_f32 v151, v152, v6, -v4
	ds_read_b128 v[4:7], v1 offset:528
	v_fma_f32 v150, v150, v114, -v2
	s_waitcnt vmcnt(32) lgkmcnt(1)
	v_mul_f32_e32 v152, v154, v8
	v_mul_f32_e32 v2, v155, v8
	s_waitcnt vmcnt(31)
	v_mul_f32_e32 v8, v156, v119
	v_mul_f32_e32 v114, v157, v119
	v_fmac_f32_e32 v152, v155, v3
	v_fma_f32 v119, v154, v3, -v2
	s_waitcnt vmcnt(27)
	v_fmac_f32_e32 v8, v157, v127
	v_fma_f32 v127, v156, v127, -v114
	ds_read_b128 v[114:117], v1 offset:544
	buffer_load_dword v157, off, s[0:3], 0 offset:236
	s_waitcnt vmcnt(27) lgkmcnt(1)
	v_mul_f32_e32 v153, v4, v125
	v_mul_f32_e32 v2, v5, v125
	s_waitcnt vmcnt(26)
	v_mul_f32_e32 v3, v7, v124
	v_mul_f32_e32 v125, v6, v124
	v_fmac_f32_e32 v153, v5, v123
	v_fma_f32 v123, v4, v123, -v2
	v_fma_f32 v6, v6, v121, -v3
	ds_read_b128 v[2:5], v1 offset:560
	v_fmac_f32_e32 v125, v7, v121
	s_waitcnt vmcnt(25) lgkmcnt(1)
	v_mul_f32_e32 v7, v114, v122
	v_mul_f32_e32 v121, v115, v122
	s_waitcnt vmcnt(24)
	v_mul_f32_e32 v122, v116, v126
	v_mul_f32_e32 v124, v117, v126
	v_fmac_f32_e32 v7, v115, v120
	v_fma_f32 v120, v114, v120, -v121
	s_waitcnt vmcnt(20)
	v_fmac_f32_e32 v122, v117, v135
	v_fma_f32 v121, v116, v135, -v124
	ds_read_b128 v[114:117], v1 offset:576
	s_waitcnt vmcnt(19) lgkmcnt(1)
	v_mul_f32_e32 v124, v2, v133
	v_mul_f32_e32 v126, v3, v133
	s_waitcnt vmcnt(18)
	v_mul_f32_e32 v133, v4, v132
	v_mul_f32_e32 v132, v5, v132
	v_fmac_f32_e32 v124, v3, v131
	v_fma_f32 v126, v2, v131, -v126
	v_fmac_f32_e32 v133, v5, v129
	v_fma_f32 v129, v4, v129, -v132
	ds_read_b128 v[2:5], v1 offset:592
	s_waitcnt vmcnt(17) lgkmcnt(1)
	v_mul_f32_e32 v131, v114, v130
	v_mul_f32_e32 v130, v115, v130
	s_waitcnt vmcnt(16)
	v_mul_f32_e32 v132, v116, v134
	v_mul_f32_e32 v134, v117, v134
	v_fmac_f32_e32 v131, v115, v128
	v_fma_f32 v128, v114, v128, -v130
	s_waitcnt vmcnt(12)
	v_fmac_f32_e32 v132, v117, v143
	v_fma_f32 v130, v116, v143, -v134
	ds_read_b128 v[114:117], v1 offset:608
	buffer_load_dword v143, off, s[0:3], 0 offset:228
	s_waitcnt vmcnt(12) lgkmcnt(1)
	v_mul_f32_e32 v134, v2, v141
	v_mul_f32_e32 v135, v3, v141
	s_waitcnt vmcnt(11)
	v_mul_f32_e32 v141, v4, v140
	v_mul_f32_e32 v140, v5, v140
	v_fmac_f32_e32 v134, v3, v139
	v_fma_f32 v135, v2, v139, -v135
	v_fmac_f32_e32 v141, v5, v137
	v_fma_f32 v137, v4, v137, -v140
	ds_read_b128 v[2:5], v1 offset:624
	s_waitcnt vmcnt(10) lgkmcnt(1)
	v_mul_f32_e32 v139, v114, v138
	v_mul_f32_e32 v138, v115, v138
	s_waitcnt vmcnt(9)
	v_mul_f32_e32 v140, v116, v142
	v_mul_f32_e32 v142, v117, v142
	v_fmac_f32_e32 v139, v115, v136
	v_fma_f32 v136, v114, v136, -v138
	s_waitcnt vmcnt(5)
	v_fmac_f32_e32 v140, v117, v158
	v_fma_f32 v138, v116, v158, -v142
	ds_read_b128 v[114:117], v1 offset:640
	s_waitcnt vmcnt(4) lgkmcnt(1)
	v_mul_f32_e32 v142, v2, v159
	v_mul_f32_e32 v154, v3, v159
	s_waitcnt vmcnt(3)
	v_mul_f32_e32 v155, v4, v160
	v_mul_f32_e32 v156, v5, v160
	v_fmac_f32_e32 v142, v3, v149
	v_fma_f32 v149, v2, v149, -v154
	v_fmac_f32_e32 v155, v5, v148
	v_fma_f32 v148, v4, v148, -v156
	s_clause 0x5
	buffer_load_dword v154, off, s[0:3], 0 offset:256
	buffer_load_dword v156, off, s[0:3], 0 offset:248
	;; [unrolled: 1-line block ×6, first 2 shown]
	v_add_f32_e32 v2, 0, v147
	v_add_f32_e32 v3, 0, v161
	;; [unrolled: 1-line block ×3, first 2 shown]
	buffer_load_dword v144, off, s[0:3], 0 offset:260
	v_add_f32_e32 v3, v3, v145
	buffer_load_dword v145, off, s[0:3], 0 offset:268
	v_add_f32_e32 v2, v2, v163
	v_add_f32_e32 v3, v3, v165
	;; [unrolled: 1-line block ×4, first 2 shown]
	s_clause 0x4
	buffer_load_dword v147, off, s[0:3], 0 offset:288
	buffer_load_dword v118, off, s[0:3], 0 offset:280
	;; [unrolled: 1-line block ×5, first 2 shown]
	v_add_f32_e32 v2, v2, v166
	v_add_f32_e32 v3, v3, v150
	s_clause 0x1
	buffer_load_dword v150, off, s[0:3], 0 offset:284
	buffer_load_dword v165, off, s[0:3], 0 offset:292
	v_add_f32_e32 v2, v2, v167
	v_add_f32_e32 v3, v3, v151
	;; [unrolled: 1-line block ×10, first 2 shown]
	s_waitcnt vmcnt(16) lgkmcnt(0)
	v_mul_f32_e32 v119, v117, v157
	s_waitcnt vmcnt(15)
	v_mul_f32_e32 v151, v114, v143
	v_mul_f32_e32 v4, v115, v143
	;; [unrolled: 1-line block ×3, first 2 shown]
	v_fmac_f32_e32 v151, v115, v146
	v_fma_f32 v146, v114, v146, -v4
	v_add_f32_e32 v114, v3, v127
	ds_read_b128 v[2:5], v1 offset:656
	v_add_f32_e32 v114, v114, v123
	s_clause 0x4
	buffer_load_dword v123, off, s[0:3], 0 offset:300
	buffer_load_dword v152, off, s[0:3], 0 offset:320
	;; [unrolled: 1-line block ×5, first 2 shown]
	v_add_f32_e32 v6, v114, v6
	v_add_f32_e32 v6, v6, v120
	;; [unrolled: 1-line block ×5, first 2 shown]
	s_waitcnt vmcnt(16)
	v_fmac_f32_e32 v143, v117, v159
	v_fma_f32 v119, v116, v159, -v119
	s_clause 0x2
	buffer_load_dword v8, off, s[0:3], 0 offset:308
	buffer_load_dword v159, off, s[0:3], 0 offset:316
	buffer_load_dword v166, off, s[0:3], 0 offset:324
	ds_read_b128 v[114:117], v1 offset:672
	s_waitcnt vmcnt(18) lgkmcnt(1)
	v_mul_f32_e32 v120, v2, v160
	v_mul_f32_e32 v121, v3, v160
	s_waitcnt vmcnt(17)
	v_mul_f32_e32 v122, v4, v168
	v_mul_f32_e32 v124, v5, v168
	v_fmac_f32_e32 v120, v3, v158
	v_add_f32_e32 v3, v7, v133
	v_fma_f32 v7, v2, v158, -v121
	v_fmac_f32_e32 v122, v5, v156
	v_fma_f32 v124, v4, v156, -v124
	v_add_f32_e32 v2, v3, v131
	v_add_f32_e32 v3, v6, v128
	s_clause 0x7
	buffer_load_dword v6, off, s[0:3], 0 offset:332
	buffer_load_dword v156, off, s[0:3], 0 offset:340
	;; [unrolled: 1-line block ×8, first 2 shown]
	v_add_f32_e32 v2, v2, v132
	v_add_f32_e32 v3, v3, v130
	s_waitcnt vmcnt(24) lgkmcnt(0)
	v_mul_f32_e32 v125, v114, v144
	v_mul_f32_e32 v4, v115, v144
	v_add_f32_e32 v2, v2, v134
	s_clause 0x3
	buffer_load_dword v144, off, s[0:3], 0 offset:364
	buffer_load_dword v171, off, s[0:3], 0 offset:372
	;; [unrolled: 1-line block ×4, first 2 shown]
	s_waitcnt vmcnt(27)
	v_mul_f32_e32 v128, v116, v145
	v_fmac_f32_e32 v125, v115, v154
	v_fma_f32 v126, v114, v154, -v4
	v_add_f32_e32 v114, v3, v135
	v_add_f32_e32 v115, v2, v141
	v_mul_f32_e32 v3, v117, v145
	s_clause 0x2
	buffer_load_dword v134, off, s[0:3], 0 offset:396
	buffer_load_dword v154, off, s[0:3], 0 offset:404
	;; [unrolled: 1-line block ×3, first 2 shown]
	v_add_f32_e32 v114, v114, v137
	v_add_f32_e32 v115, v115, v139
	s_waitcnt vmcnt(26)
	v_fma_f32 v129, v116, v163, -v3
	ds_read_b128 v[2:5], v1 offset:688
	v_fmac_f32_e32 v128, v117, v163
	v_add_f32_e32 v114, v114, v136
	v_add_f32_e32 v115, v115, v140
	s_clause 0x3
	buffer_load_dword v136, off, s[0:3], 0 offset:384
	buffer_load_dword v137, off, s[0:3], 0 offset:376
	;; [unrolled: 1-line block ×4, first 2 shown]
	v_add_f32_e32 v114, v114, v138
	v_add_f32_e32 v121, v115, v142
	;; [unrolled: 1-line block ×3, first 2 shown]
	ds_read_b128 v[114:117], v1 offset:704
	s_clause 0x3
	buffer_load_dword v138, off, s[0:3], 0 offset:408
	buffer_load_dword v141, off, s[0:3], 0 offset:400
	;; [unrolled: 1-line block ×4, first 2 shown]
	v_add_f32_e32 v121, v121, v155
	s_waitcnt vmcnt(33) lgkmcnt(1)
	v_mul_f32_e32 v132, v3, v164
	v_mul_f32_e32 v131, v2, v164
	v_fma_f32 v132, v2, v161, -v132
	v_add_f32_e32 v2, v130, v148
	v_fmac_f32_e32 v131, v3, v161
	v_add_f32_e32 v3, v121, v151
	s_waitcnt vmcnt(32)
	v_mul_f32_e32 v130, v4, v150
	v_mul_f32_e32 v121, v5, v150
	v_add_f32_e32 v2, v2, v146
	v_add_f32_e32 v3, v3, v143
	v_fmac_f32_e32 v130, v5, v118
	v_fma_f32 v133, v4, v118, -v121
	v_add_f32_e32 v119, v2, v119
	s_waitcnt vmcnt(31) lgkmcnt(0)
	v_mul_f32_e32 v146, v115, v165
	v_add_f32_e32 v143, v3, v120
	ds_read_b128 v[2:5], v1 offset:720
	v_add_f32_e32 v7, v119, v7
	ds_read_b128 v[118:121], v1 offset:736
	v_add_f32_e32 v122, v143, v122
	v_mul_f32_e32 v143, v114, v165
	v_fma_f32 v146, v114, v147, -v146
	v_add_f32_e32 v7, v7, v124
	v_fmac_f32_e32 v143, v115, v147
	v_add_f32_e32 v147, v122, v125
	v_add_f32_e32 v7, v7, v126
	;; [unrolled: 1-line block ×8, first 2 shown]
	s_waitcnt vmcnt(30)
	v_mul_f32_e32 v148, v116, v123
	v_mul_f32_e32 v123, v117, v123
	s_waitcnt vmcnt(26)
	v_fmac_f32_e32 v148, v117, v157
	v_fma_f32 v149, v116, v157, -v123
	ds_read_b128 v[114:117], v1 offset:752
	ds_read_b128 v[122:125], v1 offset:768
	s_waitcnt vmcnt(25) lgkmcnt(3)
	v_mul_f32_e32 v147, v2, v8
	s_waitcnt vmcnt(24)
	v_mul_f32_e32 v150, v4, v159
	v_mul_f32_e32 v8, v3, v8
	;; [unrolled: 1-line block ×3, first 2 shown]
	s_waitcnt vmcnt(23) lgkmcnt(2)
	v_mul_f32_e32 v151, v118, v166
	v_mul_f32_e32 v131, v119, v166
	v_fmac_f32_e32 v147, v3, v153
	v_fmac_f32_e32 v150, v5, v127
	v_fma_f32 v8, v2, v153, -v8
	v_fma_f32 v153, v4, v127, -v128
	ds_read_b128 v[2:5], v1 offset:784
	ds_read_b128 v[126:129], v1 offset:800
	v_fmac_f32_e32 v151, v119, v152
	v_fma_f32 v118, v118, v152, -v131
	v_add_f32_e32 v119, v130, v143
	ds_read_b128 v[130:133], v1 offset:816
	v_add_f32_e32 v1, v7, v146
	s_waitcnt vmcnt(22)
	v_mul_f32_e32 v7, v120, v6
	v_mul_f32_e32 v6, v121, v6
	v_add_f32_e32 v119, v119, v148
	s_waitcnt vmcnt(21) lgkmcnt(4)
	v_mul_f32_e32 v148, v115, v156
	v_add_f32_e32 v1, v1, v149
	v_mul_f32_e32 v143, v114, v156
	s_waitcnt vmcnt(15)
	v_fma_f32 v6, v120, v170, -v6
	v_fmac_f32_e32 v7, v121, v170
	v_fma_f32 v114, v114, v169, -v148
	v_add_f32_e32 v1, v1, v8
	v_add_f32_e32 v8, v119, v147
	v_mul_f32_e32 v146, v116, v158
	v_fmac_f32_e32 v143, v115, v169
	s_waitcnt lgkmcnt(3)
	v_mul_f32_e32 v120, v122, v160
	v_add_f32_e32 v1, v1, v153
	v_add_f32_e32 v8, v8, v150
	v_mul_f32_e32 v150, v117, v158
	v_fmac_f32_e32 v146, v117, v168
	s_waitcnt vmcnt(14)
	v_mul_f32_e32 v121, v124, v144
	v_add_f32_e32 v1, v1, v118
	v_add_f32_e32 v8, v8, v151
	v_fmac_f32_e32 v120, v123, v167
	s_waitcnt vmcnt(13) lgkmcnt(2)
	v_mul_f32_e32 v119, v2, v171
	s_waitcnt vmcnt(12)
	v_mul_f32_e32 v147, v4, v172
	v_add_f32_e32 v1, v1, v6
	v_add_f32_e32 v6, v8, v7
	v_mul_f32_e32 v7, v123, v160
	v_fma_f32 v8, v116, v168, -v150
	s_waitcnt vmcnt(4)
	v_fmac_f32_e32 v121, v125, v140
	v_add_f32_e32 v1, v1, v114
	v_add_f32_e32 v6, v6, v143
	v_mul_f32_e32 v114, v125, v144
	v_fma_f32 v7, v122, v167, -v7
	v_fmac_f32_e32 v119, v3, v139
	v_add_f32_e32 v1, v1, v8
	v_add_f32_e32 v6, v6, v146
	v_mul_f32_e32 v8, v3, v171
	v_fma_f32 v114, v124, v140, -v114
	s_waitcnt lgkmcnt(1)
	v_mul_f32_e32 v149, v126, v173
	v_add_f32_e32 v1, v1, v7
	v_add_f32_e32 v6, v6, v120
	v_mul_f32_e32 v7, v5, v172
	v_fma_f32 v2, v2, v139, -v8
	v_fmac_f32_e32 v147, v5, v137
	v_add_f32_e32 v1, v1, v114
	v_add_f32_e32 v3, v6, v121
	v_mul_f32_e32 v6, v127, v173
	v_fma_f32 v4, v4, v137, -v7
	v_mul_f32_e32 v152, v128, v134
	v_add_f32_e32 v1, v1, v2
	v_add_f32_e32 v2, v3, v119
	v_mul_f32_e32 v3, v129, v134
	v_fma_f32 v5, v126, v136, -v6
	v_fmac_f32_e32 v149, v127, v136
	v_add_f32_e32 v1, v1, v4
	v_add_f32_e32 v2, v2, v147
	s_waitcnt lgkmcnt(0)
	v_mul_f32_e32 v4, v131, v154
	s_waitcnt vmcnt(1)
	v_fma_f32 v3, v128, v142, -v3
	v_mul_f32_e32 v153, v130, v154
	v_add_f32_e32 v1, v1, v5
	v_fmac_f32_e32 v152, v129, v142
	v_add_f32_e32 v2, v2, v149
	v_mul_f32_e32 v5, v133, v135
	v_fma_f32 v4, v130, v141, -v4
	v_add_f32_e32 v1, v1, v3
	v_mul_f32_e32 v118, v132, v135
	v_fmac_f32_e32 v153, v131, v141
	v_add_f32_e32 v2, v2, v152
	v_fma_f32 v3, v132, v138, -v5
	v_add_f32_e32 v1, v1, v4
	v_fmac_f32_e32 v118, v133, v138
	v_add_f32_e32 v2, v2, v153
	v_add_f32_e32 v1, v1, v3
	;; [unrolled: 1-line block ×3, first 2 shown]
	s_waitcnt vmcnt(0)
	v_sub_f32_e32 v1, v145, v1
	v_sub_f32_e32 v2, v162, v2
	buffer_store_dword v1, off, s[0:3], 0 offset:40
	buffer_store_dword v2, off, s[0:3], 0 offset:44
	v_cmpx_lt_u32_e32 4, v0
	s_cbranch_execz .LBB115_317
; %bb.316:
	s_clause 0x1
	buffer_load_dword v1, off, s[0:3], 0 offset:32
	buffer_load_dword v2, off, s[0:3], 0 offset:36
	v_mov_b32_e32 v3, 0
	buffer_store_dword v3, off, s[0:3], 0 offset:32
	buffer_store_dword v3, off, s[0:3], 0 offset:36
	s_waitcnt vmcnt(0)
	ds_write_b64 v113, v[1:2]
.LBB115_317:
	s_or_b32 exec_lo, exec_lo, s4
	s_waitcnt lgkmcnt(0)
	s_waitcnt_vscnt null, 0x0
	s_barrier
	buffer_gl0_inv
	s_clause 0x2c
	buffer_load_dword v144, off, s[0:3], 0 offset:44
	buffer_load_dword v145, off, s[0:3], 0 offset:52
	;; [unrolled: 1-line block ×45, first 2 shown]
	v_mov_b32_e32 v1, 0
	ds_read2_b64 v[153:156], v1 offset0:57 offset1:58
	ds_read2_b64 v[157:160], v1 offset0:59 offset1:60
	buffer_load_dword v162, off, s[0:3], 0 offset:36
	s_mov_b32 s4, exec_lo
	s_waitcnt vmcnt(45) lgkmcnt(1)
	v_mul_f32_e32 v146, v153, v144
	v_mul_f32_e32 v161, v154, v144
	s_waitcnt vmcnt(44)
	v_mul_f32_e32 v144, v155, v145
	v_mul_f32_e32 v145, v156, v145
	s_waitcnt vmcnt(41)
	v_fmac_f32_e32 v146, v154, v115
	v_fma_f32 v161, v153, v115, -v161
	v_fmac_f32_e32 v144, v156, v7
	v_fma_f32 v145, v155, v7, -v145
	ds_read2_b64 v[153:156], v1 offset0:61 offset1:62
	s_waitcnt vmcnt(40) lgkmcnt(1)
	v_mul_f32_e32 v163, v157, v4
	s_waitcnt vmcnt(39)
	v_mul_f32_e32 v164, v159, v5
	v_mul_f32_e32 v4, v158, v4
	;; [unrolled: 1-line block ×3, first 2 shown]
	v_fmac_f32_e32 v163, v158, v2
	s_waitcnt vmcnt(35)
	v_fmac_f32_e32 v164, v160, v118
	v_fma_f32 v165, v157, v2, -v4
	v_fma_f32 v118, v159, v118, -v5
	ds_read2_b64 v[157:160], v1 offset0:63 offset1:64
	s_waitcnt vmcnt(34) lgkmcnt(1)
	v_mul_f32_e32 v166, v153, v117
	s_waitcnt vmcnt(33)
	v_mul_f32_e32 v167, v155, v116
	v_mul_f32_e32 v4, v156, v116
	;; [unrolled: 1-line block ×3, first 2 shown]
	v_fmac_f32_e32 v166, v154, v114
	v_fmac_f32_e32 v167, v156, v6
	v_fma_f32 v154, v155, v6, -v4
	ds_read2_b64 v[4:7], v1 offset0:65 offset1:66
	v_fma_f32 v153, v153, v114, -v2
	s_waitcnt vmcnt(32) lgkmcnt(1)
	v_mul_f32_e32 v155, v157, v8
	v_mul_f32_e32 v2, v158, v8
	s_waitcnt vmcnt(31)
	v_mul_f32_e32 v8, v159, v119
	v_mul_f32_e32 v114, v160, v119
	v_fmac_f32_e32 v155, v158, v3
	v_fma_f32 v119, v157, v3, -v2
	s_waitcnt vmcnt(27)
	v_fmac_f32_e32 v8, v160, v127
	v_fma_f32 v127, v159, v127, -v114
	ds_read2_b64 v[114:117], v1 offset0:67 offset1:68
	buffer_load_dword v157, off, s[0:3], 0 offset:228
	s_waitcnt vmcnt(27) lgkmcnt(1)
	v_mul_f32_e32 v156, v4, v125
	v_mul_f32_e32 v2, v5, v125
	s_waitcnt vmcnt(26)
	v_mul_f32_e32 v3, v7, v124
	v_mul_f32_e32 v125, v6, v124
	v_fmac_f32_e32 v156, v5, v123
	v_fma_f32 v123, v4, v123, -v2
	v_fma_f32 v6, v6, v121, -v3
	ds_read2_b64 v[2:5], v1 offset0:69 offset1:70
	v_fmac_f32_e32 v125, v7, v121
	s_waitcnt vmcnt(25) lgkmcnt(1)
	v_mul_f32_e32 v7, v114, v122
	v_mul_f32_e32 v121, v115, v122
	s_waitcnt vmcnt(24)
	v_mul_f32_e32 v122, v116, v126
	v_mul_f32_e32 v124, v117, v126
	v_fmac_f32_e32 v7, v115, v120
	v_fma_f32 v120, v114, v120, -v121
	s_waitcnt vmcnt(20)
	v_fmac_f32_e32 v122, v117, v135
	v_fma_f32 v121, v116, v135, -v124
	ds_read2_b64 v[114:117], v1 offset0:71 offset1:72
	s_waitcnt vmcnt(19) lgkmcnt(1)
	v_mul_f32_e32 v124, v2, v133
	v_mul_f32_e32 v126, v3, v133
	s_waitcnt vmcnt(18)
	v_mul_f32_e32 v133, v4, v132
	v_mul_f32_e32 v132, v5, v132
	v_fmac_f32_e32 v124, v3, v131
	v_fma_f32 v126, v2, v131, -v126
	v_fmac_f32_e32 v133, v5, v129
	v_fma_f32 v129, v4, v129, -v132
	ds_read2_b64 v[2:5], v1 offset0:73 offset1:74
	s_waitcnt vmcnt(17) lgkmcnt(1)
	v_mul_f32_e32 v131, v114, v130
	v_mul_f32_e32 v130, v115, v130
	s_waitcnt vmcnt(16)
	v_mul_f32_e32 v132, v116, v134
	v_mul_f32_e32 v134, v117, v134
	v_fmac_f32_e32 v131, v115, v128
	v_fma_f32 v128, v114, v128, -v130
	s_waitcnt vmcnt(12)
	v_fmac_f32_e32 v132, v117, v142
	v_fma_f32 v130, v116, v142, -v134
	ds_read2_b64 v[114:117], v1 offset0:75 offset1:76
	s_waitcnt vmcnt(11) lgkmcnt(1)
	v_mul_f32_e32 v134, v2, v141
	v_mul_f32_e32 v135, v3, v141
	s_waitcnt vmcnt(10)
	v_mul_f32_e32 v141, v4, v140
	v_mul_f32_e32 v140, v5, v140
	v_fmac_f32_e32 v134, v3, v139
	v_fma_f32 v135, v2, v139, -v135
	v_fmac_f32_e32 v141, v5, v137
	v_fma_f32 v137, v4, v137, -v140
	ds_read2_b64 v[2:5], v1 offset0:77 offset1:78
	s_waitcnt vmcnt(8) lgkmcnt(1)
	v_mul_f32_e32 v140, v116, v143
	v_mul_f32_e32 v142, v117, v143
	buffer_load_dword v143, off, s[0:3], 0 offset:220
	v_mul_f32_e32 v139, v114, v138
	v_mul_f32_e32 v138, v115, v138
	s_waitcnt vmcnt(5)
	v_fmac_f32_e32 v140, v117, v152
	v_fmac_f32_e32 v139, v115, v136
	v_fma_f32 v136, v114, v136, -v138
	v_fma_f32 v138, v116, v152, -v142
	ds_read2_b64 v[114:117], v1 offset0:79 offset1:80
	s_waitcnt vmcnt(4) lgkmcnt(1)
	v_mul_f32_e32 v142, v2, v151
	v_mul_f32_e32 v151, v3, v151
	s_waitcnt vmcnt(3)
	v_mul_f32_e32 v152, v4, v150
	v_mul_f32_e32 v150, v5, v150
	v_fmac_f32_e32 v142, v3, v149
	v_fma_f32 v149, v2, v149, -v151
	v_fmac_f32_e32 v152, v5, v148
	v_fma_f32 v148, v4, v148, -v150
	s_clause 0x4
	buffer_load_dword v150, off, s[0:3], 0 offset:248
	buffer_load_dword v151, off, s[0:3], 0 offset:240
	;; [unrolled: 1-line block ×5, first 2 shown]
	s_waitcnt vmcnt(5) lgkmcnt(0)
	v_mul_f32_e32 v160, v114, v143
	v_mul_f32_e32 v3, v115, v143
	v_fmac_f32_e32 v160, v115, v147
	v_fma_f32 v143, v114, v147, -v3
	v_mul_f32_e32 v147, v116, v157
	v_mul_f32_e32 v3, v117, v157
	s_waitcnt vmcnt(1)
	v_fmac_f32_e32 v147, v117, v2
	v_fma_f32 v157, v116, v2, -v3
	ds_read2_b64 v[2:5], v1 offset0:81 offset1:82
	ds_read2_b64 v[114:117], v1 offset0:83 offset1:84
	s_waitcnt vmcnt(0) lgkmcnt(1)
	v_mul_f32_e32 v168, v2, v159
	v_mul_f32_e32 v159, v3, v159
	v_fmac_f32_e32 v168, v3, v158
	v_fma_f32 v158, v2, v158, -v159
	buffer_load_dword v2, off, s[0:3], 0 offset:244
	s_waitcnt vmcnt(0)
	v_mul_f32_e32 v159, v4, v2
	v_mul_f32_e32 v2, v5, v2
	v_fmac_f32_e32 v159, v5, v151
	v_fma_f32 v151, v4, v151, -v2
	buffer_load_dword v2, off, s[0:3], 0 offset:252
	s_waitcnt vmcnt(0) lgkmcnt(0)
	v_mul_f32_e32 v169, v114, v2
	v_mul_f32_e32 v2, v115, v2
	v_fmac_f32_e32 v169, v115, v150
	v_fma_f32 v150, v114, v150, -v2
	s_clause 0x5
	buffer_load_dword v2, off, s[0:3], 0 offset:260
	buffer_load_dword v170, off, s[0:3], 0 offset:280
	;; [unrolled: 1-line block ×6, first 2 shown]
	s_waitcnt vmcnt(5)
	v_mul_f32_e32 v173, v116, v2
	v_mul_f32_e32 v2, v117, v2
	s_waitcnt vmcnt(1)
	v_fmac_f32_e32 v173, v117, v3
	v_fma_f32 v174, v116, v3, -v2
	ds_read2_b64 v[2:5], v1 offset0:85 offset1:86
	ds_read2_b64 v[114:117], v1 offset0:87 offset1:88
	s_waitcnt vmcnt(0) lgkmcnt(1)
	v_mul_f32_e32 v176, v2, v175
	v_mul_f32_e32 v175, v3, v175
	v_fmac_f32_e32 v176, v3, v172
	v_fma_f32 v172, v2, v172, -v175
	buffer_load_dword v2, off, s[0:3], 0 offset:276
	s_waitcnt vmcnt(0)
	v_mul_f32_e32 v175, v4, v2
	v_mul_f32_e32 v2, v5, v2
	v_fmac_f32_e32 v175, v5, v171
	v_fma_f32 v171, v4, v171, -v2
	buffer_load_dword v2, off, s[0:3], 0 offset:284
	s_waitcnt vmcnt(0) lgkmcnt(0)
	v_mul_f32_e32 v177, v114, v2
	v_mul_f32_e32 v2, v115, v2
	v_fmac_f32_e32 v177, v115, v170
	v_fma_f32 v170, v114, v170, -v2
	s_clause 0x4
	buffer_load_dword v2, off, s[0:3], 0 offset:292
	buffer_load_dword v178, off, s[0:3], 0 offset:312
	;; [unrolled: 1-line block ×5, first 2 shown]
	s_waitcnt vmcnt(4)
	v_mul_f32_e32 v181, v116, v2
	v_mul_f32_e32 v2, v117, v2
	s_waitcnt vmcnt(0)
	v_fmac_f32_e32 v181, v117, v3
	v_fma_f32 v182, v116, v3, -v2
	v_add_f32_e32 v2, 0, v146
	v_add_f32_e32 v3, 0, v161
	;; [unrolled: 1-line block ×8, first 2 shown]
	buffer_load_dword v118, off, s[0:3], 0 offset:300
	v_add_f32_e32 v2, v2, v166
	v_add_f32_e32 v3, v3, v153
	;; [unrolled: 1-line block ×6, first 2 shown]
	buffer_load_dword v119, off, s[0:3], 0 offset:308
	v_add_f32_e32 v2, v2, v8
	v_add_f32_e32 v3, v3, v127
	s_clause 0x1
	buffer_load_dword v8, off, s[0:3], 0 offset:316
	buffer_load_dword v127, off, s[0:3], 0 offset:324
	v_add_f32_e32 v2, v2, v156
	v_add_f32_e32 v3, v3, v123
	;; [unrolled: 1-line block ×4, first 2 shown]
	s_clause 0x6
	buffer_load_dword v144, off, s[0:3], 0 offset:344
	buffer_load_dword v145, off, s[0:3], 0 offset:336
	;; [unrolled: 1-line block ×7, first 2 shown]
	v_add_f32_e32 v2, v2, v7
	v_add_f32_e32 v3, v3, v120
	;; [unrolled: 1-line block ×8, first 2 shown]
	s_clause 0x3
	buffer_load_dword v133, off, s[0:3], 0 offset:356
	buffer_load_dword v156, off, s[0:3], 0 offset:364
	buffer_load_dword v161, off, s[0:3], 0 offset:372
	buffer_load_dword v163, off, s[0:3], 0 offset:380
	v_add_f32_e32 v2, v2, v131
	v_add_f32_e32 v3, v3, v128
	s_clause 0x1
	buffer_load_dword v131, off, s[0:3], 0 offset:388
	buffer_load_dword v164, off, s[0:3], 0 offset:396
	v_add_f32_e32 v2, v2, v132
	v_add_f32_e32 v3, v3, v130
	s_clause 0x1
	buffer_load_dword v132, off, s[0:3], 0 offset:404
	buffer_load_dword v165, off, s[0:3], 0 offset:412
	v_add_f32_e32 v2, v2, v134
	v_add_f32_e32 v3, v3, v135
	;; [unrolled: 1-line block ×3, first 2 shown]
	s_clause 0x3
	buffer_load_dword v130, off, s[0:3], 0 offset:376
	buffer_load_dword v134, off, s[0:3], 0 offset:368
	;; [unrolled: 1-line block ×4, first 2 shown]
	v_add_f32_e32 v3, v3, v137
	v_add_f32_e32 v2, v2, v139
	;; [unrolled: 1-line block ×4, first 2 shown]
	s_clause 0x3
	buffer_load_dword v136, off, s[0:3], 0 offset:408
	buffer_load_dword v137, off, s[0:3], 0 offset:400
	;; [unrolled: 1-line block ×4, first 2 shown]
	v_add_f32_e32 v3, v3, v138
	buffer_load_dword v138, off, s[0:3], 0 offset:32
	v_add_f32_e32 v2, v2, v142
	v_add_f32_e32 v3, v3, v149
	v_add_f32_e32 v7, v2, v152
	v_add_f32_e32 v114, v3, v148
	ds_read2_b64 v[2:5], v1 offset0:89 offset1:90
	v_add_f32_e32 v7, v7, v160
	v_add_f32_e32 v114, v114, v143
	;; [unrolled: 1-line block ×6, first 2 shown]
	ds_read2_b64 v[114:117], v1 offset0:91 offset1:92
	v_add_f32_e32 v7, v7, v159
	v_add_f32_e32 v120, v120, v151
	;; [unrolled: 1-line block ×8, first 2 shown]
	s_waitcnt vmcnt(27) lgkmcnt(1)
	v_mul_f32_e32 v142, v2, v118
	v_mul_f32_e32 v118, v3, v118
	v_fmac_f32_e32 v142, v3, v180
	v_add_f32_e32 v3, v120, v150
	v_fma_f32 v147, v2, v180, -v118
	v_add_f32_e32 v142, v152, v142
	v_add_f32_e32 v126, v3, v174
	s_waitcnt vmcnt(26)
	v_mul_f32_e32 v143, v4, v119
	v_add_f32_e32 v126, v126, v172
	v_mul_f32_e32 v119, v5, v119
	s_waitcnt vmcnt(25) lgkmcnt(0)
	v_mul_f32_e32 v149, v114, v8
	v_mul_f32_e32 v8, v115, v8
	v_add_f32_e32 v126, v126, v171
	v_fmac_f32_e32 v143, v5, v179
	v_fma_f32 v148, v4, v179, -v119
	ds_read2_b64 v[2:5], v1 offset0:93 offset1:94
	ds_read2_b64 v[118:121], v1 offset0:95 offset1:96
	v_fma_f32 v8, v114, v178, -v8
	v_add_f32_e32 v114, v126, v170
	s_waitcnt vmcnt(24)
	v_mul_f32_e32 v151, v117, v127
	v_mul_f32_e32 v150, v116, v127
	v_fmac_f32_e32 v149, v115, v178
	v_add_f32_e32 v142, v142, v143
	v_add_f32_e32 v157, v114, v182
	ds_read2_b64 v[122:125], v1 offset0:97 offset1:98
	ds_read2_b64 v[126:129], v1 offset0:99 offset1:100
	s_waitcnt vmcnt(20)
	v_fma_f32 v151, v116, v6, -v151
	v_fmac_f32_e32 v150, v117, v6
	v_add_f32_e32 v147, v157, v147
	v_add_f32_e32 v142, v142, v149
	ds_read2_b64 v[114:117], v1 offset0:101 offset1:102
	ds_read_b64 v[6:7], v1 offset:824
	v_add_f32_e32 v147, v147, v148
	v_add_f32_e32 v142, v142, v150
	s_waitcnt vmcnt(19) lgkmcnt(5)
	v_mul_f32_e32 v158, v2, v153
	v_mul_f32_e32 v153, v3, v153
	s_waitcnt vmcnt(18)
	v_mul_f32_e32 v159, v4, v154
	v_add_f32_e32 v8, v147, v8
	v_mul_f32_e32 v154, v5, v154
	v_fmac_f32_e32 v158, v3, v146
	v_fma_f32 v2, v2, v146, -v153
	s_waitcnt vmcnt(17) lgkmcnt(4)
	v_mul_f32_e32 v152, v118, v155
	v_add_f32_e32 v8, v8, v151
	v_mul_f32_e32 v151, v119, v155
	v_fma_f32 v4, v4, v145, -v154
	v_fmac_f32_e32 v159, v5, v145
	v_add_f32_e32 v5, v142, v158
	v_add_f32_e32 v2, v8, v2
	s_waitcnt vmcnt(16)
	v_mul_f32_e32 v8, v121, v133
	v_fma_f32 v118, v118, v144, -v151
	v_mul_f32_e32 v148, v120, v133
	v_fmac_f32_e32 v152, v119, v144
	v_add_f32_e32 v2, v2, v4
	v_add_f32_e32 v4, v5, v159
	s_waitcnt vmcnt(15) lgkmcnt(3)
	v_mul_f32_e32 v5, v123, v156
	v_mul_f32_e32 v157, v122, v156
	s_waitcnt vmcnt(14)
	v_mul_f32_e32 v143, v124, v161
	v_add_f32_e32 v2, v2, v118
	v_add_f32_e32 v4, v4, v152
	s_waitcnt vmcnt(5)
	v_fma_f32 v8, v120, v141, -v8
	v_fmac_f32_e32 v148, v121, v141
	v_mul_f32_e32 v118, v125, v161
	v_fma_f32 v5, v122, v135, -v5
	v_fmac_f32_e32 v157, v123, v135
	v_add_f32_e32 v2, v2, v8
	v_add_f32_e32 v4, v4, v148
	s_waitcnt lgkmcnt(2)
	v_mul_f32_e32 v8, v127, v163
	v_fma_f32 v118, v124, v134, -v118
	v_mul_f32_e32 v147, v126, v163
	v_add_f32_e32 v2, v2, v5
	v_fmac_f32_e32 v143, v125, v134
	v_add_f32_e32 v4, v4, v157
	v_mul_f32_e32 v5, v129, v131
	v_fma_f32 v8, v126, v130, -v8
	v_add_f32_e32 v2, v2, v118
	v_mul_f32_e32 v3, v128, v131
	v_fmac_f32_e32 v147, v127, v130
	v_add_f32_e32 v4, v4, v143
	s_waitcnt lgkmcnt(1)
	v_mul_f32_e32 v118, v115, v164
	s_waitcnt vmcnt(1)
	v_fma_f32 v5, v128, v140, -v5
	v_add_f32_e32 v2, v2, v8
	v_mul_f32_e32 v146, v114, v164
	v_fmac_f32_e32 v3, v129, v140
	v_add_f32_e32 v4, v4, v147
	v_mul_f32_e32 v8, v117, v132
	v_fma_f32 v114, v114, v139, -v118
	v_add_f32_e32 v2, v2, v5
	v_mul_f32_e32 v149, v116, v132
	v_fmac_f32_e32 v146, v115, v139
	v_add_f32_e32 v3, v4, v3
	s_waitcnt lgkmcnt(0)
	v_mul_f32_e32 v4, v7, v165
	v_fma_f32 v5, v116, v137, -v8
	v_add_f32_e32 v2, v2, v114
	v_mul_f32_e32 v150, v6, v165
	v_fmac_f32_e32 v149, v117, v137
	v_add_f32_e32 v3, v3, v146
	v_fma_f32 v4, v6, v136, -v4
	v_add_f32_e32 v2, v2, v5
	v_fmac_f32_e32 v150, v7, v136
	v_add_f32_e32 v3, v3, v149
	v_add_f32_e32 v2, v2, v4
	;; [unrolled: 1-line block ×3, first 2 shown]
	s_waitcnt vmcnt(0)
	v_sub_f32_e32 v2, v138, v2
	v_sub_f32_e32 v3, v162, v3
	buffer_store_dword v2, off, s[0:3], 0 offset:32
	buffer_store_dword v3, off, s[0:3], 0 offset:36
	v_cmpx_lt_u32_e32 3, v0
	s_cbranch_execz .LBB115_319
; %bb.318:
	s_clause 0x1
	buffer_load_dword v2, off, s[0:3], 0 offset:24
	buffer_load_dword v3, off, s[0:3], 0 offset:28
	buffer_store_dword v1, off, s[0:3], 0 offset:24
	buffer_store_dword v1, off, s[0:3], 0 offset:28
	s_waitcnt vmcnt(0)
	ds_write_b64 v113, v[2:3]
.LBB115_319:
	s_or_b32 exec_lo, exec_lo, s4
	s_waitcnt lgkmcnt(0)
	s_waitcnt_vscnt null, 0x0
	s_barrier
	buffer_gl0_inv
	s_clause 0x2c
	buffer_load_dword v144, off, s[0:3], 0 offset:36
	buffer_load_dword v145, off, s[0:3], 0 offset:44
	buffer_load_dword v2, off, s[0:3], 0 offset:48
	buffer_load_dword v7, off, s[0:3], 0 offset:40
	buffer_load_dword v115, off, s[0:3], 0 offset:32
	buffer_load_dword v4, off, s[0:3], 0 offset:52
	buffer_load_dword v5, off, s[0:3], 0 offset:60
	buffer_load_dword v3, off, s[0:3], 0 offset:80
	buffer_load_dword v6, off, s[0:3], 0 offset:72
	buffer_load_dword v114, off, s[0:3], 0 offset:64
	buffer_load_dword v118, off, s[0:3], 0 offset:56
	buffer_load_dword v117, off, s[0:3], 0 offset:68
	buffer_load_dword v116, off, s[0:3], 0 offset:76
	buffer_load_dword v8, off, s[0:3], 0 offset:84
	buffer_load_dword v119, off, s[0:3], 0 offset:92
	buffer_load_dword v120, off, s[0:3], 0 offset:112
	buffer_load_dword v121, off, s[0:3], 0 offset:104
	buffer_load_dword v123, off, s[0:3], 0 offset:96
	buffer_load_dword v127, off, s[0:3], 0 offset:88
	buffer_load_dword v125, off, s[0:3], 0 offset:100
	buffer_load_dword v124, off, s[0:3], 0 offset:108
	buffer_load_dword v122, off, s[0:3], 0 offset:116
	buffer_load_dword v126, off, s[0:3], 0 offset:124
	buffer_load_dword v128, off, s[0:3], 0 offset:144
	buffer_load_dword v129, off, s[0:3], 0 offset:136
	buffer_load_dword v131, off, s[0:3], 0 offset:128
	buffer_load_dword v135, off, s[0:3], 0 offset:120
	buffer_load_dword v133, off, s[0:3], 0 offset:132
	buffer_load_dword v132, off, s[0:3], 0 offset:140
	buffer_load_dword v130, off, s[0:3], 0 offset:148
	buffer_load_dword v134, off, s[0:3], 0 offset:156
	buffer_load_dword v136, off, s[0:3], 0 offset:176
	buffer_load_dword v137, off, s[0:3], 0 offset:168
	buffer_load_dword v139, off, s[0:3], 0 offset:160
	buffer_load_dword v143, off, s[0:3], 0 offset:152
	buffer_load_dword v141, off, s[0:3], 0 offset:164
	buffer_load_dword v140, off, s[0:3], 0 offset:172
	buffer_load_dword v138, off, s[0:3], 0 offset:180
	buffer_load_dword v142, off, s[0:3], 0 offset:188
	buffer_load_dword v147, off, s[0:3], 0 offset:208
	buffer_load_dword v148, off, s[0:3], 0 offset:200
	buffer_load_dword v149, off, s[0:3], 0 offset:192
	buffer_load_dword v152, off, s[0:3], 0 offset:184
	buffer_load_dword v151, off, s[0:3], 0 offset:196
	buffer_load_dword v150, off, s[0:3], 0 offset:204
	ds_read_b128 v[153:156], v1 offset:448
	ds_read_b128 v[157:160], v1 offset:464
	s_mov_b32 s4, exec_lo
	s_waitcnt vmcnt(44) lgkmcnt(1)
	v_mul_f32_e32 v146, v153, v144
	v_mul_f32_e32 v161, v154, v144
	s_waitcnt vmcnt(43)
	v_mul_f32_e32 v144, v155, v145
	v_mul_f32_e32 v162, v156, v145
	buffer_load_dword v145, off, s[0:3], 0 offset:28
	s_waitcnt vmcnt(41)
	v_fmac_f32_e32 v146, v154, v115
	v_fma_f32 v161, v153, v115, -v161
	v_fmac_f32_e32 v144, v156, v7
	v_fma_f32 v162, v155, v7, -v162
	ds_read_b128 v[153:156], v1 offset:480
	s_waitcnt vmcnt(40) lgkmcnt(1)
	v_mul_f32_e32 v163, v157, v4
	s_waitcnt vmcnt(39)
	v_mul_f32_e32 v164, v159, v5
	v_mul_f32_e32 v4, v158, v4
	;; [unrolled: 1-line block ×3, first 2 shown]
	v_fmac_f32_e32 v163, v158, v2
	s_waitcnt vmcnt(35)
	v_fmac_f32_e32 v164, v160, v118
	v_fma_f32 v165, v157, v2, -v4
	v_fma_f32 v118, v159, v118, -v5
	ds_read_b128 v[157:160], v1 offset:496
	s_waitcnt vmcnt(34) lgkmcnt(1)
	v_mul_f32_e32 v166, v153, v117
	s_waitcnt vmcnt(33)
	v_mul_f32_e32 v167, v155, v116
	v_mul_f32_e32 v4, v156, v116
	;; [unrolled: 1-line block ×3, first 2 shown]
	v_fmac_f32_e32 v166, v154, v114
	v_fmac_f32_e32 v167, v156, v6
	v_fma_f32 v154, v155, v6, -v4
	ds_read_b128 v[4:7], v1 offset:512
	v_fma_f32 v153, v153, v114, -v2
	s_waitcnt vmcnt(32) lgkmcnt(1)
	v_mul_f32_e32 v155, v157, v8
	v_mul_f32_e32 v2, v158, v8
	s_waitcnt vmcnt(31)
	v_mul_f32_e32 v8, v159, v119
	v_mul_f32_e32 v114, v160, v119
	v_fmac_f32_e32 v155, v158, v3
	v_fma_f32 v119, v157, v3, -v2
	s_waitcnt vmcnt(27)
	v_fmac_f32_e32 v8, v160, v127
	v_fma_f32 v127, v159, v127, -v114
	ds_read_b128 v[114:117], v1 offset:528
	buffer_load_dword v157, off, s[0:3], 0 offset:220
	s_waitcnt vmcnt(27) lgkmcnt(1)
	v_mul_f32_e32 v156, v4, v125
	v_mul_f32_e32 v2, v5, v125
	s_waitcnt vmcnt(26)
	v_mul_f32_e32 v3, v7, v124
	v_mul_f32_e32 v125, v6, v124
	v_fmac_f32_e32 v156, v5, v123
	v_fma_f32 v123, v4, v123, -v2
	v_fma_f32 v6, v6, v121, -v3
	ds_read_b128 v[2:5], v1 offset:544
	v_fmac_f32_e32 v125, v7, v121
	s_waitcnt vmcnt(25) lgkmcnt(1)
	v_mul_f32_e32 v7, v114, v122
	v_mul_f32_e32 v121, v115, v122
	s_waitcnt vmcnt(24)
	v_mul_f32_e32 v122, v116, v126
	v_mul_f32_e32 v124, v117, v126
	v_fmac_f32_e32 v7, v115, v120
	v_fma_f32 v120, v114, v120, -v121
	s_waitcnt vmcnt(20)
	v_fmac_f32_e32 v122, v117, v135
	v_fma_f32 v121, v116, v135, -v124
	ds_read_b128 v[114:117], v1 offset:560
	s_waitcnt vmcnt(19) lgkmcnt(1)
	v_mul_f32_e32 v124, v2, v133
	v_mul_f32_e32 v126, v3, v133
	s_waitcnt vmcnt(18)
	v_mul_f32_e32 v133, v4, v132
	v_mul_f32_e32 v132, v5, v132
	v_fmac_f32_e32 v124, v3, v131
	v_fma_f32 v126, v2, v131, -v126
	v_fmac_f32_e32 v133, v5, v129
	v_fma_f32 v129, v4, v129, -v132
	ds_read_b128 v[2:5], v1 offset:576
	s_waitcnt vmcnt(17) lgkmcnt(1)
	v_mul_f32_e32 v131, v114, v130
	v_mul_f32_e32 v130, v115, v130
	s_waitcnt vmcnt(16)
	v_mul_f32_e32 v132, v116, v134
	v_mul_f32_e32 v134, v117, v134
	v_fmac_f32_e32 v131, v115, v128
	v_fma_f32 v128, v114, v128, -v130
	s_waitcnt vmcnt(12)
	v_fmac_f32_e32 v132, v117, v143
	v_fma_f32 v130, v116, v143, -v134
	ds_read_b128 v[114:117], v1 offset:592
	buffer_load_dword v143, off, s[0:3], 0 offset:212
	s_waitcnt vmcnt(12) lgkmcnt(1)
	v_mul_f32_e32 v134, v2, v141
	v_mul_f32_e32 v135, v3, v141
	s_waitcnt vmcnt(11)
	v_mul_f32_e32 v141, v4, v140
	v_mul_f32_e32 v140, v5, v140
	v_fmac_f32_e32 v134, v3, v139
	v_fma_f32 v135, v2, v139, -v135
	v_fmac_f32_e32 v141, v5, v137
	v_fma_f32 v137, v4, v137, -v140
	ds_read_b128 v[2:5], v1 offset:608
	s_waitcnt vmcnt(10) lgkmcnt(1)
	v_mul_f32_e32 v139, v114, v138
	v_mul_f32_e32 v138, v115, v138
	s_waitcnt vmcnt(9)
	v_mul_f32_e32 v140, v116, v142
	v_mul_f32_e32 v142, v117, v142
	v_fmac_f32_e32 v139, v115, v136
	v_fma_f32 v136, v114, v136, -v138
	s_waitcnt vmcnt(5)
	v_fmac_f32_e32 v140, v117, v152
	v_fma_f32 v138, v116, v152, -v142
	ds_read_b128 v[114:117], v1 offset:624
	s_waitcnt vmcnt(4) lgkmcnt(1)
	v_mul_f32_e32 v142, v2, v151
	v_mul_f32_e32 v151, v3, v151
	s_waitcnt vmcnt(3)
	v_mul_f32_e32 v152, v4, v150
	v_mul_f32_e32 v150, v5, v150
	v_fmac_f32_e32 v142, v3, v149
	v_fma_f32 v149, v2, v149, -v151
	v_fmac_f32_e32 v152, v5, v148
	v_fma_f32 v148, v4, v148, -v150
	s_clause 0x4
	buffer_load_dword v150, off, s[0:3], 0 offset:240
	buffer_load_dword v151, off, s[0:3], 0 offset:232
	;; [unrolled: 1-line block ×5, first 2 shown]
	s_waitcnt vmcnt(5) lgkmcnt(0)
	v_mul_f32_e32 v160, v114, v143
	v_mul_f32_e32 v3, v115, v143
	v_fmac_f32_e32 v160, v115, v147
	v_fma_f32 v143, v114, v147, -v3
	v_mul_f32_e32 v147, v116, v157
	v_mul_f32_e32 v3, v117, v157
	s_waitcnt vmcnt(1)
	v_fmac_f32_e32 v147, v117, v2
	v_fma_f32 v157, v116, v2, -v3
	ds_read_b128 v[2:5], v1 offset:640
	ds_read_b128 v[114:117], v1 offset:656
	s_waitcnt vmcnt(0) lgkmcnt(1)
	v_mul_f32_e32 v168, v2, v159
	v_mul_f32_e32 v159, v3, v159
	v_fmac_f32_e32 v168, v3, v158
	v_fma_f32 v158, v2, v158, -v159
	buffer_load_dword v2, off, s[0:3], 0 offset:236
	s_waitcnt vmcnt(0)
	v_mul_f32_e32 v159, v4, v2
	v_mul_f32_e32 v2, v5, v2
	v_fmac_f32_e32 v159, v5, v151
	v_fma_f32 v151, v4, v151, -v2
	buffer_load_dword v2, off, s[0:3], 0 offset:244
	s_waitcnt vmcnt(0) lgkmcnt(0)
	v_mul_f32_e32 v169, v114, v2
	v_mul_f32_e32 v2, v115, v2
	v_fmac_f32_e32 v169, v115, v150
	v_fma_f32 v150, v114, v150, -v2
	s_clause 0x5
	buffer_load_dword v2, off, s[0:3], 0 offset:252
	buffer_load_dword v170, off, s[0:3], 0 offset:272
	;; [unrolled: 1-line block ×6, first 2 shown]
	s_waitcnt vmcnt(5)
	v_mul_f32_e32 v173, v116, v2
	v_mul_f32_e32 v2, v117, v2
	s_waitcnt vmcnt(1)
	v_fmac_f32_e32 v173, v117, v3
	v_fma_f32 v174, v116, v3, -v2
	ds_read_b128 v[2:5], v1 offset:672
	ds_read_b128 v[114:117], v1 offset:688
	s_waitcnt vmcnt(0) lgkmcnt(1)
	v_mul_f32_e32 v176, v2, v175
	v_mul_f32_e32 v175, v3, v175
	v_fmac_f32_e32 v176, v3, v172
	v_fma_f32 v172, v2, v172, -v175
	buffer_load_dword v2, off, s[0:3], 0 offset:268
	v_add_f32_e32 v3, 0, v161
	v_add_f32_e32 v3, v3, v162
	;; [unrolled: 1-line block ×22, first 2 shown]
	s_waitcnt vmcnt(0)
	v_mul_f32_e32 v175, v4, v2
	v_mul_f32_e32 v2, v5, v2
	v_fmac_f32_e32 v175, v5, v171
	v_fma_f32 v171, v4, v171, -v2
	s_clause 0x1
	buffer_load_dword v4, off, s[0:3], 0 offset:276
	buffer_load_dword v5, off, s[0:3], 0 offset:284
	v_add_f32_e32 v2, 0, v146
	v_add_f32_e32 v2, v2, v144
	;; [unrolled: 1-line block ×8, first 2 shown]
	s_clause 0x6
	buffer_load_dword v8, off, s[0:3], 0 offset:304
	buffer_load_dword v118, off, s[0:3], 0 offset:296
	;; [unrolled: 1-line block ×7, first 2 shown]
	v_add_f32_e32 v2, v2, v156
	v_add_f32_e32 v2, v2, v125
	;; [unrolled: 1-line block ×3, first 2 shown]
	buffer_load_dword v7, off, s[0:3], 0 offset:316
	v_add_f32_e32 v2, v2, v122
	s_clause 0x7
	buffer_load_dword v153, off, s[0:3], 0 offset:336
	buffer_load_dword v154, off, s[0:3], 0 offset:328
	;; [unrolled: 1-line block ×8, first 2 shown]
	v_add_f32_e32 v2, v2, v124
	s_clause 0x2
	buffer_load_dword v164, off, s[0:3], 0 offset:356
	buffer_load_dword v165, off, s[0:3], 0 offset:364
	;; [unrolled: 1-line block ×3, first 2 shown]
	v_add_f32_e32 v2, v2, v133
	v_add_f32_e32 v2, v2, v131
	;; [unrolled: 1-line block ×9, first 2 shown]
	s_waitcnt vmcnt(20) lgkmcnt(0)
	v_mul_f32_e32 v125, v114, v4
	v_mul_f32_e32 v4, v115, v4
	s_waitcnt vmcnt(19)
	v_mul_f32_e32 v126, v116, v5
	v_fmac_f32_e32 v125, v115, v170
	v_fma_f32 v146, v114, v170, -v4
	s_clause 0xe
	buffer_load_dword v167, off, s[0:3], 0 offset:380
	buffer_load_dword v170, off, s[0:3], 0 offset:388
	;; [unrolled: 1-line block ×15, first 2 shown]
	v_mul_f32_e32 v4, v117, v5
	v_add_f32_e32 v114, v2, v160
	v_add_f32_e32 v115, v3, v143
	v_add_f32_e32 v114, v114, v147
	v_add_f32_e32 v115, v115, v157
	v_add_f32_e32 v120, v114, v168
	v_add_f32_e32 v121, v115, v158
	v_add_f32_e32 v120, v120, v159
	v_add_f32_e32 v121, v121, v151
	s_waitcnt vmcnt(30)
	v_fma_f32 v133, v116, v127, -v4
	ds_read_b128 v[2:5], v1 offset:704
	v_fmac_f32_e32 v126, v117, v127
	ds_read_b128 v[114:117], v1 offset:720
	s_waitcnt vmcnt(29) lgkmcnt(1)
	v_mul_f32_e32 v130, v2, v144
	v_mul_f32_e32 v124, v3, v144
	s_waitcnt vmcnt(28)
	v_mul_f32_e32 v143, v4, v123
	v_mul_f32_e32 v123, v5, v123
	s_waitcnt vmcnt(27) lgkmcnt(0)
	v_mul_f32_e32 v148, v114, v6
	v_fmac_f32_e32 v130, v3, v119
	v_fma_f32 v144, v2, v119, -v124
	v_add_f32_e32 v119, v120, v169
	v_fma_f32 v147, v4, v118, -v123
	v_add_f32_e32 v123, v121, v150
	v_fmac_f32_e32 v143, v5, v118
	ds_read_b128 v[2:5], v1 offset:736
	v_add_f32_e32 v124, v119, v173
	v_mul_f32_e32 v6, v115, v6
	v_add_f32_e32 v123, v123, v174
	v_fmac_f32_e32 v148, v115, v8
	ds_read_b128 v[118:121], v1 offset:752
	v_add_f32_e32 v124, v124, v176
	v_fma_f32 v6, v114, v8, -v6
	v_add_f32_e32 v123, v123, v172
	s_waitcnt vmcnt(26)
	v_mul_f32_e32 v150, v116, v7
	v_mul_f32_e32 v7, v117, v7
	v_add_f32_e32 v115, v124, v175
	v_add_f32_e32 v8, v123, v171
	s_waitcnt vmcnt(22)
	v_fmac_f32_e32 v150, v117, v122
	v_fma_f32 v7, v116, v122, -v7
	v_add_f32_e32 v127, v115, v125
	ds_read_b128 v[114:117], v1 offset:768
	ds_read_b128 v[122:125], v1 offset:784
	v_add_f32_e32 v8, v8, v146
	s_waitcnt vmcnt(21) lgkmcnt(3)
	v_mul_f32_e32 v146, v2, v156
	v_mul_f32_e32 v131, v3, v156
	v_add_f32_e32 v132, v127, v126
	v_add_f32_e32 v8, v8, v133
	ds_read_b128 v[126:129], v1 offset:800
	v_fmac_f32_e32 v146, v3, v155
	v_fma_f32 v2, v2, v155, -v131
	v_add_f32_e32 v3, v132, v130
	ds_read_b128 v[130:133], v1 offset:816
	v_add_f32_e32 v1, v8, v144
	s_waitcnt vmcnt(20)
	v_mul_f32_e32 v144, v5, v161
	v_mul_f32_e32 v8, v4, v161
	v_add_f32_e32 v3, v3, v143
	s_waitcnt vmcnt(19) lgkmcnt(4)
	v_mul_f32_e32 v151, v119, v162
	v_add_f32_e32 v1, v1, v147
	v_fma_f32 v4, v4, v154, -v144
	v_mul_f32_e32 v143, v118, v162
	v_add_f32_e32 v3, v3, v148
	v_fmac_f32_e32 v8, v5, v154
	v_add_f32_e32 v1, v1, v6
	v_fma_f32 v118, v118, v153, -v151
	s_waitcnt vmcnt(18)
	v_mul_f32_e32 v147, v120, v163
	v_add_f32_e32 v3, v3, v150
	v_fmac_f32_e32 v143, v119, v153
	v_add_f32_e32 v1, v1, v7
	v_mul_f32_e32 v7, v121, v163
	s_waitcnt vmcnt(17) lgkmcnt(3)
	v_mul_f32_e32 v5, v114, v164
	s_waitcnt vmcnt(16)
	v_mul_f32_e32 v144, v116, v165
	s_waitcnt vmcnt(15) lgkmcnt(2)
	v_mul_f32_e32 v6, v122, v166
	v_add_f32_e32 v1, v1, v2
	v_add_f32_e32 v2, v3, v146
	;; [unrolled: 1-line block ×4, first 2 shown]
	v_mul_f32_e32 v4, v115, v164
	v_mul_f32_e32 v8, v117, v165
	v_add_f32_e32 v1, v1, v118
	v_add_f32_e32 v2, v2, v143
	s_waitcnt vmcnt(14)
	v_mul_f32_e32 v148, v124, v167
	s_waitcnt vmcnt(13) lgkmcnt(1)
	v_mul_f32_e32 v152, v126, v170
	s_waitcnt vmcnt(9)
	v_fmac_f32_e32 v6, v123, v135
	s_waitcnt vmcnt(8)
	v_fma_f32 v8, v116, v137, -v8
	s_waitcnt vmcnt(7)
	v_fma_f32 v4, v114, v141, -v4
	;; [unrolled: 2-line block ×3, first 2 shown]
	v_fmac_f32_e32 v147, v121, v179
	v_fmac_f32_e32 v5, v115, v141
	v_fmac_f32_e32 v144, v117, v137
	s_waitcnt vmcnt(2)
	v_fmac_f32_e32 v148, v125, v140
	v_add_f32_e32 v1, v1, v7
	v_add_f32_e32 v2, v2, v147
	v_mul_f32_e32 v7, v123, v166
	v_mul_f32_e32 v150, v128, v177
	v_fmac_f32_e32 v152, v127, v139
	v_add_f32_e32 v1, v1, v4
	v_add_f32_e32 v2, v2, v5
	v_mul_f32_e32 v4, v125, v167
	v_fma_f32 v5, v122, v135, -v7
	v_mul_f32_e32 v7, v127, v170
	v_add_f32_e32 v1, v1, v8
	v_add_f32_e32 v2, v2, v144
	v_fma_f32 v4, v124, v140, -v4
	s_waitcnt lgkmcnt(0)
	v_mul_f32_e32 v154, v130, v178
	v_fmac_f32_e32 v150, v129, v138
	v_add_f32_e32 v1, v1, v5
	v_add_f32_e32 v2, v2, v6
	v_mul_f32_e32 v5, v129, v177
	v_fma_f32 v6, v126, v139, -v7
	v_mul_f32_e32 v3, v132, v134
	v_add_f32_e32 v1, v1, v4
	v_add_f32_e32 v2, v2, v148
	v_mul_f32_e32 v4, v131, v178
	v_fma_f32 v5, v128, v138, -v5
	v_fmac_f32_e32 v154, v131, v136
	v_add_f32_e32 v1, v1, v6
	v_add_f32_e32 v2, v2, v152
	v_mul_f32_e32 v6, v133, v134
	v_fma_f32 v4, v130, v136, -v4
	s_waitcnt vmcnt(1)
	v_fmac_f32_e32 v3, v133, v142
	v_add_f32_e32 v1, v1, v5
	v_add_f32_e32 v2, v2, v150
	v_fma_f32 v5, v132, v142, -v6
	v_add_f32_e32 v1, v1, v4
	v_add_f32_e32 v2, v2, v154
	;; [unrolled: 1-line block ×4, first 2 shown]
	s_waitcnt vmcnt(0)
	v_sub_f32_e32 v1, v149, v1
	v_sub_f32_e32 v2, v145, v2
	buffer_store_dword v1, off, s[0:3], 0 offset:24
	buffer_store_dword v2, off, s[0:3], 0 offset:28
	v_cmpx_lt_u32_e32 2, v0
	s_cbranch_execz .LBB115_321
; %bb.320:
	s_clause 0x1
	buffer_load_dword v1, off, s[0:3], 0 offset:16
	buffer_load_dword v2, off, s[0:3], 0 offset:20
	v_mov_b32_e32 v3, 0
	buffer_store_dword v3, off, s[0:3], 0 offset:16
	buffer_store_dword v3, off, s[0:3], 0 offset:20
	s_waitcnt vmcnt(0)
	ds_write_b64 v113, v[1:2]
.LBB115_321:
	s_or_b32 exec_lo, exec_lo, s4
	s_waitcnt lgkmcnt(0)
	s_waitcnt_vscnt null, 0x0
	s_barrier
	buffer_gl0_inv
	s_clause 0x2c
	buffer_load_dword v144, off, s[0:3], 0 offset:28
	buffer_load_dword v145, off, s[0:3], 0 offset:36
	buffer_load_dword v2, off, s[0:3], 0 offset:40
	buffer_load_dword v7, off, s[0:3], 0 offset:32
	buffer_load_dword v115, off, s[0:3], 0 offset:24
	buffer_load_dword v4, off, s[0:3], 0 offset:44
	buffer_load_dword v5, off, s[0:3], 0 offset:52
	buffer_load_dword v3, off, s[0:3], 0 offset:72
	buffer_load_dword v6, off, s[0:3], 0 offset:64
	buffer_load_dword v114, off, s[0:3], 0 offset:56
	buffer_load_dword v118, off, s[0:3], 0 offset:48
	buffer_load_dword v117, off, s[0:3], 0 offset:60
	buffer_load_dword v116, off, s[0:3], 0 offset:68
	buffer_load_dword v8, off, s[0:3], 0 offset:76
	buffer_load_dword v119, off, s[0:3], 0 offset:84
	buffer_load_dword v120, off, s[0:3], 0 offset:104
	buffer_load_dword v121, off, s[0:3], 0 offset:96
	buffer_load_dword v123, off, s[0:3], 0 offset:88
	buffer_load_dword v127, off, s[0:3], 0 offset:80
	buffer_load_dword v125, off, s[0:3], 0 offset:92
	buffer_load_dword v124, off, s[0:3], 0 offset:100
	buffer_load_dword v122, off, s[0:3], 0 offset:108
	buffer_load_dword v126, off, s[0:3], 0 offset:116
	buffer_load_dword v128, off, s[0:3], 0 offset:136
	buffer_load_dword v129, off, s[0:3], 0 offset:128
	buffer_load_dword v131, off, s[0:3], 0 offset:120
	buffer_load_dword v135, off, s[0:3], 0 offset:112
	buffer_load_dword v133, off, s[0:3], 0 offset:124
	buffer_load_dword v132, off, s[0:3], 0 offset:132
	buffer_load_dword v130, off, s[0:3], 0 offset:140
	buffer_load_dword v134, off, s[0:3], 0 offset:148
	buffer_load_dword v136, off, s[0:3], 0 offset:168
	buffer_load_dword v137, off, s[0:3], 0 offset:160
	buffer_load_dword v139, off, s[0:3], 0 offset:152
	buffer_load_dword v142, off, s[0:3], 0 offset:144
	buffer_load_dword v141, off, s[0:3], 0 offset:156
	buffer_load_dword v140, off, s[0:3], 0 offset:164
	buffer_load_dword v138, off, s[0:3], 0 offset:172
	buffer_load_dword v143, off, s[0:3], 0 offset:180
	buffer_load_dword v147, off, s[0:3], 0 offset:200
	buffer_load_dword v148, off, s[0:3], 0 offset:192
	buffer_load_dword v149, off, s[0:3], 0 offset:184
	buffer_load_dword v152, off, s[0:3], 0 offset:176
	buffer_load_dword v151, off, s[0:3], 0 offset:188
	buffer_load_dword v150, off, s[0:3], 0 offset:196
	v_mov_b32_e32 v1, 0
	ds_read2_b64 v[153:156], v1 offset0:55 offset1:56
	ds_read2_b64 v[157:160], v1 offset0:57 offset1:58
	s_mov_b32 s4, exec_lo
	s_waitcnt vmcnt(44) lgkmcnt(1)
	v_mul_f32_e32 v146, v153, v144
	v_mul_f32_e32 v161, v154, v144
	s_waitcnt vmcnt(43)
	v_mul_f32_e32 v144, v155, v145
	v_mul_f32_e32 v162, v156, v145
	buffer_load_dword v145, off, s[0:3], 0 offset:20
	s_waitcnt vmcnt(41)
	v_fmac_f32_e32 v146, v154, v115
	v_fma_f32 v161, v153, v115, -v161
	v_fmac_f32_e32 v144, v156, v7
	v_fma_f32 v162, v155, v7, -v162
	ds_read2_b64 v[153:156], v1 offset0:59 offset1:60
	s_waitcnt vmcnt(40) lgkmcnt(1)
	v_mul_f32_e32 v163, v157, v4
	s_waitcnt vmcnt(39)
	v_mul_f32_e32 v164, v159, v5
	v_mul_f32_e32 v4, v158, v4
	v_mul_f32_e32 v5, v160, v5
	v_fmac_f32_e32 v163, v158, v2
	s_waitcnt vmcnt(35)
	v_fmac_f32_e32 v164, v160, v118
	v_fma_f32 v165, v157, v2, -v4
	v_fma_f32 v118, v159, v118, -v5
	ds_read2_b64 v[157:160], v1 offset0:61 offset1:62
	s_waitcnt vmcnt(34) lgkmcnt(1)
	v_mul_f32_e32 v166, v153, v117
	s_waitcnt vmcnt(33)
	v_mul_f32_e32 v167, v155, v116
	v_mul_f32_e32 v4, v156, v116
	;; [unrolled: 1-line block ×3, first 2 shown]
	v_fmac_f32_e32 v166, v154, v114
	v_fmac_f32_e32 v167, v156, v6
	v_fma_f32 v154, v155, v6, -v4
	ds_read2_b64 v[4:7], v1 offset0:63 offset1:64
	v_fma_f32 v153, v153, v114, -v2
	s_waitcnt vmcnt(32) lgkmcnt(1)
	v_mul_f32_e32 v155, v157, v8
	v_mul_f32_e32 v2, v158, v8
	s_waitcnt vmcnt(31)
	v_mul_f32_e32 v8, v159, v119
	v_mul_f32_e32 v114, v160, v119
	v_fmac_f32_e32 v155, v158, v3
	v_fma_f32 v119, v157, v3, -v2
	s_waitcnt vmcnt(27)
	v_fmac_f32_e32 v8, v160, v127
	v_fma_f32 v127, v159, v127, -v114
	ds_read2_b64 v[114:117], v1 offset0:65 offset1:66
	buffer_load_dword v157, off, s[0:3], 0 offset:212
	s_waitcnt vmcnt(27) lgkmcnt(1)
	v_mul_f32_e32 v156, v4, v125
	v_mul_f32_e32 v2, v5, v125
	s_waitcnt vmcnt(26)
	v_mul_f32_e32 v3, v7, v124
	v_mul_f32_e32 v125, v6, v124
	v_fmac_f32_e32 v156, v5, v123
	v_fma_f32 v123, v4, v123, -v2
	v_fma_f32 v6, v6, v121, -v3
	ds_read2_b64 v[2:5], v1 offset0:67 offset1:68
	v_fmac_f32_e32 v125, v7, v121
	s_waitcnt vmcnt(25) lgkmcnt(1)
	v_mul_f32_e32 v7, v114, v122
	v_mul_f32_e32 v121, v115, v122
	s_waitcnt vmcnt(24)
	v_mul_f32_e32 v122, v116, v126
	v_mul_f32_e32 v124, v117, v126
	v_fmac_f32_e32 v7, v115, v120
	v_fma_f32 v120, v114, v120, -v121
	s_waitcnt vmcnt(20)
	v_fmac_f32_e32 v122, v117, v135
	v_fma_f32 v121, v116, v135, -v124
	ds_read2_b64 v[114:117], v1 offset0:69 offset1:70
	s_waitcnt vmcnt(19) lgkmcnt(1)
	v_mul_f32_e32 v124, v2, v133
	v_mul_f32_e32 v126, v3, v133
	s_waitcnt vmcnt(18)
	v_mul_f32_e32 v133, v4, v132
	v_mul_f32_e32 v132, v5, v132
	v_fmac_f32_e32 v124, v3, v131
	v_fma_f32 v126, v2, v131, -v126
	v_fmac_f32_e32 v133, v5, v129
	v_fma_f32 v129, v4, v129, -v132
	ds_read2_b64 v[2:5], v1 offset0:71 offset1:72
	s_waitcnt vmcnt(17) lgkmcnt(1)
	v_mul_f32_e32 v131, v114, v130
	v_mul_f32_e32 v130, v115, v130
	s_waitcnt vmcnt(16)
	v_mul_f32_e32 v132, v116, v134
	v_mul_f32_e32 v134, v117, v134
	v_fmac_f32_e32 v131, v115, v128
	v_fma_f32 v128, v114, v128, -v130
	s_waitcnt vmcnt(12)
	v_fmac_f32_e32 v132, v117, v142
	v_fma_f32 v130, v116, v142, -v134
	ds_read2_b64 v[114:117], v1 offset0:73 offset1:74
	s_waitcnt vmcnt(11) lgkmcnt(1)
	v_mul_f32_e32 v134, v2, v141
	v_mul_f32_e32 v135, v3, v141
	s_waitcnt vmcnt(10)
	v_mul_f32_e32 v141, v4, v140
	v_mul_f32_e32 v140, v5, v140
	v_fmac_f32_e32 v134, v3, v139
	v_fma_f32 v135, v2, v139, -v135
	v_fmac_f32_e32 v141, v5, v137
	v_fma_f32 v137, v4, v137, -v140
	ds_read2_b64 v[2:5], v1 offset0:75 offset1:76
	s_waitcnt vmcnt(8) lgkmcnt(1)
	v_mul_f32_e32 v140, v116, v143
	v_mul_f32_e32 v142, v117, v143
	buffer_load_dword v143, off, s[0:3], 0 offset:204
	v_mul_f32_e32 v139, v114, v138
	v_mul_f32_e32 v138, v115, v138
	s_waitcnt vmcnt(5)
	v_fmac_f32_e32 v140, v117, v152
	v_fmac_f32_e32 v139, v115, v136
	v_fma_f32 v136, v114, v136, -v138
	v_fma_f32 v138, v116, v152, -v142
	ds_read2_b64 v[114:117], v1 offset0:77 offset1:78
	s_waitcnt vmcnt(4) lgkmcnt(1)
	v_mul_f32_e32 v142, v2, v151
	v_mul_f32_e32 v151, v3, v151
	s_waitcnt vmcnt(3)
	v_mul_f32_e32 v152, v4, v150
	v_mul_f32_e32 v150, v5, v150
	v_fmac_f32_e32 v142, v3, v149
	v_fma_f32 v149, v2, v149, -v151
	v_fmac_f32_e32 v152, v5, v148
	v_fma_f32 v148, v4, v148, -v150
	s_clause 0x4
	buffer_load_dword v150, off, s[0:3], 0 offset:232
	buffer_load_dword v151, off, s[0:3], 0 offset:224
	;; [unrolled: 1-line block ×5, first 2 shown]
	s_waitcnt vmcnt(5) lgkmcnt(0)
	v_mul_f32_e32 v160, v114, v143
	v_mul_f32_e32 v3, v115, v143
	v_fmac_f32_e32 v160, v115, v147
	v_fma_f32 v143, v114, v147, -v3
	v_mul_f32_e32 v147, v116, v157
	v_mul_f32_e32 v3, v117, v157
	s_waitcnt vmcnt(1)
	v_fmac_f32_e32 v147, v117, v2
	v_fma_f32 v157, v116, v2, -v3
	ds_read2_b64 v[2:5], v1 offset0:79 offset1:80
	ds_read2_b64 v[114:117], v1 offset0:81 offset1:82
	s_waitcnt vmcnt(0) lgkmcnt(1)
	v_mul_f32_e32 v168, v2, v159
	v_mul_f32_e32 v159, v3, v159
	v_fmac_f32_e32 v168, v3, v158
	v_fma_f32 v158, v2, v158, -v159
	s_clause 0x1
	buffer_load_dword v2, off, s[0:3], 0 offset:228
	buffer_load_dword v3, off, s[0:3], 0 offset:236
	s_waitcnt vmcnt(1)
	v_mul_f32_e32 v159, v4, v2
	v_mul_f32_e32 v2, v5, v2
	v_fmac_f32_e32 v159, v5, v151
	v_fma_f32 v151, v4, v151, -v2
	v_add_f32_e32 v4, 0, v161
	v_add_f32_e32 v2, 0, v146
	;; [unrolled: 1-line block ×4, first 2 shown]
	buffer_load_dword v144, off, s[0:3], 0 offset:244
	v_add_f32_e32 v4, v4, v165
	v_add_f32_e32 v2, v2, v163
	;; [unrolled: 1-line block ×3, first 2 shown]
	s_clause 0x4
	buffer_load_dword v118, off, s[0:3], 0 offset:264
	buffer_load_dword v146, off, s[0:3], 0 offset:256
	;; [unrolled: 1-line block ×5, first 2 shown]
	v_add_f32_e32 v2, v2, v164
	buffer_load_dword v164, off, s[0:3], 0 offset:268
	v_add_f32_e32 v4, v4, v153
	buffer_load_dword v153, off, s[0:3], 0 offset:260
	v_add_f32_e32 v2, v2, v166
	v_add_f32_e32 v4, v4, v154
	buffer_load_dword v154, off, s[0:3], 0 offset:276
	v_add_f32_e32 v2, v2, v167
	v_add_f32_e32 v4, v4, v119
	v_add_f32_e32 v2, v2, v155
	v_add_f32_e32 v4, v4, v127
	v_add_f32_e32 v2, v2, v8
	s_clause 0x3
	buffer_load_dword v8, off, s[0:3], 0 offset:296
	buffer_load_dword v119, off, s[0:3], 0 offset:288
	;; [unrolled: 1-line block ×4, first 2 shown]
	v_add_f32_e32 v4, v4, v123
	s_waitcnt vmcnt(13) lgkmcnt(0)
	v_mul_f32_e32 v123, v114, v3
	v_mul_f32_e32 v3, v115, v3
	v_add_f32_e32 v2, v2, v156
	buffer_load_dword v156, off, s[0:3], 0 offset:284
	v_add_f32_e32 v6, v4, v6
	v_fmac_f32_e32 v123, v115, v150
	v_add_f32_e32 v2, v2, v125
	v_fma_f32 v125, v114, v150, -v3
	v_add_f32_e32 v6, v6, v120
	buffer_load_dword v120, off, s[0:3], 0 offset:292
	v_add_f32_e32 v7, v2, v7
	ds_read2_b64 v[2:5], v1 offset0:83 offset1:84
	v_add_f32_e32 v6, v6, v121
	buffer_load_dword v121, off, s[0:3], 0 offset:300
	v_add_f32_e32 v7, v7, v122
	v_add_f32_e32 v6, v6, v126
	;; [unrolled: 1-line block ×3, first 2 shown]
	buffer_load_dword v124, off, s[0:3], 0 offset:308
	v_add_f32_e32 v6, v6, v129
	v_add_f32_e32 v7, v7, v133
	;; [unrolled: 1-line block ×3, first 2 shown]
	s_waitcnt vmcnt(16)
	v_mul_f32_e32 v122, v116, v144
	v_mul_f32_e32 v114, v117, v144
	s_waitcnt vmcnt(12)
	v_fmac_f32_e32 v122, v117, v162
	v_fma_f32 v144, v116, v162, -v114
	ds_read2_b64 v[114:117], v1 offset0:85 offset1:86
	s_waitcnt vmcnt(11) lgkmcnt(1)
	v_mul_f32_e32 v133, v3, v163
	v_mul_f32_e32 v126, v2, v163
	s_clause 0x3
	buffer_load_dword v131, off, s[0:3], 0 offset:328
	buffer_load_dword v150, off, s[0:3], 0 offset:320
	;; [unrolled: 1-line block ×4, first 2 shown]
	v_fma_f32 v133, v2, v161, -v133
	v_add_f32_e32 v2, v6, v128
	s_clause 0x1
	buffer_load_dword v6, off, s[0:3], 0 offset:316
	buffer_load_dword v128, off, s[0:3], 0 offset:324
	v_fmac_f32_e32 v126, v3, v161
	v_add_f32_e32 v3, v7, v132
	s_waitcnt vmcnt(15)
	v_mul_f32_e32 v7, v4, v153
	v_add_f32_e32 v2, v2, v130
	buffer_load_dword v130, off, s[0:3], 0 offset:332
	v_mul_f32_e32 v132, v5, v153
	v_add_f32_e32 v3, v3, v134
	v_fmac_f32_e32 v7, v5, v146
	v_add_f32_e32 v134, v2, v135
	v_fma_f32 v132, v4, v146, -v132
	v_add_f32_e32 v141, v3, v141
	s_waitcnt lgkmcnt(0)
	v_mul_f32_e32 v163, v115, v164
	v_add_f32_e32 v134, v134, v137
	v_mul_f32_e32 v137, v114, v164
	s_clause 0x3
	buffer_load_dword v135, off, s[0:3], 0 offset:340
	buffer_load_dword v146, off, s[0:3], 0 offset:348
	;; [unrolled: 1-line block ×4, first 2 shown]
	v_add_f32_e32 v139, v141, v139
	ds_read2_b64 v[2:5], v1 offset0:87 offset1:88
	v_add_f32_e32 v134, v134, v136
	s_waitcnt vmcnt(19)
	v_mul_f32_e32 v141, v116, v154
	v_mul_f32_e32 v136, v117, v154
	v_fma_f32 v154, v114, v118, -v163
	v_add_f32_e32 v114, v139, v140
	v_fmac_f32_e32 v137, v115, v118
	v_add_f32_e32 v115, v134, v138
	s_clause 0x3
	buffer_load_dword v134, off, s[0:3], 0 offset:372
	buffer_load_dword v138, off, s[0:3], 0 offset:380
	;; [unrolled: 1-line block ×4, first 2 shown]
	s_waitcnt vmcnt(19)
	v_fmac_f32_e32 v141, v117, v155
	v_add_f32_e32 v114, v114, v142
	v_fma_f32 v136, v116, v155, -v136
	buffer_load_dword v155, off, s[0:3], 0 offset:404
	v_add_f32_e32 v115, v115, v149
	s_clause 0x4
	buffer_load_dword v142, off, s[0:3], 0 offset:360
	buffer_load_dword v149, off, s[0:3], 0 offset:352
	;; [unrolled: 1-line block ×5, first 2 shown]
	v_add_f32_e32 v114, v114, v152
	v_add_f32_e32 v118, v115, v148
	;; [unrolled: 1-line block ×3, first 2 shown]
	s_waitcnt vmcnt(24) lgkmcnt(0)
	v_mul_f32_e32 v152, v3, v156
	ds_read2_b64 v[114:117], v1 offset0:89 offset1:90
	v_add_f32_e32 v118, v118, v143
	v_mul_f32_e32 v143, v2, v156
	v_add_f32_e32 v147, v148, v147
	v_fmac_f32_e32 v143, v3, v127
	v_fma_f32 v127, v2, v127, -v152
	v_add_f32_e32 v3, v147, v168
	s_clause 0x3
	buffer_load_dword v147, off, s[0:3], 0 offset:392
	buffer_load_dword v148, off, s[0:3], 0 offset:384
	;; [unrolled: 1-line block ×4, first 2 shown]
	v_add_f32_e32 v2, v118, v157
	v_add_f32_e32 v3, v3, v159
	s_waitcnt vmcnt(27)
	v_mul_f32_e32 v159, v4, v120
	v_add_f32_e32 v2, v2, v158
	s_clause 0x1
	buffer_load_dword v157, off, s[0:3], 0 offset:408
	buffer_load_dword v158, off, s[0:3], 0 offset:400
	v_add_f32_e32 v118, v3, v123
	v_mul_f32_e32 v3, v5, v120
	v_add_f32_e32 v2, v2, v151
	buffer_load_dword v151, off, s[0:3], 0 offset:16
	v_fmac_f32_e32 v159, v5, v119
	v_add_f32_e32 v118, v118, v122
	v_fma_f32 v160, v4, v119, -v3
	v_add_f32_e32 v120, v2, v125
	ds_read2_b64 v[2:5], v1 offset0:91 offset1:92
	s_waitcnt vmcnt(29) lgkmcnt(1)
	v_mul_f32_e32 v122, v115, v121
	v_add_f32_e32 v123, v118, v126
	s_waitcnt vmcnt(28)
	v_mul_f32_e32 v166, v116, v124
	v_add_f32_e32 v119, v120, v144
	v_mul_f32_e32 v144, v114, v121
	v_mul_f32_e32 v124, v117, v124
	v_add_f32_e32 v7, v123, v7
	v_add_f32_e32 v125, v119, v133
	ds_read2_b64 v[118:121], v1 offset0:93 offset1:94
	v_fmac_f32_e32 v144, v115, v8
	v_add_f32_e32 v7, v7, v137
	v_fma_f32 v8, v114, v8, -v122
	v_add_f32_e32 v126, v125, v132
	v_add_f32_e32 v126, v126, v154
	;; [unrolled: 1-line block ×3, first 2 shown]
	s_waitcnt vmcnt(24)
	v_fma_f32 v132, v116, v162, -v124
	v_fmac_f32_e32 v166, v117, v162
	ds_read2_b64 v[114:117], v1 offset0:95 offset1:96
	ds_read2_b64 v[122:125], v1 offset0:97 offset1:98
	s_waitcnt vmcnt(23) lgkmcnt(3)
	v_mul_f32_e32 v133, v2, v6
	v_mul_f32_e32 v6, v3, v6
	s_waitcnt vmcnt(22)
	v_mul_f32_e32 v137, v4, v128
	v_mul_f32_e32 v136, v5, v128
	v_fmac_f32_e32 v133, v3, v129
	v_fma_f32 v154, v2, v129, -v6
	v_add_f32_e32 v2, v7, v141
	v_add_f32_e32 v6, v126, v127
	v_fmac_f32_e32 v137, v5, v150
	v_fma_f32 v136, v4, v150, -v136
	s_waitcnt vmcnt(21) lgkmcnt(2)
	v_mul_f32_e32 v150, v118, v130
	v_add_f32_e32 v141, v2, v143
	v_add_f32_e32 v143, v6, v160
	v_mul_f32_e32 v130, v119, v130
	ds_read2_b64 v[126:129], v1 offset0:99 offset1:100
	ds_read2_b64 v[2:5], v1 offset0:101 offset1:102
	v_add_f32_e32 v141, v141, v159
	v_add_f32_e32 v8, v143, v8
	v_fma_f32 v118, v118, v131, -v130
	s_waitcnt vmcnt(20)
	v_mul_f32_e32 v159, v120, v135
	v_mul_f32_e32 v135, v121, v135
	v_add_f32_e32 v141, v141, v144
	v_add_f32_e32 v8, v8, v132
	v_fmac_f32_e32 v150, v119, v131
	s_waitcnt vmcnt(19) lgkmcnt(3)
	v_mul_f32_e32 v143, v114, v146
	s_waitcnt vmcnt(18)
	v_mul_f32_e32 v132, v116, v153
	v_add_f32_e32 v141, v141, v166
	v_add_f32_e32 v8, v8, v154
	s_waitcnt vmcnt(17) lgkmcnt(2)
	v_mul_f32_e32 v144, v122, v161
	s_waitcnt vmcnt(16)
	v_mul_f32_e32 v160, v124, v134
	s_waitcnt vmcnt(9)
	v_fmac_f32_e32 v143, v115, v163
	v_add_f32_e32 v130, v141, v133
	v_add_f32_e32 v8, v8, v136
	v_mul_f32_e32 v136, v115, v146
	s_waitcnt vmcnt(8)
	v_fma_f32 v120, v120, v164, -v135
	v_fmac_f32_e32 v159, v121, v164
	v_add_f32_e32 v130, v130, v137
	v_add_f32_e32 v8, v8, v118
	v_mul_f32_e32 v121, v117, v153
	v_fma_f32 v114, v114, v163, -v136
	v_fmac_f32_e32 v132, v117, v149
	v_add_f32_e32 v118, v130, v150
	v_add_f32_e32 v8, v8, v120
	v_fma_f32 v116, v116, v149, -v121
	v_fmac_f32_e32 v144, v123, v142
	ds_read_b64 v[6:7], v1 offset:824
	v_add_f32_e32 v115, v118, v159
	v_mul_f32_e32 v118, v123, v161
	v_add_f32_e32 v8, v8, v114
	s_waitcnt lgkmcnt(2)
	v_mul_f32_e32 v154, v126, v138
	s_waitcnt vmcnt(3)
	v_fmac_f32_e32 v160, v125, v156
	v_add_f32_e32 v114, v115, v143
	v_mul_f32_e32 v115, v125, v134
	v_fma_f32 v117, v122, v142, -v118
	v_add_f32_e32 v8, v8, v116
	v_mul_f32_e32 v116, v127, v138
	v_add_f32_e32 v114, v114, v132
	v_fma_f32 v115, v124, v156, -v115
	v_mul_f32_e32 v119, v128, v139
	v_add_f32_e32 v8, v8, v117
	v_mul_f32_e32 v117, v129, v139
	v_add_f32_e32 v114, v114, v144
	v_fma_f32 v116, v126, v152, -v116
	v_fmac_f32_e32 v154, v127, v152
	v_add_f32_e32 v8, v8, v115
	s_waitcnt lgkmcnt(1)
	v_mul_f32_e32 v131, v2, v140
	v_add_f32_e32 v114, v114, v160
	v_mul_f32_e32 v115, v3, v140
	v_fma_f32 v117, v128, v148, -v117
	v_add_f32_e32 v8, v8, v116
	v_fmac_f32_e32 v119, v129, v148
	v_add_f32_e32 v114, v114, v154
	v_mul_f32_e32 v116, v5, v155
	v_fmac_f32_e32 v131, v3, v147
	v_fma_f32 v2, v2, v147, -v115
	v_add_f32_e32 v3, v8, v117
	v_mul_f32_e32 v133, v4, v155
	v_add_f32_e32 v8, v114, v119
	s_waitcnt lgkmcnt(0)
	v_mul_f32_e32 v114, v7, v165
	s_waitcnt vmcnt(1)
	v_fma_f32 v4, v4, v158, -v116
	v_add_f32_e32 v2, v3, v2
	v_mul_f32_e32 v137, v6, v165
	v_fmac_f32_e32 v133, v5, v158
	v_add_f32_e32 v3, v8, v131
	v_fma_f32 v5, v6, v157, -v114
	v_add_f32_e32 v2, v2, v4
	v_fmac_f32_e32 v137, v7, v157
	v_add_f32_e32 v3, v3, v133
	v_add_f32_e32 v2, v2, v5
	;; [unrolled: 1-line block ×3, first 2 shown]
	s_waitcnt vmcnt(0)
	v_sub_f32_e32 v2, v151, v2
	v_sub_f32_e32 v3, v145, v3
	buffer_store_dword v2, off, s[0:3], 0 offset:16
	buffer_store_dword v3, off, s[0:3], 0 offset:20
	v_cmpx_lt_u32_e32 1, v0
	s_cbranch_execz .LBB115_323
; %bb.322:
	s_clause 0x1
	buffer_load_dword v2, off, s[0:3], 0 offset:8
	buffer_load_dword v3, off, s[0:3], 0 offset:12
	buffer_store_dword v1, off, s[0:3], 0 offset:8
	buffer_store_dword v1, off, s[0:3], 0 offset:12
	s_waitcnt vmcnt(0)
	ds_write_b64 v113, v[2:3]
.LBB115_323:
	s_or_b32 exec_lo, exec_lo, s4
	s_waitcnt lgkmcnt(0)
	s_waitcnt_vscnt null, 0x0
	s_barrier
	buffer_gl0_inv
	s_clause 0x2c
	buffer_load_dword v144, off, s[0:3], 0 offset:20
	buffer_load_dword v145, off, s[0:3], 0 offset:28
	;; [unrolled: 1-line block ×45, first 2 shown]
	ds_read_b128 v[153:156], v1 offset:432
	ds_read_b128 v[157:160], v1 offset:448
	s_mov_b32 s4, exec_lo
	s_waitcnt vmcnt(44) lgkmcnt(1)
	v_mul_f32_e32 v146, v153, v144
	v_mul_f32_e32 v161, v154, v144
	s_waitcnt vmcnt(43)
	v_mul_f32_e32 v144, v155, v145
	v_mul_f32_e32 v162, v156, v145
	buffer_load_dword v145, off, s[0:3], 0 offset:12
	s_waitcnt vmcnt(41)
	v_fmac_f32_e32 v146, v154, v115
	v_fma_f32 v161, v153, v115, -v161
	v_fmac_f32_e32 v144, v156, v7
	v_fma_f32 v162, v155, v7, -v162
	ds_read_b128 v[153:156], v1 offset:464
	s_waitcnt vmcnt(40) lgkmcnt(1)
	v_mul_f32_e32 v163, v157, v4
	s_waitcnt vmcnt(39)
	v_mul_f32_e32 v164, v159, v5
	v_mul_f32_e32 v4, v158, v4
	;; [unrolled: 1-line block ×3, first 2 shown]
	v_fmac_f32_e32 v163, v158, v2
	s_waitcnt vmcnt(35)
	v_fmac_f32_e32 v164, v160, v118
	v_fma_f32 v165, v157, v2, -v4
	v_fma_f32 v118, v159, v118, -v5
	ds_read_b128 v[157:160], v1 offset:480
	s_waitcnt vmcnt(34) lgkmcnt(1)
	v_mul_f32_e32 v166, v153, v117
	s_waitcnt vmcnt(33)
	v_mul_f32_e32 v167, v155, v116
	v_mul_f32_e32 v4, v156, v116
	;; [unrolled: 1-line block ×3, first 2 shown]
	v_fmac_f32_e32 v166, v154, v114
	v_fmac_f32_e32 v167, v156, v6
	v_fma_f32 v154, v155, v6, -v4
	ds_read_b128 v[4:7], v1 offset:496
	v_fma_f32 v153, v153, v114, -v2
	s_waitcnt vmcnt(32) lgkmcnt(1)
	v_mul_f32_e32 v155, v157, v8
	v_mul_f32_e32 v2, v158, v8
	s_waitcnt vmcnt(31)
	v_mul_f32_e32 v8, v159, v119
	v_mul_f32_e32 v114, v160, v119
	v_fmac_f32_e32 v155, v158, v3
	v_fma_f32 v119, v157, v3, -v2
	s_waitcnt vmcnt(27)
	v_fmac_f32_e32 v8, v160, v127
	v_fma_f32 v127, v159, v127, -v114
	ds_read_b128 v[114:117], v1 offset:512
	buffer_load_dword v157, off, s[0:3], 0 offset:204
	s_waitcnt vmcnt(27) lgkmcnt(1)
	v_mul_f32_e32 v156, v4, v125
	v_mul_f32_e32 v2, v5, v125
	s_waitcnt vmcnt(26)
	v_mul_f32_e32 v3, v7, v124
	v_mul_f32_e32 v125, v6, v124
	v_fmac_f32_e32 v156, v5, v123
	v_fma_f32 v123, v4, v123, -v2
	v_fma_f32 v6, v6, v121, -v3
	ds_read_b128 v[2:5], v1 offset:528
	v_fmac_f32_e32 v125, v7, v121
	s_waitcnt vmcnt(25) lgkmcnt(1)
	v_mul_f32_e32 v7, v114, v122
	v_mul_f32_e32 v121, v115, v122
	s_waitcnt vmcnt(24)
	v_mul_f32_e32 v122, v116, v126
	v_mul_f32_e32 v124, v117, v126
	v_fmac_f32_e32 v7, v115, v120
	v_fma_f32 v120, v114, v120, -v121
	s_waitcnt vmcnt(20)
	v_fmac_f32_e32 v122, v117, v135
	v_fma_f32 v121, v116, v135, -v124
	ds_read_b128 v[114:117], v1 offset:544
	s_waitcnt vmcnt(19) lgkmcnt(1)
	v_mul_f32_e32 v124, v2, v133
	v_mul_f32_e32 v126, v3, v133
	s_waitcnt vmcnt(18)
	v_mul_f32_e32 v133, v4, v132
	v_mul_f32_e32 v132, v5, v132
	v_fmac_f32_e32 v124, v3, v131
	v_fma_f32 v126, v2, v131, -v126
	v_fmac_f32_e32 v133, v5, v129
	v_fma_f32 v129, v4, v129, -v132
	ds_read_b128 v[2:5], v1 offset:560
	s_waitcnt vmcnt(17) lgkmcnt(1)
	v_mul_f32_e32 v131, v114, v130
	v_mul_f32_e32 v130, v115, v130
	s_waitcnt vmcnt(16)
	v_mul_f32_e32 v132, v116, v134
	v_mul_f32_e32 v134, v117, v134
	v_fmac_f32_e32 v131, v115, v128
	v_fma_f32 v128, v114, v128, -v130
	s_waitcnt vmcnt(12)
	v_fmac_f32_e32 v132, v117, v143
	v_fma_f32 v130, v116, v143, -v134
	ds_read_b128 v[114:117], v1 offset:576
	buffer_load_dword v143, off, s[0:3], 0 offset:196
	s_waitcnt vmcnt(12) lgkmcnt(1)
	v_mul_f32_e32 v134, v2, v141
	v_mul_f32_e32 v135, v3, v141
	s_waitcnt vmcnt(11)
	v_mul_f32_e32 v141, v4, v140
	v_mul_f32_e32 v140, v5, v140
	v_fmac_f32_e32 v134, v3, v139
	v_fma_f32 v135, v2, v139, -v135
	v_fmac_f32_e32 v141, v5, v137
	v_fma_f32 v137, v4, v137, -v140
	ds_read_b128 v[2:5], v1 offset:592
	s_waitcnt vmcnt(10) lgkmcnt(1)
	v_mul_f32_e32 v139, v114, v138
	v_mul_f32_e32 v138, v115, v138
	s_waitcnt vmcnt(9)
	v_mul_f32_e32 v140, v116, v142
	v_mul_f32_e32 v142, v117, v142
	v_fmac_f32_e32 v139, v115, v136
	v_fma_f32 v136, v114, v136, -v138
	s_waitcnt vmcnt(5)
	v_fmac_f32_e32 v140, v117, v152
	v_fma_f32 v138, v116, v152, -v142
	ds_read_b128 v[114:117], v1 offset:608
	s_waitcnt vmcnt(4) lgkmcnt(1)
	v_mul_f32_e32 v142, v2, v151
	v_mul_f32_e32 v151, v3, v151
	s_waitcnt vmcnt(3)
	v_mul_f32_e32 v152, v4, v150
	v_mul_f32_e32 v150, v5, v150
	v_fmac_f32_e32 v142, v3, v149
	v_fma_f32 v149, v2, v149, -v151
	v_fmac_f32_e32 v152, v5, v148
	v_fma_f32 v148, v4, v148, -v150
	s_clause 0x4
	buffer_load_dword v150, off, s[0:3], 0 offset:224
	buffer_load_dword v151, off, s[0:3], 0 offset:216
	;; [unrolled: 1-line block ×5, first 2 shown]
	s_waitcnt vmcnt(5) lgkmcnt(0)
	v_mul_f32_e32 v160, v114, v143
	v_mul_f32_e32 v3, v115, v143
	v_fmac_f32_e32 v160, v115, v147
	v_fma_f32 v143, v114, v147, -v3
	v_mul_f32_e32 v147, v116, v157
	v_mul_f32_e32 v3, v117, v157
	s_waitcnt vmcnt(1)
	v_fmac_f32_e32 v147, v117, v2
	v_fma_f32 v157, v116, v2, -v3
	ds_read_b128 v[2:5], v1 offset:624
	ds_read_b128 v[114:117], v1 offset:640
	s_waitcnt vmcnt(0) lgkmcnt(1)
	v_mul_f32_e32 v168, v2, v159
	v_mul_f32_e32 v159, v3, v159
	v_fmac_f32_e32 v168, v3, v158
	v_fma_f32 v158, v2, v158, -v159
	buffer_load_dword v2, off, s[0:3], 0 offset:220
	v_add_f32_e32 v3, 0, v161
	v_add_f32_e32 v3, v3, v162
	;; [unrolled: 1-line block ×11, first 2 shown]
	s_waitcnt vmcnt(0)
	v_mul_f32_e32 v159, v4, v2
	v_mul_f32_e32 v2, v5, v2
	v_fmac_f32_e32 v159, v5, v151
	v_fma_f32 v151, v4, v151, -v2
	s_clause 0x1
	buffer_load_dword v4, off, s[0:3], 0 offset:228
	buffer_load_dword v5, off, s[0:3], 0 offset:236
	v_add_f32_e32 v2, 0, v146
	v_add_f32_e32 v2, v2, v144
	s_clause 0x6
	buffer_load_dword v118, off, s[0:3], 0 offset:256
	buffer_load_dword v144, off, s[0:3], 0 offset:248
	;; [unrolled: 1-line block ×7, first 2 shown]
	v_add_f32_e32 v2, v2, v163
	buffer_load_dword v163, off, s[0:3], 0 offset:260
	v_add_f32_e32 v2, v2, v164
	v_add_f32_e32 v2, v2, v166
	;; [unrolled: 1-line block ×5, first 2 shown]
	s_clause 0x3
	buffer_load_dword v8, off, s[0:3], 0 offset:288
	buffer_load_dword v127, off, s[0:3], 0 offset:280
	;; [unrolled: 1-line block ×4, first 2 shown]
	v_add_f32_e32 v2, v2, v156
	buffer_load_dword v156, off, s[0:3], 0 offset:276
	v_add_f32_e32 v2, v2, v125
	s_clause 0x1
	buffer_load_dword v123, off, s[0:3], 0 offset:284
	buffer_load_dword v125, off, s[0:3], 0 offset:292
	v_add_f32_e32 v2, v2, v7
	s_waitcnt vmcnt(16) lgkmcnt(0)
	v_mul_f32_e32 v6, v114, v4
	v_mul_f32_e32 v4, v115, v4
	s_waitcnt vmcnt(15)
	v_mul_f32_e32 v7, v116, v5
	v_mul_f32_e32 v120, v117, v5
	v_fmac_f32_e32 v6, v115, v150
	v_fma_f32 v150, v114, v150, -v4
	v_add_f32_e32 v114, v2, v122
	v_add_f32_e32 v115, v3, v121
	ds_read_b128 v[2:5], v1 offset:656
	s_waitcnt vmcnt(11)
	v_fmac_f32_e32 v7, v117, v161
	v_fma_f32 v120, v116, v161, -v120
	v_add_f32_e32 v114, v114, v124
	v_add_f32_e32 v115, v115, v126
	s_clause 0x4
	buffer_load_dword v122, off, s[0:3], 0 offset:300
	buffer_load_dword v161, off, s[0:3], 0 offset:320
	;; [unrolled: 1-line block ×5, first 2 shown]
	v_add_f32_e32 v114, v114, v133
	v_add_f32_e32 v115, v115, v129
	;; [unrolled: 1-line block ×4, first 2 shown]
	s_clause 0x2
	buffer_load_dword v128, off, s[0:3], 0 offset:308
	buffer_load_dword v129, off, s[0:3], 0 offset:316
	;; [unrolled: 1-line block ×3, first 2 shown]
	v_add_f32_e32 v121, v114, v132
	v_add_f32_e32 v130, v115, v130
	ds_read_b128 v[114:117], v1 offset:672
	s_waitcnt vmcnt(18) lgkmcnt(1)
	v_mul_f32_e32 v132, v2, v162
	v_mul_f32_e32 v133, v3, v162
	v_add_f32_e32 v121, v121, v134
	v_add_f32_e32 v130, v130, v135
	s_waitcnt vmcnt(17)
	v_mul_f32_e32 v134, v4, v153
	v_fmac_f32_e32 v132, v3, v146
	v_mul_f32_e32 v135, v5, v153
	v_add_f32_e32 v3, v121, v141
	v_add_f32_e32 v121, v130, v137
	v_fma_f32 v130, v2, v146, -v133
	v_fmac_f32_e32 v134, v5, v144
	v_fma_f32 v133, v4, v144, -v135
	v_add_f32_e32 v2, v3, v139
	v_add_f32_e32 v3, v121, v136
	s_clause 0x7
	buffer_load_dword v135, off, s[0:3], 0 offset:332
	buffer_load_dword v136, off, s[0:3], 0 offset:340
	;; [unrolled: 1-line block ×8, first 2 shown]
	v_add_f32_e32 v2, v2, v140
	v_add_f32_e32 v3, v3, v138
	s_waitcnt vmcnt(23) lgkmcnt(0)
	v_mul_f32_e32 v162, v114, v163
	v_mul_f32_e32 v4, v115, v163
	s_clause 0x3
	buffer_load_dword v138, off, s[0:3], 0 offset:364
	buffer_load_dword v140, off, s[0:3], 0 offset:372
	;; [unrolled: 1-line block ×4, first 2 shown]
	v_add_f32_e32 v2, v2, v142
	s_clause 0x1
	buffer_load_dword v142, off, s[0:3], 0 offset:396
	buffer_load_dword v167, off, s[0:3], 0 offset:404
	v_fmac_f32_e32 v162, v115, v118
	v_fma_f32 v166, v114, v118, -v4
	v_add_f32_e32 v114, v3, v149
	v_mul_f32_e32 v149, v116, v119
	v_mul_f32_e32 v3, v117, v119
	v_add_f32_e32 v115, v2, v152
	buffer_load_dword v152, off, s[0:3], 0 offset:412
	v_add_f32_e32 v114, v114, v148
	s_waitcnt vmcnt(26)
	v_fmac_f32_e32 v149, v117, v155
	v_fma_f32 v155, v116, v155, -v3
	ds_read_b128 v[2:5], v1 offset:688
	v_add_f32_e32 v115, v115, v160
	v_add_f32_e32 v114, v114, v143
	;; [unrolled: 1-line block ×3, first 2 shown]
	s_clause 0x3
	buffer_load_dword v143, off, s[0:3], 0 offset:384
	buffer_load_dword v147, off, s[0:3], 0 offset:376
	;; [unrolled: 1-line block ×4, first 2 shown]
	v_add_f32_e32 v114, v114, v157
	v_add_f32_e32 v118, v115, v168
	;; [unrolled: 1-line block ×3, first 2 shown]
	ds_read_b128 v[114:117], v1 offset:704
	v_add_f32_e32 v118, v118, v159
	s_waitcnt vmcnt(29) lgkmcnt(1)
	v_mul_f32_e32 v157, v2, v156
	v_mul_f32_e32 v121, v3, v156
	v_fmac_f32_e32 v157, v3, v154
	v_fma_f32 v154, v2, v154, -v121
	v_add_f32_e32 v2, v119, v151
	v_add_f32_e32 v3, v118, v6
	s_clause 0x2
	buffer_load_dword v6, off, s[0:3], 0 offset:408
	buffer_load_dword v151, off, s[0:3], 0 offset:400
	;; [unrolled: 1-line block ×3, first 2 shown]
	s_waitcnt vmcnt(31)
	v_mul_f32_e32 v118, v5, v123
	v_add_f32_e32 v2, v2, v150
	buffer_load_dword v150, off, s[0:3], 0 offset:8
	v_add_f32_e32 v3, v3, v7
	v_mul_f32_e32 v7, v4, v123
	v_fma_f32 v158, v4, v127, -v118
	v_add_f32_e32 v119, v2, v120
	v_add_f32_e32 v123, v3, v132
	v_fmac_f32_e32 v7, v5, v127
	ds_read_b128 v[2:5], v1 offset:720
	v_add_f32_e32 v127, v119, v130
	ds_read_b128 v[118:121], v1 offset:736
	v_add_f32_e32 v123, v123, v134
	s_waitcnt vmcnt(31) lgkmcnt(2)
	v_mul_f32_e32 v130, v114, v125
	v_mul_f32_e32 v125, v115, v125
	v_add_f32_e32 v127, v127, v133
	v_add_f32_e32 v132, v123, v162
	v_fmac_f32_e32 v130, v115, v8
	v_fma_f32 v8, v114, v8, -v125
	v_add_f32_e32 v127, v127, v166
	v_add_f32_e32 v132, v132, v149
	;; [unrolled: 1-line block ×8, first 2 shown]
	s_waitcnt vmcnt(30)
	v_mul_f32_e32 v134, v116, v122
	v_mul_f32_e32 v122, v117, v122
	s_waitcnt vmcnt(26)
	v_fmac_f32_e32 v134, v117, v124
	v_fma_f32 v159, v116, v124, -v122
	ds_read_b128 v[114:117], v1 offset:752
	ds_read_b128 v[122:125], v1 offset:768
	v_add_f32_e32 v7, v7, v134
	s_waitcnt vmcnt(25) lgkmcnt(3)
	v_mul_f32_e32 v149, v2, v128
	s_waitcnt vmcnt(24)
	v_mul_f32_e32 v155, v4, v129
	v_mul_f32_e32 v128, v3, v128
	;; [unrolled: 1-line block ×3, first 2 shown]
	s_waitcnt vmcnt(23) lgkmcnt(2)
	v_mul_f32_e32 v157, v118, v131
	v_mul_f32_e32 v131, v119, v131
	v_fmac_f32_e32 v149, v3, v164
	v_fmac_f32_e32 v155, v5, v126
	v_fma_f32 v162, v2, v164, -v128
	v_fma_f32 v154, v4, v126, -v129
	ds_read_b128 v[2:5], v1 offset:784
	ds_read_b128 v[126:129], v1 offset:800
	v_fma_f32 v118, v118, v161, -v131
	ds_read_b128 v[130:133], v1 offset:816
	v_add_f32_e32 v1, v158, v8
	v_add_f32_e32 v7, v7, v149
	v_fmac_f32_e32 v157, v119, v161
	s_waitcnt vmcnt(22)
	v_mul_f32_e32 v119, v121, v135
	v_mul_f32_e32 v8, v120, v135
	v_add_f32_e32 v1, v1, v159
	v_add_f32_e32 v7, v7, v155
	s_waitcnt vmcnt(21) lgkmcnt(4)
	v_mul_f32_e32 v134, v114, v136
	v_mul_f32_e32 v136, v115, v136
	s_waitcnt vmcnt(15)
	v_fma_f32 v119, v120, v153, -v119
	v_add_f32_e32 v1, v1, v162
	v_fmac_f32_e32 v8, v121, v153
	v_add_f32_e32 v7, v7, v157
	v_mul_f32_e32 v135, v116, v137
	v_mul_f32_e32 v137, v117, v137
	v_add_f32_e32 v1, v1, v154
	v_fma_f32 v114, v114, v146, -v136
	v_fmac_f32_e32 v134, v115, v146
	v_add_f32_e32 v7, v7, v8
	s_waitcnt lgkmcnt(3)
	v_mul_f32_e32 v8, v123, v139
	v_add_f32_e32 v1, v1, v118
	v_fma_f32 v115, v116, v144, -v137
	v_mul_f32_e32 v120, v122, v139
	v_fmac_f32_e32 v135, v117, v144
	v_add_f32_e32 v7, v7, v134
	v_add_f32_e32 v1, v1, v119
	v_fma_f32 v8, v122, v141, -v8
	s_waitcnt vmcnt(14)
	v_mul_f32_e32 v121, v124, v138
	v_fmac_f32_e32 v120, v123, v141
	v_add_f32_e32 v7, v7, v135
	v_add_f32_e32 v1, v1, v114
	v_mul_f32_e32 v114, v125, v138
	s_waitcnt vmcnt(13) lgkmcnt(2)
	v_mul_f32_e32 v149, v2, v140
	s_waitcnt vmcnt(12)
	v_mul_f32_e32 v153, v4, v163
	v_add_f32_e32 v7, v7, v120
	v_add_f32_e32 v1, v1, v115
	v_mul_f32_e32 v115, v3, v140
	s_waitcnt vmcnt(4)
	v_fma_f32 v114, v124, v160, -v114
	v_fmac_f32_e32 v121, v125, v160
	v_fmac_f32_e32 v149, v3, v148
	v_add_f32_e32 v1, v1, v8
	v_mul_f32_e32 v8, v5, v163
	v_fma_f32 v2, v2, v148, -v115
	v_add_f32_e32 v3, v7, v121
	s_waitcnt lgkmcnt(1)
	v_mul_f32_e32 v7, v127, v165
	v_add_f32_e32 v1, v1, v114
	v_fma_f32 v4, v4, v147, -v8
	v_mul_f32_e32 v158, v126, v165
	v_fmac_f32_e32 v153, v5, v147
	v_fma_f32 v5, v126, v143, -v7
	v_add_f32_e32 v1, v1, v2
	v_add_f32_e32 v2, v3, v149
	v_mul_f32_e32 v3, v129, v142
	v_mul_f32_e32 v154, v128, v142
	v_fmac_f32_e32 v158, v127, v143
	v_add_f32_e32 v1, v1, v4
	v_add_f32_e32 v2, v2, v153
	s_waitcnt lgkmcnt(0)
	v_mul_f32_e32 v4, v131, v167
	s_waitcnt vmcnt(1)
	v_fma_f32 v3, v128, v156, -v3
	v_mul_f32_e32 v155, v130, v167
	v_add_f32_e32 v1, v1, v5
	v_fmac_f32_e32 v154, v129, v156
	v_add_f32_e32 v2, v2, v158
	v_mul_f32_e32 v5, v133, v152
	v_fma_f32 v4, v130, v151, -v4
	v_add_f32_e32 v1, v1, v3
	v_mul_f32_e32 v118, v132, v152
	v_fmac_f32_e32 v155, v131, v151
	v_add_f32_e32 v2, v2, v154
	v_fma_f32 v3, v132, v6, -v5
	v_add_f32_e32 v1, v1, v4
	v_fmac_f32_e32 v118, v133, v6
	v_add_f32_e32 v2, v2, v155
	v_add_f32_e32 v1, v1, v3
	;; [unrolled: 1-line block ×3, first 2 shown]
	s_waitcnt vmcnt(0)
	v_sub_f32_e32 v1, v150, v1
	v_sub_f32_e32 v2, v145, v2
	buffer_store_dword v1, off, s[0:3], 0 offset:8
	buffer_store_dword v2, off, s[0:3], 0 offset:12
	v_cmpx_ne_u32_e32 0, v0
	s_cbranch_execz .LBB115_325
; %bb.324:
	s_clause 0x1
	buffer_load_dword v0, off, s[0:3], 0
	buffer_load_dword v1, off, s[0:3], 0 offset:4
	v_mov_b32_e32 v2, 0
	buffer_store_dword v2, off, s[0:3], 0
	buffer_store_dword v2, off, s[0:3], 0 offset:4
	s_waitcnt vmcnt(0)
	ds_write_b64 v113, v[0:1]
.LBB115_325:
	s_or_b32 exec_lo, exec_lo, s4
	s_waitcnt lgkmcnt(0)
	s_waitcnt_vscnt null, 0x0
	s_barrier
	buffer_gl0_inv
	s_clause 0x2c
	buffer_load_dword v151, off, s[0:3], 0 offset:12
	buffer_load_dword v8, off, s[0:3], 0 offset:24
	;; [unrolled: 1-line block ×45, first 2 shown]
	v_mov_b32_e32 v150, 0
	ds_read2_b64 v[4:7], v150 offset0:53 offset1:54
	ds_read2_b64 v[0:3], v150 offset0:55 offset1:56
	;; [unrolled: 1-line block ×3, first 2 shown]
	s_and_b32 vcc_lo, exec_lo, s16
	s_waitcnt vmcnt(44) lgkmcnt(2)
	v_mul_f32_e32 v152, v4, v151
	v_mul_f32_e32 v163, v5, v151
	buffer_load_dword v151, off, s[0:3], 0 offset:4
	s_waitcnt vmcnt(42)
	v_fmac_f32_e32 v152, v5, v120
	v_fma_f32 v120, v4, v120, -v163
	s_waitcnt vmcnt(41)
	v_mul_f32_e32 v163, v6, v119
	v_mul_f32_e32 v4, v7, v119
	s_waitcnt vmcnt(40) lgkmcnt(1)
	v_mul_f32_e32 v164, v0, v117
	s_waitcnt vmcnt(39)
	v_mul_f32_e32 v165, v2, v114
	v_fmac_f32_e32 v163, v7, v115
	v_fma_f32 v119, v6, v115, -v4
	v_mul_f32_e32 v115, v1, v117
	ds_read2_b64 v[4:7], v150 offset0:59 offset1:60
	v_fmac_f32_e32 v164, v1, v8
	s_waitcnt vmcnt(35)
	v_fmac_f32_e32 v165, v3, v124
	s_waitcnt vmcnt(34) lgkmcnt(1)
	v_mul_f32_e32 v166, v159, v123
	v_fma_f32 v8, v0, v8, -v115
	v_mul_f32_e32 v0, v3, v114
	v_mul_f32_e32 v114, v160, v123
	s_waitcnt vmcnt(33)
	v_mul_f32_e32 v123, v161, v122
	v_fmac_f32_e32 v166, v160, v121
	v_fma_f32 v124, v2, v124, -v0
	ds_read2_b64 v[0:3], v150 offset0:61 offset1:62
	v_fma_f32 v121, v159, v121, -v114
	v_mul_f32_e32 v114, v162, v122
	v_fmac_f32_e32 v123, v162, v116
	v_fma_f32 v122, v161, v116, -v114
	ds_read2_b64 v[114:117], v150 offset0:63 offset1:64
	s_waitcnt vmcnt(32) lgkmcnt(2)
	v_mul_f32_e32 v159, v4, v118
	v_mul_f32_e32 v118, v5, v118
	s_waitcnt vmcnt(31)
	v_mul_f32_e32 v160, v6, v125
	v_fmac_f32_e32 v159, v5, v113
	v_fma_f32 v118, v4, v113, -v118
	v_mul_f32_e32 v4, v7, v125
	s_waitcnt vmcnt(27)
	v_fmac_f32_e32 v160, v7, v133
	s_waitcnt vmcnt(26) lgkmcnt(1)
	v_mul_f32_e32 v113, v1, v132
	v_fma_f32 v125, v6, v133, -v4
	v_mul_f32_e32 v133, v0, v132
	ds_read2_b64 v[4:7], v150 offset0:65 offset1:66
	s_waitcnt vmcnt(25)
	v_mul_f32_e32 v132, v2, v130
	v_fmac_f32_e32 v133, v1, v129
	v_fma_f32 v129, v0, v129, -v113
	v_mul_f32_e32 v0, v3, v130
	v_fmac_f32_e32 v132, v3, v127
	s_waitcnt vmcnt(24) lgkmcnt(1)
	v_mul_f32_e32 v130, v114, v128
	v_mul_f32_e32 v113, v115, v128
	s_waitcnt vmcnt(23)
	v_mul_f32_e32 v128, v116, v131
	v_fma_f32 v127, v2, v127, -v0
	ds_read2_b64 v[0:3], v150 offset0:67 offset1:68
	v_fmac_f32_e32 v130, v115, v126
	v_fma_f32 v126, v114, v126, -v113
	v_mul_f32_e32 v113, v117, v131
	s_waitcnt vmcnt(19)
	v_fmac_f32_e32 v128, v117, v141
	v_fma_f32 v117, v116, v141, -v113
	s_waitcnt vmcnt(18) lgkmcnt(1)
	v_mul_f32_e32 v131, v4, v140
	v_mul_f32_e32 v140, v5, v140
	ds_read2_b64 v[113:116], v150 offset0:69 offset1:70
	v_fmac_f32_e32 v131, v5, v137
	v_fma_f32 v137, v4, v137, -v140
	s_waitcnt vmcnt(17)
	v_mul_f32_e32 v140, v6, v138
	v_mul_f32_e32 v4, v7, v138
	s_waitcnt vmcnt(16) lgkmcnt(1)
	v_mul_f32_e32 v138, v0, v136
	v_mul_f32_e32 v136, v1, v136
	v_fmac_f32_e32 v140, v7, v135
	v_fma_f32 v135, v6, v135, -v4
	ds_read2_b64 v[4:7], v150 offset0:71 offset1:72
	v_fmac_f32_e32 v138, v1, v134
	v_fma_f32 v134, v0, v134, -v136
	s_waitcnt vmcnt(15)
	v_mul_f32_e32 v136, v2, v139
	v_mul_f32_e32 v0, v3, v139
	s_waitcnt vmcnt(10) lgkmcnt(1)
	v_mul_f32_e32 v141, v113, v147
	v_fmac_f32_e32 v136, v3, v148
	v_fma_f32 v139, v2, v148, -v0
	ds_read2_b64 v[0:3], v150 offset0:73 offset1:74
	v_mul_f32_e32 v147, v114, v147
	v_fmac_f32_e32 v141, v114, v145
	s_waitcnt vmcnt(9)
	v_mul_f32_e32 v114, v115, v146
	v_fma_f32 v113, v113, v145, -v147
	v_mul_f32_e32 v145, v116, v146
	v_fmac_f32_e32 v114, v116, v143
	buffer_load_dword v146, off, s[0:3], 0 offset:188
	s_waitcnt vmcnt(9) lgkmcnt(1)
	v_mul_f32_e32 v116, v4, v144
	v_fma_f32 v115, v115, v143, -v145
	v_mul_f32_e32 v143, v5, v144
	s_waitcnt vmcnt(8)
	v_mul_f32_e32 v144, v6, v149
	v_mul_f32_e32 v145, v7, v149
	v_fmac_f32_e32 v116, v5, v142
	v_fma_f32 v142, v4, v142, -v143
	s_waitcnt vmcnt(4)
	v_fmac_f32_e32 v144, v7, v158
	v_fma_f32 v143, v6, v158, -v145
	ds_read2_b64 v[4:7], v150 offset0:75 offset1:76
	s_waitcnt vmcnt(2) lgkmcnt(1)
	v_mul_f32_e32 v148, v2, v156
	v_mul_f32_e32 v149, v3, v156
	buffer_load_dword v156, off, s[0:3], 0 offset:196
	v_mul_f32_e32 v145, v0, v157
	v_mul_f32_e32 v147, v1, v157
	v_fmac_f32_e32 v148, v3, v154
	v_fma_f32 v149, v2, v154, -v149
	v_fmac_f32_e32 v145, v1, v155
	v_fma_f32 v147, v0, v155, -v147
	s_clause 0x4
	buffer_load_dword v154, off, s[0:3], 0 offset:216
	buffer_load_dword v155, off, s[0:3], 0 offset:208
	;; [unrolled: 1-line block ×5, first 2 shown]
	s_waitcnt vmcnt(6) lgkmcnt(0)
	v_mul_f32_e32 v161, v4, v146
	v_mul_f32_e32 v1, v5, v146
	v_fmac_f32_e32 v161, v5, v153
	v_fma_f32 v153, v4, v153, -v1
	s_waitcnt vmcnt(5)
	v_mul_f32_e32 v146, v6, v156
	v_mul_f32_e32 v2, v7, v156
	s_waitcnt vmcnt(1)
	v_fmac_f32_e32 v146, v7, v0
	v_fma_f32 v156, v6, v0, -v2
	ds_read2_b64 v[0:3], v150 offset0:77 offset1:78
	ds_read2_b64 v[4:7], v150 offset0:79 offset1:80
	s_waitcnt vmcnt(0) lgkmcnt(1)
	v_mul_f32_e32 v162, v0, v158
	v_mul_f32_e32 v158, v1, v158
	v_fmac_f32_e32 v162, v1, v157
	v_fma_f32 v157, v0, v157, -v158
	buffer_load_dword v0, off, s[0:3], 0 offset:212
	s_waitcnt vmcnt(0)
	v_mul_f32_e32 v158, v2, v0
	v_mul_f32_e32 v0, v3, v0
	v_fmac_f32_e32 v158, v3, v155
	v_fma_f32 v155, v2, v155, -v0
	buffer_load_dword v0, off, s[0:3], 0 offset:220
	s_waitcnt vmcnt(0) lgkmcnt(0)
	v_mul_f32_e32 v167, v4, v0
	v_mul_f32_e32 v0, v5, v0
	v_fmac_f32_e32 v167, v5, v154
	v_fma_f32 v154, v4, v154, -v0
	s_clause 0x5
	buffer_load_dword v0, off, s[0:3], 0 offset:228
	buffer_load_dword v168, off, s[0:3], 0 offset:248
	;; [unrolled: 1-line block ×6, first 2 shown]
	s_waitcnt vmcnt(5)
	v_mul_f32_e32 v171, v6, v0
	v_mul_f32_e32 v0, v7, v0
	s_waitcnt vmcnt(1)
	v_fmac_f32_e32 v171, v7, v1
	v_fma_f32 v172, v6, v1, -v0
	ds_read2_b64 v[0:3], v150 offset0:81 offset1:82
	ds_read2_b64 v[4:7], v150 offset0:83 offset1:84
	s_waitcnt vmcnt(0) lgkmcnt(1)
	v_mul_f32_e32 v174, v0, v173
	v_mul_f32_e32 v173, v1, v173
	v_fmac_f32_e32 v174, v1, v170
	v_fma_f32 v170, v0, v170, -v173
	buffer_load_dword v0, off, s[0:3], 0 offset:244
	s_waitcnt vmcnt(0)
	v_mul_f32_e32 v173, v2, v0
	v_mul_f32_e32 v0, v3, v0
	v_fmac_f32_e32 v173, v3, v169
	v_fma_f32 v169, v2, v169, -v0
	buffer_load_dword v0, off, s[0:3], 0 offset:252
	s_waitcnt vmcnt(0) lgkmcnt(0)
	v_mul_f32_e32 v175, v4, v0
	v_mul_f32_e32 v0, v5, v0
	v_fmac_f32_e32 v175, v5, v168
	v_fma_f32 v168, v4, v168, -v0
	s_clause 0x5
	buffer_load_dword v0, off, s[0:3], 0 offset:260
	buffer_load_dword v176, off, s[0:3], 0 offset:280
	;; [unrolled: 1-line block ×6, first 2 shown]
	s_waitcnt vmcnt(5)
	v_mul_f32_e32 v179, v6, v0
	v_mul_f32_e32 v0, v7, v0
	s_waitcnt vmcnt(1)
	v_fmac_f32_e32 v179, v7, v1
	v_fma_f32 v180, v6, v1, -v0
	ds_read2_b64 v[0:3], v150 offset0:85 offset1:86
	ds_read2_b64 v[4:7], v150 offset0:87 offset1:88
	s_waitcnt vmcnt(0) lgkmcnt(1)
	v_mul_f32_e32 v182, v0, v181
	v_mul_f32_e32 v181, v1, v181
	v_fmac_f32_e32 v182, v1, v178
	v_fma_f32 v178, v0, v178, -v181
	buffer_load_dword v0, off, s[0:3], 0 offset:276
	s_waitcnt vmcnt(0)
	v_mul_f32_e32 v181, v2, v0
	v_mul_f32_e32 v0, v3, v0
	v_fmac_f32_e32 v181, v3, v177
	v_fma_f32 v177, v2, v177, -v0
	buffer_load_dword v0, off, s[0:3], 0 offset:284
	s_waitcnt vmcnt(0) lgkmcnt(0)
	v_mul_f32_e32 v183, v4, v0
	v_mul_f32_e32 v0, v5, v0
	v_fmac_f32_e32 v183, v5, v176
	v_fma_f32 v176, v4, v176, -v0
	s_clause 0x4
	buffer_load_dword v0, off, s[0:3], 0 offset:292
	buffer_load_dword v184, off, s[0:3], 0 offset:312
	;; [unrolled: 1-line block ×5, first 2 shown]
	s_waitcnt vmcnt(4)
	v_mul_f32_e32 v187, v6, v0
	v_mul_f32_e32 v0, v7, v0
	s_waitcnt vmcnt(0)
	v_fmac_f32_e32 v187, v7, v1
	v_fma_f32 v188, v6, v1, -v0
	v_add_f32_e32 v0, 0, v152
	v_add_f32_e32 v1, 0, v120
	;; [unrolled: 1-line block ×6, first 2 shown]
	buffer_load_dword v8, off, s[0:3], 0 offset:300
	v_add_f32_e32 v0, v0, v165
	v_add_f32_e32 v1, v1, v124
	;; [unrolled: 1-line block ×8, first 2 shown]
	s_clause 0x2
	buffer_load_dword v118, off, s[0:3], 0 offset:308
	buffer_load_dword v121, off, s[0:3], 0 offset:316
	;; [unrolled: 1-line block ×3, first 2 shown]
	v_add_f32_e32 v0, v0, v160
	v_add_f32_e32 v1, v1, v125
	;; [unrolled: 1-line block ×10, first 2 shown]
	s_clause 0x4
	buffer_load_dword v127, off, s[0:3], 0 offset:344
	buffer_load_dword v128, off, s[0:3], 0 offset:336
	;; [unrolled: 1-line block ×5, first 2 shown]
	v_add_f32_e32 v0, v0, v131
	v_add_f32_e32 v1, v1, v137
	s_clause 0x2
	buffer_load_dword v131, off, s[0:3], 0 offset:340
	buffer_load_dword v132, off, s[0:3], 0 offset:348
	;; [unrolled: 1-line block ×3, first 2 shown]
	v_add_f32_e32 v0, v0, v140
	v_add_f32_e32 v1, v1, v135
	;; [unrolled: 1-line block ×4, first 2 shown]
	buffer_load_dword v134, off, s[0:3], 0 offset:364
	v_add_f32_e32 v0, v0, v136
	v_add_f32_e32 v1, v1, v139
	s_clause 0x5
	buffer_load_dword v135, off, s[0:3], 0 offset:372
	buffer_load_dword v136, off, s[0:3], 0 offset:380
	;; [unrolled: 1-line block ×6, first 2 shown]
	v_add_f32_e32 v0, v0, v141
	v_add_f32_e32 v1, v1, v113
	;; [unrolled: 1-line block ×8, first 2 shown]
	s_clause 0x3
	buffer_load_dword v141, off, s[0:3], 0 offset:376
	buffer_load_dword v142, off, s[0:3], 0 offset:368
	;; [unrolled: 1-line block ×4, first 2 shown]
	v_add_f32_e32 v0, v0, v145
	v_add_f32_e32 v1, v1, v147
	;; [unrolled: 1-line block ×4, first 2 shown]
	s_clause 0x4
	buffer_load_dword v145, off, s[0:3], 0 offset:408
	buffer_load_dword v147, off, s[0:3], 0 offset:400
	buffer_load_dword v148, off, s[0:3], 0 offset:392
	buffer_load_dword v149, off, s[0:3], 0 offset:384
	buffer_load_dword v152, off, s[0:3], 0
	v_add_f32_e32 v0, v0, v161
	v_add_f32_e32 v1, v1, v153
	v_add_f32_e32 v0, v0, v146
	v_add_f32_e32 v1, v1, v156
	v_add_f32_e32 v4, v0, v162
	v_add_f32_e32 v1, v1, v157
	v_add_f32_e32 v4, v4, v158
	v_add_f32_e32 v5, v1, v155
	ds_read2_b64 v[0:3], v150 offset0:89 offset1:90
	v_add_f32_e32 v113, v4, v167
	v_add_f32_e32 v5, v5, v154
	v_add_f32_e32 v113, v113, v171
	v_add_f32_e32 v114, v5, v172
	ds_read2_b64 v[4:7], v150 offset0:91 offset1:92
	v_add_f32_e32 v113, v113, v174
	v_add_f32_e32 v114, v114, v170
	;; [unrolled: 1-line block ×3, first 2 shown]
	s_waitcnt vmcnt(27) lgkmcnt(1)
	v_mul_f32_e32 v146, v0, v8
	v_mul_f32_e32 v8, v1, v8
	v_fmac_f32_e32 v146, v1, v186
	v_add_f32_e32 v1, v113, v173
	v_add_f32_e32 v113, v114, v168
	v_fma_f32 v8, v0, v186, -v8
	v_add_f32_e32 v123, v1, v175
	v_add_f32_e32 v124, v113, v180
	;; [unrolled: 1-line block ×4, first 2 shown]
	s_waitcnt vmcnt(25) lgkmcnt(0)
	v_mul_f32_e32 v155, v4, v121
	v_mul_f32_e32 v121, v5, v121
	v_add_f32_e32 v123, v123, v182
	v_mul_f32_e32 v153, v2, v118
	v_mul_f32_e32 v115, v3, v118
	v_fmac_f32_e32 v155, v5, v184
	v_add_f32_e32 v5, v124, v177
	v_fma_f32 v157, v4, v184, -v121
	v_add_f32_e32 v4, v123, v181
	v_fmac_f32_e32 v153, v3, v185
	v_fma_f32 v154, v2, v185, -v115
	v_add_f32_e32 v158, v5, v176
	ds_read2_b64 v[0:3], v150 offset0:93 offset1:94
	ds_read2_b64 v[113:116], v150 offset0:95 offset1:96
	;; [unrolled: 1-line block ×3, first 2 shown]
	v_add_f32_e32 v160, v4, v183
	s_waitcnt vmcnt(24)
	v_mul_f32_e32 v126, v7, v122
	v_mul_f32_e32 v156, v6, v122
	v_add_f32_e32 v158, v158, v188
	ds_read2_b64 v[121:124], v150 offset0:99 offset1:100
	v_add_f32_e32 v160, v160, v187
	v_add_f32_e32 v8, v158, v8
	;; [unrolled: 1-line block ×3, first 2 shown]
	s_waitcnt vmcnt(20)
	v_fma_f32 v159, v6, v125, -v126
	v_add_f32_e32 v8, v8, v154
	v_fmac_f32_e32 v156, v7, v125
	v_add_f32_e32 v146, v146, v153
	ds_read2_b64 v[4:7], v150 offset0:101 offset1:102
	ds_read_b64 v[125:126], v150 offset:824
	s_waitcnt vmcnt(19) lgkmcnt(5)
	v_mul_f32_e32 v161, v0, v130
	v_mul_f32_e32 v130, v1, v130
	v_add_f32_e32 v8, v8, v157
	v_add_f32_e32 v146, v146, v155
	s_waitcnt vmcnt(18)
	v_mul_f32_e32 v162, v2, v131
	v_mul_f32_e32 v131, v3, v131
	v_fma_f32 v0, v0, v129, -v130
	v_add_f32_e32 v8, v8, v159
	v_fmac_f32_e32 v161, v1, v129
	v_add_f32_e32 v130, v146, v156
	s_waitcnt vmcnt(17) lgkmcnt(4)
	v_mul_f32_e32 v129, v114, v132
	v_fma_f32 v2, v2, v128, -v131
	v_add_f32_e32 v0, v8, v0
	v_mul_f32_e32 v158, v113, v132
	v_fmac_f32_e32 v162, v3, v128
	v_add_f32_e32 v3, v130, v161
	s_waitcnt vmcnt(16)
	v_mul_f32_e32 v8, v116, v133
	v_fma_f32 v113, v113, v127, -v129
	v_add_f32_e32 v0, v0, v2
	v_mul_f32_e32 v160, v115, v133
	v_fmac_f32_e32 v158, v114, v127
	v_add_f32_e32 v2, v3, v162
	s_waitcnt vmcnt(15) lgkmcnt(3)
	v_mul_f32_e32 v3, v118, v134
	v_add_f32_e32 v0, v0, v113
	v_mul_f32_e32 v154, v117, v134
	s_waitcnt vmcnt(14)
	v_mul_f32_e32 v113, v120, v135
	v_add_f32_e32 v2, v2, v158
	v_mul_f32_e32 v153, v119, v135
	s_waitcnt vmcnt(13) lgkmcnt(2)
	v_mul_f32_e32 v163, v121, v136
	s_waitcnt vmcnt(12)
	v_mul_f32_e32 v157, v123, v137
	s_waitcnt vmcnt(11) lgkmcnt(1)
	v_mul_f32_e32 v155, v4, v138
	s_waitcnt vmcnt(10)
	;; [unrolled: 4-line block ×3, first 2 shown]
	v_fmac_f32_e32 v163, v122, v141
	s_waitcnt vmcnt(7)
	v_fma_f32 v113, v119, v142, -v113
	s_waitcnt vmcnt(6)
	v_fma_f32 v3, v117, v143, -v3
	;; [unrolled: 2-line block ×3, first 2 shown]
	v_fmac_f32_e32 v160, v116, v144
	v_fmac_f32_e32 v154, v118, v143
	;; [unrolled: 1-line block ×3, first 2 shown]
	v_add_f32_e32 v0, v0, v8
	v_add_f32_e32 v2, v2, v160
	v_mul_f32_e32 v8, v122, v136
	s_waitcnt vmcnt(3)
	v_fmac_f32_e32 v1, v7, v147
	s_waitcnt vmcnt(2)
	v_fmac_f32_e32 v155, v5, v148
	v_add_f32_e32 v0, v0, v3
	v_add_f32_e32 v2, v2, v154
	v_mul_f32_e32 v3, v124, v137
	v_fma_f32 v8, v121, v141, -v8
	s_waitcnt vmcnt(1)
	v_fmac_f32_e32 v157, v124, v149
	v_add_f32_e32 v0, v0, v113
	v_add_f32_e32 v2, v2, v153
	v_mul_f32_e32 v113, v5, v138
	v_fma_f32 v3, v123, v149, -v3
	v_fmac_f32_e32 v132, v126, v145
	v_add_f32_e32 v0, v0, v8
	v_add_f32_e32 v2, v2, v163
	v_mul_f32_e32 v8, v7, v139
	v_fma_f32 v4, v4, v148, -v113
	v_add_f32_e32 v0, v0, v3
	v_add_f32_e32 v2, v2, v157
	v_mul_f32_e32 v3, v126, v140
	v_fma_f32 v5, v6, v147, -v8
	v_add_f32_e32 v0, v0, v4
	v_add_f32_e32 v2, v2, v155
	v_fma_f32 v3, v125, v145, -v3
	v_add_f32_e32 v0, v0, v5
	v_add_f32_e32 v1, v2, v1
	;; [unrolled: 1-line block ×4, first 2 shown]
	s_waitcnt vmcnt(0)
	v_sub_f32_e32 v0, v152, v0
	v_sub_f32_e32 v1, v151, v1
	buffer_store_dword v0, off, s[0:3], 0
	buffer_store_dword v1, off, s[0:3], 0 offset:4
	s_cbranch_vccz .LBB115_428
; %bb.326:
	global_load_dword v0, v150, s[12:13] offset:200
	s_waitcnt vmcnt(0)
	v_add_nc_u32_e32 v0, -1, v0
	v_cmp_ne_u32_e32 vcc_lo, 50, v0
	s_cbranch_vccz .LBB115_328
; %bb.327:
	v_lshlrev_b32_e32 v0, 3, v0
	s_clause 0x3
	buffer_load_dword v1, v0, s[0:3], 0 offen
	buffer_load_dword v2, v0, s[0:3], 0 offen offset:4
	buffer_load_dword v3, off, s[0:3], 0 offset:404
	buffer_load_dword v4, off, s[0:3], 0 offset:400
	s_waitcnt vmcnt(3)
	buffer_store_dword v1, off, s[0:3], 0 offset:400
	s_waitcnt vmcnt(2)
	buffer_store_dword v2, off, s[0:3], 0 offset:404
	s_waitcnt vmcnt(1)
	buffer_store_dword v3, v0, s[0:3], 0 offen offset:4
	s_waitcnt vmcnt(0)
	buffer_store_dword v4, v0, s[0:3], 0 offen
.LBB115_328:
	v_mov_b32_e32 v0, 0
	global_load_dword v1, v0, s[12:13] offset:196
	s_waitcnt vmcnt(0)
	v_add_nc_u32_e32 v1, -1, v1
	v_cmp_eq_u32_e32 vcc_lo, 49, v1
	s_cbranch_vccnz .LBB115_330
; %bb.329:
	v_lshlrev_b32_e32 v1, 3, v1
	s_clause 0x3
	buffer_load_dword v2, v1, s[0:3], 0 offen
	buffer_load_dword v3, v1, s[0:3], 0 offen offset:4
	buffer_load_dword v4, off, s[0:3], 0 offset:392
	buffer_load_dword v5, off, s[0:3], 0 offset:396
	s_waitcnt vmcnt(3)
	buffer_store_dword v2, off, s[0:3], 0 offset:392
	s_waitcnt vmcnt(2)
	buffer_store_dword v3, off, s[0:3], 0 offset:396
	s_waitcnt vmcnt(1)
	buffer_store_dword v4, v1, s[0:3], 0 offen
	s_waitcnt vmcnt(0)
	buffer_store_dword v5, v1, s[0:3], 0 offen offset:4
.LBB115_330:
	global_load_dword v0, v0, s[12:13] offset:192
	s_waitcnt vmcnt(0)
	v_add_nc_u32_e32 v0, -1, v0
	v_cmp_eq_u32_e32 vcc_lo, 48, v0
	s_cbranch_vccnz .LBB115_332
; %bb.331:
	v_lshlrev_b32_e32 v0, 3, v0
	s_clause 0x3
	buffer_load_dword v1, v0, s[0:3], 0 offen
	buffer_load_dword v2, v0, s[0:3], 0 offen offset:4
	buffer_load_dword v3, off, s[0:3], 0 offset:388
	buffer_load_dword v4, off, s[0:3], 0 offset:384
	s_waitcnt vmcnt(3)
	buffer_store_dword v1, off, s[0:3], 0 offset:384
	s_waitcnt vmcnt(2)
	buffer_store_dword v2, off, s[0:3], 0 offset:388
	s_waitcnt vmcnt(1)
	buffer_store_dword v3, v0, s[0:3], 0 offen offset:4
	s_waitcnt vmcnt(0)
	buffer_store_dword v4, v0, s[0:3], 0 offen
.LBB115_332:
	v_mov_b32_e32 v0, 0
	global_load_dword v1, v0, s[12:13] offset:188
	s_waitcnt vmcnt(0)
	v_add_nc_u32_e32 v1, -1, v1
	v_cmp_eq_u32_e32 vcc_lo, 47, v1
	s_cbranch_vccnz .LBB115_334
; %bb.333:
	v_lshlrev_b32_e32 v1, 3, v1
	s_clause 0x3
	buffer_load_dword v2, v1, s[0:3], 0 offen
	buffer_load_dword v3, v1, s[0:3], 0 offen offset:4
	buffer_load_dword v4, off, s[0:3], 0 offset:376
	buffer_load_dword v5, off, s[0:3], 0 offset:380
	s_waitcnt vmcnt(3)
	buffer_store_dword v2, off, s[0:3], 0 offset:376
	s_waitcnt vmcnt(2)
	buffer_store_dword v3, off, s[0:3], 0 offset:380
	s_waitcnt vmcnt(1)
	buffer_store_dword v4, v1, s[0:3], 0 offen
	s_waitcnt vmcnt(0)
	buffer_store_dword v5, v1, s[0:3], 0 offen offset:4
.LBB115_334:
	global_load_dword v0, v0, s[12:13] offset:184
	s_waitcnt vmcnt(0)
	v_add_nc_u32_e32 v0, -1, v0
	v_cmp_eq_u32_e32 vcc_lo, 46, v0
	s_cbranch_vccnz .LBB115_336
; %bb.335:
	v_lshlrev_b32_e32 v0, 3, v0
	s_clause 0x3
	buffer_load_dword v1, v0, s[0:3], 0 offen
	buffer_load_dword v2, v0, s[0:3], 0 offen offset:4
	buffer_load_dword v3, off, s[0:3], 0 offset:372
	buffer_load_dword v4, off, s[0:3], 0 offset:368
	s_waitcnt vmcnt(3)
	buffer_store_dword v1, off, s[0:3], 0 offset:368
	s_waitcnt vmcnt(2)
	buffer_store_dword v2, off, s[0:3], 0 offset:372
	s_waitcnt vmcnt(1)
	buffer_store_dword v3, v0, s[0:3], 0 offen offset:4
	s_waitcnt vmcnt(0)
	buffer_store_dword v4, v0, s[0:3], 0 offen
.LBB115_336:
	;; [unrolled: 43-line block ×24, first 2 shown]
	v_mov_b32_e32 v0, 0
	global_load_dword v1, v0, s[12:13] offset:4
	s_waitcnt vmcnt(0)
	v_add_nc_u32_e32 v1, -1, v1
	v_cmp_eq_u32_e32 vcc_lo, 1, v1
	s_cbranch_vccnz .LBB115_426
; %bb.425:
	v_lshlrev_b32_e32 v1, 3, v1
	s_clause 0x3
	buffer_load_dword v2, v1, s[0:3], 0 offen
	buffer_load_dword v3, v1, s[0:3], 0 offen offset:4
	buffer_load_dword v4, off, s[0:3], 0 offset:8
	buffer_load_dword v5, off, s[0:3], 0 offset:12
	s_waitcnt vmcnt(3)
	buffer_store_dword v2, off, s[0:3], 0 offset:8
	s_waitcnt vmcnt(2)
	buffer_store_dword v3, off, s[0:3], 0 offset:12
	s_waitcnt vmcnt(1)
	buffer_store_dword v4, v1, s[0:3], 0 offen
	s_waitcnt vmcnt(0)
	buffer_store_dword v5, v1, s[0:3], 0 offen offset:4
.LBB115_426:
	global_load_dword v0, v0, s[12:13]
	s_waitcnt vmcnt(0)
	v_add_nc_u32_e32 v0, -1, v0
	v_cmp_eq_u32_e32 vcc_lo, 0, v0
	s_cbranch_vccnz .LBB115_428
; %bb.427:
	v_lshlrev_b32_e32 v0, 3, v0
	s_clause 0x3
	buffer_load_dword v1, v0, s[0:3], 0 offen
	buffer_load_dword v2, v0, s[0:3], 0 offen offset:4
	buffer_load_dword v3, off, s[0:3], 0 offset:4
	buffer_load_dword v4, off, s[0:3], 0
	s_waitcnt vmcnt(3)
	buffer_store_dword v1, off, s[0:3], 0
	s_waitcnt vmcnt(2)
	buffer_store_dword v2, off, s[0:3], 0 offset:4
	s_waitcnt vmcnt(1)
	buffer_store_dword v3, v0, s[0:3], 0 offen offset:4
	s_waitcnt vmcnt(0)
	buffer_store_dword v4, v0, s[0:3], 0 offen
.LBB115_428:
	s_clause 0x1
	buffer_load_dword v0, off, s[0:3], 0
	buffer_load_dword v1, off, s[0:3], 0 offset:4
	s_waitcnt vmcnt(0)
	flat_store_dwordx2 v[9:10], v[0:1]
	s_clause 0x1
	buffer_load_dword v0, off, s[0:3], 0 offset:8
	buffer_load_dword v1, off, s[0:3], 0 offset:12
	s_waitcnt vmcnt(0)
	flat_store_dwordx2 v[11:12], v[0:1]
	s_clause 0x1
	buffer_load_dword v0, off, s[0:3], 0 offset:16
	;; [unrolled: 5-line block ×51, first 2 shown]
	buffer_load_dword v1, off, s[0:3], 0 offset:412
	s_waitcnt vmcnt(0)
	flat_store_dwordx2 v[111:112], v[0:1]
	s_endpgm
	.section	.rodata,"a",@progbits
	.p2align	6, 0x0
	.amdhsa_kernel _ZN9rocsolver6v33100L18getri_kernel_smallILi52E19rocblas_complex_numIfEPKPS3_EEvT1_iilPiilS8_bb
		.amdhsa_group_segment_fixed_size 836
		.amdhsa_private_segment_fixed_size 432
		.amdhsa_kernarg_size 60
		.amdhsa_user_sgpr_count 6
		.amdhsa_user_sgpr_private_segment_buffer 1
		.amdhsa_user_sgpr_dispatch_ptr 0
		.amdhsa_user_sgpr_queue_ptr 0
		.amdhsa_user_sgpr_kernarg_segment_ptr 1
		.amdhsa_user_sgpr_dispatch_id 0
		.amdhsa_user_sgpr_flat_scratch_init 0
		.amdhsa_user_sgpr_private_segment_size 0
		.amdhsa_wavefront_size32 1
		.amdhsa_uses_dynamic_stack 0
		.amdhsa_system_sgpr_private_segment_wavefront_offset 1
		.amdhsa_system_sgpr_workgroup_id_x 1
		.amdhsa_system_sgpr_workgroup_id_y 0
		.amdhsa_system_sgpr_workgroup_id_z 0
		.amdhsa_system_sgpr_workgroup_info 0
		.amdhsa_system_vgpr_workitem_id 0
		.amdhsa_next_free_vgpr 254
		.amdhsa_next_free_sgpr 20
		.amdhsa_reserve_vcc 1
		.amdhsa_reserve_flat_scratch 0
		.amdhsa_float_round_mode_32 0
		.amdhsa_float_round_mode_16_64 0
		.amdhsa_float_denorm_mode_32 3
		.amdhsa_float_denorm_mode_16_64 3
		.amdhsa_dx10_clamp 1
		.amdhsa_ieee_mode 1
		.amdhsa_fp16_overflow 0
		.amdhsa_workgroup_processor_mode 1
		.amdhsa_memory_ordered 1
		.amdhsa_forward_progress 1
		.amdhsa_shared_vgpr_count 0
		.amdhsa_exception_fp_ieee_invalid_op 0
		.amdhsa_exception_fp_denorm_src 0
		.amdhsa_exception_fp_ieee_div_zero 0
		.amdhsa_exception_fp_ieee_overflow 0
		.amdhsa_exception_fp_ieee_underflow 0
		.amdhsa_exception_fp_ieee_inexact 0
		.amdhsa_exception_int_div_zero 0
	.end_amdhsa_kernel
	.section	.text._ZN9rocsolver6v33100L18getri_kernel_smallILi52E19rocblas_complex_numIfEPKPS3_EEvT1_iilPiilS8_bb,"axG",@progbits,_ZN9rocsolver6v33100L18getri_kernel_smallILi52E19rocblas_complex_numIfEPKPS3_EEvT1_iilPiilS8_bb,comdat
.Lfunc_end115:
	.size	_ZN9rocsolver6v33100L18getri_kernel_smallILi52E19rocblas_complex_numIfEPKPS3_EEvT1_iilPiilS8_bb, .Lfunc_end115-_ZN9rocsolver6v33100L18getri_kernel_smallILi52E19rocblas_complex_numIfEPKPS3_EEvT1_iilPiilS8_bb
                                        ; -- End function
	.set _ZN9rocsolver6v33100L18getri_kernel_smallILi52E19rocblas_complex_numIfEPKPS3_EEvT1_iilPiilS8_bb.num_vgpr, 254
	.set _ZN9rocsolver6v33100L18getri_kernel_smallILi52E19rocblas_complex_numIfEPKPS3_EEvT1_iilPiilS8_bb.num_agpr, 0
	.set _ZN9rocsolver6v33100L18getri_kernel_smallILi52E19rocblas_complex_numIfEPKPS3_EEvT1_iilPiilS8_bb.numbered_sgpr, 20
	.set _ZN9rocsolver6v33100L18getri_kernel_smallILi52E19rocblas_complex_numIfEPKPS3_EEvT1_iilPiilS8_bb.num_named_barrier, 0
	.set _ZN9rocsolver6v33100L18getri_kernel_smallILi52E19rocblas_complex_numIfEPKPS3_EEvT1_iilPiilS8_bb.private_seg_size, 432
	.set _ZN9rocsolver6v33100L18getri_kernel_smallILi52E19rocblas_complex_numIfEPKPS3_EEvT1_iilPiilS8_bb.uses_vcc, 1
	.set _ZN9rocsolver6v33100L18getri_kernel_smallILi52E19rocblas_complex_numIfEPKPS3_EEvT1_iilPiilS8_bb.uses_flat_scratch, 0
	.set _ZN9rocsolver6v33100L18getri_kernel_smallILi52E19rocblas_complex_numIfEPKPS3_EEvT1_iilPiilS8_bb.has_dyn_sized_stack, 0
	.set _ZN9rocsolver6v33100L18getri_kernel_smallILi52E19rocblas_complex_numIfEPKPS3_EEvT1_iilPiilS8_bb.has_recursion, 0
	.set _ZN9rocsolver6v33100L18getri_kernel_smallILi52E19rocblas_complex_numIfEPKPS3_EEvT1_iilPiilS8_bb.has_indirect_call, 0
	.section	.AMDGPU.csdata,"",@progbits
; Kernel info:
; codeLenInByte = 103808
; TotalNumSgprs: 22
; NumVgprs: 254
; ScratchSize: 432
; MemoryBound: 0
; FloatMode: 240
; IeeeMode: 1
; LDSByteSize: 836 bytes/workgroup (compile time only)
; SGPRBlocks: 0
; VGPRBlocks: 31
; NumSGPRsForWavesPerEU: 22
; NumVGPRsForWavesPerEU: 254
; Occupancy: 4
; WaveLimiterHint : 1
; COMPUTE_PGM_RSRC2:SCRATCH_EN: 1
; COMPUTE_PGM_RSRC2:USER_SGPR: 6
; COMPUTE_PGM_RSRC2:TRAP_HANDLER: 0
; COMPUTE_PGM_RSRC2:TGID_X_EN: 1
; COMPUTE_PGM_RSRC2:TGID_Y_EN: 0
; COMPUTE_PGM_RSRC2:TGID_Z_EN: 0
; COMPUTE_PGM_RSRC2:TIDIG_COMP_CNT: 0
	.section	.text._ZN9rocsolver6v33100L18getri_kernel_smallILi53E19rocblas_complex_numIfEPKPS3_EEvT1_iilPiilS8_bb,"axG",@progbits,_ZN9rocsolver6v33100L18getri_kernel_smallILi53E19rocblas_complex_numIfEPKPS3_EEvT1_iilPiilS8_bb,comdat
	.globl	_ZN9rocsolver6v33100L18getri_kernel_smallILi53E19rocblas_complex_numIfEPKPS3_EEvT1_iilPiilS8_bb ; -- Begin function _ZN9rocsolver6v33100L18getri_kernel_smallILi53E19rocblas_complex_numIfEPKPS3_EEvT1_iilPiilS8_bb
	.p2align	8
	.type	_ZN9rocsolver6v33100L18getri_kernel_smallILi53E19rocblas_complex_numIfEPKPS3_EEvT1_iilPiilS8_bb,@function
_ZN9rocsolver6v33100L18getri_kernel_smallILi53E19rocblas_complex_numIfEPKPS3_EEvT1_iilPiilS8_bb: ; @_ZN9rocsolver6v33100L18getri_kernel_smallILi53E19rocblas_complex_numIfEPKPS3_EEvT1_iilPiilS8_bb
; %bb.0:
	s_add_u32 s0, s0, s7
	s_addc_u32 s1, s1, 0
	s_mov_b32 s7, exec_lo
	v_cmpx_gt_u32_e32 53, v0
	s_cbranch_execz .LBB116_226
; %bb.1:
	s_clause 0x2
	s_load_dword s17, s[4:5], 0x38
	s_load_dwordx2 s[12:13], s[4:5], 0x0
	s_load_dwordx4 s[8:11], s[4:5], 0x28
	s_waitcnt lgkmcnt(0)
	s_bitcmp1_b32 s17, 8
	s_cselect_b32 s16, -1, 0
	s_ashr_i32 s7, s6, 31
	s_lshl_b64 s[14:15], s[6:7], 3
	s_add_u32 s12, s12, s14
	s_addc_u32 s13, s13, s15
	s_load_dwordx2 s[14:15], s[12:13], 0x0
	s_bfe_u32 s12, s17, 0x10008
	s_cmp_eq_u32 s12, 0
                                        ; implicit-def: $sgpr12_sgpr13
	s_cbranch_scc1 .LBB116_3
; %bb.2:
	s_clause 0x1
	s_load_dword s12, s[4:5], 0x20
	s_load_dwordx2 s[18:19], s[4:5], 0x18
	s_mul_i32 s13, s8, s7
	s_mul_hi_u32 s17, s8, s6
	s_mul_i32 s9, s9, s6
	s_add_i32 s13, s17, s13
	s_mul_i32 s8, s8, s6
	s_add_i32 s9, s13, s9
	s_lshl_b64 s[8:9], s[8:9], 2
	s_waitcnt lgkmcnt(0)
	s_ashr_i32 s13, s12, 31
	s_add_u32 s17, s18, s8
	s_addc_u32 s18, s19, s9
	s_lshl_b64 s[8:9], s[12:13], 2
	s_add_u32 s12, s17, s8
	s_addc_u32 s13, s18, s9
.LBB116_3:
	s_clause 0x1
	s_load_dwordx2 s[8:9], s[4:5], 0x8
	s_load_dword s17, s[4:5], 0x38
	v_lshlrev_b32_e32 v3, 3, v0
	s_waitcnt lgkmcnt(0)
	s_ashr_i32 s5, s8, 31
	s_mov_b32 s4, s8
	v_add3_u32 v4, s9, s9, v0
	s_lshl_b64 s[4:5], s[4:5], 3
	s_add_u32 s4, s14, s4
	s_addc_u32 s5, s15, s5
	v_add_co_u32 v12, s8, s4, v3
	v_add_co_ci_u32_e64 v13, null, s5, 0, s8
	s_mov_b32 s14, s9
	s_ashr_i32 s15, s9, 31
	v_ashrrev_i32_e32 v5, 31, v4
	flat_load_dwordx2 v[1:2], v[12:13]
	s_lshl_b64 s[14:15], s[14:15], 3
	s_bitcmp0_b32 s17, 0
	v_add_co_u32 v14, vcc_lo, v12, s14
	v_add_co_ci_u32_e64 v15, null, s15, v13, vcc_lo
	v_lshlrev_b64 v[5:6], 3, v[4:5]
	v_add_nc_u32_e32 v4, s9, v4
	s_waitcnt vmcnt(0) lgkmcnt(0)
	buffer_store_dword v2, off, s[0:3], 0 offset:4
	buffer_store_dword v1, off, s[0:3], 0
	flat_load_dwordx2 v[1:2], v[14:15]
	v_add_co_u32 v16, vcc_lo, s4, v5
	v_add_co_ci_u32_e64 v17, null, s5, v6, vcc_lo
	v_ashrrev_i32_e32 v5, 31, v4
	s_waitcnt vmcnt(0) lgkmcnt(0)
	buffer_store_dword v2, off, s[0:3], 0 offset:12
	buffer_store_dword v1, off, s[0:3], 0 offset:8
	flat_load_dwordx2 v[1:2], v[16:17]
	v_lshlrev_b64 v[5:6], 3, v[4:5]
	v_add_nc_u32_e32 v4, s9, v4
	s_waitcnt vmcnt(0) lgkmcnt(0)
	buffer_store_dword v2, off, s[0:3], 0 offset:20
	buffer_store_dword v1, off, s[0:3], 0 offset:16
	v_add_co_u32 v18, vcc_lo, s4, v5
	v_add_co_ci_u32_e64 v19, null, s5, v6, vcc_lo
	v_ashrrev_i32_e32 v5, 31, v4
	flat_load_dwordx2 v[1:2], v[18:19]
	s_waitcnt vmcnt(0) lgkmcnt(0)
	buffer_store_dword v2, off, s[0:3], 0 offset:28
	buffer_store_dword v1, off, s[0:3], 0 offset:24
	v_lshlrev_b64 v[5:6], 3, v[4:5]
	v_add_nc_u32_e32 v4, s9, v4
	v_add_co_u32 v20, vcc_lo, s4, v5
	v_add_co_ci_u32_e64 v21, null, s5, v6, vcc_lo
	v_ashrrev_i32_e32 v5, 31, v4
	flat_load_dwordx2 v[1:2], v[20:21]
	s_waitcnt vmcnt(0) lgkmcnt(0)
	buffer_store_dword v2, off, s[0:3], 0 offset:36
	buffer_store_dword v1, off, s[0:3], 0 offset:32
	v_lshlrev_b64 v[5:6], 3, v[4:5]
	v_add_nc_u32_e32 v4, s9, v4
	;; [unrolled: 9-line block ×48, first 2 shown]
	v_add_co_u32 v114, vcc_lo, s4, v5
	v_add_co_ci_u32_e64 v115, null, s5, v6, vcc_lo
	v_ashrrev_i32_e32 v5, 31, v4
	flat_load_dwordx2 v[1:2], v[114:115]
	s_waitcnt vmcnt(0) lgkmcnt(0)
	buffer_store_dword v2, off, s[0:3], 0 offset:412
	buffer_store_dword v1, off, s[0:3], 0 offset:408
	v_lshlrev_b64 v[4:5], 3, v[4:5]
	v_add_co_u32 v116, vcc_lo, s4, v4
	v_add_co_ci_u32_e64 v117, null, s5, v5, vcc_lo
	s_mov_b32 s5, -1
	flat_load_dwordx2 v[1:2], v[116:117]
	s_waitcnt vmcnt(0) lgkmcnt(0)
	buffer_store_dword v2, off, s[0:3], 0 offset:420
	buffer_store_dword v1, off, s[0:3], 0 offset:416
	s_cbranch_scc1 .LBB116_224
; %bb.4:
	v_cmp_eq_u32_e64 s4, 0, v0
	s_and_saveexec_b32 s5, s4
; %bb.5:
	v_mov_b32_e32 v1, 0
	ds_write_b32 v1, v1 offset:424
; %bb.6:
	s_or_b32 exec_lo, exec_lo, s5
	v_lshl_add_u32 v5, v0, 3, 0
	s_waitcnt lgkmcnt(0)
	s_waitcnt_vscnt null, 0x0
	s_barrier
	buffer_gl0_inv
	s_clause 0x1
	buffer_load_dword v1, v5, s[0:3], 0 offen
	buffer_load_dword v2, v5, s[0:3], 0 offen offset:4
	s_waitcnt vmcnt(1)
	v_cmp_eq_f32_e32 vcc_lo, 0, v1
	s_waitcnt vmcnt(0)
	v_cmp_eq_f32_e64 s5, 0, v2
	s_and_b32 s5, vcc_lo, s5
	s_and_saveexec_b32 s8, s5
	s_cbranch_execz .LBB116_10
; %bb.7:
	v_mov_b32_e32 v1, 0
	s_mov_b32 s9, 0
	ds_read_b32 v2, v1 offset:424
	s_waitcnt lgkmcnt(0)
	v_readfirstlane_b32 s5, v2
	v_add_nc_u32_e32 v2, 1, v0
	s_cmp_eq_u32 s5, 0
	v_cmp_gt_i32_e32 vcc_lo, s5, v2
	s_cselect_b32 s14, -1, 0
	s_or_b32 s14, s14, vcc_lo
	s_and_b32 exec_lo, exec_lo, s14
	s_cbranch_execz .LBB116_10
; %bb.8:
	v_mov_b32_e32 v4, s5
.LBB116_9:                              ; =>This Inner Loop Header: Depth=1
	ds_cmpst_rtn_b32 v4, v1, v4, v2 offset:424
	s_waitcnt lgkmcnt(0)
	v_cmp_ne_u32_e32 vcc_lo, 0, v4
	v_cmp_le_i32_e64 s5, v4, v2
	s_and_b32 s5, vcc_lo, s5
	s_and_b32 s5, exec_lo, s5
	s_or_b32 s9, s5, s9
	s_andn2_b32 exec_lo, exec_lo, s9
	s_cbranch_execnz .LBB116_9
.LBB116_10:
	s_or_b32 exec_lo, exec_lo, s8
	v_mov_b32_e32 v1, 0
	s_barrier
	buffer_gl0_inv
	ds_read_b32 v2, v1 offset:424
	s_and_saveexec_b32 s5, s4
	s_cbranch_execz .LBB116_12
; %bb.11:
	s_lshl_b64 s[8:9], s[6:7], 2
	s_add_u32 s8, s10, s8
	s_addc_u32 s9, s11, s9
	s_waitcnt lgkmcnt(0)
	global_store_dword v1, v2, s[8:9]
.LBB116_12:
	s_or_b32 exec_lo, exec_lo, s5
	s_waitcnt lgkmcnt(0)
	v_cmp_ne_u32_e32 vcc_lo, 0, v2
	s_mov_b32 s5, 0
	s_cbranch_vccnz .LBB116_224
; %bb.13:
	s_clause 0x1
	buffer_load_dword v2, v5, s[0:3], 0 offen
	buffer_load_dword v4, v5, s[0:3], 0 offen offset:4
                                        ; implicit-def: $vgpr7
                                        ; implicit-def: $vgpr6
                                        ; implicit-def: $vgpr1
	s_waitcnt vmcnt(0)
	v_cmp_ngt_f32_e64 s5, |v2|, |v4|
	s_and_saveexec_b32 s8, s5
	s_xor_b32 s5, exec_lo, s8
	s_cbranch_execz .LBB116_15
; %bb.14:
	v_div_scale_f32 v1, null, v4, v4, v2
	v_div_scale_f32 v8, vcc_lo, v2, v4, v2
	v_rcp_f32_e32 v6, v1
	v_fma_f32 v7, -v1, v6, 1.0
	v_fmac_f32_e32 v6, v7, v6
	v_mul_f32_e32 v7, v8, v6
	v_fma_f32 v9, -v1, v7, v8
	v_fmac_f32_e32 v7, v9, v6
	v_fma_f32 v1, -v1, v7, v8
	v_div_fmas_f32 v1, v1, v6, v7
	v_div_fixup_f32 v1, v1, v4, v2
	v_fmac_f32_e32 v4, v2, v1
	v_div_scale_f32 v2, null, v4, v4, 1.0
	v_rcp_f32_e32 v6, v2
	v_fma_f32 v7, -v2, v6, 1.0
	v_fmac_f32_e32 v6, v7, v6
	v_div_scale_f32 v7, vcc_lo, 1.0, v4, 1.0
	v_mul_f32_e32 v8, v7, v6
	v_fma_f32 v9, -v2, v8, v7
	v_fmac_f32_e32 v8, v9, v6
	v_fma_f32 v2, -v2, v8, v7
	v_div_fmas_f32 v2, v2, v6, v8
	v_div_fixup_f32 v2, v2, v4, 1.0
                                        ; implicit-def: $vgpr4
	v_mul_f32_e32 v7, v1, v2
	v_xor_b32_e32 v6, 0x80000000, v2
                                        ; implicit-def: $vgpr2
	v_xor_b32_e32 v1, 0x80000000, v7
.LBB116_15:
	s_andn2_saveexec_b32 s5, s5
	s_cbranch_execz .LBB116_17
; %bb.16:
	v_div_scale_f32 v1, null, v2, v2, v4
	v_div_scale_f32 v8, vcc_lo, v4, v2, v4
	v_rcp_f32_e32 v6, v1
	v_fma_f32 v7, -v1, v6, 1.0
	v_fmac_f32_e32 v6, v7, v6
	v_mul_f32_e32 v7, v8, v6
	v_fma_f32 v9, -v1, v7, v8
	v_fmac_f32_e32 v7, v9, v6
	v_fma_f32 v1, -v1, v7, v8
	v_div_fmas_f32 v1, v1, v6, v7
	v_div_fixup_f32 v6, v1, v2, v4
	v_fmac_f32_e32 v2, v4, v6
	v_div_scale_f32 v1, null, v2, v2, 1.0
	v_div_scale_f32 v8, vcc_lo, 1.0, v2, 1.0
	v_rcp_f32_e32 v4, v1
	v_fma_f32 v7, -v1, v4, 1.0
	v_fmac_f32_e32 v4, v7, v4
	v_mul_f32_e32 v7, v8, v4
	v_fma_f32 v9, -v1, v7, v8
	v_fmac_f32_e32 v7, v9, v4
	v_fma_f32 v1, -v1, v7, v8
	v_div_fmas_f32 v1, v1, v4, v7
	v_div_fixup_f32 v7, v1, v2, 1.0
	v_xor_b32_e32 v1, 0x80000000, v7
	v_mul_f32_e64 v6, v6, -v7
.LBB116_17:
	s_or_b32 exec_lo, exec_lo, s5
	buffer_store_dword v7, v5, s[0:3], 0 offen
	buffer_store_dword v6, v5, s[0:3], 0 offen offset:4
	s_clause 0x1
	buffer_load_dword v8, off, s[0:3], 0 offset:12
	buffer_load_dword v7, off, s[0:3], 0 offset:8
	v_xor_b32_e32 v2, 0x80000000, v6
	v_add_nc_u32_e32 v4, 0x1b0, v3
	s_waitcnt vmcnt(0)
	ds_write2_b64 v3, v[1:2], v[7:8] offset1:54
	s_waitcnt lgkmcnt(0)
	s_waitcnt_vscnt null, 0x0
	s_barrier
	buffer_gl0_inv
	s_and_saveexec_b32 s5, s4
	s_cbranch_execz .LBB116_19
; %bb.18:
	s_clause 0x1
	buffer_load_dword v8, v5, s[0:3], 0 offen offset:4
	buffer_load_dword v9, v5, s[0:3], 0 offen
	ds_read_b64 v[1:2], v4
	v_mov_b32_e32 v6, 0
	ds_read_b64 v[6:7], v6 offset:8
	s_waitcnt vmcnt(1) lgkmcnt(1)
	v_mul_f32_e32 v10, v1, v8
	v_mul_f32_e32 v8, v2, v8
	s_waitcnt vmcnt(0)
	v_fmac_f32_e32 v10, v2, v9
	v_fma_f32 v1, v1, v9, -v8
	v_add_f32_e32 v2, 0, v10
	v_add_f32_e32 v1, 0, v1
	s_waitcnt lgkmcnt(0)
	v_mul_f32_e32 v8, v2, v7
	v_mul_f32_e32 v7, v1, v7
	v_fma_f32 v1, v1, v6, -v8
	v_fmac_f32_e32 v7, v2, v6
	buffer_store_dword v1, off, s[0:3], 0 offset:8
	buffer_store_dword v7, off, s[0:3], 0 offset:12
.LBB116_19:
	s_or_b32 exec_lo, exec_lo, s5
	s_waitcnt_vscnt null, 0x0
	s_barrier
	buffer_gl0_inv
	s_clause 0x1
	buffer_load_dword v1, off, s[0:3], 0 offset:16
	buffer_load_dword v2, off, s[0:3], 0 offset:20
	s_mov_b32 s5, exec_lo
	s_waitcnt vmcnt(0)
	ds_write_b64 v4, v[1:2]
	s_waitcnt lgkmcnt(0)
	s_barrier
	buffer_gl0_inv
	v_cmpx_gt_u32_e32 2, v0
	s_cbranch_execz .LBB116_23
; %bb.20:
	s_clause 0x1
	buffer_load_dword v6, v5, s[0:3], 0 offen offset:4
	buffer_load_dword v5, v5, s[0:3], 0 offen
	ds_read_b64 v[1:2], v4
	s_waitcnt vmcnt(1) lgkmcnt(0)
	v_mul_f32_e32 v7, v2, v6
	v_mul_f32_e32 v6, v1, v6
	s_waitcnt vmcnt(0)
	v_fma_f32 v1, v1, v5, -v7
	v_fmac_f32_e32 v6, v2, v5
	v_add_f32_e32 v2, 0, v1
	v_add_f32_e32 v1, 0, v6
	s_and_saveexec_b32 s8, s4
	s_cbranch_execz .LBB116_22
; %bb.21:
	s_clause 0x1
	buffer_load_dword v7, off, s[0:3], 0 offset:12
	buffer_load_dword v8, off, s[0:3], 0 offset:8
	v_mov_b32_e32 v5, 0
	ds_read_b64 v[5:6], v5 offset:440
	s_waitcnt vmcnt(1) lgkmcnt(0)
	v_mul_f32_e32 v9, v5, v7
	v_mul_f32_e32 v7, v6, v7
	s_waitcnt vmcnt(0)
	v_fmac_f32_e32 v9, v6, v8
	v_fma_f32 v5, v5, v8, -v7
	v_add_f32_e32 v1, v1, v9
	v_add_f32_e32 v2, v2, v5
.LBB116_22:
	s_or_b32 exec_lo, exec_lo, s8
	v_mov_b32_e32 v5, 0
	ds_read_b64 v[5:6], v5 offset:16
	s_waitcnt lgkmcnt(0)
	v_mul_f32_e32 v7, v1, v6
	v_mul_f32_e32 v6, v2, v6
	v_fma_f32 v2, v2, v5, -v7
	v_fmac_f32_e32 v6, v1, v5
	buffer_store_dword v2, off, s[0:3], 0 offset:16
	buffer_store_dword v6, off, s[0:3], 0 offset:20
.LBB116_23:
	s_or_b32 exec_lo, exec_lo, s5
	s_waitcnt_vscnt null, 0x0
	s_barrier
	buffer_gl0_inv
	s_clause 0x1
	buffer_load_dword v5, off, s[0:3], 0 offset:24
	buffer_load_dword v6, off, s[0:3], 0 offset:28
	v_add_nc_u32_e32 v1, -1, v0
	s_mov_b32 s4, exec_lo
	s_waitcnt vmcnt(0)
	ds_write_b64 v4, v[5:6]
	s_waitcnt lgkmcnt(0)
	s_barrier
	buffer_gl0_inv
	v_cmpx_gt_u32_e32 3, v0
	s_cbranch_execz .LBB116_27
; %bb.24:
	v_add_nc_u32_e32 v5, -1, v0
	v_add_nc_u32_e32 v6, 0x1b0, v3
	v_mov_b32_e32 v7, v3
	v_mov_b32_e32 v2, 0
	;; [unrolled: 1-line block ×3, first 2 shown]
	s_mov_b32 s5, 0
	.p2align	6
.LBB116_25:                             ; =>This Inner Loop Header: Depth=1
	s_clause 0x1
	buffer_load_dword v11, v7, s[0:3], 0 offen offset:4
	buffer_load_dword v118, v7, s[0:3], 0 offen
	ds_read_b64 v[9:10], v6
	v_add_nc_u32_e32 v5, 1, v5
	v_add_nc_u32_e32 v6, 8, v6
	v_add_nc_u32_e32 v7, 8, v7
	v_cmp_lt_u32_e32 vcc_lo, 1, v5
	s_or_b32 s5, vcc_lo, s5
	s_waitcnt vmcnt(1) lgkmcnt(0)
	v_mul_f32_e32 v119, v10, v11
	v_mul_f32_e32 v11, v9, v11
	s_waitcnt vmcnt(0)
	v_fma_f32 v9, v9, v118, -v119
	v_fmac_f32_e32 v11, v10, v118
	v_add_f32_e32 v8, v8, v9
	v_add_f32_e32 v2, v2, v11
	s_andn2_b32 exec_lo, exec_lo, s5
	s_cbranch_execnz .LBB116_25
; %bb.26:
	s_or_b32 exec_lo, exec_lo, s5
	v_mov_b32_e32 v5, 0
	ds_read_b64 v[5:6], v5 offset:24
	s_waitcnt lgkmcnt(0)
	v_mul_f32_e32 v7, v2, v6
	v_mul_f32_e32 v6, v8, v6
	v_fma_f32 v7, v8, v5, -v7
	v_fmac_f32_e32 v6, v2, v5
	buffer_store_dword v7, off, s[0:3], 0 offset:24
	buffer_store_dword v6, off, s[0:3], 0 offset:28
.LBB116_27:
	s_or_b32 exec_lo, exec_lo, s4
	s_waitcnt_vscnt null, 0x0
	s_barrier
	buffer_gl0_inv
	s_clause 0x1
	buffer_load_dword v5, off, s[0:3], 0 offset:32
	buffer_load_dword v6, off, s[0:3], 0 offset:36
	s_mov_b32 s4, exec_lo
	s_waitcnt vmcnt(0)
	ds_write_b64 v4, v[5:6]
	s_waitcnt lgkmcnt(0)
	s_barrier
	buffer_gl0_inv
	v_cmpx_gt_u32_e32 4, v0
	s_cbranch_execz .LBB116_31
; %bb.28:
	v_add_nc_u32_e32 v5, -1, v0
	v_add_nc_u32_e32 v6, 0x1b0, v3
	v_mov_b32_e32 v7, v3
	v_mov_b32_e32 v2, 0
	;; [unrolled: 1-line block ×3, first 2 shown]
	s_mov_b32 s5, 0
	.p2align	6
.LBB116_29:                             ; =>This Inner Loop Header: Depth=1
	s_clause 0x1
	buffer_load_dword v11, v7, s[0:3], 0 offen offset:4
	buffer_load_dword v118, v7, s[0:3], 0 offen
	ds_read_b64 v[9:10], v6
	v_add_nc_u32_e32 v5, 1, v5
	v_add_nc_u32_e32 v6, 8, v6
	v_add_nc_u32_e32 v7, 8, v7
	v_cmp_lt_u32_e32 vcc_lo, 2, v5
	s_or_b32 s5, vcc_lo, s5
	s_waitcnt vmcnt(1) lgkmcnt(0)
	v_mul_f32_e32 v119, v10, v11
	v_mul_f32_e32 v11, v9, v11
	s_waitcnt vmcnt(0)
	v_fma_f32 v9, v9, v118, -v119
	v_fmac_f32_e32 v11, v10, v118
	v_add_f32_e32 v8, v8, v9
	v_add_f32_e32 v2, v2, v11
	s_andn2_b32 exec_lo, exec_lo, s5
	s_cbranch_execnz .LBB116_29
; %bb.30:
	s_or_b32 exec_lo, exec_lo, s5
	v_mov_b32_e32 v5, 0
	ds_read_b64 v[5:6], v5 offset:32
	s_waitcnt lgkmcnt(0)
	v_mul_f32_e32 v7, v2, v6
	v_mul_f32_e32 v6, v8, v6
	v_fma_f32 v7, v8, v5, -v7
	v_fmac_f32_e32 v6, v2, v5
	buffer_store_dword v7, off, s[0:3], 0 offset:32
	buffer_store_dword v6, off, s[0:3], 0 offset:36
.LBB116_31:
	s_or_b32 exec_lo, exec_lo, s4
	s_waitcnt_vscnt null, 0x0
	s_barrier
	buffer_gl0_inv
	s_clause 0x1
	buffer_load_dword v5, off, s[0:3], 0 offset:40
	buffer_load_dword v6, off, s[0:3], 0 offset:44
	s_mov_b32 s4, exec_lo
	s_waitcnt vmcnt(0)
	ds_write_b64 v4, v[5:6]
	s_waitcnt lgkmcnt(0)
	s_barrier
	buffer_gl0_inv
	v_cmpx_gt_u32_e32 5, v0
	s_cbranch_execz .LBB116_35
; %bb.32:
	v_add_nc_u32_e32 v5, -1, v0
	v_add_nc_u32_e32 v6, 0x1b0, v3
	v_mov_b32_e32 v7, v3
	v_mov_b32_e32 v2, 0
	;; [unrolled: 1-line block ×3, first 2 shown]
	s_mov_b32 s5, 0
	.p2align	6
.LBB116_33:                             ; =>This Inner Loop Header: Depth=1
	s_clause 0x1
	buffer_load_dword v11, v7, s[0:3], 0 offen offset:4
	buffer_load_dword v118, v7, s[0:3], 0 offen
	ds_read_b64 v[9:10], v6
	v_add_nc_u32_e32 v5, 1, v5
	v_add_nc_u32_e32 v6, 8, v6
	;; [unrolled: 1-line block ×3, first 2 shown]
	v_cmp_lt_u32_e32 vcc_lo, 3, v5
	s_or_b32 s5, vcc_lo, s5
	s_waitcnt vmcnt(1) lgkmcnt(0)
	v_mul_f32_e32 v119, v10, v11
	v_mul_f32_e32 v11, v9, v11
	s_waitcnt vmcnt(0)
	v_fma_f32 v9, v9, v118, -v119
	v_fmac_f32_e32 v11, v10, v118
	v_add_f32_e32 v8, v8, v9
	v_add_f32_e32 v2, v2, v11
	s_andn2_b32 exec_lo, exec_lo, s5
	s_cbranch_execnz .LBB116_33
; %bb.34:
	s_or_b32 exec_lo, exec_lo, s5
	v_mov_b32_e32 v5, 0
	ds_read_b64 v[5:6], v5 offset:40
	s_waitcnt lgkmcnt(0)
	v_mul_f32_e32 v7, v2, v6
	v_mul_f32_e32 v6, v8, v6
	v_fma_f32 v7, v8, v5, -v7
	v_fmac_f32_e32 v6, v2, v5
	buffer_store_dword v7, off, s[0:3], 0 offset:40
	buffer_store_dword v6, off, s[0:3], 0 offset:44
.LBB116_35:
	s_or_b32 exec_lo, exec_lo, s4
	s_waitcnt_vscnt null, 0x0
	s_barrier
	buffer_gl0_inv
	s_clause 0x1
	buffer_load_dword v5, off, s[0:3], 0 offset:48
	buffer_load_dword v6, off, s[0:3], 0 offset:52
	s_mov_b32 s4, exec_lo
	s_waitcnt vmcnt(0)
	ds_write_b64 v4, v[5:6]
	s_waitcnt lgkmcnt(0)
	s_barrier
	buffer_gl0_inv
	v_cmpx_gt_u32_e32 6, v0
	s_cbranch_execz .LBB116_39
; %bb.36:
	v_add_nc_u32_e32 v5, -1, v0
	v_add_nc_u32_e32 v6, 0x1b0, v3
	v_mov_b32_e32 v7, v3
	v_mov_b32_e32 v2, 0
	;; [unrolled: 1-line block ×3, first 2 shown]
	s_mov_b32 s5, 0
	.p2align	6
.LBB116_37:                             ; =>This Inner Loop Header: Depth=1
	s_clause 0x1
	buffer_load_dword v11, v7, s[0:3], 0 offen offset:4
	buffer_load_dword v118, v7, s[0:3], 0 offen
	ds_read_b64 v[9:10], v6
	v_add_nc_u32_e32 v5, 1, v5
	v_add_nc_u32_e32 v6, 8, v6
	;; [unrolled: 1-line block ×3, first 2 shown]
	v_cmp_lt_u32_e32 vcc_lo, 4, v5
	s_or_b32 s5, vcc_lo, s5
	s_waitcnt vmcnt(1) lgkmcnt(0)
	v_mul_f32_e32 v119, v10, v11
	v_mul_f32_e32 v11, v9, v11
	s_waitcnt vmcnt(0)
	v_fma_f32 v9, v9, v118, -v119
	v_fmac_f32_e32 v11, v10, v118
	v_add_f32_e32 v8, v8, v9
	v_add_f32_e32 v2, v2, v11
	s_andn2_b32 exec_lo, exec_lo, s5
	s_cbranch_execnz .LBB116_37
; %bb.38:
	s_or_b32 exec_lo, exec_lo, s5
	v_mov_b32_e32 v5, 0
	ds_read_b64 v[5:6], v5 offset:48
	s_waitcnt lgkmcnt(0)
	v_mul_f32_e32 v7, v2, v6
	v_mul_f32_e32 v6, v8, v6
	v_fma_f32 v7, v8, v5, -v7
	v_fmac_f32_e32 v6, v2, v5
	buffer_store_dword v7, off, s[0:3], 0 offset:48
	buffer_store_dword v6, off, s[0:3], 0 offset:52
.LBB116_39:
	s_or_b32 exec_lo, exec_lo, s4
	s_waitcnt_vscnt null, 0x0
	s_barrier
	buffer_gl0_inv
	s_clause 0x1
	buffer_load_dword v5, off, s[0:3], 0 offset:56
	buffer_load_dword v6, off, s[0:3], 0 offset:60
	s_mov_b32 s4, exec_lo
	s_waitcnt vmcnt(0)
	ds_write_b64 v4, v[5:6]
	s_waitcnt lgkmcnt(0)
	s_barrier
	buffer_gl0_inv
	v_cmpx_gt_u32_e32 7, v0
	s_cbranch_execz .LBB116_43
; %bb.40:
	v_add_nc_u32_e32 v5, -1, v0
	v_add_nc_u32_e32 v6, 0x1b0, v3
	v_mov_b32_e32 v7, v3
	v_mov_b32_e32 v2, 0
	;; [unrolled: 1-line block ×3, first 2 shown]
	s_mov_b32 s5, 0
	.p2align	6
.LBB116_41:                             ; =>This Inner Loop Header: Depth=1
	s_clause 0x1
	buffer_load_dword v11, v7, s[0:3], 0 offen offset:4
	buffer_load_dword v118, v7, s[0:3], 0 offen
	ds_read_b64 v[9:10], v6
	v_add_nc_u32_e32 v5, 1, v5
	v_add_nc_u32_e32 v6, 8, v6
	;; [unrolled: 1-line block ×3, first 2 shown]
	v_cmp_lt_u32_e32 vcc_lo, 5, v5
	s_or_b32 s5, vcc_lo, s5
	s_waitcnt vmcnt(1) lgkmcnt(0)
	v_mul_f32_e32 v119, v10, v11
	v_mul_f32_e32 v11, v9, v11
	s_waitcnt vmcnt(0)
	v_fma_f32 v9, v9, v118, -v119
	v_fmac_f32_e32 v11, v10, v118
	v_add_f32_e32 v8, v8, v9
	v_add_f32_e32 v2, v2, v11
	s_andn2_b32 exec_lo, exec_lo, s5
	s_cbranch_execnz .LBB116_41
; %bb.42:
	s_or_b32 exec_lo, exec_lo, s5
	v_mov_b32_e32 v5, 0
	ds_read_b64 v[5:6], v5 offset:56
	s_waitcnt lgkmcnt(0)
	v_mul_f32_e32 v7, v2, v6
	v_mul_f32_e32 v6, v8, v6
	v_fma_f32 v7, v8, v5, -v7
	v_fmac_f32_e32 v6, v2, v5
	buffer_store_dword v7, off, s[0:3], 0 offset:56
	buffer_store_dword v6, off, s[0:3], 0 offset:60
.LBB116_43:
	s_or_b32 exec_lo, exec_lo, s4
	s_waitcnt_vscnt null, 0x0
	s_barrier
	buffer_gl0_inv
	s_clause 0x1
	buffer_load_dword v5, off, s[0:3], 0 offset:64
	buffer_load_dword v6, off, s[0:3], 0 offset:68
	s_mov_b32 s4, exec_lo
	s_waitcnt vmcnt(0)
	ds_write_b64 v4, v[5:6]
	s_waitcnt lgkmcnt(0)
	s_barrier
	buffer_gl0_inv
	v_cmpx_gt_u32_e32 8, v0
	s_cbranch_execz .LBB116_47
; %bb.44:
	v_add_nc_u32_e32 v5, -1, v0
	v_add_nc_u32_e32 v6, 0x1b0, v3
	v_mov_b32_e32 v7, v3
	v_mov_b32_e32 v2, 0
	;; [unrolled: 1-line block ×3, first 2 shown]
	s_mov_b32 s5, 0
	.p2align	6
.LBB116_45:                             ; =>This Inner Loop Header: Depth=1
	s_clause 0x1
	buffer_load_dword v11, v7, s[0:3], 0 offen offset:4
	buffer_load_dword v118, v7, s[0:3], 0 offen
	ds_read_b64 v[9:10], v6
	v_add_nc_u32_e32 v5, 1, v5
	v_add_nc_u32_e32 v6, 8, v6
	;; [unrolled: 1-line block ×3, first 2 shown]
	v_cmp_lt_u32_e32 vcc_lo, 6, v5
	s_or_b32 s5, vcc_lo, s5
	s_waitcnt vmcnt(1) lgkmcnt(0)
	v_mul_f32_e32 v119, v10, v11
	v_mul_f32_e32 v11, v9, v11
	s_waitcnt vmcnt(0)
	v_fma_f32 v9, v9, v118, -v119
	v_fmac_f32_e32 v11, v10, v118
	v_add_f32_e32 v8, v8, v9
	v_add_f32_e32 v2, v2, v11
	s_andn2_b32 exec_lo, exec_lo, s5
	s_cbranch_execnz .LBB116_45
; %bb.46:
	s_or_b32 exec_lo, exec_lo, s5
	v_mov_b32_e32 v5, 0
	ds_read_b64 v[5:6], v5 offset:64
	s_waitcnt lgkmcnt(0)
	v_mul_f32_e32 v7, v2, v6
	v_mul_f32_e32 v6, v8, v6
	v_fma_f32 v7, v8, v5, -v7
	v_fmac_f32_e32 v6, v2, v5
	buffer_store_dword v7, off, s[0:3], 0 offset:64
	buffer_store_dword v6, off, s[0:3], 0 offset:68
.LBB116_47:
	s_or_b32 exec_lo, exec_lo, s4
	s_waitcnt_vscnt null, 0x0
	s_barrier
	buffer_gl0_inv
	s_clause 0x1
	buffer_load_dword v5, off, s[0:3], 0 offset:72
	buffer_load_dword v6, off, s[0:3], 0 offset:76
	s_mov_b32 s4, exec_lo
	s_waitcnt vmcnt(0)
	ds_write_b64 v4, v[5:6]
	s_waitcnt lgkmcnt(0)
	s_barrier
	buffer_gl0_inv
	v_cmpx_gt_u32_e32 9, v0
	s_cbranch_execz .LBB116_51
; %bb.48:
	v_add_nc_u32_e32 v5, -1, v0
	v_add_nc_u32_e32 v6, 0x1b0, v3
	v_mov_b32_e32 v7, v3
	v_mov_b32_e32 v2, 0
	;; [unrolled: 1-line block ×3, first 2 shown]
	s_mov_b32 s5, 0
	.p2align	6
.LBB116_49:                             ; =>This Inner Loop Header: Depth=1
	s_clause 0x1
	buffer_load_dword v11, v7, s[0:3], 0 offen offset:4
	buffer_load_dword v118, v7, s[0:3], 0 offen
	ds_read_b64 v[9:10], v6
	v_add_nc_u32_e32 v5, 1, v5
	v_add_nc_u32_e32 v6, 8, v6
	;; [unrolled: 1-line block ×3, first 2 shown]
	v_cmp_lt_u32_e32 vcc_lo, 7, v5
	s_or_b32 s5, vcc_lo, s5
	s_waitcnt vmcnt(1) lgkmcnt(0)
	v_mul_f32_e32 v119, v10, v11
	v_mul_f32_e32 v11, v9, v11
	s_waitcnt vmcnt(0)
	v_fma_f32 v9, v9, v118, -v119
	v_fmac_f32_e32 v11, v10, v118
	v_add_f32_e32 v8, v8, v9
	v_add_f32_e32 v2, v2, v11
	s_andn2_b32 exec_lo, exec_lo, s5
	s_cbranch_execnz .LBB116_49
; %bb.50:
	s_or_b32 exec_lo, exec_lo, s5
	v_mov_b32_e32 v5, 0
	ds_read_b64 v[5:6], v5 offset:72
	s_waitcnt lgkmcnt(0)
	v_mul_f32_e32 v7, v2, v6
	v_mul_f32_e32 v6, v8, v6
	v_fma_f32 v7, v8, v5, -v7
	v_fmac_f32_e32 v6, v2, v5
	buffer_store_dword v7, off, s[0:3], 0 offset:72
	buffer_store_dword v6, off, s[0:3], 0 offset:76
.LBB116_51:
	s_or_b32 exec_lo, exec_lo, s4
	s_waitcnt_vscnt null, 0x0
	s_barrier
	buffer_gl0_inv
	s_clause 0x1
	buffer_load_dword v5, off, s[0:3], 0 offset:80
	buffer_load_dword v6, off, s[0:3], 0 offset:84
	s_mov_b32 s4, exec_lo
	s_waitcnt vmcnt(0)
	ds_write_b64 v4, v[5:6]
	s_waitcnt lgkmcnt(0)
	s_barrier
	buffer_gl0_inv
	v_cmpx_gt_u32_e32 10, v0
	s_cbranch_execz .LBB116_55
; %bb.52:
	v_add_nc_u32_e32 v5, -1, v0
	v_add_nc_u32_e32 v6, 0x1b0, v3
	v_mov_b32_e32 v7, v3
	v_mov_b32_e32 v2, 0
	;; [unrolled: 1-line block ×3, first 2 shown]
	s_mov_b32 s5, 0
	.p2align	6
.LBB116_53:                             ; =>This Inner Loop Header: Depth=1
	s_clause 0x1
	buffer_load_dword v11, v7, s[0:3], 0 offen offset:4
	buffer_load_dword v118, v7, s[0:3], 0 offen
	ds_read_b64 v[9:10], v6
	v_add_nc_u32_e32 v5, 1, v5
	v_add_nc_u32_e32 v6, 8, v6
	;; [unrolled: 1-line block ×3, first 2 shown]
	v_cmp_lt_u32_e32 vcc_lo, 8, v5
	s_or_b32 s5, vcc_lo, s5
	s_waitcnt vmcnt(1) lgkmcnt(0)
	v_mul_f32_e32 v119, v10, v11
	v_mul_f32_e32 v11, v9, v11
	s_waitcnt vmcnt(0)
	v_fma_f32 v9, v9, v118, -v119
	v_fmac_f32_e32 v11, v10, v118
	v_add_f32_e32 v8, v8, v9
	v_add_f32_e32 v2, v2, v11
	s_andn2_b32 exec_lo, exec_lo, s5
	s_cbranch_execnz .LBB116_53
; %bb.54:
	s_or_b32 exec_lo, exec_lo, s5
	v_mov_b32_e32 v5, 0
	ds_read_b64 v[5:6], v5 offset:80
	s_waitcnt lgkmcnt(0)
	v_mul_f32_e32 v7, v2, v6
	v_mul_f32_e32 v6, v8, v6
	v_fma_f32 v7, v8, v5, -v7
	v_fmac_f32_e32 v6, v2, v5
	buffer_store_dword v7, off, s[0:3], 0 offset:80
	buffer_store_dword v6, off, s[0:3], 0 offset:84
.LBB116_55:
	s_or_b32 exec_lo, exec_lo, s4
	s_waitcnt_vscnt null, 0x0
	s_barrier
	buffer_gl0_inv
	s_clause 0x1
	buffer_load_dword v5, off, s[0:3], 0 offset:88
	buffer_load_dword v6, off, s[0:3], 0 offset:92
	s_mov_b32 s4, exec_lo
	s_waitcnt vmcnt(0)
	ds_write_b64 v4, v[5:6]
	s_waitcnt lgkmcnt(0)
	s_barrier
	buffer_gl0_inv
	v_cmpx_gt_u32_e32 11, v0
	s_cbranch_execz .LBB116_59
; %bb.56:
	v_add_nc_u32_e32 v5, -1, v0
	v_add_nc_u32_e32 v6, 0x1b0, v3
	v_mov_b32_e32 v7, v3
	v_mov_b32_e32 v2, 0
	;; [unrolled: 1-line block ×3, first 2 shown]
	s_mov_b32 s5, 0
	.p2align	6
.LBB116_57:                             ; =>This Inner Loop Header: Depth=1
	s_clause 0x1
	buffer_load_dword v11, v7, s[0:3], 0 offen offset:4
	buffer_load_dword v118, v7, s[0:3], 0 offen
	ds_read_b64 v[9:10], v6
	v_add_nc_u32_e32 v5, 1, v5
	v_add_nc_u32_e32 v6, 8, v6
	;; [unrolled: 1-line block ×3, first 2 shown]
	v_cmp_lt_u32_e32 vcc_lo, 9, v5
	s_or_b32 s5, vcc_lo, s5
	s_waitcnt vmcnt(1) lgkmcnt(0)
	v_mul_f32_e32 v119, v10, v11
	v_mul_f32_e32 v11, v9, v11
	s_waitcnt vmcnt(0)
	v_fma_f32 v9, v9, v118, -v119
	v_fmac_f32_e32 v11, v10, v118
	v_add_f32_e32 v8, v8, v9
	v_add_f32_e32 v2, v2, v11
	s_andn2_b32 exec_lo, exec_lo, s5
	s_cbranch_execnz .LBB116_57
; %bb.58:
	s_or_b32 exec_lo, exec_lo, s5
	v_mov_b32_e32 v5, 0
	ds_read_b64 v[5:6], v5 offset:88
	s_waitcnt lgkmcnt(0)
	v_mul_f32_e32 v7, v2, v6
	v_mul_f32_e32 v6, v8, v6
	v_fma_f32 v7, v8, v5, -v7
	v_fmac_f32_e32 v6, v2, v5
	buffer_store_dword v7, off, s[0:3], 0 offset:88
	buffer_store_dword v6, off, s[0:3], 0 offset:92
.LBB116_59:
	s_or_b32 exec_lo, exec_lo, s4
	s_waitcnt_vscnt null, 0x0
	s_barrier
	buffer_gl0_inv
	s_clause 0x1
	buffer_load_dword v5, off, s[0:3], 0 offset:96
	buffer_load_dword v6, off, s[0:3], 0 offset:100
	s_mov_b32 s4, exec_lo
	s_waitcnt vmcnt(0)
	ds_write_b64 v4, v[5:6]
	s_waitcnt lgkmcnt(0)
	s_barrier
	buffer_gl0_inv
	v_cmpx_gt_u32_e32 12, v0
	s_cbranch_execz .LBB116_63
; %bb.60:
	v_add_nc_u32_e32 v5, -1, v0
	v_add_nc_u32_e32 v6, 0x1b0, v3
	v_mov_b32_e32 v7, v3
	v_mov_b32_e32 v2, 0
	;; [unrolled: 1-line block ×3, first 2 shown]
	s_mov_b32 s5, 0
	.p2align	6
.LBB116_61:                             ; =>This Inner Loop Header: Depth=1
	s_clause 0x1
	buffer_load_dword v11, v7, s[0:3], 0 offen offset:4
	buffer_load_dword v118, v7, s[0:3], 0 offen
	ds_read_b64 v[9:10], v6
	v_add_nc_u32_e32 v5, 1, v5
	v_add_nc_u32_e32 v6, 8, v6
	;; [unrolled: 1-line block ×3, first 2 shown]
	v_cmp_lt_u32_e32 vcc_lo, 10, v5
	s_or_b32 s5, vcc_lo, s5
	s_waitcnt vmcnt(1) lgkmcnt(0)
	v_mul_f32_e32 v119, v10, v11
	v_mul_f32_e32 v11, v9, v11
	s_waitcnt vmcnt(0)
	v_fma_f32 v9, v9, v118, -v119
	v_fmac_f32_e32 v11, v10, v118
	v_add_f32_e32 v8, v8, v9
	v_add_f32_e32 v2, v2, v11
	s_andn2_b32 exec_lo, exec_lo, s5
	s_cbranch_execnz .LBB116_61
; %bb.62:
	s_or_b32 exec_lo, exec_lo, s5
	v_mov_b32_e32 v5, 0
	ds_read_b64 v[5:6], v5 offset:96
	s_waitcnt lgkmcnt(0)
	v_mul_f32_e32 v7, v2, v6
	v_mul_f32_e32 v6, v8, v6
	v_fma_f32 v7, v8, v5, -v7
	v_fmac_f32_e32 v6, v2, v5
	buffer_store_dword v7, off, s[0:3], 0 offset:96
	buffer_store_dword v6, off, s[0:3], 0 offset:100
.LBB116_63:
	s_or_b32 exec_lo, exec_lo, s4
	s_waitcnt_vscnt null, 0x0
	s_barrier
	buffer_gl0_inv
	s_clause 0x1
	buffer_load_dword v5, off, s[0:3], 0 offset:104
	buffer_load_dword v6, off, s[0:3], 0 offset:108
	s_mov_b32 s4, exec_lo
	s_waitcnt vmcnt(0)
	ds_write_b64 v4, v[5:6]
	s_waitcnt lgkmcnt(0)
	s_barrier
	buffer_gl0_inv
	v_cmpx_gt_u32_e32 13, v0
	s_cbranch_execz .LBB116_67
; %bb.64:
	v_add_nc_u32_e32 v5, -1, v0
	v_add_nc_u32_e32 v6, 0x1b0, v3
	v_mov_b32_e32 v7, v3
	v_mov_b32_e32 v2, 0
	;; [unrolled: 1-line block ×3, first 2 shown]
	s_mov_b32 s5, 0
	.p2align	6
.LBB116_65:                             ; =>This Inner Loop Header: Depth=1
	s_clause 0x1
	buffer_load_dword v11, v7, s[0:3], 0 offen offset:4
	buffer_load_dword v118, v7, s[0:3], 0 offen
	ds_read_b64 v[9:10], v6
	v_add_nc_u32_e32 v5, 1, v5
	v_add_nc_u32_e32 v6, 8, v6
	;; [unrolled: 1-line block ×3, first 2 shown]
	v_cmp_lt_u32_e32 vcc_lo, 11, v5
	s_or_b32 s5, vcc_lo, s5
	s_waitcnt vmcnt(1) lgkmcnt(0)
	v_mul_f32_e32 v119, v10, v11
	v_mul_f32_e32 v11, v9, v11
	s_waitcnt vmcnt(0)
	v_fma_f32 v9, v9, v118, -v119
	v_fmac_f32_e32 v11, v10, v118
	v_add_f32_e32 v8, v8, v9
	v_add_f32_e32 v2, v2, v11
	s_andn2_b32 exec_lo, exec_lo, s5
	s_cbranch_execnz .LBB116_65
; %bb.66:
	s_or_b32 exec_lo, exec_lo, s5
	v_mov_b32_e32 v5, 0
	ds_read_b64 v[5:6], v5 offset:104
	s_waitcnt lgkmcnt(0)
	v_mul_f32_e32 v7, v2, v6
	v_mul_f32_e32 v6, v8, v6
	v_fma_f32 v7, v8, v5, -v7
	v_fmac_f32_e32 v6, v2, v5
	buffer_store_dword v7, off, s[0:3], 0 offset:104
	buffer_store_dword v6, off, s[0:3], 0 offset:108
.LBB116_67:
	s_or_b32 exec_lo, exec_lo, s4
	s_waitcnt_vscnt null, 0x0
	s_barrier
	buffer_gl0_inv
	s_clause 0x1
	buffer_load_dword v5, off, s[0:3], 0 offset:112
	buffer_load_dword v6, off, s[0:3], 0 offset:116
	s_mov_b32 s4, exec_lo
	s_waitcnt vmcnt(0)
	ds_write_b64 v4, v[5:6]
	s_waitcnt lgkmcnt(0)
	s_barrier
	buffer_gl0_inv
	v_cmpx_gt_u32_e32 14, v0
	s_cbranch_execz .LBB116_71
; %bb.68:
	v_add_nc_u32_e32 v5, -1, v0
	v_add_nc_u32_e32 v6, 0x1b0, v3
	v_mov_b32_e32 v7, v3
	v_mov_b32_e32 v2, 0
	;; [unrolled: 1-line block ×3, first 2 shown]
	s_mov_b32 s5, 0
	.p2align	6
.LBB116_69:                             ; =>This Inner Loop Header: Depth=1
	s_clause 0x1
	buffer_load_dword v11, v7, s[0:3], 0 offen offset:4
	buffer_load_dword v118, v7, s[0:3], 0 offen
	ds_read_b64 v[9:10], v6
	v_add_nc_u32_e32 v5, 1, v5
	v_add_nc_u32_e32 v6, 8, v6
	;; [unrolled: 1-line block ×3, first 2 shown]
	v_cmp_lt_u32_e32 vcc_lo, 12, v5
	s_or_b32 s5, vcc_lo, s5
	s_waitcnt vmcnt(1) lgkmcnt(0)
	v_mul_f32_e32 v119, v10, v11
	v_mul_f32_e32 v11, v9, v11
	s_waitcnt vmcnt(0)
	v_fma_f32 v9, v9, v118, -v119
	v_fmac_f32_e32 v11, v10, v118
	v_add_f32_e32 v8, v8, v9
	v_add_f32_e32 v2, v2, v11
	s_andn2_b32 exec_lo, exec_lo, s5
	s_cbranch_execnz .LBB116_69
; %bb.70:
	s_or_b32 exec_lo, exec_lo, s5
	v_mov_b32_e32 v5, 0
	ds_read_b64 v[5:6], v5 offset:112
	s_waitcnt lgkmcnt(0)
	v_mul_f32_e32 v7, v2, v6
	v_mul_f32_e32 v6, v8, v6
	v_fma_f32 v7, v8, v5, -v7
	v_fmac_f32_e32 v6, v2, v5
	buffer_store_dword v7, off, s[0:3], 0 offset:112
	buffer_store_dword v6, off, s[0:3], 0 offset:116
.LBB116_71:
	s_or_b32 exec_lo, exec_lo, s4
	s_waitcnt_vscnt null, 0x0
	s_barrier
	buffer_gl0_inv
	s_clause 0x1
	buffer_load_dword v5, off, s[0:3], 0 offset:120
	buffer_load_dword v6, off, s[0:3], 0 offset:124
	s_mov_b32 s4, exec_lo
	s_waitcnt vmcnt(0)
	ds_write_b64 v4, v[5:6]
	s_waitcnt lgkmcnt(0)
	s_barrier
	buffer_gl0_inv
	v_cmpx_gt_u32_e32 15, v0
	s_cbranch_execz .LBB116_75
; %bb.72:
	v_add_nc_u32_e32 v5, -1, v0
	v_add_nc_u32_e32 v6, 0x1b0, v3
	v_mov_b32_e32 v7, v3
	v_mov_b32_e32 v2, 0
	;; [unrolled: 1-line block ×3, first 2 shown]
	s_mov_b32 s5, 0
	.p2align	6
.LBB116_73:                             ; =>This Inner Loop Header: Depth=1
	s_clause 0x1
	buffer_load_dword v11, v7, s[0:3], 0 offen offset:4
	buffer_load_dword v118, v7, s[0:3], 0 offen
	ds_read_b64 v[9:10], v6
	v_add_nc_u32_e32 v5, 1, v5
	v_add_nc_u32_e32 v6, 8, v6
	;; [unrolled: 1-line block ×3, first 2 shown]
	v_cmp_lt_u32_e32 vcc_lo, 13, v5
	s_or_b32 s5, vcc_lo, s5
	s_waitcnt vmcnt(1) lgkmcnt(0)
	v_mul_f32_e32 v119, v10, v11
	v_mul_f32_e32 v11, v9, v11
	s_waitcnt vmcnt(0)
	v_fma_f32 v9, v9, v118, -v119
	v_fmac_f32_e32 v11, v10, v118
	v_add_f32_e32 v8, v8, v9
	v_add_f32_e32 v2, v2, v11
	s_andn2_b32 exec_lo, exec_lo, s5
	s_cbranch_execnz .LBB116_73
; %bb.74:
	s_or_b32 exec_lo, exec_lo, s5
	v_mov_b32_e32 v5, 0
	ds_read_b64 v[5:6], v5 offset:120
	s_waitcnt lgkmcnt(0)
	v_mul_f32_e32 v7, v2, v6
	v_mul_f32_e32 v6, v8, v6
	v_fma_f32 v7, v8, v5, -v7
	v_fmac_f32_e32 v6, v2, v5
	buffer_store_dword v7, off, s[0:3], 0 offset:120
	buffer_store_dword v6, off, s[0:3], 0 offset:124
.LBB116_75:
	s_or_b32 exec_lo, exec_lo, s4
	s_waitcnt_vscnt null, 0x0
	s_barrier
	buffer_gl0_inv
	s_clause 0x1
	buffer_load_dword v5, off, s[0:3], 0 offset:128
	buffer_load_dword v6, off, s[0:3], 0 offset:132
	s_mov_b32 s4, exec_lo
	s_waitcnt vmcnt(0)
	ds_write_b64 v4, v[5:6]
	s_waitcnt lgkmcnt(0)
	s_barrier
	buffer_gl0_inv
	v_cmpx_gt_u32_e32 16, v0
	s_cbranch_execz .LBB116_79
; %bb.76:
	v_add_nc_u32_e32 v5, -1, v0
	v_add_nc_u32_e32 v6, 0x1b0, v3
	v_mov_b32_e32 v7, v3
	v_mov_b32_e32 v2, 0
	;; [unrolled: 1-line block ×3, first 2 shown]
	s_mov_b32 s5, 0
	.p2align	6
.LBB116_77:                             ; =>This Inner Loop Header: Depth=1
	s_clause 0x1
	buffer_load_dword v11, v7, s[0:3], 0 offen offset:4
	buffer_load_dword v118, v7, s[0:3], 0 offen
	ds_read_b64 v[9:10], v6
	v_add_nc_u32_e32 v5, 1, v5
	v_add_nc_u32_e32 v6, 8, v6
	;; [unrolled: 1-line block ×3, first 2 shown]
	v_cmp_lt_u32_e32 vcc_lo, 14, v5
	s_or_b32 s5, vcc_lo, s5
	s_waitcnt vmcnt(1) lgkmcnt(0)
	v_mul_f32_e32 v119, v10, v11
	v_mul_f32_e32 v11, v9, v11
	s_waitcnt vmcnt(0)
	v_fma_f32 v9, v9, v118, -v119
	v_fmac_f32_e32 v11, v10, v118
	v_add_f32_e32 v8, v8, v9
	v_add_f32_e32 v2, v2, v11
	s_andn2_b32 exec_lo, exec_lo, s5
	s_cbranch_execnz .LBB116_77
; %bb.78:
	s_or_b32 exec_lo, exec_lo, s5
	v_mov_b32_e32 v5, 0
	ds_read_b64 v[5:6], v5 offset:128
	s_waitcnt lgkmcnt(0)
	v_mul_f32_e32 v7, v2, v6
	v_mul_f32_e32 v6, v8, v6
	v_fma_f32 v7, v8, v5, -v7
	v_fmac_f32_e32 v6, v2, v5
	buffer_store_dword v7, off, s[0:3], 0 offset:128
	buffer_store_dword v6, off, s[0:3], 0 offset:132
.LBB116_79:
	s_or_b32 exec_lo, exec_lo, s4
	s_waitcnt_vscnt null, 0x0
	s_barrier
	buffer_gl0_inv
	s_clause 0x1
	buffer_load_dword v5, off, s[0:3], 0 offset:136
	buffer_load_dword v6, off, s[0:3], 0 offset:140
	s_mov_b32 s4, exec_lo
	s_waitcnt vmcnt(0)
	ds_write_b64 v4, v[5:6]
	s_waitcnt lgkmcnt(0)
	s_barrier
	buffer_gl0_inv
	v_cmpx_gt_u32_e32 17, v0
	s_cbranch_execz .LBB116_83
; %bb.80:
	v_add_nc_u32_e32 v5, -1, v0
	v_add_nc_u32_e32 v6, 0x1b0, v3
	v_mov_b32_e32 v7, v3
	v_mov_b32_e32 v2, 0
	;; [unrolled: 1-line block ×3, first 2 shown]
	s_mov_b32 s5, 0
	.p2align	6
.LBB116_81:                             ; =>This Inner Loop Header: Depth=1
	s_clause 0x1
	buffer_load_dword v11, v7, s[0:3], 0 offen offset:4
	buffer_load_dword v118, v7, s[0:3], 0 offen
	ds_read_b64 v[9:10], v6
	v_add_nc_u32_e32 v5, 1, v5
	v_add_nc_u32_e32 v6, 8, v6
	;; [unrolled: 1-line block ×3, first 2 shown]
	v_cmp_lt_u32_e32 vcc_lo, 15, v5
	s_or_b32 s5, vcc_lo, s5
	s_waitcnt vmcnt(1) lgkmcnt(0)
	v_mul_f32_e32 v119, v10, v11
	v_mul_f32_e32 v11, v9, v11
	s_waitcnt vmcnt(0)
	v_fma_f32 v9, v9, v118, -v119
	v_fmac_f32_e32 v11, v10, v118
	v_add_f32_e32 v8, v8, v9
	v_add_f32_e32 v2, v2, v11
	s_andn2_b32 exec_lo, exec_lo, s5
	s_cbranch_execnz .LBB116_81
; %bb.82:
	s_or_b32 exec_lo, exec_lo, s5
	v_mov_b32_e32 v5, 0
	ds_read_b64 v[5:6], v5 offset:136
	s_waitcnt lgkmcnt(0)
	v_mul_f32_e32 v7, v2, v6
	v_mul_f32_e32 v6, v8, v6
	v_fma_f32 v7, v8, v5, -v7
	v_fmac_f32_e32 v6, v2, v5
	buffer_store_dword v7, off, s[0:3], 0 offset:136
	buffer_store_dword v6, off, s[0:3], 0 offset:140
.LBB116_83:
	s_or_b32 exec_lo, exec_lo, s4
	s_waitcnt_vscnt null, 0x0
	s_barrier
	buffer_gl0_inv
	s_clause 0x1
	buffer_load_dword v5, off, s[0:3], 0 offset:144
	buffer_load_dword v6, off, s[0:3], 0 offset:148
	s_mov_b32 s4, exec_lo
	s_waitcnt vmcnt(0)
	ds_write_b64 v4, v[5:6]
	s_waitcnt lgkmcnt(0)
	s_barrier
	buffer_gl0_inv
	v_cmpx_gt_u32_e32 18, v0
	s_cbranch_execz .LBB116_87
; %bb.84:
	v_add_nc_u32_e32 v5, -1, v0
	v_add_nc_u32_e32 v6, 0x1b0, v3
	v_mov_b32_e32 v7, v3
	v_mov_b32_e32 v2, 0
	;; [unrolled: 1-line block ×3, first 2 shown]
	s_mov_b32 s5, 0
	.p2align	6
.LBB116_85:                             ; =>This Inner Loop Header: Depth=1
	s_clause 0x1
	buffer_load_dword v11, v7, s[0:3], 0 offen offset:4
	buffer_load_dword v118, v7, s[0:3], 0 offen
	ds_read_b64 v[9:10], v6
	v_add_nc_u32_e32 v5, 1, v5
	v_add_nc_u32_e32 v6, 8, v6
	v_add_nc_u32_e32 v7, 8, v7
	v_cmp_lt_u32_e32 vcc_lo, 16, v5
	s_or_b32 s5, vcc_lo, s5
	s_waitcnt vmcnt(1) lgkmcnt(0)
	v_mul_f32_e32 v119, v10, v11
	v_mul_f32_e32 v11, v9, v11
	s_waitcnt vmcnt(0)
	v_fma_f32 v9, v9, v118, -v119
	v_fmac_f32_e32 v11, v10, v118
	v_add_f32_e32 v8, v8, v9
	v_add_f32_e32 v2, v2, v11
	s_andn2_b32 exec_lo, exec_lo, s5
	s_cbranch_execnz .LBB116_85
; %bb.86:
	s_or_b32 exec_lo, exec_lo, s5
	v_mov_b32_e32 v5, 0
	ds_read_b64 v[5:6], v5 offset:144
	s_waitcnt lgkmcnt(0)
	v_mul_f32_e32 v7, v2, v6
	v_mul_f32_e32 v6, v8, v6
	v_fma_f32 v7, v8, v5, -v7
	v_fmac_f32_e32 v6, v2, v5
	buffer_store_dword v7, off, s[0:3], 0 offset:144
	buffer_store_dword v6, off, s[0:3], 0 offset:148
.LBB116_87:
	s_or_b32 exec_lo, exec_lo, s4
	s_waitcnt_vscnt null, 0x0
	s_barrier
	buffer_gl0_inv
	s_clause 0x1
	buffer_load_dword v5, off, s[0:3], 0 offset:152
	buffer_load_dword v6, off, s[0:3], 0 offset:156
	s_mov_b32 s4, exec_lo
	s_waitcnt vmcnt(0)
	ds_write_b64 v4, v[5:6]
	s_waitcnt lgkmcnt(0)
	s_barrier
	buffer_gl0_inv
	v_cmpx_gt_u32_e32 19, v0
	s_cbranch_execz .LBB116_91
; %bb.88:
	v_add_nc_u32_e32 v5, -1, v0
	v_add_nc_u32_e32 v6, 0x1b0, v3
	v_mov_b32_e32 v7, v3
	v_mov_b32_e32 v2, 0
	;; [unrolled: 1-line block ×3, first 2 shown]
	s_mov_b32 s5, 0
	.p2align	6
.LBB116_89:                             ; =>This Inner Loop Header: Depth=1
	s_clause 0x1
	buffer_load_dword v11, v7, s[0:3], 0 offen offset:4
	buffer_load_dword v118, v7, s[0:3], 0 offen
	ds_read_b64 v[9:10], v6
	v_add_nc_u32_e32 v5, 1, v5
	v_add_nc_u32_e32 v6, 8, v6
	;; [unrolled: 1-line block ×3, first 2 shown]
	v_cmp_lt_u32_e32 vcc_lo, 17, v5
	s_or_b32 s5, vcc_lo, s5
	s_waitcnt vmcnt(1) lgkmcnt(0)
	v_mul_f32_e32 v119, v10, v11
	v_mul_f32_e32 v11, v9, v11
	s_waitcnt vmcnt(0)
	v_fma_f32 v9, v9, v118, -v119
	v_fmac_f32_e32 v11, v10, v118
	v_add_f32_e32 v8, v8, v9
	v_add_f32_e32 v2, v2, v11
	s_andn2_b32 exec_lo, exec_lo, s5
	s_cbranch_execnz .LBB116_89
; %bb.90:
	s_or_b32 exec_lo, exec_lo, s5
	v_mov_b32_e32 v5, 0
	ds_read_b64 v[5:6], v5 offset:152
	s_waitcnt lgkmcnt(0)
	v_mul_f32_e32 v7, v2, v6
	v_mul_f32_e32 v6, v8, v6
	v_fma_f32 v7, v8, v5, -v7
	v_fmac_f32_e32 v6, v2, v5
	buffer_store_dword v7, off, s[0:3], 0 offset:152
	buffer_store_dword v6, off, s[0:3], 0 offset:156
.LBB116_91:
	s_or_b32 exec_lo, exec_lo, s4
	s_waitcnt_vscnt null, 0x0
	s_barrier
	buffer_gl0_inv
	s_clause 0x1
	buffer_load_dword v5, off, s[0:3], 0 offset:160
	buffer_load_dword v6, off, s[0:3], 0 offset:164
	s_mov_b32 s4, exec_lo
	s_waitcnt vmcnt(0)
	ds_write_b64 v4, v[5:6]
	s_waitcnt lgkmcnt(0)
	s_barrier
	buffer_gl0_inv
	v_cmpx_gt_u32_e32 20, v0
	s_cbranch_execz .LBB116_95
; %bb.92:
	v_add_nc_u32_e32 v5, -1, v0
	v_add_nc_u32_e32 v6, 0x1b0, v3
	v_mov_b32_e32 v7, v3
	v_mov_b32_e32 v2, 0
	;; [unrolled: 1-line block ×3, first 2 shown]
	s_mov_b32 s5, 0
	.p2align	6
.LBB116_93:                             ; =>This Inner Loop Header: Depth=1
	s_clause 0x1
	buffer_load_dword v11, v7, s[0:3], 0 offen offset:4
	buffer_load_dword v118, v7, s[0:3], 0 offen
	ds_read_b64 v[9:10], v6
	v_add_nc_u32_e32 v5, 1, v5
	v_add_nc_u32_e32 v6, 8, v6
	;; [unrolled: 1-line block ×3, first 2 shown]
	v_cmp_lt_u32_e32 vcc_lo, 18, v5
	s_or_b32 s5, vcc_lo, s5
	s_waitcnt vmcnt(1) lgkmcnt(0)
	v_mul_f32_e32 v119, v10, v11
	v_mul_f32_e32 v11, v9, v11
	s_waitcnt vmcnt(0)
	v_fma_f32 v9, v9, v118, -v119
	v_fmac_f32_e32 v11, v10, v118
	v_add_f32_e32 v8, v8, v9
	v_add_f32_e32 v2, v2, v11
	s_andn2_b32 exec_lo, exec_lo, s5
	s_cbranch_execnz .LBB116_93
; %bb.94:
	s_or_b32 exec_lo, exec_lo, s5
	v_mov_b32_e32 v5, 0
	ds_read_b64 v[5:6], v5 offset:160
	s_waitcnt lgkmcnt(0)
	v_mul_f32_e32 v7, v2, v6
	v_mul_f32_e32 v6, v8, v6
	v_fma_f32 v7, v8, v5, -v7
	v_fmac_f32_e32 v6, v2, v5
	buffer_store_dword v7, off, s[0:3], 0 offset:160
	buffer_store_dword v6, off, s[0:3], 0 offset:164
.LBB116_95:
	s_or_b32 exec_lo, exec_lo, s4
	s_waitcnt_vscnt null, 0x0
	s_barrier
	buffer_gl0_inv
	s_clause 0x1
	buffer_load_dword v5, off, s[0:3], 0 offset:168
	buffer_load_dword v6, off, s[0:3], 0 offset:172
	s_mov_b32 s4, exec_lo
	s_waitcnt vmcnt(0)
	ds_write_b64 v4, v[5:6]
	s_waitcnt lgkmcnt(0)
	s_barrier
	buffer_gl0_inv
	v_cmpx_gt_u32_e32 21, v0
	s_cbranch_execz .LBB116_99
; %bb.96:
	v_add_nc_u32_e32 v5, -1, v0
	v_add_nc_u32_e32 v6, 0x1b0, v3
	v_mov_b32_e32 v7, v3
	v_mov_b32_e32 v2, 0
	;; [unrolled: 1-line block ×3, first 2 shown]
	s_mov_b32 s5, 0
	.p2align	6
.LBB116_97:                             ; =>This Inner Loop Header: Depth=1
	s_clause 0x1
	buffer_load_dword v11, v7, s[0:3], 0 offen offset:4
	buffer_load_dword v118, v7, s[0:3], 0 offen
	ds_read_b64 v[9:10], v6
	v_add_nc_u32_e32 v5, 1, v5
	v_add_nc_u32_e32 v6, 8, v6
	;; [unrolled: 1-line block ×3, first 2 shown]
	v_cmp_lt_u32_e32 vcc_lo, 19, v5
	s_or_b32 s5, vcc_lo, s5
	s_waitcnt vmcnt(1) lgkmcnt(0)
	v_mul_f32_e32 v119, v10, v11
	v_mul_f32_e32 v11, v9, v11
	s_waitcnt vmcnt(0)
	v_fma_f32 v9, v9, v118, -v119
	v_fmac_f32_e32 v11, v10, v118
	v_add_f32_e32 v8, v8, v9
	v_add_f32_e32 v2, v2, v11
	s_andn2_b32 exec_lo, exec_lo, s5
	s_cbranch_execnz .LBB116_97
; %bb.98:
	s_or_b32 exec_lo, exec_lo, s5
	v_mov_b32_e32 v5, 0
	ds_read_b64 v[5:6], v5 offset:168
	s_waitcnt lgkmcnt(0)
	v_mul_f32_e32 v7, v2, v6
	v_mul_f32_e32 v6, v8, v6
	v_fma_f32 v7, v8, v5, -v7
	v_fmac_f32_e32 v6, v2, v5
	buffer_store_dword v7, off, s[0:3], 0 offset:168
	buffer_store_dword v6, off, s[0:3], 0 offset:172
.LBB116_99:
	s_or_b32 exec_lo, exec_lo, s4
	s_waitcnt_vscnt null, 0x0
	s_barrier
	buffer_gl0_inv
	s_clause 0x1
	buffer_load_dword v5, off, s[0:3], 0 offset:176
	buffer_load_dword v6, off, s[0:3], 0 offset:180
	s_mov_b32 s4, exec_lo
	s_waitcnt vmcnt(0)
	ds_write_b64 v4, v[5:6]
	s_waitcnt lgkmcnt(0)
	s_barrier
	buffer_gl0_inv
	v_cmpx_gt_u32_e32 22, v0
	s_cbranch_execz .LBB116_103
; %bb.100:
	v_add_nc_u32_e32 v5, -1, v0
	v_add_nc_u32_e32 v6, 0x1b0, v3
	v_mov_b32_e32 v7, v3
	v_mov_b32_e32 v2, 0
	;; [unrolled: 1-line block ×3, first 2 shown]
	s_mov_b32 s5, 0
	.p2align	6
.LBB116_101:                            ; =>This Inner Loop Header: Depth=1
	s_clause 0x1
	buffer_load_dword v11, v7, s[0:3], 0 offen offset:4
	buffer_load_dword v118, v7, s[0:3], 0 offen
	ds_read_b64 v[9:10], v6
	v_add_nc_u32_e32 v5, 1, v5
	v_add_nc_u32_e32 v6, 8, v6
	;; [unrolled: 1-line block ×3, first 2 shown]
	v_cmp_lt_u32_e32 vcc_lo, 20, v5
	s_or_b32 s5, vcc_lo, s5
	s_waitcnt vmcnt(1) lgkmcnt(0)
	v_mul_f32_e32 v119, v10, v11
	v_mul_f32_e32 v11, v9, v11
	s_waitcnt vmcnt(0)
	v_fma_f32 v9, v9, v118, -v119
	v_fmac_f32_e32 v11, v10, v118
	v_add_f32_e32 v8, v8, v9
	v_add_f32_e32 v2, v2, v11
	s_andn2_b32 exec_lo, exec_lo, s5
	s_cbranch_execnz .LBB116_101
; %bb.102:
	s_or_b32 exec_lo, exec_lo, s5
	v_mov_b32_e32 v5, 0
	ds_read_b64 v[5:6], v5 offset:176
	s_waitcnt lgkmcnt(0)
	v_mul_f32_e32 v7, v2, v6
	v_mul_f32_e32 v6, v8, v6
	v_fma_f32 v7, v8, v5, -v7
	v_fmac_f32_e32 v6, v2, v5
	buffer_store_dword v7, off, s[0:3], 0 offset:176
	buffer_store_dword v6, off, s[0:3], 0 offset:180
.LBB116_103:
	s_or_b32 exec_lo, exec_lo, s4
	s_waitcnt_vscnt null, 0x0
	s_barrier
	buffer_gl0_inv
	s_clause 0x1
	buffer_load_dword v5, off, s[0:3], 0 offset:184
	buffer_load_dword v6, off, s[0:3], 0 offset:188
	s_mov_b32 s4, exec_lo
	s_waitcnt vmcnt(0)
	ds_write_b64 v4, v[5:6]
	s_waitcnt lgkmcnt(0)
	s_barrier
	buffer_gl0_inv
	v_cmpx_gt_u32_e32 23, v0
	s_cbranch_execz .LBB116_107
; %bb.104:
	v_add_nc_u32_e32 v5, -1, v0
	v_add_nc_u32_e32 v6, 0x1b0, v3
	v_mov_b32_e32 v7, v3
	v_mov_b32_e32 v2, 0
	;; [unrolled: 1-line block ×3, first 2 shown]
	s_mov_b32 s5, 0
	.p2align	6
.LBB116_105:                            ; =>This Inner Loop Header: Depth=1
	s_clause 0x1
	buffer_load_dword v11, v7, s[0:3], 0 offen offset:4
	buffer_load_dword v118, v7, s[0:3], 0 offen
	ds_read_b64 v[9:10], v6
	v_add_nc_u32_e32 v5, 1, v5
	v_add_nc_u32_e32 v6, 8, v6
	;; [unrolled: 1-line block ×3, first 2 shown]
	v_cmp_lt_u32_e32 vcc_lo, 21, v5
	s_or_b32 s5, vcc_lo, s5
	s_waitcnt vmcnt(1) lgkmcnt(0)
	v_mul_f32_e32 v119, v10, v11
	v_mul_f32_e32 v11, v9, v11
	s_waitcnt vmcnt(0)
	v_fma_f32 v9, v9, v118, -v119
	v_fmac_f32_e32 v11, v10, v118
	v_add_f32_e32 v8, v8, v9
	v_add_f32_e32 v2, v2, v11
	s_andn2_b32 exec_lo, exec_lo, s5
	s_cbranch_execnz .LBB116_105
; %bb.106:
	s_or_b32 exec_lo, exec_lo, s5
	v_mov_b32_e32 v5, 0
	ds_read_b64 v[5:6], v5 offset:184
	s_waitcnt lgkmcnt(0)
	v_mul_f32_e32 v7, v2, v6
	v_mul_f32_e32 v6, v8, v6
	v_fma_f32 v7, v8, v5, -v7
	v_fmac_f32_e32 v6, v2, v5
	buffer_store_dword v7, off, s[0:3], 0 offset:184
	buffer_store_dword v6, off, s[0:3], 0 offset:188
.LBB116_107:
	s_or_b32 exec_lo, exec_lo, s4
	s_waitcnt_vscnt null, 0x0
	s_barrier
	buffer_gl0_inv
	s_clause 0x1
	buffer_load_dword v5, off, s[0:3], 0 offset:192
	buffer_load_dword v6, off, s[0:3], 0 offset:196
	s_mov_b32 s4, exec_lo
	s_waitcnt vmcnt(0)
	ds_write_b64 v4, v[5:6]
	s_waitcnt lgkmcnt(0)
	s_barrier
	buffer_gl0_inv
	v_cmpx_gt_u32_e32 24, v0
	s_cbranch_execz .LBB116_111
; %bb.108:
	v_add_nc_u32_e32 v5, -1, v0
	v_add_nc_u32_e32 v6, 0x1b0, v3
	v_mov_b32_e32 v7, v3
	v_mov_b32_e32 v2, 0
	;; [unrolled: 1-line block ×3, first 2 shown]
	s_mov_b32 s5, 0
	.p2align	6
.LBB116_109:                            ; =>This Inner Loop Header: Depth=1
	s_clause 0x1
	buffer_load_dword v11, v7, s[0:3], 0 offen offset:4
	buffer_load_dword v118, v7, s[0:3], 0 offen
	ds_read_b64 v[9:10], v6
	v_add_nc_u32_e32 v5, 1, v5
	v_add_nc_u32_e32 v6, 8, v6
	;; [unrolled: 1-line block ×3, first 2 shown]
	v_cmp_lt_u32_e32 vcc_lo, 22, v5
	s_or_b32 s5, vcc_lo, s5
	s_waitcnt vmcnt(1) lgkmcnt(0)
	v_mul_f32_e32 v119, v10, v11
	v_mul_f32_e32 v11, v9, v11
	s_waitcnt vmcnt(0)
	v_fma_f32 v9, v9, v118, -v119
	v_fmac_f32_e32 v11, v10, v118
	v_add_f32_e32 v8, v8, v9
	v_add_f32_e32 v2, v2, v11
	s_andn2_b32 exec_lo, exec_lo, s5
	s_cbranch_execnz .LBB116_109
; %bb.110:
	s_or_b32 exec_lo, exec_lo, s5
	v_mov_b32_e32 v5, 0
	ds_read_b64 v[5:6], v5 offset:192
	s_waitcnt lgkmcnt(0)
	v_mul_f32_e32 v7, v2, v6
	v_mul_f32_e32 v6, v8, v6
	v_fma_f32 v7, v8, v5, -v7
	v_fmac_f32_e32 v6, v2, v5
	buffer_store_dword v7, off, s[0:3], 0 offset:192
	buffer_store_dword v6, off, s[0:3], 0 offset:196
.LBB116_111:
	s_or_b32 exec_lo, exec_lo, s4
	s_waitcnt_vscnt null, 0x0
	s_barrier
	buffer_gl0_inv
	s_clause 0x1
	buffer_load_dword v5, off, s[0:3], 0 offset:200
	buffer_load_dword v6, off, s[0:3], 0 offset:204
	s_mov_b32 s4, exec_lo
	s_waitcnt vmcnt(0)
	ds_write_b64 v4, v[5:6]
	s_waitcnt lgkmcnt(0)
	s_barrier
	buffer_gl0_inv
	v_cmpx_gt_u32_e32 25, v0
	s_cbranch_execz .LBB116_115
; %bb.112:
	v_add_nc_u32_e32 v5, -1, v0
	v_add_nc_u32_e32 v6, 0x1b0, v3
	v_mov_b32_e32 v7, v3
	v_mov_b32_e32 v2, 0
	v_mov_b32_e32 v8, 0
	s_mov_b32 s5, 0
	.p2align	6
.LBB116_113:                            ; =>This Inner Loop Header: Depth=1
	s_clause 0x1
	buffer_load_dword v11, v7, s[0:3], 0 offen offset:4
	buffer_load_dword v118, v7, s[0:3], 0 offen
	ds_read_b64 v[9:10], v6
	v_add_nc_u32_e32 v5, 1, v5
	v_add_nc_u32_e32 v6, 8, v6
	;; [unrolled: 1-line block ×3, first 2 shown]
	v_cmp_lt_u32_e32 vcc_lo, 23, v5
	s_or_b32 s5, vcc_lo, s5
	s_waitcnt vmcnt(1) lgkmcnt(0)
	v_mul_f32_e32 v119, v10, v11
	v_mul_f32_e32 v11, v9, v11
	s_waitcnt vmcnt(0)
	v_fma_f32 v9, v9, v118, -v119
	v_fmac_f32_e32 v11, v10, v118
	v_add_f32_e32 v8, v8, v9
	v_add_f32_e32 v2, v2, v11
	s_andn2_b32 exec_lo, exec_lo, s5
	s_cbranch_execnz .LBB116_113
; %bb.114:
	s_or_b32 exec_lo, exec_lo, s5
	v_mov_b32_e32 v5, 0
	ds_read_b64 v[5:6], v5 offset:200
	s_waitcnt lgkmcnt(0)
	v_mul_f32_e32 v7, v2, v6
	v_mul_f32_e32 v6, v8, v6
	v_fma_f32 v7, v8, v5, -v7
	v_fmac_f32_e32 v6, v2, v5
	buffer_store_dword v7, off, s[0:3], 0 offset:200
	buffer_store_dword v6, off, s[0:3], 0 offset:204
.LBB116_115:
	s_or_b32 exec_lo, exec_lo, s4
	s_waitcnt_vscnt null, 0x0
	s_barrier
	buffer_gl0_inv
	s_clause 0x1
	buffer_load_dword v5, off, s[0:3], 0 offset:208
	buffer_load_dword v6, off, s[0:3], 0 offset:212
	s_mov_b32 s4, exec_lo
	s_waitcnt vmcnt(0)
	ds_write_b64 v4, v[5:6]
	s_waitcnt lgkmcnt(0)
	s_barrier
	buffer_gl0_inv
	v_cmpx_gt_u32_e32 26, v0
	s_cbranch_execz .LBB116_119
; %bb.116:
	v_add_nc_u32_e32 v5, -1, v0
	v_add_nc_u32_e32 v6, 0x1b0, v3
	v_mov_b32_e32 v7, v3
	v_mov_b32_e32 v2, 0
	;; [unrolled: 1-line block ×3, first 2 shown]
	s_mov_b32 s5, 0
	.p2align	6
.LBB116_117:                            ; =>This Inner Loop Header: Depth=1
	s_clause 0x1
	buffer_load_dword v11, v7, s[0:3], 0 offen offset:4
	buffer_load_dword v118, v7, s[0:3], 0 offen
	ds_read_b64 v[9:10], v6
	v_add_nc_u32_e32 v5, 1, v5
	v_add_nc_u32_e32 v6, 8, v6
	;; [unrolled: 1-line block ×3, first 2 shown]
	v_cmp_lt_u32_e32 vcc_lo, 24, v5
	s_or_b32 s5, vcc_lo, s5
	s_waitcnt vmcnt(1) lgkmcnt(0)
	v_mul_f32_e32 v119, v10, v11
	v_mul_f32_e32 v11, v9, v11
	s_waitcnt vmcnt(0)
	v_fma_f32 v9, v9, v118, -v119
	v_fmac_f32_e32 v11, v10, v118
	v_add_f32_e32 v8, v8, v9
	v_add_f32_e32 v2, v2, v11
	s_andn2_b32 exec_lo, exec_lo, s5
	s_cbranch_execnz .LBB116_117
; %bb.118:
	s_or_b32 exec_lo, exec_lo, s5
	v_mov_b32_e32 v5, 0
	ds_read_b64 v[5:6], v5 offset:208
	s_waitcnt lgkmcnt(0)
	v_mul_f32_e32 v7, v2, v6
	v_mul_f32_e32 v6, v8, v6
	v_fma_f32 v7, v8, v5, -v7
	v_fmac_f32_e32 v6, v2, v5
	buffer_store_dword v7, off, s[0:3], 0 offset:208
	buffer_store_dword v6, off, s[0:3], 0 offset:212
.LBB116_119:
	s_or_b32 exec_lo, exec_lo, s4
	s_waitcnt_vscnt null, 0x0
	s_barrier
	buffer_gl0_inv
	s_clause 0x1
	buffer_load_dword v5, off, s[0:3], 0 offset:216
	buffer_load_dword v6, off, s[0:3], 0 offset:220
	s_mov_b32 s4, exec_lo
	s_waitcnt vmcnt(0)
	ds_write_b64 v4, v[5:6]
	s_waitcnt lgkmcnt(0)
	s_barrier
	buffer_gl0_inv
	v_cmpx_gt_u32_e32 27, v0
	s_cbranch_execz .LBB116_123
; %bb.120:
	v_add_nc_u32_e32 v5, -1, v0
	v_add_nc_u32_e32 v6, 0x1b0, v3
	v_mov_b32_e32 v7, v3
	v_mov_b32_e32 v2, 0
	;; [unrolled: 1-line block ×3, first 2 shown]
	s_mov_b32 s5, 0
	.p2align	6
.LBB116_121:                            ; =>This Inner Loop Header: Depth=1
	s_clause 0x1
	buffer_load_dword v11, v7, s[0:3], 0 offen offset:4
	buffer_load_dword v118, v7, s[0:3], 0 offen
	ds_read_b64 v[9:10], v6
	v_add_nc_u32_e32 v5, 1, v5
	v_add_nc_u32_e32 v6, 8, v6
	;; [unrolled: 1-line block ×3, first 2 shown]
	v_cmp_lt_u32_e32 vcc_lo, 25, v5
	s_or_b32 s5, vcc_lo, s5
	s_waitcnt vmcnt(1) lgkmcnt(0)
	v_mul_f32_e32 v119, v10, v11
	v_mul_f32_e32 v11, v9, v11
	s_waitcnt vmcnt(0)
	v_fma_f32 v9, v9, v118, -v119
	v_fmac_f32_e32 v11, v10, v118
	v_add_f32_e32 v8, v8, v9
	v_add_f32_e32 v2, v2, v11
	s_andn2_b32 exec_lo, exec_lo, s5
	s_cbranch_execnz .LBB116_121
; %bb.122:
	s_or_b32 exec_lo, exec_lo, s5
	v_mov_b32_e32 v5, 0
	ds_read_b64 v[5:6], v5 offset:216
	s_waitcnt lgkmcnt(0)
	v_mul_f32_e32 v7, v2, v6
	v_mul_f32_e32 v6, v8, v6
	v_fma_f32 v7, v8, v5, -v7
	v_fmac_f32_e32 v6, v2, v5
	buffer_store_dword v7, off, s[0:3], 0 offset:216
	buffer_store_dword v6, off, s[0:3], 0 offset:220
.LBB116_123:
	s_or_b32 exec_lo, exec_lo, s4
	s_waitcnt_vscnt null, 0x0
	s_barrier
	buffer_gl0_inv
	s_clause 0x1
	buffer_load_dword v5, off, s[0:3], 0 offset:224
	buffer_load_dword v6, off, s[0:3], 0 offset:228
	s_mov_b32 s4, exec_lo
	s_waitcnt vmcnt(0)
	ds_write_b64 v4, v[5:6]
	s_waitcnt lgkmcnt(0)
	s_barrier
	buffer_gl0_inv
	v_cmpx_gt_u32_e32 28, v0
	s_cbranch_execz .LBB116_127
; %bb.124:
	v_add_nc_u32_e32 v5, -1, v0
	v_add_nc_u32_e32 v6, 0x1b0, v3
	v_mov_b32_e32 v7, v3
	v_mov_b32_e32 v2, 0
	;; [unrolled: 1-line block ×3, first 2 shown]
	s_mov_b32 s5, 0
	.p2align	6
.LBB116_125:                            ; =>This Inner Loop Header: Depth=1
	s_clause 0x1
	buffer_load_dword v11, v7, s[0:3], 0 offen offset:4
	buffer_load_dword v118, v7, s[0:3], 0 offen
	ds_read_b64 v[9:10], v6
	v_add_nc_u32_e32 v5, 1, v5
	v_add_nc_u32_e32 v6, 8, v6
	;; [unrolled: 1-line block ×3, first 2 shown]
	v_cmp_lt_u32_e32 vcc_lo, 26, v5
	s_or_b32 s5, vcc_lo, s5
	s_waitcnt vmcnt(1) lgkmcnt(0)
	v_mul_f32_e32 v119, v10, v11
	v_mul_f32_e32 v11, v9, v11
	s_waitcnt vmcnt(0)
	v_fma_f32 v9, v9, v118, -v119
	v_fmac_f32_e32 v11, v10, v118
	v_add_f32_e32 v8, v8, v9
	v_add_f32_e32 v2, v2, v11
	s_andn2_b32 exec_lo, exec_lo, s5
	s_cbranch_execnz .LBB116_125
; %bb.126:
	s_or_b32 exec_lo, exec_lo, s5
	v_mov_b32_e32 v5, 0
	ds_read_b64 v[5:6], v5 offset:224
	s_waitcnt lgkmcnt(0)
	v_mul_f32_e32 v7, v2, v6
	v_mul_f32_e32 v6, v8, v6
	v_fma_f32 v7, v8, v5, -v7
	v_fmac_f32_e32 v6, v2, v5
	buffer_store_dword v7, off, s[0:3], 0 offset:224
	buffer_store_dword v6, off, s[0:3], 0 offset:228
.LBB116_127:
	s_or_b32 exec_lo, exec_lo, s4
	s_waitcnt_vscnt null, 0x0
	s_barrier
	buffer_gl0_inv
	s_clause 0x1
	buffer_load_dword v5, off, s[0:3], 0 offset:232
	buffer_load_dword v6, off, s[0:3], 0 offset:236
	s_mov_b32 s4, exec_lo
	s_waitcnt vmcnt(0)
	ds_write_b64 v4, v[5:6]
	s_waitcnt lgkmcnt(0)
	s_barrier
	buffer_gl0_inv
	v_cmpx_gt_u32_e32 29, v0
	s_cbranch_execz .LBB116_131
; %bb.128:
	v_add_nc_u32_e32 v5, -1, v0
	v_add_nc_u32_e32 v6, 0x1b0, v3
	v_mov_b32_e32 v7, v3
	v_mov_b32_e32 v2, 0
	;; [unrolled: 1-line block ×3, first 2 shown]
	s_mov_b32 s5, 0
	.p2align	6
.LBB116_129:                            ; =>This Inner Loop Header: Depth=1
	s_clause 0x1
	buffer_load_dword v11, v7, s[0:3], 0 offen offset:4
	buffer_load_dword v118, v7, s[0:3], 0 offen
	ds_read_b64 v[9:10], v6
	v_add_nc_u32_e32 v5, 1, v5
	v_add_nc_u32_e32 v6, 8, v6
	;; [unrolled: 1-line block ×3, first 2 shown]
	v_cmp_lt_u32_e32 vcc_lo, 27, v5
	s_or_b32 s5, vcc_lo, s5
	s_waitcnt vmcnt(1) lgkmcnt(0)
	v_mul_f32_e32 v119, v10, v11
	v_mul_f32_e32 v11, v9, v11
	s_waitcnt vmcnt(0)
	v_fma_f32 v9, v9, v118, -v119
	v_fmac_f32_e32 v11, v10, v118
	v_add_f32_e32 v8, v8, v9
	v_add_f32_e32 v2, v2, v11
	s_andn2_b32 exec_lo, exec_lo, s5
	s_cbranch_execnz .LBB116_129
; %bb.130:
	s_or_b32 exec_lo, exec_lo, s5
	v_mov_b32_e32 v5, 0
	ds_read_b64 v[5:6], v5 offset:232
	s_waitcnt lgkmcnt(0)
	v_mul_f32_e32 v7, v2, v6
	v_mul_f32_e32 v6, v8, v6
	v_fma_f32 v7, v8, v5, -v7
	v_fmac_f32_e32 v6, v2, v5
	buffer_store_dword v7, off, s[0:3], 0 offset:232
	buffer_store_dword v6, off, s[0:3], 0 offset:236
.LBB116_131:
	s_or_b32 exec_lo, exec_lo, s4
	s_waitcnt_vscnt null, 0x0
	s_barrier
	buffer_gl0_inv
	s_clause 0x1
	buffer_load_dword v5, off, s[0:3], 0 offset:240
	buffer_load_dword v6, off, s[0:3], 0 offset:244
	s_mov_b32 s4, exec_lo
	s_waitcnt vmcnt(0)
	ds_write_b64 v4, v[5:6]
	s_waitcnt lgkmcnt(0)
	s_barrier
	buffer_gl0_inv
	v_cmpx_gt_u32_e32 30, v0
	s_cbranch_execz .LBB116_135
; %bb.132:
	v_add_nc_u32_e32 v5, -1, v0
	v_add_nc_u32_e32 v6, 0x1b0, v3
	v_mov_b32_e32 v7, v3
	v_mov_b32_e32 v2, 0
	;; [unrolled: 1-line block ×3, first 2 shown]
	s_mov_b32 s5, 0
	.p2align	6
.LBB116_133:                            ; =>This Inner Loop Header: Depth=1
	s_clause 0x1
	buffer_load_dword v11, v7, s[0:3], 0 offen offset:4
	buffer_load_dword v118, v7, s[0:3], 0 offen
	ds_read_b64 v[9:10], v6
	v_add_nc_u32_e32 v5, 1, v5
	v_add_nc_u32_e32 v6, 8, v6
	;; [unrolled: 1-line block ×3, first 2 shown]
	v_cmp_lt_u32_e32 vcc_lo, 28, v5
	s_or_b32 s5, vcc_lo, s5
	s_waitcnt vmcnt(1) lgkmcnt(0)
	v_mul_f32_e32 v119, v10, v11
	v_mul_f32_e32 v11, v9, v11
	s_waitcnt vmcnt(0)
	v_fma_f32 v9, v9, v118, -v119
	v_fmac_f32_e32 v11, v10, v118
	v_add_f32_e32 v8, v8, v9
	v_add_f32_e32 v2, v2, v11
	s_andn2_b32 exec_lo, exec_lo, s5
	s_cbranch_execnz .LBB116_133
; %bb.134:
	s_or_b32 exec_lo, exec_lo, s5
	v_mov_b32_e32 v5, 0
	ds_read_b64 v[5:6], v5 offset:240
	s_waitcnt lgkmcnt(0)
	v_mul_f32_e32 v7, v2, v6
	v_mul_f32_e32 v6, v8, v6
	v_fma_f32 v7, v8, v5, -v7
	v_fmac_f32_e32 v6, v2, v5
	buffer_store_dword v7, off, s[0:3], 0 offset:240
	buffer_store_dword v6, off, s[0:3], 0 offset:244
.LBB116_135:
	s_or_b32 exec_lo, exec_lo, s4
	s_waitcnt_vscnt null, 0x0
	s_barrier
	buffer_gl0_inv
	s_clause 0x1
	buffer_load_dword v5, off, s[0:3], 0 offset:248
	buffer_load_dword v6, off, s[0:3], 0 offset:252
	s_mov_b32 s4, exec_lo
	s_waitcnt vmcnt(0)
	ds_write_b64 v4, v[5:6]
	s_waitcnt lgkmcnt(0)
	s_barrier
	buffer_gl0_inv
	v_cmpx_gt_u32_e32 31, v0
	s_cbranch_execz .LBB116_139
; %bb.136:
	v_add_nc_u32_e32 v5, -1, v0
	v_add_nc_u32_e32 v6, 0x1b0, v3
	v_mov_b32_e32 v7, v3
	v_mov_b32_e32 v2, 0
	;; [unrolled: 1-line block ×3, first 2 shown]
	s_mov_b32 s5, 0
	.p2align	6
.LBB116_137:                            ; =>This Inner Loop Header: Depth=1
	s_clause 0x1
	buffer_load_dword v11, v7, s[0:3], 0 offen offset:4
	buffer_load_dword v118, v7, s[0:3], 0 offen
	ds_read_b64 v[9:10], v6
	v_add_nc_u32_e32 v5, 1, v5
	v_add_nc_u32_e32 v6, 8, v6
	;; [unrolled: 1-line block ×3, first 2 shown]
	v_cmp_lt_u32_e32 vcc_lo, 29, v5
	s_or_b32 s5, vcc_lo, s5
	s_waitcnt vmcnt(1) lgkmcnt(0)
	v_mul_f32_e32 v119, v10, v11
	v_mul_f32_e32 v11, v9, v11
	s_waitcnt vmcnt(0)
	v_fma_f32 v9, v9, v118, -v119
	v_fmac_f32_e32 v11, v10, v118
	v_add_f32_e32 v8, v8, v9
	v_add_f32_e32 v2, v2, v11
	s_andn2_b32 exec_lo, exec_lo, s5
	s_cbranch_execnz .LBB116_137
; %bb.138:
	s_or_b32 exec_lo, exec_lo, s5
	v_mov_b32_e32 v5, 0
	ds_read_b64 v[5:6], v5 offset:248
	s_waitcnt lgkmcnt(0)
	v_mul_f32_e32 v7, v2, v6
	v_mul_f32_e32 v6, v8, v6
	v_fma_f32 v7, v8, v5, -v7
	v_fmac_f32_e32 v6, v2, v5
	buffer_store_dword v7, off, s[0:3], 0 offset:248
	buffer_store_dword v6, off, s[0:3], 0 offset:252
.LBB116_139:
	s_or_b32 exec_lo, exec_lo, s4
	s_waitcnt_vscnt null, 0x0
	s_barrier
	buffer_gl0_inv
	s_clause 0x1
	buffer_load_dword v5, off, s[0:3], 0 offset:256
	buffer_load_dword v6, off, s[0:3], 0 offset:260
	s_mov_b32 s4, exec_lo
	s_waitcnt vmcnt(0)
	ds_write_b64 v4, v[5:6]
	s_waitcnt lgkmcnt(0)
	s_barrier
	buffer_gl0_inv
	v_cmpx_gt_u32_e32 32, v0
	s_cbranch_execz .LBB116_143
; %bb.140:
	v_add_nc_u32_e32 v5, -1, v0
	v_add_nc_u32_e32 v6, 0x1b0, v3
	v_mov_b32_e32 v7, v3
	v_mov_b32_e32 v2, 0
	;; [unrolled: 1-line block ×3, first 2 shown]
	s_mov_b32 s5, 0
	.p2align	6
.LBB116_141:                            ; =>This Inner Loop Header: Depth=1
	s_clause 0x1
	buffer_load_dword v11, v7, s[0:3], 0 offen offset:4
	buffer_load_dword v118, v7, s[0:3], 0 offen
	ds_read_b64 v[9:10], v6
	v_add_nc_u32_e32 v5, 1, v5
	v_add_nc_u32_e32 v6, 8, v6
	;; [unrolled: 1-line block ×3, first 2 shown]
	v_cmp_lt_u32_e32 vcc_lo, 30, v5
	s_or_b32 s5, vcc_lo, s5
	s_waitcnt vmcnt(1) lgkmcnt(0)
	v_mul_f32_e32 v119, v10, v11
	v_mul_f32_e32 v11, v9, v11
	s_waitcnt vmcnt(0)
	v_fma_f32 v9, v9, v118, -v119
	v_fmac_f32_e32 v11, v10, v118
	v_add_f32_e32 v8, v8, v9
	v_add_f32_e32 v2, v2, v11
	s_andn2_b32 exec_lo, exec_lo, s5
	s_cbranch_execnz .LBB116_141
; %bb.142:
	s_or_b32 exec_lo, exec_lo, s5
	v_mov_b32_e32 v5, 0
	ds_read_b64 v[5:6], v5 offset:256
	s_waitcnt lgkmcnt(0)
	v_mul_f32_e32 v7, v2, v6
	v_mul_f32_e32 v6, v8, v6
	v_fma_f32 v7, v8, v5, -v7
	v_fmac_f32_e32 v6, v2, v5
	buffer_store_dword v7, off, s[0:3], 0 offset:256
	buffer_store_dword v6, off, s[0:3], 0 offset:260
.LBB116_143:
	s_or_b32 exec_lo, exec_lo, s4
	s_waitcnt_vscnt null, 0x0
	s_barrier
	buffer_gl0_inv
	s_clause 0x1
	buffer_load_dword v5, off, s[0:3], 0 offset:264
	buffer_load_dword v6, off, s[0:3], 0 offset:268
	s_mov_b32 s4, exec_lo
	s_waitcnt vmcnt(0)
	ds_write_b64 v4, v[5:6]
	s_waitcnt lgkmcnt(0)
	s_barrier
	buffer_gl0_inv
	v_cmpx_gt_u32_e32 33, v0
	s_cbranch_execz .LBB116_147
; %bb.144:
	v_add_nc_u32_e32 v5, -1, v0
	v_add_nc_u32_e32 v6, 0x1b0, v3
	v_mov_b32_e32 v7, v3
	v_mov_b32_e32 v2, 0
	;; [unrolled: 1-line block ×3, first 2 shown]
	s_mov_b32 s5, 0
	.p2align	6
.LBB116_145:                            ; =>This Inner Loop Header: Depth=1
	s_clause 0x1
	buffer_load_dword v11, v7, s[0:3], 0 offen offset:4
	buffer_load_dword v118, v7, s[0:3], 0 offen
	ds_read_b64 v[9:10], v6
	v_add_nc_u32_e32 v5, 1, v5
	v_add_nc_u32_e32 v6, 8, v6
	;; [unrolled: 1-line block ×3, first 2 shown]
	v_cmp_lt_u32_e32 vcc_lo, 31, v5
	s_or_b32 s5, vcc_lo, s5
	s_waitcnt vmcnt(1) lgkmcnt(0)
	v_mul_f32_e32 v119, v10, v11
	v_mul_f32_e32 v11, v9, v11
	s_waitcnt vmcnt(0)
	v_fma_f32 v9, v9, v118, -v119
	v_fmac_f32_e32 v11, v10, v118
	v_add_f32_e32 v8, v8, v9
	v_add_f32_e32 v2, v2, v11
	s_andn2_b32 exec_lo, exec_lo, s5
	s_cbranch_execnz .LBB116_145
; %bb.146:
	s_or_b32 exec_lo, exec_lo, s5
	v_mov_b32_e32 v5, 0
	ds_read_b64 v[5:6], v5 offset:264
	s_waitcnt lgkmcnt(0)
	v_mul_f32_e32 v7, v2, v6
	v_mul_f32_e32 v6, v8, v6
	v_fma_f32 v7, v8, v5, -v7
	v_fmac_f32_e32 v6, v2, v5
	buffer_store_dword v7, off, s[0:3], 0 offset:264
	buffer_store_dword v6, off, s[0:3], 0 offset:268
.LBB116_147:
	s_or_b32 exec_lo, exec_lo, s4
	s_waitcnt_vscnt null, 0x0
	s_barrier
	buffer_gl0_inv
	s_clause 0x1
	buffer_load_dword v5, off, s[0:3], 0 offset:272
	buffer_load_dword v6, off, s[0:3], 0 offset:276
	s_mov_b32 s4, exec_lo
	s_waitcnt vmcnt(0)
	ds_write_b64 v4, v[5:6]
	s_waitcnt lgkmcnt(0)
	s_barrier
	buffer_gl0_inv
	v_cmpx_gt_u32_e32 34, v0
	s_cbranch_execz .LBB116_151
; %bb.148:
	v_add_nc_u32_e32 v5, -1, v0
	v_add_nc_u32_e32 v6, 0x1b0, v3
	v_mov_b32_e32 v7, v3
	v_mov_b32_e32 v2, 0
	v_mov_b32_e32 v8, 0
	s_mov_b32 s5, 0
	.p2align	6
.LBB116_149:                            ; =>This Inner Loop Header: Depth=1
	s_clause 0x1
	buffer_load_dword v11, v7, s[0:3], 0 offen offset:4
	buffer_load_dword v118, v7, s[0:3], 0 offen
	ds_read_b64 v[9:10], v6
	v_add_nc_u32_e32 v5, 1, v5
	v_add_nc_u32_e32 v6, 8, v6
	;; [unrolled: 1-line block ×3, first 2 shown]
	v_cmp_lt_u32_e32 vcc_lo, 32, v5
	s_or_b32 s5, vcc_lo, s5
	s_waitcnt vmcnt(1) lgkmcnt(0)
	v_mul_f32_e32 v119, v10, v11
	v_mul_f32_e32 v11, v9, v11
	s_waitcnt vmcnt(0)
	v_fma_f32 v9, v9, v118, -v119
	v_fmac_f32_e32 v11, v10, v118
	v_add_f32_e32 v8, v8, v9
	v_add_f32_e32 v2, v2, v11
	s_andn2_b32 exec_lo, exec_lo, s5
	s_cbranch_execnz .LBB116_149
; %bb.150:
	s_or_b32 exec_lo, exec_lo, s5
	v_mov_b32_e32 v5, 0
	ds_read_b64 v[5:6], v5 offset:272
	s_waitcnt lgkmcnt(0)
	v_mul_f32_e32 v7, v2, v6
	v_mul_f32_e32 v6, v8, v6
	v_fma_f32 v7, v8, v5, -v7
	v_fmac_f32_e32 v6, v2, v5
	buffer_store_dword v7, off, s[0:3], 0 offset:272
	buffer_store_dword v6, off, s[0:3], 0 offset:276
.LBB116_151:
	s_or_b32 exec_lo, exec_lo, s4
	s_waitcnt_vscnt null, 0x0
	s_barrier
	buffer_gl0_inv
	s_clause 0x1
	buffer_load_dword v5, off, s[0:3], 0 offset:280
	buffer_load_dword v6, off, s[0:3], 0 offset:284
	s_mov_b32 s4, exec_lo
	s_waitcnt vmcnt(0)
	ds_write_b64 v4, v[5:6]
	s_waitcnt lgkmcnt(0)
	s_barrier
	buffer_gl0_inv
	v_cmpx_gt_u32_e32 35, v0
	s_cbranch_execz .LBB116_155
; %bb.152:
	v_add_nc_u32_e32 v5, -1, v0
	v_add_nc_u32_e32 v6, 0x1b0, v3
	v_mov_b32_e32 v7, v3
	v_mov_b32_e32 v2, 0
	;; [unrolled: 1-line block ×3, first 2 shown]
	s_mov_b32 s5, 0
	.p2align	6
.LBB116_153:                            ; =>This Inner Loop Header: Depth=1
	s_clause 0x1
	buffer_load_dword v11, v7, s[0:3], 0 offen offset:4
	buffer_load_dword v118, v7, s[0:3], 0 offen
	ds_read_b64 v[9:10], v6
	v_add_nc_u32_e32 v5, 1, v5
	v_add_nc_u32_e32 v6, 8, v6
	;; [unrolled: 1-line block ×3, first 2 shown]
	v_cmp_lt_u32_e32 vcc_lo, 33, v5
	s_or_b32 s5, vcc_lo, s5
	s_waitcnt vmcnt(1) lgkmcnt(0)
	v_mul_f32_e32 v119, v10, v11
	v_mul_f32_e32 v11, v9, v11
	s_waitcnt vmcnt(0)
	v_fma_f32 v9, v9, v118, -v119
	v_fmac_f32_e32 v11, v10, v118
	v_add_f32_e32 v8, v8, v9
	v_add_f32_e32 v2, v2, v11
	s_andn2_b32 exec_lo, exec_lo, s5
	s_cbranch_execnz .LBB116_153
; %bb.154:
	s_or_b32 exec_lo, exec_lo, s5
	v_mov_b32_e32 v5, 0
	ds_read_b64 v[5:6], v5 offset:280
	s_waitcnt lgkmcnt(0)
	v_mul_f32_e32 v7, v2, v6
	v_mul_f32_e32 v6, v8, v6
	v_fma_f32 v7, v8, v5, -v7
	v_fmac_f32_e32 v6, v2, v5
	buffer_store_dword v7, off, s[0:3], 0 offset:280
	buffer_store_dword v6, off, s[0:3], 0 offset:284
.LBB116_155:
	s_or_b32 exec_lo, exec_lo, s4
	s_waitcnt_vscnt null, 0x0
	s_barrier
	buffer_gl0_inv
	s_clause 0x1
	buffer_load_dword v5, off, s[0:3], 0 offset:288
	buffer_load_dword v6, off, s[0:3], 0 offset:292
	s_mov_b32 s4, exec_lo
	s_waitcnt vmcnt(0)
	ds_write_b64 v4, v[5:6]
	s_waitcnt lgkmcnt(0)
	s_barrier
	buffer_gl0_inv
	v_cmpx_gt_u32_e32 36, v0
	s_cbranch_execz .LBB116_159
; %bb.156:
	v_add_nc_u32_e32 v5, -1, v0
	v_add_nc_u32_e32 v6, 0x1b0, v3
	v_mov_b32_e32 v7, v3
	v_mov_b32_e32 v2, 0
	;; [unrolled: 1-line block ×3, first 2 shown]
	s_mov_b32 s5, 0
	.p2align	6
.LBB116_157:                            ; =>This Inner Loop Header: Depth=1
	s_clause 0x1
	buffer_load_dword v11, v7, s[0:3], 0 offen offset:4
	buffer_load_dword v118, v7, s[0:3], 0 offen
	ds_read_b64 v[9:10], v6
	v_add_nc_u32_e32 v5, 1, v5
	v_add_nc_u32_e32 v6, 8, v6
	;; [unrolled: 1-line block ×3, first 2 shown]
	v_cmp_lt_u32_e32 vcc_lo, 34, v5
	s_or_b32 s5, vcc_lo, s5
	s_waitcnt vmcnt(1) lgkmcnt(0)
	v_mul_f32_e32 v119, v10, v11
	v_mul_f32_e32 v11, v9, v11
	s_waitcnt vmcnt(0)
	v_fma_f32 v9, v9, v118, -v119
	v_fmac_f32_e32 v11, v10, v118
	v_add_f32_e32 v8, v8, v9
	v_add_f32_e32 v2, v2, v11
	s_andn2_b32 exec_lo, exec_lo, s5
	s_cbranch_execnz .LBB116_157
; %bb.158:
	s_or_b32 exec_lo, exec_lo, s5
	v_mov_b32_e32 v5, 0
	ds_read_b64 v[5:6], v5 offset:288
	s_waitcnt lgkmcnt(0)
	v_mul_f32_e32 v7, v2, v6
	v_mul_f32_e32 v6, v8, v6
	v_fma_f32 v7, v8, v5, -v7
	v_fmac_f32_e32 v6, v2, v5
	buffer_store_dword v7, off, s[0:3], 0 offset:288
	buffer_store_dword v6, off, s[0:3], 0 offset:292
.LBB116_159:
	s_or_b32 exec_lo, exec_lo, s4
	s_waitcnt_vscnt null, 0x0
	s_barrier
	buffer_gl0_inv
	s_clause 0x1
	buffer_load_dword v5, off, s[0:3], 0 offset:296
	buffer_load_dword v6, off, s[0:3], 0 offset:300
	s_mov_b32 s4, exec_lo
	s_waitcnt vmcnt(0)
	ds_write_b64 v4, v[5:6]
	s_waitcnt lgkmcnt(0)
	s_barrier
	buffer_gl0_inv
	v_cmpx_gt_u32_e32 37, v0
	s_cbranch_execz .LBB116_163
; %bb.160:
	v_add_nc_u32_e32 v5, -1, v0
	v_add_nc_u32_e32 v6, 0x1b0, v3
	v_mov_b32_e32 v7, v3
	v_mov_b32_e32 v2, 0
	;; [unrolled: 1-line block ×3, first 2 shown]
	s_mov_b32 s5, 0
	.p2align	6
.LBB116_161:                            ; =>This Inner Loop Header: Depth=1
	s_clause 0x1
	buffer_load_dword v11, v7, s[0:3], 0 offen offset:4
	buffer_load_dword v118, v7, s[0:3], 0 offen
	ds_read_b64 v[9:10], v6
	v_add_nc_u32_e32 v5, 1, v5
	v_add_nc_u32_e32 v6, 8, v6
	;; [unrolled: 1-line block ×3, first 2 shown]
	v_cmp_lt_u32_e32 vcc_lo, 35, v5
	s_or_b32 s5, vcc_lo, s5
	s_waitcnt vmcnt(1) lgkmcnt(0)
	v_mul_f32_e32 v119, v10, v11
	v_mul_f32_e32 v11, v9, v11
	s_waitcnt vmcnt(0)
	v_fma_f32 v9, v9, v118, -v119
	v_fmac_f32_e32 v11, v10, v118
	v_add_f32_e32 v8, v8, v9
	v_add_f32_e32 v2, v2, v11
	s_andn2_b32 exec_lo, exec_lo, s5
	s_cbranch_execnz .LBB116_161
; %bb.162:
	s_or_b32 exec_lo, exec_lo, s5
	v_mov_b32_e32 v5, 0
	ds_read_b64 v[5:6], v5 offset:296
	s_waitcnt lgkmcnt(0)
	v_mul_f32_e32 v7, v2, v6
	v_mul_f32_e32 v6, v8, v6
	v_fma_f32 v7, v8, v5, -v7
	v_fmac_f32_e32 v6, v2, v5
	buffer_store_dword v7, off, s[0:3], 0 offset:296
	buffer_store_dword v6, off, s[0:3], 0 offset:300
.LBB116_163:
	s_or_b32 exec_lo, exec_lo, s4
	s_waitcnt_vscnt null, 0x0
	s_barrier
	buffer_gl0_inv
	s_clause 0x1
	buffer_load_dword v5, off, s[0:3], 0 offset:304
	buffer_load_dword v6, off, s[0:3], 0 offset:308
	s_mov_b32 s4, exec_lo
	s_waitcnt vmcnt(0)
	ds_write_b64 v4, v[5:6]
	s_waitcnt lgkmcnt(0)
	s_barrier
	buffer_gl0_inv
	v_cmpx_gt_u32_e32 38, v0
	s_cbranch_execz .LBB116_167
; %bb.164:
	v_add_nc_u32_e32 v5, -1, v0
	v_add_nc_u32_e32 v6, 0x1b0, v3
	v_mov_b32_e32 v7, v3
	v_mov_b32_e32 v2, 0
	;; [unrolled: 1-line block ×3, first 2 shown]
	s_mov_b32 s5, 0
	.p2align	6
.LBB116_165:                            ; =>This Inner Loop Header: Depth=1
	s_clause 0x1
	buffer_load_dword v11, v7, s[0:3], 0 offen offset:4
	buffer_load_dword v118, v7, s[0:3], 0 offen
	ds_read_b64 v[9:10], v6
	v_add_nc_u32_e32 v5, 1, v5
	v_add_nc_u32_e32 v6, 8, v6
	;; [unrolled: 1-line block ×3, first 2 shown]
	v_cmp_lt_u32_e32 vcc_lo, 36, v5
	s_or_b32 s5, vcc_lo, s5
	s_waitcnt vmcnt(1) lgkmcnt(0)
	v_mul_f32_e32 v119, v10, v11
	v_mul_f32_e32 v11, v9, v11
	s_waitcnt vmcnt(0)
	v_fma_f32 v9, v9, v118, -v119
	v_fmac_f32_e32 v11, v10, v118
	v_add_f32_e32 v8, v8, v9
	v_add_f32_e32 v2, v2, v11
	s_andn2_b32 exec_lo, exec_lo, s5
	s_cbranch_execnz .LBB116_165
; %bb.166:
	s_or_b32 exec_lo, exec_lo, s5
	v_mov_b32_e32 v5, 0
	ds_read_b64 v[5:6], v5 offset:304
	s_waitcnt lgkmcnt(0)
	v_mul_f32_e32 v7, v2, v6
	v_mul_f32_e32 v6, v8, v6
	v_fma_f32 v7, v8, v5, -v7
	v_fmac_f32_e32 v6, v2, v5
	buffer_store_dword v7, off, s[0:3], 0 offset:304
	buffer_store_dword v6, off, s[0:3], 0 offset:308
.LBB116_167:
	s_or_b32 exec_lo, exec_lo, s4
	s_waitcnt_vscnt null, 0x0
	s_barrier
	buffer_gl0_inv
	s_clause 0x1
	buffer_load_dword v5, off, s[0:3], 0 offset:312
	buffer_load_dword v6, off, s[0:3], 0 offset:316
	s_mov_b32 s4, exec_lo
	s_waitcnt vmcnt(0)
	ds_write_b64 v4, v[5:6]
	s_waitcnt lgkmcnt(0)
	s_barrier
	buffer_gl0_inv
	v_cmpx_gt_u32_e32 39, v0
	s_cbranch_execz .LBB116_171
; %bb.168:
	v_add_nc_u32_e32 v5, -1, v0
	v_add_nc_u32_e32 v6, 0x1b0, v3
	v_mov_b32_e32 v7, v3
	v_mov_b32_e32 v2, 0
	;; [unrolled: 1-line block ×3, first 2 shown]
	s_mov_b32 s5, 0
	.p2align	6
.LBB116_169:                            ; =>This Inner Loop Header: Depth=1
	s_clause 0x1
	buffer_load_dword v11, v7, s[0:3], 0 offen offset:4
	buffer_load_dword v118, v7, s[0:3], 0 offen
	ds_read_b64 v[9:10], v6
	v_add_nc_u32_e32 v5, 1, v5
	v_add_nc_u32_e32 v6, 8, v6
	;; [unrolled: 1-line block ×3, first 2 shown]
	v_cmp_lt_u32_e32 vcc_lo, 37, v5
	s_or_b32 s5, vcc_lo, s5
	s_waitcnt vmcnt(1) lgkmcnt(0)
	v_mul_f32_e32 v119, v10, v11
	v_mul_f32_e32 v11, v9, v11
	s_waitcnt vmcnt(0)
	v_fma_f32 v9, v9, v118, -v119
	v_fmac_f32_e32 v11, v10, v118
	v_add_f32_e32 v8, v8, v9
	v_add_f32_e32 v2, v2, v11
	s_andn2_b32 exec_lo, exec_lo, s5
	s_cbranch_execnz .LBB116_169
; %bb.170:
	s_or_b32 exec_lo, exec_lo, s5
	v_mov_b32_e32 v5, 0
	ds_read_b64 v[5:6], v5 offset:312
	s_waitcnt lgkmcnt(0)
	v_mul_f32_e32 v7, v2, v6
	v_mul_f32_e32 v6, v8, v6
	v_fma_f32 v7, v8, v5, -v7
	v_fmac_f32_e32 v6, v2, v5
	buffer_store_dword v7, off, s[0:3], 0 offset:312
	buffer_store_dword v6, off, s[0:3], 0 offset:316
.LBB116_171:
	s_or_b32 exec_lo, exec_lo, s4
	s_waitcnt_vscnt null, 0x0
	s_barrier
	buffer_gl0_inv
	s_clause 0x1
	buffer_load_dword v5, off, s[0:3], 0 offset:320
	buffer_load_dword v6, off, s[0:3], 0 offset:324
	s_mov_b32 s4, exec_lo
	s_waitcnt vmcnt(0)
	ds_write_b64 v4, v[5:6]
	s_waitcnt lgkmcnt(0)
	s_barrier
	buffer_gl0_inv
	v_cmpx_gt_u32_e32 40, v0
	s_cbranch_execz .LBB116_175
; %bb.172:
	v_add_nc_u32_e32 v5, -1, v0
	v_add_nc_u32_e32 v6, 0x1b0, v3
	v_mov_b32_e32 v7, v3
	v_mov_b32_e32 v2, 0
	;; [unrolled: 1-line block ×3, first 2 shown]
	s_mov_b32 s5, 0
	.p2align	6
.LBB116_173:                            ; =>This Inner Loop Header: Depth=1
	s_clause 0x1
	buffer_load_dword v11, v7, s[0:3], 0 offen offset:4
	buffer_load_dword v118, v7, s[0:3], 0 offen
	ds_read_b64 v[9:10], v6
	v_add_nc_u32_e32 v5, 1, v5
	v_add_nc_u32_e32 v6, 8, v6
	;; [unrolled: 1-line block ×3, first 2 shown]
	v_cmp_lt_u32_e32 vcc_lo, 38, v5
	s_or_b32 s5, vcc_lo, s5
	s_waitcnt vmcnt(1) lgkmcnt(0)
	v_mul_f32_e32 v119, v10, v11
	v_mul_f32_e32 v11, v9, v11
	s_waitcnt vmcnt(0)
	v_fma_f32 v9, v9, v118, -v119
	v_fmac_f32_e32 v11, v10, v118
	v_add_f32_e32 v8, v8, v9
	v_add_f32_e32 v2, v2, v11
	s_andn2_b32 exec_lo, exec_lo, s5
	s_cbranch_execnz .LBB116_173
; %bb.174:
	s_or_b32 exec_lo, exec_lo, s5
	v_mov_b32_e32 v5, 0
	ds_read_b64 v[5:6], v5 offset:320
	s_waitcnt lgkmcnt(0)
	v_mul_f32_e32 v7, v2, v6
	v_mul_f32_e32 v6, v8, v6
	v_fma_f32 v7, v8, v5, -v7
	v_fmac_f32_e32 v6, v2, v5
	buffer_store_dword v7, off, s[0:3], 0 offset:320
	buffer_store_dword v6, off, s[0:3], 0 offset:324
.LBB116_175:
	s_or_b32 exec_lo, exec_lo, s4
	s_waitcnt_vscnt null, 0x0
	s_barrier
	buffer_gl0_inv
	s_clause 0x1
	buffer_load_dword v5, off, s[0:3], 0 offset:328
	buffer_load_dword v6, off, s[0:3], 0 offset:332
	s_mov_b32 s4, exec_lo
	s_waitcnt vmcnt(0)
	ds_write_b64 v4, v[5:6]
	s_waitcnt lgkmcnt(0)
	s_barrier
	buffer_gl0_inv
	v_cmpx_gt_u32_e32 41, v0
	s_cbranch_execz .LBB116_179
; %bb.176:
	v_add_nc_u32_e32 v5, -1, v0
	v_add_nc_u32_e32 v6, 0x1b0, v3
	v_mov_b32_e32 v7, v3
	v_mov_b32_e32 v2, 0
	v_mov_b32_e32 v8, 0
	s_mov_b32 s5, 0
	.p2align	6
.LBB116_177:                            ; =>This Inner Loop Header: Depth=1
	s_clause 0x1
	buffer_load_dword v11, v7, s[0:3], 0 offen offset:4
	buffer_load_dword v118, v7, s[0:3], 0 offen
	ds_read_b64 v[9:10], v6
	v_add_nc_u32_e32 v5, 1, v5
	v_add_nc_u32_e32 v6, 8, v6
	;; [unrolled: 1-line block ×3, first 2 shown]
	v_cmp_lt_u32_e32 vcc_lo, 39, v5
	s_or_b32 s5, vcc_lo, s5
	s_waitcnt vmcnt(1) lgkmcnt(0)
	v_mul_f32_e32 v119, v10, v11
	v_mul_f32_e32 v11, v9, v11
	s_waitcnt vmcnt(0)
	v_fma_f32 v9, v9, v118, -v119
	v_fmac_f32_e32 v11, v10, v118
	v_add_f32_e32 v8, v8, v9
	v_add_f32_e32 v2, v2, v11
	s_andn2_b32 exec_lo, exec_lo, s5
	s_cbranch_execnz .LBB116_177
; %bb.178:
	s_or_b32 exec_lo, exec_lo, s5
	v_mov_b32_e32 v5, 0
	ds_read_b64 v[5:6], v5 offset:328
	s_waitcnt lgkmcnt(0)
	v_mul_f32_e32 v7, v2, v6
	v_mul_f32_e32 v6, v8, v6
	v_fma_f32 v7, v8, v5, -v7
	v_fmac_f32_e32 v6, v2, v5
	buffer_store_dword v7, off, s[0:3], 0 offset:328
	buffer_store_dword v6, off, s[0:3], 0 offset:332
.LBB116_179:
	s_or_b32 exec_lo, exec_lo, s4
	s_waitcnt_vscnt null, 0x0
	s_barrier
	buffer_gl0_inv
	s_clause 0x1
	buffer_load_dword v5, off, s[0:3], 0 offset:336
	buffer_load_dword v6, off, s[0:3], 0 offset:340
	s_mov_b32 s4, exec_lo
	s_waitcnt vmcnt(0)
	ds_write_b64 v4, v[5:6]
	s_waitcnt lgkmcnt(0)
	s_barrier
	buffer_gl0_inv
	v_cmpx_gt_u32_e32 42, v0
	s_cbranch_execz .LBB116_183
; %bb.180:
	v_add_nc_u32_e32 v5, -1, v0
	v_add_nc_u32_e32 v6, 0x1b0, v3
	v_mov_b32_e32 v7, v3
	v_mov_b32_e32 v2, 0
	;; [unrolled: 1-line block ×3, first 2 shown]
	s_mov_b32 s5, 0
	.p2align	6
.LBB116_181:                            ; =>This Inner Loop Header: Depth=1
	s_clause 0x1
	buffer_load_dword v11, v7, s[0:3], 0 offen offset:4
	buffer_load_dword v118, v7, s[0:3], 0 offen
	ds_read_b64 v[9:10], v6
	v_add_nc_u32_e32 v5, 1, v5
	v_add_nc_u32_e32 v6, 8, v6
	;; [unrolled: 1-line block ×3, first 2 shown]
	v_cmp_lt_u32_e32 vcc_lo, 40, v5
	s_or_b32 s5, vcc_lo, s5
	s_waitcnt vmcnt(1) lgkmcnt(0)
	v_mul_f32_e32 v119, v10, v11
	v_mul_f32_e32 v11, v9, v11
	s_waitcnt vmcnt(0)
	v_fma_f32 v9, v9, v118, -v119
	v_fmac_f32_e32 v11, v10, v118
	v_add_f32_e32 v8, v8, v9
	v_add_f32_e32 v2, v2, v11
	s_andn2_b32 exec_lo, exec_lo, s5
	s_cbranch_execnz .LBB116_181
; %bb.182:
	s_or_b32 exec_lo, exec_lo, s5
	v_mov_b32_e32 v5, 0
	ds_read_b64 v[5:6], v5 offset:336
	s_waitcnt lgkmcnt(0)
	v_mul_f32_e32 v7, v2, v6
	v_mul_f32_e32 v6, v8, v6
	v_fma_f32 v7, v8, v5, -v7
	v_fmac_f32_e32 v6, v2, v5
	buffer_store_dword v7, off, s[0:3], 0 offset:336
	buffer_store_dword v6, off, s[0:3], 0 offset:340
.LBB116_183:
	s_or_b32 exec_lo, exec_lo, s4
	s_waitcnt_vscnt null, 0x0
	s_barrier
	buffer_gl0_inv
	s_clause 0x1
	buffer_load_dword v5, off, s[0:3], 0 offset:344
	buffer_load_dword v6, off, s[0:3], 0 offset:348
	s_mov_b32 s4, exec_lo
	s_waitcnt vmcnt(0)
	ds_write_b64 v4, v[5:6]
	s_waitcnt lgkmcnt(0)
	s_barrier
	buffer_gl0_inv
	v_cmpx_gt_u32_e32 43, v0
	s_cbranch_execz .LBB116_187
; %bb.184:
	v_add_nc_u32_e32 v5, -1, v0
	v_add_nc_u32_e32 v6, 0x1b0, v3
	v_mov_b32_e32 v7, v3
	v_mov_b32_e32 v2, 0
	;; [unrolled: 1-line block ×3, first 2 shown]
	s_mov_b32 s5, 0
	.p2align	6
.LBB116_185:                            ; =>This Inner Loop Header: Depth=1
	s_clause 0x1
	buffer_load_dword v11, v7, s[0:3], 0 offen offset:4
	buffer_load_dword v118, v7, s[0:3], 0 offen
	ds_read_b64 v[9:10], v6
	v_add_nc_u32_e32 v5, 1, v5
	v_add_nc_u32_e32 v6, 8, v6
	;; [unrolled: 1-line block ×3, first 2 shown]
	v_cmp_lt_u32_e32 vcc_lo, 41, v5
	s_or_b32 s5, vcc_lo, s5
	s_waitcnt vmcnt(1) lgkmcnt(0)
	v_mul_f32_e32 v119, v10, v11
	v_mul_f32_e32 v11, v9, v11
	s_waitcnt vmcnt(0)
	v_fma_f32 v9, v9, v118, -v119
	v_fmac_f32_e32 v11, v10, v118
	v_add_f32_e32 v8, v8, v9
	v_add_f32_e32 v2, v2, v11
	s_andn2_b32 exec_lo, exec_lo, s5
	s_cbranch_execnz .LBB116_185
; %bb.186:
	s_or_b32 exec_lo, exec_lo, s5
	v_mov_b32_e32 v5, 0
	ds_read_b64 v[5:6], v5 offset:344
	s_waitcnt lgkmcnt(0)
	v_mul_f32_e32 v7, v2, v6
	v_mul_f32_e32 v6, v8, v6
	v_fma_f32 v7, v8, v5, -v7
	v_fmac_f32_e32 v6, v2, v5
	buffer_store_dword v7, off, s[0:3], 0 offset:344
	buffer_store_dword v6, off, s[0:3], 0 offset:348
.LBB116_187:
	s_or_b32 exec_lo, exec_lo, s4
	s_waitcnt_vscnt null, 0x0
	s_barrier
	buffer_gl0_inv
	s_clause 0x1
	buffer_load_dword v5, off, s[0:3], 0 offset:352
	buffer_load_dword v6, off, s[0:3], 0 offset:356
	s_mov_b32 s4, exec_lo
	s_waitcnt vmcnt(0)
	ds_write_b64 v4, v[5:6]
	s_waitcnt lgkmcnt(0)
	s_barrier
	buffer_gl0_inv
	v_cmpx_gt_u32_e32 44, v0
	s_cbranch_execz .LBB116_191
; %bb.188:
	v_add_nc_u32_e32 v5, -1, v0
	v_add_nc_u32_e32 v6, 0x1b0, v3
	v_mov_b32_e32 v7, v3
	v_mov_b32_e32 v2, 0
	;; [unrolled: 1-line block ×3, first 2 shown]
	s_mov_b32 s5, 0
	.p2align	6
.LBB116_189:                            ; =>This Inner Loop Header: Depth=1
	s_clause 0x1
	buffer_load_dword v11, v7, s[0:3], 0 offen offset:4
	buffer_load_dword v118, v7, s[0:3], 0 offen
	ds_read_b64 v[9:10], v6
	v_add_nc_u32_e32 v5, 1, v5
	v_add_nc_u32_e32 v6, 8, v6
	;; [unrolled: 1-line block ×3, first 2 shown]
	v_cmp_lt_u32_e32 vcc_lo, 42, v5
	s_or_b32 s5, vcc_lo, s5
	s_waitcnt vmcnt(1) lgkmcnt(0)
	v_mul_f32_e32 v119, v10, v11
	v_mul_f32_e32 v11, v9, v11
	s_waitcnt vmcnt(0)
	v_fma_f32 v9, v9, v118, -v119
	v_fmac_f32_e32 v11, v10, v118
	v_add_f32_e32 v8, v8, v9
	v_add_f32_e32 v2, v2, v11
	s_andn2_b32 exec_lo, exec_lo, s5
	s_cbranch_execnz .LBB116_189
; %bb.190:
	s_or_b32 exec_lo, exec_lo, s5
	v_mov_b32_e32 v5, 0
	ds_read_b64 v[5:6], v5 offset:352
	s_waitcnt lgkmcnt(0)
	v_mul_f32_e32 v7, v2, v6
	v_mul_f32_e32 v6, v8, v6
	v_fma_f32 v7, v8, v5, -v7
	v_fmac_f32_e32 v6, v2, v5
	buffer_store_dword v7, off, s[0:3], 0 offset:352
	buffer_store_dword v6, off, s[0:3], 0 offset:356
.LBB116_191:
	s_or_b32 exec_lo, exec_lo, s4
	s_waitcnt_vscnt null, 0x0
	s_barrier
	buffer_gl0_inv
	s_clause 0x1
	buffer_load_dword v5, off, s[0:3], 0 offset:360
	buffer_load_dword v6, off, s[0:3], 0 offset:364
	s_mov_b32 s4, exec_lo
	s_waitcnt vmcnt(0)
	ds_write_b64 v4, v[5:6]
	s_waitcnt lgkmcnt(0)
	s_barrier
	buffer_gl0_inv
	v_cmpx_gt_u32_e32 45, v0
	s_cbranch_execz .LBB116_195
; %bb.192:
	v_add_nc_u32_e32 v5, -1, v0
	v_add_nc_u32_e32 v6, 0x1b0, v3
	v_mov_b32_e32 v7, v3
	v_mov_b32_e32 v2, 0
	;; [unrolled: 1-line block ×3, first 2 shown]
	s_mov_b32 s5, 0
	.p2align	6
.LBB116_193:                            ; =>This Inner Loop Header: Depth=1
	s_clause 0x1
	buffer_load_dword v11, v7, s[0:3], 0 offen offset:4
	buffer_load_dword v118, v7, s[0:3], 0 offen
	ds_read_b64 v[9:10], v6
	v_add_nc_u32_e32 v5, 1, v5
	v_add_nc_u32_e32 v6, 8, v6
	;; [unrolled: 1-line block ×3, first 2 shown]
	v_cmp_lt_u32_e32 vcc_lo, 43, v5
	s_or_b32 s5, vcc_lo, s5
	s_waitcnt vmcnt(1) lgkmcnt(0)
	v_mul_f32_e32 v119, v10, v11
	v_mul_f32_e32 v11, v9, v11
	s_waitcnt vmcnt(0)
	v_fma_f32 v9, v9, v118, -v119
	v_fmac_f32_e32 v11, v10, v118
	v_add_f32_e32 v8, v8, v9
	v_add_f32_e32 v2, v2, v11
	s_andn2_b32 exec_lo, exec_lo, s5
	s_cbranch_execnz .LBB116_193
; %bb.194:
	s_or_b32 exec_lo, exec_lo, s5
	v_mov_b32_e32 v5, 0
	ds_read_b64 v[5:6], v5 offset:360
	s_waitcnt lgkmcnt(0)
	v_mul_f32_e32 v7, v2, v6
	v_mul_f32_e32 v6, v8, v6
	v_fma_f32 v7, v8, v5, -v7
	v_fmac_f32_e32 v6, v2, v5
	buffer_store_dword v7, off, s[0:3], 0 offset:360
	buffer_store_dword v6, off, s[0:3], 0 offset:364
.LBB116_195:
	s_or_b32 exec_lo, exec_lo, s4
	s_waitcnt_vscnt null, 0x0
	s_barrier
	buffer_gl0_inv
	s_clause 0x1
	buffer_load_dword v5, off, s[0:3], 0 offset:368
	buffer_load_dword v6, off, s[0:3], 0 offset:372
	s_mov_b32 s4, exec_lo
	s_waitcnt vmcnt(0)
	ds_write_b64 v4, v[5:6]
	s_waitcnt lgkmcnt(0)
	s_barrier
	buffer_gl0_inv
	v_cmpx_gt_u32_e32 46, v0
	s_cbranch_execz .LBB116_199
; %bb.196:
	v_add_nc_u32_e32 v5, -1, v0
	v_add_nc_u32_e32 v6, 0x1b0, v3
	v_mov_b32_e32 v7, v3
	v_mov_b32_e32 v2, 0
	;; [unrolled: 1-line block ×3, first 2 shown]
	s_mov_b32 s5, 0
	.p2align	6
.LBB116_197:                            ; =>This Inner Loop Header: Depth=1
	s_clause 0x1
	buffer_load_dword v11, v7, s[0:3], 0 offen offset:4
	buffer_load_dword v118, v7, s[0:3], 0 offen
	ds_read_b64 v[9:10], v6
	v_add_nc_u32_e32 v5, 1, v5
	v_add_nc_u32_e32 v6, 8, v6
	;; [unrolled: 1-line block ×3, first 2 shown]
	v_cmp_lt_u32_e32 vcc_lo, 44, v5
	s_or_b32 s5, vcc_lo, s5
	s_waitcnt vmcnt(1) lgkmcnt(0)
	v_mul_f32_e32 v119, v10, v11
	v_mul_f32_e32 v11, v9, v11
	s_waitcnt vmcnt(0)
	v_fma_f32 v9, v9, v118, -v119
	v_fmac_f32_e32 v11, v10, v118
	v_add_f32_e32 v8, v8, v9
	v_add_f32_e32 v2, v2, v11
	s_andn2_b32 exec_lo, exec_lo, s5
	s_cbranch_execnz .LBB116_197
; %bb.198:
	s_or_b32 exec_lo, exec_lo, s5
	v_mov_b32_e32 v5, 0
	ds_read_b64 v[5:6], v5 offset:368
	s_waitcnt lgkmcnt(0)
	v_mul_f32_e32 v7, v2, v6
	v_mul_f32_e32 v6, v8, v6
	v_fma_f32 v7, v8, v5, -v7
	v_fmac_f32_e32 v6, v2, v5
	buffer_store_dword v7, off, s[0:3], 0 offset:368
	buffer_store_dword v6, off, s[0:3], 0 offset:372
.LBB116_199:
	s_or_b32 exec_lo, exec_lo, s4
	s_waitcnt_vscnt null, 0x0
	s_barrier
	buffer_gl0_inv
	s_clause 0x1
	buffer_load_dword v5, off, s[0:3], 0 offset:376
	buffer_load_dword v6, off, s[0:3], 0 offset:380
	s_mov_b32 s4, exec_lo
	s_waitcnt vmcnt(0)
	ds_write_b64 v4, v[5:6]
	s_waitcnt lgkmcnt(0)
	s_barrier
	buffer_gl0_inv
	v_cmpx_gt_u32_e32 47, v0
	s_cbranch_execz .LBB116_203
; %bb.200:
	v_add_nc_u32_e32 v5, -1, v0
	v_add_nc_u32_e32 v6, 0x1b0, v3
	v_mov_b32_e32 v7, v3
	v_mov_b32_e32 v2, 0
	;; [unrolled: 1-line block ×3, first 2 shown]
	s_mov_b32 s5, 0
	.p2align	6
.LBB116_201:                            ; =>This Inner Loop Header: Depth=1
	s_clause 0x1
	buffer_load_dword v11, v7, s[0:3], 0 offen offset:4
	buffer_load_dword v118, v7, s[0:3], 0 offen
	ds_read_b64 v[9:10], v6
	v_add_nc_u32_e32 v5, 1, v5
	v_add_nc_u32_e32 v6, 8, v6
	;; [unrolled: 1-line block ×3, first 2 shown]
	v_cmp_lt_u32_e32 vcc_lo, 45, v5
	s_or_b32 s5, vcc_lo, s5
	s_waitcnt vmcnt(1) lgkmcnt(0)
	v_mul_f32_e32 v119, v10, v11
	v_mul_f32_e32 v11, v9, v11
	s_waitcnt vmcnt(0)
	v_fma_f32 v9, v9, v118, -v119
	v_fmac_f32_e32 v11, v10, v118
	v_add_f32_e32 v8, v8, v9
	v_add_f32_e32 v2, v2, v11
	s_andn2_b32 exec_lo, exec_lo, s5
	s_cbranch_execnz .LBB116_201
; %bb.202:
	s_or_b32 exec_lo, exec_lo, s5
	v_mov_b32_e32 v5, 0
	ds_read_b64 v[5:6], v5 offset:376
	s_waitcnt lgkmcnt(0)
	v_mul_f32_e32 v7, v2, v6
	v_mul_f32_e32 v6, v8, v6
	v_fma_f32 v7, v8, v5, -v7
	v_fmac_f32_e32 v6, v2, v5
	buffer_store_dword v7, off, s[0:3], 0 offset:376
	buffer_store_dword v6, off, s[0:3], 0 offset:380
.LBB116_203:
	s_or_b32 exec_lo, exec_lo, s4
	s_waitcnt_vscnt null, 0x0
	s_barrier
	buffer_gl0_inv
	s_clause 0x1
	buffer_load_dword v5, off, s[0:3], 0 offset:384
	buffer_load_dword v6, off, s[0:3], 0 offset:388
	s_mov_b32 s4, exec_lo
	s_waitcnt vmcnt(0)
	ds_write_b64 v4, v[5:6]
	s_waitcnt lgkmcnt(0)
	s_barrier
	buffer_gl0_inv
	v_cmpx_gt_u32_e32 48, v0
	s_cbranch_execz .LBB116_207
; %bb.204:
	v_add_nc_u32_e32 v5, -1, v0
	v_add_nc_u32_e32 v6, 0x1b0, v3
	v_mov_b32_e32 v7, v3
	v_mov_b32_e32 v2, 0
	;; [unrolled: 1-line block ×3, first 2 shown]
	s_mov_b32 s5, 0
	.p2align	6
.LBB116_205:                            ; =>This Inner Loop Header: Depth=1
	s_clause 0x1
	buffer_load_dword v11, v7, s[0:3], 0 offen offset:4
	buffer_load_dword v118, v7, s[0:3], 0 offen
	ds_read_b64 v[9:10], v6
	v_add_nc_u32_e32 v5, 1, v5
	v_add_nc_u32_e32 v6, 8, v6
	;; [unrolled: 1-line block ×3, first 2 shown]
	v_cmp_lt_u32_e32 vcc_lo, 46, v5
	s_or_b32 s5, vcc_lo, s5
	s_waitcnt vmcnt(1) lgkmcnt(0)
	v_mul_f32_e32 v119, v10, v11
	v_mul_f32_e32 v11, v9, v11
	s_waitcnt vmcnt(0)
	v_fma_f32 v9, v9, v118, -v119
	v_fmac_f32_e32 v11, v10, v118
	v_add_f32_e32 v8, v8, v9
	v_add_f32_e32 v2, v2, v11
	s_andn2_b32 exec_lo, exec_lo, s5
	s_cbranch_execnz .LBB116_205
; %bb.206:
	s_or_b32 exec_lo, exec_lo, s5
	v_mov_b32_e32 v5, 0
	ds_read_b64 v[5:6], v5 offset:384
	s_waitcnt lgkmcnt(0)
	v_mul_f32_e32 v7, v2, v6
	v_mul_f32_e32 v6, v8, v6
	v_fma_f32 v7, v8, v5, -v7
	v_fmac_f32_e32 v6, v2, v5
	buffer_store_dword v7, off, s[0:3], 0 offset:384
	buffer_store_dword v6, off, s[0:3], 0 offset:388
.LBB116_207:
	s_or_b32 exec_lo, exec_lo, s4
	s_waitcnt_vscnt null, 0x0
	s_barrier
	buffer_gl0_inv
	s_clause 0x1
	buffer_load_dword v5, off, s[0:3], 0 offset:392
	buffer_load_dword v6, off, s[0:3], 0 offset:396
	s_mov_b32 s4, exec_lo
	s_waitcnt vmcnt(0)
	ds_write_b64 v4, v[5:6]
	s_waitcnt lgkmcnt(0)
	s_barrier
	buffer_gl0_inv
	v_cmpx_gt_u32_e32 49, v0
	s_cbranch_execz .LBB116_211
; %bb.208:
	v_add_nc_u32_e32 v5, -1, v0
	v_add_nc_u32_e32 v6, 0x1b0, v3
	v_mov_b32_e32 v7, v3
	v_mov_b32_e32 v2, 0
	;; [unrolled: 1-line block ×3, first 2 shown]
	s_mov_b32 s5, 0
	.p2align	6
.LBB116_209:                            ; =>This Inner Loop Header: Depth=1
	s_clause 0x1
	buffer_load_dword v11, v7, s[0:3], 0 offen offset:4
	buffer_load_dword v118, v7, s[0:3], 0 offen
	ds_read_b64 v[9:10], v6
	v_add_nc_u32_e32 v5, 1, v5
	v_add_nc_u32_e32 v6, 8, v6
	;; [unrolled: 1-line block ×3, first 2 shown]
	v_cmp_lt_u32_e32 vcc_lo, 47, v5
	s_or_b32 s5, vcc_lo, s5
	s_waitcnt vmcnt(1) lgkmcnt(0)
	v_mul_f32_e32 v119, v10, v11
	v_mul_f32_e32 v11, v9, v11
	s_waitcnt vmcnt(0)
	v_fma_f32 v9, v9, v118, -v119
	v_fmac_f32_e32 v11, v10, v118
	v_add_f32_e32 v8, v8, v9
	v_add_f32_e32 v2, v2, v11
	s_andn2_b32 exec_lo, exec_lo, s5
	s_cbranch_execnz .LBB116_209
; %bb.210:
	s_or_b32 exec_lo, exec_lo, s5
	v_mov_b32_e32 v5, 0
	ds_read_b64 v[5:6], v5 offset:392
	s_waitcnt lgkmcnt(0)
	v_mul_f32_e32 v7, v2, v6
	v_mul_f32_e32 v6, v8, v6
	v_fma_f32 v7, v8, v5, -v7
	v_fmac_f32_e32 v6, v2, v5
	buffer_store_dword v7, off, s[0:3], 0 offset:392
	buffer_store_dword v6, off, s[0:3], 0 offset:396
.LBB116_211:
	s_or_b32 exec_lo, exec_lo, s4
	s_waitcnt_vscnt null, 0x0
	s_barrier
	buffer_gl0_inv
	s_clause 0x1
	buffer_load_dword v5, off, s[0:3], 0 offset:400
	buffer_load_dword v6, off, s[0:3], 0 offset:404
	s_mov_b32 s4, exec_lo
	s_waitcnt vmcnt(0)
	ds_write_b64 v4, v[5:6]
	s_waitcnt lgkmcnt(0)
	s_barrier
	buffer_gl0_inv
	v_cmpx_gt_u32_e32 50, v0
	s_cbranch_execz .LBB116_215
; %bb.212:
	v_add_nc_u32_e32 v5, -1, v0
	v_add_nc_u32_e32 v6, 0x1b0, v3
	v_mov_b32_e32 v7, v3
	v_mov_b32_e32 v2, 0
	;; [unrolled: 1-line block ×3, first 2 shown]
	s_mov_b32 s5, 0
	.p2align	6
.LBB116_213:                            ; =>This Inner Loop Header: Depth=1
	s_clause 0x1
	buffer_load_dword v11, v7, s[0:3], 0 offen offset:4
	buffer_load_dword v118, v7, s[0:3], 0 offen
	ds_read_b64 v[9:10], v6
	v_add_nc_u32_e32 v5, 1, v5
	v_add_nc_u32_e32 v6, 8, v6
	;; [unrolled: 1-line block ×3, first 2 shown]
	v_cmp_lt_u32_e32 vcc_lo, 48, v5
	s_or_b32 s5, vcc_lo, s5
	s_waitcnt vmcnt(1) lgkmcnt(0)
	v_mul_f32_e32 v119, v10, v11
	v_mul_f32_e32 v11, v9, v11
	s_waitcnt vmcnt(0)
	v_fma_f32 v9, v9, v118, -v119
	v_fmac_f32_e32 v11, v10, v118
	v_add_f32_e32 v8, v8, v9
	v_add_f32_e32 v2, v2, v11
	s_andn2_b32 exec_lo, exec_lo, s5
	s_cbranch_execnz .LBB116_213
; %bb.214:
	s_or_b32 exec_lo, exec_lo, s5
	v_mov_b32_e32 v5, 0
	ds_read_b64 v[5:6], v5 offset:400
	s_waitcnt lgkmcnt(0)
	v_mul_f32_e32 v7, v2, v6
	v_mul_f32_e32 v6, v8, v6
	v_fma_f32 v7, v8, v5, -v7
	v_fmac_f32_e32 v6, v2, v5
	buffer_store_dword v7, off, s[0:3], 0 offset:400
	buffer_store_dword v6, off, s[0:3], 0 offset:404
.LBB116_215:
	s_or_b32 exec_lo, exec_lo, s4
	s_waitcnt_vscnt null, 0x0
	s_barrier
	buffer_gl0_inv
	s_clause 0x1
	buffer_load_dword v5, off, s[0:3], 0 offset:408
	buffer_load_dword v6, off, s[0:3], 0 offset:412
	s_mov_b32 s4, exec_lo
	s_waitcnt vmcnt(0)
	ds_write_b64 v4, v[5:6]
	s_waitcnt lgkmcnt(0)
	s_barrier
	buffer_gl0_inv
	v_cmpx_gt_u32_e32 51, v0
	s_cbranch_execz .LBB116_219
; %bb.216:
	v_add_nc_u32_e32 v5, -1, v0
	v_add_nc_u32_e32 v6, 0x1b0, v3
	v_mov_b32_e32 v7, v3
	v_mov_b32_e32 v2, 0
	;; [unrolled: 1-line block ×3, first 2 shown]
	s_mov_b32 s5, 0
	.p2align	6
.LBB116_217:                            ; =>This Inner Loop Header: Depth=1
	s_clause 0x1
	buffer_load_dword v11, v7, s[0:3], 0 offen offset:4
	buffer_load_dword v118, v7, s[0:3], 0 offen
	ds_read_b64 v[9:10], v6
	v_add_nc_u32_e32 v5, 1, v5
	v_add_nc_u32_e32 v6, 8, v6
	;; [unrolled: 1-line block ×3, first 2 shown]
	v_cmp_lt_u32_e32 vcc_lo, 49, v5
	s_or_b32 s5, vcc_lo, s5
	s_waitcnt vmcnt(1) lgkmcnt(0)
	v_mul_f32_e32 v119, v10, v11
	v_mul_f32_e32 v11, v9, v11
	s_waitcnt vmcnt(0)
	v_fma_f32 v9, v9, v118, -v119
	v_fmac_f32_e32 v11, v10, v118
	v_add_f32_e32 v8, v8, v9
	v_add_f32_e32 v2, v2, v11
	s_andn2_b32 exec_lo, exec_lo, s5
	s_cbranch_execnz .LBB116_217
; %bb.218:
	s_or_b32 exec_lo, exec_lo, s5
	v_mov_b32_e32 v5, 0
	ds_read_b64 v[5:6], v5 offset:408
	s_waitcnt lgkmcnt(0)
	v_mul_f32_e32 v7, v2, v6
	v_mul_f32_e32 v6, v8, v6
	v_fma_f32 v7, v8, v5, -v7
	v_fmac_f32_e32 v6, v2, v5
	buffer_store_dword v7, off, s[0:3], 0 offset:408
	buffer_store_dword v6, off, s[0:3], 0 offset:412
.LBB116_219:
	s_or_b32 exec_lo, exec_lo, s4
	s_waitcnt_vscnt null, 0x0
	s_barrier
	buffer_gl0_inv
	s_clause 0x1
	buffer_load_dword v5, off, s[0:3], 0 offset:416
	buffer_load_dword v6, off, s[0:3], 0 offset:420
	s_mov_b32 s4, exec_lo
	s_waitcnt vmcnt(0)
	ds_write_b64 v4, v[5:6]
	s_waitcnt lgkmcnt(0)
	s_barrier
	buffer_gl0_inv
	v_cmpx_ne_u32_e32 52, v0
	s_cbranch_execz .LBB116_223
; %bb.220:
	v_mov_b32_e32 v2, 0
	v_mov_b32_e32 v5, 0
	s_mov_b32 s5, 0
	.p2align	6
.LBB116_221:                            ; =>This Inner Loop Header: Depth=1
	s_clause 0x1
	buffer_load_dword v8, v3, s[0:3], 0 offen offset:4
	buffer_load_dword v9, v3, s[0:3], 0 offen
	ds_read_b64 v[6:7], v4
	v_add_nc_u32_e32 v1, 1, v1
	v_add_nc_u32_e32 v4, 8, v4
	;; [unrolled: 1-line block ×3, first 2 shown]
	v_cmp_lt_u32_e32 vcc_lo, 50, v1
	s_or_b32 s5, vcc_lo, s5
	s_waitcnt vmcnt(1) lgkmcnt(0)
	v_mul_f32_e32 v10, v7, v8
	v_mul_f32_e32 v8, v6, v8
	s_waitcnt vmcnt(0)
	v_fma_f32 v6, v6, v9, -v10
	v_fmac_f32_e32 v8, v7, v9
	v_add_f32_e32 v5, v5, v6
	v_add_f32_e32 v2, v2, v8
	s_andn2_b32 exec_lo, exec_lo, s5
	s_cbranch_execnz .LBB116_221
; %bb.222:
	s_or_b32 exec_lo, exec_lo, s5
	v_mov_b32_e32 v1, 0
	ds_read_b64 v[3:4], v1 offset:416
	s_waitcnt lgkmcnt(0)
	v_mul_f32_e32 v1, v2, v4
	v_mul_f32_e32 v4, v5, v4
	v_fma_f32 v1, v5, v3, -v1
	v_fmac_f32_e32 v4, v2, v3
	buffer_store_dword v1, off, s[0:3], 0 offset:416
	buffer_store_dword v4, off, s[0:3], 0 offset:420
.LBB116_223:
	s_or_b32 exec_lo, exec_lo, s4
	s_mov_b32 s5, -1
	s_waitcnt_vscnt null, 0x0
	s_barrier
	buffer_gl0_inv
.LBB116_224:
	s_and_b32 vcc_lo, exec_lo, s5
	s_cbranch_vccz .LBB116_226
; %bb.225:
	s_lshl_b64 s[4:5], s[6:7], 2
	v_mov_b32_e32 v1, 0
	s_add_u32 s4, s10, s4
	s_addc_u32 s5, s11, s5
	global_load_dword v1, v1, s[4:5]
	s_waitcnt vmcnt(0)
	v_cmp_ne_u32_e32 vcc_lo, 0, v1
	s_cbranch_vccz .LBB116_227
.LBB116_226:
	s_endpgm
.LBB116_227:
	v_lshl_add_u32 v9, v0, 3, 0x1b0
	s_mov_b32 s4, exec_lo
	v_cmpx_eq_u32_e32 52, v0
	s_cbranch_execz .LBB116_229
; %bb.228:
	s_clause 0x1
	buffer_load_dword v1, off, s[0:3], 0 offset:408
	buffer_load_dword v2, off, s[0:3], 0 offset:412
	v_mov_b32_e32 v3, 0
	buffer_store_dword v3, off, s[0:3], 0 offset:408
	buffer_store_dword v3, off, s[0:3], 0 offset:412
	s_waitcnt vmcnt(0)
	ds_write_b64 v9, v[1:2]
.LBB116_229:
	s_or_b32 exec_lo, exec_lo, s4
	s_waitcnt lgkmcnt(0)
	s_waitcnt_vscnt null, 0x0
	s_barrier
	buffer_gl0_inv
	s_clause 0x3
	buffer_load_dword v4, off, s[0:3], 0 offset:420
	buffer_load_dword v5, off, s[0:3], 0 offset:416
	;; [unrolled: 1-line block ×4, first 2 shown]
	v_mov_b32_e32 v1, 0
	s_mov_b32 s4, exec_lo
	ds_read_b64 v[2:3], v1 offset:848
	s_waitcnt vmcnt(3) lgkmcnt(0)
	v_mul_f32_e32 v8, v3, v4
	v_mul_f32_e32 v4, v2, v4
	s_waitcnt vmcnt(2)
	v_fma_f32 v2, v2, v5, -v8
	v_fmac_f32_e32 v4, v3, v5
	v_add_f32_e32 v2, 0, v2
	v_add_f32_e32 v3, 0, v4
	s_waitcnt vmcnt(1)
	v_sub_f32_e32 v2, v6, v2
	s_waitcnt vmcnt(0)
	v_sub_f32_e32 v3, v7, v3
	buffer_store_dword v2, off, s[0:3], 0 offset:408
	buffer_store_dword v3, off, s[0:3], 0 offset:412
	v_cmpx_lt_u32_e32 50, v0
	s_cbranch_execz .LBB116_231
; %bb.230:
	s_clause 0x1
	buffer_load_dword v2, off, s[0:3], 0 offset:400
	buffer_load_dword v3, off, s[0:3], 0 offset:404
	buffer_store_dword v1, off, s[0:3], 0 offset:400
	buffer_store_dword v1, off, s[0:3], 0 offset:404
	s_waitcnt vmcnt(0)
	ds_write_b64 v9, v[2:3]
.LBB116_231:
	s_or_b32 exec_lo, exec_lo, s4
	s_waitcnt lgkmcnt(0)
	s_waitcnt_vscnt null, 0x0
	s_barrier
	buffer_gl0_inv
	s_clause 0x5
	buffer_load_dword v5, off, s[0:3], 0 offset:412
	buffer_load_dword v6, off, s[0:3], 0 offset:420
	;; [unrolled: 1-line block ×6, first 2 shown]
	ds_read2_b64 v[1:4], v1 offset0:105 offset1:106
	s_mov_b32 s4, exec_lo
	s_waitcnt vmcnt(5) lgkmcnt(0)
	v_mul_f32_e32 v118, v2, v5
	v_mul_f32_e32 v5, v1, v5
	s_waitcnt vmcnt(4)
	v_mul_f32_e32 v119, v3, v6
	v_mul_f32_e32 v6, v4, v6
	s_waitcnt vmcnt(3)
	v_fma_f32 v1, v1, v7, -v118
	v_fmac_f32_e32 v5, v2, v7
	s_waitcnt vmcnt(2)
	v_fmac_f32_e32 v119, v4, v8
	v_fma_f32 v2, v3, v8, -v6
	v_add_f32_e32 v1, 0, v1
	v_add_f32_e32 v3, 0, v5
	;; [unrolled: 1-line block ×4, first 2 shown]
	s_waitcnt vmcnt(1)
	v_sub_f32_e32 v1, v10, v1
	s_waitcnt vmcnt(0)
	v_sub_f32_e32 v2, v11, v2
	buffer_store_dword v1, off, s[0:3], 0 offset:400
	buffer_store_dword v2, off, s[0:3], 0 offset:404
	v_cmpx_lt_u32_e32 49, v0
	s_cbranch_execz .LBB116_233
; %bb.232:
	s_clause 0x1
	buffer_load_dword v1, off, s[0:3], 0 offset:392
	buffer_load_dword v2, off, s[0:3], 0 offset:396
	v_mov_b32_e32 v3, 0
	buffer_store_dword v3, off, s[0:3], 0 offset:392
	buffer_store_dword v3, off, s[0:3], 0 offset:396
	s_waitcnt vmcnt(0)
	ds_write_b64 v9, v[1:2]
.LBB116_233:
	s_or_b32 exec_lo, exec_lo, s4
	s_waitcnt lgkmcnt(0)
	s_waitcnt_vscnt null, 0x0
	s_barrier
	buffer_gl0_inv
	s_clause 0x7
	buffer_load_dword v8, off, s[0:3], 0 offset:404
	buffer_load_dword v10, off, s[0:3], 0 offset:412
	;; [unrolled: 1-line block ×8, first 2 shown]
	v_mov_b32_e32 v1, 0
	ds_read_b128 v[2:5], v1 offset:832
	ds_read_b64 v[6:7], v1 offset:848
	s_mov_b32 s4, exec_lo
	s_waitcnt vmcnt(7) lgkmcnt(1)
	v_mul_f32_e32 v123, v3, v8
	v_mul_f32_e32 v8, v2, v8
	s_waitcnt vmcnt(6)
	v_mul_f32_e32 v124, v4, v10
	v_mul_f32_e32 v10, v5, v10
	s_waitcnt vmcnt(5) lgkmcnt(0)
	v_mul_f32_e32 v125, v6, v11
	s_waitcnt vmcnt(4)
	v_fma_f32 v2, v2, v118, -v123
	v_fmac_f32_e32 v8, v3, v118
	v_mul_f32_e32 v3, v7, v11
	s_waitcnt vmcnt(3)
	v_fma_f32 v4, v4, v119, -v10
	v_fmac_f32_e32 v124, v5, v119
	v_add_f32_e32 v2, 0, v2
	v_add_f32_e32 v5, 0, v8
	s_waitcnt vmcnt(2)
	v_fma_f32 v3, v6, v120, -v3
	v_fmac_f32_e32 v125, v7, v120
	v_add_f32_e32 v2, v2, v4
	v_add_f32_e32 v4, v5, v124
	;; [unrolled: 1-line block ×4, first 2 shown]
	s_waitcnt vmcnt(1)
	v_sub_f32_e32 v2, v121, v2
	s_waitcnt vmcnt(0)
	v_sub_f32_e32 v3, v122, v3
	buffer_store_dword v2, off, s[0:3], 0 offset:392
	buffer_store_dword v3, off, s[0:3], 0 offset:396
	v_cmpx_lt_u32_e32 48, v0
	s_cbranch_execz .LBB116_235
; %bb.234:
	s_clause 0x1
	buffer_load_dword v2, off, s[0:3], 0 offset:384
	buffer_load_dword v3, off, s[0:3], 0 offset:388
	buffer_store_dword v1, off, s[0:3], 0 offset:384
	buffer_store_dword v1, off, s[0:3], 0 offset:388
	s_waitcnt vmcnt(0)
	ds_write_b64 v9, v[2:3]
.LBB116_235:
	s_or_b32 exec_lo, exec_lo, s4
	s_waitcnt lgkmcnt(0)
	s_waitcnt_vscnt null, 0x0
	s_barrier
	buffer_gl0_inv
	s_clause 0x9
	buffer_load_dword v6, off, s[0:3], 0 offset:396
	buffer_load_dword v7, off, s[0:3], 0 offset:404
	;; [unrolled: 1-line block ×10, first 2 shown]
	ds_read2_b64 v[2:5], v1 offset0:103 offset1:104
	ds_read2_b64 v[118:121], v1 offset0:105 offset1:106
	s_mov_b32 s4, exec_lo
	s_waitcnt vmcnt(9) lgkmcnt(1)
	v_mul_f32_e32 v1, v2, v6
	v_mul_f32_e32 v6, v3, v6
	s_waitcnt vmcnt(8)
	v_mul_f32_e32 v127, v4, v7
	v_mul_f32_e32 v7, v5, v7
	s_waitcnt vmcnt(7) lgkmcnt(0)
	v_mul_f32_e32 v128, v118, v8
	s_waitcnt vmcnt(5)
	v_fmac_f32_e32 v1, v3, v11
	v_fma_f32 v2, v2, v11, -v6
	v_mul_f32_e32 v3, v119, v8
	s_waitcnt vmcnt(4)
	v_fma_f32 v4, v4, v122, -v7
	v_fmac_f32_e32 v127, v5, v122
	v_add_f32_e32 v1, 0, v1
	v_add_f32_e32 v2, 0, v2
	v_mul_f32_e32 v5, v121, v10
	s_waitcnt vmcnt(3)
	v_fma_f32 v3, v118, v123, -v3
	v_mul_f32_e32 v129, v120, v10
	v_fmac_f32_e32 v128, v119, v123
	v_add_f32_e32 v2, v2, v4
	v_add_f32_e32 v1, v1, v127
	s_waitcnt vmcnt(2)
	v_fma_f32 v4, v120, v124, -v5
	v_fmac_f32_e32 v129, v121, v124
	v_add_f32_e32 v2, v2, v3
	v_add_f32_e32 v1, v1, v128
	;; [unrolled: 1-line block ×4, first 2 shown]
	s_waitcnt vmcnt(1)
	v_sub_f32_e32 v2, v125, v2
	s_waitcnt vmcnt(0)
	v_sub_f32_e32 v1, v126, v1
	buffer_store_dword v2, off, s[0:3], 0 offset:384
	buffer_store_dword v1, off, s[0:3], 0 offset:388
	v_cmpx_lt_u32_e32 47, v0
	s_cbranch_execz .LBB116_237
; %bb.236:
	s_clause 0x1
	buffer_load_dword v1, off, s[0:3], 0 offset:376
	buffer_load_dword v2, off, s[0:3], 0 offset:380
	v_mov_b32_e32 v3, 0
	buffer_store_dword v3, off, s[0:3], 0 offset:376
	buffer_store_dword v3, off, s[0:3], 0 offset:380
	s_waitcnt vmcnt(0)
	ds_write_b64 v9, v[1:2]
.LBB116_237:
	s_or_b32 exec_lo, exec_lo, s4
	s_waitcnt lgkmcnt(0)
	s_waitcnt_vscnt null, 0x0
	s_barrier
	buffer_gl0_inv
	s_clause 0xb
	buffer_load_dword v8, off, s[0:3], 0 offset:388
	buffer_load_dword v10, off, s[0:3], 0 offset:396
	;; [unrolled: 1-line block ×12, first 2 shown]
	v_mov_b32_e32 v1, 0
	ds_read_b128 v[2:5], v1 offset:816
	ds_read_b128 v[118:121], v1 offset:832
	ds_read_b64 v[6:7], v1 offset:848
	s_mov_b32 s4, exec_lo
	s_waitcnt vmcnt(11) lgkmcnt(2)
	v_mul_f32_e32 v131, v2, v8
	v_mul_f32_e32 v8, v3, v8
	s_waitcnt vmcnt(10)
	v_mul_f32_e32 v132, v4, v10
	v_mul_f32_e32 v10, v5, v10
	s_waitcnt vmcnt(9) lgkmcnt(1)
	v_mul_f32_e32 v133, v118, v11
	s_waitcnt vmcnt(6)
	v_fmac_f32_e32 v131, v3, v124
	v_fma_f32 v2, v2, v124, -v8
	v_mul_f32_e32 v3, v119, v11
	s_waitcnt vmcnt(5)
	v_fma_f32 v4, v4, v125, -v10
	v_fmac_f32_e32 v132, v5, v125
	v_add_f32_e32 v5, 0, v131
	v_add_f32_e32 v2, 0, v2
	v_mul_f32_e32 v8, v121, v122
	s_waitcnt vmcnt(4)
	v_fma_f32 v3, v118, v126, -v3
	v_mul_f32_e32 v134, v120, v122
	v_fmac_f32_e32 v133, v119, v126
	v_add_f32_e32 v2, v2, v4
	v_add_f32_e32 v4, v5, v132
	s_waitcnt lgkmcnt(0)
	v_mul_f32_e32 v5, v7, v123
	s_waitcnt vmcnt(3)
	v_fma_f32 v8, v120, v127, -v8
	v_mul_f32_e32 v135, v6, v123
	v_add_f32_e32 v2, v2, v3
	v_fmac_f32_e32 v134, v121, v127
	v_add_f32_e32 v3, v4, v133
	s_waitcnt vmcnt(2)
	v_fma_f32 v4, v6, v128, -v5
	v_fmac_f32_e32 v135, v7, v128
	v_add_f32_e32 v2, v2, v8
	v_add_f32_e32 v3, v3, v134
	;; [unrolled: 1-line block ×4, first 2 shown]
	s_waitcnt vmcnt(1)
	v_sub_f32_e32 v2, v129, v2
	s_waitcnt vmcnt(0)
	v_sub_f32_e32 v3, v130, v3
	buffer_store_dword v2, off, s[0:3], 0 offset:376
	buffer_store_dword v3, off, s[0:3], 0 offset:380
	v_cmpx_lt_u32_e32 46, v0
	s_cbranch_execz .LBB116_239
; %bb.238:
	s_clause 0x1
	buffer_load_dword v2, off, s[0:3], 0 offset:368
	buffer_load_dword v3, off, s[0:3], 0 offset:372
	buffer_store_dword v1, off, s[0:3], 0 offset:368
	buffer_store_dword v1, off, s[0:3], 0 offset:372
	s_waitcnt vmcnt(0)
	ds_write_b64 v9, v[2:3]
.LBB116_239:
	s_or_b32 exec_lo, exec_lo, s4
	s_waitcnt lgkmcnt(0)
	s_waitcnt_vscnt null, 0x0
	s_barrier
	buffer_gl0_inv
	s_clause 0xd
	buffer_load_dword v6, off, s[0:3], 0 offset:380
	buffer_load_dword v7, off, s[0:3], 0 offset:388
	;; [unrolled: 1-line block ×14, first 2 shown]
	ds_read2_b64 v[2:5], v1 offset0:101 offset1:102
	ds_read2_b64 v[118:121], v1 offset0:103 offset1:104
	;; [unrolled: 1-line block ×3, first 2 shown]
	s_mov_b32 s4, exec_lo
	s_waitcnt vmcnt(13) lgkmcnt(2)
	v_mul_f32_e32 v1, v2, v6
	v_mul_f32_e32 v6, v3, v6
	s_waitcnt vmcnt(12)
	v_mul_f32_e32 v135, v4, v7
	v_mul_f32_e32 v7, v5, v7
	s_waitcnt vmcnt(11) lgkmcnt(1)
	v_mul_f32_e32 v136, v118, v8
	s_waitcnt vmcnt(10)
	v_mul_f32_e32 v137, v120, v10
	s_waitcnt vmcnt(7)
	v_fma_f32 v2, v2, v127, -v6
	v_fmac_f32_e32 v1, v3, v127
	v_mul_f32_e32 v3, v119, v8
	s_waitcnt vmcnt(6)
	v_fma_f32 v4, v4, v128, -v7
	v_fmac_f32_e32 v135, v5, v128
	v_add_f32_e32 v2, 0, v2
	v_add_f32_e32 v1, 0, v1
	v_mul_f32_e32 v5, v121, v10
	s_waitcnt vmcnt(5)
	v_fma_f32 v3, v118, v129, -v3
	v_fmac_f32_e32 v136, v119, v129
	v_add_f32_e32 v2, v2, v4
	v_add_f32_e32 v1, v1, v135
	s_waitcnt lgkmcnt(0)
	v_mul_f32_e32 v4, v123, v11
	s_waitcnt vmcnt(4)
	v_fma_f32 v5, v120, v130, -v5
	v_mul_f32_e32 v138, v122, v11
	v_add_f32_e32 v2, v2, v3
	v_fmac_f32_e32 v137, v121, v130
	v_add_f32_e32 v1, v1, v136
	v_mul_f32_e32 v3, v125, v126
	s_waitcnt vmcnt(3)
	v_fma_f32 v4, v122, v131, -v4
	v_add_f32_e32 v2, v2, v5
	v_mul_f32_e32 v139, v124, v126
	v_fmac_f32_e32 v138, v123, v131
	v_add_f32_e32 v1, v1, v137
	s_waitcnt vmcnt(2)
	v_fma_f32 v3, v124, v132, -v3
	v_add_f32_e32 v2, v2, v4
	v_fmac_f32_e32 v139, v125, v132
	v_add_f32_e32 v1, v1, v138
	v_add_f32_e32 v2, v2, v3
	;; [unrolled: 1-line block ×3, first 2 shown]
	s_waitcnt vmcnt(1)
	v_sub_f32_e32 v2, v133, v2
	s_waitcnt vmcnt(0)
	v_sub_f32_e32 v1, v134, v1
	buffer_store_dword v2, off, s[0:3], 0 offset:368
	buffer_store_dword v1, off, s[0:3], 0 offset:372
	v_cmpx_lt_u32_e32 45, v0
	s_cbranch_execz .LBB116_241
; %bb.240:
	s_clause 0x1
	buffer_load_dword v1, off, s[0:3], 0 offset:360
	buffer_load_dword v2, off, s[0:3], 0 offset:364
	v_mov_b32_e32 v3, 0
	buffer_store_dword v3, off, s[0:3], 0 offset:360
	buffer_store_dword v3, off, s[0:3], 0 offset:364
	s_waitcnt vmcnt(0)
	ds_write_b64 v9, v[1:2]
.LBB116_241:
	s_or_b32 exec_lo, exec_lo, s4
	s_waitcnt lgkmcnt(0)
	s_waitcnt_vscnt null, 0x0
	s_barrier
	buffer_gl0_inv
	s_clause 0xf
	buffer_load_dword v8, off, s[0:3], 0 offset:372
	buffer_load_dword v10, off, s[0:3], 0 offset:380
	;; [unrolled: 1-line block ×16, first 2 shown]
	v_mov_b32_e32 v1, 0
	ds_read_b128 v[2:5], v1 offset:800
	ds_read_b128 v[118:121], v1 offset:816
	;; [unrolled: 1-line block ×3, first 2 shown]
	ds_read_b64 v[6:7], v1 offset:848
	s_mov_b32 s4, exec_lo
	s_waitcnt vmcnt(15) lgkmcnt(3)
	v_mul_f32_e32 v139, v2, v8
	v_mul_f32_e32 v8, v3, v8
	s_waitcnt vmcnt(14)
	v_mul_f32_e32 v140, v4, v10
	v_mul_f32_e32 v10, v5, v10
	s_waitcnt vmcnt(13) lgkmcnt(2)
	v_mul_f32_e32 v141, v118, v11
	s_waitcnt vmcnt(12)
	v_mul_f32_e32 v142, v120, v126
	s_waitcnt vmcnt(11) lgkmcnt(1)
	v_mul_f32_e32 v143, v122, v127
	s_waitcnt vmcnt(8)
	v_fma_f32 v2, v2, v130, -v8
	v_fmac_f32_e32 v139, v3, v130
	v_mul_f32_e32 v3, v119, v11
	s_waitcnt vmcnt(7)
	v_fma_f32 v4, v4, v131, -v10
	v_fmac_f32_e32 v140, v5, v131
	v_add_f32_e32 v2, 0, v2
	v_add_f32_e32 v5, 0, v139
	v_mul_f32_e32 v8, v121, v126
	s_waitcnt vmcnt(6)
	v_fma_f32 v3, v118, v132, -v3
	v_fmac_f32_e32 v141, v119, v132
	v_add_f32_e32 v2, v2, v4
	v_add_f32_e32 v4, v5, v140
	;; [unrolled: 6-line block ×3, first 2 shown]
	v_mul_f32_e32 v4, v125, v128
	s_waitcnt vmcnt(4)
	v_fma_f32 v5, v122, v134, -v5
	v_mul_f32_e32 v144, v124, v128
	v_add_f32_e32 v2, v2, v8
	v_fmac_f32_e32 v143, v123, v134
	v_add_f32_e32 v3, v3, v142
	s_waitcnt lgkmcnt(0)
	v_mul_f32_e32 v8, v7, v129
	s_waitcnt vmcnt(3)
	v_fma_f32 v4, v124, v135, -v4
	v_add_f32_e32 v2, v2, v5
	v_mul_f32_e32 v145, v6, v129
	v_fmac_f32_e32 v144, v125, v135
	v_add_f32_e32 v3, v3, v143
	s_waitcnt vmcnt(2)
	v_fma_f32 v5, v6, v136, -v8
	v_add_f32_e32 v2, v2, v4
	v_fmac_f32_e32 v145, v7, v136
	v_add_f32_e32 v3, v3, v144
	v_add_f32_e32 v2, v2, v5
	;; [unrolled: 1-line block ×3, first 2 shown]
	s_waitcnt vmcnt(1)
	v_sub_f32_e32 v2, v137, v2
	s_waitcnt vmcnt(0)
	v_sub_f32_e32 v3, v138, v3
	buffer_store_dword v2, off, s[0:3], 0 offset:360
	buffer_store_dword v3, off, s[0:3], 0 offset:364
	v_cmpx_lt_u32_e32 44, v0
	s_cbranch_execz .LBB116_243
; %bb.242:
	s_clause 0x1
	buffer_load_dword v2, off, s[0:3], 0 offset:352
	buffer_load_dword v3, off, s[0:3], 0 offset:356
	buffer_store_dword v1, off, s[0:3], 0 offset:352
	buffer_store_dword v1, off, s[0:3], 0 offset:356
	s_waitcnt vmcnt(0)
	ds_write_b64 v9, v[2:3]
.LBB116_243:
	s_or_b32 exec_lo, exec_lo, s4
	s_waitcnt lgkmcnt(0)
	s_waitcnt_vscnt null, 0x0
	s_barrier
	buffer_gl0_inv
	s_clause 0x11
	buffer_load_dword v6, off, s[0:3], 0 offset:364
	buffer_load_dword v7, off, s[0:3], 0 offset:372
	;; [unrolled: 1-line block ×18, first 2 shown]
	ds_read2_b64 v[2:5], v1 offset0:99 offset1:100
	ds_read2_b64 v[118:121], v1 offset0:101 offset1:102
	;; [unrolled: 1-line block ×4, first 2 shown]
	s_mov_b32 s4, exec_lo
	s_waitcnt vmcnt(17) lgkmcnt(3)
	v_mul_f32_e32 v1, v2, v6
	v_mul_f32_e32 v6, v3, v6
	s_waitcnt vmcnt(16)
	v_mul_f32_e32 v143, v4, v7
	v_mul_f32_e32 v7, v5, v7
	s_waitcnt vmcnt(15) lgkmcnt(2)
	v_mul_f32_e32 v144, v118, v8
	s_waitcnt vmcnt(14)
	v_mul_f32_e32 v145, v120, v10
	s_waitcnt vmcnt(13) lgkmcnt(1)
	v_mul_f32_e32 v146, v122, v11
	s_waitcnt vmcnt(12)
	v_mul_f32_e32 v147, v124, v130
	s_waitcnt vmcnt(9)
	v_fma_f32 v2, v2, v133, -v6
	v_fmac_f32_e32 v1, v3, v133
	v_mul_f32_e32 v3, v119, v8
	s_waitcnt vmcnt(8)
	v_fma_f32 v4, v4, v134, -v7
	v_fmac_f32_e32 v143, v5, v134
	v_add_f32_e32 v2, 0, v2
	v_add_f32_e32 v1, 0, v1
	v_mul_f32_e32 v5, v121, v10
	s_waitcnt vmcnt(7)
	v_fma_f32 v3, v118, v135, -v3
	v_fmac_f32_e32 v144, v119, v135
	v_add_f32_e32 v2, v2, v4
	v_add_f32_e32 v1, v1, v143
	;; [unrolled: 6-line block ×4, first 2 shown]
	s_waitcnt lgkmcnt(0)
	v_mul_f32_e32 v5, v127, v131
	s_waitcnt vmcnt(4)
	v_fma_f32 v3, v124, v138, -v3
	v_mul_f32_e32 v148, v126, v131
	v_add_f32_e32 v2, v2, v4
	v_fmac_f32_e32 v147, v125, v138
	v_add_f32_e32 v1, v1, v146
	v_mul_f32_e32 v4, v129, v132
	s_waitcnt vmcnt(3)
	v_fma_f32 v5, v126, v139, -v5
	v_add_f32_e32 v2, v2, v3
	v_mul_f32_e32 v149, v128, v132
	v_fmac_f32_e32 v148, v127, v139
	v_add_f32_e32 v1, v1, v147
	s_waitcnt vmcnt(2)
	v_fma_f32 v3, v128, v140, -v4
	v_add_f32_e32 v2, v2, v5
	v_fmac_f32_e32 v149, v129, v140
	v_add_f32_e32 v1, v1, v148
	v_add_f32_e32 v2, v2, v3
	v_add_f32_e32 v1, v1, v149
	s_waitcnt vmcnt(1)
	v_sub_f32_e32 v2, v141, v2
	s_waitcnt vmcnt(0)
	v_sub_f32_e32 v1, v142, v1
	buffer_store_dword v2, off, s[0:3], 0 offset:352
	buffer_store_dword v1, off, s[0:3], 0 offset:356
	v_cmpx_lt_u32_e32 43, v0
	s_cbranch_execz .LBB116_245
; %bb.244:
	s_clause 0x1
	buffer_load_dword v1, off, s[0:3], 0 offset:344
	buffer_load_dword v2, off, s[0:3], 0 offset:348
	v_mov_b32_e32 v3, 0
	buffer_store_dword v3, off, s[0:3], 0 offset:344
	buffer_store_dword v3, off, s[0:3], 0 offset:348
	s_waitcnt vmcnt(0)
	ds_write_b64 v9, v[1:2]
.LBB116_245:
	s_or_b32 exec_lo, exec_lo, s4
	s_waitcnt lgkmcnt(0)
	s_waitcnt_vscnt null, 0x0
	s_barrier
	buffer_gl0_inv
	s_clause 0x13
	buffer_load_dword v8, off, s[0:3], 0 offset:356
	buffer_load_dword v10, off, s[0:3], 0 offset:364
	;; [unrolled: 1-line block ×20, first 2 shown]
	v_mov_b32_e32 v1, 0
	ds_read_b128 v[2:5], v1 offset:784
	ds_read_b128 v[118:121], v1 offset:800
	ds_read_b128 v[122:125], v1 offset:816
	ds_read_b128 v[126:129], v1 offset:832
	ds_read_b64 v[6:7], v1 offset:848
	s_mov_b32 s4, exec_lo
	s_waitcnt vmcnt(19) lgkmcnt(4)
	v_mul_f32_e32 v147, v2, v8
	v_mul_f32_e32 v8, v3, v8
	s_waitcnt vmcnt(18)
	v_mul_f32_e32 v148, v4, v10
	v_mul_f32_e32 v10, v5, v10
	s_waitcnt vmcnt(17) lgkmcnt(3)
	v_mul_f32_e32 v149, v118, v11
	s_waitcnt vmcnt(16)
	v_mul_f32_e32 v150, v120, v130
	s_waitcnt vmcnt(15) lgkmcnt(2)
	v_mul_f32_e32 v151, v122, v131
	s_waitcnt vmcnt(14)
	;; [unrolled: 4-line block ×3, first 2 shown]
	v_fma_f32 v2, v2, v136, -v8
	v_fmac_f32_e32 v147, v3, v136
	v_mul_f32_e32 v3, v119, v11
	s_waitcnt vmcnt(9)
	v_fma_f32 v4, v4, v137, -v10
	v_fmac_f32_e32 v148, v5, v137
	v_add_f32_e32 v2, 0, v2
	v_add_f32_e32 v5, 0, v147
	v_mul_f32_e32 v8, v121, v130
	s_waitcnt vmcnt(8)
	v_fma_f32 v3, v118, v138, -v3
	v_fmac_f32_e32 v149, v119, v138
	v_add_f32_e32 v2, v2, v4
	v_add_f32_e32 v4, v5, v148
	;; [unrolled: 6-line block ×5, first 2 shown]
	v_mul_f32_e32 v5, v129, v134
	s_waitcnt vmcnt(4)
	v_fma_f32 v8, v126, v142, -v8
	v_mul_f32_e32 v154, v128, v134
	v_add_f32_e32 v2, v2, v4
	v_fmac_f32_e32 v153, v127, v142
	v_add_f32_e32 v3, v3, v152
	s_waitcnt lgkmcnt(0)
	v_mul_f32_e32 v4, v7, v135
	s_waitcnt vmcnt(3)
	v_fma_f32 v5, v128, v143, -v5
	v_add_f32_e32 v2, v2, v8
	v_mul_f32_e32 v155, v6, v135
	v_fmac_f32_e32 v154, v129, v143
	v_add_f32_e32 v3, v3, v153
	s_waitcnt vmcnt(2)
	v_fma_f32 v4, v6, v144, -v4
	v_add_f32_e32 v2, v2, v5
	v_fmac_f32_e32 v155, v7, v144
	v_add_f32_e32 v3, v3, v154
	v_add_f32_e32 v2, v2, v4
	;; [unrolled: 1-line block ×3, first 2 shown]
	s_waitcnt vmcnt(1)
	v_sub_f32_e32 v2, v145, v2
	s_waitcnt vmcnt(0)
	v_sub_f32_e32 v3, v146, v3
	buffer_store_dword v2, off, s[0:3], 0 offset:344
	buffer_store_dword v3, off, s[0:3], 0 offset:348
	v_cmpx_lt_u32_e32 42, v0
	s_cbranch_execz .LBB116_247
; %bb.246:
	s_clause 0x1
	buffer_load_dword v2, off, s[0:3], 0 offset:336
	buffer_load_dword v3, off, s[0:3], 0 offset:340
	buffer_store_dword v1, off, s[0:3], 0 offset:336
	buffer_store_dword v1, off, s[0:3], 0 offset:340
	s_waitcnt vmcnt(0)
	ds_write_b64 v9, v[2:3]
.LBB116_247:
	s_or_b32 exec_lo, exec_lo, s4
	s_waitcnt lgkmcnt(0)
	s_waitcnt_vscnt null, 0x0
	s_barrier
	buffer_gl0_inv
	s_clause 0x15
	buffer_load_dword v6, off, s[0:3], 0 offset:348
	buffer_load_dword v7, off, s[0:3], 0 offset:356
	;; [unrolled: 1-line block ×22, first 2 shown]
	ds_read2_b64 v[2:5], v1 offset0:97 offset1:98
	ds_read2_b64 v[118:121], v1 offset0:99 offset1:100
	;; [unrolled: 1-line block ×5, first 2 shown]
	s_mov_b32 s4, exec_lo
	s_waitcnt vmcnt(21) lgkmcnt(4)
	v_mul_f32_e32 v1, v2, v6
	v_mul_f32_e32 v6, v3, v6
	s_waitcnt vmcnt(20)
	v_mul_f32_e32 v151, v4, v7
	v_mul_f32_e32 v7, v5, v7
	s_waitcnt vmcnt(19) lgkmcnt(3)
	v_mul_f32_e32 v152, v118, v8
	s_waitcnt vmcnt(18)
	v_mul_f32_e32 v153, v120, v10
	s_waitcnt vmcnt(17) lgkmcnt(2)
	v_mul_f32_e32 v154, v122, v11
	s_waitcnt vmcnt(16)
	;; [unrolled: 4-line block ×3, first 2 shown]
	v_mul_f32_e32 v157, v128, v136
	s_waitcnt vmcnt(11)
	v_fma_f32 v2, v2, v139, -v6
	v_fmac_f32_e32 v1, v3, v139
	v_mul_f32_e32 v3, v119, v8
	s_waitcnt vmcnt(10)
	v_fma_f32 v4, v4, v140, -v7
	v_fmac_f32_e32 v151, v5, v140
	v_add_f32_e32 v2, 0, v2
	v_add_f32_e32 v1, 0, v1
	v_mul_f32_e32 v5, v121, v10
	s_waitcnt vmcnt(9)
	v_fma_f32 v3, v118, v141, -v3
	v_fmac_f32_e32 v152, v119, v141
	v_add_f32_e32 v2, v2, v4
	v_add_f32_e32 v1, v1, v151
	;; [unrolled: 6-line block ×6, first 2 shown]
	s_waitcnt lgkmcnt(0)
	v_mul_f32_e32 v3, v131, v137
	s_waitcnt vmcnt(4)
	v_fma_f32 v4, v128, v146, -v4
	v_mul_f32_e32 v158, v130, v137
	v_add_f32_e32 v2, v2, v5
	v_fmac_f32_e32 v157, v129, v146
	v_add_f32_e32 v1, v1, v156
	v_mul_f32_e32 v5, v133, v138
	s_waitcnt vmcnt(3)
	v_fma_f32 v3, v130, v147, -v3
	v_add_f32_e32 v2, v2, v4
	v_mul_f32_e32 v159, v132, v138
	v_fmac_f32_e32 v158, v131, v147
	v_add_f32_e32 v1, v1, v157
	s_waitcnt vmcnt(2)
	v_fma_f32 v4, v132, v148, -v5
	v_add_f32_e32 v2, v2, v3
	v_fmac_f32_e32 v159, v133, v148
	v_add_f32_e32 v1, v1, v158
	v_add_f32_e32 v2, v2, v4
	v_add_f32_e32 v1, v1, v159
	s_waitcnt vmcnt(1)
	v_sub_f32_e32 v2, v149, v2
	s_waitcnt vmcnt(0)
	v_sub_f32_e32 v1, v150, v1
	buffer_store_dword v2, off, s[0:3], 0 offset:336
	buffer_store_dword v1, off, s[0:3], 0 offset:340
	v_cmpx_lt_u32_e32 41, v0
	s_cbranch_execz .LBB116_249
; %bb.248:
	s_clause 0x1
	buffer_load_dword v1, off, s[0:3], 0 offset:328
	buffer_load_dword v2, off, s[0:3], 0 offset:332
	v_mov_b32_e32 v3, 0
	buffer_store_dword v3, off, s[0:3], 0 offset:328
	buffer_store_dword v3, off, s[0:3], 0 offset:332
	s_waitcnt vmcnt(0)
	ds_write_b64 v9, v[1:2]
.LBB116_249:
	s_or_b32 exec_lo, exec_lo, s4
	s_waitcnt lgkmcnt(0)
	s_waitcnt_vscnt null, 0x0
	s_barrier
	buffer_gl0_inv
	s_clause 0x17
	buffer_load_dword v8, off, s[0:3], 0 offset:340
	buffer_load_dword v10, off, s[0:3], 0 offset:348
	;; [unrolled: 1-line block ×24, first 2 shown]
	v_mov_b32_e32 v1, 0
	ds_read_b128 v[2:5], v1 offset:768
	ds_read_b128 v[118:121], v1 offset:784
	;; [unrolled: 1-line block ×5, first 2 shown]
	ds_read_b64 v[6:7], v1 offset:848
	s_mov_b32 s4, exec_lo
	s_waitcnt vmcnt(23) lgkmcnt(5)
	v_mul_f32_e32 v155, v2, v8
	v_mul_f32_e32 v8, v3, v8
	s_waitcnt vmcnt(22)
	v_mul_f32_e32 v156, v4, v10
	v_mul_f32_e32 v10, v5, v10
	s_waitcnt vmcnt(21) lgkmcnt(4)
	v_mul_f32_e32 v157, v118, v11
	s_waitcnt vmcnt(20)
	v_mul_f32_e32 v158, v120, v134
	s_waitcnt vmcnt(19) lgkmcnt(3)
	v_mul_f32_e32 v159, v122, v135
	s_waitcnt vmcnt(18)
	;; [unrolled: 4-line block ×4, first 2 shown]
	v_fma_f32 v2, v2, v142, -v8
	v_fmac_f32_e32 v155, v3, v142
	v_mul_f32_e32 v3, v119, v11
	s_waitcnt vmcnt(11)
	v_fma_f32 v4, v4, v143, -v10
	v_fmac_f32_e32 v156, v5, v143
	v_add_f32_e32 v2, 0, v2
	v_add_f32_e32 v5, 0, v155
	v_mul_f32_e32 v8, v121, v134
	s_waitcnt vmcnt(10)
	v_fma_f32 v3, v118, v144, -v3
	v_fmac_f32_e32 v157, v119, v144
	v_add_f32_e32 v2, v2, v4
	v_add_f32_e32 v4, v5, v156
	;; [unrolled: 6-line block ×7, first 2 shown]
	v_mul_f32_e32 v8, v133, v140
	s_waitcnt vmcnt(4)
	v_fma_f32 v4, v130, v150, -v4
	v_mul_f32_e32 v164, v132, v140
	v_add_f32_e32 v2, v2, v5
	v_fmac_f32_e32 v163, v131, v150
	v_add_f32_e32 v3, v3, v162
	s_waitcnt lgkmcnt(0)
	v_mul_f32_e32 v5, v7, v141
	s_waitcnt vmcnt(3)
	v_fma_f32 v8, v132, v151, -v8
	v_add_f32_e32 v2, v2, v4
	v_mul_f32_e32 v165, v6, v141
	v_fmac_f32_e32 v164, v133, v151
	v_add_f32_e32 v3, v3, v163
	s_waitcnt vmcnt(2)
	v_fma_f32 v4, v6, v152, -v5
	v_add_f32_e32 v2, v2, v8
	v_fmac_f32_e32 v165, v7, v152
	v_add_f32_e32 v3, v3, v164
	v_add_f32_e32 v2, v2, v4
	;; [unrolled: 1-line block ×3, first 2 shown]
	s_waitcnt vmcnt(1)
	v_sub_f32_e32 v2, v153, v2
	s_waitcnt vmcnt(0)
	v_sub_f32_e32 v3, v154, v3
	buffer_store_dword v2, off, s[0:3], 0 offset:328
	buffer_store_dword v3, off, s[0:3], 0 offset:332
	v_cmpx_lt_u32_e32 40, v0
	s_cbranch_execz .LBB116_251
; %bb.250:
	s_clause 0x1
	buffer_load_dword v2, off, s[0:3], 0 offset:320
	buffer_load_dword v3, off, s[0:3], 0 offset:324
	buffer_store_dword v1, off, s[0:3], 0 offset:320
	buffer_store_dword v1, off, s[0:3], 0 offset:324
	s_waitcnt vmcnt(0)
	ds_write_b64 v9, v[2:3]
.LBB116_251:
	s_or_b32 exec_lo, exec_lo, s4
	s_waitcnt lgkmcnt(0)
	s_waitcnt_vscnt null, 0x0
	s_barrier
	buffer_gl0_inv
	s_clause 0x19
	buffer_load_dword v6, off, s[0:3], 0 offset:332
	buffer_load_dword v7, off, s[0:3], 0 offset:340
	;; [unrolled: 1-line block ×26, first 2 shown]
	ds_read2_b64 v[2:5], v1 offset0:95 offset1:96
	ds_read2_b64 v[118:121], v1 offset0:97 offset1:98
	;; [unrolled: 1-line block ×6, first 2 shown]
	s_mov_b32 s4, exec_lo
	s_waitcnt vmcnt(25) lgkmcnt(5)
	v_mul_f32_e32 v1, v2, v6
	v_mul_f32_e32 v6, v3, v6
	s_waitcnt vmcnt(24)
	v_mul_f32_e32 v159, v4, v7
	v_mul_f32_e32 v7, v5, v7
	s_waitcnt vmcnt(23) lgkmcnt(4)
	v_mul_f32_e32 v160, v118, v8
	s_waitcnt vmcnt(22)
	v_mul_f32_e32 v161, v120, v10
	s_waitcnt vmcnt(21) lgkmcnt(3)
	v_mul_f32_e32 v162, v122, v11
	s_waitcnt vmcnt(20)
	;; [unrolled: 4-line block ×4, first 2 shown]
	v_mul_f32_e32 v167, v132, v142
	s_waitcnt vmcnt(13)
	v_fma_f32 v2, v2, v145, -v6
	v_fmac_f32_e32 v1, v3, v145
	v_mul_f32_e32 v3, v119, v8
	s_waitcnt vmcnt(12)
	v_fma_f32 v4, v4, v146, -v7
	v_fmac_f32_e32 v159, v5, v146
	v_add_f32_e32 v2, 0, v2
	v_add_f32_e32 v1, 0, v1
	v_mul_f32_e32 v5, v121, v10
	s_waitcnt vmcnt(11)
	v_fma_f32 v3, v118, v147, -v3
	v_fmac_f32_e32 v160, v119, v147
	v_add_f32_e32 v2, v2, v4
	v_add_f32_e32 v1, v1, v159
	;; [unrolled: 6-line block ×8, first 2 shown]
	s_waitcnt lgkmcnt(0)
	v_mul_f32_e32 v4, v135, v143
	s_waitcnt vmcnt(4)
	v_fma_f32 v5, v132, v154, -v5
	v_mul_f32_e32 v168, v134, v143
	v_add_f32_e32 v2, v2, v3
	v_fmac_f32_e32 v167, v133, v154
	v_add_f32_e32 v1, v1, v166
	v_mul_f32_e32 v3, v137, v144
	s_waitcnt vmcnt(3)
	v_fma_f32 v4, v134, v155, -v4
	v_add_f32_e32 v2, v2, v5
	v_mul_f32_e32 v169, v136, v144
	v_fmac_f32_e32 v168, v135, v155
	v_add_f32_e32 v1, v1, v167
	s_waitcnt vmcnt(2)
	v_fma_f32 v3, v136, v156, -v3
	v_add_f32_e32 v2, v2, v4
	v_fmac_f32_e32 v169, v137, v156
	v_add_f32_e32 v1, v1, v168
	v_add_f32_e32 v2, v2, v3
	v_add_f32_e32 v1, v1, v169
	s_waitcnt vmcnt(1)
	v_sub_f32_e32 v2, v157, v2
	s_waitcnt vmcnt(0)
	v_sub_f32_e32 v1, v158, v1
	buffer_store_dword v2, off, s[0:3], 0 offset:320
	buffer_store_dword v1, off, s[0:3], 0 offset:324
	v_cmpx_lt_u32_e32 39, v0
	s_cbranch_execz .LBB116_253
; %bb.252:
	s_clause 0x1
	buffer_load_dword v1, off, s[0:3], 0 offset:312
	buffer_load_dword v2, off, s[0:3], 0 offset:316
	v_mov_b32_e32 v3, 0
	buffer_store_dword v3, off, s[0:3], 0 offset:312
	buffer_store_dword v3, off, s[0:3], 0 offset:316
	s_waitcnt vmcnt(0)
	ds_write_b64 v9, v[1:2]
.LBB116_253:
	s_or_b32 exec_lo, exec_lo, s4
	s_waitcnt lgkmcnt(0)
	s_waitcnt_vscnt null, 0x0
	s_barrier
	buffer_gl0_inv
	s_clause 0x1b
	buffer_load_dword v8, off, s[0:3], 0 offset:324
	buffer_load_dword v10, off, s[0:3], 0 offset:332
	;; [unrolled: 1-line block ×28, first 2 shown]
	v_mov_b32_e32 v1, 0
	ds_read_b128 v[2:5], v1 offset:752
	ds_read_b128 v[118:121], v1 offset:768
	;; [unrolled: 1-line block ×6, first 2 shown]
	ds_read_b64 v[6:7], v1 offset:848
	s_mov_b32 s4, exec_lo
	s_waitcnt vmcnt(27) lgkmcnt(6)
	v_mul_f32_e32 v163, v2, v8
	v_mul_f32_e32 v8, v3, v8
	s_waitcnt vmcnt(26)
	v_mul_f32_e32 v164, v4, v10
	v_mul_f32_e32 v10, v5, v10
	s_waitcnt vmcnt(25) lgkmcnt(5)
	v_mul_f32_e32 v165, v118, v11
	s_waitcnt vmcnt(24)
	v_mul_f32_e32 v166, v120, v138
	s_waitcnt vmcnt(23) lgkmcnt(4)
	v_mul_f32_e32 v167, v122, v139
	s_waitcnt vmcnt(22)
	;; [unrolled: 4-line block ×5, first 2 shown]
	v_fma_f32 v2, v2, v148, -v8
	v_fmac_f32_e32 v163, v3, v148
	v_mul_f32_e32 v3, v119, v11
	s_waitcnt vmcnt(13)
	v_fma_f32 v4, v4, v149, -v10
	v_fmac_f32_e32 v164, v5, v149
	v_add_f32_e32 v2, 0, v2
	v_add_f32_e32 v5, 0, v163
	v_mul_f32_e32 v8, v121, v138
	s_waitcnt vmcnt(12)
	v_fma_f32 v3, v118, v150, -v3
	v_fmac_f32_e32 v165, v119, v150
	v_add_f32_e32 v2, v2, v4
	v_add_f32_e32 v4, v5, v164
	;; [unrolled: 6-line block ×9, first 2 shown]
	v_mul_f32_e32 v4, v137, v146
	s_waitcnt vmcnt(4)
	v_fma_f32 v5, v134, v158, -v5
	v_mul_f32_e32 v174, v136, v146
	v_add_f32_e32 v2, v2, v8
	v_fmac_f32_e32 v173, v135, v158
	v_add_f32_e32 v3, v3, v172
	s_waitcnt lgkmcnt(0)
	v_mul_f32_e32 v8, v7, v147
	s_waitcnt vmcnt(3)
	v_fma_f32 v4, v136, v159, -v4
	v_add_f32_e32 v2, v2, v5
	v_mul_f32_e32 v175, v6, v147
	v_fmac_f32_e32 v174, v137, v159
	v_add_f32_e32 v3, v3, v173
	s_waitcnt vmcnt(2)
	v_fma_f32 v5, v6, v160, -v8
	v_add_f32_e32 v2, v2, v4
	v_fmac_f32_e32 v175, v7, v160
	v_add_f32_e32 v3, v3, v174
	v_add_f32_e32 v2, v2, v5
	;; [unrolled: 1-line block ×3, first 2 shown]
	s_waitcnt vmcnt(1)
	v_sub_f32_e32 v2, v161, v2
	s_waitcnt vmcnt(0)
	v_sub_f32_e32 v3, v162, v3
	buffer_store_dword v2, off, s[0:3], 0 offset:312
	buffer_store_dword v3, off, s[0:3], 0 offset:316
	v_cmpx_lt_u32_e32 38, v0
	s_cbranch_execz .LBB116_255
; %bb.254:
	s_clause 0x1
	buffer_load_dword v2, off, s[0:3], 0 offset:304
	buffer_load_dword v3, off, s[0:3], 0 offset:308
	buffer_store_dword v1, off, s[0:3], 0 offset:304
	buffer_store_dword v1, off, s[0:3], 0 offset:308
	s_waitcnt vmcnt(0)
	ds_write_b64 v9, v[2:3]
.LBB116_255:
	s_or_b32 exec_lo, exec_lo, s4
	s_waitcnt lgkmcnt(0)
	s_waitcnt_vscnt null, 0x0
	s_barrier
	buffer_gl0_inv
	s_clause 0x1d
	buffer_load_dword v6, off, s[0:3], 0 offset:316
	buffer_load_dword v7, off, s[0:3], 0 offset:324
	;; [unrolled: 1-line block ×30, first 2 shown]
	ds_read2_b64 v[2:5], v1 offset0:93 offset1:94
	ds_read2_b64 v[118:121], v1 offset0:95 offset1:96
	;; [unrolled: 1-line block ×7, first 2 shown]
	s_mov_b32 s4, exec_lo
	s_waitcnt vmcnt(29) lgkmcnt(6)
	v_mul_f32_e32 v1, v2, v6
	v_mul_f32_e32 v6, v3, v6
	s_waitcnt vmcnt(28)
	v_mul_f32_e32 v167, v4, v7
	v_mul_f32_e32 v7, v5, v7
	s_waitcnt vmcnt(27) lgkmcnt(5)
	v_mul_f32_e32 v168, v118, v8
	s_waitcnt vmcnt(26)
	v_mul_f32_e32 v169, v120, v10
	s_waitcnt vmcnt(25) lgkmcnt(4)
	v_mul_f32_e32 v170, v122, v11
	s_waitcnt vmcnt(24)
	;; [unrolled: 4-line block ×5, first 2 shown]
	v_mul_f32_e32 v177, v136, v148
	s_waitcnt vmcnt(15)
	v_fma_f32 v2, v2, v151, -v6
	v_fmac_f32_e32 v1, v3, v151
	v_mul_f32_e32 v3, v119, v8
	s_waitcnt vmcnt(14)
	v_fma_f32 v4, v4, v152, -v7
	v_fmac_f32_e32 v167, v5, v152
	v_add_f32_e32 v2, 0, v2
	v_add_f32_e32 v1, 0, v1
	v_mul_f32_e32 v5, v121, v10
	s_waitcnt vmcnt(13)
	v_fma_f32 v3, v118, v153, -v3
	v_fmac_f32_e32 v168, v119, v153
	v_add_f32_e32 v2, v2, v4
	v_add_f32_e32 v1, v1, v167
	;; [unrolled: 6-line block ×10, first 2 shown]
	s_waitcnt lgkmcnt(0)
	v_mul_f32_e32 v5, v139, v149
	s_waitcnt vmcnt(4)
	v_fma_f32 v3, v136, v162, -v3
	v_mul_f32_e32 v178, v138, v149
	v_add_f32_e32 v2, v2, v4
	v_fmac_f32_e32 v177, v137, v162
	v_add_f32_e32 v1, v1, v176
	v_mul_f32_e32 v4, v141, v150
	s_waitcnt vmcnt(3)
	v_fma_f32 v5, v138, v163, -v5
	v_add_f32_e32 v2, v2, v3
	v_mul_f32_e32 v179, v140, v150
	v_fmac_f32_e32 v178, v139, v163
	v_add_f32_e32 v1, v1, v177
	s_waitcnt vmcnt(2)
	v_fma_f32 v3, v140, v164, -v4
	v_add_f32_e32 v2, v2, v5
	v_fmac_f32_e32 v179, v141, v164
	v_add_f32_e32 v1, v1, v178
	v_add_f32_e32 v2, v2, v3
	;; [unrolled: 1-line block ×3, first 2 shown]
	s_waitcnt vmcnt(1)
	v_sub_f32_e32 v2, v165, v2
	s_waitcnt vmcnt(0)
	v_sub_f32_e32 v1, v166, v1
	buffer_store_dword v2, off, s[0:3], 0 offset:304
	buffer_store_dword v1, off, s[0:3], 0 offset:308
	v_cmpx_lt_u32_e32 37, v0
	s_cbranch_execz .LBB116_257
; %bb.256:
	s_clause 0x1
	buffer_load_dword v1, off, s[0:3], 0 offset:296
	buffer_load_dword v2, off, s[0:3], 0 offset:300
	v_mov_b32_e32 v3, 0
	buffer_store_dword v3, off, s[0:3], 0 offset:296
	buffer_store_dword v3, off, s[0:3], 0 offset:300
	s_waitcnt vmcnt(0)
	ds_write_b64 v9, v[1:2]
.LBB116_257:
	s_or_b32 exec_lo, exec_lo, s4
	s_waitcnt lgkmcnt(0)
	s_waitcnt_vscnt null, 0x0
	s_barrier
	buffer_gl0_inv
	s_clause 0x1f
	buffer_load_dword v8, off, s[0:3], 0 offset:308
	buffer_load_dword v10, off, s[0:3], 0 offset:316
	;; [unrolled: 1-line block ×32, first 2 shown]
	v_mov_b32_e32 v1, 0
	ds_read_b128 v[2:5], v1 offset:736
	ds_read_b128 v[118:121], v1 offset:752
	;; [unrolled: 1-line block ×7, first 2 shown]
	ds_read_b64 v[6:7], v1 offset:848
	s_mov_b32 s4, exec_lo
	s_waitcnt vmcnt(31) lgkmcnt(7)
	v_mul_f32_e32 v171, v2, v8
	v_mul_f32_e32 v8, v3, v8
	s_waitcnt vmcnt(30)
	v_mul_f32_e32 v172, v4, v10
	v_mul_f32_e32 v10, v5, v10
	s_waitcnt vmcnt(29) lgkmcnt(6)
	v_mul_f32_e32 v173, v118, v11
	s_waitcnt vmcnt(28)
	v_mul_f32_e32 v174, v120, v142
	s_waitcnt vmcnt(27) lgkmcnt(5)
	v_mul_f32_e32 v175, v122, v143
	s_waitcnt vmcnt(26)
	;; [unrolled: 4-line block ×6, first 2 shown]
	v_fma_f32 v2, v2, v154, -v8
	v_fmac_f32_e32 v171, v3, v154
	v_mul_f32_e32 v3, v119, v11
	s_waitcnt vmcnt(15)
	v_fma_f32 v4, v4, v155, -v10
	v_fmac_f32_e32 v172, v5, v155
	v_add_f32_e32 v2, 0, v2
	v_add_f32_e32 v5, 0, v171
	v_mul_f32_e32 v8, v121, v142
	s_waitcnt vmcnt(14)
	v_fma_f32 v3, v118, v156, -v3
	v_fmac_f32_e32 v173, v119, v156
	v_add_f32_e32 v2, v2, v4
	v_add_f32_e32 v4, v5, v172
	;; [unrolled: 6-line block ×11, first 2 shown]
	v_mul_f32_e32 v5, v141, v152
	s_waitcnt vmcnt(4)
	v_fma_f32 v8, v138, v166, -v8
	v_mul_f32_e32 v184, v140, v152
	v_add_f32_e32 v2, v2, v4
	v_fmac_f32_e32 v183, v139, v166
	v_add_f32_e32 v3, v3, v182
	s_waitcnt lgkmcnt(0)
	v_mul_f32_e32 v4, v7, v153
	s_waitcnt vmcnt(3)
	v_fma_f32 v5, v140, v167, -v5
	v_add_f32_e32 v2, v2, v8
	v_mul_f32_e32 v185, v6, v153
	v_fmac_f32_e32 v184, v141, v167
	v_add_f32_e32 v3, v3, v183
	s_waitcnt vmcnt(2)
	v_fma_f32 v4, v6, v168, -v4
	v_add_f32_e32 v2, v2, v5
	v_fmac_f32_e32 v185, v7, v168
	v_add_f32_e32 v3, v3, v184
	v_add_f32_e32 v2, v2, v4
	;; [unrolled: 1-line block ×3, first 2 shown]
	s_waitcnt vmcnt(1)
	v_sub_f32_e32 v2, v169, v2
	s_waitcnt vmcnt(0)
	v_sub_f32_e32 v3, v170, v3
	buffer_store_dword v2, off, s[0:3], 0 offset:296
	buffer_store_dword v3, off, s[0:3], 0 offset:300
	v_cmpx_lt_u32_e32 36, v0
	s_cbranch_execz .LBB116_259
; %bb.258:
	s_clause 0x1
	buffer_load_dword v2, off, s[0:3], 0 offset:288
	buffer_load_dword v3, off, s[0:3], 0 offset:292
	buffer_store_dword v1, off, s[0:3], 0 offset:288
	buffer_store_dword v1, off, s[0:3], 0 offset:292
	s_waitcnt vmcnt(0)
	ds_write_b64 v9, v[2:3]
.LBB116_259:
	s_or_b32 exec_lo, exec_lo, s4
	s_waitcnt lgkmcnt(0)
	s_waitcnt_vscnt null, 0x0
	s_barrier
	buffer_gl0_inv
	s_clause 0x21
	buffer_load_dword v6, off, s[0:3], 0 offset:300
	buffer_load_dword v7, off, s[0:3], 0 offset:308
	;; [unrolled: 1-line block ×34, first 2 shown]
	ds_read2_b64 v[2:5], v1 offset0:91 offset1:92
	ds_read2_b64 v[118:121], v1 offset0:93 offset1:94
	;; [unrolled: 1-line block ×8, first 2 shown]
	s_mov_b32 s4, exec_lo
	s_waitcnt vmcnt(33) lgkmcnt(7)
	v_mul_f32_e32 v1, v2, v6
	v_mul_f32_e32 v6, v3, v6
	s_waitcnt vmcnt(32)
	v_mul_f32_e32 v175, v4, v7
	v_mul_f32_e32 v7, v5, v7
	s_waitcnt vmcnt(31) lgkmcnt(6)
	v_mul_f32_e32 v176, v118, v8
	s_waitcnt vmcnt(30)
	v_mul_f32_e32 v177, v120, v10
	s_waitcnt vmcnt(29) lgkmcnt(5)
	v_mul_f32_e32 v178, v122, v11
	s_waitcnt vmcnt(28)
	;; [unrolled: 4-line block ×6, first 2 shown]
	v_mul_f32_e32 v187, v140, v154
	s_waitcnt vmcnt(17)
	v_fma_f32 v2, v2, v157, -v6
	v_fmac_f32_e32 v1, v3, v157
	v_mul_f32_e32 v3, v119, v8
	s_waitcnt vmcnt(16)
	v_fma_f32 v4, v4, v158, -v7
	v_fmac_f32_e32 v175, v5, v158
	v_add_f32_e32 v2, 0, v2
	v_add_f32_e32 v1, 0, v1
	v_mul_f32_e32 v5, v121, v10
	s_waitcnt vmcnt(15)
	v_fma_f32 v3, v118, v159, -v3
	v_fmac_f32_e32 v176, v119, v159
	v_add_f32_e32 v2, v2, v4
	v_add_f32_e32 v1, v1, v175
	;; [unrolled: 6-line block ×12, first 2 shown]
	s_waitcnt lgkmcnt(0)
	v_mul_f32_e32 v3, v143, v155
	s_waitcnt vmcnt(4)
	v_fma_f32 v4, v140, v170, -v4
	v_mul_f32_e32 v188, v142, v155
	v_add_f32_e32 v2, v2, v5
	v_fmac_f32_e32 v187, v141, v170
	v_add_f32_e32 v1, v1, v186
	v_mul_f32_e32 v5, v145, v156
	s_waitcnt vmcnt(3)
	v_fma_f32 v3, v142, v171, -v3
	v_add_f32_e32 v2, v2, v4
	v_mul_f32_e32 v189, v144, v156
	v_fmac_f32_e32 v188, v143, v171
	v_add_f32_e32 v1, v1, v187
	s_waitcnt vmcnt(2)
	v_fma_f32 v4, v144, v172, -v5
	v_add_f32_e32 v2, v2, v3
	v_fmac_f32_e32 v189, v145, v172
	v_add_f32_e32 v1, v1, v188
	v_add_f32_e32 v2, v2, v4
	;; [unrolled: 1-line block ×3, first 2 shown]
	s_waitcnt vmcnt(1)
	v_sub_f32_e32 v2, v173, v2
	s_waitcnt vmcnt(0)
	v_sub_f32_e32 v1, v174, v1
	buffer_store_dword v2, off, s[0:3], 0 offset:288
	buffer_store_dword v1, off, s[0:3], 0 offset:292
	v_cmpx_lt_u32_e32 35, v0
	s_cbranch_execz .LBB116_261
; %bb.260:
	s_clause 0x1
	buffer_load_dword v1, off, s[0:3], 0 offset:280
	buffer_load_dword v2, off, s[0:3], 0 offset:284
	v_mov_b32_e32 v3, 0
	buffer_store_dword v3, off, s[0:3], 0 offset:280
	buffer_store_dword v3, off, s[0:3], 0 offset:284
	s_waitcnt vmcnt(0)
	ds_write_b64 v9, v[1:2]
.LBB116_261:
	s_or_b32 exec_lo, exec_lo, s4
	s_waitcnt lgkmcnt(0)
	s_waitcnt_vscnt null, 0x0
	s_barrier
	buffer_gl0_inv
	s_clause 0x23
	buffer_load_dword v8, off, s[0:3], 0 offset:292
	buffer_load_dword v10, off, s[0:3], 0 offset:300
	;; [unrolled: 1-line block ×36, first 2 shown]
	v_mov_b32_e32 v1, 0
	ds_read_b128 v[2:5], v1 offset:720
	ds_read_b128 v[118:121], v1 offset:736
	;; [unrolled: 1-line block ×8, first 2 shown]
	ds_read_b64 v[6:7], v1 offset:848
	s_mov_b32 s4, exec_lo
	s_waitcnt vmcnt(35) lgkmcnt(8)
	v_mul_f32_e32 v179, v2, v8
	v_mul_f32_e32 v8, v3, v8
	s_waitcnt vmcnt(34)
	v_mul_f32_e32 v180, v4, v10
	v_mul_f32_e32 v10, v5, v10
	s_waitcnt vmcnt(33) lgkmcnt(7)
	v_mul_f32_e32 v181, v118, v11
	s_waitcnt vmcnt(32)
	v_mul_f32_e32 v182, v120, v146
	s_waitcnt vmcnt(31) lgkmcnt(6)
	v_mul_f32_e32 v183, v122, v147
	s_waitcnt vmcnt(30)
	;; [unrolled: 4-line block ×7, first 2 shown]
	v_fma_f32 v2, v2, v160, -v8
	v_fmac_f32_e32 v179, v3, v160
	v_mul_f32_e32 v3, v119, v11
	s_waitcnt vmcnt(17)
	v_fma_f32 v4, v4, v161, -v10
	v_fmac_f32_e32 v180, v5, v161
	v_add_f32_e32 v2, 0, v2
	v_add_f32_e32 v5, 0, v179
	v_mul_f32_e32 v8, v121, v146
	s_waitcnt vmcnt(16)
	v_fma_f32 v3, v118, v162, -v3
	v_fmac_f32_e32 v181, v119, v162
	v_add_f32_e32 v2, v2, v4
	v_add_f32_e32 v4, v5, v180
	;; [unrolled: 6-line block ×13, first 2 shown]
	v_mul_f32_e32 v8, v145, v158
	s_waitcnt vmcnt(4)
	v_fma_f32 v4, v142, v174, -v4
	v_mul_f32_e32 v194, v144, v158
	v_add_f32_e32 v2, v2, v5
	v_fmac_f32_e32 v193, v143, v174
	v_add_f32_e32 v3, v3, v192
	s_waitcnt lgkmcnt(0)
	v_mul_f32_e32 v5, v7, v159
	s_waitcnt vmcnt(3)
	v_fma_f32 v8, v144, v175, -v8
	v_add_f32_e32 v2, v2, v4
	v_mul_f32_e32 v195, v6, v159
	v_fmac_f32_e32 v194, v145, v175
	v_add_f32_e32 v3, v3, v193
	s_waitcnt vmcnt(2)
	v_fma_f32 v4, v6, v176, -v5
	v_add_f32_e32 v2, v2, v8
	v_fmac_f32_e32 v195, v7, v176
	v_add_f32_e32 v3, v3, v194
	v_add_f32_e32 v2, v2, v4
	;; [unrolled: 1-line block ×3, first 2 shown]
	s_waitcnt vmcnt(1)
	v_sub_f32_e32 v2, v177, v2
	s_waitcnt vmcnt(0)
	v_sub_f32_e32 v3, v178, v3
	buffer_store_dword v2, off, s[0:3], 0 offset:280
	buffer_store_dword v3, off, s[0:3], 0 offset:284
	v_cmpx_lt_u32_e32 34, v0
	s_cbranch_execz .LBB116_263
; %bb.262:
	s_clause 0x1
	buffer_load_dword v2, off, s[0:3], 0 offset:272
	buffer_load_dword v3, off, s[0:3], 0 offset:276
	buffer_store_dword v1, off, s[0:3], 0 offset:272
	buffer_store_dword v1, off, s[0:3], 0 offset:276
	s_waitcnt vmcnt(0)
	ds_write_b64 v9, v[2:3]
.LBB116_263:
	s_or_b32 exec_lo, exec_lo, s4
	s_waitcnt lgkmcnt(0)
	s_waitcnt_vscnt null, 0x0
	s_barrier
	buffer_gl0_inv
	s_clause 0x25
	buffer_load_dword v6, off, s[0:3], 0 offset:284
	buffer_load_dword v7, off, s[0:3], 0 offset:292
	;; [unrolled: 1-line block ×38, first 2 shown]
	ds_read2_b64 v[2:5], v1 offset0:89 offset1:90
	ds_read2_b64 v[118:121], v1 offset0:91 offset1:92
	;; [unrolled: 1-line block ×9, first 2 shown]
	s_mov_b32 s4, exec_lo
	s_waitcnt vmcnt(37) lgkmcnt(8)
	v_mul_f32_e32 v1, v2, v6
	v_mul_f32_e32 v6, v3, v6
	s_waitcnt vmcnt(36)
	v_mul_f32_e32 v183, v4, v7
	v_mul_f32_e32 v7, v5, v7
	s_waitcnt vmcnt(35) lgkmcnt(7)
	v_mul_f32_e32 v184, v118, v8
	s_waitcnt vmcnt(34)
	v_mul_f32_e32 v185, v120, v10
	s_waitcnt vmcnt(33) lgkmcnt(6)
	v_mul_f32_e32 v186, v122, v11
	s_waitcnt vmcnt(32)
	;; [unrolled: 4-line block ×7, first 2 shown]
	v_mul_f32_e32 v197, v144, v160
	s_waitcnt vmcnt(19)
	v_fma_f32 v2, v2, v163, -v6
	v_fmac_f32_e32 v1, v3, v163
	v_mul_f32_e32 v3, v119, v8
	s_waitcnt vmcnt(18)
	v_fma_f32 v4, v4, v164, -v7
	v_fmac_f32_e32 v183, v5, v164
	v_add_f32_e32 v2, 0, v2
	v_add_f32_e32 v1, 0, v1
	v_mul_f32_e32 v5, v121, v10
	s_waitcnt vmcnt(17)
	v_fma_f32 v3, v118, v165, -v3
	v_fmac_f32_e32 v184, v119, v165
	v_add_f32_e32 v2, v2, v4
	v_add_f32_e32 v1, v1, v183
	;; [unrolled: 6-line block ×14, first 2 shown]
	s_waitcnt lgkmcnt(0)
	v_mul_f32_e32 v4, v147, v161
	s_waitcnt vmcnt(4)
	v_fma_f32 v5, v144, v178, -v5
	v_mul_f32_e32 v198, v146, v161
	v_add_f32_e32 v2, v2, v3
	v_fmac_f32_e32 v197, v145, v178
	v_add_f32_e32 v1, v1, v196
	v_mul_f32_e32 v3, v149, v162
	s_waitcnt vmcnt(3)
	v_fma_f32 v4, v146, v179, -v4
	v_add_f32_e32 v2, v2, v5
	v_mul_f32_e32 v199, v148, v162
	v_fmac_f32_e32 v198, v147, v179
	v_add_f32_e32 v1, v1, v197
	s_waitcnt vmcnt(2)
	v_fma_f32 v3, v148, v180, -v3
	v_add_f32_e32 v2, v2, v4
	v_fmac_f32_e32 v199, v149, v180
	v_add_f32_e32 v1, v1, v198
	v_add_f32_e32 v2, v2, v3
	;; [unrolled: 1-line block ×3, first 2 shown]
	s_waitcnt vmcnt(1)
	v_sub_f32_e32 v2, v181, v2
	s_waitcnt vmcnt(0)
	v_sub_f32_e32 v1, v182, v1
	buffer_store_dword v2, off, s[0:3], 0 offset:272
	buffer_store_dword v1, off, s[0:3], 0 offset:276
	v_cmpx_lt_u32_e32 33, v0
	s_cbranch_execz .LBB116_265
; %bb.264:
	s_clause 0x1
	buffer_load_dword v1, off, s[0:3], 0 offset:264
	buffer_load_dword v2, off, s[0:3], 0 offset:268
	v_mov_b32_e32 v3, 0
	buffer_store_dword v3, off, s[0:3], 0 offset:264
	buffer_store_dword v3, off, s[0:3], 0 offset:268
	s_waitcnt vmcnt(0)
	ds_write_b64 v9, v[1:2]
.LBB116_265:
	s_or_b32 exec_lo, exec_lo, s4
	s_waitcnt lgkmcnt(0)
	s_waitcnt_vscnt null, 0x0
	s_barrier
	buffer_gl0_inv
	s_clause 0x27
	buffer_load_dword v8, off, s[0:3], 0 offset:276
	buffer_load_dword v10, off, s[0:3], 0 offset:284
	;; [unrolled: 1-line block ×40, first 2 shown]
	v_mov_b32_e32 v1, 0
	ds_read_b128 v[2:5], v1 offset:704
	ds_read_b128 v[118:121], v1 offset:720
	;; [unrolled: 1-line block ×9, first 2 shown]
	ds_read_b64 v[6:7], v1 offset:848
	s_mov_b32 s4, exec_lo
	s_waitcnt vmcnt(39) lgkmcnt(9)
	v_mul_f32_e32 v187, v2, v8
	v_mul_f32_e32 v8, v3, v8
	s_waitcnt vmcnt(38)
	v_mul_f32_e32 v188, v4, v10
	v_mul_f32_e32 v10, v5, v10
	s_waitcnt vmcnt(37) lgkmcnt(8)
	v_mul_f32_e32 v189, v118, v11
	s_waitcnt vmcnt(36)
	v_mul_f32_e32 v190, v120, v150
	s_waitcnt vmcnt(35) lgkmcnt(7)
	v_mul_f32_e32 v191, v122, v151
	s_waitcnt vmcnt(34)
	;; [unrolled: 4-line block ×8, first 2 shown]
	v_fma_f32 v2, v2, v166, -v8
	v_fmac_f32_e32 v187, v3, v166
	v_mul_f32_e32 v3, v119, v11
	s_waitcnt vmcnt(19)
	v_fma_f32 v4, v4, v167, -v10
	v_fmac_f32_e32 v188, v5, v167
	v_add_f32_e32 v2, 0, v2
	v_add_f32_e32 v5, 0, v187
	v_mul_f32_e32 v8, v121, v150
	s_waitcnt vmcnt(18)
	v_fma_f32 v3, v118, v168, -v3
	v_fmac_f32_e32 v189, v119, v168
	v_add_f32_e32 v2, v2, v4
	v_add_f32_e32 v4, v5, v188
	;; [unrolled: 6-line block ×15, first 2 shown]
	v_mul_f32_e32 v4, v149, v164
	s_waitcnt vmcnt(4)
	v_fma_f32 v5, v146, v182, -v5
	v_mul_f32_e32 v204, v148, v164
	v_add_f32_e32 v2, v2, v8
	v_fmac_f32_e32 v203, v147, v182
	v_add_f32_e32 v3, v3, v202
	s_waitcnt lgkmcnt(0)
	v_mul_f32_e32 v8, v7, v165
	s_waitcnt vmcnt(3)
	v_fma_f32 v4, v148, v183, -v4
	v_add_f32_e32 v2, v2, v5
	v_mul_f32_e32 v205, v6, v165
	v_fmac_f32_e32 v204, v149, v183
	v_add_f32_e32 v3, v3, v203
	s_waitcnt vmcnt(2)
	v_fma_f32 v5, v6, v184, -v8
	v_add_f32_e32 v2, v2, v4
	v_fmac_f32_e32 v205, v7, v184
	v_add_f32_e32 v3, v3, v204
	v_add_f32_e32 v2, v2, v5
	;; [unrolled: 1-line block ×3, first 2 shown]
	s_waitcnt vmcnt(1)
	v_sub_f32_e32 v2, v185, v2
	s_waitcnt vmcnt(0)
	v_sub_f32_e32 v3, v186, v3
	buffer_store_dword v2, off, s[0:3], 0 offset:264
	buffer_store_dword v3, off, s[0:3], 0 offset:268
	v_cmpx_lt_u32_e32 32, v0
	s_cbranch_execz .LBB116_267
; %bb.266:
	s_clause 0x1
	buffer_load_dword v2, off, s[0:3], 0 offset:256
	buffer_load_dword v3, off, s[0:3], 0 offset:260
	buffer_store_dword v1, off, s[0:3], 0 offset:256
	buffer_store_dword v1, off, s[0:3], 0 offset:260
	s_waitcnt vmcnt(0)
	ds_write_b64 v9, v[2:3]
.LBB116_267:
	s_or_b32 exec_lo, exec_lo, s4
	s_waitcnt lgkmcnt(0)
	s_waitcnt_vscnt null, 0x0
	s_barrier
	buffer_gl0_inv
	s_clause 0x29
	buffer_load_dword v6, off, s[0:3], 0 offset:268
	buffer_load_dword v7, off, s[0:3], 0 offset:276
	;; [unrolled: 1-line block ×42, first 2 shown]
	ds_read2_b64 v[2:5], v1 offset0:87 offset1:88
	ds_read2_b64 v[118:121], v1 offset0:89 offset1:90
	;; [unrolled: 1-line block ×10, first 2 shown]
	s_mov_b32 s4, exec_lo
	s_waitcnt vmcnt(41) lgkmcnt(9)
	v_mul_f32_e32 v1, v2, v6
	v_mul_f32_e32 v6, v3, v6
	s_waitcnt vmcnt(40)
	v_mul_f32_e32 v191, v4, v7
	v_mul_f32_e32 v7, v5, v7
	s_waitcnt vmcnt(39) lgkmcnt(8)
	v_mul_f32_e32 v192, v118, v8
	s_waitcnt vmcnt(38)
	v_mul_f32_e32 v193, v120, v10
	s_waitcnt vmcnt(37) lgkmcnt(7)
	v_mul_f32_e32 v194, v122, v11
	s_waitcnt vmcnt(36)
	;; [unrolled: 4-line block ×8, first 2 shown]
	v_mul_f32_e32 v207, v148, v166
	s_waitcnt vmcnt(21)
	v_fma_f32 v2, v2, v169, -v6
	v_fmac_f32_e32 v1, v3, v169
	v_mul_f32_e32 v3, v119, v8
	s_waitcnt vmcnt(20)
	v_fma_f32 v4, v4, v170, -v7
	v_fmac_f32_e32 v191, v5, v170
	v_add_f32_e32 v2, 0, v2
	v_add_f32_e32 v1, 0, v1
	v_mul_f32_e32 v5, v121, v10
	s_waitcnt vmcnt(19)
	v_fma_f32 v3, v118, v171, -v3
	v_fmac_f32_e32 v192, v119, v171
	v_add_f32_e32 v2, v2, v4
	v_add_f32_e32 v1, v1, v191
	;; [unrolled: 6-line block ×16, first 2 shown]
	s_waitcnt lgkmcnt(0)
	v_mul_f32_e32 v5, v151, v167
	s_waitcnt vmcnt(4)
	v_fma_f32 v3, v148, v186, -v3
	v_mul_f32_e32 v208, v150, v167
	v_add_f32_e32 v2, v2, v4
	v_fmac_f32_e32 v207, v149, v186
	v_add_f32_e32 v1, v1, v206
	v_mul_f32_e32 v4, v153, v168
	s_waitcnt vmcnt(3)
	v_fma_f32 v5, v150, v187, -v5
	v_add_f32_e32 v2, v2, v3
	v_mul_f32_e32 v209, v152, v168
	v_fmac_f32_e32 v208, v151, v187
	v_add_f32_e32 v1, v1, v207
	s_waitcnt vmcnt(2)
	v_fma_f32 v3, v152, v188, -v4
	v_add_f32_e32 v2, v2, v5
	v_fmac_f32_e32 v209, v153, v188
	v_add_f32_e32 v1, v1, v208
	v_add_f32_e32 v2, v2, v3
	;; [unrolled: 1-line block ×3, first 2 shown]
	s_waitcnt vmcnt(1)
	v_sub_f32_e32 v2, v189, v2
	s_waitcnt vmcnt(0)
	v_sub_f32_e32 v1, v190, v1
	buffer_store_dword v2, off, s[0:3], 0 offset:256
	buffer_store_dword v1, off, s[0:3], 0 offset:260
	v_cmpx_lt_u32_e32 31, v0
	s_cbranch_execz .LBB116_269
; %bb.268:
	s_clause 0x1
	buffer_load_dword v1, off, s[0:3], 0 offset:248
	buffer_load_dword v2, off, s[0:3], 0 offset:252
	v_mov_b32_e32 v3, 0
	buffer_store_dword v3, off, s[0:3], 0 offset:248
	buffer_store_dword v3, off, s[0:3], 0 offset:252
	s_waitcnt vmcnt(0)
	ds_write_b64 v9, v[1:2]
.LBB116_269:
	s_or_b32 exec_lo, exec_lo, s4
	s_waitcnt lgkmcnt(0)
	s_waitcnt_vscnt null, 0x0
	s_barrier
	buffer_gl0_inv
	s_clause 0x2b
	buffer_load_dword v8, off, s[0:3], 0 offset:260
	buffer_load_dword v10, off, s[0:3], 0 offset:268
	;; [unrolled: 1-line block ×44, first 2 shown]
	v_mov_b32_e32 v1, 0
	ds_read_b128 v[2:5], v1 offset:688
	ds_read_b128 v[118:121], v1 offset:704
	;; [unrolled: 1-line block ×10, first 2 shown]
	ds_read_b64 v[6:7], v1 offset:848
	s_mov_b32 s4, exec_lo
	s_waitcnt vmcnt(43) lgkmcnt(10)
	v_mul_f32_e32 v195, v2, v8
	v_mul_f32_e32 v8, v3, v8
	s_waitcnt vmcnt(42)
	v_mul_f32_e32 v196, v4, v10
	v_mul_f32_e32 v10, v5, v10
	s_waitcnt vmcnt(41) lgkmcnt(9)
	v_mul_f32_e32 v197, v118, v11
	s_waitcnt vmcnt(40)
	v_mul_f32_e32 v198, v120, v154
	s_waitcnt vmcnt(39) lgkmcnt(8)
	v_mul_f32_e32 v199, v122, v155
	s_waitcnt vmcnt(38)
	;; [unrolled: 4-line block ×9, first 2 shown]
	v_fma_f32 v2, v2, v172, -v8
	v_fmac_f32_e32 v195, v3, v172
	v_mul_f32_e32 v3, v119, v11
	s_waitcnt vmcnt(21)
	v_fma_f32 v4, v4, v173, -v10
	v_fmac_f32_e32 v196, v5, v173
	v_add_f32_e32 v2, 0, v2
	v_add_f32_e32 v5, 0, v195
	v_mul_f32_e32 v8, v121, v154
	s_waitcnt vmcnt(20)
	v_fma_f32 v3, v118, v174, -v3
	v_fmac_f32_e32 v197, v119, v174
	v_add_f32_e32 v2, v2, v4
	v_add_f32_e32 v4, v5, v196
	;; [unrolled: 6-line block ×17, first 2 shown]
	v_mul_f32_e32 v5, v153, v170
	s_waitcnt vmcnt(4)
	v_fma_f32 v8, v150, v190, -v8
	v_mul_f32_e32 v214, v152, v170
	v_add_f32_e32 v2, v2, v4
	v_fmac_f32_e32 v213, v151, v190
	v_add_f32_e32 v3, v3, v212
	s_waitcnt lgkmcnt(0)
	v_mul_f32_e32 v4, v7, v171
	s_waitcnt vmcnt(3)
	v_fma_f32 v5, v152, v191, -v5
	v_add_f32_e32 v2, v2, v8
	v_mul_f32_e32 v215, v6, v171
	v_fmac_f32_e32 v214, v153, v191
	v_add_f32_e32 v3, v3, v213
	s_waitcnt vmcnt(2)
	v_fma_f32 v4, v6, v192, -v4
	v_add_f32_e32 v2, v2, v5
	v_fmac_f32_e32 v215, v7, v192
	v_add_f32_e32 v3, v3, v214
	v_add_f32_e32 v2, v2, v4
	;; [unrolled: 1-line block ×3, first 2 shown]
	s_waitcnt vmcnt(1)
	v_sub_f32_e32 v2, v193, v2
	s_waitcnt vmcnt(0)
	v_sub_f32_e32 v3, v194, v3
	buffer_store_dword v2, off, s[0:3], 0 offset:248
	buffer_store_dword v3, off, s[0:3], 0 offset:252
	v_cmpx_lt_u32_e32 30, v0
	s_cbranch_execz .LBB116_271
; %bb.270:
	s_clause 0x1
	buffer_load_dword v2, off, s[0:3], 0 offset:240
	buffer_load_dword v3, off, s[0:3], 0 offset:244
	buffer_store_dword v1, off, s[0:3], 0 offset:240
	buffer_store_dword v1, off, s[0:3], 0 offset:244
	s_waitcnt vmcnt(0)
	ds_write_b64 v9, v[2:3]
.LBB116_271:
	s_or_b32 exec_lo, exec_lo, s4
	s_waitcnt lgkmcnt(0)
	s_waitcnt_vscnt null, 0x0
	s_barrier
	buffer_gl0_inv
	s_clause 0x2d
	buffer_load_dword v6, off, s[0:3], 0 offset:252
	buffer_load_dword v7, off, s[0:3], 0 offset:260
	;; [unrolled: 1-line block ×46, first 2 shown]
	ds_read2_b64 v[2:5], v1 offset0:85 offset1:86
	ds_read2_b64 v[118:121], v1 offset0:87 offset1:88
	;; [unrolled: 1-line block ×11, first 2 shown]
	s_mov_b32 s4, exec_lo
	s_waitcnt vmcnt(45) lgkmcnt(10)
	v_mul_f32_e32 v1, v2, v6
	v_mul_f32_e32 v6, v3, v6
	s_waitcnt vmcnt(44)
	v_mul_f32_e32 v199, v4, v7
	v_mul_f32_e32 v7, v5, v7
	s_waitcnt vmcnt(43) lgkmcnt(9)
	v_mul_f32_e32 v200, v118, v8
	s_waitcnt vmcnt(42)
	v_mul_f32_e32 v201, v120, v10
	s_waitcnt vmcnt(41) lgkmcnt(8)
	v_mul_f32_e32 v202, v122, v11
	s_waitcnt vmcnt(40)
	;; [unrolled: 4-line block ×9, first 2 shown]
	v_mul_f32_e32 v217, v152, v172
	s_waitcnt vmcnt(23)
	v_fma_f32 v2, v2, v175, -v6
	v_fmac_f32_e32 v1, v3, v175
	v_mul_f32_e32 v3, v119, v8
	s_waitcnt vmcnt(22)
	v_fma_f32 v4, v4, v176, -v7
	v_fmac_f32_e32 v199, v5, v176
	v_add_f32_e32 v2, 0, v2
	v_add_f32_e32 v1, 0, v1
	v_mul_f32_e32 v5, v121, v10
	s_waitcnt vmcnt(21)
	v_fma_f32 v3, v118, v177, -v3
	v_fmac_f32_e32 v200, v119, v177
	v_add_f32_e32 v2, v2, v4
	v_add_f32_e32 v1, v1, v199
	v_mul_f32_e32 v4, v123, v11
	s_waitcnt vmcnt(20)
	v_fma_f32 v5, v120, v178, -v5
	v_fmac_f32_e32 v201, v121, v178
	v_add_f32_e32 v2, v2, v3
	v_add_f32_e32 v1, v1, v200
	v_mul_f32_e32 v3, v125, v158
	s_waitcnt vmcnt(19)
	v_fma_f32 v4, v122, v179, -v4
	v_fmac_f32_e32 v202, v123, v179
	v_add_f32_e32 v2, v2, v5
	v_add_f32_e32 v1, v1, v201
	v_mul_f32_e32 v5, v127, v159
	s_waitcnt vmcnt(18)
	v_fma_f32 v3, v124, v180, -v3
	v_fmac_f32_e32 v203, v125, v180
	v_add_f32_e32 v2, v2, v4
	v_add_f32_e32 v1, v1, v202
	v_mul_f32_e32 v4, v129, v160
	s_waitcnt vmcnt(17)
	v_fma_f32 v5, v126, v181, -v5
	v_fmac_f32_e32 v204, v127, v181
	v_add_f32_e32 v2, v2, v3
	v_add_f32_e32 v1, v1, v203
	v_mul_f32_e32 v3, v131, v161
	s_waitcnt vmcnt(16)
	v_fma_f32 v4, v128, v182, -v4
	v_fmac_f32_e32 v205, v129, v182
	v_add_f32_e32 v2, v2, v5
	v_add_f32_e32 v1, v1, v204
	v_mul_f32_e32 v5, v133, v162
	s_waitcnt vmcnt(15)
	v_fma_f32 v3, v130, v183, -v3
	v_fmac_f32_e32 v206, v131, v183
	v_add_f32_e32 v2, v2, v4
	v_add_f32_e32 v1, v1, v205
	v_mul_f32_e32 v4, v135, v163
	s_waitcnt vmcnt(14)
	v_fma_f32 v5, v132, v184, -v5
	v_fmac_f32_e32 v207, v133, v184
	v_add_f32_e32 v2, v2, v3
	v_add_f32_e32 v1, v1, v206
	v_mul_f32_e32 v3, v137, v164
	s_waitcnt vmcnt(13)
	v_fma_f32 v4, v134, v185, -v4
	v_fmac_f32_e32 v208, v135, v185
	v_add_f32_e32 v2, v2, v5
	v_add_f32_e32 v1, v1, v207
	v_mul_f32_e32 v5, v139, v165
	s_waitcnt vmcnt(12)
	v_fma_f32 v3, v136, v186, -v3
	v_fmac_f32_e32 v209, v137, v186
	v_add_f32_e32 v2, v2, v4
	v_add_f32_e32 v1, v1, v208
	v_mul_f32_e32 v4, v141, v166
	s_waitcnt vmcnt(11)
	v_fma_f32 v5, v138, v187, -v5
	v_fmac_f32_e32 v210, v139, v187
	v_add_f32_e32 v2, v2, v3
	v_add_f32_e32 v1, v1, v209
	v_mul_f32_e32 v3, v143, v167
	s_waitcnt vmcnt(10)
	v_fma_f32 v4, v140, v188, -v4
	v_fmac_f32_e32 v211, v141, v188
	v_add_f32_e32 v2, v2, v5
	v_add_f32_e32 v1, v1, v210
	v_mul_f32_e32 v5, v145, v168
	s_waitcnt vmcnt(9)
	v_fma_f32 v3, v142, v189, -v3
	v_fmac_f32_e32 v212, v143, v189
	v_add_f32_e32 v2, v2, v4
	v_add_f32_e32 v1, v1, v211
	v_mul_f32_e32 v4, v147, v169
	s_waitcnt vmcnt(8)
	v_fma_f32 v5, v144, v190, -v5
	v_fmac_f32_e32 v213, v145, v190
	v_add_f32_e32 v2, v2, v3
	v_add_f32_e32 v1, v1, v212
	v_mul_f32_e32 v3, v149, v170
	s_waitcnt vmcnt(7)
	v_fma_f32 v4, v146, v191, -v4
	v_fmac_f32_e32 v214, v147, v191
	v_add_f32_e32 v2, v2, v5
	v_add_f32_e32 v1, v1, v213
	v_mul_f32_e32 v5, v151, v171
	s_waitcnt vmcnt(6)
	v_fma_f32 v3, v148, v192, -v3
	v_fmac_f32_e32 v215, v149, v192
	v_add_f32_e32 v2, v2, v4
	v_add_f32_e32 v1, v1, v214
	v_mul_f32_e32 v4, v153, v172
	s_waitcnt vmcnt(5)
	v_fma_f32 v5, v150, v193, -v5
	v_fmac_f32_e32 v216, v151, v193
	v_add_f32_e32 v2, v2, v3
	v_add_f32_e32 v1, v1, v215
	s_waitcnt lgkmcnt(0)
	v_mul_f32_e32 v3, v155, v173
	s_waitcnt vmcnt(4)
	v_fma_f32 v4, v152, v194, -v4
	v_mul_f32_e32 v218, v154, v173
	v_add_f32_e32 v2, v2, v5
	v_fmac_f32_e32 v217, v153, v194
	v_add_f32_e32 v1, v1, v216
	v_mul_f32_e32 v5, v157, v174
	s_waitcnt vmcnt(3)
	v_fma_f32 v3, v154, v195, -v3
	v_add_f32_e32 v2, v2, v4
	v_mul_f32_e32 v219, v156, v174
	v_fmac_f32_e32 v218, v155, v195
	v_add_f32_e32 v1, v1, v217
	s_waitcnt vmcnt(2)
	v_fma_f32 v4, v156, v196, -v5
	v_add_f32_e32 v2, v2, v3
	v_fmac_f32_e32 v219, v157, v196
	v_add_f32_e32 v1, v1, v218
	v_add_f32_e32 v2, v2, v4
	;; [unrolled: 1-line block ×3, first 2 shown]
	s_waitcnt vmcnt(1)
	v_sub_f32_e32 v2, v197, v2
	s_waitcnt vmcnt(0)
	v_sub_f32_e32 v1, v198, v1
	buffer_store_dword v2, off, s[0:3], 0 offset:240
	buffer_store_dword v1, off, s[0:3], 0 offset:244
	v_cmpx_lt_u32_e32 29, v0
	s_cbranch_execz .LBB116_273
; %bb.272:
	s_clause 0x1
	buffer_load_dword v1, off, s[0:3], 0 offset:232
	buffer_load_dword v2, off, s[0:3], 0 offset:236
	v_mov_b32_e32 v3, 0
	buffer_store_dword v3, off, s[0:3], 0 offset:232
	buffer_store_dword v3, off, s[0:3], 0 offset:236
	s_waitcnt vmcnt(0)
	ds_write_b64 v9, v[1:2]
.LBB116_273:
	s_or_b32 exec_lo, exec_lo, s4
	s_waitcnt lgkmcnt(0)
	s_waitcnt_vscnt null, 0x0
	s_barrier
	buffer_gl0_inv
	s_clause 0x2f
	buffer_load_dword v8, off, s[0:3], 0 offset:244
	buffer_load_dword v10, off, s[0:3], 0 offset:252
	;; [unrolled: 1-line block ×48, first 2 shown]
	v_mov_b32_e32 v1, 0
	ds_read_b128 v[2:5], v1 offset:672
	ds_read_b128 v[118:121], v1 offset:688
	ds_read_b128 v[122:125], v1 offset:704
	ds_read_b128 v[126:129], v1 offset:720
	ds_read_b128 v[130:133], v1 offset:736
	ds_read_b128 v[134:137], v1 offset:752
	ds_read_b128 v[138:141], v1 offset:768
	ds_read_b128 v[142:145], v1 offset:784
	ds_read_b128 v[146:149], v1 offset:800
	ds_read_b128 v[150:153], v1 offset:816
	ds_read_b128 v[154:157], v1 offset:832
	ds_read_b64 v[6:7], v1 offset:848
	s_mov_b32 s4, exec_lo
	s_waitcnt vmcnt(47) lgkmcnt(11)
	v_mul_f32_e32 v203, v2, v8
	v_mul_f32_e32 v8, v3, v8
	s_waitcnt vmcnt(46)
	v_mul_f32_e32 v204, v4, v10
	v_mul_f32_e32 v10, v5, v10
	s_waitcnt vmcnt(45) lgkmcnt(10)
	v_mul_f32_e32 v205, v118, v11
	s_waitcnt vmcnt(44)
	v_mul_f32_e32 v206, v120, v158
	s_waitcnt vmcnt(43) lgkmcnt(9)
	v_mul_f32_e32 v207, v122, v159
	s_waitcnt vmcnt(42)
	;; [unrolled: 4-line block ×10, first 2 shown]
	v_fma_f32 v2, v2, v178, -v8
	v_fmac_f32_e32 v203, v3, v178
	v_mul_f32_e32 v3, v119, v11
	s_waitcnt vmcnt(23)
	v_fma_f32 v4, v4, v179, -v10
	v_fmac_f32_e32 v204, v5, v179
	v_add_f32_e32 v2, 0, v2
	v_add_f32_e32 v5, 0, v203
	v_mul_f32_e32 v8, v121, v158
	s_waitcnt vmcnt(22)
	v_fma_f32 v3, v118, v180, -v3
	v_fmac_f32_e32 v205, v119, v180
	v_add_f32_e32 v2, v2, v4
	v_add_f32_e32 v4, v5, v204
	;; [unrolled: 6-line block ×19, first 2 shown]
	v_mul_f32_e32 v8, v157, v176
	s_waitcnt vmcnt(4)
	v_fma_f32 v4, v154, v198, -v4
	v_mul_f32_e32 v224, v156, v176
	v_add_f32_e32 v2, v2, v5
	v_fmac_f32_e32 v223, v155, v198
	v_add_f32_e32 v3, v3, v222
	s_waitcnt lgkmcnt(0)
	v_mul_f32_e32 v5, v7, v177
	s_waitcnt vmcnt(3)
	v_fma_f32 v8, v156, v199, -v8
	v_add_f32_e32 v2, v2, v4
	v_mul_f32_e32 v225, v6, v177
	v_fmac_f32_e32 v224, v157, v199
	v_add_f32_e32 v3, v3, v223
	s_waitcnt vmcnt(2)
	v_fma_f32 v4, v6, v200, -v5
	v_add_f32_e32 v2, v2, v8
	v_fmac_f32_e32 v225, v7, v200
	v_add_f32_e32 v3, v3, v224
	v_add_f32_e32 v2, v2, v4
	;; [unrolled: 1-line block ×3, first 2 shown]
	s_waitcnt vmcnt(1)
	v_sub_f32_e32 v2, v201, v2
	s_waitcnt vmcnt(0)
	v_sub_f32_e32 v3, v202, v3
	buffer_store_dword v2, off, s[0:3], 0 offset:232
	buffer_store_dword v3, off, s[0:3], 0 offset:236
	v_cmpx_lt_u32_e32 28, v0
	s_cbranch_execz .LBB116_275
; %bb.274:
	s_clause 0x1
	buffer_load_dword v2, off, s[0:3], 0 offset:224
	buffer_load_dword v3, off, s[0:3], 0 offset:228
	buffer_store_dword v1, off, s[0:3], 0 offset:224
	buffer_store_dword v1, off, s[0:3], 0 offset:228
	s_waitcnt vmcnt(0)
	ds_write_b64 v9, v[2:3]
.LBB116_275:
	s_or_b32 exec_lo, exec_lo, s4
	s_waitcnt lgkmcnt(0)
	s_waitcnt_vscnt null, 0x0
	s_barrier
	buffer_gl0_inv
	s_clause 0x31
	buffer_load_dword v6, off, s[0:3], 0 offset:236
	buffer_load_dword v7, off, s[0:3], 0 offset:244
	;; [unrolled: 1-line block ×50, first 2 shown]
	ds_read2_b64 v[2:5], v1 offset0:83 offset1:84
	ds_read2_b64 v[118:121], v1 offset0:85 offset1:86
	;; [unrolled: 1-line block ×12, first 2 shown]
	s_mov_b32 s4, exec_lo
	s_waitcnt vmcnt(49) lgkmcnt(11)
	v_mul_f32_e32 v1, v2, v6
	v_mul_f32_e32 v6, v3, v6
	s_waitcnt vmcnt(48)
	v_mul_f32_e32 v207, v4, v7
	v_mul_f32_e32 v7, v5, v7
	s_waitcnt vmcnt(47) lgkmcnt(10)
	v_mul_f32_e32 v208, v118, v8
	s_waitcnt vmcnt(46)
	v_mul_f32_e32 v209, v120, v10
	s_waitcnt vmcnt(45) lgkmcnt(9)
	v_mul_f32_e32 v210, v122, v11
	s_waitcnt vmcnt(44)
	v_mul_f32_e32 v211, v124, v162
	s_waitcnt vmcnt(43) lgkmcnt(8)
	v_mul_f32_e32 v212, v126, v163
	s_waitcnt vmcnt(42)
	v_mul_f32_e32 v213, v128, v164
	s_waitcnt vmcnt(41) lgkmcnt(7)
	v_mul_f32_e32 v214, v130, v165
	s_waitcnt vmcnt(40)
	v_mul_f32_e32 v215, v132, v166
	s_waitcnt vmcnt(39) lgkmcnt(6)
	v_mul_f32_e32 v216, v134, v167
	s_waitcnt vmcnt(38)
	v_mul_f32_e32 v217, v136, v168
	s_waitcnt vmcnt(37) lgkmcnt(5)
	v_mul_f32_e32 v218, v138, v169
	s_waitcnt vmcnt(36)
	v_mul_f32_e32 v219, v140, v170
	s_waitcnt vmcnt(35) lgkmcnt(4)
	v_mul_f32_e32 v220, v142, v171
	s_waitcnt vmcnt(34)
	v_mul_f32_e32 v221, v144, v172
	s_waitcnt vmcnt(33) lgkmcnt(3)
	v_mul_f32_e32 v222, v146, v173
	s_waitcnt vmcnt(32)
	v_mul_f32_e32 v223, v148, v174
	s_waitcnt vmcnt(31) lgkmcnt(2)
	v_mul_f32_e32 v224, v150, v175
	s_waitcnt vmcnt(30)
	v_mul_f32_e32 v225, v152, v176
	s_waitcnt vmcnt(29) lgkmcnt(1)
	v_mul_f32_e32 v226, v154, v177
	s_waitcnt vmcnt(28)
	v_mul_f32_e32 v227, v156, v178
	s_waitcnt vmcnt(25)
	v_fma_f32 v2, v2, v181, -v6
	v_fmac_f32_e32 v1, v3, v181
	v_mul_f32_e32 v3, v119, v8
	s_waitcnt vmcnt(24)
	v_fma_f32 v4, v4, v182, -v7
	v_fmac_f32_e32 v207, v5, v182
	v_add_f32_e32 v2, 0, v2
	v_add_f32_e32 v1, 0, v1
	v_mul_f32_e32 v5, v121, v10
	s_waitcnt vmcnt(23)
	v_fma_f32 v3, v118, v183, -v3
	v_fmac_f32_e32 v208, v119, v183
	v_add_f32_e32 v2, v2, v4
	v_add_f32_e32 v1, v1, v207
	;; [unrolled: 6-line block ×20, first 2 shown]
	s_waitcnt lgkmcnt(0)
	v_mul_f32_e32 v4, v159, v179
	s_waitcnt vmcnt(4)
	v_fma_f32 v5, v156, v202, -v5
	v_mul_f32_e32 v228, v158, v179
	v_add_f32_e32 v2, v2, v3
	v_fmac_f32_e32 v227, v157, v202
	v_add_f32_e32 v1, v1, v226
	v_mul_f32_e32 v3, v161, v180
	s_waitcnt vmcnt(3)
	v_fma_f32 v4, v158, v203, -v4
	v_add_f32_e32 v2, v2, v5
	v_mul_f32_e32 v229, v160, v180
	v_fmac_f32_e32 v228, v159, v203
	v_add_f32_e32 v1, v1, v227
	s_waitcnt vmcnt(2)
	v_fma_f32 v3, v160, v204, -v3
	v_add_f32_e32 v2, v2, v4
	v_fmac_f32_e32 v229, v161, v204
	v_add_f32_e32 v1, v1, v228
	v_add_f32_e32 v2, v2, v3
	;; [unrolled: 1-line block ×3, first 2 shown]
	s_waitcnt vmcnt(1)
	v_sub_f32_e32 v2, v205, v2
	s_waitcnt vmcnt(0)
	v_sub_f32_e32 v1, v206, v1
	buffer_store_dword v2, off, s[0:3], 0 offset:224
	buffer_store_dword v1, off, s[0:3], 0 offset:228
	v_cmpx_lt_u32_e32 27, v0
	s_cbranch_execz .LBB116_277
; %bb.276:
	s_clause 0x1
	buffer_load_dword v1, off, s[0:3], 0 offset:216
	buffer_load_dword v2, off, s[0:3], 0 offset:220
	v_mov_b32_e32 v3, 0
	buffer_store_dword v3, off, s[0:3], 0 offset:216
	buffer_store_dword v3, off, s[0:3], 0 offset:220
	s_waitcnt vmcnt(0)
	ds_write_b64 v9, v[1:2]
.LBB116_277:
	s_or_b32 exec_lo, exec_lo, s4
	s_waitcnt lgkmcnt(0)
	s_waitcnt_vscnt null, 0x0
	s_barrier
	buffer_gl0_inv
	s_clause 0x33
	buffer_load_dword v8, off, s[0:3], 0 offset:228
	buffer_load_dword v10, off, s[0:3], 0 offset:236
	;; [unrolled: 1-line block ×52, first 2 shown]
	v_mov_b32_e32 v1, 0
	ds_read_b128 v[2:5], v1 offset:656
	ds_read_b128 v[118:121], v1 offset:672
	;; [unrolled: 1-line block ×12, first 2 shown]
	ds_read_b64 v[6:7], v1 offset:848
	s_mov_b32 s4, exec_lo
	s_waitcnt vmcnt(51) lgkmcnt(12)
	v_mul_f32_e32 v211, v2, v8
	v_mul_f32_e32 v8, v3, v8
	s_waitcnt vmcnt(50)
	v_mul_f32_e32 v212, v4, v10
	v_mul_f32_e32 v10, v5, v10
	s_waitcnt vmcnt(49) lgkmcnt(11)
	v_mul_f32_e32 v213, v118, v11
	s_waitcnt vmcnt(48)
	v_mul_f32_e32 v214, v120, v162
	s_waitcnt vmcnt(47) lgkmcnt(10)
	v_mul_f32_e32 v215, v122, v163
	s_waitcnt vmcnt(46)
	;; [unrolled: 4-line block ×11, first 2 shown]
	v_fma_f32 v2, v2, v184, -v8
	v_fmac_f32_e32 v211, v3, v184
	v_mul_f32_e32 v3, v119, v11
	s_waitcnt vmcnt(25)
	v_fma_f32 v4, v4, v185, -v10
	v_fmac_f32_e32 v212, v5, v185
	v_add_f32_e32 v2, 0, v2
	v_add_f32_e32 v5, 0, v211
	v_mul_f32_e32 v8, v121, v162
	s_waitcnt vmcnt(24)
	v_fma_f32 v3, v118, v186, -v3
	v_fmac_f32_e32 v213, v119, v186
	v_add_f32_e32 v2, v2, v4
	v_add_f32_e32 v4, v5, v212
	;; [unrolled: 6-line block ×21, first 2 shown]
	v_mul_f32_e32 v4, v161, v182
	s_waitcnt vmcnt(4)
	v_fma_f32 v5, v158, v206, -v5
	v_mul_f32_e32 v234, v160, v182
	v_add_f32_e32 v2, v2, v8
	v_fmac_f32_e32 v233, v159, v206
	v_add_f32_e32 v3, v3, v232
	s_waitcnt lgkmcnt(0)
	v_mul_f32_e32 v8, v7, v183
	s_waitcnt vmcnt(3)
	v_fma_f32 v4, v160, v207, -v4
	v_add_f32_e32 v2, v2, v5
	v_mul_f32_e32 v235, v6, v183
	v_fmac_f32_e32 v234, v161, v207
	v_add_f32_e32 v3, v3, v233
	s_waitcnt vmcnt(2)
	v_fma_f32 v5, v6, v208, -v8
	v_add_f32_e32 v2, v2, v4
	v_fmac_f32_e32 v235, v7, v208
	v_add_f32_e32 v3, v3, v234
	v_add_f32_e32 v2, v2, v5
	;; [unrolled: 1-line block ×3, first 2 shown]
	s_waitcnt vmcnt(1)
	v_sub_f32_e32 v2, v209, v2
	s_waitcnt vmcnt(0)
	v_sub_f32_e32 v3, v210, v3
	buffer_store_dword v2, off, s[0:3], 0 offset:216
	buffer_store_dword v3, off, s[0:3], 0 offset:220
	v_cmpx_lt_u32_e32 26, v0
	s_cbranch_execz .LBB116_279
; %bb.278:
	s_clause 0x1
	buffer_load_dword v2, off, s[0:3], 0 offset:208
	buffer_load_dword v3, off, s[0:3], 0 offset:212
	buffer_store_dword v1, off, s[0:3], 0 offset:208
	buffer_store_dword v1, off, s[0:3], 0 offset:212
	s_waitcnt vmcnt(0)
	ds_write_b64 v9, v[2:3]
.LBB116_279:
	s_or_b32 exec_lo, exec_lo, s4
	s_waitcnt lgkmcnt(0)
	s_waitcnt_vscnt null, 0x0
	s_barrier
	buffer_gl0_inv
	s_clause 0x35
	buffer_load_dword v6, off, s[0:3], 0 offset:220
	buffer_load_dword v7, off, s[0:3], 0 offset:228
	;; [unrolled: 1-line block ×54, first 2 shown]
	ds_read2_b64 v[2:5], v1 offset0:81 offset1:82
	ds_read2_b64 v[118:121], v1 offset0:83 offset1:84
	;; [unrolled: 1-line block ×13, first 2 shown]
	s_mov_b32 s4, exec_lo
	s_waitcnt vmcnt(53) lgkmcnt(12)
	v_mul_f32_e32 v1, v2, v6
	v_mul_f32_e32 v6, v3, v6
	s_waitcnt vmcnt(52)
	v_mul_f32_e32 v215, v4, v7
	v_mul_f32_e32 v7, v5, v7
	s_waitcnt vmcnt(51) lgkmcnt(11)
	v_mul_f32_e32 v216, v118, v8
	s_waitcnt vmcnt(50)
	v_mul_f32_e32 v217, v120, v10
	s_waitcnt vmcnt(49) lgkmcnt(10)
	v_mul_f32_e32 v218, v122, v11
	s_waitcnt vmcnt(48)
	;; [unrolled: 4-line block ×11, first 2 shown]
	v_mul_f32_e32 v237, v160, v184
	s_waitcnt vmcnt(27)
	v_fma_f32 v2, v2, v187, -v6
	v_fmac_f32_e32 v1, v3, v187
	v_mul_f32_e32 v3, v119, v8
	s_waitcnt vmcnt(26)
	v_fma_f32 v4, v4, v188, -v7
	v_fmac_f32_e32 v215, v5, v188
	v_add_f32_e32 v2, 0, v2
	v_add_f32_e32 v1, 0, v1
	v_mul_f32_e32 v5, v121, v10
	s_waitcnt vmcnt(25)
	v_fma_f32 v3, v118, v189, -v3
	v_fmac_f32_e32 v216, v119, v189
	v_add_f32_e32 v2, v2, v4
	v_add_f32_e32 v1, v1, v215
	;; [unrolled: 6-line block ×22, first 2 shown]
	s_waitcnt lgkmcnt(0)
	v_mul_f32_e32 v5, v163, v185
	s_waitcnt vmcnt(4)
	v_fma_f32 v3, v160, v210, -v3
	v_mul_f32_e32 v238, v162, v185
	v_add_f32_e32 v2, v2, v4
	v_fmac_f32_e32 v237, v161, v210
	v_add_f32_e32 v1, v1, v236
	v_mul_f32_e32 v4, v165, v186
	s_waitcnt vmcnt(3)
	v_fma_f32 v5, v162, v211, -v5
	v_add_f32_e32 v2, v2, v3
	v_mul_f32_e32 v239, v164, v186
	v_fmac_f32_e32 v238, v163, v211
	v_add_f32_e32 v1, v1, v237
	s_waitcnt vmcnt(2)
	v_fma_f32 v3, v164, v212, -v4
	v_add_f32_e32 v2, v2, v5
	v_fmac_f32_e32 v239, v165, v212
	v_add_f32_e32 v1, v1, v238
	v_add_f32_e32 v2, v2, v3
	;; [unrolled: 1-line block ×3, first 2 shown]
	s_waitcnt vmcnt(1)
	v_sub_f32_e32 v2, v213, v2
	s_waitcnt vmcnt(0)
	v_sub_f32_e32 v1, v214, v1
	buffer_store_dword v2, off, s[0:3], 0 offset:208
	buffer_store_dword v1, off, s[0:3], 0 offset:212
	v_cmpx_lt_u32_e32 25, v0
	s_cbranch_execz .LBB116_281
; %bb.280:
	s_clause 0x1
	buffer_load_dword v1, off, s[0:3], 0 offset:200
	buffer_load_dword v2, off, s[0:3], 0 offset:204
	v_mov_b32_e32 v3, 0
	buffer_store_dword v3, off, s[0:3], 0 offset:200
	buffer_store_dword v3, off, s[0:3], 0 offset:204
	s_waitcnt vmcnt(0)
	ds_write_b64 v9, v[1:2]
.LBB116_281:
	s_or_b32 exec_lo, exec_lo, s4
	s_waitcnt lgkmcnt(0)
	s_waitcnt_vscnt null, 0x0
	s_barrier
	buffer_gl0_inv
	s_clause 0x37
	buffer_load_dword v8, off, s[0:3], 0 offset:212
	buffer_load_dword v10, off, s[0:3], 0 offset:220
	;; [unrolled: 1-line block ×56, first 2 shown]
	v_mov_b32_e32 v1, 0
	ds_read_b128 v[2:5], v1 offset:640
	ds_read_b128 v[118:121], v1 offset:656
	;; [unrolled: 1-line block ×13, first 2 shown]
	ds_read_b64 v[6:7], v1 offset:848
	s_mov_b32 s4, exec_lo
	s_waitcnt vmcnt(55) lgkmcnt(13)
	v_mul_f32_e32 v219, v2, v8
	v_mul_f32_e32 v8, v3, v8
	s_waitcnt vmcnt(54)
	v_mul_f32_e32 v220, v4, v10
	v_mul_f32_e32 v10, v5, v10
	s_waitcnt vmcnt(53) lgkmcnt(12)
	v_mul_f32_e32 v221, v118, v11
	s_waitcnt vmcnt(52)
	v_mul_f32_e32 v222, v120, v166
	s_waitcnt vmcnt(51) lgkmcnt(11)
	v_mul_f32_e32 v223, v122, v167
	s_waitcnt vmcnt(50)
	;; [unrolled: 4-line block ×12, first 2 shown]
	v_fma_f32 v2, v2, v190, -v8
	v_fmac_f32_e32 v219, v3, v190
	v_mul_f32_e32 v3, v119, v11
	s_waitcnt vmcnt(27)
	v_fma_f32 v4, v4, v191, -v10
	v_fmac_f32_e32 v220, v5, v191
	v_add_f32_e32 v2, 0, v2
	v_add_f32_e32 v5, 0, v219
	v_mul_f32_e32 v8, v121, v166
	s_waitcnt vmcnt(26)
	v_fma_f32 v3, v118, v192, -v3
	v_fmac_f32_e32 v221, v119, v192
	v_add_f32_e32 v2, v2, v4
	v_add_f32_e32 v4, v5, v220
	;; [unrolled: 6-line block ×23, first 2 shown]
	v_mul_f32_e32 v5, v165, v188
	s_waitcnt vmcnt(4)
	v_fma_f32 v8, v162, v214, -v8
	v_mul_f32_e32 v244, v164, v188
	v_add_f32_e32 v2, v2, v4
	v_fmac_f32_e32 v243, v163, v214
	v_add_f32_e32 v3, v3, v242
	s_waitcnt lgkmcnt(0)
	v_mul_f32_e32 v4, v7, v189
	s_waitcnt vmcnt(3)
	v_fma_f32 v5, v164, v215, -v5
	v_add_f32_e32 v2, v2, v8
	v_mul_f32_e32 v245, v6, v189
	v_fmac_f32_e32 v244, v165, v215
	v_add_f32_e32 v3, v3, v243
	s_waitcnt vmcnt(2)
	v_fma_f32 v4, v6, v216, -v4
	v_add_f32_e32 v2, v2, v5
	v_fmac_f32_e32 v245, v7, v216
	v_add_f32_e32 v3, v3, v244
	v_add_f32_e32 v2, v2, v4
	;; [unrolled: 1-line block ×3, first 2 shown]
	s_waitcnt vmcnt(1)
	v_sub_f32_e32 v2, v217, v2
	s_waitcnt vmcnt(0)
	v_sub_f32_e32 v3, v218, v3
	buffer_store_dword v2, off, s[0:3], 0 offset:200
	buffer_store_dword v3, off, s[0:3], 0 offset:204
	v_cmpx_lt_u32_e32 24, v0
	s_cbranch_execz .LBB116_283
; %bb.282:
	s_clause 0x1
	buffer_load_dword v2, off, s[0:3], 0 offset:192
	buffer_load_dword v3, off, s[0:3], 0 offset:196
	buffer_store_dword v1, off, s[0:3], 0 offset:192
	buffer_store_dword v1, off, s[0:3], 0 offset:196
	s_waitcnt vmcnt(0)
	ds_write_b64 v9, v[2:3]
.LBB116_283:
	s_or_b32 exec_lo, exec_lo, s4
	s_waitcnt lgkmcnt(0)
	s_waitcnt_vscnt null, 0x0
	s_barrier
	buffer_gl0_inv
	s_clause 0x39
	buffer_load_dword v6, off, s[0:3], 0 offset:204
	buffer_load_dword v7, off, s[0:3], 0 offset:212
	;; [unrolled: 1-line block ×58, first 2 shown]
	ds_read2_b64 v[2:5], v1 offset0:79 offset1:80
	ds_read2_b64 v[118:121], v1 offset0:81 offset1:82
	;; [unrolled: 1-line block ×14, first 2 shown]
	s_mov_b32 s4, exec_lo
	s_waitcnt vmcnt(57) lgkmcnt(13)
	v_mul_f32_e32 v1, v2, v6
	v_mul_f32_e32 v6, v3, v6
	s_waitcnt vmcnt(56)
	v_mul_f32_e32 v223, v4, v7
	v_mul_f32_e32 v7, v5, v7
	s_waitcnt vmcnt(55) lgkmcnt(12)
	v_mul_f32_e32 v224, v118, v8
	s_waitcnt vmcnt(54)
	v_mul_f32_e32 v225, v120, v10
	s_waitcnt vmcnt(53) lgkmcnt(11)
	v_mul_f32_e32 v226, v122, v11
	s_waitcnt vmcnt(52)
	;; [unrolled: 4-line block ×12, first 2 shown]
	v_mul_f32_e32 v247, v164, v190
	s_waitcnt vmcnt(29)
	v_fma_f32 v2, v2, v193, -v6
	v_fmac_f32_e32 v1, v3, v193
	v_mul_f32_e32 v3, v119, v8
	s_waitcnt vmcnt(28)
	v_fma_f32 v4, v4, v194, -v7
	v_fmac_f32_e32 v223, v5, v194
	v_add_f32_e32 v2, 0, v2
	v_add_f32_e32 v1, 0, v1
	v_mul_f32_e32 v5, v121, v10
	s_waitcnt vmcnt(27)
	v_fma_f32 v3, v118, v195, -v3
	v_fmac_f32_e32 v224, v119, v195
	v_add_f32_e32 v2, v2, v4
	v_add_f32_e32 v1, v1, v223
	;; [unrolled: 6-line block ×24, first 2 shown]
	s_waitcnt lgkmcnt(0)
	v_mul_f32_e32 v3, v167, v191
	s_waitcnt vmcnt(4)
	v_fma_f32 v4, v164, v218, -v4
	v_mul_f32_e32 v248, v166, v191
	v_add_f32_e32 v2, v2, v5
	v_fmac_f32_e32 v247, v165, v218
	v_add_f32_e32 v1, v1, v246
	v_mul_f32_e32 v5, v169, v192
	s_waitcnt vmcnt(3)
	v_fma_f32 v3, v166, v219, -v3
	v_add_f32_e32 v2, v2, v4
	v_mul_f32_e32 v249, v168, v192
	v_fmac_f32_e32 v248, v167, v219
	v_add_f32_e32 v1, v1, v247
	s_waitcnt vmcnt(2)
	v_fma_f32 v4, v168, v220, -v5
	v_add_f32_e32 v2, v2, v3
	v_fmac_f32_e32 v249, v169, v220
	v_add_f32_e32 v1, v1, v248
	v_add_f32_e32 v2, v2, v4
	;; [unrolled: 1-line block ×3, first 2 shown]
	s_waitcnt vmcnt(1)
	v_sub_f32_e32 v2, v221, v2
	s_waitcnt vmcnt(0)
	v_sub_f32_e32 v1, v222, v1
	buffer_store_dword v2, off, s[0:3], 0 offset:192
	buffer_store_dword v1, off, s[0:3], 0 offset:196
	v_cmpx_lt_u32_e32 23, v0
	s_cbranch_execz .LBB116_285
; %bb.284:
	s_clause 0x1
	buffer_load_dword v1, off, s[0:3], 0 offset:184
	buffer_load_dword v2, off, s[0:3], 0 offset:188
	v_mov_b32_e32 v3, 0
	buffer_store_dword v3, off, s[0:3], 0 offset:184
	buffer_store_dword v3, off, s[0:3], 0 offset:188
	s_waitcnt vmcnt(0)
	ds_write_b64 v9, v[1:2]
.LBB116_285:
	s_or_b32 exec_lo, exec_lo, s4
	s_waitcnt lgkmcnt(0)
	s_waitcnt_vscnt null, 0x0
	s_barrier
	buffer_gl0_inv
	s_clause 0x1b
	buffer_load_dword v2, off, s[0:3], 0 offset:196
	buffer_load_dword v4, off, s[0:3], 0 offset:204
	;; [unrolled: 1-line block ×28, first 2 shown]
	v_mov_b32_e32 v1, 0
	ds_read_b128 v[141:144], v1 offset:624
	ds_read_b128 v[145:148], v1 offset:640
	s_clause 0xa
	buffer_load_dword v137, off, s[0:3], 0 offset:300
	buffer_load_dword v135, off, s[0:3], 0 offset:308
	;; [unrolled: 1-line block ×11, first 2 shown]
	ds_read_b128 v[149:152], v1 offset:656
	ds_read_b128 v[153:156], v1 offset:672
	s_mov_b32 s4, exec_lo
	s_waitcnt vmcnt(38) lgkmcnt(3)
	v_mul_f32_e32 v164, v141, v2
	v_mul_f32_e32 v2, v142, v2
	s_waitcnt vmcnt(37)
	v_mul_f32_e32 v165, v143, v4
	v_mul_f32_e32 v4, v144, v4
	s_waitcnt vmcnt(36) lgkmcnt(2)
	v_mul_f32_e32 v166, v145, v6
	v_mul_f32_e32 v6, v146, v6
	s_waitcnt vmcnt(33)
	v_fmac_f32_e32 v164, v142, v8
	v_fma_f32 v8, v141, v8, -v2
	s_waitcnt vmcnt(32)
	v_mul_f32_e32 v167, v147, v7
	v_mul_f32_e32 v2, v148, v7
	v_fmac_f32_e32 v165, v144, v5
	v_fma_f32 v7, v143, v5, -v4
	v_fmac_f32_e32 v166, v146, v3
	v_fma_f32 v6, v145, v3, -v6
	s_waitcnt vmcnt(28)
	v_fmac_f32_e32 v167, v148, v124
	v_fma_f32 v124, v147, v124, -v2
	ds_read_b128 v[2:5], v1 offset:688
	ds_read_b128 v[141:144], v1 offset:704
	s_waitcnt vmcnt(27) lgkmcnt(3)
	v_mul_f32_e32 v145, v149, v123
	v_mul_f32_e32 v123, v150, v123
	s_waitcnt vmcnt(26)
	v_mul_f32_e32 v146, v151, v122
	v_mul_f32_e32 v122, v152, v122
	s_waitcnt vmcnt(24) lgkmcnt(2)
	v_mul_f32_e32 v148, v155, v120
	v_fmac_f32_e32 v145, v150, v119
	v_fma_f32 v123, v149, v119, -v123
	v_mul_f32_e32 v119, v156, v120
	v_mul_f32_e32 v147, v153, v121
	;; [unrolled: 1-line block ×3, first 2 shown]
	v_fmac_f32_e32 v146, v152, v118
	v_fma_f32 v122, v151, v118, -v122
	s_waitcnt vmcnt(20)
	v_fmac_f32_e32 v148, v156, v136
	v_fma_f32 v136, v155, v136, -v119
	s_clause 0x3
	buffer_load_dword v149, off, s[0:3], 0 offset:348
	buffer_load_dword v150, off, s[0:3], 0 offset:356
	;; [unrolled: 1-line block ×4, first 2 shown]
	v_fmac_f32_e32 v147, v154, v10
	v_fma_f32 v10, v153, v10, -v121
	s_clause 0x3
	buffer_load_dword v153, off, s[0:3], 0 offset:380
	buffer_load_dword v154, off, s[0:3], 0 offset:388
	;; [unrolled: 1-line block ×4, first 2 shown]
	s_waitcnt vmcnt(27) lgkmcnt(1)
	v_mul_f32_e32 v168, v2, v133
	v_mul_f32_e32 v118, v3, v133
	s_waitcnt vmcnt(26)
	v_mul_f32_e32 v133, v4, v131
	v_mul_f32_e32 v119, v5, v131
	s_waitcnt vmcnt(25) lgkmcnt(0)
	v_mul_f32_e32 v131, v141, v130
	v_fmac_f32_e32 v168, v3, v129
	v_fma_f32 v129, v2, v129, -v118
	v_mul_f32_e32 v118, v142, v130
	v_fmac_f32_e32 v133, v5, v127
	v_fma_f32 v127, v4, v127, -v119
	ds_read_b128 v[2:5], v1 offset:720
	s_waitcnt vmcnt(24)
	v_mul_f32_e32 v130, v143, v128
	v_mul_f32_e32 v119, v144, v128
	v_fma_f32 v141, v141, v125, -v118
	v_add_f32_e32 v118, 0, v164
	buffer_load_dword v169, off, s[0:3], 0 offset:412
	v_fmac_f32_e32 v131, v142, v125
	s_waitcnt vmcnt(21)
	v_fmac_f32_e32 v130, v144, v140
	v_fma_f32 v140, v143, v140, -v119
	s_clause 0x4
	buffer_load_dword v142, off, s[0:3], 0 offset:368
	buffer_load_dword v143, off, s[0:3], 0 offset:360
	;; [unrolled: 1-line block ×5, first 2 shown]
	v_add_f32_e32 v8, 0, v8
	v_add_f32_e32 v118, v118, v165
	;; [unrolled: 1-line block ×4, first 2 shown]
	ds_read_b128 v[118:121], v1 offset:736
	v_add_f32_e32 v6, v7, v6
	s_waitcnt vmcnt(25) lgkmcnt(1)
	v_mul_f32_e32 v7, v2, v139
	v_add_f32_e32 v8, v8, v167
	v_mul_f32_e32 v125, v3, v139
	v_fmac_f32_e32 v7, v3, v138
	v_add_f32_e32 v3, v8, v145
	s_clause 0x3
	buffer_load_dword v8, off, s[0:3], 0 offset:400
	buffer_load_dword v139, off, s[0:3], 0 offset:392
	;; [unrolled: 1-line block ×4, first 2 shown]
	v_fma_f32 v138, v2, v138, -v125
	v_add_f32_e32 v2, v6, v124
	v_add_f32_e32 v3, v3, v146
	s_clause 0x2
	buffer_load_dword v146, off, s[0:3], 0 offset:416
	buffer_load_dword v166, off, s[0:3], 0 offset:408
	;; [unrolled: 1-line block ×3, first 2 shown]
	v_add_f32_e32 v2, v2, v123
	v_add_f32_e32 v6, v3, v147
	s_waitcnt vmcnt(31)
	v_mul_f32_e32 v147, v4, v137
	v_mul_f32_e32 v3, v5, v137
	v_add_f32_e32 v2, v2, v122
	s_waitcnt vmcnt(30) lgkmcnt(0)
	v_mul_f32_e32 v128, v119, v135
	v_add_f32_e32 v6, v6, v148
	v_fmac_f32_e32 v147, v5, v134
	v_fma_f32 v134, v4, v134, -v3
	v_add_f32_e32 v10, v2, v10
	ds_read_b128 v[2:5], v1 offset:752
	ds_read_b128 v[122:125], v1 offset:768
	v_add_f32_e32 v6, v6, v168
	v_fma_f32 v137, v118, v126, -v128
	v_add_f32_e32 v10, v10, v136
	v_mul_f32_e32 v136, v118, v135
	s_waitcnt vmcnt(29)
	v_mul_f32_e32 v135, v120, v132
	v_add_f32_e32 v6, v6, v133
	v_add_f32_e32 v10, v10, v129
	v_mul_f32_e32 v129, v121, v132
	v_fmac_f32_e32 v136, v119, v126
	v_add_f32_e32 v6, v6, v131
	s_waitcnt vmcnt(22)
	v_fmac_f32_e32 v135, v121, v162
	v_add_f32_e32 v10, v10, v127
	v_fma_f32 v148, v120, v162, -v129
	ds_read_b128 v[118:121], v1 offset:784
	ds_read_b128 v[126:129], v1 offset:800
	v_add_f32_e32 v10, v10, v141
	s_waitcnt lgkmcnt(3)
	v_mul_f32_e32 v141, v2, v157
	v_mul_f32_e32 v132, v3, v157
	;; [unrolled: 1-line block ×3, first 2 shown]
	v_add_f32_e32 v10, v10, v140
	v_fmac_f32_e32 v141, v3, v11
	v_fma_f32 v11, v2, v11, -v132
	v_add_f32_e32 v2, v6, v130
	v_mul_f32_e32 v140, v5, v159
	v_add_f32_e32 v6, v10, v138
	v_fmac_f32_e32 v157, v5, v158
	ds_read_b128 v[130:133], v1 offset:816
	v_add_f32_e32 v138, v2, v7
	v_fma_f32 v10, v4, v158, -v140
	v_add_f32_e32 v134, v6, v134
	s_waitcnt lgkmcnt(3)
	v_mul_f32_e32 v140, v122, v160
	ds_read_b128 v[2:5], v1 offset:832
	v_add_f32_e32 v138, v138, v147
	ds_read_b64 v[6:7], v1 offset:848
	v_add_f32_e32 v134, v134, v137
	v_mul_f32_e32 v137, v123, v160
	v_fmac_f32_e32 v140, v123, v161
	v_add_f32_e32 v136, v138, v136
	v_add_f32_e32 v134, v134, v148
	v_fma_f32 v122, v122, v161, -v137
	v_add_f32_e32 v135, v136, v135
	v_add_f32_e32 v11, v134, v11
	;; [unrolled: 1-line block ×7, first 2 shown]
	s_waitcnt vmcnt(20)
	v_mul_f32_e32 v147, v124, v149
	v_mul_f32_e32 v149, v125, v149
	s_waitcnt vmcnt(19) lgkmcnt(4)
	v_mul_f32_e32 v141, v119, v150
	v_mul_f32_e32 v138, v118, v150
	s_waitcnt vmcnt(18)
	v_mul_f32_e32 v148, v120, v151
	s_waitcnt vmcnt(17) lgkmcnt(3)
	v_mul_f32_e32 v158, v126, v152
	s_waitcnt vmcnt(16)
	v_mul_f32_e32 v136, v128, v153
	s_waitcnt vmcnt(15) lgkmcnt(2)
	;; [unrolled: 4-line block ×3, first 2 shown]
	v_mul_f32_e32 v137, v2, v156
	s_waitcnt vmcnt(11)
	v_fmac_f32_e32 v158, v127, v142
	s_waitcnt vmcnt(10)
	v_fmac_f32_e32 v148, v121, v143
	s_waitcnt vmcnt(9)
	v_fma_f32 v118, v118, v144, -v141
	s_waitcnt vmcnt(8)
	v_fma_f32 v124, v124, v164, -v149
	v_fmac_f32_e32 v147, v125, v164
	v_mul_f32_e32 v125, v121, v151
	v_fmac_f32_e32 v138, v119, v144
	v_mul_f32_e32 v11, v4, v169
	v_add_f32_e32 v10, v10, v124
	v_add_f32_e32 v119, v122, v147
	v_mul_f32_e32 v122, v127, v152
	v_fma_f32 v120, v120, v143, -v125
	s_waitcnt vmcnt(7) lgkmcnt(0)
	v_mul_f32_e32 v150, v6, v170
	v_add_f32_e32 v10, v10, v118
	v_add_f32_e32 v118, v119, v138
	v_mul_f32_e32 v119, v129, v153
	v_fma_f32 v121, v126, v142, -v122
	v_add_f32_e32 v10, v10, v120
	v_add_f32_e32 v118, v118, v148
	v_mul_f32_e32 v120, v131, v154
	s_waitcnt vmcnt(5)
	v_fmac_f32_e32 v123, v133, v139
	s_waitcnt vmcnt(4)
	v_fmac_f32_e32 v134, v131, v145
	s_waitcnt vmcnt(3)
	v_fma_f32 v119, v128, v165, -v119
	v_add_f32_e32 v10, v10, v121
	v_fmac_f32_e32 v136, v129, v165
	v_add_f32_e32 v118, v118, v158
	v_mul_f32_e32 v121, v133, v155
	v_fma_f32 v120, v130, v145, -v120
	v_add_f32_e32 v10, v10, v119
	v_mul_f32_e32 v119, v3, v156
	v_add_f32_e32 v118, v118, v136
	v_fma_f32 v121, v132, v139, -v121
	v_fmac_f32_e32 v137, v3, v8
	v_add_f32_e32 v10, v10, v120
	v_mul_f32_e32 v120, v5, v169
	v_add_f32_e32 v118, v118, v134
	v_fma_f32 v2, v2, v8, -v119
	s_waitcnt vmcnt(1)
	v_fmac_f32_e32 v11, v5, v166
	v_add_f32_e32 v3, v10, v121
	v_mul_f32_e32 v10, v7, v170
	v_add_f32_e32 v8, v118, v123
	v_fma_f32 v4, v4, v166, -v120
	v_fmac_f32_e32 v150, v7, v146
	v_add_f32_e32 v2, v3, v2
	v_fma_f32 v5, v6, v146, -v10
	v_add_f32_e32 v3, v8, v137
	v_add_f32_e32 v2, v2, v4
	;; [unrolled: 1-line block ×5, first 2 shown]
	s_waitcnt vmcnt(0)
	v_sub_f32_e32 v2, v167, v2
	v_sub_f32_e32 v3, v163, v3
	buffer_store_dword v2, off, s[0:3], 0 offset:184
	buffer_store_dword v3, off, s[0:3], 0 offset:188
	v_cmpx_lt_u32_e32 22, v0
	s_cbranch_execz .LBB116_287
; %bb.286:
	s_clause 0x1
	buffer_load_dword v2, off, s[0:3], 0 offset:176
	buffer_load_dword v3, off, s[0:3], 0 offset:180
	buffer_store_dword v1, off, s[0:3], 0 offset:176
	buffer_store_dword v1, off, s[0:3], 0 offset:180
	s_waitcnt vmcnt(0)
	ds_write_b64 v9, v[2:3]
.LBB116_287:
	s_or_b32 exec_lo, exec_lo, s4
	s_waitcnt lgkmcnt(0)
	s_waitcnt_vscnt null, 0x0
	s_barrier
	buffer_gl0_inv
	s_clause 0x1b
	buffer_load_dword v3, off, s[0:3], 0 offset:188
	buffer_load_dword v4, off, s[0:3], 0 offset:196
	;; [unrolled: 1-line block ×28, first 2 shown]
	ds_read2_b64 v[139:142], v1 offset0:77 offset1:78
	ds_read2_b64 v[143:146], v1 offset0:79 offset1:80
	s_clause 0x1
	buffer_load_dword v135, off, s[0:3], 0 offset:292
	buffer_load_dword v132, off, s[0:3], 0 offset:300
	ds_read2_b64 v[147:150], v1 offset0:81 offset1:82
	ds_read2_b64 v[151:154], v1 offset0:83 offset1:84
	;; [unrolled: 1-line block ×3, first 2 shown]
	buffer_load_dword v159, off, s[0:3], 0 offset:180
	s_mov_b32 s4, exec_lo
	s_waitcnt vmcnt(30) lgkmcnt(4)
	v_mul_f32_e32 v160, v139, v3
	s_waitcnt vmcnt(29)
	v_mul_f32_e32 v161, v141, v4
	v_mul_f32_e32 v3, v140, v3
	;; [unrolled: 1-line block ×3, first 2 shown]
	s_waitcnt vmcnt(28) lgkmcnt(3)
	v_mul_f32_e32 v162, v143, v5
	v_mul_f32_e32 v5, v144, v5
	s_waitcnt vmcnt(24)
	v_fmac_f32_e32 v160, v140, v8
	v_fmac_f32_e32 v161, v142, v7
	v_fma_f32 v8, v139, v8, -v3
	v_fma_f32 v7, v141, v7, -v4
	s_clause 0x7
	buffer_load_dword v139, off, s[0:3], 0 offset:308
	buffer_load_dword v140, off, s[0:3], 0 offset:312
	;; [unrolled: 1-line block ×8, first 2 shown]
	v_fmac_f32_e32 v162, v144, v2
	v_fma_f32 v143, v143, v2, -v5
	ds_read2_b64 v[2:5], v1 offset0:87 offset1:88
	v_mul_f32_e32 v163, v145, v6
	v_mul_f32_e32 v6, v146, v6
	s_waitcnt vmcnt(26) lgkmcnt(3)
	v_mul_f32_e32 v144, v149, v122
	v_mul_f32_e32 v122, v150, v122
	v_add_f32_e32 v8, 0, v8
	v_fmac_f32_e32 v163, v146, v123
	v_fma_f32 v6, v145, v123, -v6
	v_mul_f32_e32 v123, v147, v121
	v_mul_f32_e32 v121, v148, v121
	s_waitcnt vmcnt(25) lgkmcnt(2)
	v_mul_f32_e32 v145, v151, v120
	v_mul_f32_e32 v120, v152, v120
	s_waitcnt vmcnt(24)
	v_mul_f32_e32 v146, v153, v119
	v_mul_f32_e32 v119, v154, v119
	v_fmac_f32_e32 v123, v148, v118
	v_fma_f32 v118, v147, v118, -v121
	v_fmac_f32_e32 v144, v150, v11
	v_fma_f32 v11, v149, v11, -v122
	s_waitcnt vmcnt(23) lgkmcnt(1)
	v_mul_f32_e32 v122, v155, v124
	s_waitcnt vmcnt(22)
	v_mul_f32_e32 v147, v157, v127
	v_mul_f32_e32 v121, v156, v124
	;; [unrolled: 1-line block ×3, first 2 shown]
	v_fmac_f32_e32 v145, v152, v10
	v_fma_f32 v10, v151, v10, -v120
	s_waitcnt vmcnt(18)
	v_fmac_f32_e32 v146, v154, v134
	v_fma_f32 v127, v153, v134, -v119
	s_clause 0x7
	buffer_load_dword v148, off, s[0:3], 0 offset:340
	buffer_load_dword v149, off, s[0:3], 0 offset:344
	;; [unrolled: 1-line block ×8, first 2 shown]
	s_waitcnt vmcnt(25) lgkmcnt(0)
	v_mul_f32_e32 v119, v3, v129
	v_add_f32_e32 v120, 0, v160
	v_mul_f32_e32 v134, v2, v129
	s_waitcnt vmcnt(24)
	v_mul_f32_e32 v160, v4, v128
	v_fmac_f32_e32 v122, v156, v131
	v_fma_f32 v129, v2, v125, -v119
	v_mul_f32_e32 v2, v5, v128
	v_add_f32_e32 v119, v120, v161
	v_fmac_f32_e32 v147, v158, v130
	v_fma_f32 v131, v155, v131, -v121
	v_fma_f32 v130, v157, v130, -v124
	s_clause 0x5
	buffer_load_dword v155, off, s[0:3], 0 offset:372
	buffer_load_dword v156, off, s[0:3], 0 offset:380
	;; [unrolled: 1-line block ×6, first 2 shown]
	v_fmac_f32_e32 v134, v3, v125
	s_waitcnt vmcnt(26)
	v_fmac_f32_e32 v160, v5, v138
	v_fma_f32 v138, v4, v138, -v2
	ds_read2_b64 v[2:5], v1 offset0:89 offset1:90
	v_add_f32_e32 v7, v8, v7
	v_add_f32_e32 v8, v119, v162
	buffer_load_dword v161, off, s[0:3], 0 offset:420
	v_add_f32_e32 v7, v7, v143
	v_add_f32_e32 v8, v8, v163
	s_clause 0x3
	buffer_load_dword v143, off, s[0:3], 0 offset:392
	buffer_load_dword v162, off, s[0:3], 0 offset:384
	;; [unrolled: 1-line block ×4, first 2 shown]
	v_add_f32_e32 v6, v7, v6
	v_add_f32_e32 v7, v8, v123
	;; [unrolled: 1-line block ×4, first 2 shown]
	ds_read2_b64 v[118:121], v1 offset0:91 offset1:92
	s_waitcnt vmcnt(30) lgkmcnt(1)
	v_mul_f32_e32 v8, v2, v137
	v_mul_f32_e32 v123, v3, v137
	s_waitcnt vmcnt(29)
	v_mul_f32_e32 v137, v4, v135
	v_fmac_f32_e32 v8, v3, v136
	v_fma_f32 v136, v2, v136, -v123
	v_add_f32_e32 v2, v6, v11
	v_add_f32_e32 v3, v7, v145
	s_clause 0x2
	buffer_load_dword v6, off, s[0:3], 0 offset:416
	buffer_load_dword v7, off, s[0:3], 0 offset:408
	;; [unrolled: 1-line block ×3, first 2 shown]
	v_mul_f32_e32 v123, v5, v135
	v_fmac_f32_e32 v137, v5, v133
	v_add_f32_e32 v2, v2, v10
	buffer_load_dword v10, off, s[0:3], 0 offset:176
	v_add_f32_e32 v3, v3, v146
	v_fma_f32 v135, v4, v133, -v123
	v_add_f32_e32 v124, v2, v127
	s_waitcnt vmcnt(32) lgkmcnt(0)
	v_mul_f32_e32 v144, v118, v132
	v_add_f32_e32 v127, v3, v122
	ds_read2_b64 v[2:5], v1 offset0:93 offset1:94
	v_add_f32_e32 v128, v124, v131
	ds_read2_b64 v[122:125], v1 offset0:95 offset1:96
	v_add_f32_e32 v127, v127, v147
	v_mul_f32_e32 v131, v119, v132
	v_fmac_f32_e32 v144, v119, v126
	v_add_f32_e32 v128, v128, v130
	s_waitcnt vmcnt(30)
	v_mul_f32_e32 v130, v121, v139
	v_mul_f32_e32 v145, v120, v139
	v_fma_f32 v139, v118, v126, -v131
	v_add_f32_e32 v131, v127, v134
	s_waitcnt vmcnt(28) lgkmcnt(1)
	v_mul_f32_e32 v147, v2, v141
	v_mul_f32_e32 v132, v3, v141
	s_waitcnt vmcnt(27)
	v_mul_f32_e32 v133, v5, v142
	s_waitcnt vmcnt(23)
	v_fma_f32 v146, v120, v167, -v130
	v_add_f32_e32 v130, v128, v129
	v_add_f32_e32 v131, v131, v160
	s_waitcnt lgkmcnt(0)
	v_mul_f32_e32 v134, v123, v164
	v_fmac_f32_e32 v145, v121, v167
	ds_read2_b64 v[118:121], v1 offset0:97 offset1:98
	ds_read2_b64 v[126:129], v1 offset0:99 offset1:100
	v_add_f32_e32 v130, v130, v138
	v_add_f32_e32 v8, v131, v8
	v_mul_f32_e32 v138, v4, v142
	v_mul_f32_e32 v141, v122, v164
	v_fmac_f32_e32 v147, v3, v140
	v_add_f32_e32 v136, v130, v136
	v_add_f32_e32 v8, v8, v137
	v_fmac_f32_e32 v138, v5, v166
	v_fma_f32 v140, v2, v140, -v132
	v_fma_f32 v142, v4, v166, -v133
	v_add_f32_e32 v160, v136, v135
	ds_read2_b64 v[2:5], v1 offset0:101 offset1:102
	ds_read2_b64 v[130:133], v1 offset0:103 offset1:104
	v_fma_f32 v122, v122, v165, -v134
	ds_read2_b64 v[134:137], v1 offset0:105 offset1:106
	v_add_f32_e32 v8, v8, v144
	v_add_f32_e32 v1, v160, v139
	s_waitcnt vmcnt(22)
	v_mul_f32_e32 v139, v125, v148
	v_fmac_f32_e32 v141, v123, v165
	v_mul_f32_e32 v123, v124, v148
	v_add_f32_e32 v8, v8, v145
	v_add_f32_e32 v1, v1, v146
	s_waitcnt vmcnt(20) lgkmcnt(4)
	v_mul_f32_e32 v146, v119, v150
	v_mul_f32_e32 v144, v118, v150
	s_waitcnt vmcnt(15)
	v_fma_f32 v124, v124, v168, -v139
	v_add_f32_e32 v8, v8, v147
	v_add_f32_e32 v1, v1, v140
	v_fmac_f32_e32 v123, v125, v168
	v_fma_f32 v118, v118, v149, -v146
	v_mul_f32_e32 v145, v120, v151
	v_add_f32_e32 v8, v8, v138
	v_add_f32_e32 v1, v1, v142
	v_mul_f32_e32 v138, v121, v151
	v_fmac_f32_e32 v144, v119, v149
	s_waitcnt lgkmcnt(3)
	v_mul_f32_e32 v119, v127, v152
	v_add_f32_e32 v8, v8, v141
	v_add_f32_e32 v1, v1, v122
	v_fma_f32 v120, v120, v154, -v138
	v_mul_f32_e32 v125, v126, v152
	v_fmac_f32_e32 v145, v121, v154
	v_add_f32_e32 v8, v8, v123
	v_add_f32_e32 v1, v1, v124
	v_fma_f32 v119, v126, v153, -v119
	s_waitcnt vmcnt(14)
	v_mul_f32_e32 v139, v128, v155
	v_fmac_f32_e32 v125, v127, v153
	v_add_f32_e32 v8, v8, v144
	v_add_f32_e32 v1, v1, v118
	v_mul_f32_e32 v118, v129, v155
	s_waitcnt vmcnt(13) lgkmcnt(2)
	v_mul_f32_e32 v140, v2, v156
	s_waitcnt vmcnt(4)
	v_fmac_f32_e32 v139, v129, v171
	v_add_f32_e32 v8, v8, v145
	v_add_f32_e32 v1, v1, v120
	v_mul_f32_e32 v120, v3, v156
	v_fma_f32 v118, v128, v171, -v118
	v_mul_f32_e32 v147, v4, v157
	v_add_f32_e32 v8, v8, v125
	v_add_f32_e32 v1, v1, v119
	v_mul_f32_e32 v119, v5, v157
	v_fma_f32 v2, v2, v163, -v120
	v_fmac_f32_e32 v140, v3, v163
	v_add_f32_e32 v3, v8, v139
	v_add_f32_e32 v1, v1, v118
	s_waitcnt lgkmcnt(1)
	v_mul_f32_e32 v8, v131, v158
	v_fma_f32 v4, v4, v162, -v119
	v_mul_f32_e32 v148, v130, v158
	v_fmac_f32_e32 v147, v5, v162
	v_add_f32_e32 v1, v1, v2
	v_add_f32_e32 v2, v3, v140
	v_mul_f32_e32 v3, v133, v169
	v_fma_f32 v5, v130, v143, -v8
	v_mul_f32_e32 v142, v132, v169
	v_add_f32_e32 v1, v1, v4
	v_fmac_f32_e32 v148, v131, v143
	v_add_f32_e32 v2, v2, v147
	s_waitcnt lgkmcnt(0)
	v_mul_f32_e32 v4, v135, v170
	s_waitcnt vmcnt(1)
	v_fma_f32 v3, v132, v11, -v3
	v_add_f32_e32 v1, v1, v5
	v_mul_f32_e32 v150, v134, v170
	v_fmac_f32_e32 v142, v133, v11
	v_add_f32_e32 v2, v2, v148
	v_mul_f32_e32 v5, v137, v161
	v_fma_f32 v4, v134, v7, -v4
	v_add_f32_e32 v1, v1, v3
	v_mul_f32_e32 v122, v136, v161
	v_fmac_f32_e32 v150, v135, v7
	v_add_f32_e32 v2, v2, v142
	v_fma_f32 v3, v136, v6, -v5
	v_add_f32_e32 v1, v1, v4
	v_fmac_f32_e32 v122, v137, v6
	v_add_f32_e32 v2, v2, v150
	v_add_f32_e32 v1, v1, v3
	;; [unrolled: 1-line block ×3, first 2 shown]
	s_waitcnt vmcnt(0)
	v_sub_f32_e32 v1, v10, v1
	v_sub_f32_e32 v2, v159, v2
	buffer_store_dword v1, off, s[0:3], 0 offset:176
	buffer_store_dword v2, off, s[0:3], 0 offset:180
	v_cmpx_lt_u32_e32 21, v0
	s_cbranch_execz .LBB116_289
; %bb.288:
	s_clause 0x1
	buffer_load_dword v1, off, s[0:3], 0 offset:168
	buffer_load_dword v2, off, s[0:3], 0 offset:172
	v_mov_b32_e32 v3, 0
	buffer_store_dword v3, off, s[0:3], 0 offset:168
	buffer_store_dword v3, off, s[0:3], 0 offset:172
	s_waitcnt vmcnt(0)
	ds_write_b64 v9, v[1:2]
.LBB116_289:
	s_or_b32 exec_lo, exec_lo, s4
	s_waitcnt lgkmcnt(0)
	s_waitcnt_vscnt null, 0x0
	s_barrier
	buffer_gl0_inv
	s_clause 0x23
	buffer_load_dword v3, off, s[0:3], 0 offset:180
	buffer_load_dword v4, off, s[0:3], 0 offset:188
	;; [unrolled: 1-line block ×36, first 2 shown]
	v_mov_b32_e32 v1, 0
	ds_read_b128 v[140:143], v1 offset:608
	ds_read_b128 v[144:147], v1 offset:624
	ds_read_b128 v[148:151], v1 offset:640
	s_clause 0x3
	buffer_load_dword v161, off, s[0:3], 0 offset:308
	buffer_load_dword v162, off, s[0:3], 0 offset:316
	buffer_load_dword v163, off, s[0:3], 0 offset:332
	buffer_load_dword v164, off, s[0:3], 0 offset:172
	ds_read_b128 v[152:155], v1 offset:656
	s_mov_b32 s4, exec_lo
	s_waitcnt vmcnt(39) lgkmcnt(3)
	v_mul_f32_e32 v165, v140, v3
	v_mul_f32_e32 v3, v141, v3
	s_waitcnt vmcnt(38)
	v_mul_f32_e32 v166, v142, v4
	v_mul_f32_e32 v4, v143, v4
	s_waitcnt vmcnt(35)
	v_fmac_f32_e32 v165, v141, v10
	v_fma_f32 v10, v140, v10, -v3
	s_waitcnt vmcnt(34) lgkmcnt(2)
	v_mul_f32_e32 v167, v144, v8
	v_mul_f32_e32 v3, v145, v8
	v_fmac_f32_e32 v166, v143, v5
	v_fma_f32 v8, v142, v5, -v4
	ds_read_b128 v[140:143], v1 offset:672
	s_waitcnt vmcnt(33)
	v_mul_f32_e32 v168, v146, v6
	v_mul_f32_e32 v4, v147, v6
	v_fmac_f32_e32 v167, v145, v2
	v_fma_f32 v6, v144, v2, -v3
	s_waitcnt vmcnt(32) lgkmcnt(2)
	v_mul_f32_e32 v169, v148, v7
	s_waitcnt vmcnt(28)
	v_fmac_f32_e32 v168, v147, v123
	v_fma_f32 v123, v146, v123, -v4
	ds_read_b128 v[2:5], v1 offset:688
	v_mul_f32_e32 v7, v149, v7
	s_waitcnt vmcnt(27)
	v_mul_f32_e32 v170, v150, v122
	v_mul_f32_e32 v122, v151, v122
	v_fmac_f32_e32 v169, v149, v121
	s_waitcnt vmcnt(25) lgkmcnt(2)
	v_mul_f32_e32 v149, v154, v120
	v_fma_f32 v7, v148, v121, -v7
	v_mul_f32_e32 v148, v152, v119
	v_fmac_f32_e32 v170, v151, v118
	v_fma_f32 v122, v150, v118, -v122
	v_mul_f32_e32 v118, v153, v119
	v_mul_f32_e32 v119, v155, v120
	s_waitcnt vmcnt(19) lgkmcnt(1)
	v_mul_f32_e32 v151, v142, v130
	v_mul_f32_e32 v130, v143, v130
	;; [unrolled: 1-line block ×4, first 2 shown]
	v_fmac_f32_e32 v148, v153, v11
	v_fmac_f32_e32 v149, v155, v131
	v_fma_f32 v11, v152, v11, -v118
	v_fma_f32 v131, v154, v131, -v119
	ds_read_b128 v[118:121], v1 offset:704
	ds_read_b128 v[144:147], v1 offset:720
	v_fmac_f32_e32 v151, v143, v126
	v_fma_f32 v126, v142, v126, -v130
	s_waitcnt vmcnt(17) lgkmcnt(2)
	v_mul_f32_e32 v130, v4, v127
	v_mul_f32_e32 v127, v5, v127
	v_fmac_f32_e32 v150, v141, v128
	v_fma_f32 v124, v140, v128, -v124
	v_mul_f32_e32 v128, v2, v129
	s_waitcnt vmcnt(13)
	v_fmac_f32_e32 v130, v5, v139
	v_fma_f32 v127, v4, v139, -v127
	s_clause 0x6
	buffer_load_dword v139, off, s[0:3], 0 offset:328
	buffer_load_dword v140, off, s[0:3], 0 offset:340
	;; [unrolled: 1-line block ×7, first 2 shown]
	v_mul_f32_e32 v129, v3, v129
	v_fmac_f32_e32 v128, v3, v125
	v_fma_f32 v125, v2, v125, -v129
	s_waitcnt vmcnt(19) lgkmcnt(1)
	v_mul_f32_e32 v154, v118, v138
	v_mul_f32_e32 v2, v119, v138
	s_waitcnt vmcnt(18)
	v_mul_f32_e32 v138, v120, v137
	v_mul_f32_e32 v3, v121, v137
	s_waitcnt vmcnt(17) lgkmcnt(0)
	v_mul_f32_e32 v137, v144, v135
	v_fmac_f32_e32 v154, v119, v134
	v_fma_f32 v134, v118, v134, -v2
	s_waitcnt vmcnt(16)
	v_mul_f32_e32 v2, v147, v136
	v_mul_f32_e32 v4, v145, v135
	;; [unrolled: 1-line block ×3, first 2 shown]
	v_fmac_f32_e32 v137, v145, v132
	s_clause 0x3
	buffer_load_dword v135, off, s[0:3], 0 offset:364
	buffer_load_dword v155, off, s[0:3], 0 offset:372
	;; [unrolled: 1-line block ×4, first 2 shown]
	s_waitcnt vmcnt(15)
	v_fma_f32 v145, v146, v160, -v2
	v_add_f32_e32 v2, 0, v165
	v_fma_f32 v132, v144, v132, -v4
	s_clause 0x1
	buffer_load_dword v136, off, s[0:3], 0 offset:396
	buffer_load_dword v144, off, s[0:3], 0 offset:404
	v_fmac_f32_e32 v173, v147, v160
	s_clause 0x1
	buffer_load_dword v146, off, s[0:3], 0 offset:412
	buffer_load_dword v147, off, s[0:3], 0 offset:420
	v_add_f32_e32 v2, v2, v166
	s_clause 0x3
	buffer_load_dword v160, off, s[0:3], 0 offset:384
	buffer_load_dword v165, off, s[0:3], 0 offset:376
	;; [unrolled: 1-line block ×4, first 2 shown]
	v_fmac_f32_e32 v138, v121, v133
	v_fma_f32 v133, v120, v133, -v3
	v_add_f32_e32 v3, 0, v10
	v_add_f32_e32 v2, v2, v167
	;; [unrolled: 1-line block ×4, first 2 shown]
	s_clause 0x4
	buffer_load_dword v8, off, s[0:3], 0 offset:416
	buffer_load_dword v10, off, s[0:3], 0 offset:408
	;; [unrolled: 1-line block ×5, first 2 shown]
	ds_read_b128 v[118:121], v1 offset:752
	v_add_f32_e32 v3, v3, v6
	v_add_f32_e32 v2, v2, v169
	;; [unrolled: 1-line block ×7, first 2 shown]
	ds_read_b128 v[2:5], v1 offset:736
	v_add_f32_e32 v6, v6, v149
	v_add_f32_e32 v7, v7, v11
	;; [unrolled: 1-line block ×5, first 2 shown]
	s_waitcnt vmcnt(25) lgkmcnt(1)
	v_mul_f32_e32 v151, v120, v163
	v_add_f32_e32 v7, v7, v124
	v_add_f32_e32 v6, v6, v128
	;; [unrolled: 1-line block ×3, first 2 shown]
	s_waitcnt lgkmcnt(0)
	v_mul_f32_e32 v11, v2, v161
	v_mul_f32_e32 v122, v3, v161
	v_add_f32_e32 v6, v6, v130
	v_mul_f32_e32 v148, v4, v162
	v_mul_f32_e32 v123, v5, v162
	v_fmac_f32_e32 v11, v3, v159
	v_add_f32_e32 v3, v7, v125
	v_add_f32_e32 v6, v6, v154
	v_mul_f32_e32 v154, v121, v163
	v_fma_f32 v149, v2, v159, -v122
	v_fmac_f32_e32 v148, v5, v158
	v_add_f32_e32 v7, v3, v127
	v_add_f32_e32 v6, v6, v138
	v_fma_f32 v150, v4, v158, -v123
	ds_read_b128 v[2:5], v1 offset:768
	ds_read_b128 v[122:125], v1 offset:784
	v_mul_f32_e32 v130, v119, v157
	v_add_f32_e32 v7, v7, v134
	v_add_f32_e32 v137, v6, v137
	v_mul_f32_e32 v134, v118, v157
	ds_read_b128 v[126:129], v1 offset:800
	v_add_f32_e32 v7, v7, v133
	v_add_f32_e32 v137, v137, v173
	v_fmac_f32_e32 v134, v119, v156
	v_fma_f32 v156, v118, v156, -v130
	v_add_f32_e32 v7, v7, v132
	v_add_f32_e32 v11, v137, v11
	ds_read_b128 v[130:133], v1 offset:816
	v_add_f32_e32 v11, v11, v148
	v_add_f32_e32 v11, v11, v134
	s_waitcnt vmcnt(23)
	v_fmac_f32_e32 v151, v121, v139
	v_fma_f32 v138, v120, v139, -v154
	v_add_f32_e32 v139, v7, v145
	s_waitcnt vmcnt(22) lgkmcnt(3)
	v_mul_f32_e32 v145, v2, v140
	v_mul_f32_e32 v140, v3, v140
	s_waitcnt vmcnt(21)
	v_mul_f32_e32 v154, v4, v141
	v_mul_f32_e32 v141, v5, v141
	v_add_f32_e32 v139, v139, v149
	s_waitcnt vmcnt(17)
	v_fmac_f32_e32 v145, v3, v153
	v_fma_f32 v2, v2, v153, -v140
	v_add_f32_e32 v11, v11, v151
	s_waitcnt lgkmcnt(2)
	v_mul_f32_e32 v140, v123, v142
	v_add_f32_e32 v139, v139, v150
	v_fma_f32 v4, v4, v152, -v141
	v_mul_f32_e32 v137, v122, v142
	v_fmac_f32_e32 v154, v5, v152
	v_add_f32_e32 v5, v11, v145
	v_add_f32_e32 v139, v139, v156
	v_fma_f32 v122, v122, v143, -v140
	v_fmac_f32_e32 v137, v123, v143
	ds_read_b128 v[118:121], v1 offset:832
	ds_read_b64 v[6:7], v1 offset:848
	v_add_f32_e32 v138, v139, v138
	s_waitcnt vmcnt(16)
	v_mul_f32_e32 v11, v125, v135
	v_mul_f32_e32 v149, v124, v135
	s_waitcnt vmcnt(15) lgkmcnt(3)
	v_mul_f32_e32 v150, v126, v155
	s_waitcnt vmcnt(14)
	v_mul_f32_e32 v148, v128, v171
	v_add_f32_e32 v2, v138, v2
	s_waitcnt vmcnt(13) lgkmcnt(2)
	v_mul_f32_e32 v156, v130, v172
	s_waitcnt vmcnt(12)
	v_mul_f32_e32 v3, v132, v136
	v_add_f32_e32 v2, v2, v4
	v_add_f32_e32 v4, v5, v154
	v_mul_f32_e32 v5, v127, v155
	s_waitcnt vmcnt(5)
	v_fma_f32 v11, v124, v174, -v11
	v_fmac_f32_e32 v149, v125, v174
	v_add_f32_e32 v2, v2, v122
	v_add_f32_e32 v4, v4, v137
	v_mul_f32_e32 v122, v129, v171
	v_fma_f32 v5, v126, v166, -v5
	v_fmac_f32_e32 v150, v127, v166
	v_add_f32_e32 v2, v2, v11
	v_add_f32_e32 v4, v4, v149
	v_mul_f32_e32 v11, v131, v172
	v_fma_f32 v122, v128, v165, -v122
	v_fmac_f32_e32 v148, v129, v165
	v_add_f32_e32 v2, v2, v5
	v_add_f32_e32 v4, v4, v150
	v_mul_f32_e32 v5, v133, v136
	v_fma_f32 v11, v130, v160, -v11
	v_fmac_f32_e32 v156, v131, v160
	v_add_f32_e32 v2, v2, v122
	v_add_f32_e32 v4, v4, v148
	s_waitcnt lgkmcnt(1)
	v_mul_f32_e32 v122, v119, v144
	s_waitcnt vmcnt(1)
	v_fma_f32 v5, v132, v168, -v5
	v_mul_f32_e32 v134, v118, v144
	v_add_f32_e32 v2, v2, v11
	v_fmac_f32_e32 v3, v133, v168
	v_add_f32_e32 v4, v4, v156
	v_mul_f32_e32 v11, v121, v146
	v_fma_f32 v118, v118, v167, -v122
	v_add_f32_e32 v2, v2, v5
	v_mul_f32_e32 v139, v120, v146
	v_fmac_f32_e32 v134, v119, v167
	v_add_f32_e32 v3, v4, v3
	s_waitcnt lgkmcnt(0)
	v_mul_f32_e32 v4, v7, v147
	v_fma_f32 v5, v120, v10, -v11
	v_add_f32_e32 v2, v2, v118
	v_mul_f32_e32 v142, v6, v147
	v_fmac_f32_e32 v139, v121, v10
	v_add_f32_e32 v3, v3, v134
	v_fma_f32 v4, v6, v8, -v4
	v_add_f32_e32 v2, v2, v5
	v_fmac_f32_e32 v142, v7, v8
	v_add_f32_e32 v3, v3, v139
	v_add_f32_e32 v2, v2, v4
	;; [unrolled: 1-line block ×3, first 2 shown]
	s_waitcnt vmcnt(0)
	v_sub_f32_e32 v2, v175, v2
	v_sub_f32_e32 v3, v164, v3
	buffer_store_dword v2, off, s[0:3], 0 offset:168
	buffer_store_dword v3, off, s[0:3], 0 offset:172
	v_cmpx_lt_u32_e32 20, v0
	s_cbranch_execz .LBB116_291
; %bb.290:
	s_clause 0x1
	buffer_load_dword v2, off, s[0:3], 0 offset:160
	buffer_load_dword v3, off, s[0:3], 0 offset:164
	buffer_store_dword v1, off, s[0:3], 0 offset:160
	buffer_store_dword v1, off, s[0:3], 0 offset:164
	s_waitcnt vmcnt(0)
	ds_write_b64 v9, v[2:3]
.LBB116_291:
	s_or_b32 exec_lo, exec_lo, s4
	s_waitcnt lgkmcnt(0)
	s_waitcnt_vscnt null, 0x0
	s_barrier
	buffer_gl0_inv
	s_clause 0x23
	buffer_load_dword v3, off, s[0:3], 0 offset:172
	buffer_load_dword v4, off, s[0:3], 0 offset:180
	;; [unrolled: 1-line block ×36, first 2 shown]
	ds_read2_b64 v[140:143], v1 offset0:75 offset1:76
	ds_read2_b64 v[144:147], v1 offset0:77 offset1:78
	s_clause 0x1
	buffer_load_dword v161, off, s[0:3], 0 offset:300
	buffer_load_dword v162, off, s[0:3], 0 offset:308
	ds_read2_b64 v[148:151], v1 offset0:79 offset1:80
	ds_read2_b64 v[152:155], v1 offset0:81 offset1:82
	buffer_load_dword v163, off, s[0:3], 0 offset:164
	s_mov_b32 s4, exec_lo
	s_waitcnt vmcnt(38) lgkmcnt(3)
	v_mul_f32_e32 v164, v140, v3
	v_mul_f32_e32 v3, v141, v3
	s_waitcnt vmcnt(37)
	v_mul_f32_e32 v165, v142, v4
	v_mul_f32_e32 v4, v143, v4
	s_waitcnt vmcnt(36) lgkmcnt(2)
	v_mul_f32_e32 v166, v144, v5
	s_waitcnt vmcnt(33)
	v_fmac_f32_e32 v164, v141, v8
	v_fma_f32 v8, v140, v8, -v3
	s_waitcnt vmcnt(32)
	v_mul_f32_e32 v167, v146, v7
	v_mul_f32_e32 v3, v145, v5
	;; [unrolled: 1-line block ×3, first 2 shown]
	v_fmac_f32_e32 v165, v143, v6
	v_fma_f32 v6, v142, v6, -v4
	v_fmac_f32_e32 v166, v145, v2
	s_waitcnt vmcnt(28)
	v_fmac_f32_e32 v167, v147, v123
	v_fma_f32 v7, v144, v2, -v3
	v_fma_f32 v123, v146, v123, -v5
	ds_read2_b64 v[2:5], v1 offset0:83 offset1:84
	ds_read2_b64 v[140:143], v1 offset0:85 offset1:86
	s_waitcnt vmcnt(27) lgkmcnt(3)
	v_mul_f32_e32 v168, v148, v122
	s_waitcnt vmcnt(26)
	v_mul_f32_e32 v169, v150, v121
	v_mul_f32_e32 v121, v151, v121
	;; [unrolled: 1-line block ×3, first 2 shown]
	s_waitcnt vmcnt(25) lgkmcnt(2)
	v_mul_f32_e32 v170, v152, v119
	v_fmac_f32_e32 v168, v149, v118
	v_fmac_f32_e32 v169, v151, v11
	v_fma_f32 v11, v150, v11, -v121
	v_fma_f32 v122, v148, v118, -v122
	s_waitcnt vmcnt(24)
	v_mul_f32_e32 v148, v154, v120
	v_mul_f32_e32 v118, v153, v119
	v_mul_f32_e32 v119, v155, v120
	v_fmac_f32_e32 v170, v153, v10
	s_waitcnt vmcnt(20)
	v_fmac_f32_e32 v148, v155, v131
	v_fma_f32 v10, v152, v10, -v118
	v_fma_f32 v131, v154, v131, -v119
	ds_read2_b64 v[118:121], v1 offset0:87 offset1:88
	ds_read2_b64 v[144:147], v1 offset0:89 offset1:90
	s_waitcnt vmcnt(19) lgkmcnt(3)
	v_mul_f32_e32 v149, v2, v129
	s_waitcnt vmcnt(18)
	v_mul_f32_e32 v150, v4, v130
	v_mul_f32_e32 v129, v3, v129
	;; [unrolled: 1-line block ×3, first 2 shown]
	buffer_load_dword v151, off, s[0:3], 0 offset:324
	v_fmac_f32_e32 v149, v3, v128
	v_fmac_f32_e32 v150, v5, v127
	v_fma_f32 v128, v2, v128, -v129
	v_fma_f32 v127, v4, v127, -v130
	s_waitcnt vmcnt(18) lgkmcnt(2)
	v_mul_f32_e32 v130, v140, v126
	v_mul_f32_e32 v2, v141, v126
	s_clause 0x3
	buffer_load_dword v152, off, s[0:3], 0 offset:344
	buffer_load_dword v153, off, s[0:3], 0 offset:336
	;; [unrolled: 1-line block ×4, first 2 shown]
	s_waitcnt vmcnt(21)
	v_mul_f32_e32 v126, v142, v125
	v_mul_f32_e32 v3, v143, v125
	v_fmac_f32_e32 v130, v141, v124
	v_fma_f32 v124, v140, v124, -v2
	buffer_load_dword v140, off, s[0:3], 0 offset:332
	s_waitcnt vmcnt(18)
	v_fmac_f32_e32 v126, v143, v139
	s_waitcnt vmcnt(17) lgkmcnt(1)
	v_mul_f32_e32 v143, v118, v137
	v_mul_f32_e32 v2, v119, v137
	v_fma_f32 v139, v142, v139, -v3
	s_clause 0x1
	buffer_load_dword v141, off, s[0:3], 0 offset:340
	buffer_load_dword v142, off, s[0:3], 0 offset:348
	s_waitcnt vmcnt(18)
	v_mul_f32_e32 v155, v120, v138
	v_mul_f32_e32 v3, v121, v138
	v_fmac_f32_e32 v143, v119, v135
	v_fma_f32 v135, v118, v135, -v2
	s_waitcnt vmcnt(16) lgkmcnt(0)
	v_mul_f32_e32 v2, v147, v134
	v_mul_f32_e32 v137, v144, v136
	;; [unrolled: 1-line block ×3, first 2 shown]
	v_fmac_f32_e32 v155, v121, v133
	v_fma_f32 v133, v120, v133, -v3
	v_mul_f32_e32 v136, v146, v134
	s_waitcnt vmcnt(11)
	v_fma_f32 v134, v146, v160, -v2
	v_add_f32_e32 v2, 0, v164
	v_add_f32_e32 v3, 0, v8
	s_clause 0x3
	buffer_load_dword v138, off, s[0:3], 0 offset:356
	buffer_load_dword v171, off, s[0:3], 0 offset:364
	;; [unrolled: 1-line block ×4, first 2 shown]
	v_fmac_f32_e32 v137, v145, v132
	v_fma_f32 v132, v144, v132, -v4
	s_clause 0x1
	buffer_load_dword v144, off, s[0:3], 0 offset:388
	buffer_load_dword v145, off, s[0:3], 0 offset:396
	v_fmac_f32_e32 v136, v147, v160
	s_clause 0x2
	buffer_load_dword v146, off, s[0:3], 0 offset:404
	buffer_load_dword v147, off, s[0:3], 0 offset:412
	;; [unrolled: 1-line block ×3, first 2 shown]
	v_add_f32_e32 v2, v2, v165
	v_add_f32_e32 v3, v3, v6
	s_clause 0x3
	buffer_load_dword v6, off, s[0:3], 0 offset:376
	buffer_load_dword v160, off, s[0:3], 0 offset:368
	;; [unrolled: 1-line block ×4, first 2 shown]
	v_add_f32_e32 v2, v2, v166
	v_add_f32_e32 v3, v3, v7
	;; [unrolled: 1-line block ×3, first 2 shown]
	s_clause 0x4
	buffer_load_dword v7, off, s[0:3], 0 offset:408
	buffer_load_dword v166, off, s[0:3], 0 offset:400
	;; [unrolled: 1-line block ×5, first 2 shown]
	v_add_f32_e32 v3, v3, v123
	ds_read2_b64 v[118:121], v1 offset0:93 offset1:94
	v_add_f32_e32 v2, v2, v168
	buffer_load_dword v168, off, s[0:3], 0 offset:416
	v_add_f32_e32 v3, v3, v122
	v_add_f32_e32 v2, v2, v169
	;; [unrolled: 1-line block ×5, first 2 shown]
	ds_read2_b64 v[2:5], v1 offset0:91 offset1:92
	v_add_f32_e32 v11, v11, v148
	v_add_f32_e32 v10, v10, v131
	v_add_f32_e32 v11, v11, v149
	v_add_f32_e32 v10, v10, v128
	v_add_f32_e32 v11, v11, v150
	v_add_f32_e32 v10, v10, v127
	v_add_f32_e32 v11, v11, v130
	v_add_f32_e32 v10, v10, v124
	s_waitcnt vmcnt(29) lgkmcnt(0)
	v_mul_f32_e32 v148, v2, v161
	v_mul_f32_e32 v122, v3, v161
	s_waitcnt vmcnt(28)
	v_mul_f32_e32 v149, v4, v162
	v_mul_f32_e32 v123, v5, v162
	v_add_f32_e32 v10, v10, v139
	v_fmac_f32_e32 v148, v3, v159
	v_fma_f32 v150, v2, v159, -v122
	v_fmac_f32_e32 v149, v5, v158
	v_fma_f32 v158, v4, v158, -v123
	ds_read2_b64 v[2:5], v1 offset0:95 offset1:96
	ds_read2_b64 v[122:125], v1 offset0:97 offset1:98
	v_add_f32_e32 v11, v11, v126
	v_add_f32_e32 v10, v10, v135
	v_mul_f32_e32 v159, v118, v157
	v_mul_f32_e32 v126, v119, v157
	v_add_f32_e32 v11, v11, v143
	v_add_f32_e32 v10, v10, v133
	v_fmac_f32_e32 v159, v119, v156
	v_fma_f32 v143, v118, v156, -v126
	v_add_f32_e32 v11, v11, v155
	v_add_f32_e32 v10, v10, v132
	;; [unrolled: 1-line block ×5, first 2 shown]
	s_waitcnt vmcnt(26)
	v_mul_f32_e32 v139, v120, v151
	v_mul_f32_e32 v127, v121, v151
	s_waitcnt vmcnt(22)
	v_fmac_f32_e32 v139, v121, v129
	v_fma_f32 v151, v120, v129, -v127
	ds_read2_b64 v[118:121], v1 offset0:99 offset1:100
	ds_read2_b64 v[126:129], v1 offset0:101 offset1:102
	;; [unrolled: 1-line block ×3, first 2 shown]
	s_waitcnt vmcnt(21) lgkmcnt(4)
	v_mul_f32_e32 v135, v3, v140
	v_mul_f32_e32 v155, v2, v140
	v_fma_f32 v2, v2, v154, -v135
	ds_read2_b64 v[134:137], v1 offset0:105 offset1:106
	v_add_f32_e32 v1, v10, v150
	v_fmac_f32_e32 v155, v3, v154
	v_add_f32_e32 v3, v11, v148
	s_waitcnt vmcnt(20)
	v_mul_f32_e32 v11, v5, v141
	v_mul_f32_e32 v10, v4, v141
	v_add_f32_e32 v1, v1, v158
	s_waitcnt vmcnt(19) lgkmcnt(4)
	v_mul_f32_e32 v140, v122, v142
	v_add_f32_e32 v3, v3, v149
	v_mul_f32_e32 v142, v123, v142
	v_fma_f32 v4, v4, v153, -v11
	v_add_f32_e32 v1, v1, v143
	v_fmac_f32_e32 v10, v5, v153
	v_add_f32_e32 v3, v3, v159
	s_waitcnt vmcnt(18)
	v_mul_f32_e32 v141, v124, v138
	v_mul_f32_e32 v138, v125, v138
	v_add_f32_e32 v1, v1, v151
	v_fma_f32 v122, v122, v152, -v142
	v_add_f32_e32 v3, v3, v139
	v_fmac_f32_e32 v140, v123, v152
	s_waitcnt vmcnt(17) lgkmcnt(3)
	v_mul_f32_e32 v5, v118, v171
	v_add_f32_e32 v1, v1, v2
	s_waitcnt vmcnt(6)
	v_fmac_f32_e32 v141, v125, v165
	v_add_f32_e32 v2, v3, v155
	v_mul_f32_e32 v11, v120, v172
	v_fmac_f32_e32 v5, v119, v164
	v_add_f32_e32 v1, v1, v4
	v_mul_f32_e32 v4, v119, v171
	v_add_f32_e32 v2, v2, v10
	v_fma_f32 v10, v124, v165, -v138
	s_waitcnt lgkmcnt(2)
	v_mul_f32_e32 v143, v126, v173
	v_add_f32_e32 v1, v1, v122
	v_mul_f32_e32 v122, v121, v172
	v_add_f32_e32 v2, v2, v140
	v_fma_f32 v4, v118, v164, -v4
	v_fmac_f32_e32 v11, v121, v160
	v_add_f32_e32 v1, v1, v10
	v_mul_f32_e32 v10, v127, v173
	v_add_f32_e32 v2, v2, v141
	v_fma_f32 v118, v120, v160, -v122
	v_mul_f32_e32 v148, v128, v144
	v_add_f32_e32 v1, v1, v4
	v_mul_f32_e32 v4, v129, v144
	v_add_f32_e32 v2, v2, v5
	v_fma_f32 v5, v126, v6, -v10
	v_fmac_f32_e32 v143, v127, v6
	v_add_f32_e32 v1, v1, v118
	s_waitcnt lgkmcnt(1)
	v_mul_f32_e32 v6, v131, v145
	v_add_f32_e32 v2, v2, v11
	s_waitcnt vmcnt(2)
	v_fma_f32 v4, v128, v174, -v4
	v_mul_f32_e32 v149, v130, v145
	v_add_f32_e32 v1, v1, v5
	v_fmac_f32_e32 v148, v129, v174
	v_add_f32_e32 v2, v2, v143
	v_mul_f32_e32 v5, v133, v146
	v_fma_f32 v6, v130, v167, -v6
	v_add_f32_e32 v1, v1, v4
	v_mul_f32_e32 v139, v132, v146
	v_fmac_f32_e32 v149, v131, v167
	v_add_f32_e32 v2, v2, v148
	s_waitcnt lgkmcnt(0)
	v_mul_f32_e32 v4, v135, v147
	v_fma_f32 v5, v132, v166, -v5
	v_add_f32_e32 v1, v1, v6
	v_mul_f32_e32 v150, v134, v147
	v_fmac_f32_e32 v139, v133, v166
	v_add_f32_e32 v2, v2, v149
	v_mul_f32_e32 v6, v137, v8
	v_fma_f32 v4, v134, v7, -v4
	v_add_f32_e32 v1, v1, v5
	v_mul_f32_e32 v3, v136, v8
	v_fmac_f32_e32 v150, v135, v7
	v_add_f32_e32 v2, v2, v139
	s_waitcnt vmcnt(0)
	v_fma_f32 v5, v136, v168, -v6
	v_add_f32_e32 v1, v1, v4
	v_fmac_f32_e32 v3, v137, v168
	v_add_f32_e32 v2, v2, v150
	v_add_f32_e32 v1, v1, v5
	;; [unrolled: 1-line block ×3, first 2 shown]
	v_sub_f32_e32 v1, v175, v1
	v_sub_f32_e32 v2, v163, v2
	buffer_store_dword v1, off, s[0:3], 0 offset:160
	buffer_store_dword v2, off, s[0:3], 0 offset:164
	v_cmpx_lt_u32_e32 19, v0
	s_cbranch_execz .LBB116_293
; %bb.292:
	s_clause 0x1
	buffer_load_dword v1, off, s[0:3], 0 offset:152
	buffer_load_dword v2, off, s[0:3], 0 offset:156
	v_mov_b32_e32 v3, 0
	buffer_store_dword v3, off, s[0:3], 0 offset:152
	buffer_store_dword v3, off, s[0:3], 0 offset:156
	s_waitcnt vmcnt(0)
	ds_write_b64 v9, v[1:2]
.LBB116_293:
	s_or_b32 exec_lo, exec_lo, s4
	s_waitcnt lgkmcnt(0)
	s_waitcnt_vscnt null, 0x0
	s_barrier
	buffer_gl0_inv
	s_clause 0x23
	buffer_load_dword v11, off, s[0:3], 0 offset:164
	buffer_load_dword v119, off, s[0:3], 0 offset:172
	;; [unrolled: 1-line block ×36, first 2 shown]
	v_mov_b32_e32 v10, 0
	ds_read_b128 v[5:8], v10 offset:592
	ds_read_b128 v[1:4], v10 offset:608
	buffer_load_dword v161, off, s[0:3], 0 offset:156
	ds_read_b128 v[153:156], v10 offset:624
	ds_read_b128 v[157:160], v10 offset:640
	s_mov_b32 s4, exec_lo
	s_waitcnt vmcnt(36) lgkmcnt(3)
	v_mul_f32_e32 v162, v5, v11
	v_mul_f32_e32 v11, v6, v11
	s_waitcnt vmcnt(35)
	v_mul_f32_e32 v163, v7, v119
	v_mul_f32_e32 v119, v8, v119
	s_waitcnt vmcnt(34) lgkmcnt(2)
	v_mul_f32_e32 v164, v1, v120
	v_mul_f32_e32 v120, v2, v120
	s_waitcnt vmcnt(31)
	v_fmac_f32_e32 v162, v6, v123
	v_fma_f32 v11, v5, v123, -v11
	s_waitcnt vmcnt(30)
	v_mul_f32_e32 v123, v3, v121
	v_mul_f32_e32 v165, v4, v121
	v_fmac_f32_e32 v163, v8, v122
	v_fma_f32 v122, v7, v122, -v119
	ds_read_b128 v[5:8], v10 offset:656
	v_fmac_f32_e32 v164, v2, v118
	v_fma_f32 v166, v1, v118, -v120
	ds_read_b128 v[118:121], v10 offset:672
	s_waitcnt vmcnt(26)
	v_fmac_f32_e32 v123, v4, v132
	v_fma_f32 v132, v3, v132, -v165
	s_waitcnt vmcnt(25) lgkmcnt(3)
	v_mul_f32_e32 v165, v153, v130
	s_waitcnt vmcnt(24)
	v_mul_f32_e32 v167, v155, v131
	v_mul_f32_e32 v1, v154, v130
	;; [unrolled: 1-line block ×3, first 2 shown]
	s_clause 0x1
	buffer_load_dword v130, off, s[0:3], 0 offset:300
	buffer_load_dword v131, off, s[0:3], 0 offset:308
	v_fmac_f32_e32 v165, v154, v127
	v_fmac_f32_e32 v167, v156, v125
	v_fma_f32 v127, v153, v127, -v1
	v_fma_f32 v125, v155, v125, -v2
	ds_read_b128 v[1:4], v10 offset:688
	s_waitcnt vmcnt(25) lgkmcnt(3)
	v_mul_f32_e32 v153, v157, v128
	v_mul_f32_e32 v128, v158, v128
	s_waitcnt vmcnt(24)
	v_mul_f32_e32 v154, v159, v126
	v_mul_f32_e32 v126, v160, v126
	s_waitcnt vmcnt(23) lgkmcnt(2)
	v_mul_f32_e32 v155, v5, v129
	v_fmac_f32_e32 v153, v158, v124
	v_fma_f32 v124, v157, v124, -v128
	s_waitcnt vmcnt(22)
	v_mul_f32_e32 v128, v7, v133
	v_mul_f32_e32 v129, v6, v129
	;; [unrolled: 1-line block ×3, first 2 shown]
	s_waitcnt vmcnt(18)
	v_fma_f32 v126, v159, v140, -v126
	v_fmac_f32_e32 v155, v6, v138
	v_fmac_f32_e32 v128, v8, v137
	v_fma_f32 v129, v5, v138, -v129
	v_fma_f32 v133, v7, v137, -v133
	s_clause 0x5
	buffer_load_dword v137, off, s[0:3], 0 offset:316
	buffer_load_dword v138, off, s[0:3], 0 offset:324
	;; [unrolled: 1-line block ×6, first 2 shown]
	v_fmac_f32_e32 v154, v160, v140
	s_waitcnt vmcnt(23) lgkmcnt(1)
	v_mul_f32_e32 v140, v118, v139
	v_mul_f32_e32 v139, v119, v139
	s_waitcnt vmcnt(22)
	v_mul_f32_e32 v160, v120, v135
	v_mul_f32_e32 v135, v121, v135
	ds_read_b128 v[5:8], v10 offset:704
	v_fmac_f32_e32 v140, v119, v134
	v_fma_f32 v118, v118, v134, -v139
	s_waitcnt vmcnt(18)
	v_fmac_f32_e32 v160, v121, v151
	v_fma_f32 v119, v120, v151, -v135
	s_waitcnt vmcnt(17) lgkmcnt(1)
	v_mul_f32_e32 v120, v1, v149
	v_mul_f32_e32 v121, v2, v149
	s_clause 0x1
	buffer_load_dword v139, off, s[0:3], 0 offset:332
	buffer_load_dword v149, off, s[0:3], 0 offset:340
	v_add_f32_e32 v11, 0, v11
	s_waitcnt vmcnt(18)
	v_mul_f32_e32 v134, v3, v150
	v_mul_f32_e32 v135, v4, v150
	v_fma_f32 v121, v1, v146, -v121
	v_add_f32_e32 v1, 0, v162
	v_add_f32_e32 v11, v11, v122
	v_fmac_f32_e32 v120, v2, v146
	v_fmac_f32_e32 v134, v4, v145
	v_fma_f32 v135, v3, v145, -v135
	v_add_f32_e32 v162, v1, v163
	s_clause 0x3
	buffer_load_dword v145, off, s[0:3], 0 offset:348
	buffer_load_dword v146, off, s[0:3], 0 offset:356
	;; [unrolled: 1-line block ×4, first 2 shown]
	ds_read_b128 v[1:4], v10 offset:720
	s_waitcnt vmcnt(21) lgkmcnt(1)
	v_mul_f32_e32 v163, v5, v144
	v_mul_f32_e32 v122, v6, v144
	v_add_f32_e32 v144, v162, v164
	v_add_f32_e32 v11, v11, v166
	s_waitcnt vmcnt(20)
	v_mul_f32_e32 v162, v7, v143
	v_fmac_f32_e32 v163, v6, v141
	v_fma_f32 v141, v5, v141, -v122
	v_add_f32_e32 v5, v144, v123
	v_mul_f32_e32 v143, v8, v143
	v_add_f32_e32 v6, v11, v132
	s_clause 0x3
	buffer_load_dword v11, off, s[0:3], 0 offset:380
	buffer_load_dword v132, off, s[0:3], 0 offset:388
	;; [unrolled: 1-line block ×4, first 2 shown]
	s_waitcnt vmcnt(20)
	v_fmac_f32_e32 v162, v8, v152
	v_add_f32_e32 v5, v5, v165
	v_fma_f32 v143, v7, v152, -v143
	s_clause 0x5
	buffer_load_dword v152, off, s[0:3], 0 offset:412
	buffer_load_dword v165, off, s[0:3], 0 offset:368
	buffer_load_dword v166, off, s[0:3], 0 offset:360
	buffer_load_dword v168, off, s[0:3], 0 offset:352
	buffer_load_dword v169, off, s[0:3], 0 offset:344
	buffer_load_dword v170, off, s[0:3], 0 offset:420
	v_add_f32_e32 v6, v6, v127
	v_add_f32_e32 v5, v5, v167
	;; [unrolled: 1-line block ×4, first 2 shown]
	s_waitcnt vmcnt(25) lgkmcnt(0)
	v_mul_f32_e32 v153, v1, v148
	ds_read_b128 v[5:8], v10 offset:736
	v_add_f32_e32 v122, v122, v124
	v_mul_f32_e32 v124, v2, v148
	v_add_f32_e32 v123, v123, v154
	v_fmac_f32_e32 v153, v2, v147
	v_fma_f32 v127, v1, v147, -v124
	v_add_f32_e32 v2, v123, v155
	s_clause 0x5
	buffer_load_dword v147, off, s[0:3], 0 offset:400
	buffer_load_dword v148, off, s[0:3], 0 offset:392
	;; [unrolled: 1-line block ×6, first 2 shown]
	v_add_f32_e32 v1, v122, v126
	v_add_f32_e32 v2, v2, v128
	;; [unrolled: 1-line block ×5, first 2 shown]
	buffer_load_dword v133, off, s[0:3], 0 offset:152
	v_add_f32_e32 v122, v122, v160
	v_add_f32_e32 v118, v1, v118
	;; [unrolled: 1-line block ×6, first 2 shown]
	ds_read_b128 v[118:121], v10 offset:768
	v_add_f32_e32 v128, v128, v163
	v_add_f32_e32 v126, v124, v135
	;; [unrolled: 1-line block ×4, first 2 shown]
	s_waitcnt vmcnt(30)
	v_mul_f32_e32 v140, v3, v130
	v_mul_f32_e32 v2, v4, v130
	s_waitcnt vmcnt(29) lgkmcnt(1)
	v_mul_f32_e32 v123, v6, v131
	v_fmac_f32_e32 v140, v4, v142
	v_fma_f32 v130, v3, v142, -v2
	ds_read_b128 v[1:4], v10 offset:752
	v_mul_f32_e32 v142, v5, v131
	v_fmac_f32_e32 v142, v6, v136
	v_fma_f32 v136, v5, v136, -v123
	s_waitcnt vmcnt(28)
	v_mul_f32_e32 v160, v7, v137
	v_mul_f32_e32 v125, v8, v137
	s_waitcnt vmcnt(23)
	v_fmac_f32_e32 v160, v8, v159
	v_fma_f32 v135, v7, v159, -v125
	ds_read_b128 v[5:8], v10 offset:784
	ds_read_b128 v[122:125], v10 offset:800
	s_waitcnt lgkmcnt(2)
	v_mul_f32_e32 v129, v2, v138
	v_mul_f32_e32 v134, v1, v138
	v_fma_f32 v138, v1, v158, -v129
	v_add_f32_e32 v1, v128, v162
	s_waitcnt vmcnt(22)
	v_mul_f32_e32 v137, v3, v139
	v_mul_f32_e32 v131, v4, v139
	v_add_f32_e32 v139, v126, v127
	v_fmac_f32_e32 v134, v2, v158
	v_add_f32_e32 v143, v1, v153
	v_fmac_f32_e32 v137, v4, v157
	v_fma_f32 v141, v3, v157, -v131
	v_add_f32_e32 v139, v139, v130
	s_waitcnt vmcnt(21)
	v_mul_f32_e32 v153, v118, v149
	v_add_f32_e32 v140, v143, v140
	s_waitcnt vmcnt(20)
	v_mul_f32_e32 v143, v120, v145
	v_mul_f32_e32 v145, v121, v145
	v_add_f32_e32 v136, v139, v136
	v_mul_f32_e32 v139, v119, v149
	v_add_f32_e32 v140, v140, v142
	v_fmac_f32_e32 v153, v119, v156
	ds_read_b128 v[126:129], v10 offset:816
	ds_read_b128 v[1:4], v10 offset:832
	v_add_f32_e32 v135, v136, v135
	v_add_f32_e32 v140, v140, v160
	v_fma_f32 v118, v118, v156, -v139
	s_waitcnt vmcnt(19) lgkmcnt(3)
	v_mul_f32_e32 v142, v5, v146
	s_waitcnt vmcnt(18)
	v_mul_f32_e32 v136, v7, v150
	v_add_f32_e32 v135, v135, v138
	v_add_f32_e32 v134, v140, v134
	s_waitcnt vmcnt(17) lgkmcnt(2)
	v_mul_f32_e32 v149, v122, v151
	s_waitcnt vmcnt(16)
	v_mul_f32_e32 v157, v124, v11
	s_waitcnt vmcnt(9)
	v_fmac_f32_e32 v142, v6, v168
	v_add_f32_e32 v135, v135, v141
	v_add_f32_e32 v134, v134, v137
	v_mul_f32_e32 v141, v6, v146
	s_waitcnt vmcnt(8)
	v_fma_f32 v120, v120, v169, -v145
	v_fmac_f32_e32 v143, v121, v169
	v_add_f32_e32 v118, v135, v118
	v_add_f32_e32 v121, v134, v153
	v_mul_f32_e32 v134, v8, v150
	v_fma_f32 v5, v5, v168, -v141
	v_fmac_f32_e32 v136, v8, v166
	v_add_f32_e32 v6, v118, v120
	v_add_f32_e32 v118, v121, v143
	v_mul_f32_e32 v120, v123, v151
	v_fma_f32 v7, v7, v166, -v134
	v_mul_f32_e32 v8, v125, v11
	v_add_f32_e32 v5, v6, v5
	v_add_f32_e32 v6, v118, v142
	v_fma_f32 v11, v122, v165, -v120
	v_fmac_f32_e32 v149, v123, v165
	ds_read_b64 v[130:131], v10 offset:848
	v_add_f32_e32 v5, v5, v7
	v_add_f32_e32 v6, v6, v136
	s_waitcnt lgkmcnt(2)
	v_mul_f32_e32 v7, v127, v132
	s_waitcnt vmcnt(3)
	v_fma_f32 v8, v124, v155, -v8
	v_mul_f32_e32 v138, v126, v132
	v_add_f32_e32 v5, v5, v11
	v_fmac_f32_e32 v157, v125, v155
	v_add_f32_e32 v6, v6, v149
	v_mul_f32_e32 v11, v129, v144
	v_fma_f32 v7, v126, v154, -v7
	v_add_f32_e32 v5, v5, v8
	v_mul_f32_e32 v119, v128, v144
	v_fmac_f32_e32 v138, v127, v154
	v_add_f32_e32 v6, v6, v157
	s_waitcnt lgkmcnt(1)
	v_mul_f32_e32 v139, v1, v164
	v_mul_f32_e32 v8, v2, v164
	v_fma_f32 v11, v128, v148, -v11
	v_add_f32_e32 v5, v5, v7
	v_fmac_f32_e32 v119, v129, v148
	v_add_f32_e32 v6, v6, v138
	v_mul_f32_e32 v7, v4, v152
	v_fmac_f32_e32 v139, v2, v147
	v_fma_f32 v1, v1, v147, -v8
	v_add_f32_e32 v2, v5, v11
	v_mul_f32_e32 v140, v3, v152
	v_add_f32_e32 v5, v6, v119
	s_waitcnt lgkmcnt(0)
	v_mul_f32_e32 v6, v131, v170
	s_waitcnt vmcnt(1)
	v_fma_f32 v3, v3, v171, -v7
	v_add_f32_e32 v1, v2, v1
	v_mul_f32_e32 v137, v130, v170
	v_fmac_f32_e32 v140, v4, v171
	v_add_f32_e32 v2, v5, v139
	v_fma_f32 v4, v130, v167, -v6
	v_add_f32_e32 v1, v1, v3
	v_fmac_f32_e32 v137, v131, v167
	v_add_f32_e32 v2, v2, v140
	v_add_f32_e32 v1, v1, v4
	v_add_f32_e32 v2, v2, v137
	s_waitcnt vmcnt(0)
	v_sub_f32_e32 v1, v133, v1
	v_sub_f32_e32 v2, v161, v2
	buffer_store_dword v1, off, s[0:3], 0 offset:152
	buffer_store_dword v2, off, s[0:3], 0 offset:156
	v_cmpx_lt_u32_e32 18, v0
	s_cbranch_execz .LBB116_295
; %bb.294:
	s_clause 0x1
	buffer_load_dword v1, off, s[0:3], 0 offset:144
	buffer_load_dword v2, off, s[0:3], 0 offset:148
	buffer_store_dword v10, off, s[0:3], 0 offset:144
	buffer_store_dword v10, off, s[0:3], 0 offset:148
	s_waitcnt vmcnt(0)
	ds_write_b64 v9, v[1:2]
.LBB116_295:
	s_or_b32 exec_lo, exec_lo, s4
	s_waitcnt lgkmcnt(0)
	s_waitcnt_vscnt null, 0x0
	s_barrier
	buffer_gl0_inv
	s_clause 0x23
	buffer_load_dword v151, off, s[0:3], 0 offset:156
	buffer_load_dword v152, off, s[0:3], 0 offset:164
	;; [unrolled: 1-line block ×36, first 2 shown]
	ds_read2_b64 v[5:8], v10 offset0:73 offset1:74
	ds_read2_b64 v[1:4], v10 offset0:75 offset1:76
	;; [unrolled: 1-line block ×3, first 2 shown]
	s_clause 0x1
	buffer_load_dword v161, off, s[0:3], 0 offset:292
	buffer_load_dword v162, off, s[0:3], 0 offset:300
	ds_read2_b64 v[157:160], v10 offset0:79 offset1:80
	buffer_load_dword v165, off, s[0:3], 0 offset:148
	s_mov_b32 s4, exec_lo
	s_waitcnt vmcnt(38) lgkmcnt(3)
	v_mul_f32_e32 v163, v5, v151
	s_waitcnt vmcnt(37)
	v_mul_f32_e32 v164, v7, v152
	v_mul_f32_e32 v151, v6, v151
	;; [unrolled: 1-line block ×3, first 2 shown]
	s_waitcnt vmcnt(34)
	v_fmac_f32_e32 v163, v6, v123
	v_fmac_f32_e32 v164, v8, v122
	v_fma_f32 v123, v5, v123, -v151
	v_fma_f32 v122, v7, v122, -v152
	ds_read2_b64 v[5:8], v10 offset0:81 offset1:82
	s_waitcnt vmcnt(33) lgkmcnt(3)
	v_mul_f32_e32 v151, v1, v120
	v_mul_f32_e32 v120, v2, v120
	s_waitcnt vmcnt(32)
	v_mul_f32_e32 v152, v3, v119
	v_mul_f32_e32 v119, v4, v119
	s_waitcnt vmcnt(31) lgkmcnt(2)
	v_mul_f32_e32 v166, v153, v118
	v_mul_f32_e32 v118, v154, v118
	v_fmac_f32_e32 v151, v2, v11
	v_fma_f32 v11, v1, v11, -v120
	s_waitcnt vmcnt(26)
	v_fmac_f32_e32 v152, v4, v129
	v_fma_f32 v129, v3, v129, -v119
	ds_read2_b64 v[1:4], v10 offset0:83 offset1:84
	v_mul_f32_e32 v167, v155, v121
	v_mul_f32_e32 v120, v156, v121
	v_fmac_f32_e32 v166, v154, v128
	v_fma_f32 v128, v153, v128, -v118
	s_waitcnt vmcnt(25) lgkmcnt(2)
	v_mul_f32_e32 v153, v157, v125
	s_waitcnt vmcnt(24)
	v_mul_f32_e32 v154, v159, v126
	v_mul_f32_e32 v125, v158, v125
	;; [unrolled: 1-line block ×3, first 2 shown]
	v_fmac_f32_e32 v167, v156, v127
	v_fma_f32 v127, v155, v127, -v120
	ds_read2_b64 v[118:121], v10 offset0:85 offset1:86
	v_fmac_f32_e32 v153, v158, v124
	s_waitcnt vmcnt(19)
	v_fmac_f32_e32 v154, v160, v140
	v_fma_f32 v124, v157, v124, -v125
	v_fma_f32 v125, v159, v140, -v126
	s_clause 0x4
	buffer_load_dword v126, off, s[0:3], 0 offset:308
	buffer_load_dword v140, off, s[0:3], 0 offset:328
	;; [unrolled: 1-line block ×5, first 2 shown]
	s_waitcnt lgkmcnt(2)
	v_mul_f32_e32 v155, v5, v130
	v_mul_f32_e32 v130, v6, v130
	s_waitcnt vmcnt(23)
	v_mul_f32_e32 v159, v7, v136
	v_mul_f32_e32 v136, v8, v136
	v_fmac_f32_e32 v155, v6, v135
	v_fma_f32 v5, v5, v135, -v130
	s_waitcnt vmcnt(22) lgkmcnt(1)
	v_mul_f32_e32 v130, v1, v133
	v_fmac_f32_e32 v159, v8, v132
	v_fma_f32 v132, v7, v132, -v136
	s_waitcnt vmcnt(21)
	v_mul_f32_e32 v135, v3, v134
	v_mul_f32_e32 v6, v2, v133
	v_mul_f32_e32 v7, v4, v134
	s_clause 0x2
	buffer_load_dword v133, off, s[0:3], 0 offset:316
	buffer_load_dword v134, off, s[0:3], 0 offset:324
	;; [unrolled: 1-line block ×3, first 2 shown]
	v_fmac_f32_e32 v130, v2, v131
	s_waitcnt vmcnt(20)
	v_fmac_f32_e32 v135, v4, v149
	v_fma_f32 v131, v1, v131, -v6
	v_fma_f32 v149, v3, v149, -v7
	ds_read2_b64 v[1:4], v10 offset0:87 offset1:88
	v_add_f32_e32 v6, 0, v163
	v_add_f32_e32 v7, 0, v123
	s_waitcnt vmcnt(19) lgkmcnt(1)
	v_mul_f32_e32 v160, v118, v146
	s_waitcnt vmcnt(18)
	v_mul_f32_e32 v168, v120, v147
	v_mul_f32_e32 v8, v119, v146
	v_add_f32_e32 v6, v6, v164
	v_mul_f32_e32 v123, v121, v147
	v_add_f32_e32 v7, v7, v122
	v_fmac_f32_e32 v160, v119, v144
	v_fmac_f32_e32 v168, v121, v143
	v_add_f32_e32 v6, v6, v151
	v_fma_f32 v118, v118, v144, -v8
	v_fma_f32 v122, v120, v143, -v123
	v_add_f32_e32 v7, v7, v11
	s_clause 0x7
	buffer_load_dword v11, off, s[0:3], 0 offset:340
	buffer_load_dword v143, off, s[0:3], 0 offset:348
	;; [unrolled: 1-line block ×8, first 2 shown]
	v_add_f32_e32 v6, v6, v152
	v_add_f32_e32 v7, v7, v129
	s_waitcnt vmcnt(25) lgkmcnt(0)
	v_mul_f32_e32 v8, v2, v141
	v_mul_f32_e32 v123, v1, v141
	s_clause 0x3
	buffer_load_dword v141, off, s[0:3], 0 offset:372
	buffer_load_dword v152, off, s[0:3], 0 offset:380
	;; [unrolled: 1-line block ×4, first 2 shown]
	v_fma_f32 v129, v1, v138, -v8
	v_add_f32_e32 v1, v6, v166
	v_add_f32_e32 v6, v7, v128
	v_fmac_f32_e32 v123, v2, v138
	s_waitcnt vmcnt(28)
	v_mul_f32_e32 v128, v3, v139
	v_mul_f32_e32 v2, v4, v139
	v_add_f32_e32 v7, v1, v167
	s_clause 0x2
	buffer_load_dword v138, off, s[0:3], 0 offset:404
	buffer_load_dword v166, off, s[0:3], 0 offset:412
	;; [unrolled: 1-line block ×3, first 2 shown]
	s_waitcnt vmcnt(27)
	v_fmac_f32_e32 v128, v4, v150
	v_fma_f32 v150, v3, v150, -v2
	v_add_f32_e32 v7, v7, v153
	ds_read2_b64 v[1:4], v10 offset0:89 offset1:90
	v_add_f32_e32 v6, v6, v127
	v_add_f32_e32 v7, v7, v154
	s_clause 0x3
	buffer_load_dword v153, off, s[0:3], 0 offset:392
	buffer_load_dword v154, off, s[0:3], 0 offset:384
	;; [unrolled: 1-line block ×4, first 2 shown]
	v_add_f32_e32 v6, v6, v124
	v_add_f32_e32 v119, v7, v155
	;; [unrolled: 1-line block ×5, first 2 shown]
	ds_read2_b64 v[5:8], v10 offset0:91 offset1:92
	s_waitcnt vmcnt(30) lgkmcnt(1)
	v_mul_f32_e32 v127, v1, v148
	v_mul_f32_e32 v121, v2, v148
	s_clause 0x3
	buffer_load_dword v148, off, s[0:3], 0 offset:416
	buffer_load_dword v155, off, s[0:3], 0 offset:408
	;; [unrolled: 1-line block ×4, first 2 shown]
	v_fmac_f32_e32 v127, v2, v145
	v_fma_f32 v145, v1, v145, -v121
	v_add_f32_e32 v1, v120, v132
	v_add_f32_e32 v2, v119, v130
	s_waitcnt vmcnt(33)
	v_mul_f32_e32 v130, v3, v161
	v_mul_f32_e32 v119, v4, v161
	v_add_f32_e32 v1, v1, v131
	v_add_f32_e32 v2, v2, v135
	v_fmac_f32_e32 v130, v4, v142
	v_fma_f32 v131, v3, v142, -v119
	v_add_f32_e32 v120, v1, v149
	v_add_f32_e32 v124, v2, v160
	ds_read2_b64 v[1:4], v10 offset0:93 offset1:94
	s_waitcnt vmcnt(32) lgkmcnt(1)
	v_mul_f32_e32 v132, v5, v162
	v_mul_f32_e32 v135, v6, v162
	v_add_f32_e32 v125, v120, v118
	ds_read2_b64 v[118:121], v10 offset0:95 offset1:96
	v_add_f32_e32 v124, v124, v168
	v_fmac_f32_e32 v132, v6, v137
	v_fma_f32 v135, v5, v137, -v135
	v_add_f32_e32 v122, v125, v122
	v_add_f32_e32 v129, v122, v129
	s_waitcnt vmcnt(30)
	v_mul_f32_e32 v142, v7, v126
	v_mul_f32_e32 v125, v8, v126
	v_add_f32_e32 v126, v124, v123
	s_waitcnt vmcnt(26)
	v_fmac_f32_e32 v142, v8, v158
	v_fma_f32 v137, v7, v158, -v125
	v_add_f32_e32 v126, v126, v128
	v_add_f32_e32 v128, v129, v150
	ds_read2_b64 v[5:8], v10 offset0:97 offset1:98
	ds_read2_b64 v[122:125], v10 offset0:99 offset1:100
	v_add_f32_e32 v126, v126, v127
	v_add_f32_e32 v145, v128, v145
	s_waitcnt vmcnt(25) lgkmcnt(3)
	v_mul_f32_e32 v149, v1, v133
	s_waitcnt vmcnt(24)
	v_mul_f32_e32 v150, v3, v134
	v_mul_f32_e32 v129, v2, v133
	;; [unrolled: 1-line block ×3, first 2 shown]
	s_waitcnt vmcnt(23) lgkmcnt(2)
	v_mul_f32_e32 v134, v118, v136
	v_add_f32_e32 v130, v126, v130
	v_add_f32_e32 v145, v145, v131
	v_mul_f32_e32 v136, v119, v136
	v_fmac_f32_e32 v149, v2, v157
	v_fmac_f32_e32 v150, v4, v156
	v_fma_f32 v157, v1, v157, -v129
	v_fma_f32 v156, v3, v156, -v133
	ds_read2_b64 v[1:4], v10 offset0:101 offset1:102
	ds_read2_b64 v[126:129], v10 offset0:103 offset1:104
	v_fmac_f32_e32 v134, v119, v140
	v_add_f32_e32 v119, v130, v132
	ds_read2_b64 v[130:133], v10 offset0:105 offset1:106
	v_add_f32_e32 v10, v145, v135
	v_fma_f32 v118, v118, v140, -v136
	s_waitcnt vmcnt(22)
	v_mul_f32_e32 v135, v120, v11
	v_add_f32_e32 v119, v119, v142
	v_mul_f32_e32 v11, v121, v11
	v_add_f32_e32 v10, v10, v137
	s_waitcnt vmcnt(21) lgkmcnt(4)
	v_mul_f32_e32 v136, v5, v143
	v_mul_f32_e32 v140, v6, v143
	v_add_f32_e32 v119, v119, v149
	s_waitcnt vmcnt(15)
	v_fma_f32 v11, v120, v164, -v11
	v_add_f32_e32 v10, v10, v157
	v_fmac_f32_e32 v135, v121, v164
	v_mul_f32_e32 v137, v7, v144
	v_add_f32_e32 v119, v119, v150
	v_mul_f32_e32 v144, v8, v144
	v_add_f32_e32 v10, v10, v156
	v_fmac_f32_e32 v136, v6, v163
	v_fma_f32 v5, v5, v163, -v140
	s_waitcnt lgkmcnt(3)
	v_mul_f32_e32 v120, v122, v146
	v_fma_f32 v7, v7, v151, -v144
	v_add_f32_e32 v10, v10, v118
	v_add_f32_e32 v118, v119, v134
	v_fmac_f32_e32 v137, v8, v151
	s_waitcnt vmcnt(14)
	v_mul_f32_e32 v8, v125, v141
	v_mul_f32_e32 v121, v124, v141
	v_add_f32_e32 v6, v10, v11
	v_add_f32_e32 v10, v118, v135
	v_mul_f32_e32 v11, v123, v146
	v_fmac_f32_e32 v120, v123, v147
	s_waitcnt vmcnt(13) lgkmcnt(2)
	v_mul_f32_e32 v142, v1, v152
	v_add_f32_e32 v5, v6, v5
	v_add_f32_e32 v6, v10, v136
	v_fma_f32 v10, v122, v147, -v11
	s_waitcnt vmcnt(4)
	v_fma_f32 v8, v124, v171, -v8
	v_fmac_f32_e32 v121, v125, v171
	v_add_f32_e32 v5, v5, v7
	v_add_f32_e32 v6, v6, v137
	v_mul_f32_e32 v7, v2, v152
	v_fmac_f32_e32 v142, v2, v167
	v_mul_f32_e32 v143, v3, v169
	v_add_f32_e32 v5, v5, v10
	v_add_f32_e32 v6, v6, v120
	v_mul_f32_e32 v10, v4, v169
	v_fma_f32 v1, v1, v167, -v7
	s_waitcnt lgkmcnt(1)
	v_mul_f32_e32 v145, v126, v170
	v_add_f32_e32 v2, v5, v8
	v_add_f32_e32 v5, v6, v121
	v_mul_f32_e32 v6, v127, v170
	v_fma_f32 v3, v3, v154, -v10
	v_fmac_f32_e32 v143, v4, v154
	v_add_f32_e32 v1, v2, v1
	v_add_f32_e32 v2, v5, v142
	v_mul_f32_e32 v4, v129, v138
	v_fma_f32 v5, v126, v153, -v6
	v_mul_f32_e32 v149, v128, v138
	v_add_f32_e32 v1, v1, v3
	v_fmac_f32_e32 v145, v127, v153
	v_add_f32_e32 v2, v2, v143
	s_waitcnt lgkmcnt(0)
	v_mul_f32_e32 v3, v131, v166
	s_waitcnt vmcnt(1)
	v_fma_f32 v4, v128, v159, -v4
	v_add_f32_e32 v1, v1, v5
	v_mul_f32_e32 v150, v130, v166
	v_fmac_f32_e32 v149, v129, v159
	v_add_f32_e32 v2, v2, v145
	v_mul_f32_e32 v5, v133, v139
	v_fma_f32 v3, v130, v155, -v3
	v_add_f32_e32 v1, v1, v4
	v_mul_f32_e32 v119, v132, v139
	v_fmac_f32_e32 v150, v131, v155
	v_add_f32_e32 v2, v2, v149
	v_fma_f32 v4, v132, v148, -v5
	v_add_f32_e32 v1, v1, v3
	v_fmac_f32_e32 v119, v133, v148
	v_add_f32_e32 v2, v2, v150
	v_add_f32_e32 v1, v1, v4
	;; [unrolled: 1-line block ×3, first 2 shown]
	s_waitcnt vmcnt(0)
	v_sub_f32_e32 v1, v172, v1
	v_sub_f32_e32 v2, v165, v2
	buffer_store_dword v1, off, s[0:3], 0 offset:144
	buffer_store_dword v2, off, s[0:3], 0 offset:148
	v_cmpx_lt_u32_e32 17, v0
	s_cbranch_execz .LBB116_297
; %bb.296:
	s_clause 0x1
	buffer_load_dword v1, off, s[0:3], 0 offset:136
	buffer_load_dword v2, off, s[0:3], 0 offset:140
	v_mov_b32_e32 v3, 0
	buffer_store_dword v3, off, s[0:3], 0 offset:136
	buffer_store_dword v3, off, s[0:3], 0 offset:140
	s_waitcnt vmcnt(0)
	ds_write_b64 v9, v[1:2]
.LBB116_297:
	s_or_b32 exec_lo, exec_lo, s4
	s_waitcnt lgkmcnt(0)
	s_waitcnt_vscnt null, 0x0
	s_barrier
	buffer_gl0_inv
	s_clause 0x2a
	buffer_load_dword v7, off, s[0:3], 0 offset:148
	buffer_load_dword v8, off, s[0:3], 0 offset:156
	;; [unrolled: 1-line block ×43, first 2 shown]
	v_mov_b32_e32 v1, 0
	ds_read_b128 v[148:151], v1 offset:576
	ds_read_b128 v[152:155], v1 offset:592
	;; [unrolled: 1-line block ×3, first 2 shown]
	buffer_load_dword v166, off, s[0:3], 0 offset:140
	s_mov_b32 s4, exec_lo
	s_waitcnt vmcnt(43) lgkmcnt(2)
	v_mul_f32_e32 v164, v148, v7
	s_waitcnt vmcnt(42)
	v_mul_f32_e32 v165, v150, v8
	v_mul_f32_e32 v7, v149, v7
	;; [unrolled: 1-line block ×3, first 2 shown]
	s_waitcnt vmcnt(39)
	v_fmac_f32_e32 v164, v149, v6
	v_fmac_f32_e32 v165, v151, v5
	v_fma_f32 v167, v148, v6, -v7
	v_fma_f32 v168, v150, v5, -v8
	ds_read_b128 v[5:8], v1 offset:624
	ds_read_b128 v[148:151], v1 offset:640
	s_waitcnt vmcnt(38) lgkmcnt(3)
	v_mul_f32_e32 v169, v152, v3
	v_mul_f32_e32 v3, v153, v3
	s_waitcnt vmcnt(37)
	v_mul_f32_e32 v170, v154, v4
	v_mul_f32_e32 v4, v155, v4
	s_waitcnt vmcnt(32) lgkmcnt(2)
	v_mul_f32_e32 v173, v156, v123
	v_fmac_f32_e32 v169, v153, v2
	v_fma_f32 v171, v152, v2, -v3
	v_mul_f32_e32 v2, v157, v123
	s_waitcnt vmcnt(31)
	v_mul_f32_e32 v174, v158, v122
	v_mul_f32_e32 v3, v159, v122
	v_fmac_f32_e32 v170, v155, v124
	v_fma_f32 v172, v154, v124, -v4
	v_fmac_f32_e32 v173, v157, v119
	v_fma_f32 v156, v156, v119, -v2
	;; [unrolled: 2-line block ×3, first 2 shown]
	ds_read_b128 v[152:155], v1 offset:656
	s_waitcnt vmcnt(30) lgkmcnt(2)
	v_mul_f32_e32 v157, v5, v120
	v_mul_f32_e32 v2, v6, v120
	s_waitcnt vmcnt(29)
	v_mul_f32_e32 v158, v7, v118
	v_mul_f32_e32 v3, v8, v118
	s_waitcnt vmcnt(28) lgkmcnt(1)
	v_mul_f32_e32 v118, v149, v121
	v_fmac_f32_e32 v157, v6, v10
	v_fma_f32 v6, v5, v10, -v2
	v_mul_f32_e32 v10, v148, v121
	s_waitcnt vmcnt(24)
	v_fmac_f32_e32 v158, v8, v131
	v_fma_f32 v7, v7, v131, -v3
	s_waitcnt vmcnt(23)
	v_mul_f32_e32 v8, v150, v130
	v_mul_f32_e32 v119, v151, v130
	ds_read_b128 v[2:5], v1 offset:672
	v_fmac_f32_e32 v10, v149, v129
	v_fma_f32 v129, v148, v129, -v118
	v_fmac_f32_e32 v8, v151, v126
	v_fma_f32 v126, v150, v126, -v119
	ds_read_b128 v[118:121], v1 offset:688
	s_waitcnt vmcnt(22) lgkmcnt(2)
	v_mul_f32_e32 v130, v152, v128
	v_mul_f32_e32 v122, v153, v128
	s_waitcnt vmcnt(21)
	v_mul_f32_e32 v128, v154, v127
	v_mul_f32_e32 v123, v155, v127
	buffer_load_dword v131, off, s[0:3], 0 offset:308
	v_fmac_f32_e32 v130, v153, v125
	v_fma_f32 v127, v152, v125, -v122
	s_waitcnt vmcnt(18)
	v_fmac_f32_e32 v128, v155, v139
	v_fma_f32 v139, v154, v139, -v123
	s_waitcnt vmcnt(17) lgkmcnt(1)
	v_mul_f32_e32 v148, v2, v137
	s_waitcnt vmcnt(16)
	v_mul_f32_e32 v149, v4, v138
	v_mul_f32_e32 v122, v3, v137
	;; [unrolled: 1-line block ×3, first 2 shown]
	v_fmac_f32_e32 v148, v3, v134
	v_fmac_f32_e32 v149, v5, v133
	v_fma_f32 v134, v2, v134, -v122
	v_fma_f32 v133, v4, v133, -v123
	ds_read_b128 v[2:5], v1 offset:704
	s_waitcnt vmcnt(15) lgkmcnt(1)
	v_mul_f32_e32 v137, v118, v136
	v_mul_f32_e32 v124, v119, v136
	s_waitcnt vmcnt(14)
	v_mul_f32_e32 v136, v120, v135
	v_mul_f32_e32 v135, v121, v135
	v_fmac_f32_e32 v137, v119, v132
	v_fma_f32 v132, v118, v132, -v124
	ds_read_b128 v[122:125], v1 offset:720
	s_waitcnt vmcnt(10)
	v_fmac_f32_e32 v136, v121, v147
	v_fma_f32 v135, v120, v147, -v135
	s_clause 0x1
	buffer_load_dword v138, off, s[0:3], 0 offset:316
	buffer_load_dword v147, off, s[0:3], 0 offset:324
	s_waitcnt vmcnt(11) lgkmcnt(1)
	v_mul_f32_e32 v150, v2, v146
	v_mul_f32_e32 v118, v3, v146
	s_waitcnt vmcnt(10)
	v_mul_f32_e32 v151, v4, v145
	v_mul_f32_e32 v119, v5, v145
	buffer_load_dword v146, off, s[0:3], 0 offset:332
	v_fmac_f32_e32 v150, v3, v143
	v_fma_f32 v143, v2, v143, -v118
	v_fmac_f32_e32 v151, v5, v141
	s_waitcnt vmcnt(10) lgkmcnt(0)
	v_mul_f32_e32 v145, v122, v144
	v_mul_f32_e32 v2, v123, v144
	s_waitcnt vmcnt(9)
	v_mul_f32_e32 v3, v125, v142
	s_clause 0x3
	buffer_load_dword v144, off, s[0:3], 0 offset:352
	buffer_load_dword v152, off, s[0:3], 0 offset:344
	;; [unrolled: 1-line block ×4, first 2 shown]
	v_mul_f32_e32 v155, v124, v142
	v_fmac_f32_e32 v145, v123, v140
	v_fma_f32 v140, v122, v140, -v2
	v_add_f32_e32 v2, 0, v164
	s_clause 0x1
	buffer_load_dword v142, off, s[0:3], 0 offset:340
	buffer_load_dword v164, off, s[0:3], 0 offset:356
	s_waitcnt vmcnt(11)
	v_fma_f32 v159, v124, v163, -v3
	v_add_f32_e32 v3, 0, v167
	v_add_f32_e32 v2, v2, v165
	v_fmac_f32_e32 v155, v125, v163
	s_clause 0x4
	buffer_load_dword v163, off, s[0:3], 0 offset:348
	buffer_load_dword v165, off, s[0:3], 0 offset:364
	;; [unrolled: 1-line block ×5, first 2 shown]
	v_add_f32_e32 v3, v3, v168
	v_add_f32_e32 v2, v2, v169
	s_clause 0x1
	buffer_load_dword v168, off, s[0:3], 0 offset:396
	buffer_load_dword v169, off, s[0:3], 0 offset:404
	v_fma_f32 v141, v4, v141, -v119
	v_add_f32_e32 v3, v3, v171
	v_add_f32_e32 v2, v2, v170
	s_clause 0x1
	buffer_load_dword v170, off, s[0:3], 0 offset:412
	buffer_load_dword v171, off, s[0:3], 0 offset:420
	v_add_f32_e32 v3, v3, v172
	v_add_f32_e32 v2, v2, v173
	;; [unrolled: 1-line block ×4, first 2 shown]
	s_clause 0x3
	buffer_load_dword v156, off, s[0:3], 0 offset:384
	buffer_load_dword v172, off, s[0:3], 0 offset:376
	;; [unrolled: 1-line block ×4, first 2 shown]
	v_add_f32_e32 v3, v3, v11
	v_add_f32_e32 v2, v2, v157
	;; [unrolled: 1-line block ×4, first 2 shown]
	s_clause 0x4
	buffer_load_dword v11, off, s[0:3], 0 offset:416
	buffer_load_dword v157, off, s[0:3], 0 offset:408
	;; [unrolled: 1-line block ×5, first 2 shown]
	ds_read_b128 v[118:121], v1 offset:752
	v_add_f32_e32 v3, v3, v7
	v_add_f32_e32 v2, v2, v10
	;; [unrolled: 1-line block ×5, first 2 shown]
	ds_read_b128 v[2:5], v1 offset:736
	v_add_f32_e32 v6, v6, v130
	v_add_f32_e32 v7, v7, v127
	;; [unrolled: 1-line block ×12, first 2 shown]
	s_waitcnt vmcnt(27) lgkmcnt(0)
	v_mul_f32_e32 v8, v2, v131
	v_mul_f32_e32 v10, v3, v131
	v_fmac_f32_e32 v8, v3, v162
	v_add_f32_e32 v3, v7, v132
	v_fma_f32 v10, v2, v162, -v10
	v_add_f32_e32 v7, v3, v135
	v_add_f32_e32 v7, v7, v143
	;; [unrolled: 1-line block ×5, first 2 shown]
	s_waitcnt vmcnt(26)
	v_mul_f32_e32 v134, v4, v138
	v_mul_f32_e32 v122, v5, v138
	v_add_f32_e32 v141, v7, v159
	v_add_f32_e32 v140, v140, v155
	s_waitcnt vmcnt(25)
	v_mul_f32_e32 v130, v119, v147
	v_fmac_f32_e32 v134, v5, v161
	v_fma_f32 v137, v4, v161, -v122
	ds_read_b128 v[2:5], v1 offset:768
	ds_read_b128 v[122:125], v1 offset:784
	v_add_f32_e32 v10, v141, v10
	v_mul_f32_e32 v135, v118, v147
	v_add_f32_e32 v8, v140, v8
	v_fma_f32 v139, v118, v160, -v130
	ds_read_b128 v[126:129], v1 offset:800
	ds_read_b128 v[130:133], v1 offset:816
	s_waitcnt vmcnt(24)
	v_mul_f32_e32 v138, v121, v146
	v_add_f32_e32 v10, v10, v137
	v_mul_f32_e32 v136, v120, v146
	v_fmac_f32_e32 v135, v119, v160
	v_add_f32_e32 v8, v8, v134
	v_add_f32_e32 v10, v10, v139
	s_waitcnt vmcnt(20)
	v_fma_f32 v138, v120, v154, -v138
	v_fmac_f32_e32 v136, v121, v154
	v_add_f32_e32 v8, v8, v135
	ds_read_b128 v[118:121], v1 offset:832
	ds_read_b64 v[6:7], v1 offset:848
	s_waitcnt vmcnt(19) lgkmcnt(5)
	v_mul_f32_e32 v141, v3, v142
	v_mul_f32_e32 v143, v2, v142
	v_add_f32_e32 v10, v10, v138
	v_add_f32_e32 v8, v8, v136
	s_waitcnt vmcnt(18) lgkmcnt(4)
	v_mul_f32_e32 v140, v122, v164
	v_fma_f32 v2, v2, v153, -v141
	s_waitcnt vmcnt(17)
	v_mul_f32_e32 v142, v5, v163
	v_mul_f32_e32 v145, v4, v163
	v_fmac_f32_e32 v143, v3, v153
	v_mul_f32_e32 v141, v123, v164
	v_add_f32_e32 v2, v10, v2
	v_fma_f32 v4, v4, v152, -v142
	v_fmac_f32_e32 v145, v5, v152
	v_add_f32_e32 v5, v8, v143
	s_waitcnt vmcnt(16)
	v_mul_f32_e32 v8, v125, v165
	v_fma_f32 v10, v122, v144, -v141
	v_add_f32_e32 v2, v2, v4
	v_mul_f32_e32 v137, v124, v165
	v_fmac_f32_e32 v140, v123, v144
	v_add_f32_e32 v4, v5, v145
	s_waitcnt vmcnt(15) lgkmcnt(3)
	v_mul_f32_e32 v5, v127, v167
	v_add_f32_e32 v2, v2, v10
	v_mul_f32_e32 v146, v126, v167
	s_waitcnt vmcnt(14)
	v_mul_f32_e32 v10, v129, v175
	v_add_f32_e32 v4, v4, v140
	s_waitcnt vmcnt(5)
	v_fma_f32 v8, v124, v174, -v8
	v_fmac_f32_e32 v137, v125, v174
	v_fma_f32 v5, v126, v173, -v5
	v_mul_f32_e32 v134, v128, v175
	v_fmac_f32_e32 v146, v127, v173
	v_add_f32_e32 v2, v2, v8
	v_add_f32_e32 v4, v4, v137
	s_waitcnt lgkmcnt(2)
	v_mul_f32_e32 v8, v131, v176
	v_fma_f32 v10, v128, v172, -v10
	v_mul_f32_e32 v139, v130, v176
	v_add_f32_e32 v2, v2, v5
	v_fmac_f32_e32 v134, v129, v172
	v_add_f32_e32 v4, v4, v146
	v_mul_f32_e32 v5, v133, v168
	v_fma_f32 v8, v130, v156, -v8
	v_add_f32_e32 v2, v2, v10
	v_mul_f32_e32 v3, v132, v168
	v_fmac_f32_e32 v139, v131, v156
	v_add_f32_e32 v4, v4, v134
	s_waitcnt lgkmcnt(1)
	v_mul_f32_e32 v10, v119, v169
	s_waitcnt vmcnt(1)
	v_fma_f32 v5, v132, v177, -v5
	v_add_f32_e32 v2, v2, v8
	v_mul_f32_e32 v135, v118, v169
	v_fmac_f32_e32 v3, v133, v177
	v_add_f32_e32 v4, v4, v139
	v_mul_f32_e32 v8, v121, v170
	v_fma_f32 v10, v118, v158, -v10
	v_add_f32_e32 v2, v2, v5
	v_mul_f32_e32 v138, v120, v170
	v_fmac_f32_e32 v135, v119, v158
	v_add_f32_e32 v3, v4, v3
	s_waitcnt lgkmcnt(0)
	v_mul_f32_e32 v4, v7, v171
	v_fma_f32 v5, v120, v157, -v8
	v_add_f32_e32 v2, v2, v10
	v_mul_f32_e32 v136, v6, v171
	v_fmac_f32_e32 v138, v121, v157
	v_add_f32_e32 v3, v3, v135
	v_fma_f32 v4, v6, v11, -v4
	v_add_f32_e32 v2, v2, v5
	v_fmac_f32_e32 v136, v7, v11
	v_add_f32_e32 v3, v3, v138
	v_add_f32_e32 v2, v2, v4
	;; [unrolled: 1-line block ×3, first 2 shown]
	s_waitcnt vmcnt(0)
	v_sub_f32_e32 v2, v178, v2
	v_sub_f32_e32 v3, v166, v3
	buffer_store_dword v2, off, s[0:3], 0 offset:136
	buffer_store_dword v3, off, s[0:3], 0 offset:140
	v_cmpx_lt_u32_e32 16, v0
	s_cbranch_execz .LBB116_299
; %bb.298:
	s_clause 0x1
	buffer_load_dword v2, off, s[0:3], 0 offset:128
	buffer_load_dword v3, off, s[0:3], 0 offset:132
	buffer_store_dword v1, off, s[0:3], 0 offset:128
	buffer_store_dword v1, off, s[0:3], 0 offset:132
	s_waitcnt vmcnt(0)
	ds_write_b64 v9, v[2:3]
.LBB116_299:
	s_or_b32 exec_lo, exec_lo, s4
	s_waitcnt lgkmcnt(0)
	s_waitcnt_vscnt null, 0x0
	s_barrier
	buffer_gl0_inv
	s_clause 0x2a
	buffer_load_dword v2, off, s[0:3], 0 offset:140
	buffer_load_dword v3, off, s[0:3], 0 offset:148
	;; [unrolled: 1-line block ×43, first 2 shown]
	ds_read2_b64 v[4:7], v1 offset0:71 offset1:72
	ds_read2_b64 v[118:121], v1 offset0:73 offset1:74
	;; [unrolled: 1-line block ×3, first 2 shown]
	buffer_load_dword v167, off, s[0:3], 0 offset:132
	s_mov_b32 s4, exec_lo
	s_waitcnt vmcnt(43) lgkmcnt(2)
	v_mul_f32_e32 v164, v5, v2
	v_mul_f32_e32 v165, v4, v2
	s_waitcnt vmcnt(42)
	v_mul_f32_e32 v2, v7, v3
	v_mul_f32_e32 v166, v6, v3
	s_waitcnt vmcnt(39)
	v_fma_f32 v164, v4, v11, -v164
	v_fmac_f32_e32 v165, v5, v11
	v_fma_f32 v6, v6, v10, -v2
	ds_read2_b64 v[2:5], v1 offset0:77 offset1:78
	v_fmac_f32_e32 v166, v7, v10
	s_waitcnt vmcnt(38) lgkmcnt(2)
	v_mul_f32_e32 v7, v118, v126
	v_mul_f32_e32 v10, v119, v126
	s_waitcnt vmcnt(37)
	v_mul_f32_e32 v11, v120, v127
	v_mul_f32_e32 v126, v121, v127
	s_waitcnt vmcnt(32) lgkmcnt(1)
	v_mul_f32_e32 v127, v123, v132
	v_fmac_f32_e32 v7, v119, v8
	v_fma_f32 v8, v118, v8, -v10
	v_fmac_f32_e32 v11, v121, v131
	v_fma_f32 v10, v120, v131, -v126
	ds_read2_b64 v[118:121], v1 offset0:79 offset1:80
	v_mul_f32_e32 v126, v122, v132
	s_waitcnt vmcnt(31)
	v_mul_f32_e32 v131, v124, v133
	v_mul_f32_e32 v132, v125, v133
	v_fma_f32 v127, v122, v130, -v127
	v_fmac_f32_e32 v126, v123, v130
	v_fmac_f32_e32 v131, v125, v129
	v_fma_f32 v129, v124, v129, -v132
	ds_read2_b64 v[122:125], v1 offset0:81 offset1:82
	s_waitcnt vmcnt(30) lgkmcnt(2)
	v_mul_f32_e32 v130, v2, v134
	v_mul_f32_e32 v132, v3, v134
	s_waitcnt vmcnt(29)
	v_mul_f32_e32 v133, v4, v135
	v_mul_f32_e32 v134, v5, v135
	v_fmac_f32_e32 v130, v3, v128
	v_fma_f32 v128, v2, v128, -v132
	s_waitcnt vmcnt(25)
	v_fmac_f32_e32 v133, v5, v139
	v_fma_f32 v132, v4, v139, -v134
	ds_read2_b64 v[2:5], v1 offset0:83 offset1:84
	s_waitcnt vmcnt(24) lgkmcnt(2)
	v_mul_f32_e32 v134, v118, v140
	v_mul_f32_e32 v135, v119, v140
	s_waitcnt vmcnt(23)
	v_mul_f32_e32 v139, v120, v141
	v_mul_f32_e32 v140, v121, v141
	v_fmac_f32_e32 v134, v119, v138
	v_fma_f32 v135, v118, v138, -v135
	v_fmac_f32_e32 v139, v121, v137
	v_fma_f32 v137, v120, v137, -v140
	ds_read2_b64 v[118:121], v1 offset0:85 offset1:86
	s_waitcnt vmcnt(22) lgkmcnt(2)
	v_mul_f32_e32 v138, v122, v142
	v_mul_f32_e32 v140, v123, v142
	s_waitcnt vmcnt(21)
	v_mul_f32_e32 v141, v124, v143
	v_mul_f32_e32 v142, v125, v143
	v_fmac_f32_e32 v138, v123, v136
	v_fma_f32 v136, v122, v136, -v140
	s_waitcnt vmcnt(17)
	v_fmac_f32_e32 v141, v125, v147
	v_fma_f32 v140, v124, v147, -v142
	s_waitcnt vmcnt(16) lgkmcnt(1)
	v_mul_f32_e32 v142, v2, v148
	v_mul_f32_e32 v143, v3, v148
	s_waitcnt vmcnt(15)
	v_mul_f32_e32 v147, v4, v149
	v_mul_f32_e32 v148, v5, v149
	ds_read2_b64 v[122:125], v1 offset0:87 offset1:88
	v_fmac_f32_e32 v142, v3, v146
	v_fma_f32 v143, v2, v146, -v143
	v_fmac_f32_e32 v147, v5, v145
	v_fma_f32 v145, v4, v145, -v148
	s_clause 0x1
	buffer_load_dword v146, off, s[0:3], 0 offset:300
	buffer_load_dword v148, off, s[0:3], 0 offset:308
	s_waitcnt vmcnt(16) lgkmcnt(1)
	v_mul_f32_e32 v149, v118, v150
	v_mul_f32_e32 v2, v119, v150
	s_waitcnt vmcnt(15)
	v_mul_f32_e32 v150, v120, v151
	v_mul_f32_e32 v3, v121, v151
	v_fmac_f32_e32 v149, v119, v144
	v_fma_f32 v144, v118, v144, -v2
	s_waitcnt vmcnt(11)
	v_fmac_f32_e32 v150, v121, v155
	v_fma_f32 v151, v120, v155, -v3
	buffer_load_dword v155, off, s[0:3], 0 offset:316
	ds_read2_b64 v[2:5], v1 offset0:89 offset1:90
	s_waitcnt vmcnt(11) lgkmcnt(1)
	v_mul_f32_e32 v168, v122, v156
	v_mul_f32_e32 v118, v123, v156
	s_waitcnt vmcnt(10)
	v_mul_f32_e32 v156, v124, v157
	v_mul_f32_e32 v119, v125, v157
	s_clause 0x5
	buffer_load_dword v157, off, s[0:3], 0 offset:324
	buffer_load_dword v169, off, s[0:3], 0 offset:344
	;; [unrolled: 1-line block ×6, first 2 shown]
	v_fmac_f32_e32 v168, v123, v154
	v_fma_f32 v154, v122, v154, -v118
	v_fmac_f32_e32 v156, v125, v153
	v_fma_f32 v153, v124, v153, -v119
	s_waitcnt vmcnt(15) lgkmcnt(0)
	v_mul_f32_e32 v173, v2, v158
	v_mul_f32_e32 v118, v3, v158
	s_waitcnt vmcnt(14)
	v_mul_f32_e32 v158, v4, v159
	v_fmac_f32_e32 v173, v3, v152
	v_add_f32_e32 v3, 0, v164
	v_fma_f32 v152, v2, v152, -v118
	v_add_f32_e32 v2, 0, v165
	v_mul_f32_e32 v118, v5, v159
	s_clause 0x1
	buffer_load_dword v159, off, s[0:3], 0 offset:348
	buffer_load_dword v164, off, s[0:3], 0 offset:356
	v_add_f32_e32 v3, v3, v6
	buffer_load_dword v6, off, s[0:3], 0 offset:340
	v_add_f32_e32 v2, v2, v166
	s_waitcnt vmcnt(13)
	v_fmac_f32_e32 v158, v5, v163
	v_fma_f32 v163, v4, v163, -v118
	v_add_f32_e32 v3, v3, v8
	v_add_f32_e32 v2, v2, v7
	s_clause 0x2
	buffer_load_dword v7, off, s[0:3], 0 offset:364
	buffer_load_dword v8, off, s[0:3], 0 offset:372
	;; [unrolled: 1-line block ×3, first 2 shown]
	v_add_f32_e32 v3, v3, v10
	v_add_f32_e32 v2, v2, v11
	s_clause 0xe
	buffer_load_dword v10, off, s[0:3], 0 offset:388
	buffer_load_dword v11, off, s[0:3], 0 offset:396
	;; [unrolled: 1-line block ×15, first 2 shown]
	v_add_f32_e32 v3, v3, v127
	v_add_f32_e32 v2, v2, v126
	;; [unrolled: 1-line block ×14, first 2 shown]
	ds_read2_b64 v[2:5], v1 offset0:91 offset1:92
	v_add_f32_e32 v118, v118, v140
	v_add_f32_e32 v119, v119, v141
	;; [unrolled: 1-line block ×4, first 2 shown]
	ds_read2_b64 v[118:121], v1 offset0:93 offset1:94
	v_add_f32_e32 v122, v122, v145
	v_add_f32_e32 v123, v123, v147
	;; [unrolled: 1-line block ×10, first 2 shown]
	s_waitcnt vmcnt(29) lgkmcnt(1)
	v_mul_f32_e32 v138, v2, v146
	v_mul_f32_e32 v124, v3, v146
	s_waitcnt vmcnt(28)
	v_mul_f32_e32 v139, v4, v148
	v_mul_f32_e32 v125, v5, v148
	v_add_f32_e32 v146, v135, v158
	v_fmac_f32_e32 v138, v3, v162
	v_fma_f32 v134, v2, v162, -v124
	v_fmac_f32_e32 v139, v5, v161
	v_fma_f32 v140, v4, v161, -v125
	ds_read2_b64 v[2:5], v1 offset0:95 offset1:96
	ds_read2_b64 v[122:125], v1 offset0:97 offset1:98
	s_waitcnt vmcnt(27) lgkmcnt(2)
	v_mul_f32_e32 v141, v118, v155
	v_mul_f32_e32 v128, v119, v155
	v_fmac_f32_e32 v141, v119, v160
	v_add_f32_e32 v119, v127, v153
	v_fma_f32 v143, v118, v160, -v128
	s_waitcnt vmcnt(26)
	v_mul_f32_e32 v142, v120, v157
	v_mul_f32_e32 v129, v121, v157
	v_add_f32_e32 v131, v119, v152
	s_waitcnt vmcnt(22)
	v_fmac_f32_e32 v142, v121, v172
	v_fma_f32 v144, v120, v172, -v129
	v_add_f32_e32 v137, v131, v163
	ds_read2_b64 v[118:121], v1 offset0:99 offset1:100
	ds_read2_b64 v[126:129], v1 offset0:101 offset1:102
	s_waitcnt vmcnt(21) lgkmcnt(3)
	v_mul_f32_e32 v145, v2, v174
	v_mul_f32_e32 v136, v3, v174
	ds_read2_b64 v[130:133], v1 offset0:103 offset1:104
	v_fmac_f32_e32 v145, v3, v171
	v_add_f32_e32 v3, v137, v134
	v_fma_f32 v2, v2, v171, -v136
	ds_read2_b64 v[134:137], v1 offset0:105 offset1:106
	v_add_f32_e32 v1, v146, v138
	v_add_f32_e32 v3, v3, v140
	s_waitcnt vmcnt(20) lgkmcnt(4)
	v_mul_f32_e32 v146, v123, v159
	v_add_f32_e32 v1, v1, v139
	v_mul_f32_e32 v140, v122, v159
	v_add_f32_e32 v3, v3, v143
	s_waitcnt vmcnt(18)
	v_mul_f32_e32 v138, v4, v6
	v_mul_f32_e32 v6, v5, v6
	v_add_f32_e32 v1, v1, v141
	v_fma_f32 v122, v122, v169, -v146
	v_add_f32_e32 v3, v3, v144
	v_fmac_f32_e32 v138, v5, v170
	v_fma_f32 v4, v4, v170, -v6
	v_add_f32_e32 v1, v1, v142
	v_mul_f32_e32 v142, v125, v164
	v_add_f32_e32 v2, v3, v2
	v_mul_f32_e32 v139, v124, v164
	v_fmac_f32_e32 v140, v123, v169
	v_add_f32_e32 v1, v1, v145
	s_waitcnt vmcnt(17) lgkmcnt(3)
	v_mul_f32_e32 v5, v118, v7
	v_add_f32_e32 v2, v2, v4
	v_mul_f32_e32 v4, v119, v7
	s_waitcnt vmcnt(6)
	v_fma_f32 v7, v124, v180, -v142
	v_add_f32_e32 v1, v1, v138
	v_fmac_f32_e32 v139, v125, v180
	v_add_f32_e32 v2, v2, v122
	v_mul_f32_e32 v6, v120, v8
	v_mul_f32_e32 v8, v121, v8
	v_add_f32_e32 v1, v1, v140
	v_fma_f32 v4, v118, v179, -v4
	v_add_f32_e32 v2, v2, v7
	v_fmac_f32_e32 v5, v119, v179
	s_waitcnt lgkmcnt(2)
	v_mul_f32_e32 v7, v127, v165
	v_add_f32_e32 v1, v1, v139
	v_fma_f32 v8, v120, v178, -v8
	v_add_f32_e32 v2, v2, v4
	v_mul_f32_e32 v141, v126, v165
	v_fmac_f32_e32 v6, v121, v178
	v_add_f32_e32 v1, v1, v5
	v_mul_f32_e32 v4, v129, v10
	v_fma_f32 v5, v126, v177, -v7
	v_add_f32_e32 v2, v2, v8
	v_mul_f32_e32 v143, v128, v10
	v_fmac_f32_e32 v141, v127, v177
	v_add_f32_e32 v1, v1, v6
	s_waitcnt lgkmcnt(1)
	v_mul_f32_e32 v6, v131, v11
	s_waitcnt vmcnt(2)
	v_fma_f32 v4, v128, v184, -v4
	v_add_f32_e32 v2, v2, v5
	v_mul_f32_e32 v147, v130, v11
	v_fmac_f32_e32 v143, v129, v184
	v_add_f32_e32 v1, v1, v141
	v_mul_f32_e32 v5, v133, v166
	v_fma_f32 v6, v130, v183, -v6
	v_add_f32_e32 v2, v2, v4
	v_mul_f32_e32 v144, v132, v166
	v_fmac_f32_e32 v147, v131, v183
	v_add_f32_e32 v1, v1, v143
	s_waitcnt lgkmcnt(0)
	v_mul_f32_e32 v4, v135, v175
	v_fma_f32 v5, v132, v182, -v5
	v_add_f32_e32 v2, v2, v6
	v_mul_f32_e32 v148, v134, v175
	v_fmac_f32_e32 v144, v133, v182
	v_add_f32_e32 v1, v1, v147
	v_mul_f32_e32 v6, v137, v176
	v_fma_f32 v4, v134, v181, -v4
	v_add_f32_e32 v2, v2, v5
	v_mul_f32_e32 v3, v136, v176
	v_fmac_f32_e32 v148, v135, v181
	v_add_f32_e32 v1, v1, v144
	s_waitcnt vmcnt(1)
	v_fma_f32 v5, v136, v185, -v6
	v_add_f32_e32 v2, v2, v4
	v_fmac_f32_e32 v3, v137, v185
	v_add_f32_e32 v1, v1, v148
	v_add_f32_e32 v2, v2, v5
	;; [unrolled: 1-line block ×3, first 2 shown]
	s_waitcnt vmcnt(0)
	v_sub_f32_e32 v2, v186, v2
	v_sub_f32_e32 v1, v167, v1
	buffer_store_dword v2, off, s[0:3], 0 offset:128
	buffer_store_dword v1, off, s[0:3], 0 offset:132
	v_cmpx_lt_u32_e32 15, v0
	s_cbranch_execz .LBB116_301
; %bb.300:
	s_clause 0x1
	buffer_load_dword v1, off, s[0:3], 0 offset:120
	buffer_load_dword v2, off, s[0:3], 0 offset:124
	v_mov_b32_e32 v3, 0
	buffer_store_dword v3, off, s[0:3], 0 offset:120
	buffer_store_dword v3, off, s[0:3], 0 offset:124
	s_waitcnt vmcnt(0)
	ds_write_b64 v9, v[1:2]
.LBB116_301:
	s_or_b32 exec_lo, exec_lo, s4
	s_waitcnt lgkmcnt(0)
	s_waitcnt_vscnt null, 0x0
	s_barrier
	buffer_gl0_inv
	s_clause 0x2b
	buffer_load_dword v6, off, s[0:3], 0 offset:132
	buffer_load_dword v7, off, s[0:3], 0 offset:144
	;; [unrolled: 1-line block ×44, first 2 shown]
	v_mov_b32_e32 v1, 0
	ds_read_b128 v[2:5], v1 offset:560
	ds_read_b128 v[118:121], v1 offset:576
	;; [unrolled: 1-line block ×3, first 2 shown]
	buffer_load_dword v166, off, s[0:3], 0 offset:124
	s_mov_b32 s4, exec_lo
	s_waitcnt vmcnt(44) lgkmcnt(2)
	v_mul_f32_e32 v165, v3, v6
	v_mul_f32_e32 v6, v2, v6
	s_waitcnt vmcnt(41)
	v_fma_f32 v165, v2, v10, -v165
	v_fmac_f32_e32 v6, v3, v10
	s_waitcnt vmcnt(40)
	v_mul_f32_e32 v10, v4, v11
	v_mul_f32_e32 v2, v5, v11
	s_waitcnt vmcnt(39) lgkmcnt(1)
	v_mul_f32_e32 v11, v118, v126
	v_mul_f32_e32 v126, v119, v126
	v_add_f32_e32 v6, 0, v6
	v_fmac_f32_e32 v10, v5, v8
	v_fma_f32 v8, v4, v8, -v2
	ds_read_b128 v[2:5], v1 offset:608
	v_fmac_f32_e32 v11, v119, v7
	v_fma_f32 v7, v118, v7, -v126
	s_waitcnt vmcnt(38)
	v_mul_f32_e32 v126, v120, v127
	v_mul_f32_e32 v118, v121, v127
	v_add_f32_e32 v6, v6, v10
	s_waitcnt vmcnt(34)
	v_fmac_f32_e32 v126, v121, v131
	v_fma_f32 v127, v120, v131, -v118
	s_waitcnt vmcnt(33) lgkmcnt(1)
	v_mul_f32_e32 v131, v122, v132
	v_mul_f32_e32 v132, v123, v132
	ds_read_b128 v[118:121], v1 offset:624
	v_add_f32_e32 v6, v6, v11
	v_fmac_f32_e32 v131, v123, v130
	v_fma_f32 v130, v122, v130, -v132
	s_waitcnt vmcnt(32)
	v_mul_f32_e32 v132, v124, v133
	v_mul_f32_e32 v122, v125, v133
	v_add_f32_e32 v6, v6, v126
	s_waitcnt vmcnt(31) lgkmcnt(1)
	v_mul_f32_e32 v133, v2, v134
	v_mul_f32_e32 v134, v3, v134
	v_fmac_f32_e32 v132, v125, v129
	v_fma_f32 v129, v124, v129, -v122
	ds_read_b128 v[122:125], v1 offset:640
	v_fmac_f32_e32 v133, v3, v128
	v_fma_f32 v128, v2, v128, -v134
	s_waitcnt vmcnt(30)
	v_mul_f32_e32 v134, v4, v135
	v_mul_f32_e32 v2, v5, v135
	v_add_f32_e32 v6, v6, v131
	s_waitcnt vmcnt(26)
	v_fmac_f32_e32 v134, v5, v139
	v_fma_f32 v135, v4, v139, -v2
	ds_read_b128 v[2:5], v1 offset:656
	s_waitcnt vmcnt(25) lgkmcnt(2)
	v_mul_f32_e32 v139, v118, v140
	v_mul_f32_e32 v140, v119, v140
	v_add_f32_e32 v6, v6, v132
	v_fmac_f32_e32 v139, v119, v138
	v_fma_f32 v138, v118, v138, -v140
	s_waitcnt vmcnt(24)
	v_mul_f32_e32 v140, v120, v141
	v_mul_f32_e32 v118, v121, v141
	s_waitcnt vmcnt(23) lgkmcnt(1)
	v_mul_f32_e32 v141, v122, v142
	v_mul_f32_e32 v142, v123, v142
	v_add_f32_e32 v6, v6, v133
	v_fmac_f32_e32 v140, v121, v137
	v_fma_f32 v137, v120, v137, -v118
	ds_read_b128 v[118:121], v1 offset:672
	v_fmac_f32_e32 v141, v123, v136
	v_fma_f32 v136, v122, v136, -v142
	s_waitcnt vmcnt(22)
	v_mul_f32_e32 v142, v124, v143
	v_mul_f32_e32 v122, v125, v143
	s_waitcnt vmcnt(18)
	v_fmac_f32_e32 v142, v125, v147
	v_fma_f32 v143, v124, v147, -v122
	s_waitcnt vmcnt(17) lgkmcnt(1)
	v_mul_f32_e32 v147, v2, v148
	v_mul_f32_e32 v122, v3, v148
	s_waitcnt vmcnt(16)
	v_mul_f32_e32 v148, v4, v149
	v_mul_f32_e32 v149, v5, v149
	v_fmac_f32_e32 v147, v3, v146
	v_fma_f32 v146, v2, v146, -v122
	ds_read_b128 v[122:125], v1 offset:688
	v_fmac_f32_e32 v148, v5, v145
	v_fma_f32 v145, v4, v145, -v149
	s_clause 0x1
	buffer_load_dword v149, off, s[0:3], 0 offset:300
	buffer_load_dword v167, off, s[0:3], 0 offset:308
	v_add_f32_e32 v4, 0, v165
	s_waitcnt vmcnt(17) lgkmcnt(1)
	v_mul_f32_e32 v168, v118, v150
	v_mul_f32_e32 v2, v119, v150
	s_waitcnt vmcnt(16)
	v_mul_f32_e32 v3, v121, v151
	v_mul_f32_e32 v150, v120, v151
	v_add_f32_e32 v8, v4, v8
	v_fmac_f32_e32 v168, v119, v144
	v_fma_f32 v144, v118, v144, -v2
	s_waitcnt vmcnt(12)
	v_fma_f32 v151, v120, v155, -v3
	ds_read_b128 v[2:5], v1 offset:704
	v_add_f32_e32 v7, v8, v7
	buffer_load_dword v169, off, s[0:3], 0 offset:316
	v_fmac_f32_e32 v150, v121, v155
	v_add_f32_e32 v7, v7, v127
	s_waitcnt vmcnt(12) lgkmcnt(1)
	v_mul_f32_e32 v155, v122, v156
	v_mul_f32_e32 v118, v123, v156
	s_clause 0x3
	buffer_load_dword v8, off, s[0:3], 0 offset:336
	buffer_load_dword v10, off, s[0:3], 0 offset:328
	;; [unrolled: 1-line block ×4, first 2 shown]
	s_waitcnt vmcnt(15)
	v_mul_f32_e32 v127, v124, v157
	v_add_f32_e32 v7, v7, v130
	v_fmac_f32_e32 v155, v123, v154
	v_fma_f32 v122, v122, v154, -v118
	s_clause 0x1
	buffer_load_dword v11, off, s[0:3], 0 offset:324
	buffer_load_dword v154, off, s[0:3], 0 offset:332
	v_mul_f32_e32 v118, v125, v157
	buffer_load_dword v157, off, s[0:3], 0 offset:340
	v_add_f32_e32 v7, v7, v129
	v_fmac_f32_e32 v127, v125, v153
	s_waitcnt vmcnt(17) lgkmcnt(0)
	v_mul_f32_e32 v130, v2, v158
	v_mul_f32_e32 v123, v3, v158
	v_add_f32_e32 v7, v7, v128
	v_fma_f32 v126, v124, v153, -v118
	s_waitcnt vmcnt(16)
	v_mul_f32_e32 v131, v4, v159
	v_mul_f32_e32 v124, v5, v159
	v_fmac_f32_e32 v130, v3, v152
	v_fma_f32 v132, v2, v152, -v123
	v_add_f32_e32 v2, v7, v135
	v_add_f32_e32 v3, v6, v134
	s_clause 0x3
	buffer_load_dword v153, off, s[0:3], 0 offset:348
	buffer_load_dword v170, off, s[0:3], 0 offset:356
	;; [unrolled: 1-line block ×4, first 2 shown]
	ds_read_b128 v[118:121], v1 offset:720
	s_clause 0x3
	buffer_load_dword v134, off, s[0:3], 0 offset:380
	buffer_load_dword v135, off, s[0:3], 0 offset:388
	;; [unrolled: 1-line block ×4, first 2 shown]
	s_waitcnt vmcnt(20)
	v_fmac_f32_e32 v131, v5, v163
	v_fma_f32 v6, v4, v163, -v124
	buffer_load_dword v159, off, s[0:3], 0 offset:412
	v_add_f32_e32 v2, v2, v138
	v_add_f32_e32 v3, v3, v139
	s_clause 0x4
	buffer_load_dword v138, off, s[0:3], 0 offset:368
	buffer_load_dword v139, off, s[0:3], 0 offset:360
	;; [unrolled: 1-line block ×5, first 2 shown]
	v_add_f32_e32 v2, v2, v137
	v_add_f32_e32 v7, v3, v140
	;; [unrolled: 1-line block ×4, first 2 shown]
	ds_read_b128 v[2:5], v1 offset:736
	s_waitcnt vmcnt(25) lgkmcnt(1)
	v_mul_f32_e32 v124, v119, v164
	v_add_f32_e32 v7, v7, v142
	s_clause 0x3
	buffer_load_dword v137, off, s[0:3], 0 offset:400
	buffer_load_dword v140, off, s[0:3], 0 offset:392
	;; [unrolled: 1-line block ×4, first 2 shown]
	v_add_f32_e32 v123, v123, v143
	v_mul_f32_e32 v136, v118, v164
	v_fma_f32 v133, v118, v162, -v124
	v_add_f32_e32 v7, v7, v147
	v_add_f32_e32 v118, v123, v146
	v_fmac_f32_e32 v136, v119, v162
	v_add_f32_e32 v7, v7, v148
	v_add_f32_e32 v118, v118, v145
	s_clause 0x2
	buffer_load_dword v143, off, s[0:3], 0 offset:416
	buffer_load_dword v145, off, s[0:3], 0 offset:408
	;; [unrolled: 1-line block ×3, first 2 shown]
	v_add_f32_e32 v7, v7, v168
	v_add_f32_e32 v123, v118, v144
	;; [unrolled: 1-line block ×6, first 2 shown]
	ds_read_b128 v[122:125], v1 offset:768
	v_add_f32_e32 v7, v7, v127
	v_add_f32_e32 v155, v129, v126
	;; [unrolled: 1-line block ×8, first 2 shown]
	s_waitcnt vmcnt(30)
	v_mul_f32_e32 v144, v120, v149
	v_mul_f32_e32 v118, v121, v149
	s_waitcnt vmcnt(29) lgkmcnt(1)
	v_mul_f32_e32 v128, v3, v167
	v_mul_f32_e32 v148, v2, v167
	v_fmac_f32_e32 v144, v121, v161
	v_fma_f32 v147, v120, v161, -v118
	ds_read_b128 v[118:121], v1 offset:752
	v_fma_f32 v151, v2, v160, -v128
	v_fmac_f32_e32 v148, v3, v160
	v_add_f32_e32 v136, v136, v144
	v_add_f32_e32 v147, v6, v147
	s_waitcnt vmcnt(28)
	v_mul_f32_e32 v150, v5, v169
	v_mul_f32_e32 v149, v4, v169
	v_add_f32_e32 v136, v136, v148
	v_add_f32_e32 v147, v147, v151
	s_waitcnt vmcnt(24)
	v_fma_f32 v150, v4, v165, -v150
	v_fmac_f32_e32 v149, v5, v165
	ds_read_b128 v[2:5], v1 offset:784
	ds_read_b128 v[126:129], v1 offset:800
	;; [unrolled: 1-line block ×3, first 2 shown]
	ds_read_b64 v[6:7], v1 offset:848
	v_add_f32_e32 v147, v147, v150
	v_add_f32_e32 v136, v136, v149
	s_waitcnt vmcnt(23) lgkmcnt(4)
	v_mul_f32_e32 v155, v118, v11
	v_mul_f32_e32 v11, v119, v11
	s_waitcnt vmcnt(22)
	v_mul_f32_e32 v160, v120, v154
	v_mul_f32_e32 v154, v121, v154
	s_waitcnt vmcnt(21)
	v_mul_f32_e32 v151, v123, v157
	v_fmac_f32_e32 v155, v119, v156
	v_fma_f32 v11, v118, v156, -v11
	v_fmac_f32_e32 v160, v121, v10
	v_fma_f32 v10, v120, v10, -v154
	v_mul_f32_e32 v154, v122, v157
	ds_read_b128 v[118:121], v1 offset:832
	v_add_f32_e32 v11, v147, v11
	s_waitcnt vmcnt(20)
	v_mul_f32_e32 v144, v124, v153
	v_mul_f32_e32 v153, v125, v153
	v_fmac_f32_e32 v154, v123, v8
	v_add_f32_e32 v123, v136, v155
	v_fma_f32 v8, v122, v8, -v151
	v_add_f32_e32 v10, v11, v10
	s_waitcnt vmcnt(19) lgkmcnt(4)
	v_mul_f32_e32 v148, v2, v170
	v_mul_f32_e32 v151, v3, v170
	v_add_f32_e32 v123, v123, v160
	s_waitcnt vmcnt(8)
	v_fma_f32 v124, v124, v173, -v153
	v_add_f32_e32 v8, v10, v8
	v_fmac_f32_e32 v144, v125, v173
	v_fmac_f32_e32 v148, v3, v163
	v_add_f32_e32 v10, v123, v154
	v_mul_f32_e32 v123, v5, v171
	v_fma_f32 v2, v2, v163, -v151
	v_add_f32_e32 v3, v8, v124
	v_mul_f32_e32 v150, v4, v171
	v_add_f32_e32 v8, v10, v144
	s_waitcnt lgkmcnt(3)
	v_mul_f32_e32 v10, v127, v172
	v_fma_f32 v4, v4, v139, -v123
	v_add_f32_e32 v2, v3, v2
	v_mul_f32_e32 v156, v126, v172
	v_fmac_f32_e32 v150, v5, v139
	v_add_f32_e32 v3, v8, v148
	v_mul_f32_e32 v5, v129, v134
	v_fma_f32 v8, v126, v138, -v10
	v_add_f32_e32 v2, v2, v4
	v_mul_f32_e32 v149, v128, v134
	v_fmac_f32_e32 v156, v127, v138
	v_add_f32_e32 v3, v3, v150
	s_waitcnt lgkmcnt(2)
	v_mul_f32_e32 v4, v131, v135
	s_waitcnt vmcnt(3)
	v_fma_f32 v5, v128, v142, -v5
	v_add_f32_e32 v2, v2, v8
	v_mul_f32_e32 v147, v130, v135
	v_fmac_f32_e32 v149, v129, v142
	v_add_f32_e32 v3, v3, v156
	v_mul_f32_e32 v8, v133, v152
	v_fma_f32 v4, v130, v141, -v4
	v_add_f32_e32 v2, v2, v5
	v_mul_f32_e32 v122, v132, v152
	v_fmac_f32_e32 v147, v131, v141
	v_add_f32_e32 v3, v3, v149
	s_waitcnt lgkmcnt(0)
	v_mul_f32_e32 v5, v119, v158
	v_fma_f32 v8, v132, v140, -v8
	v_add_f32_e32 v2, v2, v4
	v_mul_f32_e32 v136, v118, v158
	v_fmac_f32_e32 v122, v133, v140
	v_add_f32_e32 v3, v3, v147
	v_mul_f32_e32 v4, v121, v159
	v_fma_f32 v5, v118, v137, -v5
	v_add_f32_e32 v2, v2, v8
	v_mul_f32_e32 v11, v120, v159
	v_fmac_f32_e32 v136, v119, v137
	v_add_f32_e32 v3, v3, v122
	v_mul_f32_e32 v8, v7, v174
	s_waitcnt vmcnt(1)
	v_fma_f32 v4, v120, v145, -v4
	v_add_f32_e32 v2, v2, v5
	v_mul_f32_e32 v155, v6, v174
	v_fmac_f32_e32 v11, v121, v145
	v_add_f32_e32 v3, v3, v136
	v_fma_f32 v5, v6, v143, -v8
	v_add_f32_e32 v2, v2, v4
	v_fmac_f32_e32 v155, v7, v143
	v_add_f32_e32 v3, v3, v11
	v_add_f32_e32 v2, v2, v5
	;; [unrolled: 1-line block ×3, first 2 shown]
	s_waitcnt vmcnt(0)
	v_sub_f32_e32 v2, v146, v2
	v_sub_f32_e32 v3, v166, v3
	buffer_store_dword v2, off, s[0:3], 0 offset:120
	buffer_store_dword v3, off, s[0:3], 0 offset:124
	v_cmpx_lt_u32_e32 14, v0
	s_cbranch_execz .LBB116_303
; %bb.302:
	s_clause 0x1
	buffer_load_dword v2, off, s[0:3], 0 offset:112
	buffer_load_dword v3, off, s[0:3], 0 offset:116
	buffer_store_dword v1, off, s[0:3], 0 offset:112
	buffer_store_dword v1, off, s[0:3], 0 offset:116
	s_waitcnt vmcnt(0)
	ds_write_b64 v9, v[2:3]
.LBB116_303:
	s_or_b32 exec_lo, exec_lo, s4
	s_waitcnt lgkmcnt(0)
	s_waitcnt_vscnt null, 0x0
	s_barrier
	buffer_gl0_inv
	s_clause 0x2b
	buffer_load_dword v6, off, s[0:3], 0 offset:124
	buffer_load_dword v7, off, s[0:3], 0 offset:136
	;; [unrolled: 1-line block ×44, first 2 shown]
	ds_read2_b64 v[2:5], v1 offset0:69 offset1:70
	ds_read2_b64 v[118:121], v1 offset0:71 offset1:72
	;; [unrolled: 1-line block ×3, first 2 shown]
	buffer_load_dword v166, off, s[0:3], 0 offset:116
	s_mov_b32 s4, exec_lo
	s_waitcnt vmcnt(44) lgkmcnt(2)
	v_mul_f32_e32 v165, v3, v6
	v_mul_f32_e32 v6, v2, v6
	s_waitcnt vmcnt(41)
	v_fma_f32 v165, v2, v10, -v165
	v_fmac_f32_e32 v6, v3, v10
	s_waitcnt vmcnt(40)
	v_mul_f32_e32 v10, v4, v11
	v_mul_f32_e32 v2, v5, v11
	s_waitcnt vmcnt(39) lgkmcnt(1)
	v_mul_f32_e32 v11, v118, v126
	v_mul_f32_e32 v126, v119, v126
	v_add_f32_e32 v6, 0, v6
	v_fmac_f32_e32 v10, v5, v8
	v_fma_f32 v8, v4, v8, -v2
	ds_read2_b64 v[2:5], v1 offset0:75 offset1:76
	v_fmac_f32_e32 v11, v119, v7
	v_fma_f32 v7, v118, v7, -v126
	s_waitcnt vmcnt(38)
	v_mul_f32_e32 v126, v120, v127
	v_mul_f32_e32 v118, v121, v127
	v_add_f32_e32 v6, v6, v10
	s_waitcnt vmcnt(34)
	v_fmac_f32_e32 v126, v121, v131
	v_fma_f32 v127, v120, v131, -v118
	ds_read2_b64 v[118:121], v1 offset0:77 offset1:78
	s_waitcnt vmcnt(33) lgkmcnt(2)
	v_mul_f32_e32 v131, v122, v132
	v_mul_f32_e32 v132, v123, v132
	v_add_f32_e32 v6, v6, v11
	v_fmac_f32_e32 v131, v123, v130
	v_fma_f32 v130, v122, v130, -v132
	s_waitcnt vmcnt(32)
	v_mul_f32_e32 v132, v124, v133
	v_mul_f32_e32 v122, v125, v133
	s_waitcnt vmcnt(31) lgkmcnt(1)
	v_mul_f32_e32 v133, v2, v134
	v_mul_f32_e32 v134, v3, v134
	v_add_f32_e32 v6, v6, v126
	v_fmac_f32_e32 v132, v125, v129
	v_fma_f32 v129, v124, v129, -v122
	ds_read2_b64 v[122:125], v1 offset0:79 offset1:80
	v_fmac_f32_e32 v133, v3, v128
	v_fma_f32 v128, v2, v128, -v134
	s_waitcnt vmcnt(30)
	v_mul_f32_e32 v134, v4, v135
	v_mul_f32_e32 v2, v5, v135
	v_add_f32_e32 v6, v6, v131
	s_waitcnt vmcnt(26)
	v_fmac_f32_e32 v134, v5, v139
	v_fma_f32 v135, v4, v139, -v2
	s_waitcnt vmcnt(25) lgkmcnt(1)
	v_mul_f32_e32 v139, v118, v140
	v_mul_f32_e32 v2, v119, v140
	s_waitcnt vmcnt(24)
	v_mul_f32_e32 v140, v120, v141
	v_mul_f32_e32 v141, v121, v141
	v_add_f32_e32 v6, v6, v132
	v_fmac_f32_e32 v139, v119, v138
	v_fma_f32 v138, v118, v138, -v2
	ds_read2_b64 v[2:5], v1 offset0:81 offset1:82
	v_fmac_f32_e32 v140, v121, v137
	v_fma_f32 v137, v120, v137, -v141
	ds_read2_b64 v[118:121], v1 offset0:83 offset1:84
	s_waitcnt vmcnt(23) lgkmcnt(2)
	v_mul_f32_e32 v141, v122, v142
	v_mul_f32_e32 v142, v123, v142
	v_fmac_f32_e32 v141, v123, v136
	v_fma_f32 v122, v122, v136, -v142
	s_waitcnt vmcnt(22)
	v_mul_f32_e32 v123, v124, v143
	v_mul_f32_e32 v136, v125, v143
	s_waitcnt vmcnt(18)
	v_fmac_f32_e32 v123, v125, v147
	v_fma_f32 v124, v124, v147, -v136
	s_clause 0x1
	buffer_load_dword v125, off, s[0:3], 0 offset:292
	buffer_load_dword v136, off, s[0:3], 0 offset:300
	s_waitcnt vmcnt(19) lgkmcnt(1)
	v_mul_f32_e32 v142, v2, v148
	v_mul_f32_e32 v143, v3, v148
	s_waitcnt vmcnt(18)
	v_mul_f32_e32 v147, v4, v149
	v_mul_f32_e32 v148, v5, v149
	s_waitcnt vmcnt(17) lgkmcnt(0)
	v_mul_f32_e32 v149, v118, v150
	v_mul_f32_e32 v150, v119, v150
	v_fmac_f32_e32 v142, v3, v146
	v_fma_f32 v143, v2, v146, -v143
	s_waitcnt vmcnt(16)
	v_mul_f32_e32 v146, v120, v151
	v_mul_f32_e32 v151, v121, v151
	v_fmac_f32_e32 v147, v5, v145
	v_fma_f32 v145, v4, v145, -v148
	ds_read2_b64 v[2:5], v1 offset0:85 offset1:86
	v_fmac_f32_e32 v149, v119, v144
	v_fma_f32 v144, v118, v144, -v150
	s_waitcnt vmcnt(12)
	v_fmac_f32_e32 v146, v121, v155
	v_fma_f32 v148, v120, v155, -v151
	v_add_f32_e32 v118, 0, v165
	s_clause 0x4
	buffer_load_dword v150, off, s[0:3], 0 offset:308
	buffer_load_dword v151, off, s[0:3], 0 offset:328
	;; [unrolled: 1-line block ×5, first 2 shown]
	v_add_f32_e32 v8, v118, v8
	v_add_f32_e32 v7, v8, v7
	s_clause 0x2
	buffer_load_dword v8, off, s[0:3], 0 offset:316
	buffer_load_dword v10, off, s[0:3], 0 offset:324
	;; [unrolled: 1-line block ×3, first 2 shown]
	ds_read2_b64 v[118:121], v1 offset0:87 offset1:88
	v_add_f32_e32 v7, v7, v127
	s_waitcnt vmcnt(19) lgkmcnt(1)
	v_mul_f32_e32 v126, v2, v156
	v_mul_f32_e32 v127, v3, v156
	s_waitcnt vmcnt(18)
	v_mul_f32_e32 v131, v5, v157
	v_add_f32_e32 v7, v7, v130
	v_mul_f32_e32 v130, v4, v157
	v_fmac_f32_e32 v126, v3, v154
	v_add_f32_e32 v3, v7, v129
	v_fma_f32 v7, v2, v154, -v127
	v_fmac_f32_e32 v130, v5, v153
	v_fma_f32 v127, v4, v153, -v131
	v_add_f32_e32 v2, v3, v128
	v_add_f32_e32 v3, v6, v133
	s_clause 0x7
	buffer_load_dword v6, off, s[0:3], 0 offset:340
	buffer_load_dword v153, off, s[0:3], 0 offset:348
	;; [unrolled: 1-line block ×8, first 2 shown]
	s_waitcnt vmcnt(25) lgkmcnt(0)
	v_mul_f32_e32 v4, v119, v158
	v_mul_f32_e32 v128, v118, v158
	v_add_f32_e32 v2, v2, v135
	v_add_f32_e32 v3, v3, v134
	s_clause 0x3
	buffer_load_dword v158, off, s[0:3], 0 offset:372
	buffer_load_dword v171, off, s[0:3], 0 offset:380
	;; [unrolled: 1-line block ×4, first 2 shown]
	v_fma_f32 v129, v118, v152, -v4
	v_fmac_f32_e32 v128, v119, v152
	v_add_f32_e32 v2, v2, v138
	v_add_f32_e32 v118, v3, v139
	s_waitcnt vmcnt(28)
	v_mul_f32_e32 v3, v121, v159
	s_clause 0x1
	buffer_load_dword v138, off, s[0:3], 0 offset:404
	buffer_load_dword v152, off, s[0:3], 0 offset:412
	v_mul_f32_e32 v131, v120, v159
	v_add_f32_e32 v119, v2, v137
	v_add_f32_e32 v118, v118, v140
	s_waitcnt vmcnt(26)
	v_fma_f32 v132, v120, v163, -v3
	ds_read2_b64 v[2:5], v1 offset0:89 offset1:90
	buffer_load_dword v139, off, s[0:3], 0 offset:420
	v_fmac_f32_e32 v131, v121, v163
	v_add_f32_e32 v119, v119, v122
	v_add_f32_e32 v118, v118, v141
	s_clause 0x3
	buffer_load_dword v140, off, s[0:3], 0 offset:392
	buffer_load_dword v141, off, s[0:3], 0 offset:384
	;; [unrolled: 1-line block ×4, first 2 shown]
	v_add_f32_e32 v119, v119, v124
	v_add_f32_e32 v118, v118, v123
	;; [unrolled: 1-line block ×4, first 2 shown]
	ds_read2_b64 v[118:121], v1 offset0:91 offset1:92
	v_add_f32_e32 v122, v122, v145
	s_waitcnt vmcnt(30) lgkmcnt(1)
	v_mul_f32_e32 v133, v2, v164
	v_mul_f32_e32 v124, v3, v164
	v_fmac_f32_e32 v133, v3, v162
	v_add_f32_e32 v3, v122, v144
	s_clause 0x3
	buffer_load_dword v142, off, s[0:3], 0 offset:416
	buffer_load_dword v143, off, s[0:3], 0 offset:408
	;; [unrolled: 1-line block ×4, first 2 shown]
	v_fma_f32 v134, v2, v162, -v124
	v_add_f32_e32 v2, v123, v147
	v_add_f32_e32 v3, v3, v148
	v_add_f32_e32 v2, v2, v149
	v_add_f32_e32 v7, v3, v7
	v_add_f32_e32 v123, v2, v146
	v_add_f32_e32 v7, v7, v127
	v_add_f32_e32 v126, v123, v126
	v_add_f32_e32 v7, v7, v129
	v_add_f32_e32 v126, v126, v130
	v_add_f32_e32 v7, v7, v132
	v_add_f32_e32 v7, v7, v134
	s_waitcnt vmcnt(32)
	v_mul_f32_e32 v135, v4, v125
	v_mul_f32_e32 v122, v5, v125
	s_waitcnt vmcnt(31) lgkmcnt(0)
	v_mul_f32_e32 v127, v119, v136
	v_mul_f32_e32 v146, v118, v136
	v_fmac_f32_e32 v135, v5, v161
	v_fma_f32 v137, v4, v161, -v122
	ds_read2_b64 v[2:5], v1 offset0:93 offset1:94
	ds_read2_b64 v[122:125], v1 offset0:95 offset1:96
	v_fma_f32 v136, v118, v160, -v127
	v_fmac_f32_e32 v146, v119, v160
	v_add_f32_e32 v7, v7, v137
	v_add_f32_e32 v7, v7, v136
	s_waitcnt vmcnt(30)
	v_mul_f32_e32 v130, v121, v150
	v_mul_f32_e32 v147, v120, v150
	s_waitcnt vmcnt(26)
	v_fma_f32 v148, v120, v167, -v130
	v_add_f32_e32 v130, v126, v128
	v_fmac_f32_e32 v147, v121, v167
	ds_read2_b64 v[118:121], v1 offset0:97 offset1:98
	ds_read2_b64 v[126:129], v1 offset0:99 offset1:100
	v_add_f32_e32 v7, v7, v148
	v_add_f32_e32 v130, v130, v131
	s_waitcnt vmcnt(25) lgkmcnt(3)
	v_mul_f32_e32 v149, v2, v8
	s_waitcnt vmcnt(24)
	v_mul_f32_e32 v150, v4, v10
	v_mul_f32_e32 v10, v5, v10
	;; [unrolled: 1-line block ×3, first 2 shown]
	v_add_f32_e32 v134, v130, v133
	v_fmac_f32_e32 v149, v3, v165
	v_fmac_f32_e32 v150, v5, v155
	v_fma_f32 v10, v4, v155, -v10
	v_fma_f32 v8, v2, v165, -v8
	v_add_f32_e32 v155, v134, v135
	ds_read2_b64 v[2:5], v1 offset0:101 offset1:102
	ds_read2_b64 v[130:133], v1 offset0:103 offset1:104
	;; [unrolled: 1-line block ×3, first 2 shown]
	s_waitcnt vmcnt(23) lgkmcnt(5)
	v_mul_f32_e32 v160, v122, v11
	v_mul_f32_e32 v11, v123, v11
	v_add_f32_e32 v1, v155, v146
	v_add_f32_e32 v7, v7, v8
	v_fmac_f32_e32 v160, v123, v151
	v_fma_f32 v11, v122, v151, -v11
	v_add_f32_e32 v1, v1, v147
	s_waitcnt vmcnt(22)
	v_mul_f32_e32 v122, v124, v6
	v_mul_f32_e32 v6, v125, v6
	v_add_f32_e32 v7, v7, v10
	s_waitcnt vmcnt(21) lgkmcnt(4)
	v_mul_f32_e32 v147, v119, v153
	v_add_f32_e32 v1, v1, v149
	v_mul_f32_e32 v123, v118, v153
	s_waitcnt vmcnt(15)
	v_fma_f32 v6, v124, v170, -v6
	v_add_f32_e32 v7, v7, v11
	v_fmac_f32_e32 v122, v125, v170
	v_add_f32_e32 v1, v1, v150
	v_mul_f32_e32 v10, v121, v154
	v_fma_f32 v118, v118, v169, -v147
	v_add_f32_e32 v6, v7, v6
	v_mul_f32_e32 v146, v120, v154
	v_add_f32_e32 v1, v1, v160
	v_fmac_f32_e32 v123, v119, v169
	s_waitcnt lgkmcnt(3)
	v_mul_f32_e32 v7, v127, v156
	v_fma_f32 v10, v120, v168, -v10
	v_add_f32_e32 v6, v6, v118
	v_add_f32_e32 v1, v1, v122
	v_mul_f32_e32 v124, v126, v156
	v_fmac_f32_e32 v146, v121, v168
	s_waitcnt vmcnt(14)
	v_mul_f32_e32 v118, v129, v158
	v_fma_f32 v7, v126, v157, -v7
	v_add_f32_e32 v1, v1, v123
	v_add_f32_e32 v6, v6, v10
	v_mul_f32_e32 v125, v128, v158
	v_fmac_f32_e32 v124, v127, v157
	s_waitcnt vmcnt(13) lgkmcnt(2)
	v_mul_f32_e32 v8, v2, v171
	v_add_f32_e32 v1, v1, v146
	v_mul_f32_e32 v10, v3, v171
	s_waitcnt vmcnt(4)
	v_fma_f32 v118, v128, v163, -v118
	v_add_f32_e32 v6, v6, v7
	v_fmac_f32_e32 v125, v129, v163
	v_add_f32_e32 v1, v1, v124
	v_mul_f32_e32 v7, v5, v172
	v_fmac_f32_e32 v8, v3, v159
	v_fma_f32 v2, v2, v159, -v10
	v_add_f32_e32 v3, v6, v118
	v_mul_f32_e32 v148, v4, v172
	v_add_f32_e32 v1, v1, v125
	s_waitcnt lgkmcnt(1)
	v_mul_f32_e32 v6, v131, v173
	v_fma_f32 v4, v4, v141, -v7
	v_add_f32_e32 v2, v3, v2
	v_mul_f32_e32 v149, v130, v173
	v_fmac_f32_e32 v148, v5, v141
	v_add_f32_e32 v1, v1, v8
	v_mul_f32_e32 v3, v133, v138
	v_fma_f32 v5, v130, v140, -v6
	v_add_f32_e32 v2, v2, v4
	v_mul_f32_e32 v150, v132, v138
	v_fmac_f32_e32 v149, v131, v140
	v_add_f32_e32 v1, v1, v148
	s_waitcnt lgkmcnt(0)
	v_mul_f32_e32 v4, v135, v152
	s_waitcnt vmcnt(1)
	v_fma_f32 v3, v132, v144, -v3
	v_add_f32_e32 v2, v2, v5
	v_mul_f32_e32 v151, v134, v152
	v_fmac_f32_e32 v150, v133, v144
	v_add_f32_e32 v1, v1, v149
	v_mul_f32_e32 v5, v137, v139
	v_fma_f32 v4, v134, v143, -v4
	v_add_f32_e32 v2, v2, v3
	v_mul_f32_e32 v11, v136, v139
	v_fmac_f32_e32 v151, v135, v143
	v_add_f32_e32 v1, v1, v150
	v_fma_f32 v3, v136, v142, -v5
	v_add_f32_e32 v2, v2, v4
	v_fmac_f32_e32 v11, v137, v142
	v_add_f32_e32 v1, v1, v151
	v_add_f32_e32 v2, v2, v3
	;; [unrolled: 1-line block ×3, first 2 shown]
	s_waitcnt vmcnt(0)
	v_sub_f32_e32 v2, v145, v2
	v_sub_f32_e32 v1, v166, v1
	buffer_store_dword v2, off, s[0:3], 0 offset:112
	buffer_store_dword v1, off, s[0:3], 0 offset:116
	v_cmpx_lt_u32_e32 13, v0
	s_cbranch_execz .LBB116_305
; %bb.304:
	s_clause 0x1
	buffer_load_dword v1, off, s[0:3], 0 offset:104
	buffer_load_dword v2, off, s[0:3], 0 offset:108
	v_mov_b32_e32 v3, 0
	buffer_store_dword v3, off, s[0:3], 0 offset:104
	buffer_store_dword v3, off, s[0:3], 0 offset:108
	s_waitcnt vmcnt(0)
	ds_write_b64 v9, v[1:2]
.LBB116_305:
	s_or_b32 exec_lo, exec_lo, s4
	s_waitcnt lgkmcnt(0)
	s_waitcnt_vscnt null, 0x0
	s_barrier
	buffer_gl0_inv
	s_clause 0x2c
	buffer_load_dword v6, off, s[0:3], 0 offset:116
	buffer_load_dword v7, off, s[0:3], 0 offset:124
	;; [unrolled: 1-line block ×45, first 2 shown]
	v_mov_b32_e32 v1, 0
	ds_read_b128 v[2:5], v1 offset:544
	ds_read_b128 v[118:121], v1 offset:560
	s_clause 0x2
	buffer_load_dword v164, off, s[0:3], 0 offset:108
	buffer_load_dword v165, off, s[0:3], 0 offset:292
	;; [unrolled: 1-line block ×3, first 2 shown]
	s_mov_b32 s4, exec_lo
	s_waitcnt vmcnt(47) lgkmcnt(1)
	v_mul_f32_e32 v162, v3, v6
	v_mul_f32_e32 v6, v2, v6
	s_waitcnt vmcnt(46)
	v_mul_f32_e32 v163, v4, v7
	v_mul_f32_e32 v7, v5, v7
	s_waitcnt vmcnt(43)
	v_fma_f32 v162, v2, v11, -v162
	v_fmac_f32_e32 v6, v3, v11
	v_fmac_f32_e32 v163, v5, v10
	v_fma_f32 v7, v4, v10, -v7
	ds_read_b128 v[2:5], v1 offset:576
	s_waitcnt vmcnt(42) lgkmcnt(1)
	v_mul_f32_e32 v10, v118, v122
	v_mul_f32_e32 v11, v119, v122
	s_waitcnt vmcnt(41)
	v_mul_f32_e32 v122, v120, v123
	v_mul_f32_e32 v123, v121, v123
	v_fmac_f32_e32 v10, v119, v8
	v_fma_f32 v8, v118, v8, -v11
	s_waitcnt vmcnt(37)
	v_fmac_f32_e32 v122, v121, v127
	v_fma_f32 v11, v120, v127, -v123
	ds_read_b128 v[118:121], v1 offset:592
	s_waitcnt vmcnt(36) lgkmcnt(1)
	v_mul_f32_e32 v123, v2, v128
	v_mul_f32_e32 v127, v3, v128
	s_waitcnt vmcnt(35)
	v_mul_f32_e32 v128, v4, v129
	v_mul_f32_e32 v129, v5, v129
	v_fmac_f32_e32 v123, v3, v126
	v_fma_f32 v126, v2, v126, -v127
	v_fmac_f32_e32 v128, v5, v125
	v_fma_f32 v125, v4, v125, -v129
	ds_read_b128 v[2:5], v1 offset:608
	s_waitcnt vmcnt(34) lgkmcnt(1)
	v_mul_f32_e32 v127, v118, v130
	v_mul_f32_e32 v129, v119, v130
	s_waitcnt vmcnt(33)
	v_mul_f32_e32 v130, v120, v131
	v_mul_f32_e32 v131, v121, v131
	v_fmac_f32_e32 v127, v119, v124
	v_fma_f32 v124, v118, v124, -v129
	s_waitcnt vmcnt(29)
	v_fmac_f32_e32 v130, v121, v135
	v_fma_f32 v129, v120, v135, -v131
	ds_read_b128 v[118:121], v1 offset:624
	s_waitcnt vmcnt(28) lgkmcnt(1)
	v_mul_f32_e32 v131, v2, v136
	v_mul_f32_e32 v135, v3, v136
	s_waitcnt vmcnt(27)
	v_mul_f32_e32 v136, v4, v137
	v_mul_f32_e32 v137, v5, v137
	v_fmac_f32_e32 v131, v3, v134
	v_fma_f32 v134, v2, v134, -v135
	;; [unrolled: 23-line block ×5, first 2 shown]
	v_fmac_f32_e32 v160, v5, v157
	v_fma_f32 v157, v4, v157, -v161
	s_clause 0x3
	buffer_load_dword v159, off, s[0:3], 0 offset:320
	buffer_load_dword v161, off, s[0:3], 0 offset:312
	buffer_load_dword v167, off, s[0:3], 0 offset:304
	buffer_load_dword v2, off, s[0:3], 0 offset:296
	s_waitcnt vmcnt(5) lgkmcnt(0)
	v_mul_f32_e32 v168, v118, v165
	v_mul_f32_e32 v3, v119, v165
	s_waitcnt vmcnt(4)
	v_mul_f32_e32 v165, v120, v166
	v_mul_f32_e32 v4, v121, v166
	s_clause 0x1
	buffer_load_dword v166, off, s[0:3], 0 offset:308
	buffer_load_dword v170, off, s[0:3], 0 offset:316
	v_fmac_f32_e32 v168, v119, v156
	v_fma_f32 v156, v118, v156, -v3
	v_add_f32_e32 v3, 0, v6
	buffer_load_dword v6, off, s[0:3], 0 offset:332
	v_add_f32_e32 v3, v3, v163
	v_add_f32_e32 v3, v3, v10
	;; [unrolled: 1-line block ×17, first 2 shown]
	s_waitcnt vmcnt(3)
	v_fmac_f32_e32 v165, v121, v2
	v_fma_f32 v169, v120, v2, -v4
	v_add_f32_e32 v2, 0, v162
	buffer_load_dword v162, off, s[0:3], 0 offset:324
	v_add_f32_e32 v2, v2, v7
	v_add_f32_e32 v2, v2, v8
	s_clause 0x3
	buffer_load_dword v8, off, s[0:3], 0 offset:352
	buffer_load_dword v163, off, s[0:3], 0 offset:344
	;; [unrolled: 1-line block ×4, first 2 shown]
	v_add_f32_e32 v2, v2, v11
	s_clause 0x8
	buffer_load_dword v10, off, s[0:3], 0 offset:340
	buffer_load_dword v11, off, s[0:3], 0 offset:348
	;; [unrolled: 1-line block ×9, first 2 shown]
	v_add_f32_e32 v2, v2, v126
	s_clause 0x1
	buffer_load_dword v179, off, s[0:3], 0 offset:412
	buffer_load_dword v180, off, s[0:3], 0 offset:420
	v_add_f32_e32 v126, v122, v151
	v_add_f32_e32 v2, v2, v125
	;; [unrolled: 1-line block ×7, first 2 shown]
	s_clause 0x3
	buffer_load_dword v134, off, s[0:3], 0 offset:384
	buffer_load_dword v181, off, s[0:3], 0 offset:376
	;; [unrolled: 1-line block ×4, first 2 shown]
	v_add_f32_e32 v2, v2, v133
	v_add_f32_e32 v2, v2, v132
	;; [unrolled: 1-line block ×3, first 2 shown]
	s_clause 0x4
	buffer_load_dword v135, off, s[0:3], 0 offset:416
	buffer_load_dword v136, off, s[0:3], 0 offset:408
	;; [unrolled: 1-line block ×5, first 2 shown]
	v_add_f32_e32 v2, v2, v142
	v_add_f32_e32 v118, v2, v141
	ds_read_b128 v[2:5], v1 offset:736
	v_add_f32_e32 v118, v118, v140
	v_add_f32_e32 v118, v118, v145
	;; [unrolled: 1-line block ×3, first 2 shown]
	ds_read_b128 v[118:121], v1 offset:752
	v_add_f32_e32 v123, v123, v149
	s_waitcnt vmcnt(27) lgkmcnt(1)
	v_mul_f32_e32 v139, v2, v166
	v_mul_f32_e32 v124, v3, v166
	s_waitcnt vmcnt(26)
	v_mul_f32_e32 v140, v4, v170
	v_mul_f32_e32 v125, v5, v170
	v_fmac_f32_e32 v139, v3, v167
	v_add_f32_e32 v3, v123, v148
	v_fma_f32 v141, v2, v167, -v124
	v_fmac_f32_e32 v140, v5, v161
	v_fma_f32 v142, v4, v161, -v125
	v_add_f32_e32 v130, v3, v153
	ds_read_b128 v[2:5], v1 offset:768
	ds_read_b128 v[122:125], v1 offset:784
	;; [unrolled: 1-line block ×3, first 2 shown]
	s_waitcnt vmcnt(25) lgkmcnt(3)
	v_mul_f32_e32 v144, v120, v6
	v_add_f32_e32 v130, v130, v158
	v_mul_f32_e32 v6, v121, v6
	v_add_f32_e32 v130, v130, v157
	s_waitcnt vmcnt(24)
	v_mul_f32_e32 v132, v119, v162
	v_mul_f32_e32 v143, v118, v162
	v_fma_f32 v145, v118, v159, -v132
	v_add_f32_e32 v118, v131, v160
	v_fmac_f32_e32 v143, v119, v159
	v_add_f32_e32 v119, v130, v156
	ds_read_b128 v[130:133], v1 offset:816
	s_waitcnt vmcnt(20)
	v_fma_f32 v146, v120, v7, -v6
	v_add_f32_e32 v147, v118, v168
	v_fmac_f32_e32 v144, v121, v7
	v_add_f32_e32 v148, v119, v169
	s_waitcnt vmcnt(19) lgkmcnt(3)
	v_mul_f32_e32 v149, v2, v10
	v_mul_f32_e32 v10, v3, v10
	v_add_f32_e32 v147, v147, v165
	s_waitcnt vmcnt(18)
	v_mul_f32_e32 v150, v4, v11
	v_add_f32_e32 v141, v148, v141
	v_mul_f32_e32 v11, v5, v11
	v_fma_f32 v2, v2, v171, -v10
	v_add_f32_e32 v139, v147, v139
	v_fmac_f32_e32 v149, v3, v171
	v_add_f32_e32 v141, v141, v142
	s_waitcnt vmcnt(17) lgkmcnt(2)
	v_mul_f32_e32 v147, v122, v172
	v_fma_f32 v4, v4, v163, -v11
	v_add_f32_e32 v139, v139, v140
	v_fmac_f32_e32 v150, v5, v163
	v_add_f32_e32 v141, v141, v145
	v_fmac_f32_e32 v147, v123, v8
	s_waitcnt vmcnt(16)
	v_mul_f32_e32 v142, v124, v173
	v_add_f32_e32 v10, v139, v143
	ds_read_b128 v[118:121], v1 offset:832
	ds_read_b64 v[6:7], v1 offset:848
	v_add_f32_e32 v141, v141, v146
	v_mul_f32_e32 v146, v123, v172
	s_waitcnt vmcnt(15) lgkmcnt(3)
	v_mul_f32_e32 v148, v126, v174
	v_add_f32_e32 v10, v10, v144
	s_waitcnt vmcnt(14)
	v_mul_f32_e32 v140, v128, v175
	v_add_f32_e32 v2, v141, v2
	v_fma_f32 v8, v122, v8, -v146
	s_waitcnt vmcnt(5)
	v_fmac_f32_e32 v142, v125, v183
	v_add_f32_e32 v5, v10, v149
	v_mul_f32_e32 v10, v125, v173
	v_add_f32_e32 v2, v2, v4
	v_fmac_f32_e32 v148, v127, v182
	s_waitcnt lgkmcnt(2)
	v_mul_f32_e32 v145, v130, v176
	v_add_f32_e32 v4, v5, v150
	v_mul_f32_e32 v5, v127, v174
	v_fma_f32 v10, v124, v183, -v10
	v_add_f32_e32 v2, v2, v8
	v_mul_f32_e32 v8, v129, v175
	v_add_f32_e32 v4, v4, v147
	v_fma_f32 v5, v126, v182, -v5
	v_fmac_f32_e32 v140, v129, v181
	v_add_f32_e32 v2, v2, v10
	v_mul_f32_e32 v10, v131, v176
	v_add_f32_e32 v4, v4, v142
	v_fma_f32 v8, v128, v181, -v8
	v_mul_f32_e32 v3, v132, v177
	v_add_f32_e32 v2, v2, v5
	v_mul_f32_e32 v5, v133, v177
	v_add_f32_e32 v4, v4, v148
	v_fma_f32 v10, v130, v134, -v10
	v_fmac_f32_e32 v145, v131, v134
	v_add_f32_e32 v2, v2, v8
	s_waitcnt lgkmcnt(1)
	v_mul_f32_e32 v8, v119, v178
	v_add_f32_e32 v4, v4, v140
	s_waitcnt vmcnt(1)
	v_fma_f32 v5, v132, v184, -v5
	v_mul_f32_e32 v139, v118, v178
	v_add_f32_e32 v2, v2, v10
	v_fmac_f32_e32 v3, v133, v184
	v_add_f32_e32 v4, v4, v145
	v_mul_f32_e32 v10, v121, v179
	v_fma_f32 v8, v118, v137, -v8
	v_add_f32_e32 v2, v2, v5
	v_mul_f32_e32 v143, v120, v179
	v_fmac_f32_e32 v139, v119, v137
	v_add_f32_e32 v3, v4, v3
	s_waitcnt lgkmcnt(0)
	v_mul_f32_e32 v4, v7, v180
	v_fma_f32 v5, v120, v136, -v10
	v_add_f32_e32 v2, v2, v8
	v_mul_f32_e32 v144, v6, v180
	v_fmac_f32_e32 v143, v121, v136
	v_add_f32_e32 v3, v3, v139
	v_fma_f32 v4, v6, v135, -v4
	v_add_f32_e32 v2, v2, v5
	v_fmac_f32_e32 v144, v7, v135
	v_add_f32_e32 v3, v3, v143
	v_add_f32_e32 v2, v2, v4
	;; [unrolled: 1-line block ×3, first 2 shown]
	s_waitcnt vmcnt(0)
	v_sub_f32_e32 v2, v138, v2
	v_sub_f32_e32 v3, v164, v3
	buffer_store_dword v2, off, s[0:3], 0 offset:104
	buffer_store_dword v3, off, s[0:3], 0 offset:108
	v_cmpx_lt_u32_e32 12, v0
	s_cbranch_execz .LBB116_307
; %bb.306:
	s_clause 0x1
	buffer_load_dword v2, off, s[0:3], 0 offset:96
	buffer_load_dword v3, off, s[0:3], 0 offset:100
	buffer_store_dword v1, off, s[0:3], 0 offset:96
	buffer_store_dword v1, off, s[0:3], 0 offset:100
	s_waitcnt vmcnt(0)
	ds_write_b64 v9, v[2:3]
.LBB116_307:
	s_or_b32 exec_lo, exec_lo, s4
	s_waitcnt lgkmcnt(0)
	s_waitcnt_vscnt null, 0x0
	s_barrier
	buffer_gl0_inv
	s_clause 0x2c
	buffer_load_dword v6, off, s[0:3], 0 offset:108
	buffer_load_dword v7, off, s[0:3], 0 offset:116
	;; [unrolled: 1-line block ×45, first 2 shown]
	ds_read2_b64 v[2:5], v1 offset0:67 offset1:68
	ds_read2_b64 v[118:121], v1 offset0:69 offset1:70
	s_clause 0x2
	buffer_load_dword v164, off, s[0:3], 0 offset:100
	buffer_load_dword v165, off, s[0:3], 0 offset:284
	;; [unrolled: 1-line block ×3, first 2 shown]
	s_mov_b32 s4, exec_lo
	s_waitcnt vmcnt(47) lgkmcnt(1)
	v_mul_f32_e32 v162, v3, v6
	v_mul_f32_e32 v6, v2, v6
	s_waitcnt vmcnt(46)
	v_mul_f32_e32 v163, v4, v7
	v_mul_f32_e32 v7, v5, v7
	s_waitcnt vmcnt(43)
	v_fma_f32 v162, v2, v11, -v162
	v_fmac_f32_e32 v6, v3, v11
	v_fmac_f32_e32 v163, v5, v10
	v_fma_f32 v7, v4, v10, -v7
	ds_read2_b64 v[2:5], v1 offset0:71 offset1:72
	s_waitcnt vmcnt(42) lgkmcnt(1)
	v_mul_f32_e32 v10, v118, v122
	v_mul_f32_e32 v11, v119, v122
	s_waitcnt vmcnt(41)
	v_mul_f32_e32 v122, v120, v123
	v_mul_f32_e32 v123, v121, v123
	v_fmac_f32_e32 v10, v119, v8
	v_fma_f32 v8, v118, v8, -v11
	s_waitcnt vmcnt(37)
	v_fmac_f32_e32 v122, v121, v127
	v_fma_f32 v11, v120, v127, -v123
	ds_read2_b64 v[118:121], v1 offset0:73 offset1:74
	s_waitcnt vmcnt(36) lgkmcnt(1)
	v_mul_f32_e32 v123, v2, v128
	v_mul_f32_e32 v127, v3, v128
	s_waitcnt vmcnt(35)
	v_mul_f32_e32 v128, v4, v129
	v_mul_f32_e32 v129, v5, v129
	v_fmac_f32_e32 v123, v3, v126
	v_fma_f32 v126, v2, v126, -v127
	v_fmac_f32_e32 v128, v5, v125
	v_fma_f32 v125, v4, v125, -v129
	ds_read2_b64 v[2:5], v1 offset0:75 offset1:76
	s_waitcnt vmcnt(34) lgkmcnt(1)
	v_mul_f32_e32 v127, v118, v130
	v_mul_f32_e32 v129, v119, v130
	s_waitcnt vmcnt(33)
	v_mul_f32_e32 v130, v120, v131
	v_mul_f32_e32 v131, v121, v131
	v_fmac_f32_e32 v127, v119, v124
	v_fma_f32 v124, v118, v124, -v129
	s_waitcnt vmcnt(29)
	v_fmac_f32_e32 v130, v121, v135
	v_fma_f32 v129, v120, v135, -v131
	ds_read2_b64 v[118:121], v1 offset0:77 offset1:78
	s_waitcnt vmcnt(28) lgkmcnt(1)
	v_mul_f32_e32 v131, v2, v136
	v_mul_f32_e32 v135, v3, v136
	s_waitcnt vmcnt(27)
	v_mul_f32_e32 v136, v4, v137
	v_mul_f32_e32 v137, v5, v137
	v_fmac_f32_e32 v131, v3, v134
	v_fma_f32 v134, v2, v134, -v135
	;; [unrolled: 23-line block ×5, first 2 shown]
	v_fmac_f32_e32 v160, v5, v157
	v_fma_f32 v157, v4, v157, -v161
	s_clause 0x5
	buffer_load_dword v159, off, s[0:3], 0 offset:312
	buffer_load_dword v161, off, s[0:3], 0 offset:304
	;; [unrolled: 1-line block ×6, first 2 shown]
	v_add_f32_e32 v3, 0, v162
	v_add_f32_e32 v4, 0, v6
	buffer_load_dword v6, off, s[0:3], 0 offset:316
	s_waitcnt vmcnt(8) lgkmcnt(0)
	v_mul_f32_e32 v5, v119, v165
	s_waitcnt vmcnt(7)
	v_mul_f32_e32 v170, v120, v166
	v_add_f32_e32 v3, v3, v7
	v_add_f32_e32 v4, v4, v163
	v_mul_f32_e32 v7, v118, v165
	v_add_f32_e32 v3, v3, v8
	v_add_f32_e32 v4, v4, v10
	buffer_load_dword v8, off, s[0:3], 0 offset:324
	v_fmac_f32_e32 v7, v119, v156
	v_fma_f32 v10, v118, v156, -v5
	v_add_f32_e32 v3, v3, v11
	s_clause 0x6
	buffer_load_dword v11, off, s[0:3], 0 offset:344
	buffer_load_dword v156, off, s[0:3], 0 offset:336
	;; [unrolled: 1-line block ×7, first 2 shown]
	v_add_f32_e32 v4, v4, v122
	v_add_f32_e32 v3, v3, v126
	v_mul_f32_e32 v5, v121, v166
	s_clause 0x3
	buffer_load_dword v166, off, s[0:3], 0 offset:340
	buffer_load_dword v174, off, s[0:3], 0 offset:364
	;; [unrolled: 1-line block ×4, first 2 shown]
	v_add_f32_e32 v4, v4, v123
	v_add_f32_e32 v3, v3, v125
	s_clause 0x8
	buffer_load_dword v177, off, s[0:3], 0 offset:388
	buffer_load_dword v178, off, s[0:3], 0 offset:396
	;; [unrolled: 1-line block ×9, first 2 shown]
	v_add_f32_e32 v4, v4, v128
	s_waitcnt vmcnt(24)
	v_fmac_f32_e32 v170, v121, v2
	v_fma_f32 v172, v120, v2, -v5
	v_add_f32_e32 v2, v3, v124
	v_add_f32_e32 v3, v4, v127
	;; [unrolled: 1-line block ×12, first 2 shown]
	s_clause 0x3
	buffer_load_dword v138, off, s[0:3], 0 offset:408
	buffer_load_dword v186, off, s[0:3], 0 offset:400
	;; [unrolled: 1-line block ×4, first 2 shown]
	v_add_f32_e32 v2, v2, v142
	buffer_load_dword v142, off, s[0:3], 0 offset:416
	v_add_f32_e32 v3, v3, v139
	buffer_load_dword v139, off, s[0:3], 0 offset:96
	v_add_f32_e32 v2, v2, v141
	v_add_f32_e32 v3, v3, v144
	;; [unrolled: 1-line block ×4, first 2 shown]
	ds_read2_b64 v[2:5], v1 offset0:91 offset1:92
	v_add_f32_e32 v118, v118, v145
	v_add_f32_e32 v119, v119, v146
	;; [unrolled: 1-line block ×4, first 2 shown]
	ds_read2_b64 v[118:121], v1 offset0:93 offset1:94
	v_add_f32_e32 v122, v122, v149
	v_add_f32_e32 v123, v123, v152
	;; [unrolled: 1-line block ×4, first 2 shown]
	s_waitcnt vmcnt(29) lgkmcnt(1)
	v_mul_f32_e32 v140, v2, v168
	v_mul_f32_e32 v124, v3, v168
	s_waitcnt vmcnt(28)
	v_mul_f32_e32 v141, v4, v169
	v_mul_f32_e32 v125, v5, v169
	v_add_f32_e32 v127, v122, v153
	v_fmac_f32_e32 v140, v3, v167
	v_fma_f32 v134, v2, v167, -v124
	v_fmac_f32_e32 v141, v5, v161
	v_fma_f32 v143, v4, v161, -v125
	ds_read2_b64 v[2:5], v1 offset0:95 offset1:96
	ds_read2_b64 v[122:125], v1 offset0:97 offset1:98
	v_add_f32_e32 v126, v126, v154
	s_waitcnt vmcnt(27) lgkmcnt(2)
	v_mul_f32_e32 v144, v118, v6
	v_add_f32_e32 v127, v127, v158
	v_mul_f32_e32 v6, v119, v6
	s_waitcnt vmcnt(26)
	v_mul_f32_e32 v145, v120, v8
	v_add_f32_e32 v126, v126, v155
	v_fmac_f32_e32 v144, v119, v159
	v_add_f32_e32 v119, v127, v157
	v_mul_f32_e32 v8, v121, v8
	v_fma_f32 v6, v118, v159, -v6
	v_add_f32_e32 v130, v126, v160
	s_waitcnt vmcnt(22)
	v_fmac_f32_e32 v145, v121, v163
	v_add_f32_e32 v10, v119, v10
	v_fma_f32 v8, v120, v163, -v8
	ds_read2_b64 v[118:121], v1 offset0:99 offset1:100
	ds_read2_b64 v[126:129], v1 offset0:101 offset1:102
	v_add_f32_e32 v7, v130, v7
	ds_read2_b64 v[130:133], v1 offset0:103 offset1:104
	v_add_f32_e32 v10, v10, v172
	s_waitcnt vmcnt(21) lgkmcnt(4)
	v_mul_f32_e32 v146, v2, v165
	v_mul_f32_e32 v135, v3, v165
	v_add_f32_e32 v7, v7, v170
	v_fmac_f32_e32 v146, v3, v162
	v_add_f32_e32 v3, v10, v134
	v_fma_f32 v2, v2, v162, -v135
	ds_read2_b64 v[134:137], v1 offset0:105 offset1:106
	v_add_f32_e32 v1, v7, v140
	s_waitcnt vmcnt(18)
	v_mul_f32_e32 v10, v5, v166
	v_add_f32_e32 v3, v3, v143
	v_mul_f32_e32 v7, v4, v166
	s_waitcnt lgkmcnt(4)
	v_mul_f32_e32 v140, v122, v171
	v_add_f32_e32 v1, v1, v141
	v_mul_f32_e32 v143, v123, v171
	v_add_f32_e32 v3, v3, v6
	v_fma_f32 v4, v4, v156, -v10
	v_fmac_f32_e32 v7, v5, v156
	v_add_f32_e32 v1, v1, v144
	v_fmac_f32_e32 v140, v123, v11
	v_add_f32_e32 v3, v3, v8
	v_mul_f32_e32 v8, v125, v173
	v_fma_f32 v11, v122, v11, -v143
	v_add_f32_e32 v1, v1, v145
	v_mul_f32_e32 v141, v124, v173
	v_add_f32_e32 v2, v3, v2
	s_waitcnt vmcnt(17) lgkmcnt(3)
	v_mul_f32_e32 v5, v118, v174
	s_waitcnt vmcnt(16)
	v_mul_f32_e32 v10, v120, v175
	v_add_f32_e32 v1, v1, v146
	s_waitcnt vmcnt(6)
	v_fmac_f32_e32 v141, v125, v185
	v_add_f32_e32 v2, v2, v4
	v_mul_f32_e32 v4, v119, v174
	v_fmac_f32_e32 v5, v119, v184
	v_add_f32_e32 v1, v1, v7
	v_fma_f32 v7, v124, v185, -v8
	v_add_f32_e32 v2, v2, v11
	v_mul_f32_e32 v8, v121, v175
	v_fma_f32 v4, v118, v184, -v4
	v_add_f32_e32 v1, v1, v140
	s_waitcnt lgkmcnt(2)
	v_mul_f32_e32 v6, v126, v176
	v_add_f32_e32 v2, v2, v7
	v_mul_f32_e32 v7, v127, v176
	v_fma_f32 v8, v120, v183, -v8
	v_add_f32_e32 v1, v1, v141
	v_fmac_f32_e32 v10, v121, v183
	v_add_f32_e32 v2, v2, v4
	v_mul_f32_e32 v4, v129, v177
	v_mul_f32_e32 v144, v128, v177
	v_add_f32_e32 v1, v1, v5
	v_fma_f32 v5, v126, v182, -v7
	v_add_f32_e32 v2, v2, v8
	v_fmac_f32_e32 v6, v127, v182
	s_waitcnt lgkmcnt(1)
	v_mul_f32_e32 v7, v131, v178
	v_add_f32_e32 v1, v1, v10
	v_mul_f32_e32 v147, v130, v178
	v_add_f32_e32 v2, v2, v5
	v_mul_f32_e32 v5, v133, v179
	v_mul_f32_e32 v145, v132, v179
	v_add_f32_e32 v1, v1, v6
	s_waitcnt lgkmcnt(0)
	v_mul_f32_e32 v148, v134, v180
	v_mul_f32_e32 v3, v136, v181
	s_waitcnt vmcnt(5)
	v_fmac_f32_e32 v148, v135, v138
	s_waitcnt vmcnt(4)
	v_fma_f32 v5, v132, v186, -v5
	s_waitcnt vmcnt(3)
	v_fma_f32 v6, v130, v187, -v7
	;; [unrolled: 2-line block ×3, first 2 shown]
	v_fmac_f32_e32 v144, v129, v188
	v_fmac_f32_e32 v147, v131, v187
	;; [unrolled: 1-line block ×3, first 2 shown]
	s_waitcnt vmcnt(1)
	v_fmac_f32_e32 v3, v137, v142
	v_add_f32_e32 v2, v2, v4
	v_add_f32_e32 v1, v1, v144
	v_mul_f32_e32 v4, v135, v180
	v_add_f32_e32 v2, v2, v6
	v_add_f32_e32 v1, v1, v147
	v_mul_f32_e32 v6, v137, v181
	v_fma_f32 v4, v134, v138, -v4
	v_add_f32_e32 v2, v2, v5
	v_add_f32_e32 v1, v1, v145
	v_fma_f32 v5, v136, v142, -v6
	v_add_f32_e32 v2, v2, v4
	v_add_f32_e32 v1, v1, v148
	;; [unrolled: 1-line block ×4, first 2 shown]
	s_waitcnt vmcnt(0)
	v_sub_f32_e32 v2, v139, v2
	v_sub_f32_e32 v1, v164, v1
	buffer_store_dword v2, off, s[0:3], 0 offset:96
	buffer_store_dword v1, off, s[0:3], 0 offset:100
	v_cmpx_lt_u32_e32 11, v0
	s_cbranch_execz .LBB116_309
; %bb.308:
	s_clause 0x1
	buffer_load_dword v1, off, s[0:3], 0 offset:88
	buffer_load_dword v2, off, s[0:3], 0 offset:92
	v_mov_b32_e32 v3, 0
	buffer_store_dword v3, off, s[0:3], 0 offset:88
	buffer_store_dword v3, off, s[0:3], 0 offset:92
	s_waitcnt vmcnt(0)
	ds_write_b64 v9, v[1:2]
.LBB116_309:
	s_or_b32 exec_lo, exec_lo, s4
	s_waitcnt lgkmcnt(0)
	s_waitcnt_vscnt null, 0x0
	s_barrier
	buffer_gl0_inv
	s_clause 0x24
	buffer_load_dword v2, off, s[0:3], 0 offset:100
	buffer_load_dword v3, off, s[0:3], 0 offset:108
	buffer_load_dword v140, off, s[0:3], 0 offset:112
	buffer_load_dword v141, off, s[0:3], 0 offset:104
	buffer_load_dword v142, off, s[0:3], 0 offset:96
	buffer_load_dword v143, off, s[0:3], 0 offset:116
	buffer_load_dword v144, off, s[0:3], 0 offset:124
	buffer_load_dword v145, off, s[0:3], 0 offset:132
	buffer_load_dword v146, off, s[0:3], 0 offset:140
	buffer_load_dword v147, off, s[0:3], 0 offset:144
	buffer_load_dword v148, off, s[0:3], 0 offset:136
	buffer_load_dword v149, off, s[0:3], 0 offset:128
	buffer_load_dword v150, off, s[0:3], 0 offset:120
	buffer_load_dword v151, off, s[0:3], 0 offset:148
	buffer_load_dword v152, off, s[0:3], 0 offset:156
	buffer_load_dword v153, off, s[0:3], 0 offset:164
	buffer_load_dword v8, off, s[0:3], 0 offset:176
	buffer_load_dword v121, off, s[0:3], 0 offset:168
	buffer_load_dword v154, off, s[0:3], 0 offset:160
	buffer_load_dword v155, off, s[0:3], 0 offset:152
	buffer_load_dword v156, off, s[0:3], 0 offset:172
	buffer_load_dword v157, off, s[0:3], 0 offset:180
	buffer_load_dword v158, off, s[0:3], 0 offset:188
	buffer_load_dword v5, off, s[0:3], 0 offset:208
	buffer_load_dword v10, off, s[0:3], 0 offset:200
	buffer_load_dword v122, off, s[0:3], 0 offset:192
	buffer_load_dword v159, off, s[0:3], 0 offset:184
	buffer_load_dword v160, off, s[0:3], 0 offset:196
	buffer_load_dword v161, off, s[0:3], 0 offset:204
	buffer_load_dword v118, off, s[0:3], 0 offset:212
	buffer_load_dword v11, off, s[0:3], 0 offset:220
	buffer_load_dword v4, off, s[0:3], 0 offset:240
	buffer_load_dword v6, off, s[0:3], 0 offset:232
	buffer_load_dword v7, off, s[0:3], 0 offset:224
	buffer_load_dword v123, off, s[0:3], 0 offset:216
	buffer_load_dword v120, off, s[0:3], 0 offset:228
	buffer_load_dword v119, off, s[0:3], 0 offset:236
	v_mov_b32_e32 v1, 0
	ds_read_b128 v[124:127], v1 offset:528
	ds_read_b128 v[128:131], v1 offset:544
	;; [unrolled: 1-line block ×3, first 2 shown]
	s_clause 0x1
	buffer_load_dword v162, off, s[0:3], 0 offset:244
	buffer_load_dword v163, off, s[0:3], 0 offset:92
	ds_read_b128 v[136:139], v1 offset:576
	s_mov_b32 s4, exec_lo
	s_waitcnt vmcnt(38) lgkmcnt(3)
	v_mul_f32_e32 v164, v125, v2
	v_mul_f32_e32 v2, v124, v2
	s_waitcnt vmcnt(37)
	v_mul_f32_e32 v165, v126, v3
	v_mul_f32_e32 v3, v127, v3
	s_waitcnt vmcnt(34)
	v_fma_f32 v164, v124, v142, -v164
	v_fmac_f32_e32 v2, v125, v142
	v_fmac_f32_e32 v165, v127, v141
	v_fma_f32 v3, v126, v141, -v3
	ds_read_b128 v[124:127], v1 offset:592
	s_waitcnt vmcnt(33) lgkmcnt(3)
	v_mul_f32_e32 v141, v128, v143
	v_mul_f32_e32 v142, v129, v143
	s_waitcnt vmcnt(32)
	v_mul_f32_e32 v143, v130, v144
	v_mul_f32_e32 v144, v131, v144
	s_waitcnt vmcnt(31) lgkmcnt(2)
	v_mul_f32_e32 v166, v132, v145
	v_fmac_f32_e32 v141, v129, v140
	v_fma_f32 v140, v128, v140, -v142
	s_waitcnt vmcnt(26)
	v_fmac_f32_e32 v143, v131, v150
	v_fma_f32 v144, v130, v150, -v144
	ds_read_b128 v[128:131], v1 offset:608
	v_mul_f32_e32 v145, v133, v145
	v_mul_f32_e32 v142, v134, v146
	;; [unrolled: 1-line block ×3, first 2 shown]
	v_fmac_f32_e32 v166, v133, v149
	s_waitcnt vmcnt(24) lgkmcnt(2)
	v_mul_f32_e32 v150, v138, v152
	v_fma_f32 v145, v132, v149, -v145
	v_fmac_f32_e32 v142, v135, v148
	v_fma_f32 v146, v134, v148, -v146
	v_mul_f32_e32 v148, v136, v151
	v_mul_f32_e32 v149, v137, v151
	;; [unrolled: 1-line block ×3, first 2 shown]
	ds_read_b128 v[132:135], v1 offset:624
	s_waitcnt vmcnt(19)
	v_fmac_f32_e32 v150, v139, v155
	v_fmac_f32_e32 v148, v137, v147
	v_fma_f32 v136, v136, v147, -v149
	v_fma_f32 v137, v138, v155, -v151
	s_clause 0x4
	buffer_load_dword v138, off, s[0:3], 0 offset:252
	buffer_load_dword v139, off, s[0:3], 0 offset:272
	;; [unrolled: 1-line block ×5, first 2 shown]
	s_waitcnt lgkmcnt(2)
	v_mul_f32_e32 v152, v124, v153
	v_mul_f32_e32 v153, v125, v153
	s_waitcnt vmcnt(23)
	v_mul_f32_e32 v155, v126, v156
	v_mul_f32_e32 v156, v127, v156
	s_waitcnt vmcnt(21) lgkmcnt(1)
	v_mul_f32_e32 v167, v130, v158
	v_fmac_f32_e32 v152, v125, v154
	v_fma_f32 v153, v124, v154, -v153
	v_mul_f32_e32 v154, v128, v157
	v_mul_f32_e32 v124, v129, v157
	buffer_load_dword v157, off, s[0:3], 0 offset:260
	v_fmac_f32_e32 v155, v127, v121
	v_fma_f32 v156, v126, v121, -v156
	v_mul_f32_e32 v121, v131, v158
	v_fmac_f32_e32 v154, v129, v8
	v_fma_f32 v8, v128, v8, -v124
	ds_read_b128 v[124:127], v1 offset:640
	s_waitcnt vmcnt(18)
	v_fmac_f32_e32 v167, v131, v159
	v_fma_f32 v158, v130, v159, -v121
	s_waitcnt vmcnt(17) lgkmcnt(1)
	v_mul_f32_e32 v159, v132, v160
	v_mul_f32_e32 v121, v133, v160
	s_waitcnt vmcnt(16)
	v_mul_f32_e32 v160, v134, v161
	v_mul_f32_e32 v161, v135, v161
	ds_read_b128 v[128:131], v1 offset:656
	v_fmac_f32_e32 v159, v133, v122
	v_fma_f32 v132, v132, v122, -v121
	v_fmac_f32_e32 v160, v135, v10
	v_fma_f32 v10, v134, v10, -v161
	s_clause 0x2
	buffer_load_dword v133, off, s[0:3], 0 offset:268
	buffer_load_dword v134, off, s[0:3], 0 offset:276
	;; [unrolled: 1-line block ×3, first 2 shown]
	v_add_f32_e32 v2, 0, v2
	s_waitcnt vmcnt(18) lgkmcnt(1)
	v_mul_f32_e32 v135, v124, v118
	v_mul_f32_e32 v118, v125, v118
	s_waitcnt vmcnt(17)
	v_mul_f32_e32 v161, v126, v11
	v_mul_f32_e32 v11, v127, v11
	v_fmac_f32_e32 v135, v125, v5
	v_fma_f32 v125, v124, v5, -v118
	s_waitcnt vmcnt(13)
	v_fmac_f32_e32 v161, v127, v123
	v_fma_f32 v11, v126, v123, -v11
	s_waitcnt vmcnt(12) lgkmcnt(0)
	v_mul_f32_e32 v126, v128, v120
	v_mul_f32_e32 v5, v129, v120
	s_waitcnt vmcnt(11)
	v_mul_f32_e32 v127, v130, v119
	v_mul_f32_e32 v118, v131, v119
	ds_read_b128 v[121:124], v1 offset:672
	v_fmac_f32_e32 v126, v129, v7
	v_fma_f32 v7, v128, v7, -v5
	v_fmac_f32_e32 v127, v131, v6
	v_fma_f32 v6, v130, v6, -v118
	s_clause 0x4
	buffer_load_dword v128, off, s[0:3], 0 offset:304
	buffer_load_dword v129, off, s[0:3], 0 offset:296
	;; [unrolled: 1-line block ×5, first 2 shown]
	v_add_f32_e32 v5, 0, v164
	v_add_f32_e32 v3, v5, v3
	;; [unrolled: 1-line block ×3, first 2 shown]
	buffer_load_dword v140, off, s[0:3], 0 offset:300
	s_waitcnt vmcnt(16) lgkmcnt(0)
	v_mul_f32_e32 v164, v121, v162
	v_mul_f32_e32 v118, v122, v162
	v_add_f32_e32 v119, v119, v144
	v_fmac_f32_e32 v164, v122, v4
	v_fma_f32 v122, v121, v4, -v118
	v_add_f32_e32 v118, v2, v165
	ds_read_b128 v[2:5], v1 offset:688
	v_add_f32_e32 v119, v119, v145
	v_add_f32_e32 v118, v118, v141
	;; [unrolled: 1-line block ×4, first 2 shown]
	buffer_load_dword v143, off, s[0:3], 0 offset:316
	v_add_f32_e32 v136, v144, v136
	s_waitcnt vmcnt(15)
	v_mul_f32_e32 v141, v123, v138
	v_mul_f32_e32 v120, v124, v138
	buffer_load_dword v138, off, s[0:3], 0 offset:308
	s_waitcnt vmcnt(12)
	v_fmac_f32_e32 v141, v124, v151
	v_add_f32_e32 v124, v118, v166
	v_fma_f32 v123, v123, v151, -v120
	ds_read_b128 v[118:121], v1 offset:704
	v_add_f32_e32 v124, v124, v142
	s_waitcnt vmcnt(11) lgkmcnt(1)
	v_mul_f32_e32 v145, v2, v157
	v_mul_f32_e32 v146, v3, v157
	s_clause 0x3
	buffer_load_dword v142, off, s[0:3], 0 offset:336
	buffer_load_dword v144, off, s[0:3], 0 offset:328
	;; [unrolled: 1-line block ×4, first 2 shown]
	v_fmac_f32_e32 v145, v3, v149
	v_fma_f32 v146, v2, v149, -v146
	v_add_f32_e32 v2, v124, v148
	s_clause 0x1
	buffer_load_dword v148, off, s[0:3], 0 offset:324
	buffer_load_dword v149, off, s[0:3], 0 offset:332
	v_add_f32_e32 v3, v136, v137
	buffer_load_dword v137, off, s[0:3], 0 offset:340
	v_add_f32_e32 v2, v2, v150
	v_add_f32_e32 v3, v3, v153
	s_waitcnt vmcnt(17)
	v_mul_f32_e32 v124, v5, v133
	v_mul_f32_e32 v136, v4, v133
	v_add_f32_e32 v156, v3, v156
	v_fma_f32 v133, v4, v147, -v124
	v_add_f32_e32 v124, v2, v152
	v_add_f32_e32 v8, v156, v8
	v_fmac_f32_e32 v136, v5, v147
	s_clause 0x3
	buffer_load_dword v147, off, s[0:3], 0 offset:348
	buffer_load_dword v150, off, s[0:3], 0 offset:356
	;; [unrolled: 1-line block ×4, first 2 shown]
	ds_read_b128 v[2:5], v1 offset:720
	v_add_f32_e32 v124, v124, v155
	s_waitcnt vmcnt(20) lgkmcnt(1)
	v_mul_f32_e32 v155, v118, v134
	v_mul_f32_e32 v134, v119, v134
	v_add_f32_e32 v8, v8, v158
	s_waitcnt vmcnt(19)
	v_mul_f32_e32 v156, v120, v168
	v_add_f32_e32 v124, v124, v154
	v_mul_f32_e32 v154, v121, v168
	v_fma_f32 v134, v118, v139, -v134
	v_add_f32_e32 v8, v8, v132
	v_fmac_f32_e32 v155, v119, v139
	v_add_f32_e32 v118, v124, v167
	s_clause 0x3
	buffer_load_dword v139, off, s[0:3], 0 offset:380
	buffer_load_dword v158, off, s[0:3], 0 offset:388
	;; [unrolled: 1-line block ×4, first 2 shown]
	v_add_f32_e32 v8, v8, v10
	s_waitcnt vmcnt(19)
	v_fmac_f32_e32 v156, v121, v131
	v_fma_f32 v131, v120, v131, -v154
	buffer_load_dword v154, off, s[0:3], 0 offset:412
	v_add_f32_e32 v118, v118, v159
	s_clause 0x4
	buffer_load_dword v159, off, s[0:3], 0 offset:368
	buffer_load_dword v166, off, s[0:3], 0 offset:360
	;; [unrolled: 1-line block ×5, first 2 shown]
	v_add_f32_e32 v8, v8, v125
	s_waitcnt vmcnt(24) lgkmcnt(0)
	v_mul_f32_e32 v124, v3, v169
	v_add_f32_e32 v10, v118, v160
	ds_read_b128 v[118:121], v1 offset:736
	v_add_f32_e32 v8, v8, v11
	v_fma_f32 v11, v2, v130, -v124
	v_add_f32_e32 v10, v10, v135
	v_mul_f32_e32 v135, v2, v169
	s_waitcnt vmcnt(23)
	v_mul_f32_e32 v173, v4, v140
	v_add_f32_e32 v2, v10, v161
	v_fmac_f32_e32 v135, v3, v130
	v_add_f32_e32 v3, v8, v7
	s_clause 0x6
	buffer_load_dword v8, off, s[0:3], 0 offset:400
	buffer_load_dword v10, off, s[0:3], 0 offset:392
	;; [unrolled: 1-line block ×7, first 2 shown]
	v_add_f32_e32 v2, v2, v126
	v_add_f32_e32 v3, v3, v6
	v_fmac_f32_e32 v173, v5, v129
	v_add_f32_e32 v2, v2, v127
	v_add_f32_e32 v6, v3, v122
	v_mul_f32_e32 v3, v5, v140
	v_add_f32_e32 v7, v2, v164
	v_add_f32_e32 v6, v6, v123
	v_fma_f32 v140, v4, v129, -v3
	ds_read_b128 v[2:5], v1 offset:752
	ds_read_b128 v[122:125], v1 offset:768
	v_add_f32_e32 v7, v7, v141
	v_add_f32_e32 v6, v6, v146
	s_waitcnt vmcnt(29) lgkmcnt(2)
	v_mul_f32_e32 v127, v121, v143
	v_add_f32_e32 v7, v7, v145
	v_add_f32_e32 v6, v6, v133
	;; [unrolled: 1-line block ×8, first 2 shown]
	s_waitcnt vmcnt(28)
	v_mul_f32_e32 v126, v119, v138
	v_mul_f32_e32 v141, v118, v138
	;; [unrolled: 1-line block ×3, first 2 shown]
	v_fma_f32 v143, v118, v128, -v126
	v_fmac_f32_e32 v141, v119, v128
	v_add_f32_e32 v140, v140, v143
	s_waitcnt vmcnt(24)
	v_fma_f32 v145, v120, v157, -v127
	v_fmac_f32_e32 v138, v121, v157
	ds_read_b128 v[118:121], v1 offset:784
	ds_read_b128 v[126:129], v1 offset:800
	s_waitcnt vmcnt(23) lgkmcnt(3)
	v_mul_f32_e32 v130, v3, v148
	v_mul_f32_e32 v134, v2, v148
	s_waitcnt vmcnt(22)
	v_mul_f32_e32 v136, v4, v149
	v_mul_f32_e32 v146, v5, v149
	v_add_f32_e32 v140, v140, v145
	v_fma_f32 v148, v2, v151, -v130
	v_add_f32_e32 v2, v7, v156
	v_fmac_f32_e32 v134, v3, v151
	v_fmac_f32_e32 v136, v5, v144
	v_fma_f32 v11, v4, v144, -v146
	s_waitcnt vmcnt(21) lgkmcnt(2)
	v_mul_f32_e32 v144, v122, v137
	v_add_f32_e32 v135, v2, v135
	v_mul_f32_e32 v137, v123, v137
	v_add_f32_e32 v140, v140, v148
	ds_read_b128 v[130:133], v1 offset:816
	ds_read_b128 v[2:5], v1 offset:832
	v_add_f32_e32 v135, v135, v173
	s_waitcnt vmcnt(20)
	v_mul_f32_e32 v143, v125, v147
	v_fma_f32 v122, v122, v142, -v137
	v_add_f32_e32 v11, v140, v11
	v_mul_f32_e32 v146, v124, v147
	v_add_f32_e32 v135, v135, v141
	v_fmac_f32_e32 v144, v123, v142
	s_waitcnt vmcnt(19) lgkmcnt(3)
	v_mul_f32_e32 v140, v119, v150
	v_add_f32_e32 v11, v11, v122
	v_mul_f32_e32 v141, v118, v150
	v_add_f32_e32 v135, v135, v138
	s_waitcnt vmcnt(18)
	v_mul_f32_e32 v145, v120, v152
	s_waitcnt vmcnt(17) lgkmcnt(2)
	v_mul_f32_e32 v147, v126, v153
	s_waitcnt vmcnt(16)
	v_mul_f32_e32 v138, v128, v139
	ds_read_b64 v[6:7], v1 offset:848
	v_add_f32_e32 v134, v135, v134
	s_waitcnt vmcnt(15) lgkmcnt(2)
	v_mul_f32_e32 v148, v130, v158
	s_waitcnt vmcnt(14)
	v_mul_f32_e32 v123, v132, v162
	v_add_f32_e32 v134, v134, v136
	s_waitcnt vmcnt(10)
	v_fmac_f32_e32 v145, v121, v166
	s_waitcnt vmcnt(9)
	v_fma_f32 v118, v118, v167, -v140
	s_waitcnt vmcnt(8)
	v_fma_f32 v124, v124, v168, -v143
	v_fmac_f32_e32 v146, v125, v168
	v_add_f32_e32 v122, v134, v144
	v_mul_f32_e32 v125, v121, v152
	v_fmac_f32_e32 v141, v119, v167
	v_add_f32_e32 v11, v11, v124
	v_fmac_f32_e32 v147, v127, v159
	v_add_f32_e32 v119, v122, v146
	v_mul_f32_e32 v122, v127, v153
	v_fma_f32 v120, v120, v166, -v125
	v_add_f32_e32 v11, v11, v118
	s_waitcnt lgkmcnt(1)
	v_mul_f32_e32 v135, v2, v165
	v_add_f32_e32 v118, v119, v141
	v_mul_f32_e32 v119, v129, v139
	v_fma_f32 v121, v126, v159, -v122
	v_add_f32_e32 v11, v11, v120
	v_mul_f32_e32 v120, v131, v158
	v_add_f32_e32 v118, v118, v145
	s_waitcnt vmcnt(3)
	v_fma_f32 v119, v128, v161, -v119
	v_fmac_f32_e32 v138, v129, v161
	v_add_f32_e32 v11, v11, v121
	v_mul_f32_e32 v121, v133, v162
	v_add_f32_e32 v118, v118, v147
	v_fma_f32 v120, v130, v160, -v120
	v_fmac_f32_e32 v148, v131, v160
	v_add_f32_e32 v11, v11, v119
	v_mul_f32_e32 v119, v3, v165
	v_add_f32_e32 v118, v118, v138
	v_fmac_f32_e32 v123, v133, v10
	v_fma_f32 v10, v132, v10, -v121
	v_add_f32_e32 v11, v11, v120
	v_mul_f32_e32 v120, v5, v154
	v_add_f32_e32 v118, v118, v148
	v_fmac_f32_e32 v135, v3, v8
	v_fma_f32 v2, v2, v8, -v119
	v_add_f32_e32 v3, v11, v10
	v_mul_f32_e32 v137, v4, v154
	v_add_f32_e32 v8, v118, v123
	s_waitcnt lgkmcnt(0)
	v_mul_f32_e32 v10, v7, v170
	s_waitcnt vmcnt(1)
	v_fma_f32 v4, v4, v171, -v120
	v_add_f32_e32 v2, v3, v2
	v_mul_f32_e32 v136, v6, v170
	v_fmac_f32_e32 v137, v5, v171
	v_add_f32_e32 v3, v8, v135
	v_fma_f32 v5, v6, v169, -v10
	v_add_f32_e32 v2, v2, v4
	v_fmac_f32_e32 v136, v7, v169
	v_add_f32_e32 v3, v3, v137
	v_add_f32_e32 v2, v2, v5
	v_add_f32_e32 v3, v3, v136
	s_waitcnt vmcnt(0)
	v_sub_f32_e32 v2, v172, v2
	v_sub_f32_e32 v3, v163, v3
	buffer_store_dword v2, off, s[0:3], 0 offset:88
	buffer_store_dword v3, off, s[0:3], 0 offset:92
	v_cmpx_lt_u32_e32 10, v0
	s_cbranch_execz .LBB116_311
; %bb.310:
	s_clause 0x1
	buffer_load_dword v2, off, s[0:3], 0 offset:80
	buffer_load_dword v3, off, s[0:3], 0 offset:84
	buffer_store_dword v1, off, s[0:3], 0 offset:80
	buffer_store_dword v1, off, s[0:3], 0 offset:84
	s_waitcnt vmcnt(0)
	ds_write_b64 v9, v[2:3]
.LBB116_311:
	s_or_b32 exec_lo, exec_lo, s4
	s_waitcnt lgkmcnt(0)
	s_waitcnt_vscnt null, 0x0
	s_barrier
	buffer_gl0_inv
	s_clause 0x24
	buffer_load_dword v144, off, s[0:3], 0 offset:92
	buffer_load_dword v2, off, s[0:3], 0 offset:100
	;; [unrolled: 1-line block ×37, first 2 shown]
	ds_read2_b64 v[128:131], v1 offset0:65 offset1:66
	ds_read2_b64 v[132:135], v1 offset0:67 offset1:68
	;; [unrolled: 1-line block ×3, first 2 shown]
	s_clause 0x1
	buffer_load_dword v162, off, s[0:3], 0 offset:236
	buffer_load_dword v163, off, s[0:3], 0 offset:244
	ds_read2_b64 v[140:143], v1 offset0:71 offset1:72
	buffer_load_dword v165, off, s[0:3], 0 offset:84
	s_mov_b32 s4, exec_lo
	s_waitcnt vmcnt(39) lgkmcnt(3)
	v_mul_f32_e32 v164, v129, v144
	v_mul_f32_e32 v144, v128, v144
	s_waitcnt vmcnt(38)
	v_mul_f32_e32 v166, v130, v2
	v_mul_f32_e32 v2, v131, v2
	s_waitcnt vmcnt(35)
	v_fma_f32 v164, v128, v147, -v164
	v_fmac_f32_e32 v144, v129, v147
	v_fmac_f32_e32 v166, v131, v146
	v_fma_f32 v2, v130, v146, -v2
	s_waitcnt vmcnt(33) lgkmcnt(2)
	v_mul_f32_e32 v146, v134, v149
	v_mul_f32_e32 v129, v135, v149
	;; [unrolled: 1-line block ×4, first 2 shown]
	s_waitcnt vmcnt(32) lgkmcnt(1)
	v_mul_f32_e32 v148, v136, v150
	v_mul_f32_e32 v149, v137, v150
	s_waitcnt vmcnt(28)
	v_fmac_f32_e32 v146, v135, v153
	v_fma_f32 v150, v134, v153, -v129
	s_waitcnt vmcnt(27)
	v_mul_f32_e32 v153, v138, v154
	v_mul_f32_e32 v154, v139, v154
	v_fmac_f32_e32 v147, v133, v145
	v_fma_f32 v145, v132, v145, -v128
	ds_read2_b64 v[128:131], v1 offset0:73 offset1:74
	ds_read2_b64 v[132:135], v1 offset0:75 offset1:76
	v_fmac_f32_e32 v148, v137, v152
	v_fma_f32 v149, v136, v152, -v149
	s_waitcnt vmcnt(26) lgkmcnt(2)
	v_mul_f32_e32 v152, v140, v155
	v_mul_f32_e32 v136, v141, v155
	v_fmac_f32_e32 v153, v139, v151
	v_fma_f32 v151, v138, v151, -v154
	s_waitcnt vmcnt(25)
	v_mul_f32_e32 v154, v142, v156
	v_mul_f32_e32 v137, v143, v156
	s_clause 0x3
	buffer_load_dword v155, off, s[0:3], 0 offset:264
	buffer_load_dword v156, off, s[0:3], 0 offset:256
	;; [unrolled: 1-line block ×4, first 2 shown]
	v_fmac_f32_e32 v152, v141, v118
	v_fma_f32 v118, v140, v118, -v136
	s_waitcnt vmcnt(25)
	v_fmac_f32_e32 v154, v143, v157
	v_fma_f32 v140, v142, v157, -v137
	ds_read2_b64 v[136:139], v1 offset0:77 offset1:78
	s_waitcnt vmcnt(24) lgkmcnt(2)
	v_mul_f32_e32 v141, v128, v158
	v_mul_f32_e32 v142, v129, v158
	s_waitcnt vmcnt(23)
	v_mul_f32_e32 v143, v130, v159
	v_mul_f32_e32 v157, v131, v159
	s_waitcnt vmcnt(22) lgkmcnt(1)
	v_mul_f32_e32 v158, v132, v160
	v_fmac_f32_e32 v141, v129, v125
	v_fma_f32 v142, v128, v125, -v142
	v_mul_f32_e32 v125, v133, v160
	v_fmac_f32_e32 v143, v131, v119
	v_fma_f32 v157, v130, v119, -v157
	s_waitcnt vmcnt(21)
	v_mul_f32_e32 v119, v135, v124
	v_mul_f32_e32 v159, v134, v124
	s_clause 0x1
	buffer_load_dword v160, off, s[0:3], 0 offset:252
	buffer_load_dword v169, off, s[0:3], 0 offset:260
	v_fmac_f32_e32 v158, v133, v6
	v_fma_f32 v6, v132, v6, -v125
	s_waitcnt vmcnt(19)
	v_fma_f32 v132, v134, v161, -v119
	ds_read2_b64 v[128:131], v1 offset0:79 offset1:80
	s_waitcnt vmcnt(17) lgkmcnt(1)
	v_mul_f32_e32 v134, v138, v126
	v_mul_f32_e32 v124, v139, v126
	;; [unrolled: 1-line block ×4, first 2 shown]
	v_fmac_f32_e32 v159, v135, v161
	v_fmac_f32_e32 v134, v139, v8
	v_fma_f32 v8, v138, v8, -v124
	ds_read2_b64 v[124:127], v1 offset0:81 offset1:82
	v_fma_f32 v135, v136, v120, -v119
	s_clause 0x1
	buffer_load_dword v136, off, s[0:3], 0 offset:268
	buffer_load_dword v139, off, s[0:3], 0 offset:276
	v_fmac_f32_e32 v133, v137, v120
	s_waitcnt vmcnt(18) lgkmcnt(1)
	v_mul_f32_e32 v137, v128, v11
	v_mul_f32_e32 v11, v129, v11
	s_waitcnt vmcnt(17)
	v_mul_f32_e32 v138, v130, v10
	v_mul_f32_e32 v10, v131, v10
	v_fmac_f32_e32 v137, v129, v4
	v_fma_f32 v11, v128, v4, -v11
	s_waitcnt vmcnt(13)
	v_fmac_f32_e32 v138, v131, v123
	v_fma_f32 v10, v130, v123, -v10
	s_waitcnt vmcnt(12) lgkmcnt(0)
	v_mul_f32_e32 v123, v124, v122
	v_mul_f32_e32 v4, v125, v122
	s_waitcnt vmcnt(11)
	v_mul_f32_e32 v122, v126, v121
	v_mul_f32_e32 v119, v127, v121
	ds_read2_b64 v[128:131], v1 offset0:83 offset1:84
	v_fmac_f32_e32 v123, v125, v7
	v_fma_f32 v7, v124, v7, -v4
	v_fmac_f32_e32 v122, v127, v5
	v_fma_f32 v124, v126, v5, -v119
	s_clause 0x4
	buffer_load_dword v126, off, s[0:3], 0 offset:296
	buffer_load_dword v125, off, s[0:3], 0 offset:288
	;; [unrolled: 1-line block ×5, first 2 shown]
	v_add_f32_e32 v4, 0, v164
	v_add_f32_e32 v5, 0, v144
	s_clause 0x1
	buffer_load_dword v144, off, s[0:3], 0 offset:292
	buffer_load_dword v164, off, s[0:3], 0 offset:300
	v_add_f32_e32 v2, v4, v2
	v_add_f32_e32 v4, v5, v166
	;; [unrolled: 1-line block ×4, first 2 shown]
	s_waitcnt vmcnt(17) lgkmcnt(0)
	v_mul_f32_e32 v166, v128, v162
	v_mul_f32_e32 v5, v129, v162
	s_waitcnt vmcnt(16)
	v_mul_f32_e32 v145, v130, v163
	v_mul_f32_e32 v119, v131, v163
	v_add_f32_e32 v120, v2, v150
	v_add_f32_e32 v121, v4, v146
	v_fmac_f32_e32 v166, v129, v3
	v_fma_f32 v128, v128, v3, -v5
	ds_read2_b64 v[2:5], v1 offset0:85 offset1:86
	s_waitcnt vmcnt(11)
	v_fmac_f32_e32 v145, v131, v168
	v_fma_f32 v129, v130, v168, -v119
	v_add_f32_e32 v119, v120, v149
	v_add_f32_e32 v120, v121, v148
	s_clause 0x4
	buffer_load_dword v130, off, s[0:3], 0 offset:308
	buffer_load_dword v146, off, s[0:3], 0 offset:328
	;; [unrolled: 1-line block ×5, first 2 shown]
	v_add_f32_e32 v119, v119, v151
	s_clause 0x2
	buffer_load_dword v149, off, s[0:3], 0 offset:316
	buffer_load_dword v150, off, s[0:3], 0 offset:324
	buffer_load_dword v151, off, s[0:3], 0 offset:332
	v_add_f32_e32 v120, v120, v153
	v_add_f32_e32 v118, v119, v118
	;; [unrolled: 1-line block ×5, first 2 shown]
	ds_read2_b64 v[118:121], v1 offset0:87 offset1:88
	s_waitcnt vmcnt(18) lgkmcnt(1)
	v_mul_f32_e32 v153, v2, v160
	v_add_f32_e32 v140, v140, v142
	v_mul_f32_e32 v154, v3, v160
	v_add_f32_e32 v141, v152, v141
	s_waitcnt vmcnt(17)
	v_mul_f32_e32 v142, v4, v169
	v_fmac_f32_e32 v153, v3, v167
	v_add_f32_e32 v3, v140, v157
	v_mul_f32_e32 v152, v5, v169
	v_add_f32_e32 v140, v141, v143
	v_fma_f32 v141, v2, v167, -v154
	v_fmac_f32_e32 v142, v5, v156
	v_add_f32_e32 v2, v3, v6
	v_fma_f32 v143, v4, v156, -v152
	v_add_f32_e32 v3, v140, v158
	s_clause 0x7
	buffer_load_dword v6, off, s[0:3], 0 offset:340
	buffer_load_dword v140, off, s[0:3], 0 offset:348
	;; [unrolled: 1-line block ×8, first 2 shown]
	v_add_f32_e32 v2, v2, v132
	v_add_f32_e32 v3, v3, v159
	s_waitcnt vmcnt(24) lgkmcnt(0)
	v_mul_f32_e32 v4, v119, v136
	v_mul_f32_e32 v162, v118, v136
	v_add_f32_e32 v2, v2, v135
	s_clause 0x3
	buffer_load_dword v159, off, s[0:3], 0 offset:372
	buffer_load_dword v163, off, s[0:3], 0 offset:380
	;; [unrolled: 1-line block ×4, first 2 shown]
	v_fma_f32 v132, v118, v155, -v4
	v_add_f32_e32 v118, v3, v133
	s_waitcnt vmcnt(27)
	v_mul_f32_e32 v3, v121, v139
	v_add_f32_e32 v8, v2, v8
	v_fmac_f32_e32 v162, v119, v155
	s_clause 0x1
	buffer_load_dword v155, off, s[0:3], 0 offset:404
	buffer_load_dword v169, off, s[0:3], 0 offset:412
	v_mul_f32_e32 v133, v120, v139
	buffer_load_dword v139, off, s[0:3], 0 offset:420
	v_add_f32_e32 v8, v8, v11
	v_add_f32_e32 v118, v118, v134
	v_add_f32_e32 v8, v8, v10
	v_add_f32_e32 v11, v118, v137
	s_waitcnt vmcnt(26)
	v_fma_f32 v135, v120, v161, -v3
	ds_read2_b64 v[2:5], v1 offset0:89 offset1:90
	v_fmac_f32_e32 v133, v121, v161
	s_clause 0x3
	buffer_load_dword v10, off, s[0:3], 0 offset:392
	buffer_load_dword v161, off, s[0:3], 0 offset:384
	;; [unrolled: 1-line block ×4, first 2 shown]
	v_add_f32_e32 v11, v11, v138
	v_add_f32_e32 v7, v8, v7
	ds_read2_b64 v[118:121], v1 offset0:91 offset1:92
	v_add_f32_e32 v8, v11, v123
	v_add_f32_e32 v7, v7, v124
	s_waitcnt vmcnt(29) lgkmcnt(1)
	v_mul_f32_e32 v11, v2, v170
	v_mul_f32_e32 v123, v3, v170
	s_waitcnt vmcnt(28)
	v_mul_f32_e32 v136, v4, v144
	v_fmac_f32_e32 v11, v3, v127
	v_fma_f32 v134, v2, v127, -v123
	v_add_f32_e32 v2, v8, v122
	v_add_f32_e32 v3, v7, v128
	s_clause 0x2
	buffer_load_dword v7, off, s[0:3], 0 offset:416
	buffer_load_dword v8, off, s[0:3], 0 offset:408
	;; [unrolled: 1-line block ×3, first 2 shown]
	v_mul_f32_e32 v122, v5, v144
	v_fmac_f32_e32 v136, v5, v125
	v_add_f32_e32 v2, v2, v166
	buffer_load_dword v166, off, s[0:3], 0 offset:80
	v_add_f32_e32 v3, v3, v129
	v_fma_f32 v137, v4, v125, -v122
	s_waitcnt vmcnt(31) lgkmcnt(0)
	v_mul_f32_e32 v129, v119, v164
	v_add_f32_e32 v123, v2, v145
	v_add_f32_e32 v127, v3, v141
	ds_read2_b64 v[2:5], v1 offset0:93 offset1:94
	v_mul_f32_e32 v141, v118, v164
	v_add_f32_e32 v128, v123, v153
	ds_read2_b64 v[122:125], v1 offset0:95 offset1:96
	v_add_f32_e32 v127, v127, v143
	v_fma_f32 v143, v118, v126, -v129
	v_fmac_f32_e32 v141, v119, v126
	v_add_f32_e32 v128, v128, v142
	v_add_f32_e32 v132, v127, v132
	;; [unrolled: 1-line block ×4, first 2 shown]
	s_waitcnt vmcnt(30)
	v_mul_f32_e32 v142, v120, v130
	v_mul_f32_e32 v130, v121, v130
	s_waitcnt vmcnt(26)
	v_fmac_f32_e32 v142, v121, v148
	v_fma_f32 v144, v120, v148, -v130
	v_add_f32_e32 v130, v128, v162
	s_waitcnt vmcnt(25) lgkmcnt(1)
	v_mul_f32_e32 v145, v2, v149
	v_mul_f32_e32 v135, v3, v149
	s_waitcnt vmcnt(23) lgkmcnt(0)
	v_mul_f32_e32 v149, v122, v151
	v_mul_f32_e32 v148, v4, v150
	v_add_f32_e32 v130, v130, v133
	v_fmac_f32_e32 v145, v3, v147
	v_fma_f32 v147, v2, v147, -v135
	v_add_f32_e32 v135, v132, v137
	v_mul_f32_e32 v133, v5, v150
	v_add_f32_e32 v11, v130, v11
	v_mul_f32_e32 v134, v123, v151
	v_fmac_f32_e32 v149, v123, v146
	v_add_f32_e32 v123, v135, v143
	ds_read2_b64 v[118:121], v1 offset0:97 offset1:98
	ds_read2_b64 v[126:129], v1 offset0:99 offset1:100
	v_add_f32_e32 v11, v11, v136
	v_fmac_f32_e32 v148, v5, v131
	v_fma_f32 v150, v4, v131, -v133
	ds_read2_b64 v[2:5], v1 offset0:101 offset1:102
	ds_read2_b64 v[130:133], v1 offset0:103 offset1:104
	v_fma_f32 v122, v122, v146, -v134
	ds_read2_b64 v[134:137], v1 offset0:105 offset1:106
	v_add_f32_e32 v1, v11, v141
	v_add_f32_e32 v123, v123, v144
	s_waitcnt vmcnt(22)
	v_mul_f32_e32 v11, v124, v6
	v_mul_f32_e32 v6, v125, v6
	v_add_f32_e32 v1, v1, v142
	v_add_f32_e32 v123, v123, v147
	s_waitcnt vmcnt(15)
	v_fmac_f32_e32 v11, v125, v160
	v_fma_f32 v6, v124, v160, -v6
	v_add_f32_e32 v1, v1, v145
	v_add_f32_e32 v123, v123, v150
	s_waitcnt lgkmcnt(4)
	v_mul_f32_e32 v141, v118, v140
	v_mul_f32_e32 v140, v119, v140
	;; [unrolled: 1-line block ×3, first 2 shown]
	v_add_f32_e32 v1, v1, v148
	v_add_f32_e32 v122, v123, v122
	v_mul_f32_e32 v142, v120, v152
	v_fma_f32 v118, v118, v158, -v140
	v_fmac_f32_e32 v141, v119, v158
	v_add_f32_e32 v1, v1, v149
	v_add_f32_e32 v6, v122, v6
	v_fma_f32 v119, v120, v157, -v146
	s_waitcnt lgkmcnt(3)
	v_mul_f32_e32 v124, v126, v154
	v_fmac_f32_e32 v142, v121, v157
	v_add_f32_e32 v1, v1, v11
	v_mul_f32_e32 v11, v127, v154
	v_add_f32_e32 v6, v6, v118
	s_waitcnt vmcnt(14)
	v_mul_f32_e32 v118, v129, v159
	v_mul_f32_e32 v125, v128, v159
	v_add_f32_e32 v1, v1, v141
	v_fma_f32 v11, v126, v156, -v11
	v_add_f32_e32 v6, v6, v119
	v_fmac_f32_e32 v124, v127, v156
	s_waitcnt vmcnt(13) lgkmcnt(2)
	v_mul_f32_e32 v143, v2, v163
	v_add_f32_e32 v1, v1, v142
	v_mul_f32_e32 v119, v3, v163
	v_add_f32_e32 v6, v6, v11
	s_waitcnt vmcnt(4)
	v_fma_f32 v118, v128, v172, -v118
	v_fmac_f32_e32 v125, v129, v172
	v_add_f32_e32 v1, v1, v124
	v_mul_f32_e32 v11, v5, v167
	v_fmac_f32_e32 v143, v3, v171
	v_fma_f32 v2, v2, v171, -v119
	v_add_f32_e32 v3, v6, v118
	v_mul_f32_e32 v144, v4, v167
	v_add_f32_e32 v1, v1, v125
	s_waitcnt lgkmcnt(1)
	v_mul_f32_e32 v6, v131, v168
	v_fma_f32 v4, v4, v161, -v11
	v_add_f32_e32 v2, v3, v2
	v_mul_f32_e32 v145, v130, v168
	v_fmac_f32_e32 v144, v5, v161
	v_add_f32_e32 v1, v1, v143
	v_mul_f32_e32 v3, v133, v155
	v_fma_f32 v5, v130, v10, -v6
	v_add_f32_e32 v2, v2, v4
	v_mul_f32_e32 v147, v132, v155
	v_fmac_f32_e32 v145, v131, v10
	v_add_f32_e32 v1, v1, v144
	s_waitcnt lgkmcnt(0)
	v_mul_f32_e32 v4, v135, v169
	v_add_f32_e32 v2, v2, v5
	v_mul_f32_e32 v148, v134, v169
	v_mul_f32_e32 v5, v137, v139
	v_add_f32_e32 v1, v1, v145
	s_waitcnt vmcnt(2)
	v_fma_f32 v4, v134, v8, -v4
	s_waitcnt vmcnt(1)
	v_fma_f32 v3, v132, v138, -v3
	v_fmac_f32_e32 v147, v133, v138
	v_mul_f32_e32 v123, v136, v139
	v_fmac_f32_e32 v148, v135, v8
	v_add_f32_e32 v2, v2, v3
	v_add_f32_e32 v1, v1, v147
	v_fma_f32 v3, v136, v7, -v5
	v_fmac_f32_e32 v123, v137, v7
	v_add_f32_e32 v2, v2, v4
	v_add_f32_e32 v1, v1, v148
	;; [unrolled: 1-line block ×4, first 2 shown]
	s_waitcnt vmcnt(0)
	v_sub_f32_e32 v2, v166, v2
	v_sub_f32_e32 v1, v165, v1
	buffer_store_dword v2, off, s[0:3], 0 offset:80
	buffer_store_dword v1, off, s[0:3], 0 offset:84
	v_cmpx_lt_u32_e32 9, v0
	s_cbranch_execz .LBB116_313
; %bb.312:
	s_clause 0x1
	buffer_load_dword v1, off, s[0:3], 0 offset:72
	buffer_load_dword v2, off, s[0:3], 0 offset:76
	v_mov_b32_e32 v3, 0
	buffer_store_dword v3, off, s[0:3], 0 offset:72
	buffer_store_dword v3, off, s[0:3], 0 offset:76
	s_waitcnt vmcnt(0)
	ds_write_b64 v9, v[1:2]
.LBB116_313:
	s_or_b32 exec_lo, exec_lo, s4
	s_waitcnt lgkmcnt(0)
	s_waitcnt_vscnt null, 0x0
	s_barrier
	buffer_gl0_inv
	s_clause 0x2c
	buffer_load_dword v154, off, s[0:3], 0 offset:84
	buffer_load_dword v155, off, s[0:3], 0 offset:92
	;; [unrolled: 1-line block ×45, first 2 shown]
	v_mov_b32_e32 v1, 0
	ds_read_b128 v[146:149], v1 offset:512
	ds_read_b128 v[150:153], v1 offset:528
	buffer_load_dword v164, off, s[0:3], 0 offset:76
	s_mov_b32 s4, exec_lo
	s_waitcnt vmcnt(45) lgkmcnt(1)
	v_mul_f32_e32 v162, v147, v154
	v_mul_f32_e32 v154, v146, v154
	s_waitcnt vmcnt(44)
	v_mul_f32_e32 v163, v148, v155
	v_mul_f32_e32 v155, v149, v155
	s_waitcnt vmcnt(41)
	v_fma_f32 v162, v146, v143, -v162
	v_fmac_f32_e32 v154, v147, v143
	v_fmac_f32_e32 v163, v149, v139
	v_fma_f32 v155, v148, v139, -v155
	ds_read_b128 v[146:149], v1 offset:544
	s_waitcnt vmcnt(40) lgkmcnt(1)
	v_mul_f32_e32 v165, v150, v138
	v_mul_f32_e32 v138, v151, v138
	s_waitcnt vmcnt(39)
	v_mul_f32_e32 v166, v152, v136
	v_mul_f32_e32 v136, v153, v136
	v_fmac_f32_e32 v165, v151, v125
	v_fma_f32 v167, v150, v125, -v138
	s_waitcnt vmcnt(35)
	v_fmac_f32_e32 v166, v153, v144
	v_fma_f32 v168, v152, v144, -v136
	ds_read_b128 v[150:153], v1 offset:560
	s_waitcnt vmcnt(34) lgkmcnt(1)
	v_mul_f32_e32 v169, v146, v142
	v_mul_f32_e32 v125, v147, v142
	s_waitcnt vmcnt(33)
	v_mul_f32_e32 v170, v148, v141
	v_mul_f32_e32 v136, v149, v141
	ds_read_b128 v[141:144], v1 offset:576
	v_fmac_f32_e32 v169, v147, v133
	v_fma_f32 v133, v146, v133, -v125
	v_fmac_f32_e32 v170, v149, v128
	v_fma_f32 v171, v148, v128, -v136
	ds_read_b128 v[146:149], v1 offset:592
	s_waitcnt vmcnt(32) lgkmcnt(2)
	v_mul_f32_e32 v172, v150, v132
	v_mul_f32_e32 v125, v151, v132
	s_waitcnt vmcnt(31)
	v_mul_f32_e32 v128, v153, v130
	v_mul_f32_e32 v132, v152, v130
	v_fmac_f32_e32 v172, v151, v8
	v_fma_f32 v8, v150, v8, -v125
	s_waitcnt vmcnt(27)
	v_fma_f32 v150, v152, v140, -v128
	v_fmac_f32_e32 v132, v153, v140
	s_waitcnt vmcnt(26) lgkmcnt(1)
	v_mul_f32_e32 v151, v141, v137
	v_mul_f32_e32 v125, v142, v137
	s_waitcnt vmcnt(25)
	v_mul_f32_e32 v152, v143, v135
	v_mul_f32_e32 v128, v144, v135
	ds_read_b128 v[135:138], v1 offset:608
	v_fmac_f32_e32 v151, v142, v126
	v_fma_f32 v153, v141, v126, -v125
	ds_read_b128 v[139:142], v1 offset:624
	v_fmac_f32_e32 v152, v144, v120
	v_fma_f32 v143, v143, v120, -v128
	s_waitcnt vmcnt(24) lgkmcnt(2)
	v_mul_f32_e32 v144, v146, v124
	v_mul_f32_e32 v120, v147, v124
	s_waitcnt vmcnt(23)
	v_mul_f32_e32 v173, v148, v122
	v_mul_f32_e32 v122, v149, v122
	v_fmac_f32_e32 v144, v147, v4
	v_fma_f32 v146, v146, v4, -v120
	s_waitcnt vmcnt(19)
	v_fmac_f32_e32 v173, v149, v134
	v_fma_f32 v122, v148, v134, -v122
	s_waitcnt vmcnt(18) lgkmcnt(1)
	v_mul_f32_e32 v134, v135, v131
	v_mul_f32_e32 v4, v136, v131
	s_waitcnt vmcnt(17)
	v_mul_f32_e32 v147, v137, v129
	v_mul_f32_e32 v120, v138, v129
	ds_read_b128 v[128:131], v1 offset:640
	v_fmac_f32_e32 v134, v136, v119
	v_fma_f32 v135, v135, v119, -v4
	v_fmac_f32_e32 v147, v138, v10
	v_fma_f32 v10, v137, v10, -v120
	s_waitcnt vmcnt(15) lgkmcnt(1)
	v_mul_f32_e32 v137, v141, v11
	v_mul_f32_e32 v11, v142, v11
	;; [unrolled: 1-line block ×4, first 2 shown]
	s_waitcnt vmcnt(11)
	v_fmac_f32_e32 v137, v142, v127
	v_fma_f32 v11, v141, v127, -v11
	ds_read_b128 v[124:127], v1 offset:656
	v_fmac_f32_e32 v136, v140, v3
	v_fma_f32 v138, v139, v3, -v4
	buffer_load_dword v141, off, s[0:3], 0 offset:268
	s_waitcnt vmcnt(11) lgkmcnt(1)
	v_mul_f32_e32 v139, v128, v123
	v_mul_f32_e32 v3, v129, v123
	s_waitcnt vmcnt(10)
	v_mul_f32_e32 v123, v130, v121
	v_mul_f32_e32 v4, v131, v121
	ds_read_b128 v[118:121], v1 offset:672
	v_fmac_f32_e32 v139, v129, v7
	v_fma_f32 v7, v128, v7, -v3
	v_fmac_f32_e32 v123, v131, v5
	v_fma_f32 v128, v130, v5, -v4
	buffer_load_dword v130, off, s[0:3], 0 offset:260
	s_waitcnt vmcnt(10) lgkmcnt(1)
	v_mul_f32_e32 v129, v124, v6
	v_mul_f32_e32 v3, v125, v6
	s_waitcnt vmcnt(9)
	v_mul_f32_e32 v6, v126, v145
	v_mul_f32_e32 v4, v127, v145
	v_fmac_f32_e32 v129, v125, v2
	v_fma_f32 v124, v124, v2, -v3
	s_waitcnt vmcnt(5)
	v_fmac_f32_e32 v6, v127, v159
	v_fma_f32 v125, v126, v159, -v4
	ds_read_b128 v[2:5], v1 offset:688
	s_waitcnt vmcnt(4) lgkmcnt(1)
	v_mul_f32_e32 v127, v119, v160
	v_mul_f32_e32 v126, v118, v160
	s_waitcnt vmcnt(3)
	v_mul_f32_e32 v131, v120, v161
	v_mul_f32_e32 v140, v121, v161
	v_fma_f32 v127, v118, v158, -v127
	s_clause 0x4
	buffer_load_dword v142, off, s[0:3], 0 offset:288
	buffer_load_dword v145, off, s[0:3], 0 offset:280
	;; [unrolled: 1-line block ×5, first 2 shown]
	v_fmac_f32_e32 v126, v119, v158
	v_fmac_f32_e32 v131, v121, v157
	v_fma_f32 v140, v120, v157, -v140
	s_waitcnt vmcnt(5) lgkmcnt(0)
	v_mul_f32_e32 v157, v2, v130
	v_mul_f32_e32 v119, v3, v130
	v_fmac_f32_e32 v157, v3, v156
	v_fma_f32 v130, v2, v156, -v119
	v_mul_f32_e32 v156, v4, v141
	v_mul_f32_e32 v2, v5, v141
	s_waitcnt vmcnt(1)
	v_fmac_f32_e32 v156, v5, v118
	v_fma_f32 v141, v4, v118, -v2
	ds_read_b128 v[2:5], v1 offset:704
	ds_read_b128 v[118:121], v1 offset:720
	s_waitcnt vmcnt(0) lgkmcnt(1)
	v_mul_f32_e32 v158, v2, v149
	v_mul_f32_e32 v149, v3, v149
	v_fmac_f32_e32 v158, v3, v148
	v_fma_f32 v148, v2, v148, -v149
	buffer_load_dword v2, off, s[0:3], 0 offset:284
	s_waitcnt vmcnt(0)
	v_mul_f32_e32 v149, v4, v2
	v_mul_f32_e32 v2, v5, v2
	v_fmac_f32_e32 v149, v5, v145
	v_fma_f32 v145, v4, v145, -v2
	buffer_load_dword v2, off, s[0:3], 0 offset:292
	s_waitcnt vmcnt(0) lgkmcnt(0)
	v_mul_f32_e32 v159, v118, v2
	v_mul_f32_e32 v2, v119, v2
	v_fmac_f32_e32 v159, v119, v142
	v_fma_f32 v142, v118, v142, -v2
	s_clause 0x4
	buffer_load_dword v2, off, s[0:3], 0 offset:300
	buffer_load_dword v160, off, s[0:3], 0 offset:320
	buffer_load_dword v161, off, s[0:3], 0 offset:312
	buffer_load_dword v174, off, s[0:3], 0 offset:304
	buffer_load_dword v3, off, s[0:3], 0 offset:296
	s_waitcnt vmcnt(4)
	v_mul_f32_e32 v175, v120, v2
	v_mul_f32_e32 v2, v121, v2
	s_waitcnt vmcnt(0)
	v_fmac_f32_e32 v175, v121, v3
	v_fma_f32 v176, v120, v3, -v2
	v_add_f32_e32 v2, 0, v162
	v_add_f32_e32 v3, 0, v154
	s_clause 0x1
	buffer_load_dword v154, off, s[0:3], 0 offset:308
	buffer_load_dword v162, off, s[0:3], 0 offset:332
	v_add_f32_e32 v2, v2, v155
	v_add_f32_e32 v3, v3, v163
	buffer_load_dword v155, off, s[0:3], 0 offset:316
	v_add_f32_e32 v2, v2, v167
	v_add_f32_e32 v3, v3, v165
	;; [unrolled: 1-line block ×5, first 2 shown]
	buffer_load_dword v133, off, s[0:3], 0 offset:324
	v_add_f32_e32 v3, v3, v169
	v_add_f32_e32 v2, v2, v171
	;; [unrolled: 1-line block ×4, first 2 shown]
	s_clause 0x3
	buffer_load_dword v8, off, s[0:3], 0 offset:352
	buffer_load_dword v163, off, s[0:3], 0 offset:344
	;; [unrolled: 1-line block ×4, first 2 shown]
	v_add_f32_e32 v3, v3, v172
	v_add_f32_e32 v2, v2, v150
	s_clause 0x1
	buffer_load_dword v150, off, s[0:3], 0 offset:340
	buffer_load_dword v167, off, s[0:3], 0 offset:348
	v_add_f32_e32 v3, v3, v132
	v_add_f32_e32 v2, v2, v153
	buffer_load_dword v153, off, s[0:3], 0 offset:356
	v_add_f32_e32 v3, v3, v151
	v_add_f32_e32 v2, v2, v143
	s_clause 0x3
	buffer_load_dword v143, off, s[0:3], 0 offset:364
	buffer_load_dword v151, off, s[0:3], 0 offset:372
	;; [unrolled: 1-line block ×4, first 2 shown]
	v_add_f32_e32 v3, v3, v152
	v_add_f32_e32 v2, v2, v146
	s_clause 0x1
	buffer_load_dword v146, off, s[0:3], 0 offset:396
	buffer_load_dword v152, off, s[0:3], 0 offset:404
	v_add_f32_e32 v3, v3, v144
	s_clause 0x1
	buffer_load_dword v144, off, s[0:3], 0 offset:412
	buffer_load_dword v170, off, s[0:3], 0 offset:420
	v_add_f32_e32 v2, v2, v122
	v_add_f32_e32 v3, v3, v173
	;; [unrolled: 1-line block ×5, first 2 shown]
	s_clause 0x3
	buffer_load_dword v10, off, s[0:3], 0 offset:384
	buffer_load_dword v134, off, s[0:3], 0 offset:376
	;; [unrolled: 1-line block ×4, first 2 shown]
	v_add_f32_e32 v3, v3, v147
	v_add_f32_e32 v2, v2, v138
	;; [unrolled: 1-line block ×4, first 2 shown]
	s_clause 0x3
	buffer_load_dword v11, off, s[0:3], 0 offset:416
	buffer_load_dword v136, off, s[0:3], 0 offset:408
	;; [unrolled: 1-line block ×4, first 2 shown]
	v_add_f32_e32 v3, v3, v137
	buffer_load_dword v137, off, s[0:3], 0 offset:72
	v_add_f32_e32 v2, v2, v7
	v_add_f32_e32 v3, v3, v139
	;; [unrolled: 1-line block ×4, first 2 shown]
	ds_read_b128 v[2:5], v1 offset:736
	v_add_f32_e32 v7, v7, v124
	v_add_f32_e32 v118, v118, v129
	;; [unrolled: 1-line block ×4, first 2 shown]
	ds_read_b128 v[118:121], v1 offset:752
	v_add_f32_e32 v7, v7, v127
	v_add_f32_e32 v6, v6, v126
	;; [unrolled: 1-line block ×8, first 2 shown]
	s_waitcnt vmcnt(27) lgkmcnt(1)
	v_mul_f32_e32 v139, v2, v154
	v_mul_f32_e32 v122, v3, v154
	v_fmac_f32_e32 v139, v3, v174
	v_add_f32_e32 v3, v7, v130
	s_waitcnt vmcnt(25)
	v_mul_f32_e32 v140, v4, v155
	v_mul_f32_e32 v123, v5, v155
	v_fma_f32 v154, v2, v174, -v122
	v_add_f32_e32 v7, v3, v141
	v_fmac_f32_e32 v140, v5, v161
	v_fma_f32 v155, v4, v161, -v123
	ds_read_b128 v[2:5], v1 offset:768
	ds_read_b128 v[122:125], v1 offset:784
	;; [unrolled: 1-line block ×3, first 2 shown]
	v_add_f32_e32 v7, v7, v148
	s_waitcnt lgkmcnt(3)
	v_mul_f32_e32 v148, v120, v162
	s_waitcnt vmcnt(24)
	v_mul_f32_e32 v130, v119, v133
	v_mul_f32_e32 v141, v118, v133
	v_add_f32_e32 v7, v7, v145
	v_mul_f32_e32 v145, v121, v162
	v_fma_f32 v156, v118, v160, -v130
	v_fmac_f32_e32 v141, v119, v160
	v_add_f32_e32 v7, v7, v142
	ds_read_b128 v[130:133], v1 offset:816
	s_waitcnt vmcnt(20)
	v_fma_f32 v142, v120, v166, -v145
	v_add_f32_e32 v145, v6, v159
	v_add_f32_e32 v149, v7, v176
	v_fmac_f32_e32 v148, v121, v166
	s_waitcnt vmcnt(19) lgkmcnt(3)
	v_mul_f32_e32 v157, v2, v150
	v_mul_f32_e32 v150, v3, v150
	v_add_f32_e32 v145, v145, v175
	v_add_f32_e32 v149, v149, v154
	s_waitcnt vmcnt(18)
	v_mul_f32_e32 v154, v5, v167
	v_mul_f32_e32 v158, v4, v167
	v_fma_f32 v2, v2, v165, -v150
	v_add_f32_e32 v139, v145, v139
	v_add_f32_e32 v149, v149, v155
	v_fmac_f32_e32 v157, v3, v165
	s_waitcnt vmcnt(17) lgkmcnt(2)
	v_mul_f32_e32 v145, v122, v153
	v_mul_f32_e32 v150, v123, v153
	v_add_f32_e32 v139, v139, v140
	v_add_f32_e32 v149, v149, v156
	v_fma_f32 v4, v4, v163, -v154
	v_fmac_f32_e32 v158, v5, v163
	v_fmac_f32_e32 v145, v123, v8
	v_add_f32_e32 v139, v139, v141
	v_add_f32_e32 v142, v149, v142
	v_fma_f32 v8, v122, v8, -v150
	s_waitcnt vmcnt(16)
	v_mul_f32_e32 v155, v124, v143
	ds_read_b128 v[118:121], v1 offset:832
	ds_read_b64 v[6:7], v1 offset:848
	v_add_f32_e32 v139, v139, v148
	v_add_f32_e32 v2, v142, v2
	s_waitcnt vmcnt(15) lgkmcnt(3)
	v_mul_f32_e32 v159, v126, v151
	s_waitcnt vmcnt(14)
	v_mul_f32_e32 v140, v128, v168
	s_waitcnt vmcnt(13) lgkmcnt(2)
	v_mul_f32_e32 v156, v130, v169
	v_add_f32_e32 v5, v139, v157
	v_mul_f32_e32 v139, v125, v143
	v_add_f32_e32 v2, v2, v4
	s_waitcnt vmcnt(6)
	v_fmac_f32_e32 v159, v127, v135
	s_waitcnt vmcnt(5)
	v_fmac_f32_e32 v155, v125, v171
	v_add_f32_e32 v4, v5, v158
	v_mul_f32_e32 v5, v127, v151
	v_fma_f32 v122, v124, v171, -v139
	v_add_f32_e32 v2, v2, v8
	v_mul_f32_e32 v8, v129, v168
	v_add_f32_e32 v4, v4, v145
	v_fma_f32 v5, v126, v135, -v5
	v_fmac_f32_e32 v140, v129, v134
	v_add_f32_e32 v2, v2, v122
	v_mul_f32_e32 v122, v131, v169
	v_add_f32_e32 v4, v4, v155
	v_fma_f32 v8, v128, v134, -v8
	v_fmac_f32_e32 v156, v131, v10
	v_add_f32_e32 v2, v2, v5
	v_mul_f32_e32 v5, v133, v146
	v_add_f32_e32 v4, v4, v159
	v_fma_f32 v10, v130, v10, -v122
	v_mul_f32_e32 v3, v132, v146
	v_add_f32_e32 v2, v2, v8
	s_waitcnt lgkmcnt(1)
	v_mul_f32_e32 v8, v119, v152
	v_add_f32_e32 v4, v4, v140
	s_waitcnt vmcnt(1)
	v_fma_f32 v5, v132, v147, -v5
	v_mul_f32_e32 v141, v118, v152
	v_add_f32_e32 v2, v2, v10
	v_fmac_f32_e32 v3, v133, v147
	v_add_f32_e32 v4, v4, v156
	v_mul_f32_e32 v10, v121, v144
	v_fma_f32 v8, v118, v138, -v8
	v_add_f32_e32 v2, v2, v5
	v_mul_f32_e32 v149, v120, v144
	v_fmac_f32_e32 v141, v119, v138
	v_add_f32_e32 v3, v4, v3
	s_waitcnt lgkmcnt(0)
	v_mul_f32_e32 v4, v7, v170
	v_fma_f32 v5, v120, v136, -v10
	v_add_f32_e32 v2, v2, v8
	v_mul_f32_e32 v148, v6, v170
	v_fmac_f32_e32 v149, v121, v136
	v_add_f32_e32 v3, v3, v141
	v_fma_f32 v4, v6, v11, -v4
	v_add_f32_e32 v2, v2, v5
	v_fmac_f32_e32 v148, v7, v11
	v_add_f32_e32 v3, v3, v149
	v_add_f32_e32 v2, v2, v4
	;; [unrolled: 1-line block ×3, first 2 shown]
	s_waitcnt vmcnt(0)
	v_sub_f32_e32 v2, v137, v2
	v_sub_f32_e32 v3, v164, v3
	buffer_store_dword v2, off, s[0:3], 0 offset:72
	buffer_store_dword v3, off, s[0:3], 0 offset:76
	v_cmpx_lt_u32_e32 8, v0
	s_cbranch_execz .LBB116_315
; %bb.314:
	s_clause 0x1
	buffer_load_dword v2, off, s[0:3], 0 offset:64
	buffer_load_dword v3, off, s[0:3], 0 offset:68
	buffer_store_dword v1, off, s[0:3], 0 offset:64
	buffer_store_dword v1, off, s[0:3], 0 offset:68
	s_waitcnt vmcnt(0)
	ds_write_b64 v9, v[2:3]
.LBB116_315:
	s_or_b32 exec_lo, exec_lo, s4
	s_waitcnt lgkmcnt(0)
	s_waitcnt_vscnt null, 0x0
	s_barrier
	buffer_gl0_inv
	s_clause 0x2c
	buffer_load_dword v154, off, s[0:3], 0 offset:76
	buffer_load_dword v155, off, s[0:3], 0 offset:84
	;; [unrolled: 1-line block ×45, first 2 shown]
	ds_read2_b64 v[146:149], v1 offset0:63 offset1:64
	ds_read2_b64 v[150:153], v1 offset0:65 offset1:66
	buffer_load_dword v164, off, s[0:3], 0 offset:68
	s_mov_b32 s4, exec_lo
	s_waitcnt vmcnt(45) lgkmcnt(1)
	v_mul_f32_e32 v162, v147, v154
	v_mul_f32_e32 v154, v146, v154
	s_waitcnt vmcnt(44)
	v_mul_f32_e32 v163, v148, v155
	v_mul_f32_e32 v155, v149, v155
	s_waitcnt vmcnt(41)
	v_fma_f32 v162, v146, v144, -v162
	v_fmac_f32_e32 v154, v147, v144
	v_fmac_f32_e32 v163, v149, v140
	v_fma_f32 v155, v148, v140, -v155
	ds_read2_b64 v[146:149], v1 offset0:67 offset1:68
	s_waitcnt vmcnt(40) lgkmcnt(1)
	v_mul_f32_e32 v165, v150, v139
	v_mul_f32_e32 v139, v151, v139
	s_waitcnt vmcnt(39)
	v_mul_f32_e32 v166, v152, v137
	v_mul_f32_e32 v137, v153, v137
	v_fmac_f32_e32 v165, v151, v126
	v_fma_f32 v126, v150, v126, -v139
	s_waitcnt vmcnt(35)
	v_fmac_f32_e32 v166, v153, v145
	v_fma_f32 v167, v152, v145, -v137
	ds_read2_b64 v[150:153], v1 offset0:69 offset1:70
	s_waitcnt vmcnt(34) lgkmcnt(1)
	v_mul_f32_e32 v168, v146, v143
	v_mul_f32_e32 v137, v147, v143
	s_waitcnt vmcnt(33)
	v_mul_f32_e32 v169, v148, v142
	v_mul_f32_e32 v139, v149, v142
	ds_read2_b64 v[142:145], v1 offset0:71 offset1:72
	v_fmac_f32_e32 v168, v147, v134
	v_fma_f32 v134, v146, v134, -v137
	v_fmac_f32_e32 v169, v149, v129
	v_fma_f32 v170, v148, v129, -v139
	ds_read2_b64 v[146:149], v1 offset0:73 offset1:74
	s_waitcnt vmcnt(32) lgkmcnt(2)
	v_mul_f32_e32 v171, v150, v133
	v_mul_f32_e32 v129, v151, v133
	s_waitcnt vmcnt(31)
	v_mul_f32_e32 v133, v152, v131
	v_mul_f32_e32 v131, v153, v131
	v_fmac_f32_e32 v171, v151, v10
	v_fma_f32 v10, v150, v10, -v129
	s_waitcnt vmcnt(27)
	v_fmac_f32_e32 v133, v153, v141
	v_fma_f32 v150, v152, v141, -v131
	s_waitcnt vmcnt(26) lgkmcnt(1)
	v_mul_f32_e32 v151, v142, v138
	v_mul_f32_e32 v129, v143, v138
	s_waitcnt vmcnt(25)
	v_mul_f32_e32 v152, v144, v136
	v_mul_f32_e32 v131, v145, v136
	ds_read2_b64 v[136:139], v1 offset0:75 offset1:76
	v_fmac_f32_e32 v151, v143, v127
	v_fma_f32 v127, v142, v127, -v129
	ds_read2_b64 v[140:143], v1 offset0:77 offset1:78
	v_fmac_f32_e32 v152, v145, v121
	v_fma_f32 v144, v144, v121, -v131
	s_waitcnt vmcnt(24) lgkmcnt(2)
	v_mul_f32_e32 v145, v146, v125
	v_mul_f32_e32 v121, v147, v125
	s_waitcnt vmcnt(23)
	v_mul_f32_e32 v153, v148, v123
	v_mul_f32_e32 v123, v149, v123
	v_fmac_f32_e32 v145, v147, v4
	v_fma_f32 v146, v146, v4, -v121
	s_waitcnt vmcnt(19)
	v_fmac_f32_e32 v153, v149, v135
	v_fma_f32 v135, v148, v135, -v123
	s_waitcnt vmcnt(18) lgkmcnt(1)
	v_mul_f32_e32 v147, v136, v132
	v_mul_f32_e32 v4, v137, v132
	s_waitcnt vmcnt(17)
	v_mul_f32_e32 v148, v138, v130
	v_mul_f32_e32 v121, v139, v130
	ds_read2_b64 v[129:132], v1 offset0:79 offset1:80
	v_fmac_f32_e32 v147, v137, v120
	v_fma_f32 v136, v136, v120, -v4
	v_fmac_f32_e32 v148, v139, v11
	v_fma_f32 v11, v138, v11, -v121
	s_waitcnt vmcnt(15) lgkmcnt(1)
	v_mul_f32_e32 v138, v142, v118
	v_mul_f32_e32 v118, v143, v118
	;; [unrolled: 1-line block ×4, first 2 shown]
	s_waitcnt vmcnt(11)
	v_fmac_f32_e32 v138, v143, v128
	v_fma_f32 v128, v142, v128, -v118
	ds_read2_b64 v[118:121], v1 offset0:81 offset1:82
	v_fmac_f32_e32 v137, v141, v3
	v_fma_f32 v139, v140, v3, -v4
	s_waitcnt vmcnt(10) lgkmcnt(1)
	v_mul_f32_e32 v140, v129, v124
	v_mul_f32_e32 v3, v130, v124
	s_waitcnt vmcnt(9)
	v_mul_f32_e32 v141, v131, v122
	v_mul_f32_e32 v4, v132, v122
	ds_read2_b64 v[122:125], v1 offset0:83 offset1:84
	v_fmac_f32_e32 v140, v130, v8
	v_fma_f32 v8, v129, v8, -v3
	v_fmac_f32_e32 v141, v132, v5
	v_fma_f32 v129, v131, v5, -v4
	s_waitcnt vmcnt(8) lgkmcnt(1)
	v_mul_f32_e32 v130, v118, v7
	v_mul_f32_e32 v3, v119, v7
	s_waitcnt vmcnt(7)
	v_mul_f32_e32 v7, v120, v6
	v_mul_f32_e32 v4, v121, v6
	buffer_load_dword v6, off, s[0:3], 0 offset:252
	v_fmac_f32_e32 v130, v119, v2
	v_fma_f32 v131, v118, v2, -v3
	s_waitcnt vmcnt(4)
	v_fmac_f32_e32 v7, v121, v159
	v_fma_f32 v132, v120, v159, -v4
	buffer_load_dword v120, off, s[0:3], 0 offset:260
	ds_read2_b64 v[2:5], v1 offset0:85 offset1:86
	s_waitcnt vmcnt(4) lgkmcnt(1)
	v_mul_f32_e32 v142, v122, v160
	v_mul_f32_e32 v118, v123, v160
	s_waitcnt vmcnt(3)
	v_mul_f32_e32 v143, v124, v161
	v_mul_f32_e32 v119, v125, v161
	v_fmac_f32_e32 v142, v123, v158
	v_fma_f32 v122, v122, v158, -v118
	v_fmac_f32_e32 v143, v125, v157
	v_fma_f32 v123, v124, v157, -v119
	s_clause 0x4
	buffer_load_dword v124, off, s[0:3], 0 offset:280
	buffer_load_dword v125, off, s[0:3], 0 offset:272
	;; [unrolled: 1-line block ×5, first 2 shown]
	s_waitcnt vmcnt(6) lgkmcnt(0)
	v_mul_f32_e32 v158, v2, v6
	v_mul_f32_e32 v6, v3, v6
	v_fmac_f32_e32 v158, v3, v156
	v_fma_f32 v6, v2, v156, -v6
	s_waitcnt vmcnt(5)
	v_mul_f32_e32 v156, v4, v120
	v_mul_f32_e32 v2, v5, v120
	s_waitcnt vmcnt(1)
	v_fmac_f32_e32 v156, v5, v118
	v_fma_f32 v159, v4, v118, -v2
	ds_read2_b64 v[2:5], v1 offset0:87 offset1:88
	ds_read2_b64 v[118:121], v1 offset0:89 offset1:90
	s_waitcnt vmcnt(0) lgkmcnt(1)
	v_mul_f32_e32 v160, v2, v157
	v_mul_f32_e32 v157, v3, v157
	v_fmac_f32_e32 v160, v3, v149
	v_fma_f32 v149, v2, v149, -v157
	s_clause 0x1
	buffer_load_dword v2, off, s[0:3], 0 offset:276
	buffer_load_dword v3, off, s[0:3], 0 offset:284
	s_waitcnt vmcnt(1)
	v_mul_f32_e32 v157, v4, v2
	v_mul_f32_e32 v2, v5, v2
	v_fmac_f32_e32 v157, v5, v125
	v_fma_f32 v161, v4, v125, -v2
	v_add_f32_e32 v2, 0, v162
	buffer_load_dword v5, off, s[0:3], 0 offset:292
	v_add_f32_e32 v4, 0, v154
	v_add_f32_e32 v2, v2, v155
	;; [unrolled: 1-line block ×4, first 2 shown]
	s_clause 0x3
	buffer_load_dword v126, off, s[0:3], 0 offset:312
	buffer_load_dword v125, off, s[0:3], 0 offset:304
	;; [unrolled: 1-line block ×4, first 2 shown]
	v_add_f32_e32 v4, v4, v165
	s_clause 0x1
	buffer_load_dword v162, off, s[0:3], 0 offset:308
	buffer_load_dword v163, off, s[0:3], 0 offset:316
	v_add_f32_e32 v2, v2, v167
	s_waitcnt vmcnt(7) lgkmcnt(0)
	v_mul_f32_e32 v165, v118, v3
	v_add_f32_e32 v4, v4, v166
	v_mul_f32_e32 v3, v119, v3
	v_add_f32_e32 v2, v2, v134
	buffer_load_dword v134, off, s[0:3], 0 offset:300
	v_add_f32_e32 v4, v4, v168
	v_fma_f32 v166, v118, v124, -v3
	v_fmac_f32_e32 v165, v119, v124
	v_add_f32_e32 v2, v2, v170
	v_add_f32_e32 v4, v4, v169
	;; [unrolled: 1-line block ×3, first 2 shown]
	buffer_load_dword v10, off, s[0:3], 0 offset:324
	v_add_f32_e32 v4, v4, v171
	v_add_f32_e32 v2, v2, v150
	;; [unrolled: 1-line block ×3, first 2 shown]
	s_clause 0x5
	buffer_load_dword v150, off, s[0:3], 0 offset:344
	buffer_load_dword v167, off, s[0:3], 0 offset:336
	buffer_load_dword v168, off, s[0:3], 0 offset:328
	buffer_load_dword v133, off, s[0:3], 0 offset:320
	buffer_load_dword v169, off, s[0:3], 0 offset:332
	buffer_load_dword v170, off, s[0:3], 0 offset:356
	v_add_f32_e32 v2, v2, v127
	v_add_f32_e32 v3, v3, v151
	;; [unrolled: 1-line block ×4, first 2 shown]
	s_clause 0x1
	buffer_load_dword v144, off, s[0:3], 0 offset:340
	buffer_load_dword v152, off, s[0:3], 0 offset:348
	v_add_f32_e32 v2, v2, v146
	v_add_f32_e32 v3, v3, v145
	s_clause 0x2
	buffer_load_dword v145, off, s[0:3], 0 offset:364
	buffer_load_dword v146, off, s[0:3], 0 offset:372
	;; [unrolled: 1-line block ×3, first 2 shown]
	v_add_f32_e32 v2, v2, v135
	v_add_f32_e32 v3, v3, v153
	s_clause 0x3
	buffer_load_dword v153, off, s[0:3], 0 offset:388
	buffer_load_dword v172, off, s[0:3], 0 offset:396
	;; [unrolled: 1-line block ×4, first 2 shown]
	v_add_f32_e32 v2, v2, v136
	v_add_f32_e32 v3, v3, v147
	buffer_load_dword v147, off, s[0:3], 0 offset:420
	v_add_f32_e32 v2, v2, v11
	v_add_f32_e32 v3, v3, v148
	s_clause 0x3
	buffer_load_dword v11, off, s[0:3], 0 offset:376
	buffer_load_dword v148, off, s[0:3], 0 offset:368
	;; [unrolled: 1-line block ×4, first 2 shown]
	v_add_f32_e32 v2, v2, v139
	v_add_f32_e32 v3, v3, v137
	;; [unrolled: 1-line block ×4, first 2 shown]
	s_clause 0x3
	buffer_load_dword v138, off, s[0:3], 0 offset:408
	buffer_load_dword v139, off, s[0:3], 0 offset:400
	;; [unrolled: 1-line block ×4, first 2 shown]
	v_add_f32_e32 v2, v2, v8
	buffer_load_dword v8, off, s[0:3], 0 offset:416
	v_add_f32_e32 v3, v3, v140
	buffer_load_dword v140, off, s[0:3], 0 offset:64
	v_add_f32_e32 v2, v2, v129
	v_add_f32_e32 v3, v3, v141
	;; [unrolled: 1-line block ×20, first 2 shown]
	s_waitcnt vmcnt(34)
	v_mul_f32_e32 v151, v120, v5
	v_mul_f32_e32 v4, v121, v5
	s_waitcnt vmcnt(30)
	v_fmac_f32_e32 v151, v121, v155
	v_fma_f32 v155, v120, v155, -v4
	ds_read2_b64 v[2:5], v1 offset0:91 offset1:92
	ds_read2_b64 v[118:121], v1 offset0:93 offset1:94
	v_add_f32_e32 v7, v7, v151
	v_add_f32_e32 v6, v6, v155
	s_waitcnt vmcnt(27) lgkmcnt(1)
	v_mul_f32_e32 v141, v2, v134
	v_mul_f32_e32 v123, v3, v134
	;; [unrolled: 1-line block ×4, first 2 shown]
	s_waitcnt lgkmcnt(0)
	v_mul_f32_e32 v127, v119, v163
	v_fmac_f32_e32 v141, v3, v154
	v_fma_f32 v134, v2, v154, -v123
	v_fmac_f32_e32 v142, v5, v125
	v_fma_f32 v143, v4, v125, -v124
	ds_read2_b64 v[2:5], v1 offset0:95 offset1:96
	ds_read2_b64 v[122:125], v1 offset0:97 offset1:98
	v_mul_f32_e32 v154, v118, v163
	s_waitcnt vmcnt(26)
	v_mul_f32_e32 v149, v120, v10
	v_mul_f32_e32 v10, v121, v10
	v_fma_f32 v156, v118, v126, -v127
	v_fmac_f32_e32 v154, v119, v126
	s_waitcnt vmcnt(22)
	v_fmac_f32_e32 v149, v121, v133
	v_fma_f32 v10, v120, v133, -v10
	ds_read2_b64 v[118:121], v1 offset0:99 offset1:100
	ds_read2_b64 v[126:129], v1 offset0:101 offset1:102
	;; [unrolled: 1-line block ×3, first 2 shown]
	s_waitcnt vmcnt(21) lgkmcnt(4)
	v_mul_f32_e32 v157, v2, v169
	v_mul_f32_e32 v135, v3, v169
	v_fmac_f32_e32 v157, v3, v168
	v_add_f32_e32 v3, v6, v134
	v_fma_f32 v2, v2, v168, -v135
	ds_read2_b64 v[134:137], v1 offset0:105 offset1:106
	v_add_f32_e32 v1, v7, v141
	s_waitcnt vmcnt(19)
	v_mul_f32_e32 v7, v5, v144
	v_add_f32_e32 v3, v3, v143
	v_mul_f32_e32 v6, v4, v144
	s_waitcnt vmcnt(18) lgkmcnt(4)
	v_mul_f32_e32 v143, v123, v152
	v_add_f32_e32 v1, v1, v142
	v_fma_f32 v4, v4, v167, -v7
	v_add_f32_e32 v3, v3, v156
	v_mul_f32_e32 v141, v122, v152
	v_fmac_f32_e32 v6, v5, v167
	v_add_f32_e32 v1, v1, v154
	v_fma_f32 v122, v122, v150, -v143
	v_add_f32_e32 v3, v3, v10
	v_mul_f32_e32 v10, v125, v170
	v_mul_f32_e32 v142, v124, v170
	v_add_f32_e32 v1, v1, v149
	v_fmac_f32_e32 v141, v123, v150
	v_add_f32_e32 v2, v3, v2
	s_waitcnt vmcnt(17) lgkmcnt(3)
	v_mul_f32_e32 v5, v118, v145
	s_waitcnt vmcnt(6)
	v_fmac_f32_e32 v142, v125, v176
	v_add_f32_e32 v1, v1, v157
	v_mul_f32_e32 v7, v120, v146
	v_add_f32_e32 v2, v2, v4
	v_mul_f32_e32 v4, v119, v145
	v_fmac_f32_e32 v5, v119, v175
	v_add_f32_e32 v1, v1, v6
	v_fma_f32 v6, v124, v176, -v10
	v_add_f32_e32 v2, v2, v122
	v_mul_f32_e32 v10, v121, v146
	v_fma_f32 v4, v118, v175, -v4
	v_add_f32_e32 v1, v1, v141
	s_waitcnt lgkmcnt(2)
	v_mul_f32_e32 v144, v126, v171
	v_add_f32_e32 v2, v2, v6
	v_mul_f32_e32 v6, v127, v171
	v_fma_f32 v10, v120, v148, -v10
	v_add_f32_e32 v1, v1, v142
	v_fmac_f32_e32 v7, v121, v148
	v_add_f32_e32 v2, v2, v4
	v_mul_f32_e32 v4, v129, v153
	v_mul_f32_e32 v151, v128, v153
	v_add_f32_e32 v1, v1, v5
	v_fma_f32 v5, v126, v11, -v6
	v_add_f32_e32 v2, v2, v10
	v_fmac_f32_e32 v144, v127, v11
	s_waitcnt lgkmcnt(1)
	v_mul_f32_e32 v6, v131, v172
	v_add_f32_e32 v1, v1, v7
	s_waitcnt vmcnt(2)
	v_fma_f32 v4, v128, v178, -v4
	v_add_f32_e32 v2, v2, v5
	v_mul_f32_e32 v152, v130, v172
	v_fmac_f32_e32 v151, v129, v178
	v_add_f32_e32 v1, v1, v144
	v_mul_f32_e32 v5, v133, v173
	v_fma_f32 v6, v130, v177, -v6
	v_add_f32_e32 v2, v2, v4
	v_mul_f32_e32 v149, v132, v173
	v_fmac_f32_e32 v152, v131, v177
	v_add_f32_e32 v1, v1, v151
	s_waitcnt lgkmcnt(0)
	v_mul_f32_e32 v4, v135, v174
	v_fma_f32 v5, v132, v139, -v5
	v_add_f32_e32 v2, v2, v6
	v_mul_f32_e32 v154, v134, v174
	v_fmac_f32_e32 v149, v133, v139
	v_add_f32_e32 v1, v1, v152
	v_mul_f32_e32 v6, v137, v147
	v_fma_f32 v4, v134, v138, -v4
	v_add_f32_e32 v2, v2, v5
	v_mul_f32_e32 v3, v136, v147
	v_fmac_f32_e32 v154, v135, v138
	v_add_f32_e32 v1, v1, v149
	s_waitcnt vmcnt(1)
	v_fma_f32 v5, v136, v8, -v6
	v_add_f32_e32 v2, v2, v4
	v_fmac_f32_e32 v3, v137, v8
	v_add_f32_e32 v1, v1, v154
	v_add_f32_e32 v2, v2, v5
	;; [unrolled: 1-line block ×3, first 2 shown]
	s_waitcnt vmcnt(0)
	v_sub_f32_e32 v2, v140, v2
	v_sub_f32_e32 v1, v164, v1
	buffer_store_dword v2, off, s[0:3], 0 offset:64
	buffer_store_dword v1, off, s[0:3], 0 offset:68
	v_cmpx_lt_u32_e32 7, v0
	s_cbranch_execz .LBB116_317
; %bb.316:
	s_clause 0x1
	buffer_load_dword v1, off, s[0:3], 0 offset:56
	buffer_load_dword v2, off, s[0:3], 0 offset:60
	v_mov_b32_e32 v3, 0
	buffer_store_dword v3, off, s[0:3], 0 offset:56
	buffer_store_dword v3, off, s[0:3], 0 offset:60
	s_waitcnt vmcnt(0)
	ds_write_b64 v9, v[1:2]
.LBB116_317:
	s_or_b32 exec_lo, exec_lo, s4
	s_waitcnt lgkmcnt(0)
	s_waitcnt_vscnt null, 0x0
	s_barrier
	buffer_gl0_inv
	s_clause 0x2c
	buffer_load_dword v146, off, s[0:3], 0 offset:68
	buffer_load_dword v147, off, s[0:3], 0 offset:76
	;; [unrolled: 1-line block ×45, first 2 shown]
	v_mov_b32_e32 v1, 0
	ds_read_b128 v[152:155], v1 offset:496
	ds_read_b128 v[156:159], v1 offset:512
	buffer_load_dword v164, off, s[0:3], 0 offset:60
	s_mov_b32 s4, exec_lo
	s_waitcnt vmcnt(45) lgkmcnt(1)
	v_mul_f32_e32 v150, v152, v146
	v_mul_f32_e32 v163, v153, v146
	s_waitcnt vmcnt(44)
	v_mul_f32_e32 v146, v154, v147
	v_mul_f32_e32 v147, v155, v147
	s_waitcnt vmcnt(41)
	v_fmac_f32_e32 v150, v153, v11
	v_fma_f32 v11, v152, v11, -v163
	v_fmac_f32_e32 v146, v155, v7
	v_fma_f32 v147, v154, v7, -v147
	ds_read_b128 v[152:155], v1 offset:528
	s_waitcnt vmcnt(40) lgkmcnt(1)
	v_mul_f32_e32 v163, v156, v4
	s_waitcnt vmcnt(39)
	v_mul_f32_e32 v165, v158, v5
	v_mul_f32_e32 v4, v157, v4
	;; [unrolled: 1-line block ×3, first 2 shown]
	v_fmac_f32_e32 v163, v157, v2
	s_waitcnt vmcnt(35)
	v_fmac_f32_e32 v165, v159, v120
	v_fma_f32 v166, v156, v2, -v4
	v_fma_f32 v167, v158, v120, -v5
	ds_read_b128 v[156:159], v1 offset:544
	s_waitcnt vmcnt(34) lgkmcnt(1)
	v_mul_f32_e32 v168, v152, v119
	v_mul_f32_e32 v2, v153, v119
	s_waitcnt vmcnt(33)
	v_mul_f32_e32 v169, v154, v118
	v_mul_f32_e32 v4, v155, v118
	v_fmac_f32_e32 v168, v153, v10
	v_fma_f32 v10, v152, v10, -v2
	v_fmac_f32_e32 v169, v155, v6
	v_fma_f32 v152, v154, v6, -v4
	ds_read_b128 v[4:7], v1 offset:560
	s_waitcnt vmcnt(32) lgkmcnt(1)
	v_mul_f32_e32 v153, v156, v8
	v_mul_f32_e32 v2, v157, v8
	s_waitcnt vmcnt(31)
	v_mul_f32_e32 v8, v158, v121
	v_mul_f32_e32 v118, v159, v121
	v_fmac_f32_e32 v153, v157, v3
	v_fma_f32 v154, v156, v3, -v2
	s_waitcnt vmcnt(27)
	v_fmac_f32_e32 v8, v159, v129
	v_fma_f32 v129, v158, v129, -v118
	ds_read_b128 v[118:121], v1 offset:576
	buffer_load_dword v159, off, s[0:3], 0 offset:252
	s_waitcnt vmcnt(27) lgkmcnt(1)
	v_mul_f32_e32 v155, v4, v127
	v_mul_f32_e32 v2, v5, v127
	s_waitcnt vmcnt(26)
	v_mul_f32_e32 v3, v7, v126
	v_mul_f32_e32 v127, v6, v126
	v_fmac_f32_e32 v155, v5, v125
	v_fma_f32 v125, v4, v125, -v2
	v_fma_f32 v6, v6, v123, -v3
	ds_read_b128 v[2:5], v1 offset:592
	v_fmac_f32_e32 v127, v7, v123
	s_waitcnt vmcnt(25) lgkmcnt(1)
	v_mul_f32_e32 v7, v118, v124
	v_mul_f32_e32 v123, v119, v124
	s_waitcnt vmcnt(24)
	v_mul_f32_e32 v124, v120, v128
	v_mul_f32_e32 v126, v121, v128
	v_fmac_f32_e32 v7, v119, v122
	v_fma_f32 v122, v118, v122, -v123
	s_waitcnt vmcnt(20)
	v_fmac_f32_e32 v124, v121, v137
	v_fma_f32 v123, v120, v137, -v126
	ds_read_b128 v[118:121], v1 offset:608
	s_waitcnt vmcnt(19) lgkmcnt(1)
	v_mul_f32_e32 v126, v2, v135
	v_mul_f32_e32 v128, v3, v135
	s_waitcnt vmcnt(18)
	v_mul_f32_e32 v135, v4, v134
	v_mul_f32_e32 v134, v5, v134
	v_fmac_f32_e32 v126, v3, v133
	v_fma_f32 v128, v2, v133, -v128
	v_fmac_f32_e32 v135, v5, v131
	v_fma_f32 v131, v4, v131, -v134
	ds_read_b128 v[2:5], v1 offset:624
	s_waitcnt vmcnt(17) lgkmcnt(1)
	v_mul_f32_e32 v133, v118, v132
	v_mul_f32_e32 v132, v119, v132
	s_waitcnt vmcnt(16)
	v_mul_f32_e32 v134, v120, v136
	v_mul_f32_e32 v136, v121, v136
	v_fmac_f32_e32 v133, v119, v130
	v_fma_f32 v130, v118, v130, -v132
	s_waitcnt vmcnt(12)
	v_fmac_f32_e32 v134, v121, v145
	v_fma_f32 v132, v120, v145, -v136
	ds_read_b128 v[118:121], v1 offset:640
	s_waitcnt vmcnt(11) lgkmcnt(1)
	v_mul_f32_e32 v136, v2, v143
	v_mul_f32_e32 v137, v3, v143
	s_waitcnt vmcnt(10)
	v_mul_f32_e32 v143, v4, v142
	v_mul_f32_e32 v142, v5, v142
	v_fmac_f32_e32 v136, v3, v141
	v_fma_f32 v137, v2, v141, -v137
	buffer_load_dword v141, off, s[0:3], 0 offset:244
	v_fmac_f32_e32 v143, v5, v139
	v_fma_f32 v139, v4, v139, -v142
	ds_read_b128 v[2:5], v1 offset:656
	s_waitcnt vmcnt(10) lgkmcnt(1)
	v_mul_f32_e32 v142, v118, v140
	v_mul_f32_e32 v140, v119, v140
	s_waitcnt vmcnt(9)
	v_mul_f32_e32 v145, v120, v144
	v_mul_f32_e32 v144, v121, v144
	v_fmac_f32_e32 v142, v119, v138
	v_fma_f32 v138, v118, v138, -v140
	s_waitcnt vmcnt(5)
	v_fmac_f32_e32 v145, v121, v160
	v_fma_f32 v140, v120, v160, -v144
	ds_read_b128 v[118:121], v1 offset:672
	s_waitcnt vmcnt(4) lgkmcnt(1)
	v_mul_f32_e32 v144, v2, v161
	v_mul_f32_e32 v156, v3, v161
	s_waitcnt vmcnt(3)
	v_mul_f32_e32 v157, v4, v162
	v_mul_f32_e32 v158, v5, v162
	v_fmac_f32_e32 v144, v3, v151
	v_fma_f32 v151, v2, v151, -v156
	v_fmac_f32_e32 v157, v5, v149
	v_fma_f32 v149, v4, v149, -v158
	s_clause 0x5
	buffer_load_dword v156, off, s[0:3], 0 offset:272
	buffer_load_dword v158, off, s[0:3], 0 offset:264
	;; [unrolled: 1-line block ×6, first 2 shown]
	v_add_f32_e32 v2, 0, v150
	v_add_f32_e32 v3, 0, v11
	buffer_load_dword v11, off, s[0:3], 0 offset:276
	v_add_f32_e32 v2, v2, v146
	buffer_load_dword v146, off, s[0:3], 0 offset:284
	v_add_f32_e32 v3, v3, v147
	v_add_f32_e32 v2, v2, v163
	;; [unrolled: 1-line block ×4, first 2 shown]
	s_clause 0x4
	buffer_load_dword v147, off, s[0:3], 0 offset:304
	buffer_load_dword v150, off, s[0:3], 0 offset:296
	;; [unrolled: 1-line block ×5, first 2 shown]
	v_add_f32_e32 v3, v3, v167
	v_add_f32_e32 v2, v2, v168
	;; [unrolled: 1-line block ×4, first 2 shown]
	s_waitcnt vmcnt(13) lgkmcnt(0)
	v_mul_f32_e32 v10, v118, v141
	v_mul_f32_e32 v4, v119, v141
	v_fmac_f32_e32 v10, v119, v148
	v_fma_f32 v141, v118, v148, -v4
	buffer_load_dword v148, off, s[0:3], 0 offset:300
	v_add_f32_e32 v118, v3, v152
	v_add_f32_e32 v119, v2, v153
	ds_read_b128 v[2:5], v1 offset:688
	v_mul_f32_e32 v152, v120, v159
	buffer_load_dword v153, off, s[0:3], 0 offset:316
	v_add_f32_e32 v118, v118, v154
	v_add_f32_e32 v8, v119, v8
	v_mul_f32_e32 v119, v121, v159
	v_add_f32_e32 v118, v118, v129
	v_add_f32_e32 v8, v8, v155
	buffer_load_dword v129, off, s[0:3], 0 offset:308
	v_add_f32_e32 v125, v118, v125
	v_add_f32_e32 v8, v8, v127
	;; [unrolled: 1-line block ×4, first 2 shown]
	s_waitcnt vmcnt(12)
	v_fmac_f32_e32 v152, v121, v161
	v_fma_f32 v154, v120, v161, -v119
	ds_read_b128 v[118:121], v1 offset:704
	s_waitcnt vmcnt(11) lgkmcnt(1)
	v_mul_f32_e32 v155, v3, v162
	v_mul_f32_e32 v127, v2, v162
	s_clause 0x3
	buffer_load_dword v8, off, s[0:3], 0 offset:336
	buffer_load_dword v159, off, s[0:3], 0 offset:328
	;; [unrolled: 1-line block ×4, first 2 shown]
	v_fma_f32 v125, v2, v160, -v155
	v_add_f32_e32 v2, v6, v122
	s_clause 0x1
	buffer_load_dword v6, off, s[0:3], 0 offset:324
	buffer_load_dword v155, off, s[0:3], 0 offset:332
	v_fmac_f32_e32 v127, v3, v160
	v_add_f32_e32 v3, v7, v124
	s_waitcnt vmcnt(16)
	v_mul_f32_e32 v7, v4, v170
	v_mul_f32_e32 v122, v5, v170
	v_add_f32_e32 v2, v2, v123
	buffer_load_dword v160, off, s[0:3], 0 offset:340
	v_add_f32_e32 v3, v3, v126
	v_fmac_f32_e32 v7, v5, v158
	v_fma_f32 v158, v4, v158, -v122
	v_add_f32_e32 v122, v2, v128
	s_clause 0x3
	buffer_load_dword v167, off, s[0:3], 0 offset:348
	buffer_load_dword v168, off, s[0:3], 0 offset:356
	;; [unrolled: 1-line block ×4, first 2 shown]
	v_add_f32_e32 v123, v3, v135
	ds_read_b128 v[2:5], v1 offset:720
	s_waitcnt vmcnt(19) lgkmcnt(1)
	v_mul_f32_e32 v124, v121, v146
	v_add_f32_e32 v122, v122, v131
	v_mul_f32_e32 v131, v118, v11
	v_mul_f32_e32 v11, v119, v11
	v_add_f32_e32 v123, v123, v133
	v_mul_f32_e32 v133, v120, v146
	v_add_f32_e32 v122, v122, v130
	v_fmac_f32_e32 v131, v119, v156
	v_fma_f32 v11, v118, v156, -v11
	v_add_f32_e32 v118, v123, v134
	s_clause 0x3
	buffer_load_dword v134, off, s[0:3], 0 offset:380
	buffer_load_dword v135, off, s[0:3], 0 offset:388
	;; [unrolled: 1-line block ×4, first 2 shown]
	v_add_f32_e32 v119, v122, v132
	s_waitcnt vmcnt(19)
	v_fmac_f32_e32 v133, v121, v165
	v_fma_f32 v130, v120, v165, -v124
	buffer_load_dword v165, off, s[0:3], 0 offset:412
	v_add_f32_e32 v118, v118, v136
	v_add_f32_e32 v119, v119, v137
	s_clause 0x4
	buffer_load_dword v136, off, s[0:3], 0 offset:368
	buffer_load_dword v137, off, s[0:3], 0 offset:360
	;; [unrolled: 1-line block ×5, first 2 shown]
	s_waitcnt vmcnt(24) lgkmcnt(0)
	v_mul_f32_e32 v124, v3, v166
	v_add_f32_e32 v118, v118, v143
	v_add_f32_e32 v122, v119, v139
	v_fma_f32 v132, v2, v163, -v124
	v_add_f32_e32 v123, v118, v142
	v_add_f32_e32 v122, v122, v138
	ds_read_b128 v[118:121], v1 offset:736
	v_mul_f32_e32 v138, v2, v166
	v_add_f32_e32 v123, v123, v145
	v_add_f32_e32 v2, v122, v140
	s_clause 0x3
	buffer_load_dword v139, off, s[0:3], 0 offset:400
	buffer_load_dword v140, off, s[0:3], 0 offset:392
	;; [unrolled: 1-line block ×4, first 2 shown]
	v_fmac_f32_e32 v138, v3, v163
	v_add_f32_e32 v3, v123, v144
	s_clause 0x1
	buffer_load_dword v144, off, s[0:3], 0 offset:416
	buffer_load_dword v145, off, s[0:3], 0 offset:408
	v_add_f32_e32 v2, v2, v151
	v_add_f32_e32 v3, v3, v157
	;; [unrolled: 1-line block ×3, first 2 shown]
	buffer_load_dword v149, off, s[0:3], 0 offset:56
	v_add_f32_e32 v10, v3, v10
	v_add_f32_e32 v122, v2, v141
	;; [unrolled: 1-line block ×6, first 2 shown]
	ds_read_b128 v[122:125], v1 offset:768
	v_add_f32_e32 v7, v10, v7
	v_add_f32_e32 v152, v127, v158
	;; [unrolled: 1-line block ×5, first 2 shown]
	s_waitcnt vmcnt(30)
	v_mul_f32_e32 v151, v4, v148
	v_mul_f32_e32 v3, v5, v148
	v_fmac_f32_e32 v151, v5, v150
	v_fma_f32 v141, v4, v150, -v3
	ds_read_b128 v[2:5], v1 offset:752
	s_waitcnt vmcnt(29) lgkmcnt(2)
	v_mul_f32_e32 v128, v121, v153
	v_mul_f32_e32 v150, v120, v153
	s_waitcnt vmcnt(28)
	v_mul_f32_e32 v148, v118, v129
	v_mul_f32_e32 v126, v119, v129
	v_fmac_f32_e32 v148, v119, v147
	v_fma_f32 v147, v118, v147, -v126
	s_waitcnt vmcnt(24)
	v_fma_f32 v153, v120, v162, -v128
	v_fmac_f32_e32 v150, v121, v162
	ds_read_b128 v[118:121], v1 offset:784
	ds_read_b128 v[126:129], v1 offset:800
	s_waitcnt vmcnt(23) lgkmcnt(2)
	v_mul_f32_e32 v11, v2, v6
	v_mul_f32_e32 v6, v3, v6
	s_waitcnt vmcnt(22)
	v_mul_f32_e32 v152, v4, v155
	v_mul_f32_e32 v154, v5, v155
	v_fmac_f32_e32 v11, v3, v161
	v_fma_f32 v155, v2, v161, -v6
	v_add_f32_e32 v2, v7, v133
	v_add_f32_e32 v6, v10, v132
	v_fma_f32 v10, v4, v159, -v154
	s_waitcnt vmcnt(21)
	v_mul_f32_e32 v154, v122, v160
	v_fmac_f32_e32 v152, v5, v159
	v_add_f32_e32 v138, v2, v138
	v_add_f32_e32 v141, v6, v141
	s_waitcnt vmcnt(20)
	v_mul_f32_e32 v157, v125, v167
	v_fmac_f32_e32 v154, v123, v8
	ds_read_b128 v[130:133], v1 offset:816
	ds_read_b128 v[2:5], v1 offset:832
	v_add_f32_e32 v138, v138, v151
	v_add_f32_e32 v141, v141, v147
	v_mul_f32_e32 v147, v123, v160
	v_mul_f32_e32 v151, v124, v167
	s_waitcnt vmcnt(17) lgkmcnt(2)
	v_mul_f32_e32 v158, v126, v170
	v_add_f32_e32 v138, v138, v148
	v_add_f32_e32 v141, v141, v153
	v_fma_f32 v8, v122, v8, -v147
	v_mul_f32_e32 v148, v118, v168
	v_mul_f32_e32 v153, v120, v169
	v_add_f32_e32 v138, v138, v150
	v_add_f32_e32 v141, v141, v155
	s_waitcnt vmcnt(16)
	v_mul_f32_e32 v150, v128, v134
	s_waitcnt vmcnt(8)
	v_fma_f32 v124, v124, v172, -v157
	v_fmac_f32_e32 v151, v125, v172
	v_add_f32_e32 v11, v138, v11
	v_add_f32_e32 v10, v141, v10
	v_mul_f32_e32 v141, v119, v168
	v_fmac_f32_e32 v148, v119, v171
	v_mul_f32_e32 v119, v127, v170
	v_add_f32_e32 v11, v11, v152
	v_add_f32_e32 v8, v10, v8
	v_fma_f32 v118, v118, v171, -v141
	v_fmac_f32_e32 v153, v121, v137
	v_fma_f32 v119, v126, v136, -v119
	v_add_f32_e32 v10, v11, v154
	v_mul_f32_e32 v11, v121, v169
	v_add_f32_e32 v8, v8, v124
	v_fmac_f32_e32 v158, v127, v136
	ds_read_b64 v[6:7], v1 offset:848
	v_add_f32_e32 v10, v10, v151
	v_fma_f32 v11, v120, v137, -v11
	v_add_f32_e32 v8, v8, v118
	v_mul_f32_e32 v118, v129, v134
	s_waitcnt lgkmcnt(2)
	v_mul_f32_e32 v155, v130, v135
	v_add_f32_e32 v10, v10, v148
	s_waitcnt vmcnt(3)
	v_fmac_f32_e32 v150, v129, v143
	v_add_f32_e32 v8, v8, v11
	v_mul_f32_e32 v11, v131, v135
	v_fma_f32 v118, v128, v143, -v118
	v_add_f32_e32 v10, v10, v153
	v_mul_f32_e32 v122, v132, v146
	v_add_f32_e32 v8, v8, v119
	v_mul_f32_e32 v119, v133, v146
	v_fma_f32 v11, v130, v142, -v11
	v_add_f32_e32 v10, v10, v158
	v_fmac_f32_e32 v155, v131, v142
	v_add_f32_e32 v8, v8, v118
	s_waitcnt lgkmcnt(1)
	v_mul_f32_e32 v123, v2, v156
	v_mul_f32_e32 v118, v3, v156
	v_add_f32_e32 v10, v10, v150
	v_fma_f32 v119, v132, v140, -v119
	v_add_f32_e32 v8, v8, v11
	v_fmac_f32_e32 v122, v133, v140
	v_mul_f32_e32 v11, v5, v165
	v_add_f32_e32 v10, v10, v155
	v_fmac_f32_e32 v123, v3, v139
	v_fma_f32 v2, v2, v139, -v118
	v_add_f32_e32 v3, v8, v119
	v_mul_f32_e32 v138, v4, v165
	v_add_f32_e32 v8, v10, v122
	s_waitcnt lgkmcnt(0)
	v_mul_f32_e32 v10, v7, v173
	s_waitcnt vmcnt(1)
	v_fma_f32 v4, v4, v145, -v11
	v_add_f32_e32 v2, v3, v2
	v_mul_f32_e32 v147, v6, v173
	v_fmac_f32_e32 v138, v5, v145
	v_add_f32_e32 v3, v8, v123
	v_fma_f32 v5, v6, v144, -v10
	v_add_f32_e32 v2, v2, v4
	v_fmac_f32_e32 v147, v7, v144
	v_add_f32_e32 v3, v3, v138
	v_add_f32_e32 v2, v2, v5
	;; [unrolled: 1-line block ×3, first 2 shown]
	s_waitcnt vmcnt(0)
	v_sub_f32_e32 v2, v149, v2
	v_sub_f32_e32 v3, v164, v3
	buffer_store_dword v2, off, s[0:3], 0 offset:56
	buffer_store_dword v3, off, s[0:3], 0 offset:60
	v_cmpx_lt_u32_e32 6, v0
	s_cbranch_execz .LBB116_319
; %bb.318:
	s_clause 0x1
	buffer_load_dword v2, off, s[0:3], 0 offset:48
	buffer_load_dword v3, off, s[0:3], 0 offset:52
	buffer_store_dword v1, off, s[0:3], 0 offset:48
	buffer_store_dword v1, off, s[0:3], 0 offset:52
	s_waitcnt vmcnt(0)
	ds_write_b64 v9, v[2:3]
.LBB116_319:
	s_or_b32 exec_lo, exec_lo, s4
	s_waitcnt lgkmcnt(0)
	s_waitcnt_vscnt null, 0x0
	s_barrier
	buffer_gl0_inv
	s_clause 0x2c
	buffer_load_dword v146, off, s[0:3], 0 offset:60
	buffer_load_dword v147, off, s[0:3], 0 offset:68
	;; [unrolled: 1-line block ×45, first 2 shown]
	ds_read2_b64 v[152:155], v1 offset0:61 offset1:62
	ds_read2_b64 v[156:159], v1 offset0:63 offset1:64
	buffer_load_dword v164, off, s[0:3], 0 offset:52
	s_mov_b32 s4, exec_lo
	s_waitcnt vmcnt(45) lgkmcnt(1)
	v_mul_f32_e32 v149, v152, v146
	v_mul_f32_e32 v163, v153, v146
	s_waitcnt vmcnt(44)
	v_mul_f32_e32 v146, v154, v147
	v_mul_f32_e32 v147, v155, v147
	s_waitcnt vmcnt(41)
	v_fmac_f32_e32 v149, v153, v11
	v_fma_f32 v11, v152, v11, -v163
	v_fmac_f32_e32 v146, v155, v7
	v_fma_f32 v147, v154, v7, -v147
	ds_read2_b64 v[152:155], v1 offset0:65 offset1:66
	s_waitcnt vmcnt(40) lgkmcnt(1)
	v_mul_f32_e32 v163, v156, v4
	s_waitcnt vmcnt(39)
	v_mul_f32_e32 v165, v158, v5
	v_mul_f32_e32 v4, v157, v4
	;; [unrolled: 1-line block ×3, first 2 shown]
	v_fmac_f32_e32 v163, v157, v2
	s_waitcnt vmcnt(35)
	v_fmac_f32_e32 v165, v159, v120
	v_fma_f32 v166, v156, v2, -v4
	v_fma_f32 v167, v158, v120, -v5
	ds_read2_b64 v[156:159], v1 offset0:67 offset1:68
	s_waitcnt vmcnt(34) lgkmcnt(1)
	v_mul_f32_e32 v168, v152, v119
	v_mul_f32_e32 v2, v153, v119
	s_waitcnt vmcnt(33)
	v_mul_f32_e32 v169, v154, v118
	v_mul_f32_e32 v4, v155, v118
	v_fmac_f32_e32 v168, v153, v10
	v_fma_f32 v10, v152, v10, -v2
	v_fmac_f32_e32 v169, v155, v6
	v_fma_f32 v152, v154, v6, -v4
	ds_read2_b64 v[4:7], v1 offset0:69 offset1:70
	s_waitcnt vmcnt(32) lgkmcnt(1)
	v_mul_f32_e32 v153, v156, v8
	v_mul_f32_e32 v2, v157, v8
	s_waitcnt vmcnt(31)
	v_mul_f32_e32 v8, v158, v121
	v_mul_f32_e32 v118, v159, v121
	v_fmac_f32_e32 v153, v157, v3
	v_fma_f32 v154, v156, v3, -v2
	s_waitcnt vmcnt(27)
	v_fmac_f32_e32 v8, v159, v129
	v_fma_f32 v129, v158, v129, -v118
	ds_read2_b64 v[118:121], v1 offset0:71 offset1:72
	buffer_load_dword v159, off, s[0:3], 0 offset:244
	s_waitcnt vmcnt(27) lgkmcnt(1)
	v_mul_f32_e32 v155, v4, v127
	v_mul_f32_e32 v2, v5, v127
	s_waitcnt vmcnt(26)
	v_mul_f32_e32 v3, v7, v126
	v_mul_f32_e32 v127, v6, v126
	v_fmac_f32_e32 v155, v5, v125
	v_fma_f32 v125, v4, v125, -v2
	v_fma_f32 v6, v6, v123, -v3
	ds_read2_b64 v[2:5], v1 offset0:73 offset1:74
	v_fmac_f32_e32 v127, v7, v123
	s_waitcnt vmcnt(25) lgkmcnt(1)
	v_mul_f32_e32 v7, v118, v124
	v_mul_f32_e32 v123, v119, v124
	s_waitcnt vmcnt(24)
	v_mul_f32_e32 v124, v120, v128
	v_mul_f32_e32 v126, v121, v128
	v_fmac_f32_e32 v7, v119, v122
	v_fma_f32 v122, v118, v122, -v123
	s_waitcnt vmcnt(20)
	v_fmac_f32_e32 v124, v121, v137
	v_fma_f32 v123, v120, v137, -v126
	ds_read2_b64 v[118:121], v1 offset0:75 offset1:76
	s_waitcnt vmcnt(19) lgkmcnt(1)
	v_mul_f32_e32 v126, v2, v135
	v_mul_f32_e32 v128, v3, v135
	s_waitcnt vmcnt(18)
	v_mul_f32_e32 v135, v4, v134
	v_mul_f32_e32 v134, v5, v134
	v_fmac_f32_e32 v126, v3, v133
	v_fma_f32 v128, v2, v133, -v128
	v_fmac_f32_e32 v135, v5, v131
	v_fma_f32 v131, v4, v131, -v134
	ds_read2_b64 v[2:5], v1 offset0:77 offset1:78
	s_waitcnt vmcnt(17) lgkmcnt(1)
	v_mul_f32_e32 v133, v118, v132
	v_mul_f32_e32 v132, v119, v132
	s_waitcnt vmcnt(16)
	v_mul_f32_e32 v134, v120, v136
	v_mul_f32_e32 v136, v121, v136
	v_fmac_f32_e32 v133, v119, v130
	v_fma_f32 v130, v118, v130, -v132
	s_waitcnt vmcnt(12)
	v_fmac_f32_e32 v134, v121, v145
	v_fma_f32 v132, v120, v145, -v136
	ds_read2_b64 v[118:121], v1 offset0:79 offset1:80
	buffer_load_dword v145, off, s[0:3], 0 offset:236
	s_waitcnt vmcnt(12) lgkmcnt(1)
	v_mul_f32_e32 v136, v2, v143
	v_mul_f32_e32 v137, v3, v143
	s_waitcnt vmcnt(11)
	v_mul_f32_e32 v143, v4, v142
	v_mul_f32_e32 v142, v5, v142
	v_fmac_f32_e32 v136, v3, v141
	v_fma_f32 v137, v2, v141, -v137
	v_fmac_f32_e32 v143, v5, v139
	v_fma_f32 v139, v4, v139, -v142
	ds_read2_b64 v[2:5], v1 offset0:81 offset1:82
	s_waitcnt vmcnt(10) lgkmcnt(1)
	v_mul_f32_e32 v141, v118, v140
	v_mul_f32_e32 v140, v119, v140
	s_waitcnt vmcnt(9)
	v_mul_f32_e32 v142, v120, v144
	v_mul_f32_e32 v144, v121, v144
	v_fmac_f32_e32 v141, v119, v138
	v_fma_f32 v138, v118, v138, -v140
	s_waitcnt vmcnt(5)
	v_fmac_f32_e32 v142, v121, v160
	v_fma_f32 v140, v120, v160, -v144
	ds_read2_b64 v[118:121], v1 offset0:83 offset1:84
	s_waitcnt vmcnt(4) lgkmcnt(1)
	v_mul_f32_e32 v144, v2, v161
	v_mul_f32_e32 v156, v3, v161
	s_waitcnt vmcnt(3)
	v_mul_f32_e32 v157, v4, v162
	v_mul_f32_e32 v158, v5, v162
	v_fmac_f32_e32 v144, v3, v151
	v_fma_f32 v151, v2, v151, -v156
	v_fmac_f32_e32 v157, v5, v150
	v_fma_f32 v150, v4, v150, -v158
	s_clause 0x5
	buffer_load_dword v156, off, s[0:3], 0 offset:264
	buffer_load_dword v158, off, s[0:3], 0 offset:256
	;; [unrolled: 1-line block ×6, first 2 shown]
	v_add_f32_e32 v2, 0, v149
	v_add_f32_e32 v3, 0, v11
	buffer_load_dword v11, off, s[0:3], 0 offset:276
	v_add_f32_e32 v2, v2, v146
	buffer_load_dword v146, off, s[0:3], 0 offset:268
	v_add_f32_e32 v3, v3, v147
	v_add_f32_e32 v2, v2, v163
	;; [unrolled: 1-line block ×4, first 2 shown]
	s_clause 0x4
	buffer_load_dword v147, off, s[0:3], 0 offset:296
	buffer_load_dword v149, off, s[0:3], 0 offset:288
	;; [unrolled: 1-line block ×5, first 2 shown]
	v_add_f32_e32 v3, v3, v167
	v_add_f32_e32 v2, v2, v168
	;; [unrolled: 1-line block ×3, first 2 shown]
	s_clause 0x1
	buffer_load_dword v10, off, s[0:3], 0 offset:292
	buffer_load_dword v167, off, s[0:3], 0 offset:300
	v_add_f32_e32 v2, v2, v169
	v_add_f32_e32 v3, v3, v152
	;; [unrolled: 1-line block ×10, first 2 shown]
	s_waitcnt vmcnt(16) lgkmcnt(0)
	v_mul_f32_e32 v153, v121, v159
	s_waitcnt vmcnt(15)
	v_mul_f32_e32 v152, v118, v145
	v_mul_f32_e32 v4, v119, v145
	v_mul_f32_e32 v145, v120, v159
	v_fmac_f32_e32 v152, v119, v148
	v_fma_f32 v148, v118, v148, -v4
	v_add_f32_e32 v118, v3, v129
	ds_read2_b64 v[2:5], v1 offset0:85 offset1:86
	v_add_f32_e32 v118, v118, v125
	v_add_f32_e32 v6, v118, v6
	;; [unrolled: 1-line block ×6, first 2 shown]
	s_waitcnt vmcnt(11)
	v_fmac_f32_e32 v145, v121, v161
	v_fma_f32 v129, v120, v161, -v153
	s_clause 0x7
	buffer_load_dword v153, off, s[0:3], 0 offset:308
	buffer_load_dword v154, off, s[0:3], 0 offset:328
	;; [unrolled: 1-line block ×8, first 2 shown]
	ds_read2_b64 v[118:121], v1 offset0:87 offset1:88
	s_waitcnt vmcnt(18) lgkmcnt(1)
	v_mul_f32_e32 v122, v2, v162
	v_mul_f32_e32 v123, v3, v162
	s_waitcnt vmcnt(17)
	v_mul_f32_e32 v126, v4, v170
	v_mul_f32_e32 v124, v5, v170
	v_fmac_f32_e32 v122, v3, v160
	v_add_f32_e32 v3, v7, v135
	v_fma_f32 v7, v2, v160, -v123
	v_fmac_f32_e32 v126, v5, v158
	v_fma_f32 v127, v4, v158, -v124
	v_add_f32_e32 v2, v3, v133
	v_add_f32_e32 v3, v6, v130
	s_clause 0x7
	buffer_load_dword v6, off, s[0:3], 0 offset:340
	buffer_load_dword v158, off, s[0:3], 0 offset:348
	;; [unrolled: 1-line block ×8, first 2 shown]
	v_add_f32_e32 v2, v2, v134
	v_add_f32_e32 v3, v3, v132
	s_waitcnt vmcnt(23) lgkmcnt(0)
	v_mul_f32_e32 v4, v119, v146
	v_mul_f32_e32 v128, v118, v146
	v_add_f32_e32 v2, v2, v136
	v_mul_f32_e32 v131, v120, v11
	s_clause 0x3
	buffer_load_dword v146, off, s[0:3], 0 offset:372
	buffer_load_dword v174, off, s[0:3], 0 offset:380
	;; [unrolled: 1-line block ×4, first 2 shown]
	v_fma_f32 v130, v118, v156, -v4
	v_add_f32_e32 v118, v3, v137
	v_mul_f32_e32 v3, v121, v11
	v_add_f32_e32 v11, v2, v143
	v_fmac_f32_e32 v128, v119, v156
	s_clause 0x1
	buffer_load_dword v156, off, s[0:3], 0 offset:404
	buffer_load_dword v177, off, s[0:3], 0 offset:412
	v_add_f32_e32 v118, v118, v139
	s_waitcnt vmcnt(25)
	v_fma_f32 v132, v120, v165, -v3
	ds_read2_b64 v[2:5], v1 offset0:89 offset1:90
	v_add_f32_e32 v11, v11, v141
	buffer_load_dword v143, off, s[0:3], 0 offset:420
	v_add_f32_e32 v118, v118, v138
	v_fmac_f32_e32 v131, v121, v165
	v_add_f32_e32 v11, v11, v142
	s_clause 0x3
	buffer_load_dword v138, off, s[0:3], 0 offset:392
	buffer_load_dword v139, off, s[0:3], 0 offset:384
	;; [unrolled: 1-line block ×4, first 2 shown]
	v_add_f32_e32 v118, v118, v140
	v_add_f32_e32 v11, v11, v144
	;; [unrolled: 1-line block ×3, first 2 shown]
	ds_read2_b64 v[118:121], v1 offset0:91 offset1:92
	v_add_f32_e32 v11, v11, v157
	s_waitcnt vmcnt(29) lgkmcnt(1)
	v_mul_f32_e32 v133, v2, v166
	v_mul_f32_e32 v124, v3, v166
	s_waitcnt vmcnt(28)
	v_mul_f32_e32 v135, v4, v10
	v_mul_f32_e32 v10, v5, v10
	v_fmac_f32_e32 v133, v3, v163
	v_add_f32_e32 v3, v11, v152
	s_clause 0x2
	buffer_load_dword v11, off, s[0:3], 0 offset:416
	buffer_load_dword v140, off, s[0:3], 0 offset:408
	;; [unrolled: 1-line block ×3, first 2 shown]
	v_fma_f32 v134, v2, v163, -v124
	v_add_f32_e32 v2, v123, v150
	v_fmac_f32_e32 v135, v5, v149
	v_add_f32_e32 v3, v3, v145
	v_fma_f32 v10, v4, v149, -v10
	v_add_f32_e32 v2, v2, v148
	buffer_load_dword v148, off, s[0:3], 0 offset:48
	s_waitcnt vmcnt(31) lgkmcnt(0)
	v_mul_f32_e32 v136, v118, v167
	v_add_f32_e32 v123, v2, v129
	v_add_f32_e32 v129, v3, v122
	ds_read2_b64 v[2:5], v1 offset0:93 offset1:94
	v_fmac_f32_e32 v136, v119, v147
	v_add_f32_e32 v7, v123, v7
	ds_read2_b64 v[122:125], v1 offset0:95 offset1:96
	v_add_f32_e32 v126, v129, v126
	v_mul_f32_e32 v129, v119, v167
	v_add_f32_e32 v7, v7, v127
	v_add_f32_e32 v137, v126, v128
	v_fma_f32 v147, v118, v147, -v129
	v_add_f32_e32 v7, v7, v130
	v_add_f32_e32 v130, v137, v131
	;; [unrolled: 1-line block ×7, first 2 shown]
	s_waitcnt vmcnt(30)
	v_mul_f32_e32 v145, v120, v153
	v_mul_f32_e32 v127, v121, v153
	s_waitcnt vmcnt(25) lgkmcnt(1)
	v_mul_f32_e32 v150, v2, v8
	s_waitcnt vmcnt(24)
	v_mul_f32_e32 v151, v4, v168
	v_mul_f32_e32 v8, v3, v8
	;; [unrolled: 1-line block ×3, first 2 shown]
	s_waitcnt vmcnt(23) lgkmcnt(0)
	v_mul_f32_e32 v137, v123, v169
	v_fmac_f32_e32 v145, v121, v161
	v_fma_f32 v149, v120, v161, -v127
	ds_read2_b64 v[118:121], v1 offset0:97 offset1:98
	ds_read2_b64 v[126:129], v1 offset0:99 offset1:100
	v_mul_f32_e32 v152, v122, v169
	v_fmac_f32_e32 v150, v3, v159
	v_fmac_f32_e32 v151, v5, v155
	v_fma_f32 v8, v2, v159, -v8
	v_fma_f32 v153, v4, v155, -v131
	ds_read2_b64 v[2:5], v1 offset0:101 offset1:102
	ds_read2_b64 v[130:133], v1 offset0:103 offset1:104
	v_fma_f32 v10, v122, v154, -v137
	v_add_f32_e32 v122, v134, v136
	ds_read2_b64 v[134:137], v1 offset0:105 offset1:106
	v_add_f32_e32 v1, v7, v147
	s_waitcnt vmcnt(22)
	v_mul_f32_e32 v7, v124, v6
	v_mul_f32_e32 v6, v125, v6
	v_add_f32_e32 v122, v122, v145
	v_fmac_f32_e32 v152, v123, v154
	v_add_f32_e32 v1, v1, v149
	s_waitcnt vmcnt(15)
	v_fmac_f32_e32 v7, v125, v173
	v_fma_f32 v6, v124, v173, -v6
	s_waitcnt lgkmcnt(4)
	v_mul_f32_e32 v147, v119, v158
	v_add_f32_e32 v1, v1, v8
	v_add_f32_e32 v8, v122, v150
	v_mul_f32_e32 v123, v118, v158
	v_mul_f32_e32 v145, v120, v160
	v_fma_f32 v118, v118, v172, -v147
	v_add_f32_e32 v1, v1, v153
	v_add_f32_e32 v8, v8, v151
	v_mul_f32_e32 v151, v121, v160
	v_fmac_f32_e32 v123, v119, v172
	s_waitcnt lgkmcnt(3)
	v_mul_f32_e32 v124, v126, v162
	v_add_f32_e32 v1, v1, v10
	v_add_f32_e32 v8, v8, v152
	v_fmac_f32_e32 v145, v121, v171
	s_waitcnt vmcnt(14)
	v_mul_f32_e32 v125, v128, v146
	v_fmac_f32_e32 v124, v127, v170
	v_add_f32_e32 v1, v1, v6
	v_add_f32_e32 v6, v8, v7
	v_mul_f32_e32 v7, v127, v162
	v_fma_f32 v8, v120, v171, -v151
	s_waitcnt vmcnt(13) lgkmcnt(2)
	v_mul_f32_e32 v122, v2, v174
	v_add_f32_e32 v1, v1, v118
	v_add_f32_e32 v6, v6, v123
	v_mul_f32_e32 v118, v129, v146
	v_fma_f32 v7, v126, v170, -v7
	s_waitcnt vmcnt(4)
	v_fmac_f32_e32 v125, v129, v142
	v_add_f32_e32 v1, v1, v8
	v_add_f32_e32 v6, v6, v145
	v_mul_f32_e32 v8, v3, v174
	v_fma_f32 v118, v128, v142, -v118
	v_mul_f32_e32 v149, v4, v175
	v_add_f32_e32 v1, v1, v7
	v_add_f32_e32 v6, v6, v124
	v_mul_f32_e32 v7, v5, v175
	v_fma_f32 v2, v2, v141, -v8
	v_fmac_f32_e32 v122, v3, v141
	v_add_f32_e32 v1, v1, v118
	v_add_f32_e32 v3, v6, v125
	s_waitcnt lgkmcnt(1)
	v_mul_f32_e32 v6, v131, v176
	v_fma_f32 v4, v4, v139, -v7
	v_mul_f32_e32 v150, v130, v176
	v_add_f32_e32 v1, v1, v2
	v_fmac_f32_e32 v149, v5, v139
	v_add_f32_e32 v2, v3, v122
	v_mul_f32_e32 v3, v133, v156
	v_fma_f32 v5, v130, v138, -v6
	v_add_f32_e32 v1, v1, v4
	v_mul_f32_e32 v153, v132, v156
	v_fmac_f32_e32 v150, v131, v138
	v_add_f32_e32 v2, v2, v149
	s_waitcnt lgkmcnt(0)
	v_mul_f32_e32 v4, v135, v177
	s_waitcnt vmcnt(1)
	v_fma_f32 v3, v132, v144, -v3
	v_add_f32_e32 v1, v1, v5
	v_mul_f32_e32 v154, v134, v177
	v_fmac_f32_e32 v153, v133, v144
	v_add_f32_e32 v2, v2, v150
	v_mul_f32_e32 v5, v137, v143
	v_fma_f32 v4, v134, v140, -v4
	v_add_f32_e32 v1, v1, v3
	v_mul_f32_e32 v10, v136, v143
	v_fmac_f32_e32 v154, v135, v140
	v_add_f32_e32 v2, v2, v153
	v_fma_f32 v3, v136, v11, -v5
	v_add_f32_e32 v1, v1, v4
	v_fmac_f32_e32 v10, v137, v11
	v_add_f32_e32 v2, v2, v154
	v_add_f32_e32 v1, v1, v3
	v_add_f32_e32 v2, v2, v10
	s_waitcnt vmcnt(0)
	v_sub_f32_e32 v1, v148, v1
	v_sub_f32_e32 v2, v164, v2
	buffer_store_dword v1, off, s[0:3], 0 offset:48
	buffer_store_dword v2, off, s[0:3], 0 offset:52
	v_cmpx_lt_u32_e32 5, v0
	s_cbranch_execz .LBB116_321
; %bb.320:
	s_clause 0x1
	buffer_load_dword v1, off, s[0:3], 0 offset:40
	buffer_load_dword v2, off, s[0:3], 0 offset:44
	v_mov_b32_e32 v3, 0
	buffer_store_dword v3, off, s[0:3], 0 offset:40
	buffer_store_dword v3, off, s[0:3], 0 offset:44
	s_waitcnt vmcnt(0)
	ds_write_b64 v9, v[1:2]
.LBB116_321:
	s_or_b32 exec_lo, exec_lo, s4
	s_waitcnt lgkmcnt(0)
	s_waitcnt_vscnt null, 0x0
	s_barrier
	buffer_gl0_inv
	s_clause 0x2c
	buffer_load_dword v146, off, s[0:3], 0 offset:52
	buffer_load_dword v147, off, s[0:3], 0 offset:60
	;; [unrolled: 1-line block ×45, first 2 shown]
	v_mov_b32_e32 v1, 0
	ds_read_b128 v[155:158], v1 offset:480
	ds_read_b128 v[159:162], v1 offset:496
	buffer_load_dword v164, off, s[0:3], 0 offset:44
	s_mov_b32 s4, exec_lo
	s_waitcnt vmcnt(45) lgkmcnt(1)
	v_mul_f32_e32 v148, v155, v146
	v_mul_f32_e32 v163, v156, v146
	s_waitcnt vmcnt(44)
	v_mul_f32_e32 v146, v157, v147
	v_mul_f32_e32 v147, v158, v147
	s_waitcnt vmcnt(41)
	v_fmac_f32_e32 v148, v156, v11
	v_fma_f32 v11, v155, v11, -v163
	v_fmac_f32_e32 v146, v158, v7
	v_fma_f32 v147, v157, v7, -v147
	ds_read_b128 v[155:158], v1 offset:512
	s_waitcnt vmcnt(40) lgkmcnt(1)
	v_mul_f32_e32 v163, v159, v4
	s_waitcnt vmcnt(39)
	v_mul_f32_e32 v165, v161, v5
	v_mul_f32_e32 v4, v160, v4
	;; [unrolled: 1-line block ×3, first 2 shown]
	v_fmac_f32_e32 v163, v160, v2
	s_waitcnt vmcnt(35)
	v_fmac_f32_e32 v165, v162, v120
	v_fma_f32 v166, v159, v2, -v4
	v_fma_f32 v167, v161, v120, -v5
	ds_read_b128 v[159:162], v1 offset:528
	s_waitcnt vmcnt(34) lgkmcnt(1)
	v_mul_f32_e32 v168, v155, v119
	v_mul_f32_e32 v2, v156, v119
	s_waitcnt vmcnt(33)
	v_mul_f32_e32 v169, v157, v118
	v_mul_f32_e32 v4, v158, v118
	v_fmac_f32_e32 v168, v156, v10
	v_fma_f32 v10, v155, v10, -v2
	v_fmac_f32_e32 v169, v158, v6
	v_fma_f32 v155, v157, v6, -v4
	ds_read_b128 v[4:7], v1 offset:544
	s_waitcnt vmcnt(32) lgkmcnt(1)
	v_mul_f32_e32 v156, v159, v8
	v_mul_f32_e32 v2, v160, v8
	s_waitcnt vmcnt(31)
	v_mul_f32_e32 v8, v161, v121
	v_mul_f32_e32 v118, v162, v121
	v_fmac_f32_e32 v156, v160, v3
	v_fma_f32 v157, v159, v3, -v2
	s_waitcnt vmcnt(27)
	v_fmac_f32_e32 v8, v162, v129
	v_fma_f32 v129, v161, v129, -v118
	ds_read_b128 v[118:121], v1 offset:560
	buffer_load_dword v159, off, s[0:3], 0 offset:236
	s_waitcnt vmcnt(27) lgkmcnt(1)
	v_mul_f32_e32 v158, v4, v127
	v_mul_f32_e32 v2, v5, v127
	s_waitcnt vmcnt(26)
	v_mul_f32_e32 v3, v7, v126
	v_mul_f32_e32 v127, v6, v126
	v_fmac_f32_e32 v158, v5, v125
	v_fma_f32 v125, v4, v125, -v2
	v_fma_f32 v6, v6, v123, -v3
	ds_read_b128 v[2:5], v1 offset:576
	v_fmac_f32_e32 v127, v7, v123
	s_waitcnt vmcnt(25) lgkmcnt(1)
	v_mul_f32_e32 v7, v118, v124
	v_mul_f32_e32 v123, v119, v124
	s_waitcnt vmcnt(24)
	v_mul_f32_e32 v124, v120, v128
	v_mul_f32_e32 v126, v121, v128
	v_fmac_f32_e32 v7, v119, v122
	v_fma_f32 v122, v118, v122, -v123
	s_waitcnt vmcnt(20)
	v_fmac_f32_e32 v124, v121, v137
	v_fma_f32 v123, v120, v137, -v126
	ds_read_b128 v[118:121], v1 offset:592
	s_waitcnt vmcnt(19) lgkmcnt(1)
	v_mul_f32_e32 v126, v2, v135
	v_mul_f32_e32 v128, v3, v135
	s_waitcnt vmcnt(18)
	v_mul_f32_e32 v135, v4, v134
	v_mul_f32_e32 v134, v5, v134
	v_fmac_f32_e32 v126, v3, v133
	v_fma_f32 v128, v2, v133, -v128
	v_fmac_f32_e32 v135, v5, v131
	v_fma_f32 v131, v4, v131, -v134
	ds_read_b128 v[2:5], v1 offset:608
	s_waitcnt vmcnt(17) lgkmcnt(1)
	v_mul_f32_e32 v133, v118, v132
	v_mul_f32_e32 v132, v119, v132
	s_waitcnt vmcnt(16)
	v_mul_f32_e32 v134, v120, v136
	v_mul_f32_e32 v136, v121, v136
	v_fmac_f32_e32 v133, v119, v130
	v_fma_f32 v130, v118, v130, -v132
	s_waitcnt vmcnt(12)
	v_fmac_f32_e32 v134, v121, v144
	v_fma_f32 v132, v120, v144, -v136
	ds_read_b128 v[118:121], v1 offset:624
	s_waitcnt vmcnt(11) lgkmcnt(1)
	v_mul_f32_e32 v136, v2, v143
	v_mul_f32_e32 v137, v3, v143
	s_waitcnt vmcnt(10)
	v_mul_f32_e32 v143, v4, v142
	v_mul_f32_e32 v142, v5, v142
	v_fmac_f32_e32 v136, v3, v141
	v_fma_f32 v137, v2, v141, -v137
	v_fmac_f32_e32 v143, v5, v139
	v_fma_f32 v139, v4, v139, -v142
	ds_read_b128 v[2:5], v1 offset:640
	s_waitcnt vmcnt(8) lgkmcnt(1)
	v_mul_f32_e32 v142, v120, v145
	v_mul_f32_e32 v144, v121, v145
	buffer_load_dword v145, off, s[0:3], 0 offset:228
	v_mul_f32_e32 v141, v118, v140
	v_mul_f32_e32 v140, v119, v140
	s_waitcnt vmcnt(5)
	v_fmac_f32_e32 v142, v121, v154
	v_fmac_f32_e32 v141, v119, v138
	v_fma_f32 v138, v118, v138, -v140
	v_fma_f32 v140, v120, v154, -v144
	ds_read_b128 v[118:121], v1 offset:656
	s_waitcnt vmcnt(4) lgkmcnt(1)
	v_mul_f32_e32 v144, v2, v153
	v_mul_f32_e32 v153, v3, v153
	s_waitcnt vmcnt(3)
	v_mul_f32_e32 v154, v4, v152
	v_mul_f32_e32 v152, v5, v152
	v_fmac_f32_e32 v144, v3, v151
	v_fma_f32 v151, v2, v151, -v153
	v_fmac_f32_e32 v154, v5, v150
	v_fma_f32 v150, v4, v150, -v152
	s_clause 0x4
	buffer_load_dword v152, off, s[0:3], 0 offset:256
	buffer_load_dword v153, off, s[0:3], 0 offset:248
	buffer_load_dword v160, off, s[0:3], 0 offset:240
	buffer_load_dword v2, off, s[0:3], 0 offset:232
	buffer_load_dword v161, off, s[0:3], 0 offset:244
	s_waitcnt vmcnt(5) lgkmcnt(0)
	v_mul_f32_e32 v162, v118, v145
	v_mul_f32_e32 v3, v119, v145
	v_fmac_f32_e32 v162, v119, v149
	v_fma_f32 v145, v118, v149, -v3
	v_mul_f32_e32 v149, v120, v159
	v_mul_f32_e32 v3, v121, v159
	s_waitcnt vmcnt(1)
	v_fmac_f32_e32 v149, v121, v2
	v_fma_f32 v159, v120, v2, -v3
	ds_read_b128 v[2:5], v1 offset:672
	ds_read_b128 v[118:121], v1 offset:688
	s_waitcnt vmcnt(0) lgkmcnt(1)
	v_mul_f32_e32 v170, v2, v161
	v_mul_f32_e32 v161, v3, v161
	v_fmac_f32_e32 v170, v3, v160
	v_fma_f32 v160, v2, v160, -v161
	buffer_load_dword v2, off, s[0:3], 0 offset:252
	s_waitcnt vmcnt(0)
	v_mul_f32_e32 v161, v4, v2
	v_mul_f32_e32 v2, v5, v2
	v_fmac_f32_e32 v161, v5, v153
	v_fma_f32 v153, v4, v153, -v2
	buffer_load_dword v2, off, s[0:3], 0 offset:260
	s_waitcnt vmcnt(0) lgkmcnt(0)
	v_mul_f32_e32 v171, v118, v2
	v_mul_f32_e32 v2, v119, v2
	v_fmac_f32_e32 v171, v119, v152
	v_fma_f32 v152, v118, v152, -v2
	s_clause 0x5
	buffer_load_dword v2, off, s[0:3], 0 offset:268
	buffer_load_dword v172, off, s[0:3], 0 offset:288
	;; [unrolled: 1-line block ×6, first 2 shown]
	s_waitcnt vmcnt(5)
	v_mul_f32_e32 v175, v120, v2
	v_mul_f32_e32 v2, v121, v2
	s_waitcnt vmcnt(1)
	v_fmac_f32_e32 v175, v121, v3
	v_fma_f32 v176, v120, v3, -v2
	ds_read_b128 v[2:5], v1 offset:704
	ds_read_b128 v[118:121], v1 offset:720
	s_waitcnt vmcnt(0) lgkmcnt(1)
	v_mul_f32_e32 v178, v2, v177
	v_mul_f32_e32 v177, v3, v177
	v_fmac_f32_e32 v178, v3, v174
	v_fma_f32 v174, v2, v174, -v177
	buffer_load_dword v2, off, s[0:3], 0 offset:284
	s_waitcnt vmcnt(0)
	v_mul_f32_e32 v177, v4, v2
	v_mul_f32_e32 v2, v5, v2
	v_fmac_f32_e32 v177, v5, v173
	v_fma_f32 v173, v4, v173, -v2
	buffer_load_dword v2, off, s[0:3], 0 offset:292
	s_waitcnt vmcnt(0) lgkmcnt(0)
	v_mul_f32_e32 v179, v118, v2
	v_mul_f32_e32 v2, v119, v2
	v_fmac_f32_e32 v179, v119, v172
	v_fma_f32 v172, v118, v172, -v2
	s_clause 0x4
	buffer_load_dword v2, off, s[0:3], 0 offset:300
	buffer_load_dword v180, off, s[0:3], 0 offset:320
	;; [unrolled: 1-line block ×5, first 2 shown]
	s_waitcnt vmcnt(4)
	v_mul_f32_e32 v183, v120, v2
	v_mul_f32_e32 v2, v121, v2
	s_waitcnt vmcnt(0)
	v_fmac_f32_e32 v183, v121, v3
	v_fma_f32 v184, v120, v3, -v2
	v_add_f32_e32 v2, 0, v148
	v_add_f32_e32 v3, 0, v11
	buffer_load_dword v11, off, s[0:3], 0 offset:316
	v_add_f32_e32 v2, v2, v146
	v_add_f32_e32 v3, v3, v147
	buffer_load_dword v146, off, s[0:3], 0 offset:332
	v_add_f32_e32 v2, v2, v163
	v_add_f32_e32 v3, v3, v166
	v_add_f32_e32 v2, v2, v165
	v_add_f32_e32 v3, v3, v167
	v_add_f32_e32 v2, v2, v168
	v_add_f32_e32 v3, v3, v10
	buffer_load_dword v10, off, s[0:3], 0 offset:308
	v_add_f32_e32 v2, v2, v169
	v_add_f32_e32 v3, v3, v155
	v_add_f32_e32 v2, v2, v156
	v_add_f32_e32 v3, v3, v157
	;; [unrolled: 7-line block ×3, first 2 shown]
	s_clause 0x6
	buffer_load_dword v147, off, s[0:3], 0 offset:352
	buffer_load_dword v148, off, s[0:3], 0 offset:344
	;; [unrolled: 1-line block ×7, first 2 shown]
	v_add_f32_e32 v2, v2, v7
	v_add_f32_e32 v3, v3, v122
	;; [unrolled: 1-line block ×8, first 2 shown]
	s_clause 0x5
	buffer_load_dword v135, off, s[0:3], 0 offset:364
	buffer_load_dword v163, off, s[0:3], 0 offset:372
	;; [unrolled: 1-line block ×6, first 2 shown]
	v_add_f32_e32 v2, v2, v133
	v_add_f32_e32 v3, v3, v130
	;; [unrolled: 1-line block ×4, first 2 shown]
	s_clause 0x1
	buffer_load_dword v134, off, s[0:3], 0 offset:412
	buffer_load_dword v169, off, s[0:3], 0 offset:420
	v_add_f32_e32 v2, v2, v136
	v_add_f32_e32 v3, v3, v137
	;; [unrolled: 1-line block ×3, first 2 shown]
	s_clause 0x3
	buffer_load_dword v136, off, s[0:3], 0 offset:384
	buffer_load_dword v137, off, s[0:3], 0 offset:376
	;; [unrolled: 1-line block ×4, first 2 shown]
	v_add_f32_e32 v3, v3, v139
	v_add_f32_e32 v2, v2, v141
	;; [unrolled: 1-line block ×4, first 2 shown]
	s_clause 0x3
	buffer_load_dword v138, off, s[0:3], 0 offset:416
	buffer_load_dword v139, off, s[0:3], 0 offset:408
	buffer_load_dword v141, off, s[0:3], 0 offset:400
	buffer_load_dword v142, off, s[0:3], 0 offset:392
	v_add_f32_e32 v3, v3, v140
	buffer_load_dword v140, off, s[0:3], 0 offset:40
	v_add_f32_e32 v2, v2, v144
	v_add_f32_e32 v3, v3, v151
	;; [unrolled: 1-line block ×4, first 2 shown]
	ds_read_b128 v[2:5], v1 offset:736
	v_add_f32_e32 v7, v7, v162
	v_add_f32_e32 v118, v118, v145
	;; [unrolled: 1-line block ×6, first 2 shown]
	ds_read_b128 v[118:121], v1 offset:752
	v_add_f32_e32 v7, v7, v161
	v_add_f32_e32 v122, v122, v153
	;; [unrolled: 1-line block ×8, first 2 shown]
	s_waitcnt vmcnt(27) lgkmcnt(1)
	v_mul_f32_e32 v145, v4, v11
	v_mul_f32_e32 v11, v5, v11
	v_fmac_f32_e32 v145, v5, v181
	v_fma_f32 v11, v4, v181, -v11
	s_waitcnt vmcnt(26) lgkmcnt(0)
	v_mul_f32_e32 v150, v120, v146
	v_mul_f32_e32 v146, v121, v146
	s_waitcnt vmcnt(25)
	v_mul_f32_e32 v144, v2, v10
	v_mul_f32_e32 v10, v3, v10
	v_fmac_f32_e32 v144, v3, v182
	v_add_f32_e32 v3, v122, v152
	v_fma_f32 v10, v2, v182, -v10
	v_add_f32_e32 v144, v151, v144
	v_add_f32_e32 v130, v3, v176
	ds_read_b128 v[2:5], v1 offset:768
	ds_read_b128 v[122:125], v1 offset:784
	;; [unrolled: 1-line block ×3, first 2 shown]
	s_waitcnt vmcnt(24)
	v_mul_f32_e32 v149, v118, v8
	v_add_f32_e32 v130, v130, v174
	v_mul_f32_e32 v8, v119, v8
	v_add_f32_e32 v144, v144, v145
	v_fmac_f32_e32 v149, v119, v180
	v_add_f32_e32 v130, v130, v173
	v_fma_f32 v8, v118, v180, -v8
	s_waitcnt vmcnt(20)
	v_fma_f32 v146, v120, v6, -v146
	v_add_f32_e32 v118, v130, v172
	v_fmac_f32_e32 v150, v121, v6
	v_add_f32_e32 v144, v144, v149
	ds_read_b128 v[130:133], v1 offset:816
	v_add_f32_e32 v152, v118, v184
	s_waitcnt vmcnt(19) lgkmcnt(3)
	v_mul_f32_e32 v153, v2, v156
	s_waitcnt vmcnt(18)
	v_mul_f32_e32 v154, v4, v157
	v_add_f32_e32 v144, v144, v150
	s_waitcnt vmcnt(17) lgkmcnt(2)
	v_mul_f32_e32 v151, v122, v158
	v_add_f32_e32 v10, v152, v10
	v_mul_f32_e32 v152, v3, v156
	v_mul_f32_e32 v156, v5, v157
	v_fmac_f32_e32 v153, v3, v155
	v_fmac_f32_e32 v154, v5, v148
	v_add_f32_e32 v10, v10, v11
	v_fma_f32 v2, v2, v155, -v152
	v_mul_f32_e32 v152, v123, v158
	v_fma_f32 v4, v4, v148, -v156
	v_add_f32_e32 v5, v144, v153
	v_add_f32_e32 v8, v10, v8
	s_waitcnt vmcnt(16)
	v_mul_f32_e32 v11, v124, v135
	v_fma_f32 v122, v122, v147, -v152
	v_fmac_f32_e32 v151, v123, v147
	ds_read_b128 v[118:121], v1 offset:832
	ds_read_b64 v[6:7], v1 offset:848
	v_add_f32_e32 v8, v8, v146
	s_waitcnt vmcnt(15) lgkmcnt(3)
	v_mul_f32_e32 v157, v126, v163
	s_waitcnt vmcnt(14)
	v_mul_f32_e32 v145, v128, v165
	s_waitcnt vmcnt(13) lgkmcnt(2)
	v_mul_f32_e32 v10, v130, v166
	s_waitcnt vmcnt(12)
	v_mul_f32_e32 v3, v132, v167
	v_add_f32_e32 v2, v8, v2
	v_mul_f32_e32 v8, v125, v135
	v_add_f32_e32 v2, v2, v4
	v_add_f32_e32 v4, v5, v154
	v_mul_f32_e32 v5, v127, v163
	s_waitcnt vmcnt(5)
	v_fma_f32 v8, v124, v185, -v8
	v_fmac_f32_e32 v11, v125, v185
	v_add_f32_e32 v2, v2, v122
	v_add_f32_e32 v4, v4, v151
	v_mul_f32_e32 v122, v129, v165
	v_fma_f32 v5, v126, v143, -v5
	v_fmac_f32_e32 v157, v127, v143
	v_add_f32_e32 v2, v2, v8
	v_add_f32_e32 v4, v4, v11
	v_mul_f32_e32 v8, v131, v166
	;; [unrolled: 5-line block ×3, first 2 shown]
	v_fma_f32 v8, v130, v136, -v8
	v_fmac_f32_e32 v10, v131, v136
	v_add_f32_e32 v2, v2, v11
	v_add_f32_e32 v4, v4, v145
	s_waitcnt lgkmcnt(1)
	v_mul_f32_e32 v11, v119, v168
	s_waitcnt vmcnt(1)
	v_fma_f32 v5, v132, v142, -v5
	v_mul_f32_e32 v149, v118, v168
	v_add_f32_e32 v2, v2, v8
	v_fmac_f32_e32 v3, v133, v142
	v_add_f32_e32 v4, v4, v10
	v_mul_f32_e32 v8, v121, v134
	v_fma_f32 v10, v118, v141, -v11
	v_add_f32_e32 v2, v2, v5
	v_mul_f32_e32 v146, v120, v134
	v_fmac_f32_e32 v149, v119, v141
	v_add_f32_e32 v3, v4, v3
	s_waitcnt lgkmcnt(0)
	v_mul_f32_e32 v4, v7, v169
	v_fma_f32 v5, v120, v139, -v8
	v_add_f32_e32 v2, v2, v10
	v_mul_f32_e32 v150, v6, v169
	v_fmac_f32_e32 v146, v121, v139
	v_add_f32_e32 v3, v3, v149
	v_fma_f32 v4, v6, v138, -v4
	v_add_f32_e32 v2, v2, v5
	v_fmac_f32_e32 v150, v7, v138
	v_add_f32_e32 v3, v3, v146
	v_add_f32_e32 v2, v2, v4
	;; [unrolled: 1-line block ×3, first 2 shown]
	s_waitcnt vmcnt(0)
	v_sub_f32_e32 v2, v140, v2
	v_sub_f32_e32 v3, v164, v3
	buffer_store_dword v2, off, s[0:3], 0 offset:40
	buffer_store_dword v3, off, s[0:3], 0 offset:44
	v_cmpx_lt_u32_e32 4, v0
	s_cbranch_execz .LBB116_323
; %bb.322:
	s_clause 0x1
	buffer_load_dword v2, off, s[0:3], 0 offset:32
	buffer_load_dword v3, off, s[0:3], 0 offset:36
	buffer_store_dword v1, off, s[0:3], 0 offset:32
	buffer_store_dword v1, off, s[0:3], 0 offset:36
	s_waitcnt vmcnt(0)
	ds_write_b64 v9, v[2:3]
.LBB116_323:
	s_or_b32 exec_lo, exec_lo, s4
	s_waitcnt lgkmcnt(0)
	s_waitcnt_vscnt null, 0x0
	s_barrier
	buffer_gl0_inv
	s_clause 0x2c
	buffer_load_dword v146, off, s[0:3], 0 offset:44
	buffer_load_dword v147, off, s[0:3], 0 offset:52
	;; [unrolled: 1-line block ×45, first 2 shown]
	ds_read2_b64 v[155:158], v1 offset0:59 offset1:60
	ds_read2_b64 v[159:162], v1 offset0:61 offset1:62
	s_mov_b32 s4, exec_lo
	s_waitcnt vmcnt(44) lgkmcnt(1)
	v_mul_f32_e32 v148, v155, v146
	v_mul_f32_e32 v163, v156, v146
	s_waitcnt vmcnt(43)
	v_mul_f32_e32 v146, v157, v147
	v_mul_f32_e32 v164, v158, v147
	buffer_load_dword v147, off, s[0:3], 0 offset:36
	s_waitcnt vmcnt(41)
	v_fmac_f32_e32 v148, v156, v11
	v_fma_f32 v11, v155, v11, -v163
	v_fmac_f32_e32 v146, v158, v7
	v_fma_f32 v163, v157, v7, -v164
	ds_read2_b64 v[155:158], v1 offset0:63 offset1:64
	s_waitcnt vmcnt(40) lgkmcnt(1)
	v_mul_f32_e32 v164, v159, v4
	s_waitcnt vmcnt(39)
	v_mul_f32_e32 v165, v161, v5
	v_mul_f32_e32 v4, v160, v4
	v_mul_f32_e32 v5, v162, v5
	v_fmac_f32_e32 v164, v160, v2
	s_waitcnt vmcnt(35)
	v_fmac_f32_e32 v165, v162, v120
	v_fma_f32 v166, v159, v2, -v4
	v_fma_f32 v167, v161, v120, -v5
	ds_read2_b64 v[159:162], v1 offset0:65 offset1:66
	s_waitcnt vmcnt(34) lgkmcnt(1)
	v_mul_f32_e32 v168, v155, v119
	v_mul_f32_e32 v2, v156, v119
	s_waitcnt vmcnt(33)
	v_mul_f32_e32 v169, v157, v118
	v_mul_f32_e32 v4, v158, v118
	v_fmac_f32_e32 v168, v156, v10
	v_fma_f32 v10, v155, v10, -v2
	v_fmac_f32_e32 v169, v158, v6
	v_fma_f32 v155, v157, v6, -v4
	ds_read2_b64 v[4:7], v1 offset0:67 offset1:68
	s_waitcnt vmcnt(32) lgkmcnt(1)
	v_mul_f32_e32 v156, v159, v8
	v_mul_f32_e32 v2, v160, v8
	s_waitcnt vmcnt(31)
	v_mul_f32_e32 v8, v161, v121
	v_mul_f32_e32 v118, v162, v121
	v_fmac_f32_e32 v156, v160, v3
	v_fma_f32 v157, v159, v3, -v2
	s_waitcnt vmcnt(27)
	v_fmac_f32_e32 v8, v162, v129
	v_fma_f32 v129, v161, v129, -v118
	ds_read2_b64 v[118:121], v1 offset0:69 offset1:70
	buffer_load_dword v159, off, s[0:3], 0 offset:228
	s_waitcnt vmcnt(27) lgkmcnt(1)
	v_mul_f32_e32 v158, v4, v127
	v_mul_f32_e32 v2, v5, v127
	s_waitcnt vmcnt(26)
	v_mul_f32_e32 v3, v7, v126
	v_mul_f32_e32 v127, v6, v126
	v_fmac_f32_e32 v158, v5, v125
	v_fma_f32 v125, v4, v125, -v2
	v_fma_f32 v6, v6, v123, -v3
	ds_read2_b64 v[2:5], v1 offset0:71 offset1:72
	v_fmac_f32_e32 v127, v7, v123
	s_waitcnt vmcnt(25) lgkmcnt(1)
	v_mul_f32_e32 v7, v118, v124
	v_mul_f32_e32 v123, v119, v124
	s_waitcnt vmcnt(24)
	v_mul_f32_e32 v124, v120, v128
	v_mul_f32_e32 v126, v121, v128
	v_fmac_f32_e32 v7, v119, v122
	v_fma_f32 v122, v118, v122, -v123
	s_waitcnt vmcnt(20)
	v_fmac_f32_e32 v124, v121, v137
	v_fma_f32 v123, v120, v137, -v126
	ds_read2_b64 v[118:121], v1 offset0:73 offset1:74
	s_waitcnt vmcnt(19) lgkmcnt(1)
	v_mul_f32_e32 v126, v2, v135
	v_mul_f32_e32 v128, v3, v135
	s_waitcnt vmcnt(18)
	v_mul_f32_e32 v135, v4, v134
	v_mul_f32_e32 v134, v5, v134
	v_fmac_f32_e32 v126, v3, v133
	v_fma_f32 v128, v2, v133, -v128
	v_fmac_f32_e32 v135, v5, v131
	v_fma_f32 v131, v4, v131, -v134
	ds_read2_b64 v[2:5], v1 offset0:75 offset1:76
	s_waitcnt vmcnt(17) lgkmcnt(1)
	v_mul_f32_e32 v133, v118, v132
	v_mul_f32_e32 v132, v119, v132
	s_waitcnt vmcnt(16)
	v_mul_f32_e32 v134, v120, v136
	v_mul_f32_e32 v136, v121, v136
	v_fmac_f32_e32 v133, v119, v130
	v_fma_f32 v130, v118, v130, -v132
	s_waitcnt vmcnt(12)
	v_fmac_f32_e32 v134, v121, v145
	v_fma_f32 v132, v120, v145, -v136
	ds_read2_b64 v[118:121], v1 offset0:77 offset1:78
	buffer_load_dword v145, off, s[0:3], 0 offset:220
	s_waitcnt vmcnt(12) lgkmcnt(1)
	v_mul_f32_e32 v136, v2, v143
	v_mul_f32_e32 v137, v3, v143
	s_waitcnt vmcnt(11)
	v_mul_f32_e32 v143, v4, v142
	v_mul_f32_e32 v142, v5, v142
	v_fmac_f32_e32 v136, v3, v141
	v_fma_f32 v137, v2, v141, -v137
	v_fmac_f32_e32 v143, v5, v139
	v_fma_f32 v139, v4, v139, -v142
	ds_read2_b64 v[2:5], v1 offset0:79 offset1:80
	s_waitcnt vmcnt(10) lgkmcnt(1)
	v_mul_f32_e32 v141, v118, v140
	v_mul_f32_e32 v140, v119, v140
	s_waitcnt vmcnt(9)
	v_mul_f32_e32 v142, v120, v144
	v_mul_f32_e32 v144, v121, v144
	v_fmac_f32_e32 v141, v119, v138
	v_fma_f32 v138, v118, v138, -v140
	s_waitcnt vmcnt(5)
	v_fmac_f32_e32 v142, v121, v154
	v_fma_f32 v140, v120, v154, -v144
	ds_read2_b64 v[118:121], v1 offset0:81 offset1:82
	s_waitcnt vmcnt(4) lgkmcnt(1)
	v_mul_f32_e32 v144, v2, v153
	v_mul_f32_e32 v153, v3, v153
	s_waitcnt vmcnt(3)
	v_mul_f32_e32 v154, v4, v152
	v_mul_f32_e32 v152, v5, v152
	v_fmac_f32_e32 v144, v3, v151
	v_fma_f32 v151, v2, v151, -v153
	v_fmac_f32_e32 v154, v5, v150
	v_fma_f32 v150, v4, v150, -v152
	s_clause 0x4
	buffer_load_dword v152, off, s[0:3], 0 offset:248
	buffer_load_dword v153, off, s[0:3], 0 offset:240
	;; [unrolled: 1-line block ×5, first 2 shown]
	s_waitcnt vmcnt(5) lgkmcnt(0)
	v_mul_f32_e32 v162, v118, v145
	v_mul_f32_e32 v3, v119, v145
	v_fmac_f32_e32 v162, v119, v149
	v_fma_f32 v145, v118, v149, -v3
	v_mul_f32_e32 v149, v120, v159
	v_mul_f32_e32 v3, v121, v159
	s_waitcnt vmcnt(1)
	v_fmac_f32_e32 v149, v121, v2
	v_fma_f32 v159, v120, v2, -v3
	ds_read2_b64 v[2:5], v1 offset0:83 offset1:84
	ds_read2_b64 v[118:121], v1 offset0:85 offset1:86
	s_waitcnt vmcnt(0) lgkmcnt(1)
	v_mul_f32_e32 v170, v2, v161
	v_mul_f32_e32 v161, v3, v161
	v_fmac_f32_e32 v170, v3, v160
	v_fma_f32 v160, v2, v160, -v161
	buffer_load_dword v2, off, s[0:3], 0 offset:244
	s_waitcnt vmcnt(0)
	v_mul_f32_e32 v161, v4, v2
	v_mul_f32_e32 v2, v5, v2
	v_fmac_f32_e32 v161, v5, v153
	v_fma_f32 v153, v4, v153, -v2
	buffer_load_dword v2, off, s[0:3], 0 offset:252
	s_waitcnt vmcnt(0) lgkmcnt(0)
	v_mul_f32_e32 v171, v118, v2
	v_mul_f32_e32 v2, v119, v2
	v_fmac_f32_e32 v171, v119, v152
	v_fma_f32 v152, v118, v152, -v2
	s_clause 0x5
	buffer_load_dword v2, off, s[0:3], 0 offset:260
	buffer_load_dword v172, off, s[0:3], 0 offset:280
	;; [unrolled: 1-line block ×6, first 2 shown]
	s_waitcnt vmcnt(5)
	v_mul_f32_e32 v175, v120, v2
	v_mul_f32_e32 v2, v121, v2
	s_waitcnt vmcnt(1)
	v_fmac_f32_e32 v175, v121, v3
	v_fma_f32 v176, v120, v3, -v2
	ds_read2_b64 v[2:5], v1 offset0:87 offset1:88
	ds_read2_b64 v[118:121], v1 offset0:89 offset1:90
	s_waitcnt vmcnt(0) lgkmcnt(1)
	v_mul_f32_e32 v178, v2, v177
	v_mul_f32_e32 v177, v3, v177
	v_fmac_f32_e32 v178, v3, v174
	v_fma_f32 v174, v2, v174, -v177
	buffer_load_dword v2, off, s[0:3], 0 offset:276
	v_add_f32_e32 v3, 0, v11
	v_add_f32_e32 v3, v3, v163
	;; [unrolled: 1-line block ×22, first 2 shown]
	s_waitcnt vmcnt(0)
	v_mul_f32_e32 v177, v4, v2
	v_mul_f32_e32 v2, v5, v2
	v_fmac_f32_e32 v177, v5, v173
	v_fma_f32 v173, v4, v173, -v2
	s_clause 0x1
	buffer_load_dword v4, off, s[0:3], 0 offset:284
	buffer_load_dword v5, off, s[0:3], 0 offset:292
	v_add_f32_e32 v2, 0, v148
	v_add_f32_e32 v2, v2, v146
	v_add_f32_e32 v2, v2, v164
	v_add_f32_e32 v2, v2, v165
	v_add_f32_e32 v2, v2, v168
	v_add_f32_e32 v2, v2, v169
	v_add_f32_e32 v2, v2, v156
	v_add_f32_e32 v2, v2, v8
	s_clause 0x6
	buffer_load_dword v8, off, s[0:3], 0 offset:312
	buffer_load_dword v10, off, s[0:3], 0 offset:304
	;; [unrolled: 1-line block ×7, first 2 shown]
	v_add_f32_e32 v2, v2, v158
	v_add_f32_e32 v2, v2, v127
	;; [unrolled: 1-line block ×3, first 2 shown]
	s_clause 0x8
	buffer_load_dword v7, off, s[0:3], 0 offset:324
	buffer_load_dword v155, off, s[0:3], 0 offset:344
	;; [unrolled: 1-line block ×9, first 2 shown]
	v_add_f32_e32 v2, v2, v124
	v_add_f32_e32 v2, v2, v126
	;; [unrolled: 1-line block ×11, first 2 shown]
	s_waitcnt vmcnt(17) lgkmcnt(0)
	v_mul_f32_e32 v127, v118, v4
	v_mul_f32_e32 v4, v119, v4
	s_waitcnt vmcnt(16)
	v_mul_f32_e32 v164, v120, v5
	v_fmac_f32_e32 v127, v119, v172
	v_fma_f32 v148, v118, v172, -v4
	s_clause 0x11
	buffer_load_dword v168, off, s[0:3], 0 offset:364
	buffer_load_dword v169, off, s[0:3], 0 offset:372
	;; [unrolled: 1-line block ×18, first 2 shown]
	v_mul_f32_e32 v4, v121, v5
	v_add_f32_e32 v118, v2, v162
	v_add_f32_e32 v119, v3, v145
	;; [unrolled: 1-line block ×10, first 2 shown]
	s_waitcnt vmcnt(30)
	v_fma_f32 v135, v120, v129, -v4
	ds_read2_b64 v[2:5], v1 offset0:91 offset1:92
	v_fmac_f32_e32 v164, v121, v129
	ds_read2_b64 v[118:121], v1 offset0:93 offset1:94
	v_add_f32_e32 v128, v122, v175
	v_add_f32_e32 v126, v126, v176
	;; [unrolled: 1-line block ×4, first 2 shown]
	s_waitcnt vmcnt(29) lgkmcnt(1)
	v_mul_f32_e32 v134, v2, v146
	v_mul_f32_e32 v124, v3, v146
	s_waitcnt vmcnt(28)
	v_mul_f32_e32 v145, v4, v125
	v_mul_f32_e32 v125, v5, v125
	s_waitcnt vmcnt(27) lgkmcnt(0)
	v_mul_f32_e32 v146, v118, v6
	v_fmac_f32_e32 v134, v3, v11
	v_fma_f32 v11, v2, v11, -v124
	v_fmac_f32_e32 v145, v5, v10
	v_fma_f32 v10, v4, v10, -v125
	ds_read2_b64 v[2:5], v1 offset0:95 offset1:96
	ds_read2_b64 v[122:125], v1 offset0:97 offset1:98
	v_mul_f32_e32 v6, v119, v6
	v_fmac_f32_e32 v146, v119, v8
	v_add_f32_e32 v119, v128, v177
	s_waitcnt vmcnt(26)
	v_mul_f32_e32 v149, v120, v7
	v_mul_f32_e32 v7, v121, v7
	v_fma_f32 v6, v118, v8, -v6
	v_add_f32_e32 v8, v126, v173
	v_add_f32_e32 v130, v119, v127
	s_waitcnt vmcnt(22)
	v_fmac_f32_e32 v149, v121, v158
	v_fma_f32 v7, v120, v158, -v7
	ds_read2_b64 v[118:121], v1 offset0:99 offset1:100
	ds_read2_b64 v[126:129], v1 offset0:101 offset1:102
	v_add_f32_e32 v8, v8, v148
	v_add_f32_e32 v137, v130, v164
	ds_read2_b64 v[130:133], v1 offset0:103 offset1:104
	v_add_f32_e32 v8, v8, v135
	s_waitcnt vmcnt(21) lgkmcnt(4)
	v_mul_f32_e32 v148, v2, v163
	v_mul_f32_e32 v136, v3, v163
	s_waitcnt vmcnt(19) lgkmcnt(3)
	v_mul_f32_e32 v150, v123, v166
	v_fmac_f32_e32 v148, v3, v157
	v_fma_f32 v2, v2, v157, -v136
	v_add_f32_e32 v3, v137, v134
	ds_read2_b64 v[134:137], v1 offset0:105 offset1:106
	v_add_f32_e32 v1, v8, v11
	v_mul_f32_e32 v11, v5, v165
	v_mul_f32_e32 v8, v4, v165
	v_add_f32_e32 v3, v3, v145
	v_mul_f32_e32 v145, v122, v166
	v_add_f32_e32 v1, v1, v10
	v_fma_f32 v4, v4, v156, -v11
	v_fmac_f32_e32 v8, v5, v156
	v_add_f32_e32 v3, v3, v146
	v_fma_f32 v122, v122, v155, -v150
	v_add_f32_e32 v1, v1, v6
	s_waitcnt vmcnt(18)
	v_mul_f32_e32 v10, v124, v167
	v_fmac_f32_e32 v145, v123, v155
	v_add_f32_e32 v3, v3, v149
	v_add_f32_e32 v1, v1, v7
	v_mul_f32_e32 v7, v125, v167
	v_add_f32_e32 v1, v1, v2
	v_add_f32_e32 v2, v3, v148
	;; [unrolled: 1-line block ×6, first 2 shown]
	s_waitcnt vmcnt(14) lgkmcnt(2)
	v_mul_f32_e32 v146, v128, v179
	v_mul_f32_e32 v4, v119, v168
	;; [unrolled: 1-line block ×5, first 2 shown]
	s_waitcnt vmcnt(6)
	v_fma_f32 v7, v124, v185, -v7
	v_fmac_f32_e32 v10, v125, v185
	v_fma_f32 v4, v118, v184, -v4
	v_fmac_f32_e32 v5, v119, v184
	v_fma_f32 v8, v120, v143, -v8
	v_add_f32_e32 v1, v1, v7
	v_add_f32_e32 v2, v2, v10
	v_mul_f32_e32 v7, v127, v172
	v_mul_f32_e32 v6, v126, v172
	v_fmac_f32_e32 v11, v121, v143
	v_add_f32_e32 v1, v1, v4
	v_add_f32_e32 v2, v2, v5
	v_mul_f32_e32 v4, v129, v179
	v_fma_f32 v5, v126, v139, -v7
	v_fmac_f32_e32 v6, v127, v139
	v_add_f32_e32 v1, v1, v8
	v_add_f32_e32 v2, v2, v11
	s_waitcnt lgkmcnt(1)
	v_mul_f32_e32 v7, v131, v180
	s_waitcnt vmcnt(2)
	v_fma_f32 v4, v128, v142, -v4
	v_mul_f32_e32 v152, v130, v180
	v_add_f32_e32 v1, v1, v5
	v_fmac_f32_e32 v146, v129, v142
	v_add_f32_e32 v2, v2, v6
	v_mul_f32_e32 v5, v133, v181
	v_fma_f32 v6, v130, v141, -v7
	v_add_f32_e32 v1, v1, v4
	v_mul_f32_e32 v149, v132, v181
	v_fmac_f32_e32 v152, v131, v141
	v_add_f32_e32 v2, v2, v146
	s_waitcnt lgkmcnt(0)
	v_mul_f32_e32 v4, v135, v182
	v_fma_f32 v5, v132, v140, -v5
	v_add_f32_e32 v1, v1, v6
	v_mul_f32_e32 v153, v134, v182
	v_fmac_f32_e32 v149, v133, v140
	v_add_f32_e32 v2, v2, v152
	v_mul_f32_e32 v6, v137, v183
	v_fma_f32 v4, v134, v138, -v4
	v_add_f32_e32 v1, v1, v5
	v_mul_f32_e32 v3, v136, v183
	v_fmac_f32_e32 v153, v135, v138
	v_add_f32_e32 v2, v2, v149
	s_waitcnt vmcnt(1)
	v_fma_f32 v5, v136, v144, -v6
	v_add_f32_e32 v1, v1, v4
	v_fmac_f32_e32 v3, v137, v144
	v_add_f32_e32 v2, v2, v153
	v_add_f32_e32 v1, v1, v5
	;; [unrolled: 1-line block ×3, first 2 shown]
	s_waitcnt vmcnt(0)
	v_sub_f32_e32 v1, v151, v1
	v_sub_f32_e32 v2, v147, v2
	buffer_store_dword v1, off, s[0:3], 0 offset:32
	buffer_store_dword v2, off, s[0:3], 0 offset:36
	v_cmpx_lt_u32_e32 3, v0
	s_cbranch_execz .LBB116_325
; %bb.324:
	s_clause 0x1
	buffer_load_dword v1, off, s[0:3], 0 offset:24
	buffer_load_dword v2, off, s[0:3], 0 offset:28
	v_mov_b32_e32 v3, 0
	buffer_store_dword v3, off, s[0:3], 0 offset:24
	buffer_store_dword v3, off, s[0:3], 0 offset:28
	s_waitcnt vmcnt(0)
	ds_write_b64 v9, v[1:2]
.LBB116_325:
	s_or_b32 exec_lo, exec_lo, s4
	s_waitcnt lgkmcnt(0)
	s_waitcnt_vscnt null, 0x0
	s_barrier
	buffer_gl0_inv
	s_clause 0x2c
	buffer_load_dword v146, off, s[0:3], 0 offset:36
	buffer_load_dword v147, off, s[0:3], 0 offset:44
	;; [unrolled: 1-line block ×45, first 2 shown]
	v_mov_b32_e32 v1, 0
	ds_read_b128 v[155:158], v1 offset:464
	ds_read_b128 v[159:162], v1 offset:480
	s_mov_b32 s4, exec_lo
	s_waitcnt vmcnt(44) lgkmcnt(1)
	v_mul_f32_e32 v148, v155, v146
	v_mul_f32_e32 v163, v156, v146
	s_waitcnt vmcnt(43)
	v_mul_f32_e32 v146, v157, v147
	v_mul_f32_e32 v164, v158, v147
	buffer_load_dword v147, off, s[0:3], 0 offset:28
	s_waitcnt vmcnt(41)
	v_fmac_f32_e32 v148, v156, v11
	v_fma_f32 v11, v155, v11, -v163
	v_fmac_f32_e32 v146, v158, v7
	v_fma_f32 v163, v157, v7, -v164
	ds_read_b128 v[155:158], v1 offset:496
	s_waitcnt vmcnt(40) lgkmcnt(1)
	v_mul_f32_e32 v164, v159, v4
	s_waitcnt vmcnt(39)
	v_mul_f32_e32 v165, v161, v5
	v_mul_f32_e32 v4, v160, v4
	;; [unrolled: 1-line block ×3, first 2 shown]
	v_fmac_f32_e32 v164, v160, v2
	s_waitcnt vmcnt(35)
	v_fmac_f32_e32 v165, v162, v120
	v_fma_f32 v166, v159, v2, -v4
	v_fma_f32 v167, v161, v120, -v5
	ds_read_b128 v[159:162], v1 offset:512
	s_waitcnt vmcnt(34) lgkmcnt(1)
	v_mul_f32_e32 v168, v155, v119
	v_mul_f32_e32 v2, v156, v119
	s_waitcnt vmcnt(33)
	v_mul_f32_e32 v169, v157, v118
	v_mul_f32_e32 v4, v158, v118
	v_fmac_f32_e32 v168, v156, v10
	v_fma_f32 v10, v155, v10, -v2
	v_fmac_f32_e32 v169, v158, v6
	v_fma_f32 v155, v157, v6, -v4
	ds_read_b128 v[4:7], v1 offset:528
	s_waitcnt vmcnt(32) lgkmcnt(1)
	v_mul_f32_e32 v156, v159, v8
	v_mul_f32_e32 v2, v160, v8
	s_waitcnt vmcnt(31)
	v_mul_f32_e32 v8, v161, v121
	v_mul_f32_e32 v118, v162, v121
	v_fmac_f32_e32 v156, v160, v3
	v_fma_f32 v157, v159, v3, -v2
	s_waitcnt vmcnt(27)
	v_fmac_f32_e32 v8, v162, v129
	v_fma_f32 v129, v161, v129, -v118
	ds_read_b128 v[118:121], v1 offset:544
	buffer_load_dword v159, off, s[0:3], 0 offset:220
	s_waitcnt vmcnt(27) lgkmcnt(1)
	v_mul_f32_e32 v158, v4, v127
	v_mul_f32_e32 v2, v5, v127
	s_waitcnt vmcnt(26)
	v_mul_f32_e32 v3, v7, v126
	v_mul_f32_e32 v127, v6, v126
	v_fmac_f32_e32 v158, v5, v125
	v_fma_f32 v125, v4, v125, -v2
	v_fma_f32 v6, v6, v123, -v3
	ds_read_b128 v[2:5], v1 offset:560
	v_fmac_f32_e32 v127, v7, v123
	s_waitcnt vmcnt(25) lgkmcnt(1)
	v_mul_f32_e32 v7, v118, v124
	v_mul_f32_e32 v123, v119, v124
	s_waitcnt vmcnt(24)
	v_mul_f32_e32 v124, v120, v128
	v_mul_f32_e32 v126, v121, v128
	v_fmac_f32_e32 v7, v119, v122
	v_fma_f32 v122, v118, v122, -v123
	s_waitcnt vmcnt(20)
	v_fmac_f32_e32 v124, v121, v137
	v_fma_f32 v123, v120, v137, -v126
	ds_read_b128 v[118:121], v1 offset:576
	s_waitcnt vmcnt(19) lgkmcnt(1)
	v_mul_f32_e32 v126, v2, v135
	v_mul_f32_e32 v128, v3, v135
	s_waitcnt vmcnt(18)
	v_mul_f32_e32 v135, v4, v134
	v_mul_f32_e32 v134, v5, v134
	v_fmac_f32_e32 v126, v3, v133
	v_fma_f32 v128, v2, v133, -v128
	v_fmac_f32_e32 v135, v5, v131
	v_fma_f32 v131, v4, v131, -v134
	ds_read_b128 v[2:5], v1 offset:592
	s_waitcnt vmcnt(17) lgkmcnt(1)
	v_mul_f32_e32 v133, v118, v132
	v_mul_f32_e32 v132, v119, v132
	s_waitcnt vmcnt(16)
	v_mul_f32_e32 v134, v120, v136
	v_mul_f32_e32 v136, v121, v136
	v_fmac_f32_e32 v133, v119, v130
	v_fma_f32 v130, v118, v130, -v132
	s_waitcnt vmcnt(12)
	v_fmac_f32_e32 v134, v121, v144
	v_fma_f32 v132, v120, v144, -v136
	ds_read_b128 v[118:121], v1 offset:608
	s_waitcnt vmcnt(11) lgkmcnt(1)
	v_mul_f32_e32 v136, v2, v143
	v_mul_f32_e32 v137, v3, v143
	s_waitcnt vmcnt(10)
	v_mul_f32_e32 v143, v4, v142
	v_mul_f32_e32 v142, v5, v142
	v_fmac_f32_e32 v136, v3, v141
	v_fma_f32 v137, v2, v141, -v137
	v_fmac_f32_e32 v143, v5, v139
	v_fma_f32 v139, v4, v139, -v142
	ds_read_b128 v[2:5], v1 offset:624
	s_waitcnt vmcnt(8) lgkmcnt(1)
	v_mul_f32_e32 v142, v120, v145
	v_mul_f32_e32 v144, v121, v145
	buffer_load_dword v145, off, s[0:3], 0 offset:212
	v_mul_f32_e32 v141, v118, v140
	v_mul_f32_e32 v140, v119, v140
	s_waitcnt vmcnt(5)
	v_fmac_f32_e32 v142, v121, v154
	v_fmac_f32_e32 v141, v119, v138
	v_fma_f32 v138, v118, v138, -v140
	v_fma_f32 v140, v120, v154, -v144
	ds_read_b128 v[118:121], v1 offset:640
	s_waitcnt vmcnt(4) lgkmcnt(1)
	v_mul_f32_e32 v144, v2, v153
	v_mul_f32_e32 v153, v3, v153
	s_waitcnt vmcnt(3)
	v_mul_f32_e32 v154, v4, v152
	v_mul_f32_e32 v152, v5, v152
	v_fmac_f32_e32 v144, v3, v151
	v_fma_f32 v151, v2, v151, -v153
	v_fmac_f32_e32 v154, v5, v150
	v_fma_f32 v150, v4, v150, -v152
	s_clause 0x4
	buffer_load_dword v152, off, s[0:3], 0 offset:240
	buffer_load_dword v153, off, s[0:3], 0 offset:232
	;; [unrolled: 1-line block ×5, first 2 shown]
	s_waitcnt vmcnt(5) lgkmcnt(0)
	v_mul_f32_e32 v162, v118, v145
	v_mul_f32_e32 v3, v119, v145
	v_fmac_f32_e32 v162, v119, v149
	v_fma_f32 v145, v118, v149, -v3
	v_mul_f32_e32 v149, v120, v159
	v_mul_f32_e32 v3, v121, v159
	s_waitcnt vmcnt(1)
	v_fmac_f32_e32 v149, v121, v2
	v_fma_f32 v159, v120, v2, -v3
	ds_read_b128 v[2:5], v1 offset:656
	ds_read_b128 v[118:121], v1 offset:672
	s_waitcnt vmcnt(0) lgkmcnt(1)
	v_mul_f32_e32 v170, v2, v161
	v_mul_f32_e32 v161, v3, v161
	v_fmac_f32_e32 v170, v3, v160
	v_fma_f32 v160, v2, v160, -v161
	s_clause 0x1
	buffer_load_dword v2, off, s[0:3], 0 offset:236
	buffer_load_dword v3, off, s[0:3], 0 offset:244
	s_waitcnt vmcnt(1)
	v_mul_f32_e32 v161, v4, v2
	v_mul_f32_e32 v2, v5, v2
	v_fmac_f32_e32 v161, v5, v153
	v_fma_f32 v153, v4, v153, -v2
	v_add_f32_e32 v2, 0, v148
	v_add_f32_e32 v4, 0, v11
	buffer_load_dword v11, off, s[0:3], 0 offset:252
	v_add_f32_e32 v2, v2, v146
	v_add_f32_e32 v4, v4, v163
	;; [unrolled: 1-line block ×3, first 2 shown]
	s_clause 0x3
	buffer_load_dword v146, off, s[0:3], 0 offset:272
	buffer_load_dword v148, off, s[0:3], 0 offset:264
	;; [unrolled: 1-line block ×4, first 2 shown]
	v_add_f32_e32 v4, v4, v166
	buffer_load_dword v166, off, s[0:3], 0 offset:276
	v_add_f32_e32 v2, v2, v165
	buffer_load_dword v165, off, s[0:3], 0 offset:260
	v_add_f32_e32 v4, v4, v167
	v_add_f32_e32 v2, v2, v168
	;; [unrolled: 1-line block ×3, first 2 shown]
	buffer_load_dword v10, off, s[0:3], 0 offset:268
	v_add_f32_e32 v2, v2, v169
	v_add_f32_e32 v4, v4, v155
	buffer_load_dword v155, off, s[0:3], 0 offset:284
	v_add_f32_e32 v2, v2, v156
	v_add_f32_e32 v4, v4, v157
	;; [unrolled: 1-line block ×4, first 2 shown]
	s_clause 0x3
	buffer_load_dword v8, off, s[0:3], 0 offset:304
	buffer_load_dword v129, off, s[0:3], 0 offset:296
	;; [unrolled: 1-line block ×4, first 2 shown]
	v_add_f32_e32 v2, v2, v158
	buffer_load_dword v158, off, s[0:3], 0 offset:292
	v_add_f32_e32 v4, v4, v125
	s_waitcnt vmcnt(14) lgkmcnt(0)
	v_mul_f32_e32 v125, v118, v3
	v_mul_f32_e32 v3, v119, v3
	v_add_f32_e32 v2, v2, v127
	v_add_f32_e32 v6, v4, v6
	v_fmac_f32_e32 v125, v119, v152
	v_fma_f32 v127, v118, v152, -v3
	v_add_f32_e32 v7, v2, v7
	ds_read_b128 v[2:5], v1 offset:688
	v_add_f32_e32 v6, v6, v122
	buffer_load_dword v122, off, s[0:3], 0 offset:300
	v_add_f32_e32 v7, v7, v124
	v_add_f32_e32 v6, v6, v123
	buffer_load_dword v123, off, s[0:3], 0 offset:308
	v_add_f32_e32 v7, v7, v126
	buffer_load_dword v126, off, s[0:3], 0 offset:316
	v_add_f32_e32 v6, v6, v128
	v_add_f32_e32 v7, v7, v135
	;; [unrolled: 1-line block ×4, first 2 shown]
	s_waitcnt vmcnt(16)
	v_mul_f32_e32 v124, v120, v11
	v_mul_f32_e32 v11, v121, v11
	s_waitcnt vmcnt(12)
	v_fmac_f32_e32 v124, v121, v164
	v_fma_f32 v11, v120, v164, -v11
	ds_read_b128 v[118:121], v1 offset:704
	s_clause 0x3
	buffer_load_dword v152, off, s[0:3], 0 offset:336
	buffer_load_dword v164, off, s[0:3], 0 offset:328
	;; [unrolled: 1-line block ×4, first 2 shown]
	s_waitcnt vmcnt(14) lgkmcnt(1)
	v_mul_f32_e32 v135, v3, v165
	v_mul_f32_e32 v128, v2, v165
	v_fma_f32 v135, v2, v163, -v135
	v_add_f32_e32 v2, v6, v130
	s_clause 0x1
	buffer_load_dword v6, off, s[0:3], 0 offset:324
	buffer_load_dword v130, off, s[0:3], 0 offset:332
	v_fmac_f32_e32 v128, v3, v163
	v_add_f32_e32 v3, v7, v134
	buffer_load_dword v134, off, s[0:3], 0 offset:340
	v_add_f32_e32 v2, v2, v132
	s_waitcnt vmcnt(16)
	v_mul_f32_e32 v7, v4, v10
	v_mul_f32_e32 v10, v5, v10
	v_add_f32_e32 v3, v3, v136
	v_add_f32_e32 v132, v2, v137
	s_waitcnt lgkmcnt(0)
	v_mul_f32_e32 v165, v119, v166
	v_fmac_f32_e32 v7, v5, v148
	v_add_f32_e32 v143, v3, v143
	v_fma_f32 v10, v4, v148, -v10
	v_add_f32_e32 v132, v132, v139
	v_mul_f32_e32 v139, v118, v166
	s_clause 0x3
	buffer_load_dword v136, off, s[0:3], 0 offset:348
	buffer_load_dword v137, off, s[0:3], 0 offset:356
	;; [unrolled: 1-line block ×4, first 2 shown]
	v_add_f32_e32 v141, v143, v141
	ds_read_b128 v[2:5], v1 offset:720
	v_add_f32_e32 v132, v132, v138
	v_fmac_f32_e32 v139, v119, v146
	v_fma_f32 v146, v118, v146, -v165
	v_add_f32_e32 v118, v141, v142
	s_waitcnt vmcnt(19)
	v_mul_f32_e32 v143, v120, v155
	v_mul_f32_e32 v138, v121, v155
	v_add_f32_e32 v119, v132, v140
	s_clause 0x3
	buffer_load_dword v140, off, s[0:3], 0 offset:380
	buffer_load_dword v141, off, s[0:3], 0 offset:388
	;; [unrolled: 1-line block ×4, first 2 shown]
	v_add_f32_e32 v118, v118, v144
	s_waitcnt vmcnt(19)
	v_fmac_f32_e32 v143, v121, v157
	v_fma_f32 v132, v120, v157, -v138
	buffer_load_dword v138, off, s[0:3], 0 offset:412
	v_add_f32_e32 v119, v119, v151
	s_clause 0x4
	buffer_load_dword v144, off, s[0:3], 0 offset:368
	buffer_load_dword v151, off, s[0:3], 0 offset:360
	;; [unrolled: 1-line block ×5, first 2 shown]
	v_add_f32_e32 v118, v118, v154
	v_add_f32_e32 v150, v119, v150
	;; [unrolled: 1-line block ×3, first 2 shown]
	ds_read_b128 v[118:121], v1 offset:736
	v_add_f32_e32 v145, v150, v145
	s_waitcnt vmcnt(24) lgkmcnt(1)
	v_mul_f32_e32 v150, v2, v158
	v_mul_f32_e32 v158, v3, v158
	v_add_f32_e32 v149, v154, v149
	v_fmac_f32_e32 v150, v3, v156
	v_fma_f32 v154, v2, v156, -v158
	v_add_f32_e32 v2, v145, v159
	v_add_f32_e32 v3, v149, v170
	s_clause 0x3
	buffer_load_dword v145, off, s[0:3], 0 offset:400
	buffer_load_dword v149, off, s[0:3], 0 offset:392
	;; [unrolled: 1-line block ×4, first 2 shown]
	v_add_f32_e32 v2, v2, v160
	s_clause 0x1
	buffer_load_dword v159, off, s[0:3], 0 offset:416
	buffer_load_dword v160, off, s[0:3], 0 offset:408
	v_add_f32_e32 v3, v3, v161
	s_waitcnt vmcnt(29)
	v_mul_f32_e32 v161, v4, v122
	v_add_f32_e32 v2, v2, v153
	buffer_load_dword v153, off, s[0:3], 0 offset:24
	v_add_f32_e32 v125, v3, v125
	v_mul_f32_e32 v3, v5, v122
	v_fmac_f32_e32 v161, v5, v129
	v_add_f32_e32 v122, v2, v127
	s_waitcnt vmcnt(29) lgkmcnt(0)
	v_mul_f32_e32 v167, v118, v123
	v_add_f32_e32 v124, v125, v124
	v_fma_f32 v162, v4, v129, -v3
	ds_read_b128 v[2:5], v1 offset:752
	v_add_f32_e32 v11, v122, v11
	v_mul_f32_e32 v127, v119, v123
	v_add_f32_e32 v128, v124, v128
	ds_read_b128 v[122:125], v1 offset:768
	s_waitcnt vmcnt(28)
	v_mul_f32_e32 v168, v120, v126
	v_add_f32_e32 v11, v11, v135
	v_mul_f32_e32 v126, v121, v126
	v_add_f32_e32 v7, v128, v7
	v_fmac_f32_e32 v167, v119, v8
	v_fma_f32 v8, v118, v8, -v127
	v_add_f32_e32 v10, v11, v10
	v_add_f32_e32 v7, v7, v139
	;; [unrolled: 1-line block ×4, first 2 shown]
	s_waitcnt vmcnt(24)
	v_fma_f32 v11, v120, v133, -v126
	v_fmac_f32_e32 v168, v121, v133
	ds_read_b128 v[118:121], v1 offset:784
	ds_read_b128 v[126:129], v1 offset:800
	s_waitcnt vmcnt(23) lgkmcnt(3)
	v_mul_f32_e32 v135, v2, v6
	v_mul_f32_e32 v6, v3, v6
	s_waitcnt vmcnt(22)
	v_mul_f32_e32 v146, v5, v130
	v_mul_f32_e32 v139, v4, v130
	v_fmac_f32_e32 v135, v3, v131
	v_fma_f32 v169, v2, v131, -v6
	v_add_f32_e32 v2, v7, v143
	v_add_f32_e32 v6, v10, v154
	v_fma_f32 v10, v4, v164, -v146
	v_fmac_f32_e32 v139, v5, v164
	ds_read_b128 v[130:133], v1 offset:816
	v_add_f32_e32 v143, v2, v150
	v_add_f32_e32 v146, v6, v162
	s_waitcnt vmcnt(21) lgkmcnt(3)
	v_mul_f32_e32 v150, v122, v134
	v_mul_f32_e32 v134, v123, v134
	s_waitcnt vmcnt(20)
	v_mul_f32_e32 v154, v124, v136
	v_add_f32_e32 v143, v143, v161
	v_add_f32_e32 v8, v146, v8
	v_mul_f32_e32 v136, v125, v136
	v_fma_f32 v122, v122, v152, -v134
	v_fmac_f32_e32 v150, v123, v152
	v_add_f32_e32 v143, v143, v167
	v_add_f32_e32 v8, v8, v11
	s_waitcnt vmcnt(19) lgkmcnt(2)
	v_mul_f32_e32 v146, v118, v137
	v_mul_f32_e32 v137, v119, v137
	s_waitcnt vmcnt(18)
	v_mul_f32_e32 v11, v120, v148
	v_add_f32_e32 v143, v143, v168
	v_add_f32_e32 v8, v8, v169
	ds_read_b128 v[2:5], v1 offset:832
	s_waitcnt vmcnt(17) lgkmcnt(2)
	v_mul_f32_e32 v161, v126, v163
	s_waitcnt vmcnt(9)
	v_fma_f32 v118, v118, v157, -v137
	v_add_f32_e32 v134, v143, v135
	v_add_f32_e32 v8, v8, v10
	s_waitcnt vmcnt(8)
	v_fma_f32 v124, v124, v165, -v136
	v_fmac_f32_e32 v154, v125, v165
	v_mul_f32_e32 v125, v121, v148
	v_add_f32_e32 v134, v134, v139
	v_add_f32_e32 v8, v8, v122
	v_fmac_f32_e32 v146, v119, v157
	v_fmac_f32_e32 v11, v121, v151
	v_fma_f32 v120, v120, v151, -v125
	v_add_f32_e32 v122, v134, v150
	v_add_f32_e32 v8, v8, v124
	v_mul_f32_e32 v162, v128, v140
	v_fmac_f32_e32 v161, v127, v144
	ds_read_b64 v[6:7], v1 offset:848
	v_add_f32_e32 v119, v122, v154
	v_mul_f32_e32 v122, v127, v163
	v_add_f32_e32 v8, v8, v118
	s_waitcnt lgkmcnt(2)
	v_mul_f32_e32 v164, v130, v141
	v_mul_f32_e32 v123, v132, v142
	v_add_f32_e32 v118, v119, v146
	v_mul_f32_e32 v119, v129, v140
	v_fma_f32 v121, v126, v144, -v122
	v_add_f32_e32 v8, v8, v120
	s_waitcnt vmcnt(3)
	v_fmac_f32_e32 v162, v129, v158
	v_add_f32_e32 v11, v118, v11
	v_mul_f32_e32 v118, v131, v141
	v_fma_f32 v119, v128, v158, -v119
	v_add_f32_e32 v8, v8, v121
	v_mul_f32_e32 v120, v133, v142
	v_add_f32_e32 v11, v11, v161
	v_fma_f32 v118, v130, v156, -v118
	v_fmac_f32_e32 v164, v131, v156
	v_add_f32_e32 v8, v8, v119
	s_waitcnt lgkmcnt(1)
	v_mul_f32_e32 v135, v2, v155
	v_add_f32_e32 v11, v11, v162
	v_mul_f32_e32 v119, v3, v155
	v_fma_f32 v120, v132, v149, -v120
	v_add_f32_e32 v8, v8, v118
	v_fmac_f32_e32 v123, v133, v149
	v_add_f32_e32 v11, v11, v164
	v_mul_f32_e32 v118, v5, v138
	v_fmac_f32_e32 v135, v3, v145
	v_fma_f32 v2, v2, v145, -v119
	v_add_f32_e32 v3, v8, v120
	v_mul_f32_e32 v10, v4, v138
	v_add_f32_e32 v8, v11, v123
	s_waitcnt lgkmcnt(0)
	v_mul_f32_e32 v11, v7, v166
	s_waitcnt vmcnt(1)
	v_fma_f32 v4, v4, v160, -v118
	v_add_f32_e32 v2, v3, v2
	v_mul_f32_e32 v139, v6, v166
	v_fmac_f32_e32 v10, v5, v160
	v_add_f32_e32 v3, v8, v135
	v_fma_f32 v5, v6, v159, -v11
	v_add_f32_e32 v2, v2, v4
	v_fmac_f32_e32 v139, v7, v159
	v_add_f32_e32 v3, v3, v10
	v_add_f32_e32 v2, v2, v5
	;; [unrolled: 1-line block ×3, first 2 shown]
	s_waitcnt vmcnt(0)
	v_sub_f32_e32 v2, v153, v2
	v_sub_f32_e32 v3, v147, v3
	buffer_store_dword v2, off, s[0:3], 0 offset:24
	buffer_store_dword v3, off, s[0:3], 0 offset:28
	v_cmpx_lt_u32_e32 2, v0
	s_cbranch_execz .LBB116_327
; %bb.326:
	s_clause 0x1
	buffer_load_dword v2, off, s[0:3], 0 offset:16
	buffer_load_dword v3, off, s[0:3], 0 offset:20
	buffer_store_dword v1, off, s[0:3], 0 offset:16
	buffer_store_dword v1, off, s[0:3], 0 offset:20
	s_waitcnt vmcnt(0)
	ds_write_b64 v9, v[2:3]
.LBB116_327:
	s_or_b32 exec_lo, exec_lo, s4
	s_waitcnt lgkmcnt(0)
	s_waitcnt_vscnt null, 0x0
	s_barrier
	buffer_gl0_inv
	s_clause 0x2c
	buffer_load_dword v146, off, s[0:3], 0 offset:28
	buffer_load_dword v147, off, s[0:3], 0 offset:36
	;; [unrolled: 1-line block ×45, first 2 shown]
	ds_read2_b64 v[155:158], v1 offset0:57 offset1:58
	ds_read2_b64 v[159:162], v1 offset0:59 offset1:60
	s_mov_b32 s4, exec_lo
	s_waitcnt vmcnt(44) lgkmcnt(1)
	v_mul_f32_e32 v148, v155, v146
	v_mul_f32_e32 v163, v156, v146
	s_waitcnt vmcnt(43)
	v_mul_f32_e32 v146, v157, v147
	v_mul_f32_e32 v164, v158, v147
	buffer_load_dword v147, off, s[0:3], 0 offset:20
	s_waitcnt vmcnt(41)
	v_fmac_f32_e32 v148, v156, v11
	v_fma_f32 v11, v155, v11, -v163
	v_fmac_f32_e32 v146, v158, v7
	v_fma_f32 v163, v157, v7, -v164
	ds_read2_b64 v[155:158], v1 offset0:61 offset1:62
	s_waitcnt vmcnt(40) lgkmcnt(1)
	v_mul_f32_e32 v164, v159, v4
	s_waitcnt vmcnt(39)
	v_mul_f32_e32 v165, v161, v5
	v_mul_f32_e32 v4, v160, v4
	;; [unrolled: 1-line block ×3, first 2 shown]
	v_fmac_f32_e32 v164, v160, v2
	s_waitcnt vmcnt(35)
	v_fmac_f32_e32 v165, v162, v120
	v_fma_f32 v166, v159, v2, -v4
	v_fma_f32 v167, v161, v120, -v5
	ds_read2_b64 v[159:162], v1 offset0:63 offset1:64
	s_waitcnt vmcnt(34) lgkmcnt(1)
	v_mul_f32_e32 v168, v155, v119
	v_mul_f32_e32 v2, v156, v119
	s_waitcnt vmcnt(33)
	v_mul_f32_e32 v169, v157, v118
	v_mul_f32_e32 v4, v158, v118
	v_fmac_f32_e32 v168, v156, v10
	v_fma_f32 v10, v155, v10, -v2
	v_fmac_f32_e32 v169, v158, v6
	v_fma_f32 v155, v157, v6, -v4
	ds_read2_b64 v[4:7], v1 offset0:65 offset1:66
	s_waitcnt vmcnt(32) lgkmcnt(1)
	v_mul_f32_e32 v156, v159, v8
	v_mul_f32_e32 v2, v160, v8
	s_waitcnt vmcnt(31)
	v_mul_f32_e32 v8, v161, v121
	v_mul_f32_e32 v118, v162, v121
	v_fmac_f32_e32 v156, v160, v3
	v_fma_f32 v157, v159, v3, -v2
	s_waitcnt vmcnt(27)
	v_fmac_f32_e32 v8, v162, v129
	v_fma_f32 v129, v161, v129, -v118
	ds_read2_b64 v[118:121], v1 offset0:67 offset1:68
	buffer_load_dword v159, off, s[0:3], 0 offset:212
	s_waitcnt vmcnt(27) lgkmcnt(1)
	v_mul_f32_e32 v158, v4, v127
	v_mul_f32_e32 v2, v5, v127
	s_waitcnt vmcnt(26)
	v_mul_f32_e32 v3, v7, v126
	v_mul_f32_e32 v127, v6, v126
	v_fmac_f32_e32 v158, v5, v125
	v_fma_f32 v125, v4, v125, -v2
	v_fma_f32 v6, v6, v123, -v3
	ds_read2_b64 v[2:5], v1 offset0:69 offset1:70
	v_fmac_f32_e32 v127, v7, v123
	s_waitcnt vmcnt(25) lgkmcnt(1)
	v_mul_f32_e32 v7, v118, v124
	v_mul_f32_e32 v123, v119, v124
	s_waitcnt vmcnt(24)
	v_mul_f32_e32 v124, v120, v128
	v_mul_f32_e32 v126, v121, v128
	v_fmac_f32_e32 v7, v119, v122
	v_fma_f32 v122, v118, v122, -v123
	s_waitcnt vmcnt(20)
	v_fmac_f32_e32 v124, v121, v137
	v_fma_f32 v123, v120, v137, -v126
	ds_read2_b64 v[118:121], v1 offset0:71 offset1:72
	s_waitcnt vmcnt(19) lgkmcnt(1)
	v_mul_f32_e32 v126, v2, v135
	v_mul_f32_e32 v128, v3, v135
	s_waitcnt vmcnt(18)
	v_mul_f32_e32 v135, v4, v134
	v_mul_f32_e32 v134, v5, v134
	v_fmac_f32_e32 v126, v3, v133
	v_fma_f32 v128, v2, v133, -v128
	v_fmac_f32_e32 v135, v5, v131
	v_fma_f32 v131, v4, v131, -v134
	ds_read2_b64 v[2:5], v1 offset0:73 offset1:74
	s_waitcnt vmcnt(17) lgkmcnt(1)
	v_mul_f32_e32 v133, v118, v132
	v_mul_f32_e32 v132, v119, v132
	s_waitcnt vmcnt(16)
	v_mul_f32_e32 v134, v120, v136
	v_mul_f32_e32 v136, v121, v136
	v_fmac_f32_e32 v133, v119, v130
	v_fma_f32 v130, v118, v130, -v132
	s_waitcnt vmcnt(12)
	v_fmac_f32_e32 v134, v121, v145
	v_fma_f32 v132, v120, v145, -v136
	ds_read2_b64 v[118:121], v1 offset0:75 offset1:76
	buffer_load_dword v145, off, s[0:3], 0 offset:204
	s_waitcnt vmcnt(12) lgkmcnt(1)
	v_mul_f32_e32 v136, v2, v143
	v_mul_f32_e32 v137, v3, v143
	s_waitcnt vmcnt(11)
	v_mul_f32_e32 v143, v4, v142
	v_mul_f32_e32 v142, v5, v142
	v_fmac_f32_e32 v136, v3, v141
	v_fma_f32 v137, v2, v141, -v137
	v_fmac_f32_e32 v143, v5, v139
	v_fma_f32 v139, v4, v139, -v142
	ds_read2_b64 v[2:5], v1 offset0:77 offset1:78
	s_waitcnt vmcnt(10) lgkmcnt(1)
	v_mul_f32_e32 v141, v118, v140
	v_mul_f32_e32 v140, v119, v140
	s_waitcnt vmcnt(9)
	v_mul_f32_e32 v142, v120, v144
	v_mul_f32_e32 v144, v121, v144
	v_fmac_f32_e32 v141, v119, v138
	v_fma_f32 v138, v118, v138, -v140
	s_waitcnt vmcnt(5)
	v_fmac_f32_e32 v142, v121, v154
	v_fma_f32 v140, v120, v154, -v144
	ds_read2_b64 v[118:121], v1 offset0:79 offset1:80
	s_waitcnt vmcnt(4) lgkmcnt(1)
	v_mul_f32_e32 v144, v2, v153
	v_mul_f32_e32 v153, v3, v153
	s_waitcnt vmcnt(3)
	v_mul_f32_e32 v154, v4, v152
	v_mul_f32_e32 v152, v5, v152
	v_fmac_f32_e32 v144, v3, v151
	v_fma_f32 v151, v2, v151, -v153
	v_fmac_f32_e32 v154, v5, v150
	v_fma_f32 v150, v4, v150, -v152
	s_clause 0x4
	buffer_load_dword v152, off, s[0:3], 0 offset:232
	buffer_load_dword v153, off, s[0:3], 0 offset:224
	buffer_load_dword v160, off, s[0:3], 0 offset:216
	buffer_load_dword v2, off, s[0:3], 0 offset:208
	buffer_load_dword v161, off, s[0:3], 0 offset:220
	s_waitcnt vmcnt(5) lgkmcnt(0)
	v_mul_f32_e32 v162, v118, v145
	v_mul_f32_e32 v3, v119, v145
	v_fmac_f32_e32 v162, v119, v149
	v_fma_f32 v145, v118, v149, -v3
	v_mul_f32_e32 v149, v120, v159
	v_mul_f32_e32 v3, v121, v159
	s_waitcnt vmcnt(1)
	v_fmac_f32_e32 v149, v121, v2
	v_fma_f32 v159, v120, v2, -v3
	ds_read2_b64 v[2:5], v1 offset0:81 offset1:82
	ds_read2_b64 v[118:121], v1 offset0:83 offset1:84
	s_waitcnt vmcnt(0) lgkmcnt(1)
	v_mul_f32_e32 v170, v2, v161
	v_mul_f32_e32 v161, v3, v161
	v_fmac_f32_e32 v170, v3, v160
	v_fma_f32 v160, v2, v160, -v161
	buffer_load_dword v2, off, s[0:3], 0 offset:228
	v_add_f32_e32 v3, 0, v11
	v_add_f32_e32 v3, v3, v163
	;; [unrolled: 1-line block ×11, first 2 shown]
	s_waitcnt vmcnt(0)
	v_mul_f32_e32 v161, v4, v2
	v_mul_f32_e32 v2, v5, v2
	v_fmac_f32_e32 v161, v5, v153
	v_fma_f32 v153, v4, v153, -v2
	s_clause 0x1
	buffer_load_dword v4, off, s[0:3], 0 offset:236
	buffer_load_dword v5, off, s[0:3], 0 offset:244
	v_add_f32_e32 v2, 0, v148
	v_add_f32_e32 v2, v2, v146
	s_clause 0x5
	buffer_load_dword v11, off, s[0:3], 0 offset:264
	buffer_load_dword v146, off, s[0:3], 0 offset:256
	;; [unrolled: 1-line block ×6, first 2 shown]
	v_add_f32_e32 v2, v2, v164
	buffer_load_dword v164, off, s[0:3], 0 offset:252
	v_add_f32_e32 v2, v2, v165
	buffer_load_dword v165, off, s[0:3], 0 offset:268
	v_add_f32_e32 v2, v2, v168
	v_add_f32_e32 v2, v2, v169
	;; [unrolled: 1-line block ×4, first 2 shown]
	s_clause 0x3
	buffer_load_dword v8, off, s[0:3], 0 offset:296
	buffer_load_dword v129, off, s[0:3], 0 offset:288
	;; [unrolled: 1-line block ×4, first 2 shown]
	v_add_f32_e32 v2, v2, v158
	buffer_load_dword v158, off, s[0:3], 0 offset:284
	v_add_f32_e32 v2, v2, v127
	s_clause 0x1
	buffer_load_dword v125, off, s[0:3], 0 offset:292
	buffer_load_dword v127, off, s[0:3], 0 offset:300
	v_add_f32_e32 v2, v2, v7
	s_waitcnt vmcnt(16) lgkmcnt(0)
	v_mul_f32_e32 v6, v118, v4
	v_mul_f32_e32 v4, v119, v4
	s_waitcnt vmcnt(15)
	v_mul_f32_e32 v7, v120, v5
	v_mul_f32_e32 v122, v121, v5
	v_fmac_f32_e32 v6, v119, v152
	v_fma_f32 v152, v118, v152, -v4
	v_add_f32_e32 v118, v2, v124
	v_add_f32_e32 v119, v3, v123
	ds_read2_b64 v[2:5], v1 offset0:85 offset1:86
	s_waitcnt vmcnt(11)
	v_fmac_f32_e32 v7, v121, v163
	v_fma_f32 v122, v120, v163, -v122
	v_add_f32_e32 v118, v118, v126
	v_add_f32_e32 v119, v119, v128
	s_clause 0x4
	buffer_load_dword v126, off, s[0:3], 0 offset:308
	buffer_load_dword v163, off, s[0:3], 0 offset:328
	;; [unrolled: 1-line block ×5, first 2 shown]
	v_add_f32_e32 v118, v118, v135
	v_add_f32_e32 v119, v119, v131
	;; [unrolled: 1-line block ×4, first 2 shown]
	s_clause 0x2
	buffer_load_dword v130, off, s[0:3], 0 offset:316
	buffer_load_dword v131, off, s[0:3], 0 offset:324
	;; [unrolled: 1-line block ×3, first 2 shown]
	v_add_f32_e32 v123, v118, v134
	v_add_f32_e32 v124, v119, v132
	ds_read2_b64 v[118:121], v1 offset0:87 offset1:88
	s_waitcnt vmcnt(16) lgkmcnt(1)
	v_mul_f32_e32 v132, v2, v164
	v_mul_f32_e32 v134, v3, v164
	v_add_f32_e32 v123, v123, v136
	v_add_f32_e32 v124, v124, v137
	v_mul_f32_e32 v135, v4, v10
	v_fmac_f32_e32 v132, v3, v148
	v_mul_f32_e32 v10, v5, v10
	v_add_f32_e32 v3, v123, v143
	v_add_f32_e32 v123, v124, v139
	v_fma_f32 v124, v2, v148, -v134
	v_fmac_f32_e32 v135, v5, v146
	v_fma_f32 v10, v4, v146, -v10
	v_add_f32_e32 v2, v3, v141
	v_add_f32_e32 v3, v123, v138
	s_clause 0x7
	buffer_load_dword v138, off, s[0:3], 0 offset:340
	buffer_load_dword v139, off, s[0:3], 0 offset:348
	;; [unrolled: 1-line block ×8, first 2 shown]
	v_add_f32_e32 v2, v2, v142
	v_add_f32_e32 v3, v3, v140
	s_waitcnt vmcnt(23) lgkmcnt(0)
	v_mul_f32_e32 v134, v118, v165
	v_mul_f32_e32 v4, v119, v165
	s_clause 0x3
	buffer_load_dword v140, off, s[0:3], 0 offset:372
	buffer_load_dword v142, off, s[0:3], 0 offset:380
	;; [unrolled: 1-line block ×4, first 2 shown]
	v_add_f32_e32 v2, v2, v144
	s_clause 0x1
	buffer_load_dword v144, off, s[0:3], 0 offset:404
	buffer_load_dword v171, off, s[0:3], 0 offset:412
	v_fmac_f32_e32 v134, v119, v11
	v_fma_f32 v11, v118, v11, -v4
	v_add_f32_e32 v118, v3, v151
	v_mul_f32_e32 v3, v121, v155
	v_add_f32_e32 v119, v2, v154
	buffer_load_dword v151, off, s[0:3], 0 offset:420
	v_mul_f32_e32 v136, v120, v155
	v_add_f32_e32 v118, v118, v150
	s_waitcnt vmcnt(26)
	v_fma_f32 v137, v120, v157, -v3
	ds_read2_b64 v[2:5], v1 offset0:89 offset1:90
	v_add_f32_e32 v119, v119, v162
	v_fmac_f32_e32 v136, v121, v157
	v_add_f32_e32 v118, v118, v145
	v_add_f32_e32 v119, v119, v149
	s_clause 0x3
	buffer_load_dword v145, off, s[0:3], 0 offset:392
	buffer_load_dword v149, off, s[0:3], 0 offset:384
	;; [unrolled: 1-line block ×4, first 2 shown]
	v_add_f32_e32 v118, v118, v159
	v_add_f32_e32 v123, v119, v170
	;; [unrolled: 1-line block ×3, first 2 shown]
	ds_read2_b64 v[118:121], v1 offset0:91 offset1:92
	v_add_f32_e32 v123, v123, v161
	s_waitcnt vmcnt(29) lgkmcnt(1)
	v_mul_f32_e32 v157, v2, v158
	v_mul_f32_e32 v158, v3, v158
	v_fmac_f32_e32 v157, v3, v156
	v_fma_f32 v156, v2, v156, -v158
	v_add_f32_e32 v2, v155, v153
	v_add_f32_e32 v3, v123, v6
	s_clause 0x2
	buffer_load_dword v6, off, s[0:3], 0 offset:416
	buffer_load_dword v153, off, s[0:3], 0 offset:408
	;; [unrolled: 1-line block ×3, first 2 shown]
	s_waitcnt vmcnt(31)
	v_mul_f32_e32 v123, v5, v125
	v_add_f32_e32 v2, v2, v152
	buffer_load_dword v152, off, s[0:3], 0 offset:16
	v_add_f32_e32 v3, v3, v7
	v_mul_f32_e32 v7, v4, v125
	v_fma_f32 v158, v4, v129, -v123
	v_add_f32_e32 v122, v2, v122
	v_fmac_f32_e32 v7, v5, v129
	v_add_f32_e32 v129, v3, v132
	v_add_f32_e32 v132, v122, v124
	ds_read2_b64 v[2:5], v1 offset0:93 offset1:94
	ds_read2_b64 v[122:125], v1 offset0:95 offset1:96
	v_add_f32_e32 v129, v129, v135
	v_add_f32_e32 v10, v132, v10
	s_waitcnt vmcnt(31) lgkmcnt(2)
	v_mul_f32_e32 v135, v118, v127
	v_mul_f32_e32 v127, v119, v127
	v_add_f32_e32 v132, v129, v134
	v_add_f32_e32 v10, v10, v11
	v_fmac_f32_e32 v135, v119, v8
	v_fma_f32 v8, v118, v8, -v127
	v_add_f32_e32 v11, v132, v136
	v_add_f32_e32 v10, v10, v137
	;; [unrolled: 1-line block ×7, first 2 shown]
	s_waitcnt vmcnt(30)
	v_mul_f32_e32 v159, v120, v126
	v_mul_f32_e32 v126, v121, v126
	s_waitcnt vmcnt(26)
	v_fmac_f32_e32 v159, v121, v128
	v_fma_f32 v160, v120, v128, -v126
	ds_read2_b64 v[118:121], v1 offset0:97 offset1:98
	ds_read2_b64 v[126:129], v1 offset0:99 offset1:100
	v_add_f32_e32 v7, v7, v159
	s_waitcnt vmcnt(25) lgkmcnt(3)
	v_mul_f32_e32 v161, v2, v130
	s_waitcnt vmcnt(24)
	v_mul_f32_e32 v162, v4, v131
	v_mul_f32_e32 v130, v3, v130
	;; [unrolled: 1-line block ×3, first 2 shown]
	s_waitcnt vmcnt(23) lgkmcnt(2)
	v_mul_f32_e32 v134, v123, v133
	v_mul_f32_e32 v157, v122, v133
	v_fmac_f32_e32 v161, v3, v167
	v_fmac_f32_e32 v162, v5, v166
	v_fma_f32 v167, v2, v167, -v130
	v_fma_f32 v156, v4, v166, -v131
	ds_read2_b64 v[2:5], v1 offset0:101 offset1:102
	ds_read2_b64 v[130:133], v1 offset0:103 offset1:104
	v_fma_f32 v11, v122, v163, -v134
	ds_read2_b64 v[134:137], v1 offset0:105 offset1:106
	v_add_f32_e32 v1, v10, v8
	v_add_f32_e32 v7, v7, v161
	s_waitcnt vmcnt(22)
	v_mul_f32_e32 v10, v125, v138
	v_fmac_f32_e32 v157, v123, v163
	v_mul_f32_e32 v8, v124, v138
	v_add_f32_e32 v1, v1, v160
	v_add_f32_e32 v7, v7, v162
	s_waitcnt vmcnt(21) lgkmcnt(4)
	v_mul_f32_e32 v138, v119, v139
	v_mul_f32_e32 v122, v118, v139
	s_waitcnt vmcnt(15)
	v_fma_f32 v10, v124, v168, -v10
	v_add_f32_e32 v1, v1, v167
	v_fmac_f32_e32 v8, v125, v168
	v_add_f32_e32 v7, v7, v157
	v_mul_f32_e32 v123, v120, v141
	v_mul_f32_e32 v141, v121, v141
	v_add_f32_e32 v1, v1, v156
	v_fma_f32 v118, v118, v164, -v138
	v_fmac_f32_e32 v122, v119, v164
	v_add_f32_e32 v7, v7, v8
	s_waitcnt lgkmcnt(3)
	v_mul_f32_e32 v8, v127, v143
	v_add_f32_e32 v1, v1, v11
	v_mul_f32_e32 v124, v126, v143
	v_fmac_f32_e32 v123, v121, v148
	v_add_f32_e32 v7, v7, v122
	v_fma_f32 v8, v126, v146, -v8
	v_add_f32_e32 v1, v1, v10
	v_fma_f32 v10, v120, v148, -v141
	s_waitcnt vmcnt(14)
	v_mul_f32_e32 v125, v128, v140
	v_fmac_f32_e32 v124, v127, v146
	v_add_f32_e32 v7, v7, v123
	v_add_f32_e32 v1, v1, v118
	v_mul_f32_e32 v118, v129, v140
	s_waitcnt vmcnt(13) lgkmcnt(2)
	v_mul_f32_e32 v139, v2, v142
	s_waitcnt vmcnt(12)
	v_mul_f32_e32 v158, v4, v165
	v_add_f32_e32 v7, v7, v124
	v_add_f32_e32 v1, v1, v10
	v_mul_f32_e32 v10, v3, v142
	s_waitcnt vmcnt(4)
	v_fma_f32 v118, v128, v154, -v118
	v_fmac_f32_e32 v125, v129, v154
	v_fmac_f32_e32 v139, v3, v150
	v_add_f32_e32 v1, v1, v8
	v_mul_f32_e32 v8, v5, v165
	v_fma_f32 v2, v2, v150, -v10
	v_add_f32_e32 v3, v7, v125
	s_waitcnt lgkmcnt(1)
	v_mul_f32_e32 v7, v131, v169
	v_add_f32_e32 v1, v1, v118
	v_fma_f32 v4, v4, v149, -v8
	v_mul_f32_e32 v159, v130, v169
	v_fmac_f32_e32 v158, v5, v149
	v_fma_f32 v5, v130, v145, -v7
	v_add_f32_e32 v1, v1, v2
	v_add_f32_e32 v2, v3, v139
	v_mul_f32_e32 v3, v133, v144
	v_mul_f32_e32 v156, v132, v144
	v_fmac_f32_e32 v159, v131, v145
	v_add_f32_e32 v1, v1, v4
	v_add_f32_e32 v2, v2, v158
	s_waitcnt lgkmcnt(0)
	v_mul_f32_e32 v4, v135, v171
	s_waitcnt vmcnt(1)
	v_fma_f32 v3, v132, v155, -v3
	v_mul_f32_e32 v160, v134, v171
	v_add_f32_e32 v1, v1, v5
	v_fmac_f32_e32 v156, v133, v155
	v_add_f32_e32 v2, v2, v159
	v_mul_f32_e32 v5, v137, v151
	v_fma_f32 v4, v134, v153, -v4
	v_add_f32_e32 v1, v1, v3
	v_mul_f32_e32 v11, v136, v151
	v_fmac_f32_e32 v160, v135, v153
	v_add_f32_e32 v2, v2, v156
	v_fma_f32 v3, v136, v6, -v5
	v_add_f32_e32 v1, v1, v4
	v_fmac_f32_e32 v11, v137, v6
	v_add_f32_e32 v2, v2, v160
	v_add_f32_e32 v1, v1, v3
	;; [unrolled: 1-line block ×3, first 2 shown]
	s_waitcnt vmcnt(0)
	v_sub_f32_e32 v1, v152, v1
	v_sub_f32_e32 v2, v147, v2
	buffer_store_dword v1, off, s[0:3], 0 offset:16
	buffer_store_dword v2, off, s[0:3], 0 offset:20
	v_cmpx_lt_u32_e32 1, v0
	s_cbranch_execz .LBB116_329
; %bb.328:
	s_clause 0x1
	buffer_load_dword v1, off, s[0:3], 0 offset:8
	buffer_load_dword v2, off, s[0:3], 0 offset:12
	v_mov_b32_e32 v3, 0
	buffer_store_dword v3, off, s[0:3], 0 offset:8
	buffer_store_dword v3, off, s[0:3], 0 offset:12
	s_waitcnt vmcnt(0)
	ds_write_b64 v9, v[1:2]
.LBB116_329:
	s_or_b32 exec_lo, exec_lo, s4
	s_waitcnt lgkmcnt(0)
	s_waitcnt_vscnt null, 0x0
	s_barrier
	buffer_gl0_inv
	s_clause 0x2c
	buffer_load_dword v154, off, s[0:3], 0 offset:20
	buffer_load_dword v155, off, s[0:3], 0 offset:28
	;; [unrolled: 1-line block ×45, first 2 shown]
	v_mov_b32_e32 v118, 0
	ds_read_b128 v[5:8], v118 offset:448
	ds_read_b128 v[1:4], v118 offset:464
	s_mov_b32 s4, exec_lo
	s_clause 0x1
	buffer_load_dword v165, off, s[0:3], 0 offset:196
	buffer_load_dword v166, off, s[0:3], 0 offset:204
	s_waitcnt vmcnt(46) lgkmcnt(1)
	v_mul_f32_e32 v156, v5, v154
	v_mul_f32_e32 v163, v6, v154
	s_waitcnt vmcnt(45)
	v_mul_f32_e32 v154, v7, v155
	v_mul_f32_e32 v164, v8, v155
	buffer_load_dword v155, off, s[0:3], 0 offset:12
	s_waitcnt vmcnt(43)
	v_fmac_f32_e32 v156, v6, v125
	v_fma_f32 v125, v5, v125, -v163
	v_fmac_f32_e32 v154, v8, v122
	v_fma_f32 v122, v7, v122, -v164
	ds_read_b128 v[5:8], v118 offset:480
	s_waitcnt vmcnt(42) lgkmcnt(1)
	v_mul_f32_e32 v163, v1, v119
	s_waitcnt vmcnt(41)
	v_mul_f32_e32 v164, v3, v120
	v_mul_f32_e32 v119, v2, v119
	;; [unrolled: 1-line block ×3, first 2 shown]
	v_fmac_f32_e32 v163, v2, v10
	s_waitcnt vmcnt(37)
	v_fmac_f32_e32 v164, v4, v128
	v_fma_f32 v10, v1, v10, -v119
	v_fma_f32 v119, v3, v128, -v120
	ds_read_b128 v[1:4], v118 offset:496
	s_waitcnt vmcnt(36) lgkmcnt(1)
	v_mul_f32_e32 v120, v5, v127
	v_mul_f32_e32 v127, v6, v127
	s_waitcnt vmcnt(35)
	v_mul_f32_e32 v128, v7, v126
	v_mul_f32_e32 v126, v8, v126
	v_fmac_f32_e32 v120, v6, v124
	v_fma_f32 v124, v5, v124, -v127
	v_fmac_f32_e32 v128, v8, v121
	v_fma_f32 v121, v7, v121, -v126
	ds_read_b128 v[5:8], v118 offset:512
	s_waitcnt vmcnt(34) lgkmcnt(1)
	v_mul_f32_e32 v126, v1, v123
	v_mul_f32_e32 v123, v2, v123
	s_waitcnt vmcnt(33)
	v_mul_f32_e32 v127, v3, v129
	v_mul_f32_e32 v129, v4, v129
	v_fmac_f32_e32 v126, v2, v11
	v_fma_f32 v11, v1, v11, -v123
	s_waitcnt vmcnt(29)
	v_fmac_f32_e32 v127, v4, v137
	v_fma_f32 v123, v3, v137, -v129
	ds_read_b128 v[1:4], v118 offset:528
	s_waitcnt vmcnt(28) lgkmcnt(1)
	v_mul_f32_e32 v129, v5, v135
	v_mul_f32_e32 v135, v6, v135
	s_waitcnt vmcnt(27)
	v_mul_f32_e32 v137, v7, v134
	v_mul_f32_e32 v134, v8, v134
	v_fmac_f32_e32 v129, v6, v133
	v_fma_f32 v133, v5, v133, -v135
	v_fmac_f32_e32 v137, v8, v131
	v_fma_f32 v131, v7, v131, -v134
	ds_read_b128 v[5:8], v118 offset:544
	s_waitcnt vmcnt(26) lgkmcnt(1)
	v_mul_f32_e32 v134, v1, v132
	v_mul_f32_e32 v132, v2, v132
	s_waitcnt vmcnt(25)
	v_mul_f32_e32 v135, v3, v136
	v_mul_f32_e32 v136, v4, v136
	v_fmac_f32_e32 v134, v2, v130
	v_fma_f32 v130, v1, v130, -v132
	s_waitcnt vmcnt(21)
	v_fmac_f32_e32 v135, v4, v145
	;; [unrolled: 23-line block ×4, first 2 shown]
	v_fma_f32 v148, v3, v162, -v153
	ds_read_b128 v[1:4], v118 offset:624
	s_waitcnt vmcnt(4) lgkmcnt(1)
	v_mul_f32_e32 v153, v5, v161
	v_mul_f32_e32 v161, v6, v161
	s_waitcnt vmcnt(3)
	v_mul_f32_e32 v162, v7, v160
	v_mul_f32_e32 v160, v8, v160
	v_fmac_f32_e32 v153, v6, v159
	v_fma_f32 v159, v5, v159, -v161
	v_fmac_f32_e32 v162, v8, v158
	v_fma_f32 v158, v7, v158, -v160
	s_clause 0x4
	buffer_load_dword v160, off, s[0:3], 0 offset:224
	buffer_load_dword v161, off, s[0:3], 0 offset:216
	;; [unrolled: 1-line block ×5, first 2 shown]
	s_waitcnt vmcnt(7) lgkmcnt(0)
	v_mul_f32_e32 v169, v1, v165
	v_mul_f32_e32 v6, v2, v165
	s_waitcnt vmcnt(6)
	v_mul_f32_e32 v165, v3, v166
	v_fmac_f32_e32 v169, v2, v157
	v_fma_f32 v157, v1, v157, -v6
	v_mul_f32_e32 v1, v4, v166
	s_waitcnt vmcnt(1)
	v_fmac_f32_e32 v165, v4, v5
	v_fma_f32 v166, v3, v5, -v1
	ds_read_b128 v[1:4], v118 offset:640
	ds_read_b128 v[5:8], v118 offset:656
	s_waitcnt vmcnt(0) lgkmcnt(1)
	v_mul_f32_e32 v170, v1, v168
	v_mul_f32_e32 v168, v2, v168
	v_fmac_f32_e32 v170, v2, v167
	v_fma_f32 v167, v1, v167, -v168
	buffer_load_dword v1, off, s[0:3], 0 offset:220
	s_waitcnt vmcnt(0)
	v_mul_f32_e32 v168, v3, v1
	v_mul_f32_e32 v1, v4, v1
	v_fmac_f32_e32 v168, v4, v161
	v_fma_f32 v161, v3, v161, -v1
	buffer_load_dword v1, off, s[0:3], 0 offset:228
	s_waitcnt vmcnt(0) lgkmcnt(0)
	v_mul_f32_e32 v171, v5, v1
	v_mul_f32_e32 v1, v6, v1
	v_fmac_f32_e32 v171, v6, v160
	v_fma_f32 v160, v5, v160, -v1
	s_clause 0x5
	buffer_load_dword v1, off, s[0:3], 0 offset:236
	buffer_load_dword v172, off, s[0:3], 0 offset:256
	;; [unrolled: 1-line block ×6, first 2 shown]
	s_waitcnt vmcnt(5)
	v_mul_f32_e32 v175, v7, v1
	v_mul_f32_e32 v1, v8, v1
	s_waitcnt vmcnt(1)
	v_fmac_f32_e32 v175, v8, v2
	v_fma_f32 v176, v7, v2, -v1
	ds_read_b128 v[1:4], v118 offset:672
	ds_read_b128 v[5:8], v118 offset:688
	s_waitcnt vmcnt(0) lgkmcnt(1)
	v_mul_f32_e32 v178, v1, v177
	v_mul_f32_e32 v177, v2, v177
	v_fmac_f32_e32 v178, v2, v174
	v_fma_f32 v174, v1, v174, -v177
	buffer_load_dword v1, off, s[0:3], 0 offset:252
	s_waitcnt vmcnt(0)
	v_mul_f32_e32 v177, v3, v1
	v_mul_f32_e32 v1, v4, v1
	v_fmac_f32_e32 v177, v4, v173
	v_fma_f32 v173, v3, v173, -v1
	buffer_load_dword v1, off, s[0:3], 0 offset:260
	s_waitcnt vmcnt(0) lgkmcnt(0)
	v_mul_f32_e32 v179, v5, v1
	v_mul_f32_e32 v1, v6, v1
	v_fmac_f32_e32 v179, v6, v172
	v_fma_f32 v172, v5, v172, -v1
	s_clause 0x5
	buffer_load_dword v1, off, s[0:3], 0 offset:268
	buffer_load_dword v180, off, s[0:3], 0 offset:288
	;; [unrolled: 1-line block ×6, first 2 shown]
	s_waitcnt vmcnt(5)
	v_mul_f32_e32 v183, v7, v1
	v_mul_f32_e32 v1, v8, v1
	s_waitcnt vmcnt(1)
	v_fmac_f32_e32 v183, v8, v2
	v_fma_f32 v184, v7, v2, -v1
	ds_read_b128 v[1:4], v118 offset:704
	ds_read_b128 v[5:8], v118 offset:720
	s_waitcnt vmcnt(0) lgkmcnt(1)
	v_mul_f32_e32 v186, v1, v185
	v_mul_f32_e32 v185, v2, v185
	v_fmac_f32_e32 v186, v2, v182
	v_fma_f32 v182, v1, v182, -v185
	buffer_load_dword v1, off, s[0:3], 0 offset:284
	s_waitcnt vmcnt(0)
	v_mul_f32_e32 v185, v3, v1
	v_mul_f32_e32 v1, v4, v1
	v_fmac_f32_e32 v185, v4, v181
	v_fma_f32 v181, v3, v181, -v1
	buffer_load_dword v1, off, s[0:3], 0 offset:292
	s_waitcnt vmcnt(0) lgkmcnt(0)
	v_mul_f32_e32 v187, v5, v1
	v_mul_f32_e32 v1, v6, v1
	v_fmac_f32_e32 v187, v6, v180
	v_fma_f32 v180, v5, v180, -v1
	s_clause 0x4
	buffer_load_dword v1, off, s[0:3], 0 offset:300
	buffer_load_dword v188, off, s[0:3], 0 offset:320
	;; [unrolled: 1-line block ×5, first 2 shown]
	s_waitcnt vmcnt(4)
	v_mul_f32_e32 v191, v7, v1
	v_mul_f32_e32 v1, v8, v1
	s_waitcnt vmcnt(0)
	v_fmac_f32_e32 v191, v8, v2
	v_fma_f32 v192, v7, v2, -v1
	v_add_f32_e32 v2, 0, v125
	v_add_f32_e32 v1, 0, v156
	;; [unrolled: 1-line block ×6, first 2 shown]
	buffer_load_dword v10, off, s[0:3], 0 offset:308
	v_add_f32_e32 v2, v2, v119
	v_add_f32_e32 v1, v1, v164
	v_add_f32_e32 v2, v2, v124
	v_add_f32_e32 v1, v1, v120
	v_add_f32_e32 v2, v2, v121
	v_add_f32_e32 v1, v1, v128
	buffer_load_dword v128, off, s[0:3], 0 offset:332
	v_add_f32_e32 v2, v2, v11
	buffer_load_dword v11, off, s[0:3], 0 offset:316
	v_add_f32_e32 v1, v1, v126
	v_add_f32_e32 v2, v2, v123
	;; [unrolled: 1-line block ×3, first 2 shown]
	buffer_load_dword v127, off, s[0:3], 0 offset:324
	v_add_f32_e32 v2, v2, v133
	v_add_f32_e32 v1, v1, v129
	;; [unrolled: 1-line block ×7, first 2 shown]
	s_clause 0x3
	buffer_load_dword v131, off, s[0:3], 0 offset:352
	buffer_load_dword v132, off, s[0:3], 0 offset:344
	;; [unrolled: 1-line block ×4, first 2 shown]
	v_add_f32_e32 v1, v1, v135
	v_add_f32_e32 v2, v2, v141
	;; [unrolled: 1-line block ×3, first 2 shown]
	s_clause 0x2
	buffer_load_dword v135, off, s[0:3], 0 offset:340
	buffer_load_dword v136, off, s[0:3], 0 offset:348
	;; [unrolled: 1-line block ×3, first 2 shown]
	v_add_f32_e32 v2, v2, v139
	v_add_f32_e32 v1, v1, v145
	;; [unrolled: 1-line block ×5, first 2 shown]
	s_clause 0x3
	buffer_load_dword v138, off, s[0:3], 0 offset:364
	buffer_load_dword v139, off, s[0:3], 0 offset:372
	;; [unrolled: 1-line block ×4, first 2 shown]
	v_add_f32_e32 v1, v1, v143
	s_clause 0x1
	buffer_load_dword v142, off, s[0:3], 0 offset:396
	buffer_load_dword v143, off, s[0:3], 0 offset:404
	v_add_f32_e32 v2, v2, v149
	v_add_f32_e32 v1, v1, v144
	s_clause 0x1
	buffer_load_dword v144, off, s[0:3], 0 offset:412
	buffer_load_dword v145, off, s[0:3], 0 offset:420
	v_add_f32_e32 v2, v2, v147
	v_add_f32_e32 v1, v1, v152
	;; [unrolled: 1-line block ×5, first 2 shown]
	s_clause 0x3
	buffer_load_dword v146, off, s[0:3], 0 offset:384
	buffer_load_dword v147, off, s[0:3], 0 offset:376
	;; [unrolled: 1-line block ×4, first 2 shown]
	v_add_f32_e32 v1, v1, v151
	v_add_f32_e32 v2, v2, v159
	;; [unrolled: 1-line block ×3, first 2 shown]
	s_clause 0x4
	buffer_load_dword v150, off, s[0:3], 0 offset:416
	buffer_load_dword v151, off, s[0:3], 0 offset:408
	buffer_load_dword v152, off, s[0:3], 0 offset:400
	buffer_load_dword v153, off, s[0:3], 0 offset:392
	buffer_load_dword v154, off, s[0:3], 0 offset:8
	v_add_f32_e32 v2, v2, v158
	v_add_f32_e32 v1, v1, v162
	;; [unrolled: 1-line block ×10, first 2 shown]
	ds_read_b128 v[1:4], v118 offset:736
	v_add_f32_e32 v6, v6, v160
	v_add_f32_e32 v5, v5, v171
	;; [unrolled: 1-line block ×5, first 2 shown]
	ds_read_b128 v[5:8], v118 offset:752
	v_add_f32_e32 v119, v119, v178
	v_add_f32_e32 v120, v120, v173
	;; [unrolled: 1-line block ×3, first 2 shown]
	s_waitcnt vmcnt(27) lgkmcnt(1)
	v_mul_f32_e32 v156, v1, v10
	v_mul_f32_e32 v10, v2, v10
	v_fmac_f32_e32 v156, v2, v190
	v_add_f32_e32 v2, v120, v172
	v_fma_f32 v158, v1, v190, -v10
	v_add_f32_e32 v10, v119, v179
	v_add_f32_e32 v10, v10, v183
	s_waitcnt vmcnt(26) lgkmcnt(0)
	v_mul_f32_e32 v161, v7, v128
	v_mul_f32_e32 v162, v8, v128
	v_add_f32_e32 v10, v10, v186
	s_waitcnt vmcnt(25)
	v_mul_f32_e32 v157, v3, v11
	v_mul_f32_e32 v11, v4, v11
	v_fmac_f32_e32 v157, v4, v189
	v_fma_f32 v159, v3, v189, -v11
	v_add_f32_e32 v11, v2, v184
	s_waitcnt vmcnt(24)
	v_mul_f32_e32 v160, v5, v127
	v_mul_f32_e32 v127, v6, v127
	ds_read_b128 v[1:4], v118 offset:768
	ds_read_b128 v[119:122], v118 offset:784
	;; [unrolled: 1-line block ×3, first 2 shown]
	v_add_f32_e32 v11, v11, v182
	v_fmac_f32_e32 v160, v6, v188
	v_fma_f32 v163, v5, v188, -v127
	v_add_f32_e32 v5, v10, v185
	ds_read_b128 v[127:130], v118 offset:816
	v_add_f32_e32 v11, v11, v181
	v_add_f32_e32 v6, v11, v180
	s_waitcnt vmcnt(20)
	v_fmac_f32_e32 v161, v8, v134
	v_fma_f32 v134, v7, v134, -v162
	v_add_f32_e32 v162, v5, v187
	v_add_f32_e32 v164, v6, v192
	ds_read_b128 v[5:8], v118 offset:832
	ds_read_b64 v[10:11], v118 offset:848
	s_waitcnt vmcnt(19) lgkmcnt(5)
	v_mul_f32_e32 v165, v1, v135
	v_add_f32_e32 v162, v162, v191
	v_add_f32_e32 v158, v164, v158
	v_mul_f32_e32 v135, v2, v135
	s_waitcnt vmcnt(18)
	v_mul_f32_e32 v166, v3, v136
	v_fmac_f32_e32 v165, v2, v133
	v_add_f32_e32 v156, v162, v156
	v_add_f32_e32 v158, v158, v159
	v_fma_f32 v1, v1, v133, -v135
	v_mul_f32_e32 v136, v4, v136
	s_waitcnt vmcnt(17) lgkmcnt(4)
	v_mul_f32_e32 v162, v119, v137
	v_add_f32_e32 v156, v156, v157
	v_add_f32_e32 v158, v158, v163
	v_mul_f32_e32 v137, v120, v137
	v_fma_f32 v3, v3, v132, -v136
	v_fmac_f32_e32 v166, v4, v132
	v_add_f32_e32 v133, v156, v160
	v_add_f32_e32 v134, v158, v134
	s_waitcnt vmcnt(16)
	v_mul_f32_e32 v132, v122, v138
	v_fma_f32 v119, v119, v131, -v137
	v_mul_f32_e32 v159, v121, v138
	v_add_f32_e32 v133, v133, v161
	v_add_f32_e32 v1, v134, v1
	v_fmac_f32_e32 v162, v120, v131
	s_waitcnt vmcnt(15) lgkmcnt(3)
	v_mul_f32_e32 v164, v123, v139
	s_waitcnt vmcnt(14)
	v_mul_f32_e32 v157, v125, v140
	v_add_f32_e32 v4, v133, v165
	v_add_f32_e32 v1, v1, v3
	s_waitcnt vmcnt(13) lgkmcnt(2)
	v_mul_f32_e32 v163, v127, v141
	s_waitcnt vmcnt(12)
	v_mul_f32_e32 v2, v129, v142
	s_waitcnt vmcnt(11) lgkmcnt(1)
	v_mul_f32_e32 v135, v5, v143
	v_add_f32_e32 v3, v4, v166
	v_mul_f32_e32 v4, v124, v139
	v_add_f32_e32 v1, v1, v119
	s_waitcnt vmcnt(5)
	v_fma_f32 v120, v121, v149, -v132
	v_fmac_f32_e32 v159, v122, v149
	v_add_f32_e32 v3, v3, v162
	v_mul_f32_e32 v119, v126, v140
	v_fma_f32 v4, v123, v148, -v4
	v_add_f32_e32 v1, v1, v120
	v_fmac_f32_e32 v164, v124, v148
	v_add_f32_e32 v3, v3, v159
	v_mul_f32_e32 v120, v128, v141
	v_fma_f32 v119, v125, v147, -v119
	v_add_f32_e32 v1, v1, v4
	;; [unrolled: 5-line block ×3, first 2 shown]
	v_fmac_f32_e32 v163, v128, v146
	v_add_f32_e32 v3, v3, v157
	v_mul_f32_e32 v119, v6, v143
	s_waitcnt vmcnt(1)
	v_fma_f32 v4, v129, v153, -v4
	v_add_f32_e32 v1, v1, v120
	v_fmac_f32_e32 v2, v130, v153
	v_add_f32_e32 v3, v3, v163
	v_mul_f32_e32 v120, v8, v144
	v_fma_f32 v5, v5, v152, -v119
	v_add_f32_e32 v1, v1, v4
	v_mul_f32_e32 v156, v7, v144
	v_fmac_f32_e32 v135, v6, v152
	v_add_f32_e32 v2, v3, v2
	s_waitcnt lgkmcnt(0)
	v_mul_f32_e32 v3, v11, v145
	v_fma_f32 v4, v7, v151, -v120
	v_add_f32_e32 v1, v1, v5
	v_mul_f32_e32 v158, v10, v145
	v_fmac_f32_e32 v156, v8, v151
	v_add_f32_e32 v2, v2, v135
	v_fma_f32 v3, v10, v150, -v3
	v_add_f32_e32 v1, v1, v4
	v_fmac_f32_e32 v158, v11, v150
	v_add_f32_e32 v2, v2, v156
	v_add_f32_e32 v1, v1, v3
	;; [unrolled: 1-line block ×3, first 2 shown]
	s_waitcnt vmcnt(0)
	v_sub_f32_e32 v1, v154, v1
	v_sub_f32_e32 v2, v155, v2
	buffer_store_dword v1, off, s[0:3], 0 offset:8
	buffer_store_dword v2, off, s[0:3], 0 offset:12
	v_cmpx_ne_u32_e32 0, v0
	s_cbranch_execz .LBB116_331
; %bb.330:
	s_clause 0x1
	buffer_load_dword v0, off, s[0:3], 0
	buffer_load_dword v1, off, s[0:3], 0 offset:4
	buffer_store_dword v118, off, s[0:3], 0
	buffer_store_dword v118, off, s[0:3], 0 offset:4
	s_waitcnt vmcnt(0)
	ds_write_b64 v9, v[0:1]
.LBB116_331:
	s_or_b32 exec_lo, exec_lo, s4
	s_waitcnt lgkmcnt(0)
	s_waitcnt_vscnt null, 0x0
	s_barrier
	buffer_gl0_inv
	s_clause 0x2c
	buffer_load_dword v0, off, s[0:3], 0 offset:12
	buffer_load_dword v119, off, s[0:3], 0 offset:24
	;; [unrolled: 1-line block ×45, first 2 shown]
	ds_read2_b64 v[8:11], v118 offset0:55 offset1:56
	ds_read2_b64 v[4:7], v118 offset0:57 offset1:58
	buffer_load_dword v164, off, s[0:3], 0 offset:4
	s_and_b32 vcc_lo, exec_lo, s16
	s_waitcnt vmcnt(45) lgkmcnt(1)
	v_mul_f32_e32 v157, v8, v0
	v_mul_f32_e32 v165, v9, v0
	ds_read2_b64 v[0:3], v118 offset0:59 offset1:60
	s_waitcnt vmcnt(42)
	v_fmac_f32_e32 v157, v9, v127
	v_fma_f32 v127, v8, v127, -v165
	s_waitcnt vmcnt(41)
	v_mul_f32_e32 v165, v10, v126
	v_mul_f32_e32 v8, v11, v126
	s_waitcnt vmcnt(40) lgkmcnt(1)
	v_mul_f32_e32 v126, v4, v124
	v_mul_f32_e32 v124, v5, v124
	v_fmac_f32_e32 v165, v11, v122
	v_fma_f32 v122, v10, v122, -v8
	ds_read2_b64 v[8:11], v118 offset0:61 offset1:62
	v_fmac_f32_e32 v126, v5, v119
	v_fma_f32 v119, v4, v119, -v124
	s_waitcnt vmcnt(39)
	v_mul_f32_e32 v124, v6, v121
	v_mul_f32_e32 v4, v7, v121
	s_waitcnt vmcnt(35)
	v_fmac_f32_e32 v124, v7, v131
	v_fma_f32 v121, v6, v131, -v4
	ds_read2_b64 v[4:7], v118 offset0:63 offset1:64
	s_waitcnt vmcnt(34) lgkmcnt(2)
	v_mul_f32_e32 v131, v0, v130
	v_mul_f32_e32 v130, v1, v130
	v_fmac_f32_e32 v131, v1, v128
	v_fma_f32 v128, v0, v128, -v130
	s_waitcnt vmcnt(33)
	v_mul_f32_e32 v130, v2, v129
	v_mul_f32_e32 v0, v3, v129
	s_waitcnt vmcnt(32) lgkmcnt(1)
	v_mul_f32_e32 v129, v8, v125
	v_mul_f32_e32 v125, v9, v125
	v_fmac_f32_e32 v130, v3, v123
	v_fma_f32 v123, v2, v123, -v0
	ds_read2_b64 v[0:3], v118 offset0:65 offset1:66
	v_fmac_f32_e32 v129, v9, v120
	v_fma_f32 v120, v8, v120, -v125
	s_waitcnt vmcnt(31)
	v_mul_f32_e32 v125, v10, v132
	v_mul_f32_e32 v8, v11, v132
	s_waitcnt vmcnt(27)
	v_fmac_f32_e32 v125, v11, v140
	v_fma_f32 v132, v10, v140, -v8
	s_waitcnt vmcnt(26) lgkmcnt(1)
	v_mul_f32_e32 v140, v4, v139
	v_mul_f32_e32 v139, v5, v139
	ds_read2_b64 v[8:11], v118 offset0:67 offset1:68
	v_fmac_f32_e32 v140, v5, v136
	v_fma_f32 v136, v4, v136, -v139
	s_waitcnt vmcnt(25)
	v_mul_f32_e32 v139, v6, v137
	v_mul_f32_e32 v4, v7, v137
	s_waitcnt vmcnt(24) lgkmcnt(1)
	v_mul_f32_e32 v137, v0, v135
	v_mul_f32_e32 v135, v1, v135
	v_fmac_f32_e32 v139, v7, v134
	v_fma_f32 v134, v6, v134, -v4
	ds_read2_b64 v[4:7], v118 offset0:69 offset1:70
	v_fmac_f32_e32 v137, v1, v133
	v_fma_f32 v133, v0, v133, -v135
	s_waitcnt vmcnt(23)
	v_mul_f32_e32 v135, v2, v138
	v_mul_f32_e32 v0, v3, v138
	s_waitcnt vmcnt(19)
	v_fmac_f32_e32 v135, v3, v148
	v_fma_f32 v138, v2, v148, -v0
	s_waitcnt vmcnt(18) lgkmcnt(1)
	v_mul_f32_e32 v148, v8, v147
	v_mul_f32_e32 v147, v9, v147
	ds_read2_b64 v[0:3], v118 offset0:71 offset1:72
	v_fmac_f32_e32 v148, v9, v144
	v_fma_f32 v144, v8, v144, -v147
	s_waitcnt vmcnt(17)
	v_mul_f32_e32 v147, v10, v145
	v_mul_f32_e32 v8, v11, v145
	s_waitcnt vmcnt(16) lgkmcnt(1)
	v_mul_f32_e32 v145, v4, v143
	v_mul_f32_e32 v143, v5, v143
	v_fmac_f32_e32 v147, v11, v142
	v_fma_f32 v142, v10, v142, -v8
	ds_read2_b64 v[8:11], v118 offset0:73 offset1:74
	v_fmac_f32_e32 v145, v5, v141
	v_fma_f32 v141, v4, v141, -v143
	s_waitcnt vmcnt(15)
	v_mul_f32_e32 v143, v6, v146
	v_mul_f32_e32 v4, v7, v146
	s_waitcnt vmcnt(11)
	v_fmac_f32_e32 v143, v7, v155
	v_fma_f32 v146, v6, v155, -v4
	ds_read2_b64 v[4:7], v118 offset0:75 offset1:76
	s_waitcnt vmcnt(10) lgkmcnt(2)
	v_mul_f32_e32 v155, v0, v154
	v_mul_f32_e32 v154, v1, v154
	v_fmac_f32_e32 v155, v1, v152
	v_fma_f32 v152, v0, v152, -v154
	s_waitcnt vmcnt(9)
	v_mul_f32_e32 v154, v2, v153
	v_mul_f32_e32 v0, v3, v153
	s_waitcnt vmcnt(8) lgkmcnt(1)
	v_mul_f32_e32 v153, v8, v151
	s_waitcnt vmcnt(7)
	v_mul_f32_e32 v1, v11, v156
	v_fmac_f32_e32 v154, v3, v150
	v_fma_f32 v150, v2, v150, -v0
	v_mul_f32_e32 v0, v9, v151
	v_mul_f32_e32 v151, v10, v156
	buffer_load_dword v156, off, s[0:3], 0 offset:188
	v_fmac_f32_e32 v153, v9, v149
	s_waitcnt vmcnt(4)
	v_fma_f32 v9, v10, v163, -v1
	v_fma_f32 v8, v8, v149, -v0
	v_fmac_f32_e32 v151, v11, v163
	ds_read2_b64 v[0:3], v118 offset0:77 offset1:78
	s_waitcnt vmcnt(3) lgkmcnt(1)
	v_mul_f32_e32 v10, v4, v162
	v_mul_f32_e32 v11, v5, v162
	buffer_load_dword v162, off, s[0:3], 0 offset:196
	s_waitcnt vmcnt(3)
	v_mul_f32_e32 v149, v6, v161
	v_mul_f32_e32 v161, v7, v161
	v_fmac_f32_e32 v10, v5, v160
	v_fma_f32 v11, v4, v160, -v11
	v_fmac_f32_e32 v149, v7, v159
	v_fma_f32 v159, v6, v159, -v161
	s_clause 0x4
	buffer_load_dword v160, off, s[0:3], 0 offset:216
	buffer_load_dword v161, off, s[0:3], 0 offset:208
	;; [unrolled: 1-line block ×5, first 2 shown]
	s_waitcnt vmcnt(6) lgkmcnt(0)
	v_mul_f32_e32 v167, v0, v156
	v_mul_f32_e32 v5, v1, v156
	v_fmac_f32_e32 v167, v1, v158
	v_fma_f32 v158, v0, v158, -v5
	s_waitcnt vmcnt(5)
	v_mul_f32_e32 v156, v2, v162
	v_mul_f32_e32 v6, v3, v162
	s_waitcnt vmcnt(1)
	v_fmac_f32_e32 v156, v3, v4
	v_fma_f32 v162, v2, v4, -v6
	ds_read2_b64 v[0:3], v118 offset0:79 offset1:80
	ds_read2_b64 v[4:7], v118 offset0:81 offset1:82
	s_waitcnt vmcnt(0) lgkmcnt(1)
	v_mul_f32_e32 v168, v0, v166
	v_mul_f32_e32 v166, v1, v166
	v_fmac_f32_e32 v168, v1, v163
	v_fma_f32 v163, v0, v163, -v166
	buffer_load_dword v0, off, s[0:3], 0 offset:212
	s_waitcnt vmcnt(0)
	v_mul_f32_e32 v166, v2, v0
	v_mul_f32_e32 v0, v3, v0
	v_fmac_f32_e32 v166, v3, v161
	v_fma_f32 v161, v2, v161, -v0
	buffer_load_dword v0, off, s[0:3], 0 offset:220
	s_waitcnt vmcnt(0) lgkmcnt(0)
	v_mul_f32_e32 v169, v4, v0
	v_mul_f32_e32 v0, v5, v0
	v_fmac_f32_e32 v169, v5, v160
	v_fma_f32 v160, v4, v160, -v0
	s_clause 0x4
	buffer_load_dword v0, off, s[0:3], 0 offset:228
	buffer_load_dword v170, off, s[0:3], 0 offset:248
	;; [unrolled: 1-line block ×5, first 2 shown]
	s_waitcnt vmcnt(4)
	v_mul_f32_e32 v173, v6, v0
	v_mul_f32_e32 v0, v7, v0
	s_waitcnt vmcnt(0)
	v_fmac_f32_e32 v173, v7, v1
	v_fma_f32 v174, v6, v1, -v0
	v_add_f32_e32 v0, 0, v157
	v_add_f32_e32 v1, 0, v127
	v_add_f32_e32 v0, v0, v165
	v_add_f32_e32 v1, v1, v122
	buffer_load_dword v122, off, s[0:3], 0 offset:236
	v_add_f32_e32 v0, v0, v126
	buffer_load_dword v126, off, s[0:3], 0 offset:244
	v_add_f32_e32 v1, v1, v119
	v_add_f32_e32 v0, v0, v124
	s_clause 0x1
	buffer_load_dword v119, off, s[0:3], 0 offset:252
	buffer_load_dword v124, off, s[0:3], 0 offset:260
	v_add_f32_e32 v1, v1, v121
	v_add_f32_e32 v0, v0, v131
	;; [unrolled: 1-line block ×4, first 2 shown]
	s_clause 0x3
	buffer_load_dword v121, off, s[0:3], 0 offset:280
	buffer_load_dword v127, off, s[0:3], 0 offset:272
	;; [unrolled: 1-line block ×4, first 2 shown]
	v_add_f32_e32 v1, v1, v123
	buffer_load_dword v123, off, s[0:3], 0 offset:268
	v_add_f32_e32 v0, v0, v129
	buffer_load_dword v129, off, s[0:3], 0 offset:276
	v_add_f32_e32 v1, v1, v120
	v_add_f32_e32 v0, v0, v125
	buffer_load_dword v125, off, s[0:3], 0 offset:284
	v_add_f32_e32 v4, v1, v132
	v_add_f32_e32 v5, v0, v140
	ds_read2_b64 v[0:3], v118 offset0:83 offset1:84
	v_add_f32_e32 v4, v4, v136
	v_add_f32_e32 v5, v5, v139
	;; [unrolled: 1-line block ×5, first 2 shown]
	ds_read2_b64 v[4:7], v118 offset0:85 offset1:86
	v_add_f32_e32 v120, v120, v135
	v_add_f32_e32 v131, v131, v138
	;; [unrolled: 1-line block ×8, first 2 shown]
	s_waitcnt vmcnt(10) lgkmcnt(1)
	v_mul_f32_e32 v132, v0, v122
	v_mul_f32_e32 v122, v1, v122
	s_waitcnt vmcnt(9)
	v_mul_f32_e32 v133, v2, v126
	v_mul_f32_e32 v126, v3, v126
	v_fmac_f32_e32 v132, v1, v172
	v_fma_f32 v122, v0, v172, -v122
	s_waitcnt vmcnt(8) lgkmcnt(0)
	v_mul_f32_e32 v140, v4, v119
	v_fmac_f32_e32 v133, v3, v171
	v_fma_f32 v126, v2, v171, -v126
	ds_read2_b64 v[0:3], v118 offset0:87 offset1:88
	s_clause 0x5
	buffer_load_dword v134, off, s[0:3], 0 offset:292
	buffer_load_dword v135, off, s[0:3], 0 offset:300
	;; [unrolled: 1-line block ×6, first 2 shown]
	v_mul_f32_e32 v119, v5, v119
	s_waitcnt vmcnt(13)
	v_mul_f32_e32 v141, v6, v124
	v_mul_f32_e32 v124, v7, v124
	v_fmac_f32_e32 v140, v5, v170
	v_add_f32_e32 v5, v131, v146
	v_fma_f32 v119, v4, v170, -v119
	v_add_f32_e32 v4, v120, v143
	s_clause 0x1
	buffer_load_dword v142, off, s[0:3], 0 offset:308
	buffer_load_dword v143, off, s[0:3], 0 offset:316
	s_waitcnt vmcnt(11)
	v_fma_f32 v120, v6, v130, -v124
	buffer_load_dword v131, off, s[0:3], 0 offset:324
	v_fmac_f32_e32 v141, v7, v130
	v_add_f32_e32 v124, v4, v155
	v_add_f32_e32 v130, v5, v152
	ds_read2_b64 v[4:7], v118 offset0:89 offset1:90
	s_clause 0x3
	buffer_load_dword v145, off, s[0:3], 0 offset:344
	buffer_load_dword v146, off, s[0:3], 0 offset:336
	;; [unrolled: 1-line block ×4, first 2 shown]
	v_add_f32_e32 v124, v124, v154
	v_add_f32_e32 v130, v130, v150
	s_waitcnt vmcnt(15) lgkmcnt(1)
	v_mul_f32_e32 v144, v0, v123
	v_mul_f32_e32 v123, v1, v123
	s_clause 0x1
	buffer_load_dword v150, off, s[0:3], 0 offset:332
	buffer_load_dword v152, off, s[0:3], 0 offset:340
	v_fmac_f32_e32 v144, v1, v128
	v_fma_f32 v123, v0, v128, -v123
	v_add_f32_e32 v0, v124, v153
	v_add_f32_e32 v1, v130, v8
	s_waitcnt vmcnt(16)
	v_mul_f32_e32 v124, v2, v129
	v_mul_f32_e32 v8, v3, v129
	v_add_f32_e32 v0, v0, v151
	v_add_f32_e32 v1, v1, v9
	s_clause 0x4
	buffer_load_dword v151, off, s[0:3], 0 offset:348
	buffer_load_dword v153, off, s[0:3], 0 offset:356
	buffer_load_dword v154, off, s[0:3], 0 offset:364
	buffer_load_dword v155, off, s[0:3], 0 offset:372
	buffer_load_dword v157, off, s[0:3], 0 offset:380
	v_add_f32_e32 v0, v0, v10
	v_add_f32_e32 v1, v1, v11
	v_fmac_f32_e32 v124, v3, v127
	v_fma_f32 v127, v2, v127, -v8
	s_waitcnt vmcnt(20) lgkmcnt(0)
	v_mul_f32_e32 v10, v5, v125
	v_add_f32_e32 v0, v0, v149
	v_add_f32_e32 v1, v1, v159
	s_clause 0x4
	buffer_load_dword v149, off, s[0:3], 0 offset:388
	buffer_load_dword v165, off, s[0:3], 0 offset:396
	buffer_load_dword v170, off, s[0:3], 0 offset:404
	buffer_load_dword v171, off, s[0:3], 0 offset:412
	buffer_load_dword v159, off, s[0:3], 0 offset:420
	v_mul_f32_e32 v128, v4, v125
	v_add_f32_e32 v0, v0, v167
	v_add_f32_e32 v1, v1, v158
	v_fma_f32 v125, v4, v121, -v10
	v_fmac_f32_e32 v128, v5, v121
	v_add_f32_e32 v0, v0, v156
	s_clause 0x3
	buffer_load_dword v156, off, s[0:3], 0 offset:376
	buffer_load_dword v158, off, s[0:3], 0 offset:368
	;; [unrolled: 1-line block ×4, first 2 shown]
	v_add_f32_e32 v1, v1, v162
	v_add_f32_e32 v0, v0, v168
	;; [unrolled: 1-line block ×4, first 2 shown]
	s_clause 0x3
	buffer_load_dword v162, off, s[0:3], 0 offset:408
	buffer_load_dword v163, off, s[0:3], 0 offset:400
	;; [unrolled: 1-line block ×4, first 2 shown]
	v_add_f32_e32 v1, v1, v161
	buffer_load_dword v161, off, s[0:3], 0 offset:416
	v_add_f32_e32 v0, v0, v169
	buffer_load_dword v169, off, s[0:3], 0
	v_add_f32_e32 v1, v1, v160
	v_add_f32_e32 v0, v0, v173
	;; [unrolled: 1-line block ×4, first 2 shown]
	ds_read2_b64 v[0:3], v118 offset0:91 offset1:92
	v_add_f32_e32 v8, v8, v122
	v_add_f32_e32 v9, v9, v133
	;; [unrolled: 1-line block ×4, first 2 shown]
	ds_read2_b64 v[8:11], v118 offset0:93 offset1:94
	v_add_f32_e32 v5, v122, v119
	v_add_f32_e32 v4, v4, v141
	s_waitcnt vmcnt(34)
	v_mul_f32_e32 v119, v7, v134
	s_waitcnt vmcnt(33) lgkmcnt(1)
	v_mul_f32_e32 v132, v0, v135
	v_mul_f32_e32 v121, v1, v135
	;; [unrolled: 1-line block ×3, first 2 shown]
	s_waitcnt vmcnt(29)
	v_fma_f32 v130, v6, v139, -v119
	v_fmac_f32_e32 v132, v1, v138
	v_add_f32_e32 v1, v5, v120
	v_fma_f32 v133, v0, v138, -v121
	v_add_f32_e32 v0, v4, v144
	v_fmac_f32_e32 v129, v7, v139
	ds_read2_b64 v[4:7], v118 offset0:95 offset1:96
	ds_read2_b64 v[119:122], v118 offset0:97 offset1:98
	v_add_f32_e32 v1, v1, v123
	s_waitcnt vmcnt(27) lgkmcnt(2)
	v_mul_f32_e32 v135, v8, v143
	v_add_f32_e32 v0, v0, v124
	v_mul_f32_e32 v124, v9, v143
	v_mul_f32_e32 v134, v2, v142
	v_add_f32_e32 v1, v1, v127
	v_fmac_f32_e32 v135, v9, v136
	v_mul_f32_e32 v123, v3, v142
	v_fma_f32 v136, v8, v136, -v124
	v_add_f32_e32 v8, v0, v128
	v_add_f32_e32 v9, v1, v125
	s_waitcnt vmcnt(26)
	v_mul_f32_e32 v138, v10, v131
	v_mul_f32_e32 v127, v11, v131
	v_fmac_f32_e32 v134, v3, v137
	v_fma_f32 v131, v2, v137, -v123
	v_add_f32_e32 v140, v9, v130
	v_add_f32_e32 v137, v8, v129
	ds_read2_b64 v[0:3], v118 offset0:99 offset1:100
	ds_read2_b64 v[123:126], v118 offset0:101 offset1:102
	s_waitcnt vmcnt(22)
	v_fmac_f32_e32 v138, v11, v148
	v_fma_f32 v139, v10, v148, -v127
	v_add_f32_e32 v133, v140, v133
	ds_read2_b64 v[8:11], v118 offset0:103 offset1:104
	ds_read2_b64 v[127:130], v118 offset0:105 offset1:106
	v_add_f32_e32 v118, v137, v132
	s_waitcnt vmcnt(21) lgkmcnt(5)
	v_mul_f32_e32 v137, v5, v150
	v_mul_f32_e32 v132, v4, v150
	v_add_f32_e32 v131, v133, v131
	s_waitcnt vmcnt(20)
	v_mul_f32_e32 v141, v7, v152
	v_add_f32_e32 v118, v118, v134
	v_fma_f32 v4, v4, v147, -v137
	v_mul_f32_e32 v140, v6, v152
	v_add_f32_e32 v131, v131, v136
	v_fmac_f32_e32 v132, v5, v147
	v_add_f32_e32 v118, v118, v135
	s_waitcnt vmcnt(19) lgkmcnt(4)
	v_mul_f32_e32 v137, v120, v151
	v_fma_f32 v6, v6, v146, -v141
	v_add_f32_e32 v131, v131, v139
	v_mul_f32_e32 v134, v119, v151
	v_add_f32_e32 v118, v118, v138
	v_fmac_f32_e32 v140, v7, v146
	s_waitcnt vmcnt(18)
	v_mul_f32_e32 v142, v122, v153
	v_add_f32_e32 v4, v131, v4
	v_fma_f32 v119, v119, v145, -v137
	v_add_f32_e32 v118, v118, v132
	v_mul_f32_e32 v5, v121, v153
	v_fmac_f32_e32 v134, v120, v145
	v_add_f32_e32 v4, v4, v6
	s_waitcnt vmcnt(17) lgkmcnt(3)
	v_mul_f32_e32 v133, v0, v154
	v_add_f32_e32 v6, v118, v140
	v_mul_f32_e32 v118, v1, v154
	s_waitcnt vmcnt(6)
	v_fma_f32 v120, v121, v172, -v142
	v_add_f32_e32 v4, v4, v119
	v_fmac_f32_e32 v5, v122, v172
	v_add_f32_e32 v6, v6, v134
	v_mul_f32_e32 v119, v3, v155
	v_fmac_f32_e32 v133, v1, v167
	v_fma_f32 v0, v0, v167, -v118
	v_add_f32_e32 v1, v4, v120
	v_mul_f32_e32 v135, v2, v155
	v_add_f32_e32 v4, v6, v5
	s_waitcnt lgkmcnt(2)
	v_mul_f32_e32 v5, v124, v157
	v_fma_f32 v2, v2, v158, -v119
	v_add_f32_e32 v0, v1, v0
	v_mul_f32_e32 v136, v123, v157
	v_fmac_f32_e32 v135, v3, v158
	v_add_f32_e32 v1, v4, v133
	v_mul_f32_e32 v3, v126, v149
	v_fma_f32 v4, v123, v156, -v5
	v_add_f32_e32 v0, v0, v2
	v_mul_f32_e32 v7, v125, v149
	v_fmac_f32_e32 v136, v124, v156
	v_add_f32_e32 v1, v1, v135
	s_waitcnt lgkmcnt(1)
	v_mul_f32_e32 v2, v9, v165
	s_waitcnt vmcnt(2)
	v_fma_f32 v3, v125, v168, -v3
	v_add_f32_e32 v0, v0, v4
	v_mul_f32_e32 v141, v8, v165
	v_fmac_f32_e32 v7, v126, v168
	v_add_f32_e32 v1, v1, v136
	v_mul_f32_e32 v4, v11, v170
	v_fma_f32 v2, v8, v166, -v2
	v_add_f32_e32 v0, v0, v3
	v_mul_f32_e32 v138, v10, v170
	v_fmac_f32_e32 v141, v9, v166
	v_add_f32_e32 v1, v1, v7
	s_waitcnt lgkmcnt(0)
	v_mul_f32_e32 v3, v128, v171
	v_fma_f32 v4, v10, v163, -v4
	v_add_f32_e32 v0, v0, v2
	v_mul_f32_e32 v139, v127, v171
	v_fmac_f32_e32 v138, v11, v163
	v_add_f32_e32 v1, v1, v141
	v_mul_f32_e32 v2, v130, v159
	v_fma_f32 v3, v127, v162, -v3
	v_add_f32_e32 v0, v0, v4
	v_mul_f32_e32 v131, v129, v159
	v_fmac_f32_e32 v139, v128, v162
	v_add_f32_e32 v1, v1, v138
	s_waitcnt vmcnt(1)
	v_fma_f32 v2, v129, v161, -v2
	v_add_f32_e32 v0, v0, v3
	v_fmac_f32_e32 v131, v130, v161
	v_add_f32_e32 v1, v1, v139
	v_add_f32_e32 v0, v0, v2
	v_add_f32_e32 v1, v1, v131
	s_waitcnt vmcnt(0)
	v_sub_f32_e32 v0, v169, v0
	v_sub_f32_e32 v1, v164, v1
	buffer_store_dword v0, off, s[0:3], 0
	buffer_store_dword v1, off, s[0:3], 0 offset:4
	s_cbranch_vccz .LBB116_436
; %bb.332:
	v_mov_b32_e32 v0, 0
	global_load_dword v1, v0, s[12:13] offset:204
	s_waitcnt vmcnt(0)
	v_add_nc_u32_e32 v1, -1, v1
	v_cmp_ne_u32_e32 vcc_lo, 51, v1
	s_cbranch_vccz .LBB116_334
; %bb.333:
	v_lshlrev_b32_e32 v1, 3, v1
	s_clause 0x3
	buffer_load_dword v2, v1, s[0:3], 0 offen
	buffer_load_dword v3, v1, s[0:3], 0 offen offset:4
	buffer_load_dword v4, off, s[0:3], 0 offset:408
	buffer_load_dword v5, off, s[0:3], 0 offset:412
	s_waitcnt vmcnt(3)
	buffer_store_dword v2, off, s[0:3], 0 offset:408
	s_waitcnt vmcnt(2)
	buffer_store_dword v3, off, s[0:3], 0 offset:412
	s_waitcnt vmcnt(1)
	buffer_store_dword v4, v1, s[0:3], 0 offen
	s_waitcnt vmcnt(0)
	buffer_store_dword v5, v1, s[0:3], 0 offen offset:4
.LBB116_334:
	global_load_dword v0, v0, s[12:13] offset:200
	s_waitcnt vmcnt(0)
	v_add_nc_u32_e32 v0, -1, v0
	v_cmp_eq_u32_e32 vcc_lo, 50, v0
	s_cbranch_vccnz .LBB116_336
; %bb.335:
	v_lshlrev_b32_e32 v0, 3, v0
	s_clause 0x3
	buffer_load_dword v1, v0, s[0:3], 0 offen
	buffer_load_dword v2, v0, s[0:3], 0 offen offset:4
	buffer_load_dword v3, off, s[0:3], 0 offset:404
	buffer_load_dword v4, off, s[0:3], 0 offset:400
	s_waitcnt vmcnt(3)
	buffer_store_dword v1, off, s[0:3], 0 offset:400
	s_waitcnt vmcnt(2)
	buffer_store_dword v2, off, s[0:3], 0 offset:404
	s_waitcnt vmcnt(1)
	buffer_store_dword v3, v0, s[0:3], 0 offen offset:4
	s_waitcnt vmcnt(0)
	buffer_store_dword v4, v0, s[0:3], 0 offen
.LBB116_336:
	v_mov_b32_e32 v0, 0
	global_load_dword v1, v0, s[12:13] offset:196
	s_waitcnt vmcnt(0)
	v_add_nc_u32_e32 v1, -1, v1
	v_cmp_eq_u32_e32 vcc_lo, 49, v1
	s_cbranch_vccnz .LBB116_338
; %bb.337:
	v_lshlrev_b32_e32 v1, 3, v1
	s_clause 0x3
	buffer_load_dword v2, v1, s[0:3], 0 offen
	buffer_load_dword v3, v1, s[0:3], 0 offen offset:4
	buffer_load_dword v4, off, s[0:3], 0 offset:392
	buffer_load_dword v5, off, s[0:3], 0 offset:396
	s_waitcnt vmcnt(3)
	buffer_store_dword v2, off, s[0:3], 0 offset:392
	s_waitcnt vmcnt(2)
	buffer_store_dword v3, off, s[0:3], 0 offset:396
	s_waitcnt vmcnt(1)
	buffer_store_dword v4, v1, s[0:3], 0 offen
	s_waitcnt vmcnt(0)
	buffer_store_dword v5, v1, s[0:3], 0 offen offset:4
.LBB116_338:
	global_load_dword v0, v0, s[12:13] offset:192
	s_waitcnt vmcnt(0)
	v_add_nc_u32_e32 v0, -1, v0
	v_cmp_eq_u32_e32 vcc_lo, 48, v0
	s_cbranch_vccnz .LBB116_340
; %bb.339:
	v_lshlrev_b32_e32 v0, 3, v0
	s_clause 0x3
	buffer_load_dword v1, v0, s[0:3], 0 offen
	buffer_load_dword v2, v0, s[0:3], 0 offen offset:4
	buffer_load_dword v3, off, s[0:3], 0 offset:388
	buffer_load_dword v4, off, s[0:3], 0 offset:384
	s_waitcnt vmcnt(3)
	buffer_store_dword v1, off, s[0:3], 0 offset:384
	s_waitcnt vmcnt(2)
	buffer_store_dword v2, off, s[0:3], 0 offset:388
	s_waitcnt vmcnt(1)
	buffer_store_dword v3, v0, s[0:3], 0 offen offset:4
	s_waitcnt vmcnt(0)
	buffer_store_dword v4, v0, s[0:3], 0 offen
.LBB116_340:
	v_mov_b32_e32 v0, 0
	global_load_dword v1, v0, s[12:13] offset:188
	s_waitcnt vmcnt(0)
	v_add_nc_u32_e32 v1, -1, v1
	v_cmp_eq_u32_e32 vcc_lo, 47, v1
	s_cbranch_vccnz .LBB116_342
; %bb.341:
	v_lshlrev_b32_e32 v1, 3, v1
	s_clause 0x3
	buffer_load_dword v2, v1, s[0:3], 0 offen
	buffer_load_dword v3, v1, s[0:3], 0 offen offset:4
	buffer_load_dword v4, off, s[0:3], 0 offset:376
	buffer_load_dword v5, off, s[0:3], 0 offset:380
	s_waitcnt vmcnt(3)
	buffer_store_dword v2, off, s[0:3], 0 offset:376
	s_waitcnt vmcnt(2)
	buffer_store_dword v3, off, s[0:3], 0 offset:380
	s_waitcnt vmcnt(1)
	buffer_store_dword v4, v1, s[0:3], 0 offen
	s_waitcnt vmcnt(0)
	buffer_store_dword v5, v1, s[0:3], 0 offen offset:4
.LBB116_342:
	;; [unrolled: 43-line block ×25, first 2 shown]
	global_load_dword v0, v0, s[12:13]
	s_waitcnt vmcnt(0)
	v_add_nc_u32_e32 v0, -1, v0
	v_cmp_eq_u32_e32 vcc_lo, 0, v0
	s_cbranch_vccnz .LBB116_436
; %bb.435:
	v_lshlrev_b32_e32 v0, 3, v0
	s_clause 0x3
	buffer_load_dword v1, v0, s[0:3], 0 offen
	buffer_load_dword v2, v0, s[0:3], 0 offen offset:4
	buffer_load_dword v3, off, s[0:3], 0 offset:4
	buffer_load_dword v4, off, s[0:3], 0
	s_waitcnt vmcnt(3)
	buffer_store_dword v1, off, s[0:3], 0
	s_waitcnt vmcnt(2)
	buffer_store_dword v2, off, s[0:3], 0 offset:4
	s_waitcnt vmcnt(1)
	buffer_store_dword v3, v0, s[0:3], 0 offen offset:4
	s_waitcnt vmcnt(0)
	buffer_store_dword v4, v0, s[0:3], 0 offen
.LBB116_436:
	s_clause 0x1
	buffer_load_dword v0, off, s[0:3], 0
	buffer_load_dword v1, off, s[0:3], 0 offset:4
	s_waitcnt vmcnt(0)
	flat_store_dwordx2 v[12:13], v[0:1]
	s_clause 0x1
	buffer_load_dword v0, off, s[0:3], 0 offset:8
	buffer_load_dword v1, off, s[0:3], 0 offset:12
	s_waitcnt vmcnt(0)
	flat_store_dwordx2 v[14:15], v[0:1]
	s_clause 0x1
	buffer_load_dword v0, off, s[0:3], 0 offset:16
	;; [unrolled: 5-line block ×52, first 2 shown]
	buffer_load_dword v1, off, s[0:3], 0 offset:420
	s_waitcnt vmcnt(0)
	flat_store_dwordx2 v[116:117], v[0:1]
	s_endpgm
	.section	.rodata,"a",@progbits
	.p2align	6, 0x0
	.amdhsa_kernel _ZN9rocsolver6v33100L18getri_kernel_smallILi53E19rocblas_complex_numIfEPKPS3_EEvT1_iilPiilS8_bb
		.amdhsa_group_segment_fixed_size 856
		.amdhsa_private_segment_fixed_size 432
		.amdhsa_kernarg_size 60
		.amdhsa_user_sgpr_count 6
		.amdhsa_user_sgpr_private_segment_buffer 1
		.amdhsa_user_sgpr_dispatch_ptr 0
		.amdhsa_user_sgpr_queue_ptr 0
		.amdhsa_user_sgpr_kernarg_segment_ptr 1
		.amdhsa_user_sgpr_dispatch_id 0
		.amdhsa_user_sgpr_flat_scratch_init 0
		.amdhsa_user_sgpr_private_segment_size 0
		.amdhsa_wavefront_size32 1
		.amdhsa_uses_dynamic_stack 0
		.amdhsa_system_sgpr_private_segment_wavefront_offset 1
		.amdhsa_system_sgpr_workgroup_id_x 1
		.amdhsa_system_sgpr_workgroup_id_y 0
		.amdhsa_system_sgpr_workgroup_id_z 0
		.amdhsa_system_sgpr_workgroup_info 0
		.amdhsa_system_vgpr_workitem_id 0
		.amdhsa_next_free_vgpr 250
		.amdhsa_next_free_sgpr 20
		.amdhsa_reserve_vcc 1
		.amdhsa_reserve_flat_scratch 0
		.amdhsa_float_round_mode_32 0
		.amdhsa_float_round_mode_16_64 0
		.amdhsa_float_denorm_mode_32 3
		.amdhsa_float_denorm_mode_16_64 3
		.amdhsa_dx10_clamp 1
		.amdhsa_ieee_mode 1
		.amdhsa_fp16_overflow 0
		.amdhsa_workgroup_processor_mode 1
		.amdhsa_memory_ordered 1
		.amdhsa_forward_progress 1
		.amdhsa_shared_vgpr_count 0
		.amdhsa_exception_fp_ieee_invalid_op 0
		.amdhsa_exception_fp_denorm_src 0
		.amdhsa_exception_fp_ieee_div_zero 0
		.amdhsa_exception_fp_ieee_overflow 0
		.amdhsa_exception_fp_ieee_underflow 0
		.amdhsa_exception_fp_ieee_inexact 0
		.amdhsa_exception_int_div_zero 0
	.end_amdhsa_kernel
	.section	.text._ZN9rocsolver6v33100L18getri_kernel_smallILi53E19rocblas_complex_numIfEPKPS3_EEvT1_iilPiilS8_bb,"axG",@progbits,_ZN9rocsolver6v33100L18getri_kernel_smallILi53E19rocblas_complex_numIfEPKPS3_EEvT1_iilPiilS8_bb,comdat
.Lfunc_end116:
	.size	_ZN9rocsolver6v33100L18getri_kernel_smallILi53E19rocblas_complex_numIfEPKPS3_EEvT1_iilPiilS8_bb, .Lfunc_end116-_ZN9rocsolver6v33100L18getri_kernel_smallILi53E19rocblas_complex_numIfEPKPS3_EEvT1_iilPiilS8_bb
                                        ; -- End function
	.set _ZN9rocsolver6v33100L18getri_kernel_smallILi53E19rocblas_complex_numIfEPKPS3_EEvT1_iilPiilS8_bb.num_vgpr, 250
	.set _ZN9rocsolver6v33100L18getri_kernel_smallILi53E19rocblas_complex_numIfEPKPS3_EEvT1_iilPiilS8_bb.num_agpr, 0
	.set _ZN9rocsolver6v33100L18getri_kernel_smallILi53E19rocblas_complex_numIfEPKPS3_EEvT1_iilPiilS8_bb.numbered_sgpr, 20
	.set _ZN9rocsolver6v33100L18getri_kernel_smallILi53E19rocblas_complex_numIfEPKPS3_EEvT1_iilPiilS8_bb.num_named_barrier, 0
	.set _ZN9rocsolver6v33100L18getri_kernel_smallILi53E19rocblas_complex_numIfEPKPS3_EEvT1_iilPiilS8_bb.private_seg_size, 432
	.set _ZN9rocsolver6v33100L18getri_kernel_smallILi53E19rocblas_complex_numIfEPKPS3_EEvT1_iilPiilS8_bb.uses_vcc, 1
	.set _ZN9rocsolver6v33100L18getri_kernel_smallILi53E19rocblas_complex_numIfEPKPS3_EEvT1_iilPiilS8_bb.uses_flat_scratch, 0
	.set _ZN9rocsolver6v33100L18getri_kernel_smallILi53E19rocblas_complex_numIfEPKPS3_EEvT1_iilPiilS8_bb.has_dyn_sized_stack, 0
	.set _ZN9rocsolver6v33100L18getri_kernel_smallILi53E19rocblas_complex_numIfEPKPS3_EEvT1_iilPiilS8_bb.has_recursion, 0
	.set _ZN9rocsolver6v33100L18getri_kernel_smallILi53E19rocblas_complex_numIfEPKPS3_EEvT1_iilPiilS8_bb.has_indirect_call, 0
	.section	.AMDGPU.csdata,"",@progbits
; Kernel info:
; codeLenInByte = 107008
; TotalNumSgprs: 22
; NumVgprs: 250
; ScratchSize: 432
; MemoryBound: 0
; FloatMode: 240
; IeeeMode: 1
; LDSByteSize: 856 bytes/workgroup (compile time only)
; SGPRBlocks: 0
; VGPRBlocks: 31
; NumSGPRsForWavesPerEU: 22
; NumVGPRsForWavesPerEU: 250
; Occupancy: 4
; WaveLimiterHint : 1
; COMPUTE_PGM_RSRC2:SCRATCH_EN: 1
; COMPUTE_PGM_RSRC2:USER_SGPR: 6
; COMPUTE_PGM_RSRC2:TRAP_HANDLER: 0
; COMPUTE_PGM_RSRC2:TGID_X_EN: 1
; COMPUTE_PGM_RSRC2:TGID_Y_EN: 0
; COMPUTE_PGM_RSRC2:TGID_Z_EN: 0
; COMPUTE_PGM_RSRC2:TIDIG_COMP_CNT: 0
	.section	.text._ZN9rocsolver6v33100L18getri_kernel_smallILi54E19rocblas_complex_numIfEPKPS3_EEvT1_iilPiilS8_bb,"axG",@progbits,_ZN9rocsolver6v33100L18getri_kernel_smallILi54E19rocblas_complex_numIfEPKPS3_EEvT1_iilPiilS8_bb,comdat
	.globl	_ZN9rocsolver6v33100L18getri_kernel_smallILi54E19rocblas_complex_numIfEPKPS3_EEvT1_iilPiilS8_bb ; -- Begin function _ZN9rocsolver6v33100L18getri_kernel_smallILi54E19rocblas_complex_numIfEPKPS3_EEvT1_iilPiilS8_bb
	.p2align	8
	.type	_ZN9rocsolver6v33100L18getri_kernel_smallILi54E19rocblas_complex_numIfEPKPS3_EEvT1_iilPiilS8_bb,@function
_ZN9rocsolver6v33100L18getri_kernel_smallILi54E19rocblas_complex_numIfEPKPS3_EEvT1_iilPiilS8_bb: ; @_ZN9rocsolver6v33100L18getri_kernel_smallILi54E19rocblas_complex_numIfEPKPS3_EEvT1_iilPiilS8_bb
; %bb.0:
	s_add_u32 s0, s0, s7
	s_addc_u32 s1, s1, 0
	s_mov_b32 s7, exec_lo
	v_cmpx_gt_u32_e32 54, v0
	s_cbranch_execz .LBB117_230
; %bb.1:
	s_clause 0x2
	s_load_dword s17, s[4:5], 0x38
	s_load_dwordx2 s[12:13], s[4:5], 0x0
	s_load_dwordx4 s[8:11], s[4:5], 0x28
	s_waitcnt lgkmcnt(0)
	s_bitcmp1_b32 s17, 8
	s_cselect_b32 s16, -1, 0
	s_ashr_i32 s7, s6, 31
	s_lshl_b64 s[14:15], s[6:7], 3
	s_add_u32 s12, s12, s14
	s_addc_u32 s13, s13, s15
	s_load_dwordx2 s[14:15], s[12:13], 0x0
	s_bfe_u32 s12, s17, 0x10008
	s_cmp_eq_u32 s12, 0
                                        ; implicit-def: $sgpr12_sgpr13
	s_cbranch_scc1 .LBB117_3
; %bb.2:
	s_clause 0x1
	s_load_dword s12, s[4:5], 0x20
	s_load_dwordx2 s[18:19], s[4:5], 0x18
	s_mul_i32 s13, s8, s7
	s_mul_hi_u32 s17, s8, s6
	s_mul_i32 s9, s9, s6
	s_add_i32 s13, s17, s13
	s_mul_i32 s8, s8, s6
	s_add_i32 s9, s13, s9
	s_lshl_b64 s[8:9], s[8:9], 2
	s_waitcnt lgkmcnt(0)
	s_ashr_i32 s13, s12, 31
	s_add_u32 s17, s18, s8
	s_addc_u32 s18, s19, s9
	s_lshl_b64 s[8:9], s[12:13], 2
	s_add_u32 s12, s17, s8
	s_addc_u32 s13, s18, s9
.LBB117_3:
	s_clause 0x1
	s_load_dwordx2 s[8:9], s[4:5], 0x8
	s_load_dword s17, s[4:5], 0x38
	v_lshlrev_b32_e32 v3, 3, v0
	s_waitcnt lgkmcnt(0)
	s_ashr_i32 s5, s8, 31
	s_mov_b32 s4, s8
	v_add3_u32 v4, s9, s9, v0
	s_lshl_b64 s[4:5], s[4:5], 3
	s_add_u32 s4, s14, s4
	s_addc_u32 s5, s15, s5
	v_add_co_u32 v9, s8, s4, v3
	v_add_co_ci_u32_e64 v10, null, s5, 0, s8
	s_mov_b32 s14, s9
	s_ashr_i32 s15, s9, 31
	v_ashrrev_i32_e32 v5, 31, v4
	flat_load_dwordx2 v[1:2], v[9:10]
	s_lshl_b64 s[14:15], s[14:15], 3
	s_bitcmp0_b32 s17, 0
	v_add_co_u32 v11, vcc_lo, v9, s14
	v_add_co_ci_u32_e64 v12, null, s15, v10, vcc_lo
	v_lshlrev_b64 v[5:6], 3, v[4:5]
	v_add_nc_u32_e32 v4, s9, v4
	s_waitcnt vmcnt(0) lgkmcnt(0)
	buffer_store_dword v2, off, s[0:3], 0 offset:4
	buffer_store_dword v1, off, s[0:3], 0
	flat_load_dwordx2 v[1:2], v[11:12]
	v_add_co_u32 v13, vcc_lo, s4, v5
	v_add_co_ci_u32_e64 v14, null, s5, v6, vcc_lo
	v_ashrrev_i32_e32 v5, 31, v4
	s_waitcnt vmcnt(0) lgkmcnt(0)
	buffer_store_dword v2, off, s[0:3], 0 offset:12
	buffer_store_dword v1, off, s[0:3], 0 offset:8
	flat_load_dwordx2 v[1:2], v[13:14]
	v_lshlrev_b64 v[5:6], 3, v[4:5]
	v_add_nc_u32_e32 v4, s9, v4
	s_waitcnt vmcnt(0) lgkmcnt(0)
	buffer_store_dword v2, off, s[0:3], 0 offset:20
	buffer_store_dword v1, off, s[0:3], 0 offset:16
	v_add_co_u32 v15, vcc_lo, s4, v5
	v_add_co_ci_u32_e64 v16, null, s5, v6, vcc_lo
	v_ashrrev_i32_e32 v5, 31, v4
	flat_load_dwordx2 v[1:2], v[15:16]
	s_waitcnt vmcnt(0) lgkmcnt(0)
	buffer_store_dword v2, off, s[0:3], 0 offset:28
	buffer_store_dword v1, off, s[0:3], 0 offset:24
	v_lshlrev_b64 v[5:6], 3, v[4:5]
	v_add_nc_u32_e32 v4, s9, v4
	v_add_co_u32 v17, vcc_lo, s4, v5
	v_add_co_ci_u32_e64 v18, null, s5, v6, vcc_lo
	v_ashrrev_i32_e32 v5, 31, v4
	flat_load_dwordx2 v[1:2], v[17:18]
	s_waitcnt vmcnt(0) lgkmcnt(0)
	buffer_store_dword v2, off, s[0:3], 0 offset:36
	buffer_store_dword v1, off, s[0:3], 0 offset:32
	v_lshlrev_b64 v[5:6], 3, v[4:5]
	v_add_nc_u32_e32 v4, s9, v4
	;; [unrolled: 9-line block ×49, first 2 shown]
	v_add_co_u32 v113, vcc_lo, s4, v5
	v_add_co_ci_u32_e64 v114, null, s5, v6, vcc_lo
	v_ashrrev_i32_e32 v5, 31, v4
	flat_load_dwordx2 v[1:2], v[113:114]
	s_waitcnt vmcnt(0) lgkmcnt(0)
	buffer_store_dword v2, off, s[0:3], 0 offset:420
	buffer_store_dword v1, off, s[0:3], 0 offset:416
	v_lshlrev_b64 v[4:5], 3, v[4:5]
	v_add_co_u32 v115, vcc_lo, s4, v4
	v_add_co_ci_u32_e64 v116, null, s5, v5, vcc_lo
	s_mov_b32 s5, -1
	flat_load_dwordx2 v[1:2], v[115:116]
	s_waitcnt vmcnt(0) lgkmcnt(0)
	buffer_store_dword v2, off, s[0:3], 0 offset:428
	buffer_store_dword v1, off, s[0:3], 0 offset:424
	s_cbranch_scc1 .LBB117_228
; %bb.4:
	v_cmp_eq_u32_e64 s4, 0, v0
	s_and_saveexec_b32 s5, s4
; %bb.5:
	v_mov_b32_e32 v1, 0
	ds_write_b32 v1, v1 offset:864
; %bb.6:
	s_or_b32 exec_lo, exec_lo, s5
	v_lshl_add_u32 v5, v0, 3, 0
	s_waitcnt lgkmcnt(0)
	s_waitcnt_vscnt null, 0x0
	s_barrier
	buffer_gl0_inv
	s_clause 0x1
	buffer_load_dword v1, v5, s[0:3], 0 offen
	buffer_load_dword v2, v5, s[0:3], 0 offen offset:4
	s_waitcnt vmcnt(1)
	v_cmp_eq_f32_e32 vcc_lo, 0, v1
	s_waitcnt vmcnt(0)
	v_cmp_eq_f32_e64 s5, 0, v2
	s_and_b32 s5, vcc_lo, s5
	s_and_saveexec_b32 s8, s5
	s_cbranch_execz .LBB117_10
; %bb.7:
	v_mov_b32_e32 v1, 0
	s_mov_b32 s9, 0
	ds_read_b32 v2, v1 offset:864
	s_waitcnt lgkmcnt(0)
	v_readfirstlane_b32 s5, v2
	v_add_nc_u32_e32 v2, 1, v0
	s_cmp_eq_u32 s5, 0
	v_cmp_gt_i32_e32 vcc_lo, s5, v2
	s_cselect_b32 s14, -1, 0
	s_or_b32 s14, s14, vcc_lo
	s_and_b32 exec_lo, exec_lo, s14
	s_cbranch_execz .LBB117_10
; %bb.8:
	v_mov_b32_e32 v4, s5
.LBB117_9:                              ; =>This Inner Loop Header: Depth=1
	ds_cmpst_rtn_b32 v4, v1, v4, v2 offset:864
	s_waitcnt lgkmcnt(0)
	v_cmp_ne_u32_e32 vcc_lo, 0, v4
	v_cmp_le_i32_e64 s5, v4, v2
	s_and_b32 s5, vcc_lo, s5
	s_and_b32 s5, exec_lo, s5
	s_or_b32 s9, s5, s9
	s_andn2_b32 exec_lo, exec_lo, s9
	s_cbranch_execnz .LBB117_9
.LBB117_10:
	s_or_b32 exec_lo, exec_lo, s8
	v_mov_b32_e32 v1, 0
	s_barrier
	buffer_gl0_inv
	ds_read_b32 v2, v1 offset:864
	s_and_saveexec_b32 s5, s4
	s_cbranch_execz .LBB117_12
; %bb.11:
	s_lshl_b64 s[8:9], s[6:7], 2
	s_add_u32 s8, s10, s8
	s_addc_u32 s9, s11, s9
	s_waitcnt lgkmcnt(0)
	global_store_dword v1, v2, s[8:9]
.LBB117_12:
	s_or_b32 exec_lo, exec_lo, s5
	s_waitcnt lgkmcnt(0)
	v_cmp_ne_u32_e32 vcc_lo, 0, v2
	s_mov_b32 s5, 0
	s_cbranch_vccnz .LBB117_228
; %bb.13:
	s_clause 0x1
	buffer_load_dword v2, v5, s[0:3], 0 offen
	buffer_load_dword v4, v5, s[0:3], 0 offen offset:4
                                        ; implicit-def: $vgpr7
                                        ; implicit-def: $vgpr6
                                        ; implicit-def: $vgpr1
	s_waitcnt vmcnt(0)
	v_cmp_ngt_f32_e64 s5, |v2|, |v4|
	s_and_saveexec_b32 s8, s5
	s_xor_b32 s5, exec_lo, s8
	s_cbranch_execz .LBB117_15
; %bb.14:
	v_div_scale_f32 v1, null, v4, v4, v2
	v_div_scale_f32 v8, vcc_lo, v2, v4, v2
	v_rcp_f32_e32 v6, v1
	v_fma_f32 v7, -v1, v6, 1.0
	v_fmac_f32_e32 v6, v7, v6
	v_mul_f32_e32 v7, v8, v6
	v_fma_f32 v117, -v1, v7, v8
	v_fmac_f32_e32 v7, v117, v6
	v_fma_f32 v1, -v1, v7, v8
	v_div_fmas_f32 v1, v1, v6, v7
	v_div_fixup_f32 v1, v1, v4, v2
	v_fmac_f32_e32 v4, v2, v1
	v_div_scale_f32 v2, null, v4, v4, 1.0
	v_rcp_f32_e32 v6, v2
	v_fma_f32 v7, -v2, v6, 1.0
	v_fmac_f32_e32 v6, v7, v6
	v_div_scale_f32 v7, vcc_lo, 1.0, v4, 1.0
	v_mul_f32_e32 v8, v7, v6
	v_fma_f32 v117, -v2, v8, v7
	v_fmac_f32_e32 v8, v117, v6
	v_fma_f32 v2, -v2, v8, v7
	v_div_fmas_f32 v2, v2, v6, v8
	v_div_fixup_f32 v2, v2, v4, 1.0
                                        ; implicit-def: $vgpr4
	v_mul_f32_e32 v7, v1, v2
	v_xor_b32_e32 v6, 0x80000000, v2
                                        ; implicit-def: $vgpr2
	v_xor_b32_e32 v1, 0x80000000, v7
.LBB117_15:
	s_andn2_saveexec_b32 s5, s5
	s_cbranch_execz .LBB117_17
; %bb.16:
	v_div_scale_f32 v1, null, v2, v2, v4
	v_div_scale_f32 v8, vcc_lo, v4, v2, v4
	v_rcp_f32_e32 v6, v1
	v_fma_f32 v7, -v1, v6, 1.0
	v_fmac_f32_e32 v6, v7, v6
	v_mul_f32_e32 v7, v8, v6
	v_fma_f32 v117, -v1, v7, v8
	v_fmac_f32_e32 v7, v117, v6
	v_fma_f32 v1, -v1, v7, v8
	v_div_fmas_f32 v1, v1, v6, v7
	v_div_fixup_f32 v6, v1, v2, v4
	v_fmac_f32_e32 v2, v4, v6
	v_div_scale_f32 v1, null, v2, v2, 1.0
	v_div_scale_f32 v8, vcc_lo, 1.0, v2, 1.0
	v_rcp_f32_e32 v4, v1
	v_fma_f32 v7, -v1, v4, 1.0
	v_fmac_f32_e32 v4, v7, v4
	v_mul_f32_e32 v7, v8, v4
	v_fma_f32 v117, -v1, v7, v8
	v_fmac_f32_e32 v7, v117, v4
	v_fma_f32 v1, -v1, v7, v8
	v_div_fmas_f32 v1, v1, v4, v7
	v_div_fixup_f32 v7, v1, v2, 1.0
	v_xor_b32_e32 v1, 0x80000000, v7
	v_mul_f32_e64 v6, v6, -v7
.LBB117_17:
	s_or_b32 exec_lo, exec_lo, s5
	buffer_store_dword v7, v5, s[0:3], 0 offen
	buffer_store_dword v6, v5, s[0:3], 0 offen offset:4
	s_clause 0x1
	buffer_load_dword v8, off, s[0:3], 0 offset:12
	buffer_load_dword v7, off, s[0:3], 0 offset:8
	v_xor_b32_e32 v2, 0x80000000, v6
	v_add_nc_u32_e32 v4, 0x1b0, v3
	s_waitcnt vmcnt(0)
	ds_write2_b64 v3, v[1:2], v[7:8] offset1:54
	s_waitcnt lgkmcnt(0)
	s_waitcnt_vscnt null, 0x0
	s_barrier
	buffer_gl0_inv
	s_and_saveexec_b32 s5, s4
	s_cbranch_execz .LBB117_19
; %bb.18:
	s_clause 0x1
	buffer_load_dword v8, v5, s[0:3], 0 offen offset:4
	buffer_load_dword v117, v5, s[0:3], 0 offen
	ds_read_b64 v[1:2], v4
	v_mov_b32_e32 v6, 0
	ds_read_b64 v[6:7], v6 offset:8
	s_waitcnt vmcnt(1) lgkmcnt(1)
	v_mul_f32_e32 v118, v1, v8
	v_mul_f32_e32 v8, v2, v8
	s_waitcnt vmcnt(0)
	v_fmac_f32_e32 v118, v2, v117
	v_fma_f32 v1, v1, v117, -v8
	v_add_f32_e32 v2, 0, v118
	v_add_f32_e32 v1, 0, v1
	s_waitcnt lgkmcnt(0)
	v_mul_f32_e32 v8, v2, v7
	v_mul_f32_e32 v7, v1, v7
	v_fma_f32 v1, v1, v6, -v8
	v_fmac_f32_e32 v7, v2, v6
	buffer_store_dword v1, off, s[0:3], 0 offset:8
	buffer_store_dword v7, off, s[0:3], 0 offset:12
.LBB117_19:
	s_or_b32 exec_lo, exec_lo, s5
	s_waitcnt_vscnt null, 0x0
	s_barrier
	buffer_gl0_inv
	s_clause 0x1
	buffer_load_dword v1, off, s[0:3], 0 offset:16
	buffer_load_dword v2, off, s[0:3], 0 offset:20
	s_mov_b32 s5, exec_lo
	s_waitcnt vmcnt(0)
	ds_write_b64 v4, v[1:2]
	s_waitcnt lgkmcnt(0)
	s_barrier
	buffer_gl0_inv
	v_cmpx_gt_u32_e32 2, v0
	s_cbranch_execz .LBB117_23
; %bb.20:
	s_clause 0x1
	buffer_load_dword v6, v5, s[0:3], 0 offen offset:4
	buffer_load_dword v5, v5, s[0:3], 0 offen
	ds_read_b64 v[1:2], v4
	s_waitcnt vmcnt(1) lgkmcnt(0)
	v_mul_f32_e32 v7, v2, v6
	v_mul_f32_e32 v6, v1, v6
	s_waitcnt vmcnt(0)
	v_fma_f32 v1, v1, v5, -v7
	v_fmac_f32_e32 v6, v2, v5
	v_add_f32_e32 v2, 0, v1
	v_add_f32_e32 v1, 0, v6
	s_and_saveexec_b32 s8, s4
	s_cbranch_execz .LBB117_22
; %bb.21:
	s_clause 0x1
	buffer_load_dword v7, off, s[0:3], 0 offset:12
	buffer_load_dword v8, off, s[0:3], 0 offset:8
	v_mov_b32_e32 v5, 0
	ds_read_b64 v[5:6], v5 offset:440
	s_waitcnt vmcnt(1) lgkmcnt(0)
	v_mul_f32_e32 v117, v5, v7
	v_mul_f32_e32 v7, v6, v7
	s_waitcnt vmcnt(0)
	v_fmac_f32_e32 v117, v6, v8
	v_fma_f32 v5, v5, v8, -v7
	v_add_f32_e32 v1, v1, v117
	v_add_f32_e32 v2, v2, v5
.LBB117_22:
	s_or_b32 exec_lo, exec_lo, s8
	v_mov_b32_e32 v5, 0
	ds_read_b64 v[5:6], v5 offset:16
	s_waitcnt lgkmcnt(0)
	v_mul_f32_e32 v7, v1, v6
	v_mul_f32_e32 v6, v2, v6
	v_fma_f32 v2, v2, v5, -v7
	v_fmac_f32_e32 v6, v1, v5
	buffer_store_dword v2, off, s[0:3], 0 offset:16
	buffer_store_dword v6, off, s[0:3], 0 offset:20
.LBB117_23:
	s_or_b32 exec_lo, exec_lo, s5
	s_waitcnt_vscnt null, 0x0
	s_barrier
	buffer_gl0_inv
	s_clause 0x1
	buffer_load_dword v5, off, s[0:3], 0 offset:24
	buffer_load_dword v6, off, s[0:3], 0 offset:28
	v_add_nc_u32_e32 v1, -1, v0
	s_mov_b32 s4, exec_lo
	s_waitcnt vmcnt(0)
	ds_write_b64 v4, v[5:6]
	s_waitcnt lgkmcnt(0)
	s_barrier
	buffer_gl0_inv
	v_cmpx_gt_u32_e32 3, v0
	s_cbranch_execz .LBB117_27
; %bb.24:
	v_add_nc_u32_e32 v5, -1, v0
	v_add_nc_u32_e32 v6, 0x1b0, v3
	v_mov_b32_e32 v7, v3
	v_mov_b32_e32 v2, 0
	;; [unrolled: 1-line block ×3, first 2 shown]
	s_mov_b32 s5, 0
	.p2align	6
.LBB117_25:                             ; =>This Inner Loop Header: Depth=1
	s_clause 0x1
	buffer_load_dword v119, v7, s[0:3], 0 offen offset:4
	buffer_load_dword v120, v7, s[0:3], 0 offen
	ds_read_b64 v[117:118], v6
	v_add_nc_u32_e32 v5, 1, v5
	v_add_nc_u32_e32 v6, 8, v6
	v_add_nc_u32_e32 v7, 8, v7
	v_cmp_lt_u32_e32 vcc_lo, 1, v5
	s_or_b32 s5, vcc_lo, s5
	s_waitcnt vmcnt(1) lgkmcnt(0)
	v_mul_f32_e32 v121, v118, v119
	v_mul_f32_e32 v119, v117, v119
	s_waitcnt vmcnt(0)
	v_fma_f32 v117, v117, v120, -v121
	v_fmac_f32_e32 v119, v118, v120
	v_add_f32_e32 v8, v8, v117
	v_add_f32_e32 v2, v2, v119
	s_andn2_b32 exec_lo, exec_lo, s5
	s_cbranch_execnz .LBB117_25
; %bb.26:
	s_or_b32 exec_lo, exec_lo, s5
	v_mov_b32_e32 v5, 0
	ds_read_b64 v[5:6], v5 offset:24
	s_waitcnt lgkmcnt(0)
	v_mul_f32_e32 v7, v2, v6
	v_mul_f32_e32 v6, v8, v6
	v_fma_f32 v7, v8, v5, -v7
	v_fmac_f32_e32 v6, v2, v5
	buffer_store_dword v7, off, s[0:3], 0 offset:24
	buffer_store_dword v6, off, s[0:3], 0 offset:28
.LBB117_27:
	s_or_b32 exec_lo, exec_lo, s4
	s_waitcnt_vscnt null, 0x0
	s_barrier
	buffer_gl0_inv
	s_clause 0x1
	buffer_load_dword v5, off, s[0:3], 0 offset:32
	buffer_load_dword v6, off, s[0:3], 0 offset:36
	s_mov_b32 s4, exec_lo
	s_waitcnt vmcnt(0)
	ds_write_b64 v4, v[5:6]
	s_waitcnt lgkmcnt(0)
	s_barrier
	buffer_gl0_inv
	v_cmpx_gt_u32_e32 4, v0
	s_cbranch_execz .LBB117_31
; %bb.28:
	v_add_nc_u32_e32 v5, -1, v0
	v_add_nc_u32_e32 v6, 0x1b0, v3
	v_mov_b32_e32 v7, v3
	v_mov_b32_e32 v2, 0
	;; [unrolled: 1-line block ×3, first 2 shown]
	s_mov_b32 s5, 0
	.p2align	6
.LBB117_29:                             ; =>This Inner Loop Header: Depth=1
	s_clause 0x1
	buffer_load_dword v119, v7, s[0:3], 0 offen offset:4
	buffer_load_dword v120, v7, s[0:3], 0 offen
	ds_read_b64 v[117:118], v6
	v_add_nc_u32_e32 v5, 1, v5
	v_add_nc_u32_e32 v6, 8, v6
	;; [unrolled: 1-line block ×3, first 2 shown]
	v_cmp_lt_u32_e32 vcc_lo, 2, v5
	s_or_b32 s5, vcc_lo, s5
	s_waitcnt vmcnt(1) lgkmcnt(0)
	v_mul_f32_e32 v121, v118, v119
	v_mul_f32_e32 v119, v117, v119
	s_waitcnt vmcnt(0)
	v_fma_f32 v117, v117, v120, -v121
	v_fmac_f32_e32 v119, v118, v120
	v_add_f32_e32 v8, v8, v117
	v_add_f32_e32 v2, v2, v119
	s_andn2_b32 exec_lo, exec_lo, s5
	s_cbranch_execnz .LBB117_29
; %bb.30:
	s_or_b32 exec_lo, exec_lo, s5
	v_mov_b32_e32 v5, 0
	ds_read_b64 v[5:6], v5 offset:32
	s_waitcnt lgkmcnt(0)
	v_mul_f32_e32 v7, v2, v6
	v_mul_f32_e32 v6, v8, v6
	v_fma_f32 v7, v8, v5, -v7
	v_fmac_f32_e32 v6, v2, v5
	buffer_store_dword v7, off, s[0:3], 0 offset:32
	buffer_store_dword v6, off, s[0:3], 0 offset:36
.LBB117_31:
	s_or_b32 exec_lo, exec_lo, s4
	s_waitcnt_vscnt null, 0x0
	s_barrier
	buffer_gl0_inv
	s_clause 0x1
	buffer_load_dword v5, off, s[0:3], 0 offset:40
	buffer_load_dword v6, off, s[0:3], 0 offset:44
	s_mov_b32 s4, exec_lo
	s_waitcnt vmcnt(0)
	ds_write_b64 v4, v[5:6]
	s_waitcnt lgkmcnt(0)
	s_barrier
	buffer_gl0_inv
	v_cmpx_gt_u32_e32 5, v0
	s_cbranch_execz .LBB117_35
; %bb.32:
	v_add_nc_u32_e32 v5, -1, v0
	v_add_nc_u32_e32 v6, 0x1b0, v3
	v_mov_b32_e32 v7, v3
	v_mov_b32_e32 v2, 0
	;; [unrolled: 1-line block ×3, first 2 shown]
	s_mov_b32 s5, 0
	.p2align	6
.LBB117_33:                             ; =>This Inner Loop Header: Depth=1
	s_clause 0x1
	buffer_load_dword v119, v7, s[0:3], 0 offen offset:4
	buffer_load_dword v120, v7, s[0:3], 0 offen
	ds_read_b64 v[117:118], v6
	v_add_nc_u32_e32 v5, 1, v5
	v_add_nc_u32_e32 v6, 8, v6
	;; [unrolled: 1-line block ×3, first 2 shown]
	v_cmp_lt_u32_e32 vcc_lo, 3, v5
	s_or_b32 s5, vcc_lo, s5
	s_waitcnt vmcnt(1) lgkmcnt(0)
	v_mul_f32_e32 v121, v118, v119
	v_mul_f32_e32 v119, v117, v119
	s_waitcnt vmcnt(0)
	v_fma_f32 v117, v117, v120, -v121
	v_fmac_f32_e32 v119, v118, v120
	v_add_f32_e32 v8, v8, v117
	v_add_f32_e32 v2, v2, v119
	s_andn2_b32 exec_lo, exec_lo, s5
	s_cbranch_execnz .LBB117_33
; %bb.34:
	s_or_b32 exec_lo, exec_lo, s5
	v_mov_b32_e32 v5, 0
	ds_read_b64 v[5:6], v5 offset:40
	s_waitcnt lgkmcnt(0)
	v_mul_f32_e32 v7, v2, v6
	v_mul_f32_e32 v6, v8, v6
	v_fma_f32 v7, v8, v5, -v7
	v_fmac_f32_e32 v6, v2, v5
	buffer_store_dword v7, off, s[0:3], 0 offset:40
	buffer_store_dword v6, off, s[0:3], 0 offset:44
.LBB117_35:
	s_or_b32 exec_lo, exec_lo, s4
	s_waitcnt_vscnt null, 0x0
	s_barrier
	buffer_gl0_inv
	s_clause 0x1
	buffer_load_dword v5, off, s[0:3], 0 offset:48
	buffer_load_dword v6, off, s[0:3], 0 offset:52
	s_mov_b32 s4, exec_lo
	s_waitcnt vmcnt(0)
	ds_write_b64 v4, v[5:6]
	s_waitcnt lgkmcnt(0)
	s_barrier
	buffer_gl0_inv
	v_cmpx_gt_u32_e32 6, v0
	s_cbranch_execz .LBB117_39
; %bb.36:
	v_add_nc_u32_e32 v5, -1, v0
	v_add_nc_u32_e32 v6, 0x1b0, v3
	v_mov_b32_e32 v7, v3
	v_mov_b32_e32 v2, 0
	;; [unrolled: 1-line block ×3, first 2 shown]
	s_mov_b32 s5, 0
	.p2align	6
.LBB117_37:                             ; =>This Inner Loop Header: Depth=1
	s_clause 0x1
	buffer_load_dword v119, v7, s[0:3], 0 offen offset:4
	buffer_load_dword v120, v7, s[0:3], 0 offen
	ds_read_b64 v[117:118], v6
	v_add_nc_u32_e32 v5, 1, v5
	v_add_nc_u32_e32 v6, 8, v6
	;; [unrolled: 1-line block ×3, first 2 shown]
	v_cmp_lt_u32_e32 vcc_lo, 4, v5
	s_or_b32 s5, vcc_lo, s5
	s_waitcnt vmcnt(1) lgkmcnt(0)
	v_mul_f32_e32 v121, v118, v119
	v_mul_f32_e32 v119, v117, v119
	s_waitcnt vmcnt(0)
	v_fma_f32 v117, v117, v120, -v121
	v_fmac_f32_e32 v119, v118, v120
	v_add_f32_e32 v8, v8, v117
	v_add_f32_e32 v2, v2, v119
	s_andn2_b32 exec_lo, exec_lo, s5
	s_cbranch_execnz .LBB117_37
; %bb.38:
	s_or_b32 exec_lo, exec_lo, s5
	v_mov_b32_e32 v5, 0
	ds_read_b64 v[5:6], v5 offset:48
	s_waitcnt lgkmcnt(0)
	v_mul_f32_e32 v7, v2, v6
	v_mul_f32_e32 v6, v8, v6
	v_fma_f32 v7, v8, v5, -v7
	v_fmac_f32_e32 v6, v2, v5
	buffer_store_dword v7, off, s[0:3], 0 offset:48
	buffer_store_dword v6, off, s[0:3], 0 offset:52
.LBB117_39:
	s_or_b32 exec_lo, exec_lo, s4
	s_waitcnt_vscnt null, 0x0
	s_barrier
	buffer_gl0_inv
	s_clause 0x1
	buffer_load_dword v5, off, s[0:3], 0 offset:56
	buffer_load_dword v6, off, s[0:3], 0 offset:60
	s_mov_b32 s4, exec_lo
	s_waitcnt vmcnt(0)
	ds_write_b64 v4, v[5:6]
	s_waitcnt lgkmcnt(0)
	s_barrier
	buffer_gl0_inv
	v_cmpx_gt_u32_e32 7, v0
	s_cbranch_execz .LBB117_43
; %bb.40:
	v_add_nc_u32_e32 v5, -1, v0
	v_add_nc_u32_e32 v6, 0x1b0, v3
	v_mov_b32_e32 v7, v3
	v_mov_b32_e32 v2, 0
	;; [unrolled: 1-line block ×3, first 2 shown]
	s_mov_b32 s5, 0
	.p2align	6
.LBB117_41:                             ; =>This Inner Loop Header: Depth=1
	s_clause 0x1
	buffer_load_dword v119, v7, s[0:3], 0 offen offset:4
	buffer_load_dword v120, v7, s[0:3], 0 offen
	ds_read_b64 v[117:118], v6
	v_add_nc_u32_e32 v5, 1, v5
	v_add_nc_u32_e32 v6, 8, v6
	;; [unrolled: 1-line block ×3, first 2 shown]
	v_cmp_lt_u32_e32 vcc_lo, 5, v5
	s_or_b32 s5, vcc_lo, s5
	s_waitcnt vmcnt(1) lgkmcnt(0)
	v_mul_f32_e32 v121, v118, v119
	v_mul_f32_e32 v119, v117, v119
	s_waitcnt vmcnt(0)
	v_fma_f32 v117, v117, v120, -v121
	v_fmac_f32_e32 v119, v118, v120
	v_add_f32_e32 v8, v8, v117
	v_add_f32_e32 v2, v2, v119
	s_andn2_b32 exec_lo, exec_lo, s5
	s_cbranch_execnz .LBB117_41
; %bb.42:
	s_or_b32 exec_lo, exec_lo, s5
	v_mov_b32_e32 v5, 0
	ds_read_b64 v[5:6], v5 offset:56
	s_waitcnt lgkmcnt(0)
	v_mul_f32_e32 v7, v2, v6
	v_mul_f32_e32 v6, v8, v6
	v_fma_f32 v7, v8, v5, -v7
	v_fmac_f32_e32 v6, v2, v5
	buffer_store_dword v7, off, s[0:3], 0 offset:56
	buffer_store_dword v6, off, s[0:3], 0 offset:60
.LBB117_43:
	s_or_b32 exec_lo, exec_lo, s4
	s_waitcnt_vscnt null, 0x0
	s_barrier
	buffer_gl0_inv
	s_clause 0x1
	buffer_load_dword v5, off, s[0:3], 0 offset:64
	buffer_load_dword v6, off, s[0:3], 0 offset:68
	s_mov_b32 s4, exec_lo
	s_waitcnt vmcnt(0)
	ds_write_b64 v4, v[5:6]
	s_waitcnt lgkmcnt(0)
	s_barrier
	buffer_gl0_inv
	v_cmpx_gt_u32_e32 8, v0
	s_cbranch_execz .LBB117_47
; %bb.44:
	v_add_nc_u32_e32 v5, -1, v0
	v_add_nc_u32_e32 v6, 0x1b0, v3
	v_mov_b32_e32 v7, v3
	v_mov_b32_e32 v2, 0
	;; [unrolled: 1-line block ×3, first 2 shown]
	s_mov_b32 s5, 0
	.p2align	6
.LBB117_45:                             ; =>This Inner Loop Header: Depth=1
	s_clause 0x1
	buffer_load_dword v119, v7, s[0:3], 0 offen offset:4
	buffer_load_dword v120, v7, s[0:3], 0 offen
	ds_read_b64 v[117:118], v6
	v_add_nc_u32_e32 v5, 1, v5
	v_add_nc_u32_e32 v6, 8, v6
	;; [unrolled: 1-line block ×3, first 2 shown]
	v_cmp_lt_u32_e32 vcc_lo, 6, v5
	s_or_b32 s5, vcc_lo, s5
	s_waitcnt vmcnt(1) lgkmcnt(0)
	v_mul_f32_e32 v121, v118, v119
	v_mul_f32_e32 v119, v117, v119
	s_waitcnt vmcnt(0)
	v_fma_f32 v117, v117, v120, -v121
	v_fmac_f32_e32 v119, v118, v120
	v_add_f32_e32 v8, v8, v117
	v_add_f32_e32 v2, v2, v119
	s_andn2_b32 exec_lo, exec_lo, s5
	s_cbranch_execnz .LBB117_45
; %bb.46:
	s_or_b32 exec_lo, exec_lo, s5
	v_mov_b32_e32 v5, 0
	ds_read_b64 v[5:6], v5 offset:64
	s_waitcnt lgkmcnt(0)
	v_mul_f32_e32 v7, v2, v6
	v_mul_f32_e32 v6, v8, v6
	v_fma_f32 v7, v8, v5, -v7
	v_fmac_f32_e32 v6, v2, v5
	buffer_store_dword v7, off, s[0:3], 0 offset:64
	buffer_store_dword v6, off, s[0:3], 0 offset:68
.LBB117_47:
	s_or_b32 exec_lo, exec_lo, s4
	s_waitcnt_vscnt null, 0x0
	s_barrier
	buffer_gl0_inv
	s_clause 0x1
	buffer_load_dword v5, off, s[0:3], 0 offset:72
	buffer_load_dword v6, off, s[0:3], 0 offset:76
	s_mov_b32 s4, exec_lo
	s_waitcnt vmcnt(0)
	ds_write_b64 v4, v[5:6]
	s_waitcnt lgkmcnt(0)
	s_barrier
	buffer_gl0_inv
	v_cmpx_gt_u32_e32 9, v0
	s_cbranch_execz .LBB117_51
; %bb.48:
	v_add_nc_u32_e32 v5, -1, v0
	v_add_nc_u32_e32 v6, 0x1b0, v3
	v_mov_b32_e32 v7, v3
	v_mov_b32_e32 v2, 0
	;; [unrolled: 1-line block ×3, first 2 shown]
	s_mov_b32 s5, 0
	.p2align	6
.LBB117_49:                             ; =>This Inner Loop Header: Depth=1
	s_clause 0x1
	buffer_load_dword v119, v7, s[0:3], 0 offen offset:4
	buffer_load_dword v120, v7, s[0:3], 0 offen
	ds_read_b64 v[117:118], v6
	v_add_nc_u32_e32 v5, 1, v5
	v_add_nc_u32_e32 v6, 8, v6
	;; [unrolled: 1-line block ×3, first 2 shown]
	v_cmp_lt_u32_e32 vcc_lo, 7, v5
	s_or_b32 s5, vcc_lo, s5
	s_waitcnt vmcnt(1) lgkmcnt(0)
	v_mul_f32_e32 v121, v118, v119
	v_mul_f32_e32 v119, v117, v119
	s_waitcnt vmcnt(0)
	v_fma_f32 v117, v117, v120, -v121
	v_fmac_f32_e32 v119, v118, v120
	v_add_f32_e32 v8, v8, v117
	v_add_f32_e32 v2, v2, v119
	s_andn2_b32 exec_lo, exec_lo, s5
	s_cbranch_execnz .LBB117_49
; %bb.50:
	s_or_b32 exec_lo, exec_lo, s5
	v_mov_b32_e32 v5, 0
	ds_read_b64 v[5:6], v5 offset:72
	s_waitcnt lgkmcnt(0)
	v_mul_f32_e32 v7, v2, v6
	v_mul_f32_e32 v6, v8, v6
	v_fma_f32 v7, v8, v5, -v7
	v_fmac_f32_e32 v6, v2, v5
	buffer_store_dword v7, off, s[0:3], 0 offset:72
	buffer_store_dword v6, off, s[0:3], 0 offset:76
.LBB117_51:
	s_or_b32 exec_lo, exec_lo, s4
	s_waitcnt_vscnt null, 0x0
	s_barrier
	buffer_gl0_inv
	s_clause 0x1
	buffer_load_dword v5, off, s[0:3], 0 offset:80
	buffer_load_dword v6, off, s[0:3], 0 offset:84
	s_mov_b32 s4, exec_lo
	s_waitcnt vmcnt(0)
	ds_write_b64 v4, v[5:6]
	s_waitcnt lgkmcnt(0)
	s_barrier
	buffer_gl0_inv
	v_cmpx_gt_u32_e32 10, v0
	s_cbranch_execz .LBB117_55
; %bb.52:
	v_add_nc_u32_e32 v5, -1, v0
	v_add_nc_u32_e32 v6, 0x1b0, v3
	v_mov_b32_e32 v7, v3
	v_mov_b32_e32 v2, 0
	;; [unrolled: 1-line block ×3, first 2 shown]
	s_mov_b32 s5, 0
	.p2align	6
.LBB117_53:                             ; =>This Inner Loop Header: Depth=1
	s_clause 0x1
	buffer_load_dword v119, v7, s[0:3], 0 offen offset:4
	buffer_load_dword v120, v7, s[0:3], 0 offen
	ds_read_b64 v[117:118], v6
	v_add_nc_u32_e32 v5, 1, v5
	v_add_nc_u32_e32 v6, 8, v6
	v_add_nc_u32_e32 v7, 8, v7
	v_cmp_lt_u32_e32 vcc_lo, 8, v5
	s_or_b32 s5, vcc_lo, s5
	s_waitcnt vmcnt(1) lgkmcnt(0)
	v_mul_f32_e32 v121, v118, v119
	v_mul_f32_e32 v119, v117, v119
	s_waitcnt vmcnt(0)
	v_fma_f32 v117, v117, v120, -v121
	v_fmac_f32_e32 v119, v118, v120
	v_add_f32_e32 v8, v8, v117
	v_add_f32_e32 v2, v2, v119
	s_andn2_b32 exec_lo, exec_lo, s5
	s_cbranch_execnz .LBB117_53
; %bb.54:
	s_or_b32 exec_lo, exec_lo, s5
	v_mov_b32_e32 v5, 0
	ds_read_b64 v[5:6], v5 offset:80
	s_waitcnt lgkmcnt(0)
	v_mul_f32_e32 v7, v2, v6
	v_mul_f32_e32 v6, v8, v6
	v_fma_f32 v7, v8, v5, -v7
	v_fmac_f32_e32 v6, v2, v5
	buffer_store_dword v7, off, s[0:3], 0 offset:80
	buffer_store_dword v6, off, s[0:3], 0 offset:84
.LBB117_55:
	s_or_b32 exec_lo, exec_lo, s4
	s_waitcnt_vscnt null, 0x0
	s_barrier
	buffer_gl0_inv
	s_clause 0x1
	buffer_load_dword v5, off, s[0:3], 0 offset:88
	buffer_load_dword v6, off, s[0:3], 0 offset:92
	s_mov_b32 s4, exec_lo
	s_waitcnt vmcnt(0)
	ds_write_b64 v4, v[5:6]
	s_waitcnt lgkmcnt(0)
	s_barrier
	buffer_gl0_inv
	v_cmpx_gt_u32_e32 11, v0
	s_cbranch_execz .LBB117_59
; %bb.56:
	v_add_nc_u32_e32 v5, -1, v0
	v_add_nc_u32_e32 v6, 0x1b0, v3
	v_mov_b32_e32 v7, v3
	v_mov_b32_e32 v2, 0
	;; [unrolled: 1-line block ×3, first 2 shown]
	s_mov_b32 s5, 0
	.p2align	6
.LBB117_57:                             ; =>This Inner Loop Header: Depth=1
	s_clause 0x1
	buffer_load_dword v119, v7, s[0:3], 0 offen offset:4
	buffer_load_dword v120, v7, s[0:3], 0 offen
	ds_read_b64 v[117:118], v6
	v_add_nc_u32_e32 v5, 1, v5
	v_add_nc_u32_e32 v6, 8, v6
	;; [unrolled: 1-line block ×3, first 2 shown]
	v_cmp_lt_u32_e32 vcc_lo, 9, v5
	s_or_b32 s5, vcc_lo, s5
	s_waitcnt vmcnt(1) lgkmcnt(0)
	v_mul_f32_e32 v121, v118, v119
	v_mul_f32_e32 v119, v117, v119
	s_waitcnt vmcnt(0)
	v_fma_f32 v117, v117, v120, -v121
	v_fmac_f32_e32 v119, v118, v120
	v_add_f32_e32 v8, v8, v117
	v_add_f32_e32 v2, v2, v119
	s_andn2_b32 exec_lo, exec_lo, s5
	s_cbranch_execnz .LBB117_57
; %bb.58:
	s_or_b32 exec_lo, exec_lo, s5
	v_mov_b32_e32 v5, 0
	ds_read_b64 v[5:6], v5 offset:88
	s_waitcnt lgkmcnt(0)
	v_mul_f32_e32 v7, v2, v6
	v_mul_f32_e32 v6, v8, v6
	v_fma_f32 v7, v8, v5, -v7
	v_fmac_f32_e32 v6, v2, v5
	buffer_store_dword v7, off, s[0:3], 0 offset:88
	buffer_store_dword v6, off, s[0:3], 0 offset:92
.LBB117_59:
	s_or_b32 exec_lo, exec_lo, s4
	s_waitcnt_vscnt null, 0x0
	s_barrier
	buffer_gl0_inv
	s_clause 0x1
	buffer_load_dword v5, off, s[0:3], 0 offset:96
	buffer_load_dword v6, off, s[0:3], 0 offset:100
	s_mov_b32 s4, exec_lo
	s_waitcnt vmcnt(0)
	ds_write_b64 v4, v[5:6]
	s_waitcnt lgkmcnt(0)
	s_barrier
	buffer_gl0_inv
	v_cmpx_gt_u32_e32 12, v0
	s_cbranch_execz .LBB117_63
; %bb.60:
	v_add_nc_u32_e32 v5, -1, v0
	v_add_nc_u32_e32 v6, 0x1b0, v3
	v_mov_b32_e32 v7, v3
	v_mov_b32_e32 v2, 0
	;; [unrolled: 1-line block ×3, first 2 shown]
	s_mov_b32 s5, 0
	.p2align	6
.LBB117_61:                             ; =>This Inner Loop Header: Depth=1
	s_clause 0x1
	buffer_load_dword v119, v7, s[0:3], 0 offen offset:4
	buffer_load_dword v120, v7, s[0:3], 0 offen
	ds_read_b64 v[117:118], v6
	v_add_nc_u32_e32 v5, 1, v5
	v_add_nc_u32_e32 v6, 8, v6
	;; [unrolled: 1-line block ×3, first 2 shown]
	v_cmp_lt_u32_e32 vcc_lo, 10, v5
	s_or_b32 s5, vcc_lo, s5
	s_waitcnt vmcnt(1) lgkmcnt(0)
	v_mul_f32_e32 v121, v118, v119
	v_mul_f32_e32 v119, v117, v119
	s_waitcnt vmcnt(0)
	v_fma_f32 v117, v117, v120, -v121
	v_fmac_f32_e32 v119, v118, v120
	v_add_f32_e32 v8, v8, v117
	v_add_f32_e32 v2, v2, v119
	s_andn2_b32 exec_lo, exec_lo, s5
	s_cbranch_execnz .LBB117_61
; %bb.62:
	s_or_b32 exec_lo, exec_lo, s5
	v_mov_b32_e32 v5, 0
	ds_read_b64 v[5:6], v5 offset:96
	s_waitcnt lgkmcnt(0)
	v_mul_f32_e32 v7, v2, v6
	v_mul_f32_e32 v6, v8, v6
	v_fma_f32 v7, v8, v5, -v7
	v_fmac_f32_e32 v6, v2, v5
	buffer_store_dword v7, off, s[0:3], 0 offset:96
	buffer_store_dword v6, off, s[0:3], 0 offset:100
.LBB117_63:
	s_or_b32 exec_lo, exec_lo, s4
	s_waitcnt_vscnt null, 0x0
	s_barrier
	buffer_gl0_inv
	s_clause 0x1
	buffer_load_dword v5, off, s[0:3], 0 offset:104
	buffer_load_dword v6, off, s[0:3], 0 offset:108
	s_mov_b32 s4, exec_lo
	s_waitcnt vmcnt(0)
	ds_write_b64 v4, v[5:6]
	s_waitcnt lgkmcnt(0)
	s_barrier
	buffer_gl0_inv
	v_cmpx_gt_u32_e32 13, v0
	s_cbranch_execz .LBB117_67
; %bb.64:
	v_add_nc_u32_e32 v5, -1, v0
	v_add_nc_u32_e32 v6, 0x1b0, v3
	v_mov_b32_e32 v7, v3
	v_mov_b32_e32 v2, 0
	;; [unrolled: 1-line block ×3, first 2 shown]
	s_mov_b32 s5, 0
	.p2align	6
.LBB117_65:                             ; =>This Inner Loop Header: Depth=1
	s_clause 0x1
	buffer_load_dword v119, v7, s[0:3], 0 offen offset:4
	buffer_load_dword v120, v7, s[0:3], 0 offen
	ds_read_b64 v[117:118], v6
	v_add_nc_u32_e32 v5, 1, v5
	v_add_nc_u32_e32 v6, 8, v6
	;; [unrolled: 1-line block ×3, first 2 shown]
	v_cmp_lt_u32_e32 vcc_lo, 11, v5
	s_or_b32 s5, vcc_lo, s5
	s_waitcnt vmcnt(1) lgkmcnt(0)
	v_mul_f32_e32 v121, v118, v119
	v_mul_f32_e32 v119, v117, v119
	s_waitcnt vmcnt(0)
	v_fma_f32 v117, v117, v120, -v121
	v_fmac_f32_e32 v119, v118, v120
	v_add_f32_e32 v8, v8, v117
	v_add_f32_e32 v2, v2, v119
	s_andn2_b32 exec_lo, exec_lo, s5
	s_cbranch_execnz .LBB117_65
; %bb.66:
	s_or_b32 exec_lo, exec_lo, s5
	v_mov_b32_e32 v5, 0
	ds_read_b64 v[5:6], v5 offset:104
	s_waitcnt lgkmcnt(0)
	v_mul_f32_e32 v7, v2, v6
	v_mul_f32_e32 v6, v8, v6
	v_fma_f32 v7, v8, v5, -v7
	v_fmac_f32_e32 v6, v2, v5
	buffer_store_dword v7, off, s[0:3], 0 offset:104
	buffer_store_dword v6, off, s[0:3], 0 offset:108
.LBB117_67:
	s_or_b32 exec_lo, exec_lo, s4
	s_waitcnt_vscnt null, 0x0
	s_barrier
	buffer_gl0_inv
	s_clause 0x1
	buffer_load_dword v5, off, s[0:3], 0 offset:112
	buffer_load_dword v6, off, s[0:3], 0 offset:116
	s_mov_b32 s4, exec_lo
	s_waitcnt vmcnt(0)
	ds_write_b64 v4, v[5:6]
	s_waitcnt lgkmcnt(0)
	s_barrier
	buffer_gl0_inv
	v_cmpx_gt_u32_e32 14, v0
	s_cbranch_execz .LBB117_71
; %bb.68:
	v_add_nc_u32_e32 v5, -1, v0
	v_add_nc_u32_e32 v6, 0x1b0, v3
	v_mov_b32_e32 v7, v3
	v_mov_b32_e32 v2, 0
	v_mov_b32_e32 v8, 0
	s_mov_b32 s5, 0
	.p2align	6
.LBB117_69:                             ; =>This Inner Loop Header: Depth=1
	s_clause 0x1
	buffer_load_dword v119, v7, s[0:3], 0 offen offset:4
	buffer_load_dword v120, v7, s[0:3], 0 offen
	ds_read_b64 v[117:118], v6
	v_add_nc_u32_e32 v5, 1, v5
	v_add_nc_u32_e32 v6, 8, v6
	;; [unrolled: 1-line block ×3, first 2 shown]
	v_cmp_lt_u32_e32 vcc_lo, 12, v5
	s_or_b32 s5, vcc_lo, s5
	s_waitcnt vmcnt(1) lgkmcnt(0)
	v_mul_f32_e32 v121, v118, v119
	v_mul_f32_e32 v119, v117, v119
	s_waitcnt vmcnt(0)
	v_fma_f32 v117, v117, v120, -v121
	v_fmac_f32_e32 v119, v118, v120
	v_add_f32_e32 v8, v8, v117
	v_add_f32_e32 v2, v2, v119
	s_andn2_b32 exec_lo, exec_lo, s5
	s_cbranch_execnz .LBB117_69
; %bb.70:
	s_or_b32 exec_lo, exec_lo, s5
	v_mov_b32_e32 v5, 0
	ds_read_b64 v[5:6], v5 offset:112
	s_waitcnt lgkmcnt(0)
	v_mul_f32_e32 v7, v2, v6
	v_mul_f32_e32 v6, v8, v6
	v_fma_f32 v7, v8, v5, -v7
	v_fmac_f32_e32 v6, v2, v5
	buffer_store_dword v7, off, s[0:3], 0 offset:112
	buffer_store_dword v6, off, s[0:3], 0 offset:116
.LBB117_71:
	s_or_b32 exec_lo, exec_lo, s4
	s_waitcnt_vscnt null, 0x0
	s_barrier
	buffer_gl0_inv
	s_clause 0x1
	buffer_load_dword v5, off, s[0:3], 0 offset:120
	buffer_load_dword v6, off, s[0:3], 0 offset:124
	s_mov_b32 s4, exec_lo
	s_waitcnt vmcnt(0)
	ds_write_b64 v4, v[5:6]
	s_waitcnt lgkmcnt(0)
	s_barrier
	buffer_gl0_inv
	v_cmpx_gt_u32_e32 15, v0
	s_cbranch_execz .LBB117_75
; %bb.72:
	v_add_nc_u32_e32 v5, -1, v0
	v_add_nc_u32_e32 v6, 0x1b0, v3
	v_mov_b32_e32 v7, v3
	v_mov_b32_e32 v2, 0
	;; [unrolled: 1-line block ×3, first 2 shown]
	s_mov_b32 s5, 0
	.p2align	6
.LBB117_73:                             ; =>This Inner Loop Header: Depth=1
	s_clause 0x1
	buffer_load_dword v119, v7, s[0:3], 0 offen offset:4
	buffer_load_dword v120, v7, s[0:3], 0 offen
	ds_read_b64 v[117:118], v6
	v_add_nc_u32_e32 v5, 1, v5
	v_add_nc_u32_e32 v6, 8, v6
	;; [unrolled: 1-line block ×3, first 2 shown]
	v_cmp_lt_u32_e32 vcc_lo, 13, v5
	s_or_b32 s5, vcc_lo, s5
	s_waitcnt vmcnt(1) lgkmcnt(0)
	v_mul_f32_e32 v121, v118, v119
	v_mul_f32_e32 v119, v117, v119
	s_waitcnt vmcnt(0)
	v_fma_f32 v117, v117, v120, -v121
	v_fmac_f32_e32 v119, v118, v120
	v_add_f32_e32 v8, v8, v117
	v_add_f32_e32 v2, v2, v119
	s_andn2_b32 exec_lo, exec_lo, s5
	s_cbranch_execnz .LBB117_73
; %bb.74:
	s_or_b32 exec_lo, exec_lo, s5
	v_mov_b32_e32 v5, 0
	ds_read_b64 v[5:6], v5 offset:120
	s_waitcnt lgkmcnt(0)
	v_mul_f32_e32 v7, v2, v6
	v_mul_f32_e32 v6, v8, v6
	v_fma_f32 v7, v8, v5, -v7
	v_fmac_f32_e32 v6, v2, v5
	buffer_store_dword v7, off, s[0:3], 0 offset:120
	buffer_store_dword v6, off, s[0:3], 0 offset:124
.LBB117_75:
	s_or_b32 exec_lo, exec_lo, s4
	s_waitcnt_vscnt null, 0x0
	s_barrier
	buffer_gl0_inv
	s_clause 0x1
	buffer_load_dword v5, off, s[0:3], 0 offset:128
	buffer_load_dword v6, off, s[0:3], 0 offset:132
	s_mov_b32 s4, exec_lo
	s_waitcnt vmcnt(0)
	ds_write_b64 v4, v[5:6]
	s_waitcnt lgkmcnt(0)
	s_barrier
	buffer_gl0_inv
	v_cmpx_gt_u32_e32 16, v0
	s_cbranch_execz .LBB117_79
; %bb.76:
	v_add_nc_u32_e32 v5, -1, v0
	v_add_nc_u32_e32 v6, 0x1b0, v3
	v_mov_b32_e32 v7, v3
	v_mov_b32_e32 v2, 0
	;; [unrolled: 1-line block ×3, first 2 shown]
	s_mov_b32 s5, 0
	.p2align	6
.LBB117_77:                             ; =>This Inner Loop Header: Depth=1
	s_clause 0x1
	buffer_load_dword v119, v7, s[0:3], 0 offen offset:4
	buffer_load_dword v120, v7, s[0:3], 0 offen
	ds_read_b64 v[117:118], v6
	v_add_nc_u32_e32 v5, 1, v5
	v_add_nc_u32_e32 v6, 8, v6
	;; [unrolled: 1-line block ×3, first 2 shown]
	v_cmp_lt_u32_e32 vcc_lo, 14, v5
	s_or_b32 s5, vcc_lo, s5
	s_waitcnt vmcnt(1) lgkmcnt(0)
	v_mul_f32_e32 v121, v118, v119
	v_mul_f32_e32 v119, v117, v119
	s_waitcnt vmcnt(0)
	v_fma_f32 v117, v117, v120, -v121
	v_fmac_f32_e32 v119, v118, v120
	v_add_f32_e32 v8, v8, v117
	v_add_f32_e32 v2, v2, v119
	s_andn2_b32 exec_lo, exec_lo, s5
	s_cbranch_execnz .LBB117_77
; %bb.78:
	s_or_b32 exec_lo, exec_lo, s5
	v_mov_b32_e32 v5, 0
	ds_read_b64 v[5:6], v5 offset:128
	s_waitcnt lgkmcnt(0)
	v_mul_f32_e32 v7, v2, v6
	v_mul_f32_e32 v6, v8, v6
	v_fma_f32 v7, v8, v5, -v7
	v_fmac_f32_e32 v6, v2, v5
	buffer_store_dword v7, off, s[0:3], 0 offset:128
	buffer_store_dword v6, off, s[0:3], 0 offset:132
.LBB117_79:
	s_or_b32 exec_lo, exec_lo, s4
	s_waitcnt_vscnt null, 0x0
	s_barrier
	buffer_gl0_inv
	s_clause 0x1
	buffer_load_dword v5, off, s[0:3], 0 offset:136
	buffer_load_dword v6, off, s[0:3], 0 offset:140
	s_mov_b32 s4, exec_lo
	s_waitcnt vmcnt(0)
	ds_write_b64 v4, v[5:6]
	s_waitcnt lgkmcnt(0)
	s_barrier
	buffer_gl0_inv
	v_cmpx_gt_u32_e32 17, v0
	s_cbranch_execz .LBB117_83
; %bb.80:
	v_add_nc_u32_e32 v5, -1, v0
	v_add_nc_u32_e32 v6, 0x1b0, v3
	v_mov_b32_e32 v7, v3
	v_mov_b32_e32 v2, 0
	;; [unrolled: 1-line block ×3, first 2 shown]
	s_mov_b32 s5, 0
	.p2align	6
.LBB117_81:                             ; =>This Inner Loop Header: Depth=1
	s_clause 0x1
	buffer_load_dword v119, v7, s[0:3], 0 offen offset:4
	buffer_load_dword v120, v7, s[0:3], 0 offen
	ds_read_b64 v[117:118], v6
	v_add_nc_u32_e32 v5, 1, v5
	v_add_nc_u32_e32 v6, 8, v6
	;; [unrolled: 1-line block ×3, first 2 shown]
	v_cmp_lt_u32_e32 vcc_lo, 15, v5
	s_or_b32 s5, vcc_lo, s5
	s_waitcnt vmcnt(1) lgkmcnt(0)
	v_mul_f32_e32 v121, v118, v119
	v_mul_f32_e32 v119, v117, v119
	s_waitcnt vmcnt(0)
	v_fma_f32 v117, v117, v120, -v121
	v_fmac_f32_e32 v119, v118, v120
	v_add_f32_e32 v8, v8, v117
	v_add_f32_e32 v2, v2, v119
	s_andn2_b32 exec_lo, exec_lo, s5
	s_cbranch_execnz .LBB117_81
; %bb.82:
	s_or_b32 exec_lo, exec_lo, s5
	v_mov_b32_e32 v5, 0
	ds_read_b64 v[5:6], v5 offset:136
	s_waitcnt lgkmcnt(0)
	v_mul_f32_e32 v7, v2, v6
	v_mul_f32_e32 v6, v8, v6
	v_fma_f32 v7, v8, v5, -v7
	v_fmac_f32_e32 v6, v2, v5
	buffer_store_dword v7, off, s[0:3], 0 offset:136
	buffer_store_dword v6, off, s[0:3], 0 offset:140
.LBB117_83:
	s_or_b32 exec_lo, exec_lo, s4
	s_waitcnt_vscnt null, 0x0
	s_barrier
	buffer_gl0_inv
	s_clause 0x1
	buffer_load_dword v5, off, s[0:3], 0 offset:144
	buffer_load_dword v6, off, s[0:3], 0 offset:148
	s_mov_b32 s4, exec_lo
	s_waitcnt vmcnt(0)
	ds_write_b64 v4, v[5:6]
	s_waitcnt lgkmcnt(0)
	s_barrier
	buffer_gl0_inv
	v_cmpx_gt_u32_e32 18, v0
	s_cbranch_execz .LBB117_87
; %bb.84:
	v_add_nc_u32_e32 v5, -1, v0
	v_add_nc_u32_e32 v6, 0x1b0, v3
	v_mov_b32_e32 v7, v3
	v_mov_b32_e32 v2, 0
	;; [unrolled: 1-line block ×3, first 2 shown]
	s_mov_b32 s5, 0
	.p2align	6
.LBB117_85:                             ; =>This Inner Loop Header: Depth=1
	s_clause 0x1
	buffer_load_dword v119, v7, s[0:3], 0 offen offset:4
	buffer_load_dword v120, v7, s[0:3], 0 offen
	ds_read_b64 v[117:118], v6
	v_add_nc_u32_e32 v5, 1, v5
	v_add_nc_u32_e32 v6, 8, v6
	;; [unrolled: 1-line block ×3, first 2 shown]
	v_cmp_lt_u32_e32 vcc_lo, 16, v5
	s_or_b32 s5, vcc_lo, s5
	s_waitcnt vmcnt(1) lgkmcnt(0)
	v_mul_f32_e32 v121, v118, v119
	v_mul_f32_e32 v119, v117, v119
	s_waitcnt vmcnt(0)
	v_fma_f32 v117, v117, v120, -v121
	v_fmac_f32_e32 v119, v118, v120
	v_add_f32_e32 v8, v8, v117
	v_add_f32_e32 v2, v2, v119
	s_andn2_b32 exec_lo, exec_lo, s5
	s_cbranch_execnz .LBB117_85
; %bb.86:
	s_or_b32 exec_lo, exec_lo, s5
	v_mov_b32_e32 v5, 0
	ds_read_b64 v[5:6], v5 offset:144
	s_waitcnt lgkmcnt(0)
	v_mul_f32_e32 v7, v2, v6
	v_mul_f32_e32 v6, v8, v6
	v_fma_f32 v7, v8, v5, -v7
	v_fmac_f32_e32 v6, v2, v5
	buffer_store_dword v7, off, s[0:3], 0 offset:144
	buffer_store_dword v6, off, s[0:3], 0 offset:148
.LBB117_87:
	s_or_b32 exec_lo, exec_lo, s4
	s_waitcnt_vscnt null, 0x0
	s_barrier
	buffer_gl0_inv
	s_clause 0x1
	buffer_load_dword v5, off, s[0:3], 0 offset:152
	buffer_load_dword v6, off, s[0:3], 0 offset:156
	s_mov_b32 s4, exec_lo
	s_waitcnt vmcnt(0)
	ds_write_b64 v4, v[5:6]
	s_waitcnt lgkmcnt(0)
	s_barrier
	buffer_gl0_inv
	v_cmpx_gt_u32_e32 19, v0
	s_cbranch_execz .LBB117_91
; %bb.88:
	v_add_nc_u32_e32 v5, -1, v0
	v_add_nc_u32_e32 v6, 0x1b0, v3
	v_mov_b32_e32 v7, v3
	v_mov_b32_e32 v2, 0
	;; [unrolled: 1-line block ×3, first 2 shown]
	s_mov_b32 s5, 0
	.p2align	6
.LBB117_89:                             ; =>This Inner Loop Header: Depth=1
	s_clause 0x1
	buffer_load_dword v119, v7, s[0:3], 0 offen offset:4
	buffer_load_dword v120, v7, s[0:3], 0 offen
	ds_read_b64 v[117:118], v6
	v_add_nc_u32_e32 v5, 1, v5
	v_add_nc_u32_e32 v6, 8, v6
	;; [unrolled: 1-line block ×3, first 2 shown]
	v_cmp_lt_u32_e32 vcc_lo, 17, v5
	s_or_b32 s5, vcc_lo, s5
	s_waitcnt vmcnt(1) lgkmcnt(0)
	v_mul_f32_e32 v121, v118, v119
	v_mul_f32_e32 v119, v117, v119
	s_waitcnt vmcnt(0)
	v_fma_f32 v117, v117, v120, -v121
	v_fmac_f32_e32 v119, v118, v120
	v_add_f32_e32 v8, v8, v117
	v_add_f32_e32 v2, v2, v119
	s_andn2_b32 exec_lo, exec_lo, s5
	s_cbranch_execnz .LBB117_89
; %bb.90:
	s_or_b32 exec_lo, exec_lo, s5
	v_mov_b32_e32 v5, 0
	ds_read_b64 v[5:6], v5 offset:152
	s_waitcnt lgkmcnt(0)
	v_mul_f32_e32 v7, v2, v6
	v_mul_f32_e32 v6, v8, v6
	v_fma_f32 v7, v8, v5, -v7
	v_fmac_f32_e32 v6, v2, v5
	buffer_store_dword v7, off, s[0:3], 0 offset:152
	buffer_store_dword v6, off, s[0:3], 0 offset:156
.LBB117_91:
	s_or_b32 exec_lo, exec_lo, s4
	s_waitcnt_vscnt null, 0x0
	s_barrier
	buffer_gl0_inv
	s_clause 0x1
	buffer_load_dword v5, off, s[0:3], 0 offset:160
	buffer_load_dword v6, off, s[0:3], 0 offset:164
	s_mov_b32 s4, exec_lo
	s_waitcnt vmcnt(0)
	ds_write_b64 v4, v[5:6]
	s_waitcnt lgkmcnt(0)
	s_barrier
	buffer_gl0_inv
	v_cmpx_gt_u32_e32 20, v0
	s_cbranch_execz .LBB117_95
; %bb.92:
	v_add_nc_u32_e32 v5, -1, v0
	v_add_nc_u32_e32 v6, 0x1b0, v3
	v_mov_b32_e32 v7, v3
	v_mov_b32_e32 v2, 0
	;; [unrolled: 1-line block ×3, first 2 shown]
	s_mov_b32 s5, 0
	.p2align	6
.LBB117_93:                             ; =>This Inner Loop Header: Depth=1
	s_clause 0x1
	buffer_load_dword v119, v7, s[0:3], 0 offen offset:4
	buffer_load_dword v120, v7, s[0:3], 0 offen
	ds_read_b64 v[117:118], v6
	v_add_nc_u32_e32 v5, 1, v5
	v_add_nc_u32_e32 v6, 8, v6
	;; [unrolled: 1-line block ×3, first 2 shown]
	v_cmp_lt_u32_e32 vcc_lo, 18, v5
	s_or_b32 s5, vcc_lo, s5
	s_waitcnt vmcnt(1) lgkmcnt(0)
	v_mul_f32_e32 v121, v118, v119
	v_mul_f32_e32 v119, v117, v119
	s_waitcnt vmcnt(0)
	v_fma_f32 v117, v117, v120, -v121
	v_fmac_f32_e32 v119, v118, v120
	v_add_f32_e32 v8, v8, v117
	v_add_f32_e32 v2, v2, v119
	s_andn2_b32 exec_lo, exec_lo, s5
	s_cbranch_execnz .LBB117_93
; %bb.94:
	s_or_b32 exec_lo, exec_lo, s5
	v_mov_b32_e32 v5, 0
	ds_read_b64 v[5:6], v5 offset:160
	s_waitcnt lgkmcnt(0)
	v_mul_f32_e32 v7, v2, v6
	v_mul_f32_e32 v6, v8, v6
	v_fma_f32 v7, v8, v5, -v7
	v_fmac_f32_e32 v6, v2, v5
	buffer_store_dword v7, off, s[0:3], 0 offset:160
	buffer_store_dword v6, off, s[0:3], 0 offset:164
.LBB117_95:
	s_or_b32 exec_lo, exec_lo, s4
	s_waitcnt_vscnt null, 0x0
	s_barrier
	buffer_gl0_inv
	s_clause 0x1
	buffer_load_dword v5, off, s[0:3], 0 offset:168
	buffer_load_dword v6, off, s[0:3], 0 offset:172
	s_mov_b32 s4, exec_lo
	s_waitcnt vmcnt(0)
	ds_write_b64 v4, v[5:6]
	s_waitcnt lgkmcnt(0)
	s_barrier
	buffer_gl0_inv
	v_cmpx_gt_u32_e32 21, v0
	s_cbranch_execz .LBB117_99
; %bb.96:
	v_add_nc_u32_e32 v5, -1, v0
	v_add_nc_u32_e32 v6, 0x1b0, v3
	v_mov_b32_e32 v7, v3
	v_mov_b32_e32 v2, 0
	;; [unrolled: 1-line block ×3, first 2 shown]
	s_mov_b32 s5, 0
	.p2align	6
.LBB117_97:                             ; =>This Inner Loop Header: Depth=1
	s_clause 0x1
	buffer_load_dword v119, v7, s[0:3], 0 offen offset:4
	buffer_load_dword v120, v7, s[0:3], 0 offen
	ds_read_b64 v[117:118], v6
	v_add_nc_u32_e32 v5, 1, v5
	v_add_nc_u32_e32 v6, 8, v6
	;; [unrolled: 1-line block ×3, first 2 shown]
	v_cmp_lt_u32_e32 vcc_lo, 19, v5
	s_or_b32 s5, vcc_lo, s5
	s_waitcnt vmcnt(1) lgkmcnt(0)
	v_mul_f32_e32 v121, v118, v119
	v_mul_f32_e32 v119, v117, v119
	s_waitcnt vmcnt(0)
	v_fma_f32 v117, v117, v120, -v121
	v_fmac_f32_e32 v119, v118, v120
	v_add_f32_e32 v8, v8, v117
	v_add_f32_e32 v2, v2, v119
	s_andn2_b32 exec_lo, exec_lo, s5
	s_cbranch_execnz .LBB117_97
; %bb.98:
	s_or_b32 exec_lo, exec_lo, s5
	v_mov_b32_e32 v5, 0
	ds_read_b64 v[5:6], v5 offset:168
	s_waitcnt lgkmcnt(0)
	v_mul_f32_e32 v7, v2, v6
	v_mul_f32_e32 v6, v8, v6
	v_fma_f32 v7, v8, v5, -v7
	v_fmac_f32_e32 v6, v2, v5
	buffer_store_dword v7, off, s[0:3], 0 offset:168
	buffer_store_dword v6, off, s[0:3], 0 offset:172
.LBB117_99:
	s_or_b32 exec_lo, exec_lo, s4
	s_waitcnt_vscnt null, 0x0
	s_barrier
	buffer_gl0_inv
	s_clause 0x1
	buffer_load_dword v5, off, s[0:3], 0 offset:176
	buffer_load_dword v6, off, s[0:3], 0 offset:180
	s_mov_b32 s4, exec_lo
	s_waitcnt vmcnt(0)
	ds_write_b64 v4, v[5:6]
	s_waitcnt lgkmcnt(0)
	s_barrier
	buffer_gl0_inv
	v_cmpx_gt_u32_e32 22, v0
	s_cbranch_execz .LBB117_103
; %bb.100:
	v_add_nc_u32_e32 v5, -1, v0
	v_add_nc_u32_e32 v6, 0x1b0, v3
	v_mov_b32_e32 v7, v3
	v_mov_b32_e32 v2, 0
	;; [unrolled: 1-line block ×3, first 2 shown]
	s_mov_b32 s5, 0
	.p2align	6
.LBB117_101:                            ; =>This Inner Loop Header: Depth=1
	s_clause 0x1
	buffer_load_dword v119, v7, s[0:3], 0 offen offset:4
	buffer_load_dword v120, v7, s[0:3], 0 offen
	ds_read_b64 v[117:118], v6
	v_add_nc_u32_e32 v5, 1, v5
	v_add_nc_u32_e32 v6, 8, v6
	;; [unrolled: 1-line block ×3, first 2 shown]
	v_cmp_lt_u32_e32 vcc_lo, 20, v5
	s_or_b32 s5, vcc_lo, s5
	s_waitcnt vmcnt(1) lgkmcnt(0)
	v_mul_f32_e32 v121, v118, v119
	v_mul_f32_e32 v119, v117, v119
	s_waitcnt vmcnt(0)
	v_fma_f32 v117, v117, v120, -v121
	v_fmac_f32_e32 v119, v118, v120
	v_add_f32_e32 v8, v8, v117
	v_add_f32_e32 v2, v2, v119
	s_andn2_b32 exec_lo, exec_lo, s5
	s_cbranch_execnz .LBB117_101
; %bb.102:
	s_or_b32 exec_lo, exec_lo, s5
	v_mov_b32_e32 v5, 0
	ds_read_b64 v[5:6], v5 offset:176
	s_waitcnt lgkmcnt(0)
	v_mul_f32_e32 v7, v2, v6
	v_mul_f32_e32 v6, v8, v6
	v_fma_f32 v7, v8, v5, -v7
	v_fmac_f32_e32 v6, v2, v5
	buffer_store_dword v7, off, s[0:3], 0 offset:176
	buffer_store_dword v6, off, s[0:3], 0 offset:180
.LBB117_103:
	s_or_b32 exec_lo, exec_lo, s4
	s_waitcnt_vscnt null, 0x0
	s_barrier
	buffer_gl0_inv
	s_clause 0x1
	buffer_load_dword v5, off, s[0:3], 0 offset:184
	buffer_load_dword v6, off, s[0:3], 0 offset:188
	s_mov_b32 s4, exec_lo
	s_waitcnt vmcnt(0)
	ds_write_b64 v4, v[5:6]
	s_waitcnt lgkmcnt(0)
	s_barrier
	buffer_gl0_inv
	v_cmpx_gt_u32_e32 23, v0
	s_cbranch_execz .LBB117_107
; %bb.104:
	v_add_nc_u32_e32 v5, -1, v0
	v_add_nc_u32_e32 v6, 0x1b0, v3
	v_mov_b32_e32 v7, v3
	v_mov_b32_e32 v2, 0
	;; [unrolled: 1-line block ×3, first 2 shown]
	s_mov_b32 s5, 0
	.p2align	6
.LBB117_105:                            ; =>This Inner Loop Header: Depth=1
	s_clause 0x1
	buffer_load_dword v119, v7, s[0:3], 0 offen offset:4
	buffer_load_dword v120, v7, s[0:3], 0 offen
	ds_read_b64 v[117:118], v6
	v_add_nc_u32_e32 v5, 1, v5
	v_add_nc_u32_e32 v6, 8, v6
	;; [unrolled: 1-line block ×3, first 2 shown]
	v_cmp_lt_u32_e32 vcc_lo, 21, v5
	s_or_b32 s5, vcc_lo, s5
	s_waitcnt vmcnt(1) lgkmcnt(0)
	v_mul_f32_e32 v121, v118, v119
	v_mul_f32_e32 v119, v117, v119
	s_waitcnt vmcnt(0)
	v_fma_f32 v117, v117, v120, -v121
	v_fmac_f32_e32 v119, v118, v120
	v_add_f32_e32 v8, v8, v117
	v_add_f32_e32 v2, v2, v119
	s_andn2_b32 exec_lo, exec_lo, s5
	s_cbranch_execnz .LBB117_105
; %bb.106:
	s_or_b32 exec_lo, exec_lo, s5
	v_mov_b32_e32 v5, 0
	ds_read_b64 v[5:6], v5 offset:184
	s_waitcnt lgkmcnt(0)
	v_mul_f32_e32 v7, v2, v6
	v_mul_f32_e32 v6, v8, v6
	v_fma_f32 v7, v8, v5, -v7
	v_fmac_f32_e32 v6, v2, v5
	buffer_store_dword v7, off, s[0:3], 0 offset:184
	buffer_store_dword v6, off, s[0:3], 0 offset:188
.LBB117_107:
	s_or_b32 exec_lo, exec_lo, s4
	s_waitcnt_vscnt null, 0x0
	s_barrier
	buffer_gl0_inv
	s_clause 0x1
	buffer_load_dword v5, off, s[0:3], 0 offset:192
	buffer_load_dword v6, off, s[0:3], 0 offset:196
	s_mov_b32 s4, exec_lo
	s_waitcnt vmcnt(0)
	ds_write_b64 v4, v[5:6]
	s_waitcnt lgkmcnt(0)
	s_barrier
	buffer_gl0_inv
	v_cmpx_gt_u32_e32 24, v0
	s_cbranch_execz .LBB117_111
; %bb.108:
	v_add_nc_u32_e32 v5, -1, v0
	v_add_nc_u32_e32 v6, 0x1b0, v3
	v_mov_b32_e32 v7, v3
	v_mov_b32_e32 v2, 0
	;; [unrolled: 1-line block ×3, first 2 shown]
	s_mov_b32 s5, 0
	.p2align	6
.LBB117_109:                            ; =>This Inner Loop Header: Depth=1
	s_clause 0x1
	buffer_load_dword v119, v7, s[0:3], 0 offen offset:4
	buffer_load_dword v120, v7, s[0:3], 0 offen
	ds_read_b64 v[117:118], v6
	v_add_nc_u32_e32 v5, 1, v5
	v_add_nc_u32_e32 v6, 8, v6
	;; [unrolled: 1-line block ×3, first 2 shown]
	v_cmp_lt_u32_e32 vcc_lo, 22, v5
	s_or_b32 s5, vcc_lo, s5
	s_waitcnt vmcnt(1) lgkmcnt(0)
	v_mul_f32_e32 v121, v118, v119
	v_mul_f32_e32 v119, v117, v119
	s_waitcnt vmcnt(0)
	v_fma_f32 v117, v117, v120, -v121
	v_fmac_f32_e32 v119, v118, v120
	v_add_f32_e32 v8, v8, v117
	v_add_f32_e32 v2, v2, v119
	s_andn2_b32 exec_lo, exec_lo, s5
	s_cbranch_execnz .LBB117_109
; %bb.110:
	s_or_b32 exec_lo, exec_lo, s5
	v_mov_b32_e32 v5, 0
	ds_read_b64 v[5:6], v5 offset:192
	s_waitcnt lgkmcnt(0)
	v_mul_f32_e32 v7, v2, v6
	v_mul_f32_e32 v6, v8, v6
	v_fma_f32 v7, v8, v5, -v7
	v_fmac_f32_e32 v6, v2, v5
	buffer_store_dword v7, off, s[0:3], 0 offset:192
	buffer_store_dword v6, off, s[0:3], 0 offset:196
.LBB117_111:
	s_or_b32 exec_lo, exec_lo, s4
	s_waitcnt_vscnt null, 0x0
	s_barrier
	buffer_gl0_inv
	s_clause 0x1
	buffer_load_dword v5, off, s[0:3], 0 offset:200
	buffer_load_dword v6, off, s[0:3], 0 offset:204
	s_mov_b32 s4, exec_lo
	s_waitcnt vmcnt(0)
	ds_write_b64 v4, v[5:6]
	s_waitcnt lgkmcnt(0)
	s_barrier
	buffer_gl0_inv
	v_cmpx_gt_u32_e32 25, v0
	s_cbranch_execz .LBB117_115
; %bb.112:
	v_add_nc_u32_e32 v5, -1, v0
	v_add_nc_u32_e32 v6, 0x1b0, v3
	v_mov_b32_e32 v7, v3
	v_mov_b32_e32 v2, 0
	;; [unrolled: 1-line block ×3, first 2 shown]
	s_mov_b32 s5, 0
	.p2align	6
.LBB117_113:                            ; =>This Inner Loop Header: Depth=1
	s_clause 0x1
	buffer_load_dword v119, v7, s[0:3], 0 offen offset:4
	buffer_load_dword v120, v7, s[0:3], 0 offen
	ds_read_b64 v[117:118], v6
	v_add_nc_u32_e32 v5, 1, v5
	v_add_nc_u32_e32 v6, 8, v6
	;; [unrolled: 1-line block ×3, first 2 shown]
	v_cmp_lt_u32_e32 vcc_lo, 23, v5
	s_or_b32 s5, vcc_lo, s5
	s_waitcnt vmcnt(1) lgkmcnt(0)
	v_mul_f32_e32 v121, v118, v119
	v_mul_f32_e32 v119, v117, v119
	s_waitcnt vmcnt(0)
	v_fma_f32 v117, v117, v120, -v121
	v_fmac_f32_e32 v119, v118, v120
	v_add_f32_e32 v8, v8, v117
	v_add_f32_e32 v2, v2, v119
	s_andn2_b32 exec_lo, exec_lo, s5
	s_cbranch_execnz .LBB117_113
; %bb.114:
	s_or_b32 exec_lo, exec_lo, s5
	v_mov_b32_e32 v5, 0
	ds_read_b64 v[5:6], v5 offset:200
	s_waitcnt lgkmcnt(0)
	v_mul_f32_e32 v7, v2, v6
	v_mul_f32_e32 v6, v8, v6
	v_fma_f32 v7, v8, v5, -v7
	v_fmac_f32_e32 v6, v2, v5
	buffer_store_dword v7, off, s[0:3], 0 offset:200
	buffer_store_dword v6, off, s[0:3], 0 offset:204
.LBB117_115:
	s_or_b32 exec_lo, exec_lo, s4
	s_waitcnt_vscnt null, 0x0
	s_barrier
	buffer_gl0_inv
	s_clause 0x1
	buffer_load_dword v5, off, s[0:3], 0 offset:208
	buffer_load_dword v6, off, s[0:3], 0 offset:212
	s_mov_b32 s4, exec_lo
	s_waitcnt vmcnt(0)
	ds_write_b64 v4, v[5:6]
	s_waitcnt lgkmcnt(0)
	s_barrier
	buffer_gl0_inv
	v_cmpx_gt_u32_e32 26, v0
	s_cbranch_execz .LBB117_119
; %bb.116:
	v_add_nc_u32_e32 v5, -1, v0
	v_add_nc_u32_e32 v6, 0x1b0, v3
	v_mov_b32_e32 v7, v3
	v_mov_b32_e32 v2, 0
	;; [unrolled: 1-line block ×3, first 2 shown]
	s_mov_b32 s5, 0
	.p2align	6
.LBB117_117:                            ; =>This Inner Loop Header: Depth=1
	s_clause 0x1
	buffer_load_dword v119, v7, s[0:3], 0 offen offset:4
	buffer_load_dword v120, v7, s[0:3], 0 offen
	ds_read_b64 v[117:118], v6
	v_add_nc_u32_e32 v5, 1, v5
	v_add_nc_u32_e32 v6, 8, v6
	;; [unrolled: 1-line block ×3, first 2 shown]
	v_cmp_lt_u32_e32 vcc_lo, 24, v5
	s_or_b32 s5, vcc_lo, s5
	s_waitcnt vmcnt(1) lgkmcnt(0)
	v_mul_f32_e32 v121, v118, v119
	v_mul_f32_e32 v119, v117, v119
	s_waitcnt vmcnt(0)
	v_fma_f32 v117, v117, v120, -v121
	v_fmac_f32_e32 v119, v118, v120
	v_add_f32_e32 v8, v8, v117
	v_add_f32_e32 v2, v2, v119
	s_andn2_b32 exec_lo, exec_lo, s5
	s_cbranch_execnz .LBB117_117
; %bb.118:
	s_or_b32 exec_lo, exec_lo, s5
	v_mov_b32_e32 v5, 0
	ds_read_b64 v[5:6], v5 offset:208
	s_waitcnt lgkmcnt(0)
	v_mul_f32_e32 v7, v2, v6
	v_mul_f32_e32 v6, v8, v6
	v_fma_f32 v7, v8, v5, -v7
	v_fmac_f32_e32 v6, v2, v5
	buffer_store_dword v7, off, s[0:3], 0 offset:208
	buffer_store_dword v6, off, s[0:3], 0 offset:212
.LBB117_119:
	s_or_b32 exec_lo, exec_lo, s4
	s_waitcnt_vscnt null, 0x0
	s_barrier
	buffer_gl0_inv
	s_clause 0x1
	buffer_load_dword v5, off, s[0:3], 0 offset:216
	buffer_load_dword v6, off, s[0:3], 0 offset:220
	s_mov_b32 s4, exec_lo
	s_waitcnt vmcnt(0)
	ds_write_b64 v4, v[5:6]
	s_waitcnt lgkmcnt(0)
	s_barrier
	buffer_gl0_inv
	v_cmpx_gt_u32_e32 27, v0
	s_cbranch_execz .LBB117_123
; %bb.120:
	v_add_nc_u32_e32 v5, -1, v0
	v_add_nc_u32_e32 v6, 0x1b0, v3
	v_mov_b32_e32 v7, v3
	v_mov_b32_e32 v2, 0
	;; [unrolled: 1-line block ×3, first 2 shown]
	s_mov_b32 s5, 0
	.p2align	6
.LBB117_121:                            ; =>This Inner Loop Header: Depth=1
	s_clause 0x1
	buffer_load_dword v119, v7, s[0:3], 0 offen offset:4
	buffer_load_dword v120, v7, s[0:3], 0 offen
	ds_read_b64 v[117:118], v6
	v_add_nc_u32_e32 v5, 1, v5
	v_add_nc_u32_e32 v6, 8, v6
	;; [unrolled: 1-line block ×3, first 2 shown]
	v_cmp_lt_u32_e32 vcc_lo, 25, v5
	s_or_b32 s5, vcc_lo, s5
	s_waitcnt vmcnt(1) lgkmcnt(0)
	v_mul_f32_e32 v121, v118, v119
	v_mul_f32_e32 v119, v117, v119
	s_waitcnt vmcnt(0)
	v_fma_f32 v117, v117, v120, -v121
	v_fmac_f32_e32 v119, v118, v120
	v_add_f32_e32 v8, v8, v117
	v_add_f32_e32 v2, v2, v119
	s_andn2_b32 exec_lo, exec_lo, s5
	s_cbranch_execnz .LBB117_121
; %bb.122:
	s_or_b32 exec_lo, exec_lo, s5
	v_mov_b32_e32 v5, 0
	ds_read_b64 v[5:6], v5 offset:216
	s_waitcnt lgkmcnt(0)
	v_mul_f32_e32 v7, v2, v6
	v_mul_f32_e32 v6, v8, v6
	v_fma_f32 v7, v8, v5, -v7
	v_fmac_f32_e32 v6, v2, v5
	buffer_store_dword v7, off, s[0:3], 0 offset:216
	buffer_store_dword v6, off, s[0:3], 0 offset:220
.LBB117_123:
	s_or_b32 exec_lo, exec_lo, s4
	s_waitcnt_vscnt null, 0x0
	s_barrier
	buffer_gl0_inv
	s_clause 0x1
	buffer_load_dword v5, off, s[0:3], 0 offset:224
	buffer_load_dword v6, off, s[0:3], 0 offset:228
	s_mov_b32 s4, exec_lo
	s_waitcnt vmcnt(0)
	ds_write_b64 v4, v[5:6]
	s_waitcnt lgkmcnt(0)
	s_barrier
	buffer_gl0_inv
	v_cmpx_gt_u32_e32 28, v0
	s_cbranch_execz .LBB117_127
; %bb.124:
	v_add_nc_u32_e32 v5, -1, v0
	v_add_nc_u32_e32 v6, 0x1b0, v3
	v_mov_b32_e32 v7, v3
	v_mov_b32_e32 v2, 0
	;; [unrolled: 1-line block ×3, first 2 shown]
	s_mov_b32 s5, 0
	.p2align	6
.LBB117_125:                            ; =>This Inner Loop Header: Depth=1
	s_clause 0x1
	buffer_load_dword v119, v7, s[0:3], 0 offen offset:4
	buffer_load_dword v120, v7, s[0:3], 0 offen
	ds_read_b64 v[117:118], v6
	v_add_nc_u32_e32 v5, 1, v5
	v_add_nc_u32_e32 v6, 8, v6
	;; [unrolled: 1-line block ×3, first 2 shown]
	v_cmp_lt_u32_e32 vcc_lo, 26, v5
	s_or_b32 s5, vcc_lo, s5
	s_waitcnt vmcnt(1) lgkmcnt(0)
	v_mul_f32_e32 v121, v118, v119
	v_mul_f32_e32 v119, v117, v119
	s_waitcnt vmcnt(0)
	v_fma_f32 v117, v117, v120, -v121
	v_fmac_f32_e32 v119, v118, v120
	v_add_f32_e32 v8, v8, v117
	v_add_f32_e32 v2, v2, v119
	s_andn2_b32 exec_lo, exec_lo, s5
	s_cbranch_execnz .LBB117_125
; %bb.126:
	s_or_b32 exec_lo, exec_lo, s5
	v_mov_b32_e32 v5, 0
	ds_read_b64 v[5:6], v5 offset:224
	s_waitcnt lgkmcnt(0)
	v_mul_f32_e32 v7, v2, v6
	v_mul_f32_e32 v6, v8, v6
	v_fma_f32 v7, v8, v5, -v7
	v_fmac_f32_e32 v6, v2, v5
	buffer_store_dword v7, off, s[0:3], 0 offset:224
	buffer_store_dword v6, off, s[0:3], 0 offset:228
.LBB117_127:
	s_or_b32 exec_lo, exec_lo, s4
	s_waitcnt_vscnt null, 0x0
	s_barrier
	buffer_gl0_inv
	s_clause 0x1
	buffer_load_dword v5, off, s[0:3], 0 offset:232
	buffer_load_dword v6, off, s[0:3], 0 offset:236
	s_mov_b32 s4, exec_lo
	s_waitcnt vmcnt(0)
	ds_write_b64 v4, v[5:6]
	s_waitcnt lgkmcnt(0)
	s_barrier
	buffer_gl0_inv
	v_cmpx_gt_u32_e32 29, v0
	s_cbranch_execz .LBB117_131
; %bb.128:
	v_add_nc_u32_e32 v5, -1, v0
	v_add_nc_u32_e32 v6, 0x1b0, v3
	v_mov_b32_e32 v7, v3
	v_mov_b32_e32 v2, 0
	v_mov_b32_e32 v8, 0
	s_mov_b32 s5, 0
	.p2align	6
.LBB117_129:                            ; =>This Inner Loop Header: Depth=1
	s_clause 0x1
	buffer_load_dword v119, v7, s[0:3], 0 offen offset:4
	buffer_load_dword v120, v7, s[0:3], 0 offen
	ds_read_b64 v[117:118], v6
	v_add_nc_u32_e32 v5, 1, v5
	v_add_nc_u32_e32 v6, 8, v6
	;; [unrolled: 1-line block ×3, first 2 shown]
	v_cmp_lt_u32_e32 vcc_lo, 27, v5
	s_or_b32 s5, vcc_lo, s5
	s_waitcnt vmcnt(1) lgkmcnt(0)
	v_mul_f32_e32 v121, v118, v119
	v_mul_f32_e32 v119, v117, v119
	s_waitcnt vmcnt(0)
	v_fma_f32 v117, v117, v120, -v121
	v_fmac_f32_e32 v119, v118, v120
	v_add_f32_e32 v8, v8, v117
	v_add_f32_e32 v2, v2, v119
	s_andn2_b32 exec_lo, exec_lo, s5
	s_cbranch_execnz .LBB117_129
; %bb.130:
	s_or_b32 exec_lo, exec_lo, s5
	v_mov_b32_e32 v5, 0
	ds_read_b64 v[5:6], v5 offset:232
	s_waitcnt lgkmcnt(0)
	v_mul_f32_e32 v7, v2, v6
	v_mul_f32_e32 v6, v8, v6
	v_fma_f32 v7, v8, v5, -v7
	v_fmac_f32_e32 v6, v2, v5
	buffer_store_dword v7, off, s[0:3], 0 offset:232
	buffer_store_dword v6, off, s[0:3], 0 offset:236
.LBB117_131:
	s_or_b32 exec_lo, exec_lo, s4
	s_waitcnt_vscnt null, 0x0
	s_barrier
	buffer_gl0_inv
	s_clause 0x1
	buffer_load_dword v5, off, s[0:3], 0 offset:240
	buffer_load_dword v6, off, s[0:3], 0 offset:244
	s_mov_b32 s4, exec_lo
	s_waitcnt vmcnt(0)
	ds_write_b64 v4, v[5:6]
	s_waitcnt lgkmcnt(0)
	s_barrier
	buffer_gl0_inv
	v_cmpx_gt_u32_e32 30, v0
	s_cbranch_execz .LBB117_135
; %bb.132:
	v_add_nc_u32_e32 v5, -1, v0
	v_add_nc_u32_e32 v6, 0x1b0, v3
	v_mov_b32_e32 v7, v3
	v_mov_b32_e32 v2, 0
	;; [unrolled: 1-line block ×3, first 2 shown]
	s_mov_b32 s5, 0
	.p2align	6
.LBB117_133:                            ; =>This Inner Loop Header: Depth=1
	s_clause 0x1
	buffer_load_dword v119, v7, s[0:3], 0 offen offset:4
	buffer_load_dword v120, v7, s[0:3], 0 offen
	ds_read_b64 v[117:118], v6
	v_add_nc_u32_e32 v5, 1, v5
	v_add_nc_u32_e32 v6, 8, v6
	;; [unrolled: 1-line block ×3, first 2 shown]
	v_cmp_lt_u32_e32 vcc_lo, 28, v5
	s_or_b32 s5, vcc_lo, s5
	s_waitcnt vmcnt(1) lgkmcnt(0)
	v_mul_f32_e32 v121, v118, v119
	v_mul_f32_e32 v119, v117, v119
	s_waitcnt vmcnt(0)
	v_fma_f32 v117, v117, v120, -v121
	v_fmac_f32_e32 v119, v118, v120
	v_add_f32_e32 v8, v8, v117
	v_add_f32_e32 v2, v2, v119
	s_andn2_b32 exec_lo, exec_lo, s5
	s_cbranch_execnz .LBB117_133
; %bb.134:
	s_or_b32 exec_lo, exec_lo, s5
	v_mov_b32_e32 v5, 0
	ds_read_b64 v[5:6], v5 offset:240
	s_waitcnt lgkmcnt(0)
	v_mul_f32_e32 v7, v2, v6
	v_mul_f32_e32 v6, v8, v6
	v_fma_f32 v7, v8, v5, -v7
	v_fmac_f32_e32 v6, v2, v5
	buffer_store_dword v7, off, s[0:3], 0 offset:240
	buffer_store_dword v6, off, s[0:3], 0 offset:244
.LBB117_135:
	s_or_b32 exec_lo, exec_lo, s4
	s_waitcnt_vscnt null, 0x0
	s_barrier
	buffer_gl0_inv
	s_clause 0x1
	buffer_load_dword v5, off, s[0:3], 0 offset:248
	buffer_load_dword v6, off, s[0:3], 0 offset:252
	s_mov_b32 s4, exec_lo
	s_waitcnt vmcnt(0)
	ds_write_b64 v4, v[5:6]
	s_waitcnt lgkmcnt(0)
	s_barrier
	buffer_gl0_inv
	v_cmpx_gt_u32_e32 31, v0
	s_cbranch_execz .LBB117_139
; %bb.136:
	v_add_nc_u32_e32 v5, -1, v0
	v_add_nc_u32_e32 v6, 0x1b0, v3
	v_mov_b32_e32 v7, v3
	v_mov_b32_e32 v2, 0
	;; [unrolled: 1-line block ×3, first 2 shown]
	s_mov_b32 s5, 0
	.p2align	6
.LBB117_137:                            ; =>This Inner Loop Header: Depth=1
	s_clause 0x1
	buffer_load_dword v119, v7, s[0:3], 0 offen offset:4
	buffer_load_dword v120, v7, s[0:3], 0 offen
	ds_read_b64 v[117:118], v6
	v_add_nc_u32_e32 v5, 1, v5
	v_add_nc_u32_e32 v6, 8, v6
	;; [unrolled: 1-line block ×3, first 2 shown]
	v_cmp_lt_u32_e32 vcc_lo, 29, v5
	s_or_b32 s5, vcc_lo, s5
	s_waitcnt vmcnt(1) lgkmcnt(0)
	v_mul_f32_e32 v121, v118, v119
	v_mul_f32_e32 v119, v117, v119
	s_waitcnt vmcnt(0)
	v_fma_f32 v117, v117, v120, -v121
	v_fmac_f32_e32 v119, v118, v120
	v_add_f32_e32 v8, v8, v117
	v_add_f32_e32 v2, v2, v119
	s_andn2_b32 exec_lo, exec_lo, s5
	s_cbranch_execnz .LBB117_137
; %bb.138:
	s_or_b32 exec_lo, exec_lo, s5
	v_mov_b32_e32 v5, 0
	ds_read_b64 v[5:6], v5 offset:248
	s_waitcnt lgkmcnt(0)
	v_mul_f32_e32 v7, v2, v6
	v_mul_f32_e32 v6, v8, v6
	v_fma_f32 v7, v8, v5, -v7
	v_fmac_f32_e32 v6, v2, v5
	buffer_store_dword v7, off, s[0:3], 0 offset:248
	buffer_store_dword v6, off, s[0:3], 0 offset:252
.LBB117_139:
	s_or_b32 exec_lo, exec_lo, s4
	s_waitcnt_vscnt null, 0x0
	s_barrier
	buffer_gl0_inv
	s_clause 0x1
	buffer_load_dword v5, off, s[0:3], 0 offset:256
	buffer_load_dword v6, off, s[0:3], 0 offset:260
	s_mov_b32 s4, exec_lo
	s_waitcnt vmcnt(0)
	ds_write_b64 v4, v[5:6]
	s_waitcnt lgkmcnt(0)
	s_barrier
	buffer_gl0_inv
	v_cmpx_gt_u32_e32 32, v0
	s_cbranch_execz .LBB117_143
; %bb.140:
	v_add_nc_u32_e32 v5, -1, v0
	v_add_nc_u32_e32 v6, 0x1b0, v3
	v_mov_b32_e32 v7, v3
	v_mov_b32_e32 v2, 0
	;; [unrolled: 1-line block ×3, first 2 shown]
	s_mov_b32 s5, 0
	.p2align	6
.LBB117_141:                            ; =>This Inner Loop Header: Depth=1
	s_clause 0x1
	buffer_load_dword v119, v7, s[0:3], 0 offen offset:4
	buffer_load_dword v120, v7, s[0:3], 0 offen
	ds_read_b64 v[117:118], v6
	v_add_nc_u32_e32 v5, 1, v5
	v_add_nc_u32_e32 v6, 8, v6
	;; [unrolled: 1-line block ×3, first 2 shown]
	v_cmp_lt_u32_e32 vcc_lo, 30, v5
	s_or_b32 s5, vcc_lo, s5
	s_waitcnt vmcnt(1) lgkmcnt(0)
	v_mul_f32_e32 v121, v118, v119
	v_mul_f32_e32 v119, v117, v119
	s_waitcnt vmcnt(0)
	v_fma_f32 v117, v117, v120, -v121
	v_fmac_f32_e32 v119, v118, v120
	v_add_f32_e32 v8, v8, v117
	v_add_f32_e32 v2, v2, v119
	s_andn2_b32 exec_lo, exec_lo, s5
	s_cbranch_execnz .LBB117_141
; %bb.142:
	s_or_b32 exec_lo, exec_lo, s5
	v_mov_b32_e32 v5, 0
	ds_read_b64 v[5:6], v5 offset:256
	s_waitcnt lgkmcnt(0)
	v_mul_f32_e32 v7, v2, v6
	v_mul_f32_e32 v6, v8, v6
	v_fma_f32 v7, v8, v5, -v7
	v_fmac_f32_e32 v6, v2, v5
	buffer_store_dword v7, off, s[0:3], 0 offset:256
	buffer_store_dword v6, off, s[0:3], 0 offset:260
.LBB117_143:
	s_or_b32 exec_lo, exec_lo, s4
	s_waitcnt_vscnt null, 0x0
	s_barrier
	buffer_gl0_inv
	s_clause 0x1
	buffer_load_dword v5, off, s[0:3], 0 offset:264
	buffer_load_dword v6, off, s[0:3], 0 offset:268
	s_mov_b32 s4, exec_lo
	s_waitcnt vmcnt(0)
	ds_write_b64 v4, v[5:6]
	s_waitcnt lgkmcnt(0)
	s_barrier
	buffer_gl0_inv
	v_cmpx_gt_u32_e32 33, v0
	s_cbranch_execz .LBB117_147
; %bb.144:
	v_add_nc_u32_e32 v5, -1, v0
	v_add_nc_u32_e32 v6, 0x1b0, v3
	v_mov_b32_e32 v7, v3
	v_mov_b32_e32 v2, 0
	;; [unrolled: 1-line block ×3, first 2 shown]
	s_mov_b32 s5, 0
	.p2align	6
.LBB117_145:                            ; =>This Inner Loop Header: Depth=1
	s_clause 0x1
	buffer_load_dword v119, v7, s[0:3], 0 offen offset:4
	buffer_load_dword v120, v7, s[0:3], 0 offen
	ds_read_b64 v[117:118], v6
	v_add_nc_u32_e32 v5, 1, v5
	v_add_nc_u32_e32 v6, 8, v6
	;; [unrolled: 1-line block ×3, first 2 shown]
	v_cmp_lt_u32_e32 vcc_lo, 31, v5
	s_or_b32 s5, vcc_lo, s5
	s_waitcnt vmcnt(1) lgkmcnt(0)
	v_mul_f32_e32 v121, v118, v119
	v_mul_f32_e32 v119, v117, v119
	s_waitcnt vmcnt(0)
	v_fma_f32 v117, v117, v120, -v121
	v_fmac_f32_e32 v119, v118, v120
	v_add_f32_e32 v8, v8, v117
	v_add_f32_e32 v2, v2, v119
	s_andn2_b32 exec_lo, exec_lo, s5
	s_cbranch_execnz .LBB117_145
; %bb.146:
	s_or_b32 exec_lo, exec_lo, s5
	v_mov_b32_e32 v5, 0
	ds_read_b64 v[5:6], v5 offset:264
	s_waitcnt lgkmcnt(0)
	v_mul_f32_e32 v7, v2, v6
	v_mul_f32_e32 v6, v8, v6
	v_fma_f32 v7, v8, v5, -v7
	v_fmac_f32_e32 v6, v2, v5
	buffer_store_dword v7, off, s[0:3], 0 offset:264
	buffer_store_dword v6, off, s[0:3], 0 offset:268
.LBB117_147:
	s_or_b32 exec_lo, exec_lo, s4
	s_waitcnt_vscnt null, 0x0
	s_barrier
	buffer_gl0_inv
	s_clause 0x1
	buffer_load_dword v5, off, s[0:3], 0 offset:272
	buffer_load_dword v6, off, s[0:3], 0 offset:276
	s_mov_b32 s4, exec_lo
	s_waitcnt vmcnt(0)
	ds_write_b64 v4, v[5:6]
	s_waitcnt lgkmcnt(0)
	s_barrier
	buffer_gl0_inv
	v_cmpx_gt_u32_e32 34, v0
	s_cbranch_execz .LBB117_151
; %bb.148:
	v_add_nc_u32_e32 v5, -1, v0
	v_add_nc_u32_e32 v6, 0x1b0, v3
	v_mov_b32_e32 v7, v3
	v_mov_b32_e32 v2, 0
	;; [unrolled: 1-line block ×3, first 2 shown]
	s_mov_b32 s5, 0
	.p2align	6
.LBB117_149:                            ; =>This Inner Loop Header: Depth=1
	s_clause 0x1
	buffer_load_dword v119, v7, s[0:3], 0 offen offset:4
	buffer_load_dword v120, v7, s[0:3], 0 offen
	ds_read_b64 v[117:118], v6
	v_add_nc_u32_e32 v5, 1, v5
	v_add_nc_u32_e32 v6, 8, v6
	;; [unrolled: 1-line block ×3, first 2 shown]
	v_cmp_lt_u32_e32 vcc_lo, 32, v5
	s_or_b32 s5, vcc_lo, s5
	s_waitcnt vmcnt(1) lgkmcnt(0)
	v_mul_f32_e32 v121, v118, v119
	v_mul_f32_e32 v119, v117, v119
	s_waitcnt vmcnt(0)
	v_fma_f32 v117, v117, v120, -v121
	v_fmac_f32_e32 v119, v118, v120
	v_add_f32_e32 v8, v8, v117
	v_add_f32_e32 v2, v2, v119
	s_andn2_b32 exec_lo, exec_lo, s5
	s_cbranch_execnz .LBB117_149
; %bb.150:
	s_or_b32 exec_lo, exec_lo, s5
	v_mov_b32_e32 v5, 0
	ds_read_b64 v[5:6], v5 offset:272
	s_waitcnt lgkmcnt(0)
	v_mul_f32_e32 v7, v2, v6
	v_mul_f32_e32 v6, v8, v6
	v_fma_f32 v7, v8, v5, -v7
	v_fmac_f32_e32 v6, v2, v5
	buffer_store_dword v7, off, s[0:3], 0 offset:272
	buffer_store_dword v6, off, s[0:3], 0 offset:276
.LBB117_151:
	s_or_b32 exec_lo, exec_lo, s4
	s_waitcnt_vscnt null, 0x0
	s_barrier
	buffer_gl0_inv
	s_clause 0x1
	buffer_load_dword v5, off, s[0:3], 0 offset:280
	buffer_load_dword v6, off, s[0:3], 0 offset:284
	s_mov_b32 s4, exec_lo
	s_waitcnt vmcnt(0)
	ds_write_b64 v4, v[5:6]
	s_waitcnt lgkmcnt(0)
	s_barrier
	buffer_gl0_inv
	v_cmpx_gt_u32_e32 35, v0
	s_cbranch_execz .LBB117_155
; %bb.152:
	v_add_nc_u32_e32 v5, -1, v0
	v_add_nc_u32_e32 v6, 0x1b0, v3
	v_mov_b32_e32 v7, v3
	v_mov_b32_e32 v2, 0
	;; [unrolled: 1-line block ×3, first 2 shown]
	s_mov_b32 s5, 0
	.p2align	6
.LBB117_153:                            ; =>This Inner Loop Header: Depth=1
	s_clause 0x1
	buffer_load_dword v119, v7, s[0:3], 0 offen offset:4
	buffer_load_dword v120, v7, s[0:3], 0 offen
	ds_read_b64 v[117:118], v6
	v_add_nc_u32_e32 v5, 1, v5
	v_add_nc_u32_e32 v6, 8, v6
	;; [unrolled: 1-line block ×3, first 2 shown]
	v_cmp_lt_u32_e32 vcc_lo, 33, v5
	s_or_b32 s5, vcc_lo, s5
	s_waitcnt vmcnt(1) lgkmcnt(0)
	v_mul_f32_e32 v121, v118, v119
	v_mul_f32_e32 v119, v117, v119
	s_waitcnt vmcnt(0)
	v_fma_f32 v117, v117, v120, -v121
	v_fmac_f32_e32 v119, v118, v120
	v_add_f32_e32 v8, v8, v117
	v_add_f32_e32 v2, v2, v119
	s_andn2_b32 exec_lo, exec_lo, s5
	s_cbranch_execnz .LBB117_153
; %bb.154:
	s_or_b32 exec_lo, exec_lo, s5
	v_mov_b32_e32 v5, 0
	ds_read_b64 v[5:6], v5 offset:280
	s_waitcnt lgkmcnt(0)
	v_mul_f32_e32 v7, v2, v6
	v_mul_f32_e32 v6, v8, v6
	v_fma_f32 v7, v8, v5, -v7
	v_fmac_f32_e32 v6, v2, v5
	buffer_store_dword v7, off, s[0:3], 0 offset:280
	buffer_store_dword v6, off, s[0:3], 0 offset:284
.LBB117_155:
	s_or_b32 exec_lo, exec_lo, s4
	s_waitcnt_vscnt null, 0x0
	s_barrier
	buffer_gl0_inv
	s_clause 0x1
	buffer_load_dword v5, off, s[0:3], 0 offset:288
	buffer_load_dword v6, off, s[0:3], 0 offset:292
	s_mov_b32 s4, exec_lo
	s_waitcnt vmcnt(0)
	ds_write_b64 v4, v[5:6]
	s_waitcnt lgkmcnt(0)
	s_barrier
	buffer_gl0_inv
	v_cmpx_gt_u32_e32 36, v0
	s_cbranch_execz .LBB117_159
; %bb.156:
	v_add_nc_u32_e32 v5, -1, v0
	v_add_nc_u32_e32 v6, 0x1b0, v3
	v_mov_b32_e32 v7, v3
	v_mov_b32_e32 v2, 0
	;; [unrolled: 1-line block ×3, first 2 shown]
	s_mov_b32 s5, 0
	.p2align	6
.LBB117_157:                            ; =>This Inner Loop Header: Depth=1
	s_clause 0x1
	buffer_load_dword v119, v7, s[0:3], 0 offen offset:4
	buffer_load_dword v120, v7, s[0:3], 0 offen
	ds_read_b64 v[117:118], v6
	v_add_nc_u32_e32 v5, 1, v5
	v_add_nc_u32_e32 v6, 8, v6
	;; [unrolled: 1-line block ×3, first 2 shown]
	v_cmp_lt_u32_e32 vcc_lo, 34, v5
	s_or_b32 s5, vcc_lo, s5
	s_waitcnt vmcnt(1) lgkmcnt(0)
	v_mul_f32_e32 v121, v118, v119
	v_mul_f32_e32 v119, v117, v119
	s_waitcnt vmcnt(0)
	v_fma_f32 v117, v117, v120, -v121
	v_fmac_f32_e32 v119, v118, v120
	v_add_f32_e32 v8, v8, v117
	v_add_f32_e32 v2, v2, v119
	s_andn2_b32 exec_lo, exec_lo, s5
	s_cbranch_execnz .LBB117_157
; %bb.158:
	s_or_b32 exec_lo, exec_lo, s5
	v_mov_b32_e32 v5, 0
	ds_read_b64 v[5:6], v5 offset:288
	s_waitcnt lgkmcnt(0)
	v_mul_f32_e32 v7, v2, v6
	v_mul_f32_e32 v6, v8, v6
	v_fma_f32 v7, v8, v5, -v7
	v_fmac_f32_e32 v6, v2, v5
	buffer_store_dword v7, off, s[0:3], 0 offset:288
	buffer_store_dword v6, off, s[0:3], 0 offset:292
.LBB117_159:
	s_or_b32 exec_lo, exec_lo, s4
	s_waitcnt_vscnt null, 0x0
	s_barrier
	buffer_gl0_inv
	s_clause 0x1
	buffer_load_dword v5, off, s[0:3], 0 offset:296
	buffer_load_dword v6, off, s[0:3], 0 offset:300
	s_mov_b32 s4, exec_lo
	s_waitcnt vmcnt(0)
	ds_write_b64 v4, v[5:6]
	s_waitcnt lgkmcnt(0)
	s_barrier
	buffer_gl0_inv
	v_cmpx_gt_u32_e32 37, v0
	s_cbranch_execz .LBB117_163
; %bb.160:
	v_add_nc_u32_e32 v5, -1, v0
	v_add_nc_u32_e32 v6, 0x1b0, v3
	v_mov_b32_e32 v7, v3
	v_mov_b32_e32 v2, 0
	;; [unrolled: 1-line block ×3, first 2 shown]
	s_mov_b32 s5, 0
	.p2align	6
.LBB117_161:                            ; =>This Inner Loop Header: Depth=1
	s_clause 0x1
	buffer_load_dword v119, v7, s[0:3], 0 offen offset:4
	buffer_load_dword v120, v7, s[0:3], 0 offen
	ds_read_b64 v[117:118], v6
	v_add_nc_u32_e32 v5, 1, v5
	v_add_nc_u32_e32 v6, 8, v6
	;; [unrolled: 1-line block ×3, first 2 shown]
	v_cmp_lt_u32_e32 vcc_lo, 35, v5
	s_or_b32 s5, vcc_lo, s5
	s_waitcnt vmcnt(1) lgkmcnt(0)
	v_mul_f32_e32 v121, v118, v119
	v_mul_f32_e32 v119, v117, v119
	s_waitcnt vmcnt(0)
	v_fma_f32 v117, v117, v120, -v121
	v_fmac_f32_e32 v119, v118, v120
	v_add_f32_e32 v8, v8, v117
	v_add_f32_e32 v2, v2, v119
	s_andn2_b32 exec_lo, exec_lo, s5
	s_cbranch_execnz .LBB117_161
; %bb.162:
	s_or_b32 exec_lo, exec_lo, s5
	v_mov_b32_e32 v5, 0
	ds_read_b64 v[5:6], v5 offset:296
	s_waitcnt lgkmcnt(0)
	v_mul_f32_e32 v7, v2, v6
	v_mul_f32_e32 v6, v8, v6
	v_fma_f32 v7, v8, v5, -v7
	v_fmac_f32_e32 v6, v2, v5
	buffer_store_dword v7, off, s[0:3], 0 offset:296
	buffer_store_dword v6, off, s[0:3], 0 offset:300
.LBB117_163:
	s_or_b32 exec_lo, exec_lo, s4
	s_waitcnt_vscnt null, 0x0
	s_barrier
	buffer_gl0_inv
	s_clause 0x1
	buffer_load_dword v5, off, s[0:3], 0 offset:304
	buffer_load_dword v6, off, s[0:3], 0 offset:308
	s_mov_b32 s4, exec_lo
	s_waitcnt vmcnt(0)
	ds_write_b64 v4, v[5:6]
	s_waitcnt lgkmcnt(0)
	s_barrier
	buffer_gl0_inv
	v_cmpx_gt_u32_e32 38, v0
	s_cbranch_execz .LBB117_167
; %bb.164:
	v_add_nc_u32_e32 v5, -1, v0
	v_add_nc_u32_e32 v6, 0x1b0, v3
	v_mov_b32_e32 v7, v3
	v_mov_b32_e32 v2, 0
	;; [unrolled: 1-line block ×3, first 2 shown]
	s_mov_b32 s5, 0
	.p2align	6
.LBB117_165:                            ; =>This Inner Loop Header: Depth=1
	s_clause 0x1
	buffer_load_dword v119, v7, s[0:3], 0 offen offset:4
	buffer_load_dword v120, v7, s[0:3], 0 offen
	ds_read_b64 v[117:118], v6
	v_add_nc_u32_e32 v5, 1, v5
	v_add_nc_u32_e32 v6, 8, v6
	;; [unrolled: 1-line block ×3, first 2 shown]
	v_cmp_lt_u32_e32 vcc_lo, 36, v5
	s_or_b32 s5, vcc_lo, s5
	s_waitcnt vmcnt(1) lgkmcnt(0)
	v_mul_f32_e32 v121, v118, v119
	v_mul_f32_e32 v119, v117, v119
	s_waitcnt vmcnt(0)
	v_fma_f32 v117, v117, v120, -v121
	v_fmac_f32_e32 v119, v118, v120
	v_add_f32_e32 v8, v8, v117
	v_add_f32_e32 v2, v2, v119
	s_andn2_b32 exec_lo, exec_lo, s5
	s_cbranch_execnz .LBB117_165
; %bb.166:
	s_or_b32 exec_lo, exec_lo, s5
	v_mov_b32_e32 v5, 0
	ds_read_b64 v[5:6], v5 offset:304
	s_waitcnt lgkmcnt(0)
	v_mul_f32_e32 v7, v2, v6
	v_mul_f32_e32 v6, v8, v6
	v_fma_f32 v7, v8, v5, -v7
	v_fmac_f32_e32 v6, v2, v5
	buffer_store_dword v7, off, s[0:3], 0 offset:304
	buffer_store_dword v6, off, s[0:3], 0 offset:308
.LBB117_167:
	s_or_b32 exec_lo, exec_lo, s4
	s_waitcnt_vscnt null, 0x0
	s_barrier
	buffer_gl0_inv
	s_clause 0x1
	buffer_load_dword v5, off, s[0:3], 0 offset:312
	buffer_load_dword v6, off, s[0:3], 0 offset:316
	s_mov_b32 s4, exec_lo
	s_waitcnt vmcnt(0)
	ds_write_b64 v4, v[5:6]
	s_waitcnt lgkmcnt(0)
	s_barrier
	buffer_gl0_inv
	v_cmpx_gt_u32_e32 39, v0
	s_cbranch_execz .LBB117_171
; %bb.168:
	v_add_nc_u32_e32 v5, -1, v0
	v_add_nc_u32_e32 v6, 0x1b0, v3
	v_mov_b32_e32 v7, v3
	v_mov_b32_e32 v2, 0
	;; [unrolled: 1-line block ×3, first 2 shown]
	s_mov_b32 s5, 0
	.p2align	6
.LBB117_169:                            ; =>This Inner Loop Header: Depth=1
	s_clause 0x1
	buffer_load_dword v119, v7, s[0:3], 0 offen offset:4
	buffer_load_dword v120, v7, s[0:3], 0 offen
	ds_read_b64 v[117:118], v6
	v_add_nc_u32_e32 v5, 1, v5
	v_add_nc_u32_e32 v6, 8, v6
	;; [unrolled: 1-line block ×3, first 2 shown]
	v_cmp_lt_u32_e32 vcc_lo, 37, v5
	s_or_b32 s5, vcc_lo, s5
	s_waitcnt vmcnt(1) lgkmcnt(0)
	v_mul_f32_e32 v121, v118, v119
	v_mul_f32_e32 v119, v117, v119
	s_waitcnt vmcnt(0)
	v_fma_f32 v117, v117, v120, -v121
	v_fmac_f32_e32 v119, v118, v120
	v_add_f32_e32 v8, v8, v117
	v_add_f32_e32 v2, v2, v119
	s_andn2_b32 exec_lo, exec_lo, s5
	s_cbranch_execnz .LBB117_169
; %bb.170:
	s_or_b32 exec_lo, exec_lo, s5
	v_mov_b32_e32 v5, 0
	ds_read_b64 v[5:6], v5 offset:312
	s_waitcnt lgkmcnt(0)
	v_mul_f32_e32 v7, v2, v6
	v_mul_f32_e32 v6, v8, v6
	v_fma_f32 v7, v8, v5, -v7
	v_fmac_f32_e32 v6, v2, v5
	buffer_store_dword v7, off, s[0:3], 0 offset:312
	buffer_store_dword v6, off, s[0:3], 0 offset:316
.LBB117_171:
	s_or_b32 exec_lo, exec_lo, s4
	s_waitcnt_vscnt null, 0x0
	s_barrier
	buffer_gl0_inv
	s_clause 0x1
	buffer_load_dword v5, off, s[0:3], 0 offset:320
	buffer_load_dword v6, off, s[0:3], 0 offset:324
	s_mov_b32 s4, exec_lo
	s_waitcnt vmcnt(0)
	ds_write_b64 v4, v[5:6]
	s_waitcnt lgkmcnt(0)
	s_barrier
	buffer_gl0_inv
	v_cmpx_gt_u32_e32 40, v0
	s_cbranch_execz .LBB117_175
; %bb.172:
	v_add_nc_u32_e32 v5, -1, v0
	v_add_nc_u32_e32 v6, 0x1b0, v3
	v_mov_b32_e32 v7, v3
	v_mov_b32_e32 v2, 0
	;; [unrolled: 1-line block ×3, first 2 shown]
	s_mov_b32 s5, 0
	.p2align	6
.LBB117_173:                            ; =>This Inner Loop Header: Depth=1
	s_clause 0x1
	buffer_load_dword v119, v7, s[0:3], 0 offen offset:4
	buffer_load_dword v120, v7, s[0:3], 0 offen
	ds_read_b64 v[117:118], v6
	v_add_nc_u32_e32 v5, 1, v5
	v_add_nc_u32_e32 v6, 8, v6
	;; [unrolled: 1-line block ×3, first 2 shown]
	v_cmp_lt_u32_e32 vcc_lo, 38, v5
	s_or_b32 s5, vcc_lo, s5
	s_waitcnt vmcnt(1) lgkmcnt(0)
	v_mul_f32_e32 v121, v118, v119
	v_mul_f32_e32 v119, v117, v119
	s_waitcnt vmcnt(0)
	v_fma_f32 v117, v117, v120, -v121
	v_fmac_f32_e32 v119, v118, v120
	v_add_f32_e32 v8, v8, v117
	v_add_f32_e32 v2, v2, v119
	s_andn2_b32 exec_lo, exec_lo, s5
	s_cbranch_execnz .LBB117_173
; %bb.174:
	s_or_b32 exec_lo, exec_lo, s5
	v_mov_b32_e32 v5, 0
	ds_read_b64 v[5:6], v5 offset:320
	s_waitcnt lgkmcnt(0)
	v_mul_f32_e32 v7, v2, v6
	v_mul_f32_e32 v6, v8, v6
	v_fma_f32 v7, v8, v5, -v7
	v_fmac_f32_e32 v6, v2, v5
	buffer_store_dword v7, off, s[0:3], 0 offset:320
	buffer_store_dword v6, off, s[0:3], 0 offset:324
.LBB117_175:
	s_or_b32 exec_lo, exec_lo, s4
	s_waitcnt_vscnt null, 0x0
	s_barrier
	buffer_gl0_inv
	s_clause 0x1
	buffer_load_dword v5, off, s[0:3], 0 offset:328
	buffer_load_dword v6, off, s[0:3], 0 offset:332
	s_mov_b32 s4, exec_lo
	s_waitcnt vmcnt(0)
	ds_write_b64 v4, v[5:6]
	s_waitcnt lgkmcnt(0)
	s_barrier
	buffer_gl0_inv
	v_cmpx_gt_u32_e32 41, v0
	s_cbranch_execz .LBB117_179
; %bb.176:
	v_add_nc_u32_e32 v5, -1, v0
	v_add_nc_u32_e32 v6, 0x1b0, v3
	v_mov_b32_e32 v7, v3
	v_mov_b32_e32 v2, 0
	;; [unrolled: 1-line block ×3, first 2 shown]
	s_mov_b32 s5, 0
	.p2align	6
.LBB117_177:                            ; =>This Inner Loop Header: Depth=1
	s_clause 0x1
	buffer_load_dword v119, v7, s[0:3], 0 offen offset:4
	buffer_load_dword v120, v7, s[0:3], 0 offen
	ds_read_b64 v[117:118], v6
	v_add_nc_u32_e32 v5, 1, v5
	v_add_nc_u32_e32 v6, 8, v6
	;; [unrolled: 1-line block ×3, first 2 shown]
	v_cmp_lt_u32_e32 vcc_lo, 39, v5
	s_or_b32 s5, vcc_lo, s5
	s_waitcnt vmcnt(1) lgkmcnt(0)
	v_mul_f32_e32 v121, v118, v119
	v_mul_f32_e32 v119, v117, v119
	s_waitcnt vmcnt(0)
	v_fma_f32 v117, v117, v120, -v121
	v_fmac_f32_e32 v119, v118, v120
	v_add_f32_e32 v8, v8, v117
	v_add_f32_e32 v2, v2, v119
	s_andn2_b32 exec_lo, exec_lo, s5
	s_cbranch_execnz .LBB117_177
; %bb.178:
	s_or_b32 exec_lo, exec_lo, s5
	v_mov_b32_e32 v5, 0
	ds_read_b64 v[5:6], v5 offset:328
	s_waitcnt lgkmcnt(0)
	v_mul_f32_e32 v7, v2, v6
	v_mul_f32_e32 v6, v8, v6
	v_fma_f32 v7, v8, v5, -v7
	v_fmac_f32_e32 v6, v2, v5
	buffer_store_dword v7, off, s[0:3], 0 offset:328
	buffer_store_dword v6, off, s[0:3], 0 offset:332
.LBB117_179:
	s_or_b32 exec_lo, exec_lo, s4
	s_waitcnt_vscnt null, 0x0
	s_barrier
	buffer_gl0_inv
	s_clause 0x1
	buffer_load_dword v5, off, s[0:3], 0 offset:336
	buffer_load_dword v6, off, s[0:3], 0 offset:340
	s_mov_b32 s4, exec_lo
	s_waitcnt vmcnt(0)
	ds_write_b64 v4, v[5:6]
	s_waitcnt lgkmcnt(0)
	s_barrier
	buffer_gl0_inv
	v_cmpx_gt_u32_e32 42, v0
	s_cbranch_execz .LBB117_183
; %bb.180:
	v_add_nc_u32_e32 v5, -1, v0
	v_add_nc_u32_e32 v6, 0x1b0, v3
	v_mov_b32_e32 v7, v3
	v_mov_b32_e32 v2, 0
	;; [unrolled: 1-line block ×3, first 2 shown]
	s_mov_b32 s5, 0
	.p2align	6
.LBB117_181:                            ; =>This Inner Loop Header: Depth=1
	s_clause 0x1
	buffer_load_dword v119, v7, s[0:3], 0 offen offset:4
	buffer_load_dword v120, v7, s[0:3], 0 offen
	ds_read_b64 v[117:118], v6
	v_add_nc_u32_e32 v5, 1, v5
	v_add_nc_u32_e32 v6, 8, v6
	;; [unrolled: 1-line block ×3, first 2 shown]
	v_cmp_lt_u32_e32 vcc_lo, 40, v5
	s_or_b32 s5, vcc_lo, s5
	s_waitcnt vmcnt(1) lgkmcnt(0)
	v_mul_f32_e32 v121, v118, v119
	v_mul_f32_e32 v119, v117, v119
	s_waitcnt vmcnt(0)
	v_fma_f32 v117, v117, v120, -v121
	v_fmac_f32_e32 v119, v118, v120
	v_add_f32_e32 v8, v8, v117
	v_add_f32_e32 v2, v2, v119
	s_andn2_b32 exec_lo, exec_lo, s5
	s_cbranch_execnz .LBB117_181
; %bb.182:
	s_or_b32 exec_lo, exec_lo, s5
	v_mov_b32_e32 v5, 0
	ds_read_b64 v[5:6], v5 offset:336
	s_waitcnt lgkmcnt(0)
	v_mul_f32_e32 v7, v2, v6
	v_mul_f32_e32 v6, v8, v6
	v_fma_f32 v7, v8, v5, -v7
	v_fmac_f32_e32 v6, v2, v5
	buffer_store_dword v7, off, s[0:3], 0 offset:336
	buffer_store_dword v6, off, s[0:3], 0 offset:340
.LBB117_183:
	s_or_b32 exec_lo, exec_lo, s4
	s_waitcnt_vscnt null, 0x0
	s_barrier
	buffer_gl0_inv
	s_clause 0x1
	buffer_load_dword v5, off, s[0:3], 0 offset:344
	buffer_load_dword v6, off, s[0:3], 0 offset:348
	s_mov_b32 s4, exec_lo
	s_waitcnt vmcnt(0)
	ds_write_b64 v4, v[5:6]
	s_waitcnt lgkmcnt(0)
	s_barrier
	buffer_gl0_inv
	v_cmpx_gt_u32_e32 43, v0
	s_cbranch_execz .LBB117_187
; %bb.184:
	v_add_nc_u32_e32 v5, -1, v0
	v_add_nc_u32_e32 v6, 0x1b0, v3
	v_mov_b32_e32 v7, v3
	v_mov_b32_e32 v2, 0
	;; [unrolled: 1-line block ×3, first 2 shown]
	s_mov_b32 s5, 0
	.p2align	6
.LBB117_185:                            ; =>This Inner Loop Header: Depth=1
	s_clause 0x1
	buffer_load_dword v119, v7, s[0:3], 0 offen offset:4
	buffer_load_dword v120, v7, s[0:3], 0 offen
	ds_read_b64 v[117:118], v6
	v_add_nc_u32_e32 v5, 1, v5
	v_add_nc_u32_e32 v6, 8, v6
	;; [unrolled: 1-line block ×3, first 2 shown]
	v_cmp_lt_u32_e32 vcc_lo, 41, v5
	s_or_b32 s5, vcc_lo, s5
	s_waitcnt vmcnt(1) lgkmcnt(0)
	v_mul_f32_e32 v121, v118, v119
	v_mul_f32_e32 v119, v117, v119
	s_waitcnt vmcnt(0)
	v_fma_f32 v117, v117, v120, -v121
	v_fmac_f32_e32 v119, v118, v120
	v_add_f32_e32 v8, v8, v117
	v_add_f32_e32 v2, v2, v119
	s_andn2_b32 exec_lo, exec_lo, s5
	s_cbranch_execnz .LBB117_185
; %bb.186:
	s_or_b32 exec_lo, exec_lo, s5
	v_mov_b32_e32 v5, 0
	ds_read_b64 v[5:6], v5 offset:344
	s_waitcnt lgkmcnt(0)
	v_mul_f32_e32 v7, v2, v6
	v_mul_f32_e32 v6, v8, v6
	v_fma_f32 v7, v8, v5, -v7
	v_fmac_f32_e32 v6, v2, v5
	buffer_store_dword v7, off, s[0:3], 0 offset:344
	buffer_store_dword v6, off, s[0:3], 0 offset:348
.LBB117_187:
	s_or_b32 exec_lo, exec_lo, s4
	s_waitcnt_vscnt null, 0x0
	s_barrier
	buffer_gl0_inv
	s_clause 0x1
	buffer_load_dword v5, off, s[0:3], 0 offset:352
	buffer_load_dword v6, off, s[0:3], 0 offset:356
	s_mov_b32 s4, exec_lo
	s_waitcnt vmcnt(0)
	ds_write_b64 v4, v[5:6]
	s_waitcnt lgkmcnt(0)
	s_barrier
	buffer_gl0_inv
	v_cmpx_gt_u32_e32 44, v0
	s_cbranch_execz .LBB117_191
; %bb.188:
	v_add_nc_u32_e32 v5, -1, v0
	v_add_nc_u32_e32 v6, 0x1b0, v3
	v_mov_b32_e32 v7, v3
	v_mov_b32_e32 v2, 0
	;; [unrolled: 1-line block ×3, first 2 shown]
	s_mov_b32 s5, 0
	.p2align	6
.LBB117_189:                            ; =>This Inner Loop Header: Depth=1
	s_clause 0x1
	buffer_load_dword v119, v7, s[0:3], 0 offen offset:4
	buffer_load_dword v120, v7, s[0:3], 0 offen
	ds_read_b64 v[117:118], v6
	v_add_nc_u32_e32 v5, 1, v5
	v_add_nc_u32_e32 v6, 8, v6
	v_add_nc_u32_e32 v7, 8, v7
	v_cmp_lt_u32_e32 vcc_lo, 42, v5
	s_or_b32 s5, vcc_lo, s5
	s_waitcnt vmcnt(1) lgkmcnt(0)
	v_mul_f32_e32 v121, v118, v119
	v_mul_f32_e32 v119, v117, v119
	s_waitcnt vmcnt(0)
	v_fma_f32 v117, v117, v120, -v121
	v_fmac_f32_e32 v119, v118, v120
	v_add_f32_e32 v8, v8, v117
	v_add_f32_e32 v2, v2, v119
	s_andn2_b32 exec_lo, exec_lo, s5
	s_cbranch_execnz .LBB117_189
; %bb.190:
	s_or_b32 exec_lo, exec_lo, s5
	v_mov_b32_e32 v5, 0
	ds_read_b64 v[5:6], v5 offset:352
	s_waitcnt lgkmcnt(0)
	v_mul_f32_e32 v7, v2, v6
	v_mul_f32_e32 v6, v8, v6
	v_fma_f32 v7, v8, v5, -v7
	v_fmac_f32_e32 v6, v2, v5
	buffer_store_dword v7, off, s[0:3], 0 offset:352
	buffer_store_dword v6, off, s[0:3], 0 offset:356
.LBB117_191:
	s_or_b32 exec_lo, exec_lo, s4
	s_waitcnt_vscnt null, 0x0
	s_barrier
	buffer_gl0_inv
	s_clause 0x1
	buffer_load_dword v5, off, s[0:3], 0 offset:360
	buffer_load_dword v6, off, s[0:3], 0 offset:364
	s_mov_b32 s4, exec_lo
	s_waitcnt vmcnt(0)
	ds_write_b64 v4, v[5:6]
	s_waitcnt lgkmcnt(0)
	s_barrier
	buffer_gl0_inv
	v_cmpx_gt_u32_e32 45, v0
	s_cbranch_execz .LBB117_195
; %bb.192:
	v_add_nc_u32_e32 v5, -1, v0
	v_add_nc_u32_e32 v6, 0x1b0, v3
	v_mov_b32_e32 v7, v3
	v_mov_b32_e32 v2, 0
	;; [unrolled: 1-line block ×3, first 2 shown]
	s_mov_b32 s5, 0
	.p2align	6
.LBB117_193:                            ; =>This Inner Loop Header: Depth=1
	s_clause 0x1
	buffer_load_dword v119, v7, s[0:3], 0 offen offset:4
	buffer_load_dword v120, v7, s[0:3], 0 offen
	ds_read_b64 v[117:118], v6
	v_add_nc_u32_e32 v5, 1, v5
	v_add_nc_u32_e32 v6, 8, v6
	;; [unrolled: 1-line block ×3, first 2 shown]
	v_cmp_lt_u32_e32 vcc_lo, 43, v5
	s_or_b32 s5, vcc_lo, s5
	s_waitcnt vmcnt(1) lgkmcnt(0)
	v_mul_f32_e32 v121, v118, v119
	v_mul_f32_e32 v119, v117, v119
	s_waitcnt vmcnt(0)
	v_fma_f32 v117, v117, v120, -v121
	v_fmac_f32_e32 v119, v118, v120
	v_add_f32_e32 v8, v8, v117
	v_add_f32_e32 v2, v2, v119
	s_andn2_b32 exec_lo, exec_lo, s5
	s_cbranch_execnz .LBB117_193
; %bb.194:
	s_or_b32 exec_lo, exec_lo, s5
	v_mov_b32_e32 v5, 0
	ds_read_b64 v[5:6], v5 offset:360
	s_waitcnt lgkmcnt(0)
	v_mul_f32_e32 v7, v2, v6
	v_mul_f32_e32 v6, v8, v6
	v_fma_f32 v7, v8, v5, -v7
	v_fmac_f32_e32 v6, v2, v5
	buffer_store_dword v7, off, s[0:3], 0 offset:360
	buffer_store_dword v6, off, s[0:3], 0 offset:364
.LBB117_195:
	s_or_b32 exec_lo, exec_lo, s4
	s_waitcnt_vscnt null, 0x0
	s_barrier
	buffer_gl0_inv
	s_clause 0x1
	buffer_load_dword v5, off, s[0:3], 0 offset:368
	buffer_load_dword v6, off, s[0:3], 0 offset:372
	s_mov_b32 s4, exec_lo
	s_waitcnt vmcnt(0)
	ds_write_b64 v4, v[5:6]
	s_waitcnt lgkmcnt(0)
	s_barrier
	buffer_gl0_inv
	v_cmpx_gt_u32_e32 46, v0
	s_cbranch_execz .LBB117_199
; %bb.196:
	v_add_nc_u32_e32 v5, -1, v0
	v_add_nc_u32_e32 v6, 0x1b0, v3
	v_mov_b32_e32 v7, v3
	v_mov_b32_e32 v2, 0
	;; [unrolled: 1-line block ×3, first 2 shown]
	s_mov_b32 s5, 0
	.p2align	6
.LBB117_197:                            ; =>This Inner Loop Header: Depth=1
	s_clause 0x1
	buffer_load_dword v119, v7, s[0:3], 0 offen offset:4
	buffer_load_dword v120, v7, s[0:3], 0 offen
	ds_read_b64 v[117:118], v6
	v_add_nc_u32_e32 v5, 1, v5
	v_add_nc_u32_e32 v6, 8, v6
	;; [unrolled: 1-line block ×3, first 2 shown]
	v_cmp_lt_u32_e32 vcc_lo, 44, v5
	s_or_b32 s5, vcc_lo, s5
	s_waitcnt vmcnt(1) lgkmcnt(0)
	v_mul_f32_e32 v121, v118, v119
	v_mul_f32_e32 v119, v117, v119
	s_waitcnt vmcnt(0)
	v_fma_f32 v117, v117, v120, -v121
	v_fmac_f32_e32 v119, v118, v120
	v_add_f32_e32 v8, v8, v117
	v_add_f32_e32 v2, v2, v119
	s_andn2_b32 exec_lo, exec_lo, s5
	s_cbranch_execnz .LBB117_197
; %bb.198:
	s_or_b32 exec_lo, exec_lo, s5
	v_mov_b32_e32 v5, 0
	ds_read_b64 v[5:6], v5 offset:368
	s_waitcnt lgkmcnt(0)
	v_mul_f32_e32 v7, v2, v6
	v_mul_f32_e32 v6, v8, v6
	v_fma_f32 v7, v8, v5, -v7
	v_fmac_f32_e32 v6, v2, v5
	buffer_store_dword v7, off, s[0:3], 0 offset:368
	buffer_store_dword v6, off, s[0:3], 0 offset:372
.LBB117_199:
	s_or_b32 exec_lo, exec_lo, s4
	s_waitcnt_vscnt null, 0x0
	s_barrier
	buffer_gl0_inv
	s_clause 0x1
	buffer_load_dword v5, off, s[0:3], 0 offset:376
	buffer_load_dword v6, off, s[0:3], 0 offset:380
	s_mov_b32 s4, exec_lo
	s_waitcnt vmcnt(0)
	ds_write_b64 v4, v[5:6]
	s_waitcnt lgkmcnt(0)
	s_barrier
	buffer_gl0_inv
	v_cmpx_gt_u32_e32 47, v0
	s_cbranch_execz .LBB117_203
; %bb.200:
	v_add_nc_u32_e32 v5, -1, v0
	v_add_nc_u32_e32 v6, 0x1b0, v3
	v_mov_b32_e32 v7, v3
	v_mov_b32_e32 v2, 0
	;; [unrolled: 1-line block ×3, first 2 shown]
	s_mov_b32 s5, 0
	.p2align	6
.LBB117_201:                            ; =>This Inner Loop Header: Depth=1
	s_clause 0x1
	buffer_load_dword v119, v7, s[0:3], 0 offen offset:4
	buffer_load_dword v120, v7, s[0:3], 0 offen
	ds_read_b64 v[117:118], v6
	v_add_nc_u32_e32 v5, 1, v5
	v_add_nc_u32_e32 v6, 8, v6
	;; [unrolled: 1-line block ×3, first 2 shown]
	v_cmp_lt_u32_e32 vcc_lo, 45, v5
	s_or_b32 s5, vcc_lo, s5
	s_waitcnt vmcnt(1) lgkmcnt(0)
	v_mul_f32_e32 v121, v118, v119
	v_mul_f32_e32 v119, v117, v119
	s_waitcnt vmcnt(0)
	v_fma_f32 v117, v117, v120, -v121
	v_fmac_f32_e32 v119, v118, v120
	v_add_f32_e32 v8, v8, v117
	v_add_f32_e32 v2, v2, v119
	s_andn2_b32 exec_lo, exec_lo, s5
	s_cbranch_execnz .LBB117_201
; %bb.202:
	s_or_b32 exec_lo, exec_lo, s5
	v_mov_b32_e32 v5, 0
	ds_read_b64 v[5:6], v5 offset:376
	s_waitcnt lgkmcnt(0)
	v_mul_f32_e32 v7, v2, v6
	v_mul_f32_e32 v6, v8, v6
	v_fma_f32 v7, v8, v5, -v7
	v_fmac_f32_e32 v6, v2, v5
	buffer_store_dword v7, off, s[0:3], 0 offset:376
	buffer_store_dword v6, off, s[0:3], 0 offset:380
.LBB117_203:
	s_or_b32 exec_lo, exec_lo, s4
	s_waitcnt_vscnt null, 0x0
	s_barrier
	buffer_gl0_inv
	s_clause 0x1
	buffer_load_dword v5, off, s[0:3], 0 offset:384
	buffer_load_dword v6, off, s[0:3], 0 offset:388
	s_mov_b32 s4, exec_lo
	s_waitcnt vmcnt(0)
	ds_write_b64 v4, v[5:6]
	s_waitcnt lgkmcnt(0)
	s_barrier
	buffer_gl0_inv
	v_cmpx_gt_u32_e32 48, v0
	s_cbranch_execz .LBB117_207
; %bb.204:
	v_add_nc_u32_e32 v5, -1, v0
	v_add_nc_u32_e32 v6, 0x1b0, v3
	v_mov_b32_e32 v7, v3
	v_mov_b32_e32 v2, 0
	v_mov_b32_e32 v8, 0
	s_mov_b32 s5, 0
	.p2align	6
.LBB117_205:                            ; =>This Inner Loop Header: Depth=1
	s_clause 0x1
	buffer_load_dword v119, v7, s[0:3], 0 offen offset:4
	buffer_load_dword v120, v7, s[0:3], 0 offen
	ds_read_b64 v[117:118], v6
	v_add_nc_u32_e32 v5, 1, v5
	v_add_nc_u32_e32 v6, 8, v6
	;; [unrolled: 1-line block ×3, first 2 shown]
	v_cmp_lt_u32_e32 vcc_lo, 46, v5
	s_or_b32 s5, vcc_lo, s5
	s_waitcnt vmcnt(1) lgkmcnt(0)
	v_mul_f32_e32 v121, v118, v119
	v_mul_f32_e32 v119, v117, v119
	s_waitcnt vmcnt(0)
	v_fma_f32 v117, v117, v120, -v121
	v_fmac_f32_e32 v119, v118, v120
	v_add_f32_e32 v8, v8, v117
	v_add_f32_e32 v2, v2, v119
	s_andn2_b32 exec_lo, exec_lo, s5
	s_cbranch_execnz .LBB117_205
; %bb.206:
	s_or_b32 exec_lo, exec_lo, s5
	v_mov_b32_e32 v5, 0
	ds_read_b64 v[5:6], v5 offset:384
	s_waitcnt lgkmcnt(0)
	v_mul_f32_e32 v7, v2, v6
	v_mul_f32_e32 v6, v8, v6
	v_fma_f32 v7, v8, v5, -v7
	v_fmac_f32_e32 v6, v2, v5
	buffer_store_dword v7, off, s[0:3], 0 offset:384
	buffer_store_dword v6, off, s[0:3], 0 offset:388
.LBB117_207:
	s_or_b32 exec_lo, exec_lo, s4
	s_waitcnt_vscnt null, 0x0
	s_barrier
	buffer_gl0_inv
	s_clause 0x1
	buffer_load_dword v5, off, s[0:3], 0 offset:392
	buffer_load_dword v6, off, s[0:3], 0 offset:396
	s_mov_b32 s4, exec_lo
	s_waitcnt vmcnt(0)
	ds_write_b64 v4, v[5:6]
	s_waitcnt lgkmcnt(0)
	s_barrier
	buffer_gl0_inv
	v_cmpx_gt_u32_e32 49, v0
	s_cbranch_execz .LBB117_211
; %bb.208:
	v_add_nc_u32_e32 v5, -1, v0
	v_add_nc_u32_e32 v6, 0x1b0, v3
	v_mov_b32_e32 v7, v3
	v_mov_b32_e32 v2, 0
	;; [unrolled: 1-line block ×3, first 2 shown]
	s_mov_b32 s5, 0
	.p2align	6
.LBB117_209:                            ; =>This Inner Loop Header: Depth=1
	s_clause 0x1
	buffer_load_dword v119, v7, s[0:3], 0 offen offset:4
	buffer_load_dword v120, v7, s[0:3], 0 offen
	ds_read_b64 v[117:118], v6
	v_add_nc_u32_e32 v5, 1, v5
	v_add_nc_u32_e32 v6, 8, v6
	;; [unrolled: 1-line block ×3, first 2 shown]
	v_cmp_lt_u32_e32 vcc_lo, 47, v5
	s_or_b32 s5, vcc_lo, s5
	s_waitcnt vmcnt(1) lgkmcnt(0)
	v_mul_f32_e32 v121, v118, v119
	v_mul_f32_e32 v119, v117, v119
	s_waitcnt vmcnt(0)
	v_fma_f32 v117, v117, v120, -v121
	v_fmac_f32_e32 v119, v118, v120
	v_add_f32_e32 v8, v8, v117
	v_add_f32_e32 v2, v2, v119
	s_andn2_b32 exec_lo, exec_lo, s5
	s_cbranch_execnz .LBB117_209
; %bb.210:
	s_or_b32 exec_lo, exec_lo, s5
	v_mov_b32_e32 v5, 0
	ds_read_b64 v[5:6], v5 offset:392
	s_waitcnt lgkmcnt(0)
	v_mul_f32_e32 v7, v2, v6
	v_mul_f32_e32 v6, v8, v6
	v_fma_f32 v7, v8, v5, -v7
	v_fmac_f32_e32 v6, v2, v5
	buffer_store_dword v7, off, s[0:3], 0 offset:392
	buffer_store_dword v6, off, s[0:3], 0 offset:396
.LBB117_211:
	s_or_b32 exec_lo, exec_lo, s4
	s_waitcnt_vscnt null, 0x0
	s_barrier
	buffer_gl0_inv
	s_clause 0x1
	buffer_load_dword v5, off, s[0:3], 0 offset:400
	buffer_load_dword v6, off, s[0:3], 0 offset:404
	s_mov_b32 s4, exec_lo
	s_waitcnt vmcnt(0)
	ds_write_b64 v4, v[5:6]
	s_waitcnt lgkmcnt(0)
	s_barrier
	buffer_gl0_inv
	v_cmpx_gt_u32_e32 50, v0
	s_cbranch_execz .LBB117_215
; %bb.212:
	v_add_nc_u32_e32 v5, -1, v0
	v_add_nc_u32_e32 v6, 0x1b0, v3
	v_mov_b32_e32 v7, v3
	v_mov_b32_e32 v2, 0
	;; [unrolled: 1-line block ×3, first 2 shown]
	s_mov_b32 s5, 0
	.p2align	6
.LBB117_213:                            ; =>This Inner Loop Header: Depth=1
	s_clause 0x1
	buffer_load_dword v119, v7, s[0:3], 0 offen offset:4
	buffer_load_dword v120, v7, s[0:3], 0 offen
	ds_read_b64 v[117:118], v6
	v_add_nc_u32_e32 v5, 1, v5
	v_add_nc_u32_e32 v6, 8, v6
	;; [unrolled: 1-line block ×3, first 2 shown]
	v_cmp_lt_u32_e32 vcc_lo, 48, v5
	s_or_b32 s5, vcc_lo, s5
	s_waitcnt vmcnt(1) lgkmcnt(0)
	v_mul_f32_e32 v121, v118, v119
	v_mul_f32_e32 v119, v117, v119
	s_waitcnt vmcnt(0)
	v_fma_f32 v117, v117, v120, -v121
	v_fmac_f32_e32 v119, v118, v120
	v_add_f32_e32 v8, v8, v117
	v_add_f32_e32 v2, v2, v119
	s_andn2_b32 exec_lo, exec_lo, s5
	s_cbranch_execnz .LBB117_213
; %bb.214:
	s_or_b32 exec_lo, exec_lo, s5
	v_mov_b32_e32 v5, 0
	ds_read_b64 v[5:6], v5 offset:400
	s_waitcnt lgkmcnt(0)
	v_mul_f32_e32 v7, v2, v6
	v_mul_f32_e32 v6, v8, v6
	v_fma_f32 v7, v8, v5, -v7
	v_fmac_f32_e32 v6, v2, v5
	buffer_store_dword v7, off, s[0:3], 0 offset:400
	buffer_store_dword v6, off, s[0:3], 0 offset:404
.LBB117_215:
	s_or_b32 exec_lo, exec_lo, s4
	s_waitcnt_vscnt null, 0x0
	s_barrier
	buffer_gl0_inv
	s_clause 0x1
	buffer_load_dword v5, off, s[0:3], 0 offset:408
	buffer_load_dword v6, off, s[0:3], 0 offset:412
	s_mov_b32 s4, exec_lo
	s_waitcnt vmcnt(0)
	ds_write_b64 v4, v[5:6]
	s_waitcnt lgkmcnt(0)
	s_barrier
	buffer_gl0_inv
	v_cmpx_gt_u32_e32 51, v0
	s_cbranch_execz .LBB117_219
; %bb.216:
	v_add_nc_u32_e32 v5, -1, v0
	v_add_nc_u32_e32 v6, 0x1b0, v3
	v_mov_b32_e32 v7, v3
	v_mov_b32_e32 v2, 0
	;; [unrolled: 1-line block ×3, first 2 shown]
	s_mov_b32 s5, 0
	.p2align	6
.LBB117_217:                            ; =>This Inner Loop Header: Depth=1
	s_clause 0x1
	buffer_load_dword v119, v7, s[0:3], 0 offen offset:4
	buffer_load_dword v120, v7, s[0:3], 0 offen
	ds_read_b64 v[117:118], v6
	v_add_nc_u32_e32 v5, 1, v5
	v_add_nc_u32_e32 v6, 8, v6
	;; [unrolled: 1-line block ×3, first 2 shown]
	v_cmp_lt_u32_e32 vcc_lo, 49, v5
	s_or_b32 s5, vcc_lo, s5
	s_waitcnt vmcnt(1) lgkmcnt(0)
	v_mul_f32_e32 v121, v118, v119
	v_mul_f32_e32 v119, v117, v119
	s_waitcnt vmcnt(0)
	v_fma_f32 v117, v117, v120, -v121
	v_fmac_f32_e32 v119, v118, v120
	v_add_f32_e32 v8, v8, v117
	v_add_f32_e32 v2, v2, v119
	s_andn2_b32 exec_lo, exec_lo, s5
	s_cbranch_execnz .LBB117_217
; %bb.218:
	s_or_b32 exec_lo, exec_lo, s5
	v_mov_b32_e32 v5, 0
	ds_read_b64 v[5:6], v5 offset:408
	s_waitcnt lgkmcnt(0)
	v_mul_f32_e32 v7, v2, v6
	v_mul_f32_e32 v6, v8, v6
	v_fma_f32 v7, v8, v5, -v7
	v_fmac_f32_e32 v6, v2, v5
	buffer_store_dword v7, off, s[0:3], 0 offset:408
	buffer_store_dword v6, off, s[0:3], 0 offset:412
.LBB117_219:
	s_or_b32 exec_lo, exec_lo, s4
	s_waitcnt_vscnt null, 0x0
	s_barrier
	buffer_gl0_inv
	s_clause 0x1
	buffer_load_dword v5, off, s[0:3], 0 offset:416
	buffer_load_dword v6, off, s[0:3], 0 offset:420
	s_mov_b32 s4, exec_lo
	s_waitcnt vmcnt(0)
	ds_write_b64 v4, v[5:6]
	s_waitcnt lgkmcnt(0)
	s_barrier
	buffer_gl0_inv
	v_cmpx_gt_u32_e32 52, v0
	s_cbranch_execz .LBB117_223
; %bb.220:
	v_add_nc_u32_e32 v5, -1, v0
	v_add_nc_u32_e32 v6, 0x1b0, v3
	v_mov_b32_e32 v7, v3
	v_mov_b32_e32 v2, 0
	;; [unrolled: 1-line block ×3, first 2 shown]
	s_mov_b32 s5, 0
	.p2align	6
.LBB117_221:                            ; =>This Inner Loop Header: Depth=1
	s_clause 0x1
	buffer_load_dword v119, v7, s[0:3], 0 offen offset:4
	buffer_load_dword v120, v7, s[0:3], 0 offen
	ds_read_b64 v[117:118], v6
	v_add_nc_u32_e32 v5, 1, v5
	v_add_nc_u32_e32 v6, 8, v6
	;; [unrolled: 1-line block ×3, first 2 shown]
	v_cmp_lt_u32_e32 vcc_lo, 50, v5
	s_or_b32 s5, vcc_lo, s5
	s_waitcnt vmcnt(1) lgkmcnt(0)
	v_mul_f32_e32 v121, v118, v119
	v_mul_f32_e32 v119, v117, v119
	s_waitcnt vmcnt(0)
	v_fma_f32 v117, v117, v120, -v121
	v_fmac_f32_e32 v119, v118, v120
	v_add_f32_e32 v8, v8, v117
	v_add_f32_e32 v2, v2, v119
	s_andn2_b32 exec_lo, exec_lo, s5
	s_cbranch_execnz .LBB117_221
; %bb.222:
	s_or_b32 exec_lo, exec_lo, s5
	v_mov_b32_e32 v5, 0
	ds_read_b64 v[5:6], v5 offset:416
	s_waitcnt lgkmcnt(0)
	v_mul_f32_e32 v7, v2, v6
	v_mul_f32_e32 v6, v8, v6
	v_fma_f32 v7, v8, v5, -v7
	v_fmac_f32_e32 v6, v2, v5
	buffer_store_dword v7, off, s[0:3], 0 offset:416
	buffer_store_dword v6, off, s[0:3], 0 offset:420
.LBB117_223:
	s_or_b32 exec_lo, exec_lo, s4
	s_waitcnt_vscnt null, 0x0
	s_barrier
	buffer_gl0_inv
	s_clause 0x1
	buffer_load_dword v5, off, s[0:3], 0 offset:424
	buffer_load_dword v6, off, s[0:3], 0 offset:428
	s_mov_b32 s4, exec_lo
	s_waitcnt vmcnt(0)
	ds_write_b64 v4, v[5:6]
	s_waitcnt lgkmcnt(0)
	s_barrier
	buffer_gl0_inv
	v_cmpx_ne_u32_e32 53, v0
	s_cbranch_execz .LBB117_227
; %bb.224:
	v_mov_b32_e32 v2, 0
	v_mov_b32_e32 v5, 0
	s_mov_b32 s5, 0
	.p2align	6
.LBB117_225:                            ; =>This Inner Loop Header: Depth=1
	s_clause 0x1
	buffer_load_dword v8, v3, s[0:3], 0 offen offset:4
	buffer_load_dword v117, v3, s[0:3], 0 offen
	ds_read_b64 v[6:7], v4
	v_add_nc_u32_e32 v1, 1, v1
	v_add_nc_u32_e32 v4, 8, v4
	;; [unrolled: 1-line block ×3, first 2 shown]
	v_cmp_lt_u32_e32 vcc_lo, 51, v1
	s_or_b32 s5, vcc_lo, s5
	s_waitcnt vmcnt(1) lgkmcnt(0)
	v_mul_f32_e32 v118, v7, v8
	v_mul_f32_e32 v8, v6, v8
	s_waitcnt vmcnt(0)
	v_fma_f32 v6, v6, v117, -v118
	v_fmac_f32_e32 v8, v7, v117
	v_add_f32_e32 v5, v5, v6
	v_add_f32_e32 v2, v2, v8
	s_andn2_b32 exec_lo, exec_lo, s5
	s_cbranch_execnz .LBB117_225
; %bb.226:
	s_or_b32 exec_lo, exec_lo, s5
	v_mov_b32_e32 v1, 0
	ds_read_b64 v[3:4], v1 offset:424
	s_waitcnt lgkmcnt(0)
	v_mul_f32_e32 v1, v2, v4
	v_mul_f32_e32 v4, v5, v4
	v_fma_f32 v1, v5, v3, -v1
	v_fmac_f32_e32 v4, v2, v3
	buffer_store_dword v1, off, s[0:3], 0 offset:424
	buffer_store_dword v4, off, s[0:3], 0 offset:428
.LBB117_227:
	s_or_b32 exec_lo, exec_lo, s4
	s_mov_b32 s5, -1
	s_waitcnt_vscnt null, 0x0
	s_barrier
	buffer_gl0_inv
.LBB117_228:
	s_and_b32 vcc_lo, exec_lo, s5
	s_cbranch_vccz .LBB117_230
; %bb.229:
	s_lshl_b64 s[4:5], s[6:7], 2
	v_mov_b32_e32 v1, 0
	s_add_u32 s4, s10, s4
	s_addc_u32 s5, s11, s5
	global_load_dword v1, v1, s[4:5]
	s_waitcnt vmcnt(0)
	v_cmp_ne_u32_e32 vcc_lo, 0, v1
	s_cbranch_vccz .LBB117_231
.LBB117_230:
	s_endpgm
.LBB117_231:
	v_lshl_add_u32 v117, v0, 3, 0x1b0
	s_mov_b32 s4, exec_lo
	v_cmpx_eq_u32_e32 53, v0
	s_cbranch_execz .LBB117_233
; %bb.232:
	s_clause 0x1
	buffer_load_dword v1, off, s[0:3], 0 offset:416
	buffer_load_dword v2, off, s[0:3], 0 offset:420
	v_mov_b32_e32 v3, 0
	buffer_store_dword v3, off, s[0:3], 0 offset:416
	buffer_store_dword v3, off, s[0:3], 0 offset:420
	s_waitcnt vmcnt(0)
	ds_write_b64 v117, v[1:2]
.LBB117_233:
	s_or_b32 exec_lo, exec_lo, s4
	s_waitcnt lgkmcnt(0)
	s_waitcnt_vscnt null, 0x0
	s_barrier
	buffer_gl0_inv
	s_clause 0x3
	buffer_load_dword v4, off, s[0:3], 0 offset:428
	buffer_load_dword v5, off, s[0:3], 0 offset:424
	;; [unrolled: 1-line block ×4, first 2 shown]
	v_mov_b32_e32 v1, 0
	s_mov_b32 s4, exec_lo
	ds_read_b64 v[2:3], v1 offset:856
	s_waitcnt vmcnt(3) lgkmcnt(0)
	v_mul_f32_e32 v8, v3, v4
	v_mul_f32_e32 v4, v2, v4
	s_waitcnt vmcnt(2)
	v_fma_f32 v2, v2, v5, -v8
	v_fmac_f32_e32 v4, v3, v5
	v_add_f32_e32 v2, 0, v2
	v_add_f32_e32 v3, 0, v4
	s_waitcnt vmcnt(1)
	v_sub_f32_e32 v2, v6, v2
	s_waitcnt vmcnt(0)
	v_sub_f32_e32 v3, v7, v3
	buffer_store_dword v2, off, s[0:3], 0 offset:416
	buffer_store_dword v3, off, s[0:3], 0 offset:420
	v_cmpx_lt_u32_e32 51, v0
	s_cbranch_execz .LBB117_235
; %bb.234:
	s_clause 0x1
	buffer_load_dword v2, off, s[0:3], 0 offset:408
	buffer_load_dword v3, off, s[0:3], 0 offset:412
	buffer_store_dword v1, off, s[0:3], 0 offset:408
	buffer_store_dword v1, off, s[0:3], 0 offset:412
	s_waitcnt vmcnt(0)
	ds_write_b64 v117, v[2:3]
.LBB117_235:
	s_or_b32 exec_lo, exec_lo, s4
	s_waitcnt lgkmcnt(0)
	s_waitcnt_vscnt null, 0x0
	s_barrier
	buffer_gl0_inv
	s_clause 0x5
	buffer_load_dword v5, off, s[0:3], 0 offset:420
	buffer_load_dword v6, off, s[0:3], 0 offset:428
	;; [unrolled: 1-line block ×6, first 2 shown]
	ds_read_b128 v[1:4], v1 offset:848
	s_mov_b32 s4, exec_lo
	s_waitcnt vmcnt(5) lgkmcnt(0)
	v_mul_f32_e32 v120, v2, v5
	v_mul_f32_e32 v5, v1, v5
	s_waitcnt vmcnt(4)
	v_mul_f32_e32 v121, v3, v6
	v_mul_f32_e32 v6, v4, v6
	s_waitcnt vmcnt(3)
	v_fma_f32 v1, v1, v7, -v120
	v_fmac_f32_e32 v5, v2, v7
	s_waitcnt vmcnt(2)
	v_fmac_f32_e32 v121, v4, v8
	v_fma_f32 v2, v3, v8, -v6
	v_add_f32_e32 v1, 0, v1
	v_add_f32_e32 v3, 0, v5
	;; [unrolled: 1-line block ×4, first 2 shown]
	s_waitcnt vmcnt(1)
	v_sub_f32_e32 v1, v118, v1
	s_waitcnt vmcnt(0)
	v_sub_f32_e32 v2, v119, v2
	buffer_store_dword v1, off, s[0:3], 0 offset:408
	buffer_store_dword v2, off, s[0:3], 0 offset:412
	v_cmpx_lt_u32_e32 50, v0
	s_cbranch_execz .LBB117_237
; %bb.236:
	s_clause 0x1
	buffer_load_dword v1, off, s[0:3], 0 offset:400
	buffer_load_dword v2, off, s[0:3], 0 offset:404
	v_mov_b32_e32 v3, 0
	buffer_store_dword v3, off, s[0:3], 0 offset:400
	buffer_store_dword v3, off, s[0:3], 0 offset:404
	s_waitcnt vmcnt(0)
	ds_write_b64 v117, v[1:2]
.LBB117_237:
	s_or_b32 exec_lo, exec_lo, s4
	s_waitcnt lgkmcnt(0)
	s_waitcnt_vscnt null, 0x0
	s_barrier
	buffer_gl0_inv
	s_clause 0x7
	buffer_load_dword v8, off, s[0:3], 0 offset:412
	buffer_load_dword v118, off, s[0:3], 0 offset:420
	;; [unrolled: 1-line block ×8, first 2 shown]
	v_mov_b32_e32 v1, 0
	ds_read2_b64 v[2:5], v1 offset0:105 offset1:106
	ds_read_b64 v[6:7], v1 offset:856
	s_mov_b32 s4, exec_lo
	s_waitcnt vmcnt(7) lgkmcnt(1)
	v_mul_f32_e32 v125, v3, v8
	v_mul_f32_e32 v8, v2, v8
	s_waitcnt vmcnt(6)
	v_mul_f32_e32 v126, v4, v118
	v_mul_f32_e32 v118, v5, v118
	s_waitcnt vmcnt(5) lgkmcnt(0)
	v_mul_f32_e32 v127, v6, v119
	s_waitcnt vmcnt(4)
	v_fma_f32 v2, v2, v120, -v125
	v_fmac_f32_e32 v8, v3, v120
	v_mul_f32_e32 v3, v7, v119
	s_waitcnt vmcnt(3)
	v_fma_f32 v4, v4, v121, -v118
	v_fmac_f32_e32 v126, v5, v121
	v_add_f32_e32 v2, 0, v2
	v_add_f32_e32 v5, 0, v8
	s_waitcnt vmcnt(2)
	v_fma_f32 v3, v6, v122, -v3
	v_fmac_f32_e32 v127, v7, v122
	v_add_f32_e32 v2, v2, v4
	v_add_f32_e32 v4, v5, v126
	;; [unrolled: 1-line block ×4, first 2 shown]
	s_waitcnt vmcnt(1)
	v_sub_f32_e32 v2, v123, v2
	s_waitcnt vmcnt(0)
	v_sub_f32_e32 v3, v124, v3
	buffer_store_dword v2, off, s[0:3], 0 offset:400
	buffer_store_dword v3, off, s[0:3], 0 offset:404
	v_cmpx_lt_u32_e32 49, v0
	s_cbranch_execz .LBB117_239
; %bb.238:
	s_clause 0x1
	buffer_load_dword v2, off, s[0:3], 0 offset:392
	buffer_load_dword v3, off, s[0:3], 0 offset:396
	buffer_store_dword v1, off, s[0:3], 0 offset:392
	buffer_store_dword v1, off, s[0:3], 0 offset:396
	s_waitcnt vmcnt(0)
	ds_write_b64 v117, v[2:3]
.LBB117_239:
	s_or_b32 exec_lo, exec_lo, s4
	s_waitcnt lgkmcnt(0)
	s_waitcnt_vscnt null, 0x0
	s_barrier
	buffer_gl0_inv
	s_clause 0x9
	buffer_load_dword v6, off, s[0:3], 0 offset:404
	buffer_load_dword v7, off, s[0:3], 0 offset:412
	;; [unrolled: 1-line block ×10, first 2 shown]
	ds_read_b128 v[2:5], v1 offset:832
	ds_read_b128 v[118:121], v1 offset:848
	s_mov_b32 s4, exec_lo
	s_waitcnt vmcnt(9) lgkmcnt(1)
	v_mul_f32_e32 v1, v2, v6
	v_mul_f32_e32 v6, v3, v6
	s_waitcnt vmcnt(8)
	v_mul_f32_e32 v129, v4, v7
	v_mul_f32_e32 v7, v5, v7
	s_waitcnt vmcnt(7) lgkmcnt(0)
	v_mul_f32_e32 v130, v118, v8
	s_waitcnt vmcnt(5)
	v_fmac_f32_e32 v1, v3, v123
	v_fma_f32 v2, v2, v123, -v6
	v_mul_f32_e32 v3, v119, v8
	s_waitcnt vmcnt(4)
	v_fma_f32 v4, v4, v124, -v7
	v_fmac_f32_e32 v129, v5, v124
	v_add_f32_e32 v1, 0, v1
	v_add_f32_e32 v2, 0, v2
	v_mul_f32_e32 v5, v121, v122
	s_waitcnt vmcnt(3)
	v_fma_f32 v3, v118, v125, -v3
	v_mul_f32_e32 v131, v120, v122
	v_fmac_f32_e32 v130, v119, v125
	v_add_f32_e32 v2, v2, v4
	v_add_f32_e32 v1, v1, v129
	s_waitcnt vmcnt(2)
	v_fma_f32 v4, v120, v126, -v5
	v_fmac_f32_e32 v131, v121, v126
	v_add_f32_e32 v2, v2, v3
	v_add_f32_e32 v1, v1, v130
	;; [unrolled: 1-line block ×4, first 2 shown]
	s_waitcnt vmcnt(1)
	v_sub_f32_e32 v2, v127, v2
	s_waitcnt vmcnt(0)
	v_sub_f32_e32 v1, v128, v1
	buffer_store_dword v2, off, s[0:3], 0 offset:392
	buffer_store_dword v1, off, s[0:3], 0 offset:396
	v_cmpx_lt_u32_e32 48, v0
	s_cbranch_execz .LBB117_241
; %bb.240:
	s_clause 0x1
	buffer_load_dword v1, off, s[0:3], 0 offset:384
	buffer_load_dword v2, off, s[0:3], 0 offset:388
	v_mov_b32_e32 v3, 0
	buffer_store_dword v3, off, s[0:3], 0 offset:384
	buffer_store_dword v3, off, s[0:3], 0 offset:388
	s_waitcnt vmcnt(0)
	ds_write_b64 v117, v[1:2]
.LBB117_241:
	s_or_b32 exec_lo, exec_lo, s4
	s_waitcnt lgkmcnt(0)
	s_waitcnt_vscnt null, 0x0
	s_barrier
	buffer_gl0_inv
	s_clause 0xb
	buffer_load_dword v8, off, s[0:3], 0 offset:396
	buffer_load_dword v122, off, s[0:3], 0 offset:404
	;; [unrolled: 1-line block ×12, first 2 shown]
	v_mov_b32_e32 v1, 0
	ds_read2_b64 v[2:5], v1 offset0:103 offset1:104
	ds_read2_b64 v[118:121], v1 offset0:105 offset1:106
	ds_read_b64 v[6:7], v1 offset:856
	s_mov_b32 s4, exec_lo
	s_waitcnt vmcnt(11) lgkmcnt(2)
	v_mul_f32_e32 v133, v2, v8
	v_mul_f32_e32 v8, v3, v8
	s_waitcnt vmcnt(10)
	v_mul_f32_e32 v134, v4, v122
	v_mul_f32_e32 v122, v5, v122
	s_waitcnt vmcnt(9) lgkmcnt(1)
	v_mul_f32_e32 v135, v118, v123
	s_waitcnt vmcnt(6)
	v_fmac_f32_e32 v133, v3, v126
	v_fma_f32 v2, v2, v126, -v8
	v_mul_f32_e32 v3, v119, v123
	s_waitcnt vmcnt(5)
	v_fma_f32 v4, v4, v127, -v122
	v_fmac_f32_e32 v134, v5, v127
	v_add_f32_e32 v5, 0, v133
	v_add_f32_e32 v2, 0, v2
	v_mul_f32_e32 v8, v121, v124
	s_waitcnt vmcnt(4)
	v_fma_f32 v3, v118, v128, -v3
	v_mul_f32_e32 v136, v120, v124
	v_fmac_f32_e32 v135, v119, v128
	v_add_f32_e32 v2, v2, v4
	v_add_f32_e32 v4, v5, v134
	s_waitcnt lgkmcnt(0)
	v_mul_f32_e32 v5, v7, v125
	s_waitcnt vmcnt(3)
	v_fma_f32 v8, v120, v129, -v8
	v_mul_f32_e32 v137, v6, v125
	v_add_f32_e32 v2, v2, v3
	v_fmac_f32_e32 v136, v121, v129
	v_add_f32_e32 v3, v4, v135
	s_waitcnt vmcnt(2)
	v_fma_f32 v4, v6, v130, -v5
	v_fmac_f32_e32 v137, v7, v130
	v_add_f32_e32 v2, v2, v8
	v_add_f32_e32 v3, v3, v136
	;; [unrolled: 1-line block ×4, first 2 shown]
	s_waitcnt vmcnt(1)
	v_sub_f32_e32 v2, v131, v2
	s_waitcnt vmcnt(0)
	v_sub_f32_e32 v3, v132, v3
	buffer_store_dword v2, off, s[0:3], 0 offset:384
	buffer_store_dword v3, off, s[0:3], 0 offset:388
	v_cmpx_lt_u32_e32 47, v0
	s_cbranch_execz .LBB117_243
; %bb.242:
	s_clause 0x1
	buffer_load_dword v2, off, s[0:3], 0 offset:376
	buffer_load_dword v3, off, s[0:3], 0 offset:380
	buffer_store_dword v1, off, s[0:3], 0 offset:376
	buffer_store_dword v1, off, s[0:3], 0 offset:380
	s_waitcnt vmcnt(0)
	ds_write_b64 v117, v[2:3]
.LBB117_243:
	s_or_b32 exec_lo, exec_lo, s4
	s_waitcnt lgkmcnt(0)
	s_waitcnt_vscnt null, 0x0
	s_barrier
	buffer_gl0_inv
	s_clause 0xd
	buffer_load_dword v6, off, s[0:3], 0 offset:388
	buffer_load_dword v7, off, s[0:3], 0 offset:396
	;; [unrolled: 1-line block ×14, first 2 shown]
	ds_read_b128 v[2:5], v1 offset:816
	ds_read_b128 v[118:121], v1 offset:832
	;; [unrolled: 1-line block ×3, first 2 shown]
	s_mov_b32 s4, exec_lo
	s_waitcnt vmcnt(13) lgkmcnt(2)
	v_mul_f32_e32 v1, v2, v6
	v_mul_f32_e32 v6, v3, v6
	s_waitcnt vmcnt(12)
	v_mul_f32_e32 v137, v4, v7
	v_mul_f32_e32 v7, v5, v7
	s_waitcnt vmcnt(11) lgkmcnt(1)
	v_mul_f32_e32 v138, v118, v8
	s_waitcnt vmcnt(10)
	v_mul_f32_e32 v139, v120, v126
	s_waitcnt vmcnt(7)
	v_fma_f32 v2, v2, v129, -v6
	v_fmac_f32_e32 v1, v3, v129
	v_mul_f32_e32 v3, v119, v8
	s_waitcnt vmcnt(6)
	v_fma_f32 v4, v4, v130, -v7
	v_fmac_f32_e32 v137, v5, v130
	v_add_f32_e32 v2, 0, v2
	v_add_f32_e32 v1, 0, v1
	v_mul_f32_e32 v5, v121, v126
	s_waitcnt vmcnt(5)
	v_fma_f32 v3, v118, v131, -v3
	v_fmac_f32_e32 v138, v119, v131
	v_add_f32_e32 v2, v2, v4
	v_add_f32_e32 v1, v1, v137
	s_waitcnt lgkmcnt(0)
	v_mul_f32_e32 v4, v123, v127
	s_waitcnt vmcnt(4)
	v_fma_f32 v5, v120, v132, -v5
	v_mul_f32_e32 v140, v122, v127
	v_add_f32_e32 v2, v2, v3
	v_fmac_f32_e32 v139, v121, v132
	v_add_f32_e32 v1, v1, v138
	v_mul_f32_e32 v3, v125, v128
	s_waitcnt vmcnt(3)
	v_fma_f32 v4, v122, v133, -v4
	v_add_f32_e32 v2, v2, v5
	v_mul_f32_e32 v141, v124, v128
	v_fmac_f32_e32 v140, v123, v133
	v_add_f32_e32 v1, v1, v139
	s_waitcnt vmcnt(2)
	v_fma_f32 v3, v124, v134, -v3
	v_add_f32_e32 v2, v2, v4
	v_fmac_f32_e32 v141, v125, v134
	v_add_f32_e32 v1, v1, v140
	v_add_f32_e32 v2, v2, v3
	v_add_f32_e32 v1, v1, v141
	s_waitcnt vmcnt(1)
	v_sub_f32_e32 v2, v135, v2
	s_waitcnt vmcnt(0)
	v_sub_f32_e32 v1, v136, v1
	buffer_store_dword v2, off, s[0:3], 0 offset:376
	buffer_store_dword v1, off, s[0:3], 0 offset:380
	v_cmpx_lt_u32_e32 46, v0
	s_cbranch_execz .LBB117_245
; %bb.244:
	s_clause 0x1
	buffer_load_dword v1, off, s[0:3], 0 offset:368
	buffer_load_dword v2, off, s[0:3], 0 offset:372
	v_mov_b32_e32 v3, 0
	buffer_store_dword v3, off, s[0:3], 0 offset:368
	buffer_store_dword v3, off, s[0:3], 0 offset:372
	s_waitcnt vmcnt(0)
	ds_write_b64 v117, v[1:2]
.LBB117_245:
	s_or_b32 exec_lo, exec_lo, s4
	s_waitcnt lgkmcnt(0)
	s_waitcnt_vscnt null, 0x0
	s_barrier
	buffer_gl0_inv
	s_clause 0xf
	buffer_load_dword v8, off, s[0:3], 0 offset:380
	buffer_load_dword v126, off, s[0:3], 0 offset:388
	;; [unrolled: 1-line block ×16, first 2 shown]
	v_mov_b32_e32 v1, 0
	ds_read2_b64 v[2:5], v1 offset0:101 offset1:102
	ds_read2_b64 v[118:121], v1 offset0:103 offset1:104
	;; [unrolled: 1-line block ×3, first 2 shown]
	ds_read_b64 v[6:7], v1 offset:856
	s_mov_b32 s4, exec_lo
	s_waitcnt vmcnt(15) lgkmcnt(3)
	v_mul_f32_e32 v141, v2, v8
	v_mul_f32_e32 v8, v3, v8
	s_waitcnt vmcnt(14)
	v_mul_f32_e32 v142, v4, v126
	v_mul_f32_e32 v126, v5, v126
	s_waitcnt vmcnt(13) lgkmcnt(2)
	v_mul_f32_e32 v143, v118, v127
	s_waitcnt vmcnt(12)
	v_mul_f32_e32 v144, v120, v128
	s_waitcnt vmcnt(11) lgkmcnt(1)
	v_mul_f32_e32 v145, v122, v129
	s_waitcnt vmcnt(8)
	v_fma_f32 v2, v2, v132, -v8
	v_fmac_f32_e32 v141, v3, v132
	v_mul_f32_e32 v3, v119, v127
	s_waitcnt vmcnt(7)
	v_fma_f32 v4, v4, v133, -v126
	v_fmac_f32_e32 v142, v5, v133
	v_add_f32_e32 v2, 0, v2
	v_add_f32_e32 v5, 0, v141
	v_mul_f32_e32 v8, v121, v128
	s_waitcnt vmcnt(6)
	v_fma_f32 v3, v118, v134, -v3
	v_fmac_f32_e32 v143, v119, v134
	v_add_f32_e32 v2, v2, v4
	v_add_f32_e32 v4, v5, v142
	;; [unrolled: 6-line block ×3, first 2 shown]
	v_mul_f32_e32 v4, v125, v130
	s_waitcnt vmcnt(4)
	v_fma_f32 v5, v122, v136, -v5
	v_mul_f32_e32 v146, v124, v130
	v_add_f32_e32 v2, v2, v8
	v_fmac_f32_e32 v145, v123, v136
	v_add_f32_e32 v3, v3, v144
	s_waitcnt lgkmcnt(0)
	v_mul_f32_e32 v8, v7, v131
	s_waitcnt vmcnt(3)
	v_fma_f32 v4, v124, v137, -v4
	v_add_f32_e32 v2, v2, v5
	v_mul_f32_e32 v147, v6, v131
	v_fmac_f32_e32 v146, v125, v137
	v_add_f32_e32 v3, v3, v145
	s_waitcnt vmcnt(2)
	v_fma_f32 v5, v6, v138, -v8
	v_add_f32_e32 v2, v2, v4
	v_fmac_f32_e32 v147, v7, v138
	v_add_f32_e32 v3, v3, v146
	v_add_f32_e32 v2, v2, v5
	v_add_f32_e32 v3, v3, v147
	s_waitcnt vmcnt(1)
	v_sub_f32_e32 v2, v139, v2
	s_waitcnt vmcnt(0)
	v_sub_f32_e32 v3, v140, v3
	buffer_store_dword v2, off, s[0:3], 0 offset:368
	buffer_store_dword v3, off, s[0:3], 0 offset:372
	v_cmpx_lt_u32_e32 45, v0
	s_cbranch_execz .LBB117_247
; %bb.246:
	s_clause 0x1
	buffer_load_dword v2, off, s[0:3], 0 offset:360
	buffer_load_dword v3, off, s[0:3], 0 offset:364
	buffer_store_dword v1, off, s[0:3], 0 offset:360
	buffer_store_dword v1, off, s[0:3], 0 offset:364
	s_waitcnt vmcnt(0)
	ds_write_b64 v117, v[2:3]
.LBB117_247:
	s_or_b32 exec_lo, exec_lo, s4
	s_waitcnt lgkmcnt(0)
	s_waitcnt_vscnt null, 0x0
	s_barrier
	buffer_gl0_inv
	s_clause 0x11
	buffer_load_dword v6, off, s[0:3], 0 offset:372
	buffer_load_dword v7, off, s[0:3], 0 offset:380
	;; [unrolled: 1-line block ×18, first 2 shown]
	ds_read_b128 v[2:5], v1 offset:800
	ds_read_b128 v[118:121], v1 offset:816
	;; [unrolled: 1-line block ×4, first 2 shown]
	s_mov_b32 s4, exec_lo
	s_waitcnt vmcnt(17) lgkmcnt(3)
	v_mul_f32_e32 v1, v2, v6
	v_mul_f32_e32 v6, v3, v6
	s_waitcnt vmcnt(16)
	v_mul_f32_e32 v145, v4, v7
	v_mul_f32_e32 v7, v5, v7
	s_waitcnt vmcnt(15) lgkmcnt(2)
	v_mul_f32_e32 v146, v118, v8
	s_waitcnt vmcnt(14)
	v_mul_f32_e32 v147, v120, v130
	s_waitcnt vmcnt(13) lgkmcnt(1)
	v_mul_f32_e32 v148, v122, v131
	s_waitcnt vmcnt(12)
	v_mul_f32_e32 v149, v124, v132
	s_waitcnt vmcnt(9)
	v_fma_f32 v2, v2, v135, -v6
	v_fmac_f32_e32 v1, v3, v135
	v_mul_f32_e32 v3, v119, v8
	s_waitcnt vmcnt(8)
	v_fma_f32 v4, v4, v136, -v7
	v_fmac_f32_e32 v145, v5, v136
	v_add_f32_e32 v2, 0, v2
	v_add_f32_e32 v1, 0, v1
	v_mul_f32_e32 v5, v121, v130
	s_waitcnt vmcnt(7)
	v_fma_f32 v3, v118, v137, -v3
	v_fmac_f32_e32 v146, v119, v137
	v_add_f32_e32 v2, v2, v4
	v_add_f32_e32 v1, v1, v145
	;; [unrolled: 6-line block ×4, first 2 shown]
	s_waitcnt lgkmcnt(0)
	v_mul_f32_e32 v5, v127, v133
	s_waitcnt vmcnt(4)
	v_fma_f32 v3, v124, v140, -v3
	v_mul_f32_e32 v150, v126, v133
	v_add_f32_e32 v2, v2, v4
	v_fmac_f32_e32 v149, v125, v140
	v_add_f32_e32 v1, v1, v148
	v_mul_f32_e32 v4, v129, v134
	s_waitcnt vmcnt(3)
	v_fma_f32 v5, v126, v141, -v5
	v_add_f32_e32 v2, v2, v3
	v_mul_f32_e32 v151, v128, v134
	v_fmac_f32_e32 v150, v127, v141
	v_add_f32_e32 v1, v1, v149
	s_waitcnt vmcnt(2)
	v_fma_f32 v3, v128, v142, -v4
	v_add_f32_e32 v2, v2, v5
	v_fmac_f32_e32 v151, v129, v142
	v_add_f32_e32 v1, v1, v150
	v_add_f32_e32 v2, v2, v3
	;; [unrolled: 1-line block ×3, first 2 shown]
	s_waitcnt vmcnt(1)
	v_sub_f32_e32 v2, v143, v2
	s_waitcnt vmcnt(0)
	v_sub_f32_e32 v1, v144, v1
	buffer_store_dword v2, off, s[0:3], 0 offset:360
	buffer_store_dword v1, off, s[0:3], 0 offset:364
	v_cmpx_lt_u32_e32 44, v0
	s_cbranch_execz .LBB117_249
; %bb.248:
	s_clause 0x1
	buffer_load_dword v1, off, s[0:3], 0 offset:352
	buffer_load_dword v2, off, s[0:3], 0 offset:356
	v_mov_b32_e32 v3, 0
	buffer_store_dword v3, off, s[0:3], 0 offset:352
	buffer_store_dword v3, off, s[0:3], 0 offset:356
	s_waitcnt vmcnt(0)
	ds_write_b64 v117, v[1:2]
.LBB117_249:
	s_or_b32 exec_lo, exec_lo, s4
	s_waitcnt lgkmcnt(0)
	s_waitcnt_vscnt null, 0x0
	s_barrier
	buffer_gl0_inv
	s_clause 0x13
	buffer_load_dword v8, off, s[0:3], 0 offset:364
	buffer_load_dword v130, off, s[0:3], 0 offset:372
	;; [unrolled: 1-line block ×20, first 2 shown]
	v_mov_b32_e32 v1, 0
	ds_read2_b64 v[2:5], v1 offset0:99 offset1:100
	ds_read2_b64 v[118:121], v1 offset0:101 offset1:102
	;; [unrolled: 1-line block ×4, first 2 shown]
	ds_read_b64 v[6:7], v1 offset:856
	s_mov_b32 s4, exec_lo
	s_waitcnt vmcnt(19) lgkmcnt(4)
	v_mul_f32_e32 v149, v2, v8
	v_mul_f32_e32 v8, v3, v8
	s_waitcnt vmcnt(18)
	v_mul_f32_e32 v150, v4, v130
	v_mul_f32_e32 v130, v5, v130
	s_waitcnt vmcnt(17) lgkmcnt(3)
	v_mul_f32_e32 v151, v118, v131
	s_waitcnt vmcnt(16)
	v_mul_f32_e32 v152, v120, v132
	s_waitcnt vmcnt(15) lgkmcnt(2)
	v_mul_f32_e32 v153, v122, v133
	s_waitcnt vmcnt(14)
	;; [unrolled: 4-line block ×3, first 2 shown]
	v_fma_f32 v2, v2, v138, -v8
	v_fmac_f32_e32 v149, v3, v138
	v_mul_f32_e32 v3, v119, v131
	s_waitcnt vmcnt(9)
	v_fma_f32 v4, v4, v139, -v130
	v_fmac_f32_e32 v150, v5, v139
	v_add_f32_e32 v2, 0, v2
	v_add_f32_e32 v5, 0, v149
	v_mul_f32_e32 v8, v121, v132
	s_waitcnt vmcnt(8)
	v_fma_f32 v3, v118, v140, -v3
	v_fmac_f32_e32 v151, v119, v140
	v_add_f32_e32 v2, v2, v4
	v_add_f32_e32 v4, v5, v150
	;; [unrolled: 6-line block ×5, first 2 shown]
	v_mul_f32_e32 v5, v129, v136
	s_waitcnt vmcnt(4)
	v_fma_f32 v8, v126, v144, -v8
	v_mul_f32_e32 v156, v128, v136
	v_add_f32_e32 v2, v2, v4
	v_fmac_f32_e32 v155, v127, v144
	v_add_f32_e32 v3, v3, v154
	s_waitcnt lgkmcnt(0)
	v_mul_f32_e32 v4, v7, v137
	s_waitcnt vmcnt(3)
	v_fma_f32 v5, v128, v145, -v5
	v_add_f32_e32 v2, v2, v8
	v_mul_f32_e32 v157, v6, v137
	v_fmac_f32_e32 v156, v129, v145
	v_add_f32_e32 v3, v3, v155
	s_waitcnt vmcnt(2)
	v_fma_f32 v4, v6, v146, -v4
	v_add_f32_e32 v2, v2, v5
	v_fmac_f32_e32 v157, v7, v146
	v_add_f32_e32 v3, v3, v156
	v_add_f32_e32 v2, v2, v4
	;; [unrolled: 1-line block ×3, first 2 shown]
	s_waitcnt vmcnt(1)
	v_sub_f32_e32 v2, v147, v2
	s_waitcnt vmcnt(0)
	v_sub_f32_e32 v3, v148, v3
	buffer_store_dword v2, off, s[0:3], 0 offset:352
	buffer_store_dword v3, off, s[0:3], 0 offset:356
	v_cmpx_lt_u32_e32 43, v0
	s_cbranch_execz .LBB117_251
; %bb.250:
	s_clause 0x1
	buffer_load_dword v2, off, s[0:3], 0 offset:344
	buffer_load_dword v3, off, s[0:3], 0 offset:348
	buffer_store_dword v1, off, s[0:3], 0 offset:344
	buffer_store_dword v1, off, s[0:3], 0 offset:348
	s_waitcnt vmcnt(0)
	ds_write_b64 v117, v[2:3]
.LBB117_251:
	s_or_b32 exec_lo, exec_lo, s4
	s_waitcnt lgkmcnt(0)
	s_waitcnt_vscnt null, 0x0
	s_barrier
	buffer_gl0_inv
	s_clause 0x15
	buffer_load_dword v6, off, s[0:3], 0 offset:356
	buffer_load_dword v7, off, s[0:3], 0 offset:364
	;; [unrolled: 1-line block ×22, first 2 shown]
	ds_read_b128 v[2:5], v1 offset:784
	ds_read_b128 v[118:121], v1 offset:800
	;; [unrolled: 1-line block ×5, first 2 shown]
	s_mov_b32 s4, exec_lo
	s_waitcnt vmcnt(21) lgkmcnt(4)
	v_mul_f32_e32 v1, v2, v6
	v_mul_f32_e32 v6, v3, v6
	s_waitcnt vmcnt(20)
	v_mul_f32_e32 v153, v4, v7
	v_mul_f32_e32 v7, v5, v7
	s_waitcnt vmcnt(19) lgkmcnt(3)
	v_mul_f32_e32 v154, v118, v8
	s_waitcnt vmcnt(18)
	v_mul_f32_e32 v155, v120, v134
	s_waitcnt vmcnt(17) lgkmcnt(2)
	v_mul_f32_e32 v156, v122, v135
	s_waitcnt vmcnt(16)
	v_mul_f32_e32 v157, v124, v136
	s_waitcnt vmcnt(15) lgkmcnt(1)
	v_mul_f32_e32 v158, v126, v137
	s_waitcnt vmcnt(14)
	v_mul_f32_e32 v159, v128, v138
	s_waitcnt vmcnt(11)
	v_fma_f32 v2, v2, v141, -v6
	v_fmac_f32_e32 v1, v3, v141
	v_mul_f32_e32 v3, v119, v8
	s_waitcnt vmcnt(10)
	v_fma_f32 v4, v4, v142, -v7
	v_fmac_f32_e32 v153, v5, v142
	v_add_f32_e32 v2, 0, v2
	v_add_f32_e32 v1, 0, v1
	v_mul_f32_e32 v5, v121, v134
	s_waitcnt vmcnt(9)
	v_fma_f32 v3, v118, v143, -v3
	v_fmac_f32_e32 v154, v119, v143
	v_add_f32_e32 v2, v2, v4
	v_add_f32_e32 v1, v1, v153
	;; [unrolled: 6-line block ×6, first 2 shown]
	s_waitcnt lgkmcnt(0)
	v_mul_f32_e32 v3, v131, v139
	s_waitcnt vmcnt(4)
	v_fma_f32 v4, v128, v148, -v4
	v_mul_f32_e32 v160, v130, v139
	v_add_f32_e32 v2, v2, v5
	v_fmac_f32_e32 v159, v129, v148
	v_add_f32_e32 v1, v1, v158
	v_mul_f32_e32 v5, v133, v140
	s_waitcnt vmcnt(3)
	v_fma_f32 v3, v130, v149, -v3
	v_add_f32_e32 v2, v2, v4
	v_mul_f32_e32 v161, v132, v140
	v_fmac_f32_e32 v160, v131, v149
	v_add_f32_e32 v1, v1, v159
	s_waitcnt vmcnt(2)
	v_fma_f32 v4, v132, v150, -v5
	v_add_f32_e32 v2, v2, v3
	v_fmac_f32_e32 v161, v133, v150
	v_add_f32_e32 v1, v1, v160
	v_add_f32_e32 v2, v2, v4
	;; [unrolled: 1-line block ×3, first 2 shown]
	s_waitcnt vmcnt(1)
	v_sub_f32_e32 v2, v151, v2
	s_waitcnt vmcnt(0)
	v_sub_f32_e32 v1, v152, v1
	buffer_store_dword v2, off, s[0:3], 0 offset:344
	buffer_store_dword v1, off, s[0:3], 0 offset:348
	v_cmpx_lt_u32_e32 42, v0
	s_cbranch_execz .LBB117_253
; %bb.252:
	s_clause 0x1
	buffer_load_dword v1, off, s[0:3], 0 offset:336
	buffer_load_dword v2, off, s[0:3], 0 offset:340
	v_mov_b32_e32 v3, 0
	buffer_store_dword v3, off, s[0:3], 0 offset:336
	buffer_store_dword v3, off, s[0:3], 0 offset:340
	s_waitcnt vmcnt(0)
	ds_write_b64 v117, v[1:2]
.LBB117_253:
	s_or_b32 exec_lo, exec_lo, s4
	s_waitcnt lgkmcnt(0)
	s_waitcnt_vscnt null, 0x0
	s_barrier
	buffer_gl0_inv
	s_clause 0x17
	buffer_load_dword v8, off, s[0:3], 0 offset:348
	buffer_load_dword v134, off, s[0:3], 0 offset:356
	;; [unrolled: 1-line block ×24, first 2 shown]
	v_mov_b32_e32 v1, 0
	ds_read2_b64 v[2:5], v1 offset0:97 offset1:98
	ds_read2_b64 v[118:121], v1 offset0:99 offset1:100
	;; [unrolled: 1-line block ×5, first 2 shown]
	ds_read_b64 v[6:7], v1 offset:856
	s_mov_b32 s4, exec_lo
	s_waitcnt vmcnt(23) lgkmcnt(5)
	v_mul_f32_e32 v157, v2, v8
	v_mul_f32_e32 v8, v3, v8
	s_waitcnt vmcnt(22)
	v_mul_f32_e32 v158, v4, v134
	v_mul_f32_e32 v134, v5, v134
	s_waitcnt vmcnt(21) lgkmcnt(4)
	v_mul_f32_e32 v159, v118, v135
	s_waitcnt vmcnt(20)
	v_mul_f32_e32 v160, v120, v136
	s_waitcnt vmcnt(19) lgkmcnt(3)
	v_mul_f32_e32 v161, v122, v137
	s_waitcnt vmcnt(18)
	;; [unrolled: 4-line block ×4, first 2 shown]
	v_fma_f32 v2, v2, v144, -v8
	v_fmac_f32_e32 v157, v3, v144
	v_mul_f32_e32 v3, v119, v135
	s_waitcnt vmcnt(11)
	v_fma_f32 v4, v4, v145, -v134
	v_fmac_f32_e32 v158, v5, v145
	v_add_f32_e32 v2, 0, v2
	v_add_f32_e32 v5, 0, v157
	v_mul_f32_e32 v8, v121, v136
	s_waitcnt vmcnt(10)
	v_fma_f32 v3, v118, v146, -v3
	v_fmac_f32_e32 v159, v119, v146
	v_add_f32_e32 v2, v2, v4
	v_add_f32_e32 v4, v5, v158
	v_mul_f32_e32 v5, v123, v137
	s_waitcnt vmcnt(9)
	v_fma_f32 v8, v120, v147, -v8
	v_fmac_f32_e32 v160, v121, v147
	v_add_f32_e32 v2, v2, v3
	v_add_f32_e32 v3, v4, v159
	v_mul_f32_e32 v4, v125, v138
	s_waitcnt vmcnt(8)
	v_fma_f32 v5, v122, v148, -v5
	v_fmac_f32_e32 v161, v123, v148
	v_add_f32_e32 v2, v2, v8
	v_add_f32_e32 v3, v3, v160
	v_mul_f32_e32 v8, v127, v139
	s_waitcnt vmcnt(7)
	v_fma_f32 v4, v124, v149, -v4
	v_fmac_f32_e32 v162, v125, v149
	v_add_f32_e32 v2, v2, v5
	v_add_f32_e32 v3, v3, v161
	v_mul_f32_e32 v5, v129, v140
	s_waitcnt vmcnt(6)
	v_fma_f32 v8, v126, v150, -v8
	v_fmac_f32_e32 v163, v127, v150
	v_add_f32_e32 v2, v2, v4
	v_add_f32_e32 v3, v3, v162
	v_mul_f32_e32 v4, v131, v141
	s_waitcnt vmcnt(5)
	v_fma_f32 v5, v128, v151, -v5
	v_fmac_f32_e32 v164, v129, v151
	v_add_f32_e32 v2, v2, v8
	v_add_f32_e32 v3, v3, v163
	v_mul_f32_e32 v8, v133, v142
	s_waitcnt vmcnt(4)
	v_fma_f32 v4, v130, v152, -v4
	v_mul_f32_e32 v166, v132, v142
	v_add_f32_e32 v2, v2, v5
	v_fmac_f32_e32 v165, v131, v152
	v_add_f32_e32 v3, v3, v164
	s_waitcnt lgkmcnt(0)
	v_mul_f32_e32 v5, v7, v143
	s_waitcnt vmcnt(3)
	v_fma_f32 v8, v132, v153, -v8
	v_add_f32_e32 v2, v2, v4
	v_mul_f32_e32 v167, v6, v143
	v_fmac_f32_e32 v166, v133, v153
	v_add_f32_e32 v3, v3, v165
	s_waitcnt vmcnt(2)
	v_fma_f32 v4, v6, v154, -v5
	v_add_f32_e32 v2, v2, v8
	v_fmac_f32_e32 v167, v7, v154
	v_add_f32_e32 v3, v3, v166
	v_add_f32_e32 v2, v2, v4
	;; [unrolled: 1-line block ×3, first 2 shown]
	s_waitcnt vmcnt(1)
	v_sub_f32_e32 v2, v155, v2
	s_waitcnt vmcnt(0)
	v_sub_f32_e32 v3, v156, v3
	buffer_store_dword v2, off, s[0:3], 0 offset:336
	buffer_store_dword v3, off, s[0:3], 0 offset:340
	v_cmpx_lt_u32_e32 41, v0
	s_cbranch_execz .LBB117_255
; %bb.254:
	s_clause 0x1
	buffer_load_dword v2, off, s[0:3], 0 offset:328
	buffer_load_dword v3, off, s[0:3], 0 offset:332
	buffer_store_dword v1, off, s[0:3], 0 offset:328
	buffer_store_dword v1, off, s[0:3], 0 offset:332
	s_waitcnt vmcnt(0)
	ds_write_b64 v117, v[2:3]
.LBB117_255:
	s_or_b32 exec_lo, exec_lo, s4
	s_waitcnt lgkmcnt(0)
	s_waitcnt_vscnt null, 0x0
	s_barrier
	buffer_gl0_inv
	s_clause 0x19
	buffer_load_dword v6, off, s[0:3], 0 offset:340
	buffer_load_dword v7, off, s[0:3], 0 offset:348
	;; [unrolled: 1-line block ×26, first 2 shown]
	ds_read_b128 v[2:5], v1 offset:768
	ds_read_b128 v[118:121], v1 offset:784
	;; [unrolled: 1-line block ×6, first 2 shown]
	s_mov_b32 s4, exec_lo
	s_waitcnt vmcnt(25) lgkmcnt(5)
	v_mul_f32_e32 v1, v2, v6
	v_mul_f32_e32 v6, v3, v6
	s_waitcnt vmcnt(24)
	v_mul_f32_e32 v161, v4, v7
	v_mul_f32_e32 v7, v5, v7
	s_waitcnt vmcnt(23) lgkmcnt(4)
	v_mul_f32_e32 v162, v118, v8
	s_waitcnt vmcnt(22)
	v_mul_f32_e32 v163, v120, v138
	s_waitcnt vmcnt(21) lgkmcnt(3)
	v_mul_f32_e32 v164, v122, v139
	s_waitcnt vmcnt(20)
	;; [unrolled: 4-line block ×4, first 2 shown]
	v_mul_f32_e32 v169, v132, v144
	s_waitcnt vmcnt(13)
	v_fma_f32 v2, v2, v147, -v6
	v_fmac_f32_e32 v1, v3, v147
	v_mul_f32_e32 v3, v119, v8
	s_waitcnt vmcnt(12)
	v_fma_f32 v4, v4, v148, -v7
	v_fmac_f32_e32 v161, v5, v148
	v_add_f32_e32 v2, 0, v2
	v_add_f32_e32 v1, 0, v1
	v_mul_f32_e32 v5, v121, v138
	s_waitcnt vmcnt(11)
	v_fma_f32 v3, v118, v149, -v3
	v_fmac_f32_e32 v162, v119, v149
	v_add_f32_e32 v2, v2, v4
	v_add_f32_e32 v1, v1, v161
	;; [unrolled: 6-line block ×8, first 2 shown]
	s_waitcnt lgkmcnt(0)
	v_mul_f32_e32 v4, v135, v145
	s_waitcnt vmcnt(4)
	v_fma_f32 v5, v132, v156, -v5
	v_mul_f32_e32 v170, v134, v145
	v_add_f32_e32 v2, v2, v3
	v_fmac_f32_e32 v169, v133, v156
	v_add_f32_e32 v1, v1, v168
	v_mul_f32_e32 v3, v137, v146
	s_waitcnt vmcnt(3)
	v_fma_f32 v4, v134, v157, -v4
	v_add_f32_e32 v2, v2, v5
	v_mul_f32_e32 v171, v136, v146
	v_fmac_f32_e32 v170, v135, v157
	v_add_f32_e32 v1, v1, v169
	s_waitcnt vmcnt(2)
	v_fma_f32 v3, v136, v158, -v3
	v_add_f32_e32 v2, v2, v4
	v_fmac_f32_e32 v171, v137, v158
	v_add_f32_e32 v1, v1, v170
	v_add_f32_e32 v2, v2, v3
	;; [unrolled: 1-line block ×3, first 2 shown]
	s_waitcnt vmcnt(1)
	v_sub_f32_e32 v2, v159, v2
	s_waitcnt vmcnt(0)
	v_sub_f32_e32 v1, v160, v1
	buffer_store_dword v2, off, s[0:3], 0 offset:328
	buffer_store_dword v1, off, s[0:3], 0 offset:332
	v_cmpx_lt_u32_e32 40, v0
	s_cbranch_execz .LBB117_257
; %bb.256:
	s_clause 0x1
	buffer_load_dword v1, off, s[0:3], 0 offset:320
	buffer_load_dword v2, off, s[0:3], 0 offset:324
	v_mov_b32_e32 v3, 0
	buffer_store_dword v3, off, s[0:3], 0 offset:320
	buffer_store_dword v3, off, s[0:3], 0 offset:324
	s_waitcnt vmcnt(0)
	ds_write_b64 v117, v[1:2]
.LBB117_257:
	s_or_b32 exec_lo, exec_lo, s4
	s_waitcnt lgkmcnt(0)
	s_waitcnt_vscnt null, 0x0
	s_barrier
	buffer_gl0_inv
	s_clause 0x1b
	buffer_load_dword v8, off, s[0:3], 0 offset:332
	buffer_load_dword v138, off, s[0:3], 0 offset:340
	;; [unrolled: 1-line block ×28, first 2 shown]
	v_mov_b32_e32 v1, 0
	ds_read2_b64 v[2:5], v1 offset0:95 offset1:96
	ds_read2_b64 v[118:121], v1 offset0:97 offset1:98
	;; [unrolled: 1-line block ×6, first 2 shown]
	ds_read_b64 v[6:7], v1 offset:856
	s_mov_b32 s4, exec_lo
	s_waitcnt vmcnt(27) lgkmcnt(6)
	v_mul_f32_e32 v165, v2, v8
	v_mul_f32_e32 v8, v3, v8
	s_waitcnt vmcnt(26)
	v_mul_f32_e32 v166, v4, v138
	v_mul_f32_e32 v138, v5, v138
	s_waitcnt vmcnt(25) lgkmcnt(5)
	v_mul_f32_e32 v167, v118, v139
	s_waitcnt vmcnt(24)
	v_mul_f32_e32 v168, v120, v140
	s_waitcnt vmcnt(23) lgkmcnt(4)
	v_mul_f32_e32 v169, v122, v141
	s_waitcnt vmcnt(22)
	;; [unrolled: 4-line block ×5, first 2 shown]
	v_fma_f32 v2, v2, v150, -v8
	v_fmac_f32_e32 v165, v3, v150
	v_mul_f32_e32 v3, v119, v139
	s_waitcnt vmcnt(13)
	v_fma_f32 v4, v4, v151, -v138
	v_fmac_f32_e32 v166, v5, v151
	v_add_f32_e32 v2, 0, v2
	v_add_f32_e32 v5, 0, v165
	v_mul_f32_e32 v8, v121, v140
	s_waitcnt vmcnt(12)
	v_fma_f32 v3, v118, v152, -v3
	v_fmac_f32_e32 v167, v119, v152
	v_add_f32_e32 v2, v2, v4
	v_add_f32_e32 v4, v5, v166
	;; [unrolled: 6-line block ×9, first 2 shown]
	v_mul_f32_e32 v4, v137, v148
	s_waitcnt vmcnt(4)
	v_fma_f32 v5, v134, v160, -v5
	v_mul_f32_e32 v176, v136, v148
	v_add_f32_e32 v2, v2, v8
	v_fmac_f32_e32 v175, v135, v160
	v_add_f32_e32 v3, v3, v174
	s_waitcnt lgkmcnt(0)
	v_mul_f32_e32 v8, v7, v149
	s_waitcnt vmcnt(3)
	v_fma_f32 v4, v136, v161, -v4
	v_add_f32_e32 v2, v2, v5
	v_mul_f32_e32 v177, v6, v149
	v_fmac_f32_e32 v176, v137, v161
	v_add_f32_e32 v3, v3, v175
	s_waitcnt vmcnt(2)
	v_fma_f32 v5, v6, v162, -v8
	v_add_f32_e32 v2, v2, v4
	v_fmac_f32_e32 v177, v7, v162
	v_add_f32_e32 v3, v3, v176
	v_add_f32_e32 v2, v2, v5
	;; [unrolled: 1-line block ×3, first 2 shown]
	s_waitcnt vmcnt(1)
	v_sub_f32_e32 v2, v163, v2
	s_waitcnt vmcnt(0)
	v_sub_f32_e32 v3, v164, v3
	buffer_store_dword v2, off, s[0:3], 0 offset:320
	buffer_store_dword v3, off, s[0:3], 0 offset:324
	v_cmpx_lt_u32_e32 39, v0
	s_cbranch_execz .LBB117_259
; %bb.258:
	s_clause 0x1
	buffer_load_dword v2, off, s[0:3], 0 offset:312
	buffer_load_dword v3, off, s[0:3], 0 offset:316
	buffer_store_dword v1, off, s[0:3], 0 offset:312
	buffer_store_dword v1, off, s[0:3], 0 offset:316
	s_waitcnt vmcnt(0)
	ds_write_b64 v117, v[2:3]
.LBB117_259:
	s_or_b32 exec_lo, exec_lo, s4
	s_waitcnt lgkmcnt(0)
	s_waitcnt_vscnt null, 0x0
	s_barrier
	buffer_gl0_inv
	s_clause 0x1d
	buffer_load_dword v6, off, s[0:3], 0 offset:324
	buffer_load_dword v7, off, s[0:3], 0 offset:332
	;; [unrolled: 1-line block ×30, first 2 shown]
	ds_read_b128 v[2:5], v1 offset:752
	ds_read_b128 v[118:121], v1 offset:768
	;; [unrolled: 1-line block ×7, first 2 shown]
	s_mov_b32 s4, exec_lo
	s_waitcnt vmcnt(29) lgkmcnt(6)
	v_mul_f32_e32 v1, v2, v6
	v_mul_f32_e32 v6, v3, v6
	s_waitcnt vmcnt(28)
	v_mul_f32_e32 v169, v4, v7
	v_mul_f32_e32 v7, v5, v7
	s_waitcnt vmcnt(27) lgkmcnt(5)
	v_mul_f32_e32 v170, v118, v8
	s_waitcnt vmcnt(26)
	v_mul_f32_e32 v171, v120, v142
	s_waitcnt vmcnt(25) lgkmcnt(4)
	v_mul_f32_e32 v172, v122, v143
	s_waitcnt vmcnt(24)
	v_mul_f32_e32 v173, v124, v144
	s_waitcnt vmcnt(23) lgkmcnt(3)
	v_mul_f32_e32 v174, v126, v145
	s_waitcnt vmcnt(22)
	v_mul_f32_e32 v175, v128, v146
	s_waitcnt vmcnt(21) lgkmcnt(2)
	v_mul_f32_e32 v176, v130, v147
	s_waitcnt vmcnt(20)
	v_mul_f32_e32 v177, v132, v148
	s_waitcnt vmcnt(19) lgkmcnt(1)
	v_mul_f32_e32 v178, v134, v149
	s_waitcnt vmcnt(18)
	v_mul_f32_e32 v179, v136, v150
	s_waitcnt vmcnt(15)
	v_fma_f32 v2, v2, v153, -v6
	v_fmac_f32_e32 v1, v3, v153
	v_mul_f32_e32 v3, v119, v8
	s_waitcnt vmcnt(14)
	v_fma_f32 v4, v4, v154, -v7
	v_fmac_f32_e32 v169, v5, v154
	v_add_f32_e32 v2, 0, v2
	v_add_f32_e32 v1, 0, v1
	v_mul_f32_e32 v5, v121, v142
	s_waitcnt vmcnt(13)
	v_fma_f32 v3, v118, v155, -v3
	v_fmac_f32_e32 v170, v119, v155
	v_add_f32_e32 v2, v2, v4
	v_add_f32_e32 v1, v1, v169
	;; [unrolled: 6-line block ×10, first 2 shown]
	s_waitcnt lgkmcnt(0)
	v_mul_f32_e32 v5, v139, v151
	s_waitcnt vmcnt(4)
	v_fma_f32 v3, v136, v164, -v3
	v_mul_f32_e32 v180, v138, v151
	v_add_f32_e32 v2, v2, v4
	v_fmac_f32_e32 v179, v137, v164
	v_add_f32_e32 v1, v1, v178
	v_mul_f32_e32 v4, v141, v152
	s_waitcnt vmcnt(3)
	v_fma_f32 v5, v138, v165, -v5
	v_add_f32_e32 v2, v2, v3
	v_mul_f32_e32 v181, v140, v152
	v_fmac_f32_e32 v180, v139, v165
	v_add_f32_e32 v1, v1, v179
	s_waitcnt vmcnt(2)
	v_fma_f32 v3, v140, v166, -v4
	v_add_f32_e32 v2, v2, v5
	v_fmac_f32_e32 v181, v141, v166
	v_add_f32_e32 v1, v1, v180
	v_add_f32_e32 v2, v2, v3
	v_add_f32_e32 v1, v1, v181
	s_waitcnt vmcnt(1)
	v_sub_f32_e32 v2, v167, v2
	s_waitcnt vmcnt(0)
	v_sub_f32_e32 v1, v168, v1
	buffer_store_dword v2, off, s[0:3], 0 offset:312
	buffer_store_dword v1, off, s[0:3], 0 offset:316
	v_cmpx_lt_u32_e32 38, v0
	s_cbranch_execz .LBB117_261
; %bb.260:
	s_clause 0x1
	buffer_load_dword v1, off, s[0:3], 0 offset:304
	buffer_load_dword v2, off, s[0:3], 0 offset:308
	v_mov_b32_e32 v3, 0
	buffer_store_dword v3, off, s[0:3], 0 offset:304
	buffer_store_dword v3, off, s[0:3], 0 offset:308
	s_waitcnt vmcnt(0)
	ds_write_b64 v117, v[1:2]
.LBB117_261:
	s_or_b32 exec_lo, exec_lo, s4
	s_waitcnt lgkmcnt(0)
	s_waitcnt_vscnt null, 0x0
	s_barrier
	buffer_gl0_inv
	s_clause 0x1f
	buffer_load_dword v8, off, s[0:3], 0 offset:316
	buffer_load_dword v142, off, s[0:3], 0 offset:324
	;; [unrolled: 1-line block ×32, first 2 shown]
	v_mov_b32_e32 v1, 0
	ds_read2_b64 v[2:5], v1 offset0:93 offset1:94
	ds_read2_b64 v[118:121], v1 offset0:95 offset1:96
	;; [unrolled: 1-line block ×7, first 2 shown]
	ds_read_b64 v[6:7], v1 offset:856
	s_mov_b32 s4, exec_lo
	s_waitcnt vmcnt(31) lgkmcnt(7)
	v_mul_f32_e32 v173, v2, v8
	v_mul_f32_e32 v8, v3, v8
	s_waitcnt vmcnt(30)
	v_mul_f32_e32 v174, v4, v142
	v_mul_f32_e32 v142, v5, v142
	s_waitcnt vmcnt(29) lgkmcnt(6)
	v_mul_f32_e32 v175, v118, v143
	s_waitcnt vmcnt(28)
	v_mul_f32_e32 v176, v120, v144
	s_waitcnt vmcnt(27) lgkmcnt(5)
	v_mul_f32_e32 v177, v122, v145
	s_waitcnt vmcnt(26)
	v_mul_f32_e32 v178, v124, v146
	s_waitcnt vmcnt(25) lgkmcnt(4)
	v_mul_f32_e32 v179, v126, v147
	s_waitcnt vmcnt(24)
	v_mul_f32_e32 v180, v128, v148
	s_waitcnt vmcnt(23) lgkmcnt(3)
	v_mul_f32_e32 v181, v130, v149
	s_waitcnt vmcnt(22)
	v_mul_f32_e32 v182, v132, v150
	s_waitcnt vmcnt(21) lgkmcnt(2)
	v_mul_f32_e32 v183, v134, v151
	s_waitcnt vmcnt(20)
	v_mul_f32_e32 v184, v136, v152
	s_waitcnt vmcnt(19) lgkmcnt(1)
	v_mul_f32_e32 v185, v138, v153
	s_waitcnt vmcnt(16)
	v_fma_f32 v2, v2, v156, -v8
	v_fmac_f32_e32 v173, v3, v156
	v_mul_f32_e32 v3, v119, v143
	s_waitcnt vmcnt(15)
	v_fma_f32 v4, v4, v157, -v142
	v_fmac_f32_e32 v174, v5, v157
	v_add_f32_e32 v2, 0, v2
	v_add_f32_e32 v5, 0, v173
	v_mul_f32_e32 v8, v121, v144
	s_waitcnt vmcnt(14)
	v_fma_f32 v3, v118, v158, -v3
	v_fmac_f32_e32 v175, v119, v158
	v_add_f32_e32 v2, v2, v4
	v_add_f32_e32 v4, v5, v174
	;; [unrolled: 6-line block ×11, first 2 shown]
	v_mul_f32_e32 v5, v141, v154
	s_waitcnt vmcnt(4)
	v_fma_f32 v8, v138, v168, -v8
	v_mul_f32_e32 v186, v140, v154
	v_add_f32_e32 v2, v2, v4
	v_fmac_f32_e32 v185, v139, v168
	v_add_f32_e32 v3, v3, v184
	s_waitcnt lgkmcnt(0)
	v_mul_f32_e32 v4, v7, v155
	s_waitcnt vmcnt(3)
	v_fma_f32 v5, v140, v169, -v5
	v_add_f32_e32 v2, v2, v8
	v_mul_f32_e32 v187, v6, v155
	v_fmac_f32_e32 v186, v141, v169
	v_add_f32_e32 v3, v3, v185
	s_waitcnt vmcnt(2)
	v_fma_f32 v4, v6, v170, -v4
	v_add_f32_e32 v2, v2, v5
	v_fmac_f32_e32 v187, v7, v170
	v_add_f32_e32 v3, v3, v186
	v_add_f32_e32 v2, v2, v4
	;; [unrolled: 1-line block ×3, first 2 shown]
	s_waitcnt vmcnt(1)
	v_sub_f32_e32 v2, v171, v2
	s_waitcnt vmcnt(0)
	v_sub_f32_e32 v3, v172, v3
	buffer_store_dword v2, off, s[0:3], 0 offset:304
	buffer_store_dword v3, off, s[0:3], 0 offset:308
	v_cmpx_lt_u32_e32 37, v0
	s_cbranch_execz .LBB117_263
; %bb.262:
	s_clause 0x1
	buffer_load_dword v2, off, s[0:3], 0 offset:296
	buffer_load_dword v3, off, s[0:3], 0 offset:300
	buffer_store_dword v1, off, s[0:3], 0 offset:296
	buffer_store_dword v1, off, s[0:3], 0 offset:300
	s_waitcnt vmcnt(0)
	ds_write_b64 v117, v[2:3]
.LBB117_263:
	s_or_b32 exec_lo, exec_lo, s4
	s_waitcnt lgkmcnt(0)
	s_waitcnt_vscnt null, 0x0
	s_barrier
	buffer_gl0_inv
	s_clause 0x21
	buffer_load_dword v6, off, s[0:3], 0 offset:308
	buffer_load_dword v7, off, s[0:3], 0 offset:316
	;; [unrolled: 1-line block ×34, first 2 shown]
	ds_read_b128 v[2:5], v1 offset:736
	ds_read_b128 v[118:121], v1 offset:752
	ds_read_b128 v[122:125], v1 offset:768
	ds_read_b128 v[126:129], v1 offset:784
	ds_read_b128 v[130:133], v1 offset:800
	ds_read_b128 v[134:137], v1 offset:816
	ds_read_b128 v[138:141], v1 offset:832
	ds_read_b128 v[142:145], v1 offset:848
	s_mov_b32 s4, exec_lo
	s_waitcnt vmcnt(33) lgkmcnt(7)
	v_mul_f32_e32 v1, v2, v6
	v_mul_f32_e32 v6, v3, v6
	s_waitcnt vmcnt(32)
	v_mul_f32_e32 v177, v4, v7
	v_mul_f32_e32 v7, v5, v7
	s_waitcnt vmcnt(31) lgkmcnt(6)
	v_mul_f32_e32 v178, v118, v8
	s_waitcnt vmcnt(30)
	v_mul_f32_e32 v179, v120, v146
	s_waitcnt vmcnt(29) lgkmcnt(5)
	v_mul_f32_e32 v180, v122, v147
	s_waitcnt vmcnt(28)
	v_mul_f32_e32 v181, v124, v148
	s_waitcnt vmcnt(27) lgkmcnt(4)
	v_mul_f32_e32 v182, v126, v149
	s_waitcnt vmcnt(26)
	v_mul_f32_e32 v183, v128, v150
	s_waitcnt vmcnt(25) lgkmcnt(3)
	v_mul_f32_e32 v184, v130, v151
	s_waitcnt vmcnt(24)
	v_mul_f32_e32 v185, v132, v152
	s_waitcnt vmcnt(23) lgkmcnt(2)
	v_mul_f32_e32 v186, v134, v153
	s_waitcnt vmcnt(22)
	v_mul_f32_e32 v187, v136, v154
	s_waitcnt vmcnt(21) lgkmcnt(1)
	v_mul_f32_e32 v188, v138, v155
	s_waitcnt vmcnt(20)
	v_mul_f32_e32 v189, v140, v156
	s_waitcnt vmcnt(17)
	v_fma_f32 v2, v2, v159, -v6
	v_fmac_f32_e32 v1, v3, v159
	v_mul_f32_e32 v3, v119, v8
	s_waitcnt vmcnt(16)
	v_fma_f32 v4, v4, v160, -v7
	v_fmac_f32_e32 v177, v5, v160
	v_add_f32_e32 v2, 0, v2
	v_add_f32_e32 v1, 0, v1
	v_mul_f32_e32 v5, v121, v146
	s_waitcnt vmcnt(15)
	v_fma_f32 v3, v118, v161, -v3
	v_fmac_f32_e32 v178, v119, v161
	v_add_f32_e32 v2, v2, v4
	v_add_f32_e32 v1, v1, v177
	;; [unrolled: 6-line block ×12, first 2 shown]
	s_waitcnt lgkmcnt(0)
	v_mul_f32_e32 v3, v143, v157
	s_waitcnt vmcnt(4)
	v_fma_f32 v4, v140, v172, -v4
	v_mul_f32_e32 v190, v142, v157
	v_add_f32_e32 v2, v2, v5
	v_fmac_f32_e32 v189, v141, v172
	v_add_f32_e32 v1, v1, v188
	v_mul_f32_e32 v5, v145, v158
	s_waitcnt vmcnt(3)
	v_fma_f32 v3, v142, v173, -v3
	v_add_f32_e32 v2, v2, v4
	v_mul_f32_e32 v191, v144, v158
	v_fmac_f32_e32 v190, v143, v173
	v_add_f32_e32 v1, v1, v189
	s_waitcnt vmcnt(2)
	v_fma_f32 v4, v144, v174, -v5
	v_add_f32_e32 v2, v2, v3
	v_fmac_f32_e32 v191, v145, v174
	v_add_f32_e32 v1, v1, v190
	v_add_f32_e32 v2, v2, v4
	;; [unrolled: 1-line block ×3, first 2 shown]
	s_waitcnt vmcnt(1)
	v_sub_f32_e32 v2, v175, v2
	s_waitcnt vmcnt(0)
	v_sub_f32_e32 v1, v176, v1
	buffer_store_dword v2, off, s[0:3], 0 offset:296
	buffer_store_dword v1, off, s[0:3], 0 offset:300
	v_cmpx_lt_u32_e32 36, v0
	s_cbranch_execz .LBB117_265
; %bb.264:
	s_clause 0x1
	buffer_load_dword v1, off, s[0:3], 0 offset:288
	buffer_load_dword v2, off, s[0:3], 0 offset:292
	v_mov_b32_e32 v3, 0
	buffer_store_dword v3, off, s[0:3], 0 offset:288
	buffer_store_dword v3, off, s[0:3], 0 offset:292
	s_waitcnt vmcnt(0)
	ds_write_b64 v117, v[1:2]
.LBB117_265:
	s_or_b32 exec_lo, exec_lo, s4
	s_waitcnt lgkmcnt(0)
	s_waitcnt_vscnt null, 0x0
	s_barrier
	buffer_gl0_inv
	s_clause 0x23
	buffer_load_dword v8, off, s[0:3], 0 offset:300
	buffer_load_dword v146, off, s[0:3], 0 offset:308
	;; [unrolled: 1-line block ×36, first 2 shown]
	v_mov_b32_e32 v1, 0
	ds_read2_b64 v[2:5], v1 offset0:91 offset1:92
	ds_read2_b64 v[118:121], v1 offset0:93 offset1:94
	;; [unrolled: 1-line block ×8, first 2 shown]
	ds_read_b64 v[6:7], v1 offset:856
	s_mov_b32 s4, exec_lo
	s_waitcnt vmcnt(35) lgkmcnt(8)
	v_mul_f32_e32 v181, v2, v8
	v_mul_f32_e32 v8, v3, v8
	s_waitcnt vmcnt(34)
	v_mul_f32_e32 v182, v4, v146
	v_mul_f32_e32 v146, v5, v146
	s_waitcnt vmcnt(33) lgkmcnt(7)
	v_mul_f32_e32 v183, v118, v147
	s_waitcnt vmcnt(32)
	v_mul_f32_e32 v184, v120, v148
	s_waitcnt vmcnt(31) lgkmcnt(6)
	v_mul_f32_e32 v185, v122, v149
	s_waitcnt vmcnt(30)
	;; [unrolled: 4-line block ×7, first 2 shown]
	v_fma_f32 v2, v2, v162, -v8
	v_fmac_f32_e32 v181, v3, v162
	v_mul_f32_e32 v3, v119, v147
	s_waitcnt vmcnt(17)
	v_fma_f32 v4, v4, v163, -v146
	v_fmac_f32_e32 v182, v5, v163
	v_add_f32_e32 v2, 0, v2
	v_add_f32_e32 v5, 0, v181
	v_mul_f32_e32 v8, v121, v148
	s_waitcnt vmcnt(16)
	v_fma_f32 v3, v118, v164, -v3
	v_fmac_f32_e32 v183, v119, v164
	v_add_f32_e32 v2, v2, v4
	v_add_f32_e32 v4, v5, v182
	;; [unrolled: 6-line block ×13, first 2 shown]
	v_mul_f32_e32 v8, v145, v160
	s_waitcnt vmcnt(4)
	v_fma_f32 v4, v142, v176, -v4
	v_mul_f32_e32 v196, v144, v160
	v_add_f32_e32 v2, v2, v5
	v_fmac_f32_e32 v195, v143, v176
	v_add_f32_e32 v3, v3, v194
	s_waitcnt lgkmcnt(0)
	v_mul_f32_e32 v5, v7, v161
	s_waitcnt vmcnt(3)
	v_fma_f32 v8, v144, v177, -v8
	v_add_f32_e32 v2, v2, v4
	v_mul_f32_e32 v197, v6, v161
	v_fmac_f32_e32 v196, v145, v177
	v_add_f32_e32 v3, v3, v195
	s_waitcnt vmcnt(2)
	v_fma_f32 v4, v6, v178, -v5
	v_add_f32_e32 v2, v2, v8
	v_fmac_f32_e32 v197, v7, v178
	v_add_f32_e32 v3, v3, v196
	v_add_f32_e32 v2, v2, v4
	;; [unrolled: 1-line block ×3, first 2 shown]
	s_waitcnt vmcnt(1)
	v_sub_f32_e32 v2, v179, v2
	s_waitcnt vmcnt(0)
	v_sub_f32_e32 v3, v180, v3
	buffer_store_dword v2, off, s[0:3], 0 offset:288
	buffer_store_dword v3, off, s[0:3], 0 offset:292
	v_cmpx_lt_u32_e32 35, v0
	s_cbranch_execz .LBB117_267
; %bb.266:
	s_clause 0x1
	buffer_load_dword v2, off, s[0:3], 0 offset:280
	buffer_load_dword v3, off, s[0:3], 0 offset:284
	buffer_store_dword v1, off, s[0:3], 0 offset:280
	buffer_store_dword v1, off, s[0:3], 0 offset:284
	s_waitcnt vmcnt(0)
	ds_write_b64 v117, v[2:3]
.LBB117_267:
	s_or_b32 exec_lo, exec_lo, s4
	s_waitcnt lgkmcnt(0)
	s_waitcnt_vscnt null, 0x0
	s_barrier
	buffer_gl0_inv
	s_clause 0x25
	buffer_load_dword v6, off, s[0:3], 0 offset:292
	buffer_load_dword v7, off, s[0:3], 0 offset:300
	;; [unrolled: 1-line block ×38, first 2 shown]
	ds_read_b128 v[2:5], v1 offset:720
	ds_read_b128 v[118:121], v1 offset:736
	;; [unrolled: 1-line block ×9, first 2 shown]
	s_mov_b32 s4, exec_lo
	s_waitcnt vmcnt(37) lgkmcnt(8)
	v_mul_f32_e32 v1, v2, v6
	v_mul_f32_e32 v6, v3, v6
	s_waitcnt vmcnt(36)
	v_mul_f32_e32 v185, v4, v7
	v_mul_f32_e32 v7, v5, v7
	s_waitcnt vmcnt(35) lgkmcnt(7)
	v_mul_f32_e32 v186, v118, v8
	s_waitcnt vmcnt(34)
	v_mul_f32_e32 v187, v120, v150
	s_waitcnt vmcnt(33) lgkmcnt(6)
	v_mul_f32_e32 v188, v122, v151
	s_waitcnt vmcnt(32)
	;; [unrolled: 4-line block ×7, first 2 shown]
	v_mul_f32_e32 v199, v144, v162
	s_waitcnt vmcnt(19)
	v_fma_f32 v2, v2, v165, -v6
	v_fmac_f32_e32 v1, v3, v165
	v_mul_f32_e32 v3, v119, v8
	s_waitcnt vmcnt(18)
	v_fma_f32 v4, v4, v166, -v7
	v_fmac_f32_e32 v185, v5, v166
	v_add_f32_e32 v2, 0, v2
	v_add_f32_e32 v1, 0, v1
	v_mul_f32_e32 v5, v121, v150
	s_waitcnt vmcnt(17)
	v_fma_f32 v3, v118, v167, -v3
	v_fmac_f32_e32 v186, v119, v167
	v_add_f32_e32 v2, v2, v4
	v_add_f32_e32 v1, v1, v185
	;; [unrolled: 6-line block ×14, first 2 shown]
	s_waitcnt lgkmcnt(0)
	v_mul_f32_e32 v4, v147, v163
	s_waitcnt vmcnt(4)
	v_fma_f32 v5, v144, v180, -v5
	v_mul_f32_e32 v200, v146, v163
	v_add_f32_e32 v2, v2, v3
	v_fmac_f32_e32 v199, v145, v180
	v_add_f32_e32 v1, v1, v198
	v_mul_f32_e32 v3, v149, v164
	s_waitcnt vmcnt(3)
	v_fma_f32 v4, v146, v181, -v4
	v_add_f32_e32 v2, v2, v5
	v_mul_f32_e32 v201, v148, v164
	v_fmac_f32_e32 v200, v147, v181
	v_add_f32_e32 v1, v1, v199
	s_waitcnt vmcnt(2)
	v_fma_f32 v3, v148, v182, -v3
	v_add_f32_e32 v2, v2, v4
	v_fmac_f32_e32 v201, v149, v182
	v_add_f32_e32 v1, v1, v200
	v_add_f32_e32 v2, v2, v3
	;; [unrolled: 1-line block ×3, first 2 shown]
	s_waitcnt vmcnt(1)
	v_sub_f32_e32 v2, v183, v2
	s_waitcnt vmcnt(0)
	v_sub_f32_e32 v1, v184, v1
	buffer_store_dword v2, off, s[0:3], 0 offset:280
	buffer_store_dword v1, off, s[0:3], 0 offset:284
	v_cmpx_lt_u32_e32 34, v0
	s_cbranch_execz .LBB117_269
; %bb.268:
	s_clause 0x1
	buffer_load_dword v1, off, s[0:3], 0 offset:272
	buffer_load_dword v2, off, s[0:3], 0 offset:276
	v_mov_b32_e32 v3, 0
	buffer_store_dword v3, off, s[0:3], 0 offset:272
	buffer_store_dword v3, off, s[0:3], 0 offset:276
	s_waitcnt vmcnt(0)
	ds_write_b64 v117, v[1:2]
.LBB117_269:
	s_or_b32 exec_lo, exec_lo, s4
	s_waitcnt lgkmcnt(0)
	s_waitcnt_vscnt null, 0x0
	s_barrier
	buffer_gl0_inv
	s_clause 0x27
	buffer_load_dword v8, off, s[0:3], 0 offset:284
	buffer_load_dword v150, off, s[0:3], 0 offset:292
	;; [unrolled: 1-line block ×40, first 2 shown]
	v_mov_b32_e32 v1, 0
	ds_read2_b64 v[2:5], v1 offset0:89 offset1:90
	ds_read2_b64 v[118:121], v1 offset0:91 offset1:92
	;; [unrolled: 1-line block ×9, first 2 shown]
	ds_read_b64 v[6:7], v1 offset:856
	s_mov_b32 s4, exec_lo
	s_waitcnt vmcnt(39) lgkmcnt(9)
	v_mul_f32_e32 v189, v2, v8
	v_mul_f32_e32 v8, v3, v8
	s_waitcnt vmcnt(38)
	v_mul_f32_e32 v190, v4, v150
	v_mul_f32_e32 v150, v5, v150
	s_waitcnt vmcnt(37) lgkmcnt(8)
	v_mul_f32_e32 v191, v118, v151
	s_waitcnt vmcnt(36)
	v_mul_f32_e32 v192, v120, v152
	s_waitcnt vmcnt(35) lgkmcnt(7)
	v_mul_f32_e32 v193, v122, v153
	s_waitcnt vmcnt(34)
	;; [unrolled: 4-line block ×8, first 2 shown]
	v_fma_f32 v2, v2, v168, -v8
	v_fmac_f32_e32 v189, v3, v168
	v_mul_f32_e32 v3, v119, v151
	s_waitcnt vmcnt(19)
	v_fma_f32 v4, v4, v169, -v150
	v_fmac_f32_e32 v190, v5, v169
	v_add_f32_e32 v2, 0, v2
	v_add_f32_e32 v5, 0, v189
	v_mul_f32_e32 v8, v121, v152
	s_waitcnt vmcnt(18)
	v_fma_f32 v3, v118, v170, -v3
	v_fmac_f32_e32 v191, v119, v170
	v_add_f32_e32 v2, v2, v4
	v_add_f32_e32 v4, v5, v190
	;; [unrolled: 6-line block ×15, first 2 shown]
	v_mul_f32_e32 v4, v149, v166
	s_waitcnt vmcnt(4)
	v_fma_f32 v5, v146, v184, -v5
	v_mul_f32_e32 v206, v148, v166
	v_add_f32_e32 v2, v2, v8
	v_fmac_f32_e32 v205, v147, v184
	v_add_f32_e32 v3, v3, v204
	s_waitcnt lgkmcnt(0)
	v_mul_f32_e32 v8, v7, v167
	s_waitcnt vmcnt(3)
	v_fma_f32 v4, v148, v185, -v4
	v_add_f32_e32 v2, v2, v5
	v_mul_f32_e32 v207, v6, v167
	v_fmac_f32_e32 v206, v149, v185
	v_add_f32_e32 v3, v3, v205
	s_waitcnt vmcnt(2)
	v_fma_f32 v5, v6, v186, -v8
	v_add_f32_e32 v2, v2, v4
	v_fmac_f32_e32 v207, v7, v186
	v_add_f32_e32 v3, v3, v206
	v_add_f32_e32 v2, v2, v5
	;; [unrolled: 1-line block ×3, first 2 shown]
	s_waitcnt vmcnt(1)
	v_sub_f32_e32 v2, v187, v2
	s_waitcnt vmcnt(0)
	v_sub_f32_e32 v3, v188, v3
	buffer_store_dword v2, off, s[0:3], 0 offset:272
	buffer_store_dword v3, off, s[0:3], 0 offset:276
	v_cmpx_lt_u32_e32 33, v0
	s_cbranch_execz .LBB117_271
; %bb.270:
	s_clause 0x1
	buffer_load_dword v2, off, s[0:3], 0 offset:264
	buffer_load_dword v3, off, s[0:3], 0 offset:268
	buffer_store_dword v1, off, s[0:3], 0 offset:264
	buffer_store_dword v1, off, s[0:3], 0 offset:268
	s_waitcnt vmcnt(0)
	ds_write_b64 v117, v[2:3]
.LBB117_271:
	s_or_b32 exec_lo, exec_lo, s4
	s_waitcnt lgkmcnt(0)
	s_waitcnt_vscnt null, 0x0
	s_barrier
	buffer_gl0_inv
	s_clause 0x29
	buffer_load_dword v6, off, s[0:3], 0 offset:276
	buffer_load_dword v7, off, s[0:3], 0 offset:284
	;; [unrolled: 1-line block ×42, first 2 shown]
	ds_read_b128 v[2:5], v1 offset:704
	ds_read_b128 v[118:121], v1 offset:720
	;; [unrolled: 1-line block ×10, first 2 shown]
	s_mov_b32 s4, exec_lo
	s_waitcnt vmcnt(41) lgkmcnt(9)
	v_mul_f32_e32 v1, v2, v6
	v_mul_f32_e32 v6, v3, v6
	s_waitcnt vmcnt(40)
	v_mul_f32_e32 v193, v4, v7
	v_mul_f32_e32 v7, v5, v7
	s_waitcnt vmcnt(39) lgkmcnt(8)
	v_mul_f32_e32 v194, v118, v8
	s_waitcnt vmcnt(38)
	v_mul_f32_e32 v195, v120, v154
	s_waitcnt vmcnt(37) lgkmcnt(7)
	v_mul_f32_e32 v196, v122, v155
	s_waitcnt vmcnt(36)
	v_mul_f32_e32 v197, v124, v156
	s_waitcnt vmcnt(35) lgkmcnt(6)
	v_mul_f32_e32 v198, v126, v157
	s_waitcnt vmcnt(34)
	v_mul_f32_e32 v199, v128, v158
	s_waitcnt vmcnt(33) lgkmcnt(5)
	v_mul_f32_e32 v200, v130, v159
	s_waitcnt vmcnt(32)
	v_mul_f32_e32 v201, v132, v160
	s_waitcnt vmcnt(31) lgkmcnt(4)
	v_mul_f32_e32 v202, v134, v161
	s_waitcnt vmcnt(30)
	v_mul_f32_e32 v203, v136, v162
	s_waitcnt vmcnt(29) lgkmcnt(3)
	v_mul_f32_e32 v204, v138, v163
	s_waitcnt vmcnt(28)
	v_mul_f32_e32 v205, v140, v164
	s_waitcnt vmcnt(27) lgkmcnt(2)
	v_mul_f32_e32 v206, v142, v165
	s_waitcnt vmcnt(26)
	v_mul_f32_e32 v207, v144, v166
	s_waitcnt vmcnt(25) lgkmcnt(1)
	v_mul_f32_e32 v208, v146, v167
	s_waitcnt vmcnt(24)
	v_mul_f32_e32 v209, v148, v168
	s_waitcnt vmcnt(21)
	v_fma_f32 v2, v2, v171, -v6
	v_fmac_f32_e32 v1, v3, v171
	v_mul_f32_e32 v3, v119, v8
	s_waitcnt vmcnt(20)
	v_fma_f32 v4, v4, v172, -v7
	v_fmac_f32_e32 v193, v5, v172
	v_add_f32_e32 v2, 0, v2
	v_add_f32_e32 v1, 0, v1
	v_mul_f32_e32 v5, v121, v154
	s_waitcnt vmcnt(19)
	v_fma_f32 v3, v118, v173, -v3
	v_fmac_f32_e32 v194, v119, v173
	v_add_f32_e32 v2, v2, v4
	v_add_f32_e32 v1, v1, v193
	;; [unrolled: 6-line block ×16, first 2 shown]
	s_waitcnt lgkmcnt(0)
	v_mul_f32_e32 v5, v151, v169
	s_waitcnt vmcnt(4)
	v_fma_f32 v3, v148, v188, -v3
	v_mul_f32_e32 v210, v150, v169
	v_add_f32_e32 v2, v2, v4
	v_fmac_f32_e32 v209, v149, v188
	v_add_f32_e32 v1, v1, v208
	v_mul_f32_e32 v4, v153, v170
	s_waitcnt vmcnt(3)
	v_fma_f32 v5, v150, v189, -v5
	v_add_f32_e32 v2, v2, v3
	v_mul_f32_e32 v211, v152, v170
	v_fmac_f32_e32 v210, v151, v189
	v_add_f32_e32 v1, v1, v209
	s_waitcnt vmcnt(2)
	v_fma_f32 v3, v152, v190, -v4
	v_add_f32_e32 v2, v2, v5
	v_fmac_f32_e32 v211, v153, v190
	v_add_f32_e32 v1, v1, v210
	v_add_f32_e32 v2, v2, v3
	;; [unrolled: 1-line block ×3, first 2 shown]
	s_waitcnt vmcnt(1)
	v_sub_f32_e32 v2, v191, v2
	s_waitcnt vmcnt(0)
	v_sub_f32_e32 v1, v192, v1
	buffer_store_dword v2, off, s[0:3], 0 offset:264
	buffer_store_dword v1, off, s[0:3], 0 offset:268
	v_cmpx_lt_u32_e32 32, v0
	s_cbranch_execz .LBB117_273
; %bb.272:
	s_clause 0x1
	buffer_load_dword v1, off, s[0:3], 0 offset:256
	buffer_load_dword v2, off, s[0:3], 0 offset:260
	v_mov_b32_e32 v3, 0
	buffer_store_dword v3, off, s[0:3], 0 offset:256
	buffer_store_dword v3, off, s[0:3], 0 offset:260
	s_waitcnt vmcnt(0)
	ds_write_b64 v117, v[1:2]
.LBB117_273:
	s_or_b32 exec_lo, exec_lo, s4
	s_waitcnt lgkmcnt(0)
	s_waitcnt_vscnt null, 0x0
	s_barrier
	buffer_gl0_inv
	s_clause 0x2b
	buffer_load_dword v8, off, s[0:3], 0 offset:268
	buffer_load_dword v154, off, s[0:3], 0 offset:276
	;; [unrolled: 1-line block ×44, first 2 shown]
	v_mov_b32_e32 v1, 0
	ds_read2_b64 v[2:5], v1 offset0:87 offset1:88
	ds_read2_b64 v[118:121], v1 offset0:89 offset1:90
	ds_read2_b64 v[122:125], v1 offset0:91 offset1:92
	ds_read2_b64 v[126:129], v1 offset0:93 offset1:94
	ds_read2_b64 v[130:133], v1 offset0:95 offset1:96
	ds_read2_b64 v[134:137], v1 offset0:97 offset1:98
	ds_read2_b64 v[138:141], v1 offset0:99 offset1:100
	ds_read2_b64 v[142:145], v1 offset0:101 offset1:102
	ds_read2_b64 v[146:149], v1 offset0:103 offset1:104
	ds_read2_b64 v[150:153], v1 offset0:105 offset1:106
	ds_read_b64 v[6:7], v1 offset:856
	s_mov_b32 s4, exec_lo
	s_waitcnt vmcnt(43) lgkmcnt(10)
	v_mul_f32_e32 v197, v2, v8
	v_mul_f32_e32 v8, v3, v8
	s_waitcnt vmcnt(42)
	v_mul_f32_e32 v198, v4, v154
	v_mul_f32_e32 v154, v5, v154
	s_waitcnt vmcnt(41) lgkmcnt(9)
	v_mul_f32_e32 v199, v118, v155
	s_waitcnt vmcnt(40)
	v_mul_f32_e32 v200, v120, v156
	s_waitcnt vmcnt(39) lgkmcnt(8)
	v_mul_f32_e32 v201, v122, v157
	s_waitcnt vmcnt(38)
	;; [unrolled: 4-line block ×9, first 2 shown]
	v_fma_f32 v2, v2, v174, -v8
	v_fmac_f32_e32 v197, v3, v174
	v_mul_f32_e32 v3, v119, v155
	s_waitcnt vmcnt(21)
	v_fma_f32 v4, v4, v175, -v154
	v_fmac_f32_e32 v198, v5, v175
	v_add_f32_e32 v2, 0, v2
	v_add_f32_e32 v5, 0, v197
	v_mul_f32_e32 v8, v121, v156
	s_waitcnt vmcnt(20)
	v_fma_f32 v3, v118, v176, -v3
	v_fmac_f32_e32 v199, v119, v176
	v_add_f32_e32 v2, v2, v4
	v_add_f32_e32 v4, v5, v198
	;; [unrolled: 6-line block ×17, first 2 shown]
	v_mul_f32_e32 v5, v153, v172
	s_waitcnt vmcnt(4)
	v_fma_f32 v8, v150, v192, -v8
	v_mul_f32_e32 v216, v152, v172
	v_add_f32_e32 v2, v2, v4
	v_fmac_f32_e32 v215, v151, v192
	v_add_f32_e32 v3, v3, v214
	s_waitcnt lgkmcnt(0)
	v_mul_f32_e32 v4, v7, v173
	s_waitcnt vmcnt(3)
	v_fma_f32 v5, v152, v193, -v5
	v_add_f32_e32 v2, v2, v8
	v_mul_f32_e32 v217, v6, v173
	v_fmac_f32_e32 v216, v153, v193
	v_add_f32_e32 v3, v3, v215
	s_waitcnt vmcnt(2)
	v_fma_f32 v4, v6, v194, -v4
	v_add_f32_e32 v2, v2, v5
	v_fmac_f32_e32 v217, v7, v194
	v_add_f32_e32 v3, v3, v216
	v_add_f32_e32 v2, v2, v4
	v_add_f32_e32 v3, v3, v217
	s_waitcnt vmcnt(1)
	v_sub_f32_e32 v2, v195, v2
	s_waitcnt vmcnt(0)
	v_sub_f32_e32 v3, v196, v3
	buffer_store_dword v2, off, s[0:3], 0 offset:256
	buffer_store_dword v3, off, s[0:3], 0 offset:260
	v_cmpx_lt_u32_e32 31, v0
	s_cbranch_execz .LBB117_275
; %bb.274:
	s_clause 0x1
	buffer_load_dword v2, off, s[0:3], 0 offset:248
	buffer_load_dword v3, off, s[0:3], 0 offset:252
	buffer_store_dword v1, off, s[0:3], 0 offset:248
	buffer_store_dword v1, off, s[0:3], 0 offset:252
	s_waitcnt vmcnt(0)
	ds_write_b64 v117, v[2:3]
.LBB117_275:
	s_or_b32 exec_lo, exec_lo, s4
	s_waitcnt lgkmcnt(0)
	s_waitcnt_vscnt null, 0x0
	s_barrier
	buffer_gl0_inv
	s_clause 0x2d
	buffer_load_dword v6, off, s[0:3], 0 offset:260
	buffer_load_dword v7, off, s[0:3], 0 offset:268
	;; [unrolled: 1-line block ×46, first 2 shown]
	ds_read_b128 v[2:5], v1 offset:688
	ds_read_b128 v[118:121], v1 offset:704
	ds_read_b128 v[122:125], v1 offset:720
	ds_read_b128 v[126:129], v1 offset:736
	ds_read_b128 v[130:133], v1 offset:752
	ds_read_b128 v[134:137], v1 offset:768
	ds_read_b128 v[138:141], v1 offset:784
	ds_read_b128 v[142:145], v1 offset:800
	ds_read_b128 v[146:149], v1 offset:816
	ds_read_b128 v[150:153], v1 offset:832
	ds_read_b128 v[154:157], v1 offset:848
	s_mov_b32 s4, exec_lo
	s_waitcnt vmcnt(45) lgkmcnt(10)
	v_mul_f32_e32 v1, v2, v6
	v_mul_f32_e32 v6, v3, v6
	s_waitcnt vmcnt(44)
	v_mul_f32_e32 v201, v4, v7
	v_mul_f32_e32 v7, v5, v7
	s_waitcnt vmcnt(43) lgkmcnt(9)
	v_mul_f32_e32 v202, v118, v8
	s_waitcnt vmcnt(42)
	v_mul_f32_e32 v203, v120, v158
	s_waitcnt vmcnt(41) lgkmcnt(8)
	v_mul_f32_e32 v204, v122, v159
	s_waitcnt vmcnt(40)
	;; [unrolled: 4-line block ×9, first 2 shown]
	v_mul_f32_e32 v219, v152, v174
	s_waitcnt vmcnt(23)
	v_fma_f32 v2, v2, v177, -v6
	v_fmac_f32_e32 v1, v3, v177
	v_mul_f32_e32 v3, v119, v8
	s_waitcnt vmcnt(22)
	v_fma_f32 v4, v4, v178, -v7
	v_fmac_f32_e32 v201, v5, v178
	v_add_f32_e32 v2, 0, v2
	v_add_f32_e32 v1, 0, v1
	v_mul_f32_e32 v5, v121, v158
	s_waitcnt vmcnt(21)
	v_fma_f32 v3, v118, v179, -v3
	v_fmac_f32_e32 v202, v119, v179
	v_add_f32_e32 v2, v2, v4
	v_add_f32_e32 v1, v1, v201
	;; [unrolled: 6-line block ×18, first 2 shown]
	s_waitcnt lgkmcnt(0)
	v_mul_f32_e32 v3, v155, v175
	s_waitcnt vmcnt(4)
	v_fma_f32 v4, v152, v196, -v4
	v_mul_f32_e32 v220, v154, v175
	v_add_f32_e32 v2, v2, v5
	v_fmac_f32_e32 v219, v153, v196
	v_add_f32_e32 v1, v1, v218
	v_mul_f32_e32 v5, v157, v176
	s_waitcnt vmcnt(3)
	v_fma_f32 v3, v154, v197, -v3
	v_add_f32_e32 v2, v2, v4
	v_mul_f32_e32 v221, v156, v176
	v_fmac_f32_e32 v220, v155, v197
	v_add_f32_e32 v1, v1, v219
	s_waitcnt vmcnt(2)
	v_fma_f32 v4, v156, v198, -v5
	v_add_f32_e32 v2, v2, v3
	v_fmac_f32_e32 v221, v157, v198
	v_add_f32_e32 v1, v1, v220
	v_add_f32_e32 v2, v2, v4
	;; [unrolled: 1-line block ×3, first 2 shown]
	s_waitcnt vmcnt(1)
	v_sub_f32_e32 v2, v199, v2
	s_waitcnt vmcnt(0)
	v_sub_f32_e32 v1, v200, v1
	buffer_store_dword v2, off, s[0:3], 0 offset:248
	buffer_store_dword v1, off, s[0:3], 0 offset:252
	v_cmpx_lt_u32_e32 30, v0
	s_cbranch_execz .LBB117_277
; %bb.276:
	s_clause 0x1
	buffer_load_dword v1, off, s[0:3], 0 offset:240
	buffer_load_dword v2, off, s[0:3], 0 offset:244
	v_mov_b32_e32 v3, 0
	buffer_store_dword v3, off, s[0:3], 0 offset:240
	buffer_store_dword v3, off, s[0:3], 0 offset:244
	s_waitcnt vmcnt(0)
	ds_write_b64 v117, v[1:2]
.LBB117_277:
	s_or_b32 exec_lo, exec_lo, s4
	s_waitcnt lgkmcnt(0)
	s_waitcnt_vscnt null, 0x0
	s_barrier
	buffer_gl0_inv
	s_clause 0x2f
	buffer_load_dword v8, off, s[0:3], 0 offset:252
	buffer_load_dword v158, off, s[0:3], 0 offset:260
	;; [unrolled: 1-line block ×48, first 2 shown]
	v_mov_b32_e32 v1, 0
	ds_read2_b64 v[2:5], v1 offset0:85 offset1:86
	ds_read2_b64 v[118:121], v1 offset0:87 offset1:88
	;; [unrolled: 1-line block ×11, first 2 shown]
	ds_read_b64 v[6:7], v1 offset:856
	s_mov_b32 s4, exec_lo
	s_waitcnt vmcnt(47) lgkmcnt(11)
	v_mul_f32_e32 v205, v2, v8
	v_mul_f32_e32 v8, v3, v8
	s_waitcnt vmcnt(46)
	v_mul_f32_e32 v206, v4, v158
	v_mul_f32_e32 v158, v5, v158
	s_waitcnt vmcnt(45) lgkmcnt(10)
	v_mul_f32_e32 v207, v118, v159
	s_waitcnt vmcnt(44)
	v_mul_f32_e32 v208, v120, v160
	s_waitcnt vmcnt(43) lgkmcnt(9)
	v_mul_f32_e32 v209, v122, v161
	s_waitcnt vmcnt(42)
	;; [unrolled: 4-line block ×10, first 2 shown]
	v_fma_f32 v2, v2, v180, -v8
	v_fmac_f32_e32 v205, v3, v180
	v_mul_f32_e32 v3, v119, v159
	s_waitcnt vmcnt(23)
	v_fma_f32 v4, v4, v181, -v158
	v_fmac_f32_e32 v206, v5, v181
	v_add_f32_e32 v2, 0, v2
	v_add_f32_e32 v5, 0, v205
	v_mul_f32_e32 v8, v121, v160
	s_waitcnt vmcnt(22)
	v_fma_f32 v3, v118, v182, -v3
	v_fmac_f32_e32 v207, v119, v182
	v_add_f32_e32 v2, v2, v4
	v_add_f32_e32 v4, v5, v206
	;; [unrolled: 6-line block ×19, first 2 shown]
	v_mul_f32_e32 v8, v157, v178
	s_waitcnt vmcnt(4)
	v_fma_f32 v4, v154, v200, -v4
	v_mul_f32_e32 v226, v156, v178
	v_add_f32_e32 v2, v2, v5
	v_fmac_f32_e32 v225, v155, v200
	v_add_f32_e32 v3, v3, v224
	s_waitcnt lgkmcnt(0)
	v_mul_f32_e32 v5, v7, v179
	s_waitcnt vmcnt(3)
	v_fma_f32 v8, v156, v201, -v8
	v_add_f32_e32 v2, v2, v4
	v_mul_f32_e32 v227, v6, v179
	v_fmac_f32_e32 v226, v157, v201
	v_add_f32_e32 v3, v3, v225
	s_waitcnt vmcnt(2)
	v_fma_f32 v4, v6, v202, -v5
	v_add_f32_e32 v2, v2, v8
	v_fmac_f32_e32 v227, v7, v202
	v_add_f32_e32 v3, v3, v226
	v_add_f32_e32 v2, v2, v4
	;; [unrolled: 1-line block ×3, first 2 shown]
	s_waitcnt vmcnt(1)
	v_sub_f32_e32 v2, v203, v2
	s_waitcnt vmcnt(0)
	v_sub_f32_e32 v3, v204, v3
	buffer_store_dword v2, off, s[0:3], 0 offset:240
	buffer_store_dword v3, off, s[0:3], 0 offset:244
	v_cmpx_lt_u32_e32 29, v0
	s_cbranch_execz .LBB117_279
; %bb.278:
	s_clause 0x1
	buffer_load_dword v2, off, s[0:3], 0 offset:232
	buffer_load_dword v3, off, s[0:3], 0 offset:236
	buffer_store_dword v1, off, s[0:3], 0 offset:232
	buffer_store_dword v1, off, s[0:3], 0 offset:236
	s_waitcnt vmcnt(0)
	ds_write_b64 v117, v[2:3]
.LBB117_279:
	s_or_b32 exec_lo, exec_lo, s4
	s_waitcnt lgkmcnt(0)
	s_waitcnt_vscnt null, 0x0
	s_barrier
	buffer_gl0_inv
	s_clause 0x31
	buffer_load_dword v6, off, s[0:3], 0 offset:244
	buffer_load_dword v7, off, s[0:3], 0 offset:252
	;; [unrolled: 1-line block ×50, first 2 shown]
	ds_read_b128 v[2:5], v1 offset:672
	ds_read_b128 v[118:121], v1 offset:688
	;; [unrolled: 1-line block ×12, first 2 shown]
	s_mov_b32 s4, exec_lo
	s_waitcnt vmcnt(49) lgkmcnt(11)
	v_mul_f32_e32 v1, v2, v6
	v_mul_f32_e32 v6, v3, v6
	s_waitcnt vmcnt(48)
	v_mul_f32_e32 v209, v4, v7
	v_mul_f32_e32 v7, v5, v7
	s_waitcnt vmcnt(47) lgkmcnt(10)
	v_mul_f32_e32 v210, v118, v8
	s_waitcnt vmcnt(46)
	v_mul_f32_e32 v211, v120, v162
	s_waitcnt vmcnt(45) lgkmcnt(9)
	v_mul_f32_e32 v212, v122, v163
	s_waitcnt vmcnt(44)
	;; [unrolled: 4-line block ×10, first 2 shown]
	v_mul_f32_e32 v229, v156, v180
	s_waitcnt vmcnt(25)
	v_fma_f32 v2, v2, v183, -v6
	v_fmac_f32_e32 v1, v3, v183
	v_mul_f32_e32 v3, v119, v8
	s_waitcnt vmcnt(24)
	v_fma_f32 v4, v4, v184, -v7
	v_fmac_f32_e32 v209, v5, v184
	v_add_f32_e32 v2, 0, v2
	v_add_f32_e32 v1, 0, v1
	v_mul_f32_e32 v5, v121, v162
	s_waitcnt vmcnt(23)
	v_fma_f32 v3, v118, v185, -v3
	v_fmac_f32_e32 v210, v119, v185
	v_add_f32_e32 v2, v2, v4
	v_add_f32_e32 v1, v1, v209
	;; [unrolled: 6-line block ×20, first 2 shown]
	s_waitcnt lgkmcnt(0)
	v_mul_f32_e32 v4, v159, v181
	s_waitcnt vmcnt(4)
	v_fma_f32 v5, v156, v204, -v5
	v_mul_f32_e32 v230, v158, v181
	v_add_f32_e32 v2, v2, v3
	v_fmac_f32_e32 v229, v157, v204
	v_add_f32_e32 v1, v1, v228
	v_mul_f32_e32 v3, v161, v182
	s_waitcnt vmcnt(3)
	v_fma_f32 v4, v158, v205, -v4
	v_add_f32_e32 v2, v2, v5
	v_mul_f32_e32 v231, v160, v182
	v_fmac_f32_e32 v230, v159, v205
	v_add_f32_e32 v1, v1, v229
	s_waitcnt vmcnt(2)
	v_fma_f32 v3, v160, v206, -v3
	v_add_f32_e32 v2, v2, v4
	v_fmac_f32_e32 v231, v161, v206
	v_add_f32_e32 v1, v1, v230
	v_add_f32_e32 v2, v2, v3
	;; [unrolled: 1-line block ×3, first 2 shown]
	s_waitcnt vmcnt(1)
	v_sub_f32_e32 v2, v207, v2
	s_waitcnt vmcnt(0)
	v_sub_f32_e32 v1, v208, v1
	buffer_store_dword v2, off, s[0:3], 0 offset:232
	buffer_store_dword v1, off, s[0:3], 0 offset:236
	v_cmpx_lt_u32_e32 28, v0
	s_cbranch_execz .LBB117_281
; %bb.280:
	s_clause 0x1
	buffer_load_dword v1, off, s[0:3], 0 offset:224
	buffer_load_dword v2, off, s[0:3], 0 offset:228
	v_mov_b32_e32 v3, 0
	buffer_store_dword v3, off, s[0:3], 0 offset:224
	buffer_store_dword v3, off, s[0:3], 0 offset:228
	s_waitcnt vmcnt(0)
	ds_write_b64 v117, v[1:2]
.LBB117_281:
	s_or_b32 exec_lo, exec_lo, s4
	s_waitcnt lgkmcnt(0)
	s_waitcnt_vscnt null, 0x0
	s_barrier
	buffer_gl0_inv
	s_clause 0x33
	buffer_load_dword v8, off, s[0:3], 0 offset:236
	buffer_load_dword v162, off, s[0:3], 0 offset:244
	;; [unrolled: 1-line block ×52, first 2 shown]
	v_mov_b32_e32 v1, 0
	ds_read2_b64 v[2:5], v1 offset0:83 offset1:84
	ds_read2_b64 v[118:121], v1 offset0:85 offset1:86
	;; [unrolled: 1-line block ×12, first 2 shown]
	ds_read_b64 v[6:7], v1 offset:856
	s_mov_b32 s4, exec_lo
	s_waitcnt vmcnt(51) lgkmcnt(12)
	v_mul_f32_e32 v213, v2, v8
	v_mul_f32_e32 v8, v3, v8
	s_waitcnt vmcnt(50)
	v_mul_f32_e32 v214, v4, v162
	v_mul_f32_e32 v162, v5, v162
	s_waitcnt vmcnt(49) lgkmcnt(11)
	v_mul_f32_e32 v215, v118, v163
	s_waitcnt vmcnt(48)
	v_mul_f32_e32 v216, v120, v164
	s_waitcnt vmcnt(47) lgkmcnt(10)
	v_mul_f32_e32 v217, v122, v165
	s_waitcnt vmcnt(46)
	;; [unrolled: 4-line block ×11, first 2 shown]
	v_fma_f32 v2, v2, v186, -v8
	v_fmac_f32_e32 v213, v3, v186
	v_mul_f32_e32 v3, v119, v163
	s_waitcnt vmcnt(25)
	v_fma_f32 v4, v4, v187, -v162
	v_fmac_f32_e32 v214, v5, v187
	v_add_f32_e32 v2, 0, v2
	v_add_f32_e32 v5, 0, v213
	v_mul_f32_e32 v8, v121, v164
	s_waitcnt vmcnt(24)
	v_fma_f32 v3, v118, v188, -v3
	v_fmac_f32_e32 v215, v119, v188
	v_add_f32_e32 v2, v2, v4
	v_add_f32_e32 v4, v5, v214
	;; [unrolled: 6-line block ×21, first 2 shown]
	v_mul_f32_e32 v4, v161, v184
	s_waitcnt vmcnt(4)
	v_fma_f32 v5, v158, v208, -v5
	v_mul_f32_e32 v236, v160, v184
	v_add_f32_e32 v2, v2, v8
	v_fmac_f32_e32 v235, v159, v208
	v_add_f32_e32 v3, v3, v234
	s_waitcnt lgkmcnt(0)
	v_mul_f32_e32 v8, v7, v185
	s_waitcnt vmcnt(3)
	v_fma_f32 v4, v160, v209, -v4
	v_add_f32_e32 v2, v2, v5
	v_mul_f32_e32 v237, v6, v185
	v_fmac_f32_e32 v236, v161, v209
	v_add_f32_e32 v3, v3, v235
	s_waitcnt vmcnt(2)
	v_fma_f32 v5, v6, v210, -v8
	v_add_f32_e32 v2, v2, v4
	v_fmac_f32_e32 v237, v7, v210
	v_add_f32_e32 v3, v3, v236
	v_add_f32_e32 v2, v2, v5
	;; [unrolled: 1-line block ×3, first 2 shown]
	s_waitcnt vmcnt(1)
	v_sub_f32_e32 v2, v211, v2
	s_waitcnt vmcnt(0)
	v_sub_f32_e32 v3, v212, v3
	buffer_store_dword v2, off, s[0:3], 0 offset:224
	buffer_store_dword v3, off, s[0:3], 0 offset:228
	v_cmpx_lt_u32_e32 27, v0
	s_cbranch_execz .LBB117_283
; %bb.282:
	s_clause 0x1
	buffer_load_dword v2, off, s[0:3], 0 offset:216
	buffer_load_dword v3, off, s[0:3], 0 offset:220
	buffer_store_dword v1, off, s[0:3], 0 offset:216
	buffer_store_dword v1, off, s[0:3], 0 offset:220
	s_waitcnt vmcnt(0)
	ds_write_b64 v117, v[2:3]
.LBB117_283:
	s_or_b32 exec_lo, exec_lo, s4
	s_waitcnt lgkmcnt(0)
	s_waitcnt_vscnt null, 0x0
	s_barrier
	buffer_gl0_inv
	s_clause 0x35
	buffer_load_dword v6, off, s[0:3], 0 offset:228
	buffer_load_dword v7, off, s[0:3], 0 offset:236
	;; [unrolled: 1-line block ×54, first 2 shown]
	ds_read_b128 v[2:5], v1 offset:656
	ds_read_b128 v[118:121], v1 offset:672
	;; [unrolled: 1-line block ×13, first 2 shown]
	s_mov_b32 s4, exec_lo
	s_waitcnt vmcnt(53) lgkmcnt(12)
	v_mul_f32_e32 v1, v2, v6
	v_mul_f32_e32 v6, v3, v6
	s_waitcnt vmcnt(52)
	v_mul_f32_e32 v217, v4, v7
	v_mul_f32_e32 v7, v5, v7
	s_waitcnt vmcnt(51) lgkmcnt(11)
	v_mul_f32_e32 v218, v118, v8
	s_waitcnt vmcnt(50)
	v_mul_f32_e32 v219, v120, v166
	s_waitcnt vmcnt(49) lgkmcnt(10)
	v_mul_f32_e32 v220, v122, v167
	s_waitcnt vmcnt(48)
	;; [unrolled: 4-line block ×11, first 2 shown]
	v_mul_f32_e32 v239, v160, v186
	s_waitcnt vmcnt(27)
	v_fma_f32 v2, v2, v189, -v6
	v_fmac_f32_e32 v1, v3, v189
	v_mul_f32_e32 v3, v119, v8
	s_waitcnt vmcnt(26)
	v_fma_f32 v4, v4, v190, -v7
	v_fmac_f32_e32 v217, v5, v190
	v_add_f32_e32 v2, 0, v2
	v_add_f32_e32 v1, 0, v1
	v_mul_f32_e32 v5, v121, v166
	s_waitcnt vmcnt(25)
	v_fma_f32 v3, v118, v191, -v3
	v_fmac_f32_e32 v218, v119, v191
	v_add_f32_e32 v2, v2, v4
	v_add_f32_e32 v1, v1, v217
	;; [unrolled: 6-line block ×22, first 2 shown]
	s_waitcnt lgkmcnt(0)
	v_mul_f32_e32 v5, v163, v187
	s_waitcnt vmcnt(4)
	v_fma_f32 v3, v160, v212, -v3
	v_mul_f32_e32 v240, v162, v187
	v_add_f32_e32 v2, v2, v4
	v_fmac_f32_e32 v239, v161, v212
	v_add_f32_e32 v1, v1, v238
	v_mul_f32_e32 v4, v165, v188
	s_waitcnt vmcnt(3)
	v_fma_f32 v5, v162, v213, -v5
	v_add_f32_e32 v2, v2, v3
	v_mul_f32_e32 v241, v164, v188
	v_fmac_f32_e32 v240, v163, v213
	v_add_f32_e32 v1, v1, v239
	s_waitcnt vmcnt(2)
	v_fma_f32 v3, v164, v214, -v4
	v_add_f32_e32 v2, v2, v5
	v_fmac_f32_e32 v241, v165, v214
	v_add_f32_e32 v1, v1, v240
	v_add_f32_e32 v2, v2, v3
	;; [unrolled: 1-line block ×3, first 2 shown]
	s_waitcnt vmcnt(1)
	v_sub_f32_e32 v2, v215, v2
	s_waitcnt vmcnt(0)
	v_sub_f32_e32 v1, v216, v1
	buffer_store_dword v2, off, s[0:3], 0 offset:216
	buffer_store_dword v1, off, s[0:3], 0 offset:220
	v_cmpx_lt_u32_e32 26, v0
	s_cbranch_execz .LBB117_285
; %bb.284:
	s_clause 0x1
	buffer_load_dword v1, off, s[0:3], 0 offset:208
	buffer_load_dword v2, off, s[0:3], 0 offset:212
	v_mov_b32_e32 v3, 0
	buffer_store_dword v3, off, s[0:3], 0 offset:208
	buffer_store_dword v3, off, s[0:3], 0 offset:212
	s_waitcnt vmcnt(0)
	ds_write_b64 v117, v[1:2]
.LBB117_285:
	s_or_b32 exec_lo, exec_lo, s4
	s_waitcnt lgkmcnt(0)
	s_waitcnt_vscnt null, 0x0
	s_barrier
	buffer_gl0_inv
	s_clause 0x37
	buffer_load_dword v8, off, s[0:3], 0 offset:220
	buffer_load_dword v166, off, s[0:3], 0 offset:228
	;; [unrolled: 1-line block ×56, first 2 shown]
	v_mov_b32_e32 v1, 0
	ds_read2_b64 v[2:5], v1 offset0:81 offset1:82
	ds_read2_b64 v[118:121], v1 offset0:83 offset1:84
	ds_read2_b64 v[122:125], v1 offset0:85 offset1:86
	ds_read2_b64 v[126:129], v1 offset0:87 offset1:88
	ds_read2_b64 v[130:133], v1 offset0:89 offset1:90
	ds_read2_b64 v[134:137], v1 offset0:91 offset1:92
	ds_read2_b64 v[138:141], v1 offset0:93 offset1:94
	ds_read2_b64 v[142:145], v1 offset0:95 offset1:96
	ds_read2_b64 v[146:149], v1 offset0:97 offset1:98
	ds_read2_b64 v[150:153], v1 offset0:99 offset1:100
	ds_read2_b64 v[154:157], v1 offset0:101 offset1:102
	ds_read2_b64 v[158:161], v1 offset0:103 offset1:104
	ds_read2_b64 v[162:165], v1 offset0:105 offset1:106
	ds_read_b64 v[6:7], v1 offset:856
	s_mov_b32 s4, exec_lo
	s_waitcnt vmcnt(55) lgkmcnt(13)
	v_mul_f32_e32 v221, v2, v8
	v_mul_f32_e32 v8, v3, v8
	s_waitcnt vmcnt(54)
	v_mul_f32_e32 v222, v4, v166
	v_mul_f32_e32 v166, v5, v166
	s_waitcnt vmcnt(53) lgkmcnt(12)
	v_mul_f32_e32 v223, v118, v167
	s_waitcnt vmcnt(52)
	v_mul_f32_e32 v224, v120, v168
	s_waitcnt vmcnt(51) lgkmcnt(11)
	v_mul_f32_e32 v225, v122, v169
	s_waitcnt vmcnt(50)
	v_mul_f32_e32 v226, v124, v170
	s_waitcnt vmcnt(49) lgkmcnt(10)
	v_mul_f32_e32 v227, v126, v171
	s_waitcnt vmcnt(48)
	v_mul_f32_e32 v228, v128, v172
	s_waitcnt vmcnt(47) lgkmcnt(9)
	v_mul_f32_e32 v229, v130, v173
	s_waitcnt vmcnt(46)
	v_mul_f32_e32 v230, v132, v174
	s_waitcnt vmcnt(45) lgkmcnt(8)
	v_mul_f32_e32 v231, v134, v175
	s_waitcnt vmcnt(44)
	v_mul_f32_e32 v232, v136, v176
	s_waitcnt vmcnt(43) lgkmcnt(7)
	v_mul_f32_e32 v233, v138, v177
	s_waitcnt vmcnt(42)
	v_mul_f32_e32 v234, v140, v178
	s_waitcnt vmcnt(41) lgkmcnt(6)
	v_mul_f32_e32 v235, v142, v179
	s_waitcnt vmcnt(40)
	v_mul_f32_e32 v236, v144, v180
	s_waitcnt vmcnt(39) lgkmcnt(5)
	v_mul_f32_e32 v237, v146, v181
	s_waitcnt vmcnt(38)
	v_mul_f32_e32 v238, v148, v182
	s_waitcnt vmcnt(37) lgkmcnt(4)
	v_mul_f32_e32 v239, v150, v183
	s_waitcnt vmcnt(36)
	v_mul_f32_e32 v240, v152, v184
	s_waitcnt vmcnt(35) lgkmcnt(3)
	v_mul_f32_e32 v241, v154, v185
	s_waitcnt vmcnt(34)
	v_mul_f32_e32 v242, v156, v186
	s_waitcnt vmcnt(33) lgkmcnt(2)
	v_mul_f32_e32 v243, v158, v187
	s_waitcnt vmcnt(32)
	v_mul_f32_e32 v244, v160, v188
	s_waitcnt vmcnt(31) lgkmcnt(1)
	v_mul_f32_e32 v245, v162, v189
	s_waitcnt vmcnt(28)
	v_fma_f32 v2, v2, v192, -v8
	v_fmac_f32_e32 v221, v3, v192
	v_mul_f32_e32 v3, v119, v167
	s_waitcnt vmcnt(27)
	v_fma_f32 v4, v4, v193, -v166
	v_fmac_f32_e32 v222, v5, v193
	v_add_f32_e32 v2, 0, v2
	v_add_f32_e32 v5, 0, v221
	v_mul_f32_e32 v8, v121, v168
	s_waitcnt vmcnt(26)
	v_fma_f32 v3, v118, v194, -v3
	v_fmac_f32_e32 v223, v119, v194
	v_add_f32_e32 v2, v2, v4
	v_add_f32_e32 v4, v5, v222
	;; [unrolled: 6-line block ×23, first 2 shown]
	v_mul_f32_e32 v5, v165, v190
	s_waitcnt vmcnt(4)
	v_fma_f32 v8, v162, v216, -v8
	v_mul_f32_e32 v246, v164, v190
	v_add_f32_e32 v2, v2, v4
	v_fmac_f32_e32 v245, v163, v216
	v_add_f32_e32 v3, v3, v244
	s_waitcnt lgkmcnt(0)
	v_mul_f32_e32 v4, v7, v191
	s_waitcnt vmcnt(3)
	v_fma_f32 v5, v164, v217, -v5
	v_add_f32_e32 v2, v2, v8
	v_mul_f32_e32 v247, v6, v191
	v_fmac_f32_e32 v246, v165, v217
	v_add_f32_e32 v3, v3, v245
	s_waitcnt vmcnt(2)
	v_fma_f32 v4, v6, v218, -v4
	v_add_f32_e32 v2, v2, v5
	v_fmac_f32_e32 v247, v7, v218
	v_add_f32_e32 v3, v3, v246
	v_add_f32_e32 v2, v2, v4
	;; [unrolled: 1-line block ×3, first 2 shown]
	s_waitcnt vmcnt(1)
	v_sub_f32_e32 v2, v219, v2
	s_waitcnt vmcnt(0)
	v_sub_f32_e32 v3, v220, v3
	buffer_store_dword v2, off, s[0:3], 0 offset:208
	buffer_store_dword v3, off, s[0:3], 0 offset:212
	v_cmpx_lt_u32_e32 25, v0
	s_cbranch_execz .LBB117_287
; %bb.286:
	s_clause 0x1
	buffer_load_dword v2, off, s[0:3], 0 offset:200
	buffer_load_dword v3, off, s[0:3], 0 offset:204
	buffer_store_dword v1, off, s[0:3], 0 offset:200
	buffer_store_dword v1, off, s[0:3], 0 offset:204
	s_waitcnt vmcnt(0)
	ds_write_b64 v117, v[2:3]
.LBB117_287:
	s_or_b32 exec_lo, exec_lo, s4
	s_waitcnt lgkmcnt(0)
	s_waitcnt_vscnt null, 0x0
	s_barrier
	buffer_gl0_inv
	s_clause 0x39
	buffer_load_dword v6, off, s[0:3], 0 offset:212
	buffer_load_dword v7, off, s[0:3], 0 offset:220
	;; [unrolled: 1-line block ×58, first 2 shown]
	ds_read_b128 v[2:5], v1 offset:640
	ds_read_b128 v[118:121], v1 offset:656
	;; [unrolled: 1-line block ×14, first 2 shown]
	s_mov_b32 s4, exec_lo
	s_waitcnt vmcnt(57) lgkmcnt(13)
	v_mul_f32_e32 v1, v2, v6
	v_mul_f32_e32 v6, v3, v6
	s_waitcnt vmcnt(56)
	v_mul_f32_e32 v225, v4, v7
	v_mul_f32_e32 v7, v5, v7
	s_waitcnt vmcnt(55) lgkmcnt(12)
	v_mul_f32_e32 v226, v118, v8
	s_waitcnt vmcnt(54)
	v_mul_f32_e32 v227, v120, v170
	s_waitcnt vmcnt(53) lgkmcnt(11)
	v_mul_f32_e32 v228, v122, v171
	s_waitcnt vmcnt(52)
	;; [unrolled: 4-line block ×12, first 2 shown]
	v_mul_f32_e32 v249, v164, v192
	s_waitcnt vmcnt(29)
	v_fma_f32 v2, v2, v195, -v6
	v_fmac_f32_e32 v1, v3, v195
	v_mul_f32_e32 v3, v119, v8
	s_waitcnt vmcnt(28)
	v_fma_f32 v4, v4, v196, -v7
	v_fmac_f32_e32 v225, v5, v196
	v_add_f32_e32 v2, 0, v2
	v_add_f32_e32 v1, 0, v1
	v_mul_f32_e32 v5, v121, v170
	s_waitcnt vmcnt(27)
	v_fma_f32 v3, v118, v197, -v3
	v_fmac_f32_e32 v226, v119, v197
	v_add_f32_e32 v2, v2, v4
	v_add_f32_e32 v1, v1, v225
	v_mul_f32_e32 v4, v123, v171
	s_waitcnt vmcnt(26)
	v_fma_f32 v5, v120, v198, -v5
	v_fmac_f32_e32 v227, v121, v198
	v_add_f32_e32 v2, v2, v3
	v_add_f32_e32 v1, v1, v226
	v_mul_f32_e32 v3, v125, v172
	s_waitcnt vmcnt(25)
	v_fma_f32 v4, v122, v199, -v4
	v_fmac_f32_e32 v228, v123, v199
	v_add_f32_e32 v2, v2, v5
	v_add_f32_e32 v1, v1, v227
	v_mul_f32_e32 v5, v127, v173
	s_waitcnt vmcnt(24)
	v_fma_f32 v3, v124, v200, -v3
	v_fmac_f32_e32 v229, v125, v200
	v_add_f32_e32 v2, v2, v4
	v_add_f32_e32 v1, v1, v228
	v_mul_f32_e32 v4, v129, v174
	s_waitcnt vmcnt(23)
	v_fma_f32 v5, v126, v201, -v5
	v_fmac_f32_e32 v230, v127, v201
	v_add_f32_e32 v2, v2, v3
	v_add_f32_e32 v1, v1, v229
	v_mul_f32_e32 v3, v131, v175
	s_waitcnt vmcnt(22)
	v_fma_f32 v4, v128, v202, -v4
	v_fmac_f32_e32 v231, v129, v202
	v_add_f32_e32 v2, v2, v5
	v_add_f32_e32 v1, v1, v230
	v_mul_f32_e32 v5, v133, v176
	s_waitcnt vmcnt(21)
	v_fma_f32 v3, v130, v203, -v3
	v_fmac_f32_e32 v232, v131, v203
	v_add_f32_e32 v2, v2, v4
	v_add_f32_e32 v1, v1, v231
	v_mul_f32_e32 v4, v135, v177
	s_waitcnt vmcnt(20)
	v_fma_f32 v5, v132, v204, -v5
	v_fmac_f32_e32 v233, v133, v204
	v_add_f32_e32 v2, v2, v3
	v_add_f32_e32 v1, v1, v232
	v_mul_f32_e32 v3, v137, v178
	s_waitcnt vmcnt(19)
	v_fma_f32 v4, v134, v205, -v4
	v_fmac_f32_e32 v234, v135, v205
	v_add_f32_e32 v2, v2, v5
	v_add_f32_e32 v1, v1, v233
	v_mul_f32_e32 v5, v139, v179
	s_waitcnt vmcnt(18)
	v_fma_f32 v3, v136, v206, -v3
	v_fmac_f32_e32 v235, v137, v206
	v_add_f32_e32 v2, v2, v4
	v_add_f32_e32 v1, v1, v234
	v_mul_f32_e32 v4, v141, v180
	s_waitcnt vmcnt(17)
	v_fma_f32 v5, v138, v207, -v5
	v_fmac_f32_e32 v236, v139, v207
	v_add_f32_e32 v2, v2, v3
	v_add_f32_e32 v1, v1, v235
	v_mul_f32_e32 v3, v143, v181
	s_waitcnt vmcnt(16)
	v_fma_f32 v4, v140, v208, -v4
	v_fmac_f32_e32 v237, v141, v208
	v_add_f32_e32 v2, v2, v5
	v_add_f32_e32 v1, v1, v236
	v_mul_f32_e32 v5, v145, v182
	s_waitcnt vmcnt(15)
	v_fma_f32 v3, v142, v209, -v3
	v_fmac_f32_e32 v238, v143, v209
	v_add_f32_e32 v2, v2, v4
	v_add_f32_e32 v1, v1, v237
	v_mul_f32_e32 v4, v147, v183
	s_waitcnt vmcnt(14)
	v_fma_f32 v5, v144, v210, -v5
	v_fmac_f32_e32 v239, v145, v210
	v_add_f32_e32 v2, v2, v3
	v_add_f32_e32 v1, v1, v238
	v_mul_f32_e32 v3, v149, v184
	s_waitcnt vmcnt(13)
	v_fma_f32 v4, v146, v211, -v4
	v_fmac_f32_e32 v240, v147, v211
	v_add_f32_e32 v2, v2, v5
	v_add_f32_e32 v1, v1, v239
	v_mul_f32_e32 v5, v151, v185
	s_waitcnt vmcnt(12)
	v_fma_f32 v3, v148, v212, -v3
	v_fmac_f32_e32 v241, v149, v212
	v_add_f32_e32 v2, v2, v4
	v_add_f32_e32 v1, v1, v240
	v_mul_f32_e32 v4, v153, v186
	s_waitcnt vmcnt(11)
	v_fma_f32 v5, v150, v213, -v5
	v_fmac_f32_e32 v242, v151, v213
	v_add_f32_e32 v2, v2, v3
	v_add_f32_e32 v1, v1, v241
	v_mul_f32_e32 v3, v155, v187
	s_waitcnt vmcnt(10)
	v_fma_f32 v4, v152, v214, -v4
	v_fmac_f32_e32 v243, v153, v214
	v_add_f32_e32 v2, v2, v5
	v_add_f32_e32 v1, v1, v242
	v_mul_f32_e32 v5, v157, v188
	s_waitcnt vmcnt(9)
	v_fma_f32 v3, v154, v215, -v3
	v_fmac_f32_e32 v244, v155, v215
	v_add_f32_e32 v2, v2, v4
	v_add_f32_e32 v1, v1, v243
	v_mul_f32_e32 v4, v159, v189
	s_waitcnt vmcnt(8)
	v_fma_f32 v5, v156, v216, -v5
	v_fmac_f32_e32 v245, v157, v216
	v_add_f32_e32 v2, v2, v3
	v_add_f32_e32 v1, v1, v244
	v_mul_f32_e32 v3, v161, v190
	s_waitcnt vmcnt(7)
	v_fma_f32 v4, v158, v217, -v4
	v_fmac_f32_e32 v246, v159, v217
	v_add_f32_e32 v2, v2, v5
	v_add_f32_e32 v1, v1, v245
	v_mul_f32_e32 v5, v163, v191
	s_waitcnt vmcnt(6)
	v_fma_f32 v3, v160, v218, -v3
	v_fmac_f32_e32 v247, v161, v218
	v_add_f32_e32 v2, v2, v4
	v_add_f32_e32 v1, v1, v246
	v_mul_f32_e32 v4, v165, v192
	s_waitcnt vmcnt(5)
	v_fma_f32 v5, v162, v219, -v5
	v_fmac_f32_e32 v248, v163, v219
	v_add_f32_e32 v2, v2, v3
	v_add_f32_e32 v1, v1, v247
	s_waitcnt lgkmcnt(0)
	v_mul_f32_e32 v3, v167, v193
	s_waitcnt vmcnt(4)
	v_fma_f32 v4, v164, v220, -v4
	v_mul_f32_e32 v250, v166, v193
	v_add_f32_e32 v2, v2, v5
	v_fmac_f32_e32 v249, v165, v220
	v_add_f32_e32 v1, v1, v248
	v_mul_f32_e32 v5, v169, v194
	s_waitcnt vmcnt(3)
	v_fma_f32 v3, v166, v221, -v3
	v_add_f32_e32 v2, v2, v4
	v_mul_f32_e32 v251, v168, v194
	v_fmac_f32_e32 v250, v167, v221
	v_add_f32_e32 v1, v1, v249
	s_waitcnt vmcnt(2)
	v_fma_f32 v4, v168, v222, -v5
	v_add_f32_e32 v2, v2, v3
	v_fmac_f32_e32 v251, v169, v222
	v_add_f32_e32 v1, v1, v250
	v_add_f32_e32 v2, v2, v4
	;; [unrolled: 1-line block ×3, first 2 shown]
	s_waitcnt vmcnt(1)
	v_sub_f32_e32 v2, v223, v2
	s_waitcnt vmcnt(0)
	v_sub_f32_e32 v1, v224, v1
	buffer_store_dword v2, off, s[0:3], 0 offset:200
	buffer_store_dword v1, off, s[0:3], 0 offset:204
	v_cmpx_lt_u32_e32 24, v0
	s_cbranch_execz .LBB117_289
; %bb.288:
	s_clause 0x1
	buffer_load_dword v1, off, s[0:3], 0 offset:192
	buffer_load_dword v2, off, s[0:3], 0 offset:196
	v_mov_b32_e32 v3, 0
	buffer_store_dword v3, off, s[0:3], 0 offset:192
	buffer_store_dword v3, off, s[0:3], 0 offset:196
	s_waitcnt vmcnt(0)
	ds_write_b64 v117, v[1:2]
.LBB117_289:
	s_or_b32 exec_lo, exec_lo, s4
	s_waitcnt lgkmcnt(0)
	s_waitcnt_vscnt null, 0x0
	s_barrier
	buffer_gl0_inv
	s_clause 0x1b
	buffer_load_dword v2, off, s[0:3], 0 offset:204
	buffer_load_dword v4, off, s[0:3], 0 offset:212
	;; [unrolled: 1-line block ×28, first 2 shown]
	v_mov_b32_e32 v1, 0
	ds_read2_b64 v[143:146], v1 offset0:79 offset1:80
	ds_read2_b64 v[147:150], v1 offset0:81 offset1:82
	s_clause 0xa
	buffer_load_dword v139, off, s[0:3], 0 offset:308
	buffer_load_dword v137, off, s[0:3], 0 offset:316
	;; [unrolled: 1-line block ×11, first 2 shown]
	ds_read2_b64 v[151:154], v1 offset0:83 offset1:84
	ds_read2_b64 v[155:158], v1 offset0:85 offset1:86
	s_mov_b32 s4, exec_lo
	s_waitcnt vmcnt(38) lgkmcnt(3)
	v_mul_f32_e32 v166, v143, v2
	v_mul_f32_e32 v2, v144, v2
	s_waitcnt vmcnt(37)
	v_mul_f32_e32 v167, v145, v4
	v_mul_f32_e32 v4, v146, v4
	s_waitcnt vmcnt(36) lgkmcnt(2)
	v_mul_f32_e32 v168, v147, v6
	v_mul_f32_e32 v6, v148, v6
	s_waitcnt vmcnt(33)
	v_fmac_f32_e32 v166, v144, v8
	v_fma_f32 v8, v143, v8, -v2
	s_waitcnt vmcnt(32)
	v_mul_f32_e32 v169, v149, v7
	v_mul_f32_e32 v2, v150, v7
	v_fmac_f32_e32 v167, v146, v5
	v_fma_f32 v7, v145, v5, -v4
	v_fmac_f32_e32 v168, v148, v3
	v_fma_f32 v6, v147, v3, -v6
	s_waitcnt vmcnt(28)
	v_fmac_f32_e32 v169, v150, v126
	v_fma_f32 v126, v149, v126, -v2
	ds_read2_b64 v[2:5], v1 offset0:87 offset1:88
	ds_read2_b64 v[143:146], v1 offset0:89 offset1:90
	s_waitcnt vmcnt(27) lgkmcnt(3)
	v_mul_f32_e32 v147, v151, v125
	v_mul_f32_e32 v125, v152, v125
	s_waitcnt vmcnt(26)
	v_mul_f32_e32 v148, v153, v124
	v_mul_f32_e32 v124, v154, v124
	s_waitcnt vmcnt(24) lgkmcnt(2)
	v_mul_f32_e32 v150, v157, v122
	v_fmac_f32_e32 v147, v152, v121
	v_fma_f32 v125, v151, v121, -v125
	v_mul_f32_e32 v121, v158, v122
	v_mul_f32_e32 v149, v155, v123
	;; [unrolled: 1-line block ×3, first 2 shown]
	v_fmac_f32_e32 v148, v154, v120
	v_fma_f32 v124, v153, v120, -v124
	s_waitcnt vmcnt(20)
	v_fmac_f32_e32 v150, v158, v138
	v_fma_f32 v138, v157, v138, -v121
	s_clause 0x3
	buffer_load_dword v151, off, s[0:3], 0 offset:356
	buffer_load_dword v152, off, s[0:3], 0 offset:364
	;; [unrolled: 1-line block ×4, first 2 shown]
	v_fmac_f32_e32 v149, v156, v118
	v_fma_f32 v118, v155, v118, -v123
	s_clause 0x3
	buffer_load_dword v155, off, s[0:3], 0 offset:388
	buffer_load_dword v156, off, s[0:3], 0 offset:396
	;; [unrolled: 1-line block ×4, first 2 shown]
	s_waitcnt vmcnt(27) lgkmcnt(1)
	v_mul_f32_e32 v170, v2, v135
	v_mul_f32_e32 v120, v3, v135
	s_waitcnt vmcnt(26)
	v_mul_f32_e32 v135, v4, v133
	v_mul_f32_e32 v121, v5, v133
	s_waitcnt vmcnt(25) lgkmcnt(0)
	v_mul_f32_e32 v133, v143, v132
	v_fmac_f32_e32 v170, v3, v131
	v_fma_f32 v131, v2, v131, -v120
	v_mul_f32_e32 v120, v144, v132
	v_fmac_f32_e32 v135, v5, v129
	v_fma_f32 v129, v4, v129, -v121
	ds_read2_b64 v[2:5], v1 offset0:91 offset1:92
	s_waitcnt vmcnt(24)
	v_mul_f32_e32 v132, v145, v130
	v_mul_f32_e32 v121, v146, v130
	v_fma_f32 v143, v143, v127, -v120
	v_add_f32_e32 v120, 0, v166
	buffer_load_dword v171, off, s[0:3], 0 offset:420
	v_fmac_f32_e32 v133, v144, v127
	s_waitcnt vmcnt(21)
	v_fmac_f32_e32 v132, v146, v142
	v_fma_f32 v142, v145, v142, -v121
	s_clause 0x4
	buffer_load_dword v144, off, s[0:3], 0 offset:376
	buffer_load_dword v145, off, s[0:3], 0 offset:368
	;; [unrolled: 1-line block ×5, first 2 shown]
	v_add_f32_e32 v8, 0, v8
	v_add_f32_e32 v120, v120, v167
	;; [unrolled: 1-line block ×4, first 2 shown]
	ds_read2_b64 v[120:123], v1 offset0:93 offset1:94
	v_add_f32_e32 v6, v7, v6
	s_waitcnt vmcnt(25) lgkmcnt(1)
	v_mul_f32_e32 v7, v2, v141
	v_add_f32_e32 v8, v8, v169
	v_mul_f32_e32 v127, v3, v141
	v_fmac_f32_e32 v7, v3, v140
	v_add_f32_e32 v3, v8, v147
	s_clause 0x3
	buffer_load_dword v8, off, s[0:3], 0 offset:408
	buffer_load_dword v141, off, s[0:3], 0 offset:400
	;; [unrolled: 1-line block ×4, first 2 shown]
	v_fma_f32 v140, v2, v140, -v127
	v_add_f32_e32 v2, v6, v126
	v_add_f32_e32 v3, v3, v148
	s_clause 0x2
	buffer_load_dword v148, off, s[0:3], 0 offset:424
	buffer_load_dword v168, off, s[0:3], 0 offset:416
	;; [unrolled: 1-line block ×3, first 2 shown]
	v_add_f32_e32 v2, v2, v125
	v_add_f32_e32 v6, v3, v149
	s_waitcnt vmcnt(31)
	v_mul_f32_e32 v149, v4, v139
	v_mul_f32_e32 v3, v5, v139
	v_add_f32_e32 v2, v2, v124
	s_waitcnt vmcnt(30) lgkmcnt(0)
	v_mul_f32_e32 v130, v121, v137
	v_add_f32_e32 v6, v6, v150
	v_fmac_f32_e32 v149, v5, v136
	v_fma_f32 v136, v4, v136, -v3
	v_add_f32_e32 v118, v2, v118
	ds_read2_b64 v[2:5], v1 offset0:95 offset1:96
	ds_read2_b64 v[124:127], v1 offset0:97 offset1:98
	v_add_f32_e32 v6, v6, v170
	v_fma_f32 v139, v120, v128, -v130
	v_add_f32_e32 v118, v118, v138
	v_mul_f32_e32 v138, v120, v137
	s_waitcnt vmcnt(29)
	v_mul_f32_e32 v137, v122, v134
	v_add_f32_e32 v6, v6, v135
	v_add_f32_e32 v118, v118, v131
	v_mul_f32_e32 v131, v123, v134
	v_fmac_f32_e32 v138, v121, v128
	v_add_f32_e32 v6, v6, v133
	s_waitcnt vmcnt(22)
	v_fmac_f32_e32 v137, v123, v164
	v_add_f32_e32 v118, v118, v129
	v_fma_f32 v150, v122, v164, -v131
	ds_read2_b64 v[120:123], v1 offset0:99 offset1:100
	ds_read2_b64 v[128:131], v1 offset0:101 offset1:102
	v_add_f32_e32 v118, v118, v143
	s_waitcnt lgkmcnt(3)
	v_mul_f32_e32 v143, v2, v159
	v_mul_f32_e32 v134, v3, v159
	;; [unrolled: 1-line block ×3, first 2 shown]
	v_add_f32_e32 v118, v118, v142
	v_fmac_f32_e32 v143, v3, v119
	v_fma_f32 v119, v2, v119, -v134
	v_add_f32_e32 v2, v6, v132
	v_mul_f32_e32 v142, v5, v161
	v_add_f32_e32 v6, v118, v140
	v_fmac_f32_e32 v159, v5, v160
	ds_read2_b64 v[132:135], v1 offset0:103 offset1:104
	v_add_f32_e32 v140, v2, v7
	v_fma_f32 v118, v4, v160, -v142
	v_add_f32_e32 v136, v6, v136
	s_waitcnt lgkmcnt(3)
	v_mul_f32_e32 v142, v124, v162
	ds_read2_b64 v[2:5], v1 offset0:105 offset1:106
	v_add_f32_e32 v140, v140, v149
	ds_read_b64 v[6:7], v1 offset:856
	v_add_f32_e32 v136, v136, v139
	v_mul_f32_e32 v139, v125, v162
	v_fmac_f32_e32 v142, v125, v163
	v_add_f32_e32 v138, v140, v138
	v_add_f32_e32 v136, v136, v150
	v_fma_f32 v124, v124, v163, -v139
	v_add_f32_e32 v137, v138, v137
	v_add_f32_e32 v119, v136, v119
	;; [unrolled: 1-line block ×7, first 2 shown]
	s_waitcnt vmcnt(20)
	v_mul_f32_e32 v149, v126, v151
	v_mul_f32_e32 v151, v127, v151
	s_waitcnt vmcnt(19) lgkmcnt(4)
	v_mul_f32_e32 v143, v121, v152
	v_mul_f32_e32 v140, v120, v152
	s_waitcnt vmcnt(18)
	v_mul_f32_e32 v150, v122, v153
	s_waitcnt vmcnt(17) lgkmcnt(3)
	v_mul_f32_e32 v160, v128, v154
	s_waitcnt vmcnt(16)
	v_mul_f32_e32 v138, v130, v155
	s_waitcnt vmcnt(15) lgkmcnt(2)
	;; [unrolled: 4-line block ×3, first 2 shown]
	v_mul_f32_e32 v139, v2, v158
	s_waitcnt vmcnt(11)
	v_fmac_f32_e32 v160, v129, v144
	s_waitcnt vmcnt(10)
	v_fmac_f32_e32 v150, v123, v145
	s_waitcnt vmcnt(9)
	v_fma_f32 v120, v120, v146, -v143
	s_waitcnt vmcnt(8)
	v_fma_f32 v126, v126, v166, -v151
	v_fmac_f32_e32 v149, v127, v166
	v_mul_f32_e32 v127, v123, v153
	v_fmac_f32_e32 v140, v121, v146
	v_mul_f32_e32 v119, v4, v171
	v_add_f32_e32 v118, v118, v126
	v_add_f32_e32 v121, v124, v149
	v_mul_f32_e32 v124, v129, v154
	v_fma_f32 v122, v122, v145, -v127
	s_waitcnt vmcnt(7) lgkmcnt(0)
	v_mul_f32_e32 v152, v6, v172
	v_add_f32_e32 v118, v118, v120
	v_add_f32_e32 v120, v121, v140
	v_mul_f32_e32 v121, v131, v155
	v_fma_f32 v123, v128, v144, -v124
	v_add_f32_e32 v118, v118, v122
	v_add_f32_e32 v120, v120, v150
	v_mul_f32_e32 v122, v133, v156
	s_waitcnt vmcnt(5)
	v_fmac_f32_e32 v125, v135, v141
	s_waitcnt vmcnt(4)
	v_fmac_f32_e32 v136, v133, v147
	s_waitcnt vmcnt(3)
	v_fma_f32 v121, v130, v167, -v121
	v_add_f32_e32 v118, v118, v123
	v_fmac_f32_e32 v138, v131, v167
	v_add_f32_e32 v120, v120, v160
	v_mul_f32_e32 v123, v135, v157
	v_fma_f32 v122, v132, v147, -v122
	v_add_f32_e32 v118, v118, v121
	v_mul_f32_e32 v121, v3, v158
	v_add_f32_e32 v120, v120, v138
	v_fma_f32 v123, v134, v141, -v123
	v_fmac_f32_e32 v139, v3, v8
	v_add_f32_e32 v118, v118, v122
	v_mul_f32_e32 v122, v5, v171
	v_add_f32_e32 v120, v120, v136
	v_fma_f32 v2, v2, v8, -v121
	s_waitcnt vmcnt(1)
	v_fmac_f32_e32 v119, v5, v168
	v_add_f32_e32 v3, v118, v123
	v_mul_f32_e32 v118, v7, v172
	v_add_f32_e32 v8, v120, v125
	v_fma_f32 v4, v4, v168, -v122
	v_fmac_f32_e32 v152, v7, v148
	v_add_f32_e32 v2, v3, v2
	v_fma_f32 v5, v6, v148, -v118
	v_add_f32_e32 v3, v8, v139
	v_add_f32_e32 v2, v2, v4
	;; [unrolled: 1-line block ×5, first 2 shown]
	s_waitcnt vmcnt(0)
	v_sub_f32_e32 v2, v169, v2
	v_sub_f32_e32 v3, v165, v3
	buffer_store_dword v2, off, s[0:3], 0 offset:192
	buffer_store_dword v3, off, s[0:3], 0 offset:196
	v_cmpx_lt_u32_e32 23, v0
	s_cbranch_execz .LBB117_291
; %bb.290:
	s_clause 0x1
	buffer_load_dword v2, off, s[0:3], 0 offset:184
	buffer_load_dword v3, off, s[0:3], 0 offset:188
	buffer_store_dword v1, off, s[0:3], 0 offset:184
	buffer_store_dword v1, off, s[0:3], 0 offset:188
	s_waitcnt vmcnt(0)
	ds_write_b64 v117, v[2:3]
.LBB117_291:
	s_or_b32 exec_lo, exec_lo, s4
	s_waitcnt lgkmcnt(0)
	s_waitcnt_vscnt null, 0x0
	s_barrier
	buffer_gl0_inv
	s_clause 0x1b
	buffer_load_dword v3, off, s[0:3], 0 offset:196
	buffer_load_dword v4, off, s[0:3], 0 offset:204
	;; [unrolled: 1-line block ×28, first 2 shown]
	ds_read_b128 v[141:144], v1 offset:624
	ds_read_b128 v[145:148], v1 offset:640
	s_clause 0x1
	buffer_load_dword v137, off, s[0:3], 0 offset:300
	buffer_load_dword v134, off, s[0:3], 0 offset:308
	ds_read_b128 v[149:152], v1 offset:656
	ds_read_b128 v[153:156], v1 offset:672
	;; [unrolled: 1-line block ×3, first 2 shown]
	buffer_load_dword v161, off, s[0:3], 0 offset:188
	s_mov_b32 s4, exec_lo
	s_waitcnt vmcnt(30) lgkmcnt(4)
	v_mul_f32_e32 v162, v141, v3
	s_waitcnt vmcnt(29)
	v_mul_f32_e32 v163, v143, v4
	v_mul_f32_e32 v3, v142, v3
	;; [unrolled: 1-line block ×3, first 2 shown]
	s_waitcnt vmcnt(28) lgkmcnt(3)
	v_mul_f32_e32 v164, v145, v5
	v_mul_f32_e32 v5, v146, v5
	s_waitcnt vmcnt(24)
	v_fmac_f32_e32 v162, v142, v8
	v_fmac_f32_e32 v163, v144, v7
	v_fma_f32 v8, v141, v8, -v3
	v_fma_f32 v7, v143, v7, -v4
	s_clause 0x7
	buffer_load_dword v141, off, s[0:3], 0 offset:316
	buffer_load_dword v142, off, s[0:3], 0 offset:320
	;; [unrolled: 1-line block ×8, first 2 shown]
	v_mul_f32_e32 v165, v147, v6
	v_mul_f32_e32 v6, v148, v6
	v_fmac_f32_e32 v164, v146, v2
	v_fma_f32 v145, v145, v2, -v5
	ds_read_b128 v[2:5], v1 offset:704
	s_waitcnt vmcnt(28)
	v_fmac_f32_e32 v165, v148, v125
	v_fma_f32 v6, v147, v125, -v6
	s_waitcnt vmcnt(27) lgkmcnt(3)
	v_mul_f32_e32 v125, v149, v123
	v_mul_f32_e32 v123, v150, v123
	s_waitcnt vmcnt(26)
	v_mul_f32_e32 v146, v151, v124
	v_mul_f32_e32 v124, v152, v124
	s_waitcnt vmcnt(25) lgkmcnt(2)
	v_mul_f32_e32 v147, v153, v122
	v_mul_f32_e32 v122, v154, v122
	v_fmac_f32_e32 v125, v150, v120
	v_fma_f32 v120, v149, v120, -v123
	s_waitcnt vmcnt(24)
	v_mul_f32_e32 v123, v155, v121
	v_mul_f32_e32 v121, v156, v121
	v_fmac_f32_e32 v146, v152, v119
	v_fma_f32 v124, v151, v119, -v124
	s_waitcnt vmcnt(23) lgkmcnt(1)
	v_mul_f32_e32 v148, v157, v126
	s_waitcnt vmcnt(22)
	v_mul_f32_e32 v149, v159, v129
	v_mul_f32_e32 v119, v158, v126
	;; [unrolled: 1-line block ×3, first 2 shown]
	v_fmac_f32_e32 v147, v154, v118
	v_fma_f32 v122, v153, v118, -v122
	s_waitcnt vmcnt(18)
	v_fmac_f32_e32 v123, v156, v136
	v_fma_f32 v129, v155, v136, -v121
	s_clause 0x7
	buffer_load_dword v150, off, s[0:3], 0 offset:348
	buffer_load_dword v151, off, s[0:3], 0 offset:352
	;; [unrolled: 1-line block ×8, first 2 shown]
	v_fmac_f32_e32 v149, v160, v132
	v_fma_f32 v126, v159, v132, -v126
	s_waitcnt vmcnt(25) lgkmcnt(0)
	v_mul_f32_e32 v132, v2, v131
	v_mul_f32_e32 v118, v3, v131
	v_fmac_f32_e32 v148, v158, v133
	v_fma_f32 v133, v157, v133, -v119
	v_add_f32_e32 v119, 0, v162
	v_fmac_f32_e32 v132, v3, v127
	v_fma_f32 v127, v2, v127, -v118
	s_waitcnt vmcnt(24)
	v_mul_f32_e32 v131, v4, v130
	v_mul_f32_e32 v2, v5, v130
	v_add_f32_e32 v8, 0, v8
	s_clause 0x5
	buffer_load_dword v157, off, s[0:3], 0 offset:380
	buffer_load_dword v158, off, s[0:3], 0 offset:388
	;; [unrolled: 1-line block ×6, first 2 shown]
	v_add_f32_e32 v118, v119, v163
	s_waitcnt vmcnt(26)
	v_fmac_f32_e32 v131, v5, v140
	v_fma_f32 v130, v4, v140, -v2
	ds_read_b128 v[2:5], v1 offset:720
	v_add_f32_e32 v7, v8, v7
	buffer_load_dword v162, off, s[0:3], 0 offset:428
	v_add_f32_e32 v8, v118, v164
	v_add_f32_e32 v7, v7, v145
	s_clause 0x3
	buffer_load_dword v140, off, s[0:3], 0 offset:400
	buffer_load_dword v145, off, s[0:3], 0 offset:392
	buffer_load_dword v163, off, s[0:3], 0 offset:384
	buffer_load_dword v164, off, s[0:3], 0 offset:376
	v_add_f32_e32 v8, v8, v165
	v_add_f32_e32 v6, v7, v6
	;; [unrolled: 1-line block ×4, first 2 shown]
	ds_read_b128 v[118:121], v1 offset:736
	v_add_f32_e32 v7, v7, v146
	s_waitcnt vmcnt(30) lgkmcnt(1)
	v_mul_f32_e32 v8, v2, v139
	v_mul_f32_e32 v125, v3, v139
	s_waitcnt vmcnt(29)
	v_mul_f32_e32 v146, v4, v137
	v_fmac_f32_e32 v8, v3, v138
	v_fma_f32 v136, v2, v138, -v125
	v_add_f32_e32 v2, v6, v124
	v_add_f32_e32 v3, v7, v147
	s_clause 0x3
	buffer_load_dword v6, off, s[0:3], 0 offset:424
	buffer_load_dword v7, off, s[0:3], 0 offset:416
	;; [unrolled: 1-line block ×4, first 2 shown]
	v_fmac_f32_e32 v146, v5, v135
	v_add_f32_e32 v2, v2, v122
	v_add_f32_e32 v3, v3, v123
	v_mul_f32_e32 v122, v5, v137
	v_add_f32_e32 v123, v2, v129
	v_add_f32_e32 v129, v3, v148
	v_fma_f32 v135, v4, v135, -v122
	ds_read_b128 v[2:5], v1 offset:752
	s_waitcnt vmcnt(32) lgkmcnt(1)
	v_mul_f32_e32 v137, v118, v134
	v_add_f32_e32 v133, v123, v133
	ds_read_b128 v[122:125], v1 offset:768
	v_add_f32_e32 v129, v129, v149
	v_mul_f32_e32 v134, v119, v134
	v_fmac_f32_e32 v137, v119, v128
	v_add_f32_e32 v126, v133, v126
	v_add_f32_e32 v132, v129, v132
	;; [unrolled: 1-line block ×6, first 2 shown]
	s_waitcnt vmcnt(30)
	v_mul_f32_e32 v133, v121, v141
	v_mul_f32_e32 v147, v120, v141
	v_fma_f32 v141, v118, v128, -v134
	s_waitcnt vmcnt(28) lgkmcnt(1)
	v_mul_f32_e32 v149, v2, v143
	s_waitcnt vmcnt(27)
	v_mul_f32_e32 v165, v4, v144
	v_mul_f32_e32 v132, v3, v143
	s_waitcnt vmcnt(26) lgkmcnt(0)
	v_mul_f32_e32 v134, v123, v166
	s_waitcnt vmcnt(23)
	v_fma_f32 v148, v120, v169, -v133
	v_add_f32_e32 v133, v126, v127
	v_fmac_f32_e32 v147, v121, v169
	ds_read_b128 v[118:121], v1 offset:784
	ds_read_b128 v[126:129], v1 offset:800
	v_mul_f32_e32 v143, v122, v166
	v_fmac_f32_e32 v149, v3, v142
	v_add_f32_e32 v130, v133, v130
	v_mul_f32_e32 v133, v5, v144
	v_fmac_f32_e32 v165, v5, v168
	v_fma_f32 v142, v2, v142, -v132
	v_fma_f32 v122, v122, v167, -v134
	v_add_f32_e32 v136, v130, v136
	v_fma_f32 v144, v4, v168, -v133
	ds_read_b128 v[2:5], v1 offset:816
	ds_read_b128 v[130:133], v1 offset:832
	v_add_f32_e32 v8, v8, v147
	v_fmac_f32_e32 v143, v123, v167
	v_add_f32_e32 v146, v136, v135
	ds_read_b128 v[134:137], v1 offset:848
	v_add_f32_e32 v8, v8, v149
	v_add_f32_e32 v1, v146, v141
	s_waitcnt vmcnt(22)
	v_mul_f32_e32 v141, v125, v150
	v_mul_f32_e32 v123, v124, v150
	v_add_f32_e32 v8, v8, v165
	s_waitcnt vmcnt(20) lgkmcnt(4)
	v_mul_f32_e32 v146, v118, v152
	v_add_f32_e32 v1, v1, v148
	v_mul_f32_e32 v148, v119, v152
	s_waitcnt vmcnt(15)
	v_fma_f32 v124, v124, v170, -v141
	v_fmac_f32_e32 v123, v125, v170
	v_add_f32_e32 v8, v8, v143
	v_add_f32_e32 v1, v1, v142
	v_fma_f32 v118, v118, v151, -v148
	v_mul_f32_e32 v147, v120, v153
	v_fmac_f32_e32 v146, v119, v151
	v_add_f32_e32 v8, v8, v123
	v_add_f32_e32 v1, v1, v144
	v_mul_f32_e32 v144, v121, v153
	s_waitcnt lgkmcnt(3)
	v_mul_f32_e32 v119, v127, v154
	v_mul_f32_e32 v125, v126, v154
	v_fmac_f32_e32 v147, v121, v156
	v_add_f32_e32 v1, v1, v122
	v_fma_f32 v120, v120, v156, -v144
	v_add_f32_e32 v8, v8, v146
	v_fma_f32 v119, v126, v155, -v119
	s_waitcnt vmcnt(14)
	v_mul_f32_e32 v141, v128, v157
	v_add_f32_e32 v1, v1, v124
	v_fmac_f32_e32 v125, v127, v155
	v_add_f32_e32 v8, v8, v147
	s_waitcnt vmcnt(13) lgkmcnt(2)
	v_mul_f32_e32 v142, v2, v158
	s_waitcnt vmcnt(12)
	v_mul_f32_e32 v149, v4, v159
	v_add_f32_e32 v1, v1, v118
	v_mul_f32_e32 v118, v129, v157
	s_waitcnt vmcnt(4)
	v_fmac_f32_e32 v141, v129, v164
	v_add_f32_e32 v8, v8, v125
	v_fmac_f32_e32 v142, v3, v163
	v_add_f32_e32 v1, v1, v120
	v_mul_f32_e32 v120, v3, v158
	v_fma_f32 v118, v128, v164, -v118
	v_add_f32_e32 v3, v8, v141
	s_waitcnt lgkmcnt(1)
	v_mul_f32_e32 v8, v131, v160
	v_add_f32_e32 v1, v1, v119
	v_mul_f32_e32 v119, v5, v159
	v_fma_f32 v2, v2, v163, -v120
	v_mul_f32_e32 v150, v130, v160
	v_fmac_f32_e32 v149, v5, v145
	v_add_f32_e32 v1, v1, v118
	v_fma_f32 v4, v4, v145, -v119
	v_fma_f32 v5, v130, v140, -v8
	v_mul_f32_e32 v152, v132, v171
	v_fmac_f32_e32 v150, v131, v140
	v_add_f32_e32 v1, v1, v2
	v_add_f32_e32 v2, v3, v142
	v_mul_f32_e32 v3, v133, v171
	s_waitcnt lgkmcnt(0)
	v_mul_f32_e32 v153, v134, v172
	s_waitcnt vmcnt(1)
	v_fmac_f32_e32 v152, v133, v138
	v_add_f32_e32 v1, v1, v4
	v_add_f32_e32 v2, v2, v149
	v_mul_f32_e32 v4, v135, v172
	v_fma_f32 v3, v132, v138, -v3
	v_mul_f32_e32 v122, v136, v162
	v_add_f32_e32 v1, v1, v5
	v_add_f32_e32 v2, v2, v150
	v_mul_f32_e32 v5, v137, v162
	v_fma_f32 v4, v134, v7, -v4
	v_fmac_f32_e32 v153, v135, v7
	v_add_f32_e32 v1, v1, v3
	v_add_f32_e32 v2, v2, v152
	v_fma_f32 v3, v136, v6, -v5
	v_fmac_f32_e32 v122, v137, v6
	v_add_f32_e32 v1, v1, v4
	v_add_f32_e32 v2, v2, v153
	;; [unrolled: 1-line block ×4, first 2 shown]
	s_waitcnt vmcnt(0)
	v_sub_f32_e32 v1, v139, v1
	v_sub_f32_e32 v2, v161, v2
	buffer_store_dword v1, off, s[0:3], 0 offset:184
	buffer_store_dword v2, off, s[0:3], 0 offset:188
	v_cmpx_lt_u32_e32 22, v0
	s_cbranch_execz .LBB117_293
; %bb.292:
	s_clause 0x1
	buffer_load_dword v1, off, s[0:3], 0 offset:176
	buffer_load_dword v2, off, s[0:3], 0 offset:180
	v_mov_b32_e32 v3, 0
	buffer_store_dword v3, off, s[0:3], 0 offset:176
	buffer_store_dword v3, off, s[0:3], 0 offset:180
	s_waitcnt vmcnt(0)
	ds_write_b64 v117, v[1:2]
.LBB117_293:
	s_or_b32 exec_lo, exec_lo, s4
	s_waitcnt lgkmcnt(0)
	s_waitcnt_vscnt null, 0x0
	s_barrier
	buffer_gl0_inv
	s_clause 0x23
	buffer_load_dword v3, off, s[0:3], 0 offset:188
	buffer_load_dword v4, off, s[0:3], 0 offset:196
	;; [unrolled: 1-line block ×36, first 2 shown]
	v_mov_b32_e32 v1, 0
	ds_read2_b64 v[142:145], v1 offset0:77 offset1:78
	ds_read2_b64 v[146:149], v1 offset0:79 offset1:80
	;; [unrolled: 1-line block ×3, first 2 shown]
	s_clause 0x3
	buffer_load_dword v163, off, s[0:3], 0 offset:316
	buffer_load_dword v164, off, s[0:3], 0 offset:324
	;; [unrolled: 1-line block ×4, first 2 shown]
	ds_read2_b64 v[154:157], v1 offset0:83 offset1:84
	s_mov_b32 s4, exec_lo
	s_waitcnt vmcnt(39) lgkmcnt(3)
	v_mul_f32_e32 v167, v142, v3
	v_mul_f32_e32 v3, v143, v3
	s_waitcnt vmcnt(38)
	v_mul_f32_e32 v168, v144, v4
	v_mul_f32_e32 v4, v145, v4
	s_waitcnt vmcnt(35)
	v_fmac_f32_e32 v167, v143, v118
	v_fma_f32 v169, v142, v118, -v3
	s_waitcnt vmcnt(34) lgkmcnt(2)
	v_mul_f32_e32 v170, v146, v8
	v_mul_f32_e32 v3, v147, v8
	v_fmac_f32_e32 v168, v145, v5
	v_fma_f32 v8, v144, v5, -v4
	ds_read2_b64 v[142:145], v1 offset0:85 offset1:86
	s_waitcnt vmcnt(33)
	v_mul_f32_e32 v4, v149, v6
	v_mul_f32_e32 v171, v148, v6
	v_fmac_f32_e32 v170, v147, v2
	v_fma_f32 v6, v146, v2, -v3
	s_waitcnt vmcnt(32) lgkmcnt(2)
	v_mul_f32_e32 v146, v150, v7
	s_waitcnt vmcnt(28)
	v_fma_f32 v147, v148, v125, -v4
	ds_read2_b64 v[2:5], v1 offset0:87 offset1:88
	v_mul_f32_e32 v7, v151, v7
	s_waitcnt vmcnt(27)
	v_mul_f32_e32 v118, v153, v124
	v_mul_f32_e32 v148, v152, v124
	v_fmac_f32_e32 v171, v149, v125
	s_waitcnt vmcnt(26) lgkmcnt(2)
	v_mul_f32_e32 v149, v154, v121
	v_fma_f32 v7, v150, v123, -v7
	v_fma_f32 v150, v152, v120, -v118
	v_mul_f32_e32 v118, v155, v121
	v_fmac_f32_e32 v148, v153, v120
	v_fmac_f32_e32 v146, v151, v123
	s_waitcnt vmcnt(25)
	v_mul_f32_e32 v151, v156, v122
	v_mul_f32_e32 v120, v157, v122
	v_fma_f32 v153, v154, v119, -v118
	s_waitcnt vmcnt(19) lgkmcnt(1)
	v_mul_f32_e32 v154, v144, v132
	v_mul_f32_e32 v132, v145, v132
	;; [unrolled: 1-line block ×4, first 2 shown]
	v_fmac_f32_e32 v149, v155, v119
	v_fmac_f32_e32 v154, v145, v128
	v_fma_f32 v128, v144, v128, -v132
	s_waitcnt vmcnt(17) lgkmcnt(0)
	v_mul_f32_e32 v132, v4, v129
	v_mul_f32_e32 v129, v5, v129
	v_fmac_f32_e32 v151, v157, v133
	v_fma_f32 v133, v156, v133, -v120
	ds_read2_b64 v[118:121], v1 offset0:89 offset1:90
	ds_read2_b64 v[122:125], v1 offset0:91 offset1:92
	v_fmac_f32_e32 v152, v143, v130
	v_fma_f32 v126, v142, v130, -v126
	s_waitcnt vmcnt(13)
	v_fmac_f32_e32 v132, v5, v141
	v_fma_f32 v129, v4, v141, -v129
	s_clause 0x6
	buffer_load_dword v141, off, s[0:3], 0 offset:336
	buffer_load_dword v142, off, s[0:3], 0 offset:348
	;; [unrolled: 1-line block ×7, first 2 shown]
	v_mul_f32_e32 v130, v2, v131
	v_mul_f32_e32 v131, v3, v131
	v_fmac_f32_e32 v130, v3, v127
	v_fma_f32 v127, v2, v127, -v131
	s_waitcnt vmcnt(19) lgkmcnt(1)
	v_mul_f32_e32 v131, v118, v140
	v_mul_f32_e32 v2, v119, v140
	s_waitcnt vmcnt(16) lgkmcnt(0)
	v_mul_f32_e32 v174, v124, v138
	v_mul_f32_e32 v140, v120, v139
	;; [unrolled: 1-line block ×3, first 2 shown]
	v_fmac_f32_e32 v131, v119, v136
	v_fma_f32 v136, v118, v136, -v2
	v_mul_f32_e32 v2, v125, v138
	s_waitcnt vmcnt(11)
	v_fmac_f32_e32 v174, v125, v162
	v_mul_f32_e32 v139, v122, v137
	v_mul_f32_e32 v4, v123, v137
	s_clause 0x3
	buffer_load_dword v137, off, s[0:3], 0 offset:372
	buffer_load_dword v157, off, s[0:3], 0 offset:380
	;; [unrolled: 1-line block ×4, first 2 shown]
	v_fma_f32 v162, v124, v162, -v2
	v_add_f32_e32 v2, 0, v167
	s_clause 0x3
	buffer_load_dword v138, off, s[0:3], 0 offset:404
	buffer_load_dword v175, off, s[0:3], 0 offset:412
	;; [unrolled: 1-line block ×4, first 2 shown]
	v_fmac_f32_e32 v140, v121, v135
	v_fma_f32 v135, v120, v135, -v3
	v_add_f32_e32 v2, v2, v168
	s_clause 0x3
	buffer_load_dword v167, off, s[0:3], 0 offset:392
	buffer_load_dword v168, off, s[0:3], 0 offset:384
	buffer_load_dword v178, off, s[0:3], 0 offset:376
	buffer_load_dword v179, off, s[0:3], 0 offset:368
	v_add_f32_e32 v3, 0, v169
	v_fmac_f32_e32 v139, v123, v134
	v_fma_f32 v134, v122, v134, -v4
	v_add_f32_e32 v2, v2, v170
	v_add_f32_e32 v3, v3, v8
	;; [unrolled: 1-line block ×3, first 2 shown]
	s_clause 0x3
	buffer_load_dword v8, off, s[0:3], 0 offset:424
	buffer_load_dword v169, off, s[0:3], 0 offset:416
	;; [unrolled: 1-line block ×4, first 2 shown]
	v_add_f32_e32 v3, v3, v6
	ds_read2_b64 v[118:121], v1 offset0:95 offset1:96
	v_add_f32_e32 v2, v2, v146
	v_add_f32_e32 v3, v3, v147
	buffer_load_dword v147, off, s[0:3], 0 offset:176
	v_add_f32_e32 v6, v2, v148
	v_add_f32_e32 v3, v3, v7
	;; [unrolled: 1-line block ×4, first 2 shown]
	ds_read2_b64 v[2:5], v1 offset0:93 offset1:94
	v_add_f32_e32 v6, v6, v151
	v_add_f32_e32 v7, v7, v153
	s_waitcnt vmcnt(25) lgkmcnt(1)
	v_mul_f32_e32 v151, v120, v165
	v_add_f32_e32 v6, v6, v152
	v_add_f32_e32 v7, v7, v133
	;; [unrolled: 1-line block ×5, first 2 shown]
	v_mul_f32_e32 v130, v119, v159
	v_add_f32_e32 v7, v7, v128
	s_waitcnt lgkmcnt(0)
	v_mul_f32_e32 v146, v2, v163
	v_mul_f32_e32 v122, v3, v163
	v_add_f32_e32 v6, v6, v132
	v_mul_f32_e32 v148, v4, v164
	v_mul_f32_e32 v123, v5, v164
	v_fmac_f32_e32 v146, v3, v161
	v_add_f32_e32 v3, v7, v127
	v_add_f32_e32 v6, v6, v131
	v_fma_f32 v149, v2, v161, -v122
	v_fmac_f32_e32 v148, v5, v160
	v_fma_f32 v150, v4, v160, -v123
	v_add_f32_e32 v7, v3, v129
	v_add_f32_e32 v6, v6, v140
	ds_read2_b64 v[2:5], v1 offset0:97 offset1:98
	ds_read2_b64 v[122:125], v1 offset0:99 offset1:100
	v_fma_f32 v152, v118, v158, -v130
	ds_read2_b64 v[126:129], v1 offset0:101 offset1:102
	ds_read2_b64 v[130:133], v1 offset0:103 offset1:104
	v_add_f32_e32 v7, v7, v136
	v_mul_f32_e32 v136, v118, v159
	v_add_f32_e32 v7, v7, v135
	v_mul_f32_e32 v135, v121, v165
	v_fmac_f32_e32 v136, v119, v158
	v_add_f32_e32 v7, v7, v134
	s_waitcnt vmcnt(23)
	v_fma_f32 v134, v120, v141, -v135
	v_add_f32_e32 v135, v6, v139
	v_add_f32_e32 v139, v7, v162
	s_waitcnt vmcnt(22) lgkmcnt(3)
	v_mul_f32_e32 v140, v2, v142
	v_mul_f32_e32 v142, v3, v142
	v_fmac_f32_e32 v151, v121, v141
	v_add_f32_e32 v135, v135, v174
	v_add_f32_e32 v139, v139, v149
	s_waitcnt vmcnt(21)
	v_mul_f32_e32 v141, v4, v143
	v_mul_f32_e32 v143, v5, v143
	s_waitcnt vmcnt(17)
	v_fma_f32 v2, v2, v156, -v142
	v_add_f32_e32 v135, v135, v146
	v_add_f32_e32 v139, v139, v150
	v_fmac_f32_e32 v140, v3, v156
	s_waitcnt lgkmcnt(2)
	v_mul_f32_e32 v142, v123, v144
	v_fma_f32 v4, v4, v155, -v143
	v_add_f32_e32 v135, v135, v148
	v_add_f32_e32 v139, v139, v152
	v_mul_f32_e32 v146, v122, v144
	v_fmac_f32_e32 v141, v5, v155
	v_fma_f32 v122, v122, v145, -v142
	v_add_f32_e32 v135, v135, v136
	v_add_f32_e32 v134, v139, v134
	v_fmac_f32_e32 v146, v123, v145
	ds_read2_b64 v[118:121], v1 offset0:105 offset1:106
	ds_read_b64 v[6:7], v1 offset:856
	v_add_f32_e32 v135, v135, v151
	v_add_f32_e32 v2, v134, v2
	s_waitcnt vmcnt(16)
	v_mul_f32_e32 v134, v125, v137
	v_mul_f32_e32 v149, v124, v137
	s_waitcnt vmcnt(15) lgkmcnt(3)
	v_mul_f32_e32 v150, v126, v157
	v_add_f32_e32 v5, v135, v140
	v_add_f32_e32 v2, v2, v4
	s_waitcnt vmcnt(14)
	v_mul_f32_e32 v148, v128, v172
	s_waitcnt vmcnt(13) lgkmcnt(2)
	v_mul_f32_e32 v152, v130, v173
	s_waitcnt vmcnt(12)
	v_mul_f32_e32 v3, v132, v138
	v_add_f32_e32 v4, v5, v141
	v_mul_f32_e32 v5, v127, v157
	v_add_f32_e32 v2, v2, v122
	s_waitcnt vmcnt(5)
	v_fma_f32 v123, v124, v179, -v134
	v_fmac_f32_e32 v149, v125, v179
	v_add_f32_e32 v4, v4, v146
	v_mul_f32_e32 v122, v129, v172
	v_fma_f32 v5, v126, v178, -v5
	v_add_f32_e32 v2, v2, v123
	v_fmac_f32_e32 v150, v127, v178
	v_add_f32_e32 v4, v4, v149
	v_mul_f32_e32 v123, v131, v173
	v_fma_f32 v122, v128, v168, -v122
	v_add_f32_e32 v2, v2, v5
	;; [unrolled: 5-line block ×3, first 2 shown]
	v_fmac_f32_e32 v152, v131, v167
	v_add_f32_e32 v4, v4, v148
	s_waitcnt lgkmcnt(1)
	v_mul_f32_e32 v122, v119, v175
	s_waitcnt vmcnt(1)
	v_fma_f32 v5, v132, v171, -v5
	v_add_f32_e32 v2, v2, v123
	v_mul_f32_e32 v136, v118, v175
	v_fmac_f32_e32 v3, v133, v171
	v_add_f32_e32 v4, v4, v152
	v_mul_f32_e32 v123, v121, v176
	v_fma_f32 v118, v118, v170, -v122
	v_add_f32_e32 v2, v2, v5
	v_mul_f32_e32 v139, v120, v176
	v_fmac_f32_e32 v136, v119, v170
	v_add_f32_e32 v3, v4, v3
	s_waitcnt lgkmcnt(0)
	v_mul_f32_e32 v4, v7, v177
	v_fma_f32 v5, v120, v169, -v123
	v_add_f32_e32 v2, v2, v118
	v_mul_f32_e32 v144, v6, v177
	v_fmac_f32_e32 v139, v121, v169
	v_add_f32_e32 v3, v3, v136
	v_fma_f32 v4, v6, v8, -v4
	v_add_f32_e32 v2, v2, v5
	v_fmac_f32_e32 v144, v7, v8
	v_add_f32_e32 v3, v3, v139
	v_add_f32_e32 v2, v2, v4
	;; [unrolled: 1-line block ×3, first 2 shown]
	s_waitcnt vmcnt(0)
	v_sub_f32_e32 v2, v147, v2
	v_sub_f32_e32 v3, v166, v3
	buffer_store_dword v2, off, s[0:3], 0 offset:176
	buffer_store_dword v3, off, s[0:3], 0 offset:180
	v_cmpx_lt_u32_e32 21, v0
	s_cbranch_execz .LBB117_295
; %bb.294:
	s_clause 0x1
	buffer_load_dword v2, off, s[0:3], 0 offset:168
	buffer_load_dword v3, off, s[0:3], 0 offset:172
	buffer_store_dword v1, off, s[0:3], 0 offset:168
	buffer_store_dword v1, off, s[0:3], 0 offset:172
	s_waitcnt vmcnt(0)
	ds_write_b64 v117, v[2:3]
.LBB117_295:
	s_or_b32 exec_lo, exec_lo, s4
	s_waitcnt lgkmcnt(0)
	s_waitcnt_vscnt null, 0x0
	s_barrier
	buffer_gl0_inv
	s_clause 0x23
	buffer_load_dword v3, off, s[0:3], 0 offset:180
	buffer_load_dword v4, off, s[0:3], 0 offset:188
	;; [unrolled: 1-line block ×36, first 2 shown]
	ds_read_b128 v[142:145], v1 offset:608
	ds_read_b128 v[146:149], v1 offset:624
	s_clause 0x1
	buffer_load_dword v163, off, s[0:3], 0 offset:308
	buffer_load_dword v164, off, s[0:3], 0 offset:316
	ds_read_b128 v[150:153], v1 offset:640
	ds_read_b128 v[154:157], v1 offset:656
	buffer_load_dword v165, off, s[0:3], 0 offset:172
	s_mov_b32 s4, exec_lo
	s_waitcnt vmcnt(38) lgkmcnt(3)
	v_mul_f32_e32 v166, v142, v3
	v_mul_f32_e32 v3, v143, v3
	s_waitcnt vmcnt(37)
	v_mul_f32_e32 v167, v144, v4
	v_mul_f32_e32 v4, v145, v4
	s_waitcnt vmcnt(36) lgkmcnt(2)
	v_mul_f32_e32 v168, v146, v5
	s_waitcnt vmcnt(33)
	v_fmac_f32_e32 v166, v143, v8
	v_fma_f32 v8, v142, v8, -v3
	v_mul_f32_e32 v3, v147, v5
	s_waitcnt vmcnt(32)
	v_mul_f32_e32 v5, v149, v7
	v_mul_f32_e32 v169, v148, v7
	v_fmac_f32_e32 v167, v145, v6
	v_fma_f32 v6, v144, v6, -v4
	v_fmac_f32_e32 v168, v147, v2
	v_fma_f32 v7, v146, v2, -v3
	s_waitcnt vmcnt(28)
	v_fma_f32 v146, v148, v125, -v5
	ds_read_b128 v[2:5], v1 offset:672
	ds_read_b128 v[142:145], v1 offset:688
	s_waitcnt vmcnt(27) lgkmcnt(3)
	v_mul_f32_e32 v147, v150, v124
	v_mul_f32_e32 v124, v151, v124
	v_fmac_f32_e32 v169, v149, v125
	s_waitcnt vmcnt(26)
	v_mul_f32_e32 v148, v152, v123
	v_mul_f32_e32 v123, v153, v123
	s_waitcnt vmcnt(25) lgkmcnt(2)
	v_mul_f32_e32 v149, v154, v121
	v_fmac_f32_e32 v147, v151, v120
	v_fma_f32 v150, v150, v120, -v124
	s_waitcnt vmcnt(24)
	v_mul_f32_e32 v151, v156, v122
	v_mul_f32_e32 v120, v155, v121
	;; [unrolled: 1-line block ×3, first 2 shown]
	v_fmac_f32_e32 v148, v153, v119
	v_fma_f32 v152, v152, v119, -v123
	v_fmac_f32_e32 v149, v155, v118
	s_waitcnt vmcnt(20)
	v_fmac_f32_e32 v151, v157, v133
	v_fma_f32 v153, v154, v118, -v120
	v_fma_f32 v133, v156, v133, -v121
	ds_read_b128 v[118:121], v1 offset:704
	ds_read_b128 v[122:125], v1 offset:720
	s_waitcnt vmcnt(19) lgkmcnt(3)
	v_mul_f32_e32 v154, v2, v131
	s_waitcnt vmcnt(18)
	v_mul_f32_e32 v155, v4, v132
	v_mul_f32_e32 v131, v3, v131
	;; [unrolled: 1-line block ×3, first 2 shown]
	buffer_load_dword v156, off, s[0:3], 0 offset:332
	v_fmac_f32_e32 v154, v3, v130
	v_fmac_f32_e32 v155, v5, v129
	v_fma_f32 v130, v2, v130, -v131
	v_fma_f32 v129, v4, v129, -v132
	s_clause 0x3
	buffer_load_dword v157, off, s[0:3], 0 offset:352
	buffer_load_dword v170, off, s[0:3], 0 offset:344
	;; [unrolled: 1-line block ×4, first 2 shown]
	s_waitcnt vmcnt(22) lgkmcnt(2)
	v_mul_f32_e32 v132, v142, v128
	v_mul_f32_e32 v2, v143, v128
	s_waitcnt vmcnt(21)
	v_mul_f32_e32 v3, v145, v127
	v_mul_f32_e32 v128, v144, v127
	v_fmac_f32_e32 v132, v143, v126
	v_fma_f32 v126, v142, v126, -v2
	buffer_load_dword v142, off, s[0:3], 0 offset:340
	s_waitcnt vmcnt(18)
	v_fma_f32 v127, v144, v141, -v3
	s_waitcnt vmcnt(17) lgkmcnt(1)
	v_mul_f32_e32 v144, v118, v139
	v_mul_f32_e32 v2, v119, v139
	v_fmac_f32_e32 v128, v145, v141
	s_clause 0x1
	buffer_load_dword v141, off, s[0:3], 0 offset:348
	buffer_load_dword v143, off, s[0:3], 0 offset:356
	s_waitcnt vmcnt(18)
	v_mul_f32_e32 v145, v120, v140
	v_mul_f32_e32 v3, v121, v140
	v_fmac_f32_e32 v144, v119, v137
	v_fma_f32 v137, v118, v137, -v2
	s_waitcnt vmcnt(16) lgkmcnt(0)
	v_mul_f32_e32 v2, v125, v136
	v_fmac_f32_e32 v145, v121, v135
	v_fma_f32 v135, v120, v135, -v3
	v_mul_f32_e32 v174, v124, v136
	v_add_f32_e32 v3, 0, v8
	s_waitcnt vmcnt(11)
	v_fma_f32 v136, v124, v162, -v2
	v_add_f32_e32 v2, 0, v166
	v_mul_f32_e32 v139, v122, v138
	v_mul_f32_e32 v4, v123, v138
	s_clause 0x5
	buffer_load_dword v138, off, s[0:3], 0 offset:364
	buffer_load_dword v140, off, s[0:3], 0 offset:372
	;; [unrolled: 1-line block ×6, first 2 shown]
	v_fmac_f32_e32 v174, v125, v162
	s_clause 0x2
	buffer_load_dword v162, off, s[0:3], 0 offset:412
	buffer_load_dword v177, off, s[0:3], 0 offset:420
	;; [unrolled: 1-line block ×3, first 2 shown]
	v_add_f32_e32 v2, v2, v167
	v_add_f32_e32 v3, v3, v6
	s_clause 0x3
	buffer_load_dword v6, off, s[0:3], 0 offset:384
	buffer_load_dword v166, off, s[0:3], 0 offset:376
	;; [unrolled: 1-line block ×4, first 2 shown]
	v_fmac_f32_e32 v139, v123, v134
	v_fma_f32 v134, v122, v134, -v4
	v_add_f32_e32 v2, v2, v168
	v_add_f32_e32 v3, v3, v7
	;; [unrolled: 1-line block ×4, first 2 shown]
	s_clause 0x3
	buffer_load_dword v7, off, s[0:3], 0 offset:416
	buffer_load_dword v146, off, s[0:3], 0 offset:408
	;; [unrolled: 1-line block ×4, first 2 shown]
	v_add_f32_e32 v2, v2, v147
	buffer_load_dword v147, off, s[0:3], 0 offset:424
	v_add_f32_e32 v3, v3, v150
	buffer_load_dword v150, off, s[0:3], 0 offset:168
	v_add_f32_e32 v2, v2, v148
	v_add_f32_e32 v3, v3, v152
	;; [unrolled: 1-line block ×4, first 2 shown]
	ds_read_b128 v[2:5], v1 offset:736
	v_add_f32_e32 v118, v118, v151
	v_add_f32_e32 v119, v119, v133
	v_add_f32_e32 v122, v118, v154
	v_add_f32_e32 v123, v119, v130
	ds_read_b128 v[118:121], v1 offset:752
	v_add_f32_e32 v122, v122, v155
	v_add_f32_e32 v123, v123, v129
	;; [unrolled: 1-line block ×4, first 2 shown]
	s_waitcnt vmcnt(29) lgkmcnt(1)
	v_mul_f32_e32 v148, v2, v163
	v_mul_f32_e32 v124, v3, v163
	s_waitcnt vmcnt(28)
	v_mul_f32_e32 v149, v4, v164
	v_mul_f32_e32 v125, v5, v164
	v_add_f32_e32 v128, v122, v128
	v_fmac_f32_e32 v148, v3, v161
	v_fma_f32 v151, v2, v161, -v124
	v_fmac_f32_e32 v149, v5, v160
	v_fma_f32 v152, v4, v160, -v125
	ds_read_b128 v[2:5], v1 offset:768
	ds_read_b128 v[122:125], v1 offset:784
	v_add_f32_e32 v126, v126, v127
	s_waitcnt lgkmcnt(2)
	v_mul_f32_e32 v153, v118, v159
	v_add_f32_e32 v127, v128, v144
	v_mul_f32_e32 v128, v119, v159
	v_add_f32_e32 v126, v126, v137
	v_fmac_f32_e32 v153, v119, v158
	v_add_f32_e32 v119, v127, v145
	v_fma_f32 v144, v118, v158, -v128
	v_add_f32_e32 v130, v126, v135
	v_add_f32_e32 v134, v130, v134
	s_waitcnt vmcnt(26)
	v_mul_f32_e32 v154, v120, v156
	v_mul_f32_e32 v129, v121, v156
	s_waitcnt vmcnt(22)
	v_fmac_f32_e32 v154, v121, v131
	v_fma_f32 v145, v120, v131, -v129
	v_add_f32_e32 v131, v119, v139
	ds_read_b128 v[118:121], v1 offset:800
	ds_read_b128 v[126:129], v1 offset:816
	v_add_f32_e32 v137, v131, v174
	s_waitcnt vmcnt(21) lgkmcnt(3)
	v_mul_f32_e32 v139, v2, v142
	v_mul_f32_e32 v135, v3, v142
	v_add_f32_e32 v142, v134, v136
	ds_read_b128 v[130:133], v1 offset:832
	v_fmac_f32_e32 v139, v3, v171
	v_fma_f32 v2, v2, v171, -v135
	v_add_f32_e32 v3, v137, v148
	ds_read_b128 v[134:137], v1 offset:848
	v_add_f32_e32 v1, v142, v151
	s_waitcnt vmcnt(20)
	v_mul_f32_e32 v142, v4, v141
	v_mul_f32_e32 v141, v5, v141
	v_add_f32_e32 v3, v3, v149
	s_waitcnt vmcnt(19) lgkmcnt(4)
	v_mul_f32_e32 v148, v122, v143
	v_add_f32_e32 v1, v1, v152
	v_mul_f32_e32 v143, v123, v143
	v_fma_f32 v4, v4, v170, -v141
	v_add_f32_e32 v3, v3, v153
	v_fmac_f32_e32 v142, v5, v170
	v_add_f32_e32 v1, v1, v144
	s_waitcnt vmcnt(18)
	v_mul_f32_e32 v149, v124, v138
	v_mul_f32_e32 v138, v125, v138
	v_add_f32_e32 v3, v3, v154
	v_fma_f32 v122, v122, v157, -v143
	v_add_f32_e32 v1, v1, v145
	v_fmac_f32_e32 v148, v123, v157
	s_waitcnt vmcnt(6)
	v_fma_f32 v123, v124, v178, -v138
	s_waitcnt lgkmcnt(3)
	v_mul_f32_e32 v5, v118, v140
	v_fmac_f32_e32 v149, v125, v178
	v_add_f32_e32 v1, v1, v2
	v_add_f32_e32 v2, v3, v139
	v_mul_f32_e32 v141, v120, v172
	v_fmac_f32_e32 v5, v119, v167
	s_waitcnt lgkmcnt(2)
	v_mul_f32_e32 v144, v126, v173
	v_add_f32_e32 v1, v1, v4
	v_add_f32_e32 v2, v2, v142
	v_mul_f32_e32 v4, v119, v140
	v_fmac_f32_e32 v141, v121, v166
	v_mul_f32_e32 v151, v128, v175
	v_add_f32_e32 v1, v1, v122
	v_add_f32_e32 v2, v2, v148
	v_mul_f32_e32 v122, v121, v172
	v_fma_f32 v4, v118, v167, -v4
	v_mul_f32_e32 v118, v127, v173
	v_add_f32_e32 v1, v1, v123
	v_add_f32_e32 v2, v2, v149
	v_fma_f32 v119, v120, v166, -v122
	v_fmac_f32_e32 v144, v127, v6
	s_waitcnt lgkmcnt(1)
	v_mul_f32_e32 v152, v130, v176
	v_add_f32_e32 v1, v1, v4
	v_add_f32_e32 v2, v2, v5
	v_mul_f32_e32 v4, v129, v175
	v_fma_f32 v5, v126, v6, -v118
	v_mul_f32_e32 v6, v131, v176
	v_add_f32_e32 v1, v1, v119
	v_add_f32_e32 v2, v2, v141
	s_waitcnt vmcnt(2)
	v_fma_f32 v4, v128, v169, -v4
	v_fmac_f32_e32 v151, v129, v169
	v_fma_f32 v6, v130, v168, -v6
	v_add_f32_e32 v1, v1, v5
	v_add_f32_e32 v2, v2, v144
	v_mul_f32_e32 v5, v133, v162
	v_mul_f32_e32 v145, v132, v162
	v_fmac_f32_e32 v152, v131, v168
	v_add_f32_e32 v1, v1, v4
	v_add_f32_e32 v2, v2, v151
	s_waitcnt lgkmcnt(0)
	v_mul_f32_e32 v4, v135, v177
	v_fma_f32 v5, v132, v146, -v5
	v_mul_f32_e32 v153, v134, v177
	v_add_f32_e32 v1, v1, v6
	v_fmac_f32_e32 v145, v133, v146
	v_add_f32_e32 v2, v2, v152
	v_mul_f32_e32 v6, v137, v8
	v_fma_f32 v4, v134, v7, -v4
	v_add_f32_e32 v1, v1, v5
	v_mul_f32_e32 v3, v136, v8
	v_fmac_f32_e32 v153, v135, v7
	v_add_f32_e32 v2, v2, v145
	s_waitcnt vmcnt(1)
	v_fma_f32 v5, v136, v147, -v6
	v_add_f32_e32 v1, v1, v4
	v_fmac_f32_e32 v3, v137, v147
	v_add_f32_e32 v2, v2, v153
	v_add_f32_e32 v1, v1, v5
	;; [unrolled: 1-line block ×3, first 2 shown]
	s_waitcnt vmcnt(0)
	v_sub_f32_e32 v1, v150, v1
	v_sub_f32_e32 v2, v165, v2
	buffer_store_dword v1, off, s[0:3], 0 offset:168
	buffer_store_dword v2, off, s[0:3], 0 offset:172
	v_cmpx_lt_u32_e32 20, v0
	s_cbranch_execz .LBB117_297
; %bb.296:
	s_clause 0x1
	buffer_load_dword v1, off, s[0:3], 0 offset:160
	buffer_load_dword v2, off, s[0:3], 0 offset:164
	v_mov_b32_e32 v3, 0
	buffer_store_dword v3, off, s[0:3], 0 offset:160
	buffer_store_dword v3, off, s[0:3], 0 offset:164
	s_waitcnt vmcnt(0)
	ds_write_b64 v117, v[1:2]
.LBB117_297:
	s_or_b32 exec_lo, exec_lo, s4
	s_waitcnt lgkmcnt(0)
	s_waitcnt_vscnt null, 0x0
	s_barrier
	buffer_gl0_inv
	s_clause 0x23
	buffer_load_dword v119, off, s[0:3], 0 offset:172
	buffer_load_dword v121, off, s[0:3], 0 offset:180
	;; [unrolled: 1-line block ×36, first 2 shown]
	v_mov_b32_e32 v118, 0
	ds_read2_b64 v[5:8], v118 offset0:75 offset1:76
	ds_read2_b64 v[1:4], v118 offset0:77 offset1:78
	buffer_load_dword v163, off, s[0:3], 0 offset:164
	ds_read2_b64 v[155:158], v118 offset0:79 offset1:80
	ds_read2_b64 v[159:162], v118 offset0:81 offset1:82
	s_mov_b32 s4, exec_lo
	s_waitcnt vmcnt(36) lgkmcnt(3)
	v_mul_f32_e32 v164, v5, v119
	s_waitcnt vmcnt(35)
	v_mul_f32_e32 v165, v7, v121
	v_mul_f32_e32 v119, v6, v119
	;; [unrolled: 1-line block ×3, first 2 shown]
	s_waitcnt vmcnt(34) lgkmcnt(2)
	v_mul_f32_e32 v166, v1, v122
	v_mul_f32_e32 v122, v2, v122
	s_waitcnt vmcnt(30)
	v_mul_f32_e32 v167, v3, v123
	v_mul_f32_e32 v123, v4, v123
	v_fmac_f32_e32 v164, v6, v125
	v_fmac_f32_e32 v165, v8, v124
	v_fma_f32 v125, v5, v125, -v119
	v_fma_f32 v124, v7, v124, -v121
	ds_read2_b64 v[5:8], v118 offset0:83 offset1:84
	v_fmac_f32_e32 v166, v2, v120
	v_fma_f32 v168, v1, v120, -v122
	ds_read2_b64 v[119:122], v118 offset0:85 offset1:86
	s_waitcnt vmcnt(26)
	v_fmac_f32_e32 v167, v4, v134
	v_fma_f32 v123, v3, v134, -v123
	s_waitcnt vmcnt(25) lgkmcnt(3)
	v_mul_f32_e32 v134, v155, v132
	s_waitcnt vmcnt(24)
	v_mul_f32_e32 v169, v157, v133
	v_mul_f32_e32 v1, v156, v132
	v_mul_f32_e32 v2, v158, v133
	s_clause 0x1
	buffer_load_dword v132, off, s[0:3], 0 offset:308
	buffer_load_dword v133, off, s[0:3], 0 offset:316
	v_fmac_f32_e32 v134, v156, v129
	v_fmac_f32_e32 v169, v158, v127
	v_fma_f32 v129, v155, v129, -v1
	v_fma_f32 v127, v157, v127, -v2
	ds_read2_b64 v[1:4], v118 offset0:87 offset1:88
	s_waitcnt vmcnt(25) lgkmcnt(3)
	v_mul_f32_e32 v155, v159, v130
	v_mul_f32_e32 v130, v160, v130
	s_waitcnt vmcnt(24)
	v_mul_f32_e32 v156, v161, v128
	v_mul_f32_e32 v128, v162, v128
	s_waitcnt vmcnt(23) lgkmcnt(2)
	v_mul_f32_e32 v157, v5, v131
	v_fmac_f32_e32 v155, v160, v126
	v_fma_f32 v126, v159, v126, -v130
	s_waitcnt vmcnt(22)
	v_mul_f32_e32 v130, v7, v135
	v_mul_f32_e32 v131, v6, v131
	v_mul_f32_e32 v135, v8, v135
	s_waitcnt vmcnt(18)
	v_fma_f32 v128, v161, v142, -v128
	v_fmac_f32_e32 v157, v6, v140
	v_fmac_f32_e32 v130, v8, v139
	v_fma_f32 v131, v5, v140, -v131
	v_fma_f32 v135, v7, v139, -v135
	s_clause 0x5
	buffer_load_dword v139, off, s[0:3], 0 offset:324
	buffer_load_dword v140, off, s[0:3], 0 offset:332
	;; [unrolled: 1-line block ×6, first 2 shown]
	v_fmac_f32_e32 v156, v162, v142
	s_waitcnt vmcnt(23) lgkmcnt(1)
	v_mul_f32_e32 v142, v119, v141
	v_mul_f32_e32 v141, v120, v141
	s_waitcnt vmcnt(22)
	v_mul_f32_e32 v162, v121, v137
	v_mul_f32_e32 v137, v122, v137
	ds_read2_b64 v[5:8], v118 offset0:89 offset1:90
	v_fmac_f32_e32 v142, v120, v136
	v_fma_f32 v119, v119, v136, -v141
	s_waitcnt vmcnt(18)
	v_fmac_f32_e32 v162, v122, v153
	v_fma_f32 v120, v121, v153, -v137
	s_waitcnt vmcnt(17) lgkmcnt(1)
	v_mul_f32_e32 v121, v1, v151
	v_mul_f32_e32 v122, v2, v151
	s_clause 0x1
	buffer_load_dword v141, off, s[0:3], 0 offset:340
	buffer_load_dword v151, off, s[0:3], 0 offset:348
	v_add_f32_e32 v125, 0, v125
	s_waitcnt vmcnt(18)
	v_mul_f32_e32 v136, v3, v152
	v_mul_f32_e32 v137, v4, v152
	v_fma_f32 v122, v1, v148, -v122
	v_add_f32_e32 v1, 0, v164
	v_add_f32_e32 v124, v125, v124
	v_fmac_f32_e32 v121, v2, v148
	v_fmac_f32_e32 v136, v4, v147
	v_fma_f32 v137, v3, v147, -v137
	v_add_f32_e32 v164, v1, v165
	s_clause 0x3
	buffer_load_dword v147, off, s[0:3], 0 offset:356
	buffer_load_dword v148, off, s[0:3], 0 offset:364
	;; [unrolled: 1-line block ×4, first 2 shown]
	ds_read2_b64 v[1:4], v118 offset0:91 offset1:92
	s_waitcnt vmcnt(21) lgkmcnt(1)
	v_mul_f32_e32 v165, v5, v146
	v_mul_f32_e32 v125, v6, v146
	v_add_f32_e32 v146, v164, v166
	s_waitcnt vmcnt(20)
	v_mul_f32_e32 v164, v7, v145
	v_mul_f32_e32 v145, v8, v145
	v_fmac_f32_e32 v165, v6, v143
	v_fma_f32 v143, v5, v143, -v125
	v_add_f32_e32 v5, v146, v167
	v_add_f32_e32 v124, v124, v168
	s_clause 0x3
	buffer_load_dword v146, off, s[0:3], 0 offset:388
	buffer_load_dword v166, off, s[0:3], 0 offset:396
	;; [unrolled: 1-line block ×4, first 2 shown]
	s_waitcnt vmcnt(20)
	v_fmac_f32_e32 v164, v8, v154
	v_fma_f32 v145, v7, v154, -v145
	v_add_f32_e32 v5, v5, v134
	s_clause 0x5
	buffer_load_dword v154, off, s[0:3], 0 offset:420
	buffer_load_dword v134, off, s[0:3], 0 offset:376
	;; [unrolled: 1-line block ×6, first 2 shown]
	v_add_f32_e32 v6, v124, v123
	v_add_f32_e32 v5, v5, v169
	s_waitcnt vmcnt(25) lgkmcnt(0)
	v_mul_f32_e32 v125, v2, v150
	v_add_f32_e32 v6, v6, v129
	v_add_f32_e32 v124, v5, v155
	v_mul_f32_e32 v155, v1, v150
	v_add_f32_e32 v123, v6, v127
	ds_read2_b64 v[5:8], v118 offset0:93 offset1:94
	v_add_f32_e32 v124, v124, v156
	v_fmac_f32_e32 v155, v2, v149
	v_fma_f32 v127, v1, v149, -v125
	v_add_f32_e32 v123, v123, v126
	v_add_f32_e32 v2, v124, v157
	s_clause 0x5
	buffer_load_dword v149, off, s[0:3], 0 offset:408
	buffer_load_dword v150, off, s[0:3], 0 offset:400
	;; [unrolled: 1-line block ×6, first 2 shown]
	v_add_f32_e32 v1, v123, v128
	v_add_f32_e32 v2, v2, v130
	;; [unrolled: 1-line block ×5, first 2 shown]
	buffer_load_dword v135, off, s[0:3], 0 offset:160
	v_add_f32_e32 v123, v123, v162
	v_add_f32_e32 v119, v1, v119
	;; [unrolled: 1-line block ×6, first 2 shown]
	ds_read2_b64 v[119:122], v118 offset0:97 offset1:98
	v_add_f32_e32 v129, v129, v165
	v_add_f32_e32 v128, v125, v137
	;; [unrolled: 1-line block ×4, first 2 shown]
	s_waitcnt vmcnt(30)
	v_mul_f32_e32 v142, v3, v132
	v_mul_f32_e32 v2, v4, v132
	s_waitcnt vmcnt(29) lgkmcnt(1)
	v_mul_f32_e32 v124, v6, v133
	v_fmac_f32_e32 v142, v4, v144
	v_fma_f32 v131, v3, v144, -v2
	ds_read2_b64 v[1:4], v118 offset0:95 offset1:96
	v_mul_f32_e32 v144, v5, v133
	v_fmac_f32_e32 v144, v6, v138
	v_fma_f32 v138, v5, v138, -v124
	s_waitcnt vmcnt(28)
	v_mul_f32_e32 v133, v7, v139
	v_mul_f32_e32 v126, v8, v139
	s_waitcnt vmcnt(23)
	v_fmac_f32_e32 v133, v8, v161
	v_fma_f32 v137, v7, v161, -v126
	ds_read2_b64 v[5:8], v118 offset0:99 offset1:100
	ds_read2_b64 v[123:126], v118 offset0:101 offset1:102
	s_waitcnt lgkmcnt(2)
	v_mul_f32_e32 v130, v2, v140
	v_mul_f32_e32 v136, v1, v140
	v_fma_f32 v140, v1, v160, -v130
	v_add_f32_e32 v1, v129, v164
	s_waitcnt vmcnt(22)
	v_mul_f32_e32 v139, v3, v141
	v_mul_f32_e32 v132, v4, v141
	v_add_f32_e32 v141, v128, v127
	v_fmac_f32_e32 v136, v2, v160
	v_add_f32_e32 v145, v1, v155
	v_fmac_f32_e32 v139, v4, v159
	v_fma_f32 v143, v3, v159, -v132
	v_add_f32_e32 v141, v141, v131
	s_waitcnt vmcnt(21)
	v_mul_f32_e32 v155, v119, v151
	v_add_f32_e32 v142, v145, v142
	s_waitcnt vmcnt(20)
	v_mul_f32_e32 v145, v121, v147
	v_mul_f32_e32 v147, v122, v147
	v_add_f32_e32 v138, v141, v138
	v_mul_f32_e32 v141, v120, v151
	v_add_f32_e32 v142, v142, v144
	v_fmac_f32_e32 v155, v120, v158
	ds_read2_b64 v[127:130], v118 offset0:103 offset1:104
	ds_read2_b64 v[1:4], v118 offset0:105 offset1:106
	v_add_f32_e32 v137, v138, v137
	v_add_f32_e32 v133, v142, v133
	v_fma_f32 v119, v119, v158, -v141
	s_waitcnt vmcnt(19) lgkmcnt(3)
	v_mul_f32_e32 v144, v5, v148
	s_waitcnt vmcnt(18)
	v_mul_f32_e32 v138, v7, v152
	v_add_f32_e32 v137, v137, v140
	v_add_f32_e32 v133, v133, v136
	s_waitcnt vmcnt(17) lgkmcnt(2)
	v_mul_f32_e32 v151, v123, v153
	s_waitcnt vmcnt(9)
	v_fmac_f32_e32 v144, v6, v171
	s_waitcnt vmcnt(8)
	v_fma_f32 v121, v121, v172, -v147
	v_add_f32_e32 v137, v137, v143
	v_add_f32_e32 v133, v133, v139
	v_mul_f32_e32 v143, v6, v148
	v_fmac_f32_e32 v145, v122, v172
	v_fmac_f32_e32 v138, v8, v170
	v_add_f32_e32 v119, v137, v119
	v_add_f32_e32 v122, v133, v155
	v_mul_f32_e32 v133, v8, v152
	v_fma_f32 v5, v5, v171, -v143
	v_mul_f32_e32 v8, v126, v146
	v_add_f32_e32 v6, v119, v121
	v_add_f32_e32 v119, v122, v145
	v_mul_f32_e32 v121, v124, v153
	v_fma_f32 v7, v7, v170, -v133
	v_mul_f32_e32 v142, v125, v146
	v_add_f32_e32 v5, v6, v5
	v_add_f32_e32 v6, v119, v144
	v_fma_f32 v119, v123, v134, -v121
	v_fmac_f32_e32 v151, v124, v134
	ds_read_b64 v[131:132], v118 offset:856
	v_add_f32_e32 v5, v5, v7
	v_add_f32_e32 v6, v6, v138
	s_waitcnt lgkmcnt(2)
	v_mul_f32_e32 v7, v128, v166
	s_waitcnt vmcnt(3)
	v_fma_f32 v8, v125, v157, -v8
	v_mul_f32_e32 v140, v127, v166
	v_add_f32_e32 v5, v5, v119
	v_fmac_f32_e32 v142, v126, v157
	v_add_f32_e32 v6, v6, v151
	v_mul_f32_e32 v119, v130, v167
	v_fma_f32 v7, v127, v156, -v7
	v_add_f32_e32 v5, v5, v8
	v_mul_f32_e32 v120, v129, v167
	v_fmac_f32_e32 v140, v128, v156
	v_add_f32_e32 v6, v6, v142
	s_waitcnt lgkmcnt(1)
	v_mul_f32_e32 v136, v1, v168
	v_mul_f32_e32 v8, v2, v168
	v_fma_f32 v119, v129, v150, -v119
	v_add_f32_e32 v5, v5, v7
	v_fmac_f32_e32 v120, v130, v150
	v_add_f32_e32 v6, v6, v140
	v_mul_f32_e32 v7, v4, v154
	v_fmac_f32_e32 v136, v2, v149
	v_fma_f32 v1, v1, v149, -v8
	v_add_f32_e32 v2, v5, v119
	v_mul_f32_e32 v141, v3, v154
	v_add_f32_e32 v5, v6, v120
	s_waitcnt lgkmcnt(0)
	v_mul_f32_e32 v6, v132, v173
	s_waitcnt vmcnt(1)
	v_fma_f32 v3, v3, v174, -v7
	v_add_f32_e32 v1, v2, v1
	v_mul_f32_e32 v139, v131, v173
	v_fmac_f32_e32 v141, v4, v174
	v_add_f32_e32 v2, v5, v136
	v_fma_f32 v4, v131, v169, -v6
	v_add_f32_e32 v1, v1, v3
	v_fmac_f32_e32 v139, v132, v169
	v_add_f32_e32 v2, v2, v141
	v_add_f32_e32 v1, v1, v4
	;; [unrolled: 1-line block ×3, first 2 shown]
	s_waitcnt vmcnt(0)
	v_sub_f32_e32 v1, v135, v1
	v_sub_f32_e32 v2, v163, v2
	buffer_store_dword v1, off, s[0:3], 0 offset:160
	buffer_store_dword v2, off, s[0:3], 0 offset:164
	v_cmpx_lt_u32_e32 19, v0
	s_cbranch_execz .LBB117_299
; %bb.298:
	s_clause 0x1
	buffer_load_dword v1, off, s[0:3], 0 offset:152
	buffer_load_dword v2, off, s[0:3], 0 offset:156
	buffer_store_dword v118, off, s[0:3], 0 offset:152
	buffer_store_dword v118, off, s[0:3], 0 offset:156
	s_waitcnt vmcnt(0)
	ds_write_b64 v117, v[1:2]
.LBB117_299:
	s_or_b32 exec_lo, exec_lo, s4
	s_waitcnt lgkmcnt(0)
	s_waitcnt_vscnt null, 0x0
	s_barrier
	buffer_gl0_inv
	s_clause 0x23
	buffer_load_dword v153, off, s[0:3], 0 offset:164
	buffer_load_dword v154, off, s[0:3], 0 offset:172
	;; [unrolled: 1-line block ×36, first 2 shown]
	ds_read_b128 v[5:8], v118 offset:592
	ds_read_b128 v[1:4], v118 offset:608
	ds_read_b128 v[155:158], v118 offset:624
	s_clause 0x1
	buffer_load_dword v163, off, s[0:3], 0 offset:300
	buffer_load_dword v164, off, s[0:3], 0 offset:308
	ds_read_b128 v[159:162], v118 offset:640
	buffer_load_dword v167, off, s[0:3], 0 offset:156
	s_mov_b32 s4, exec_lo
	s_waitcnt vmcnt(38) lgkmcnt(3)
	v_mul_f32_e32 v165, v5, v153
	s_waitcnt vmcnt(37)
	v_mul_f32_e32 v166, v7, v154
	v_mul_f32_e32 v153, v6, v153
	;; [unrolled: 1-line block ×3, first 2 shown]
	s_waitcnt vmcnt(34)
	v_fmac_f32_e32 v165, v6, v125
	v_fmac_f32_e32 v166, v8, v124
	v_fma_f32 v125, v5, v125, -v153
	v_fma_f32 v124, v7, v124, -v154
	ds_read_b128 v[5:8], v118 offset:656
	s_waitcnt vmcnt(33) lgkmcnt(3)
	v_mul_f32_e32 v153, v1, v122
	v_mul_f32_e32 v122, v2, v122
	s_waitcnt vmcnt(32)
	v_mul_f32_e32 v154, v3, v121
	v_mul_f32_e32 v121, v4, v121
	s_waitcnt vmcnt(31) lgkmcnt(2)
	v_mul_f32_e32 v168, v155, v120
	v_fmac_f32_e32 v153, v2, v119
	v_fma_f32 v169, v1, v119, -v122
	s_waitcnt vmcnt(30)
	v_mul_f32_e32 v170, v157, v123
	v_mul_f32_e32 v119, v156, v120
	v_mul_f32_e32 v120, v158, v123
	s_waitcnt vmcnt(26)
	v_fmac_f32_e32 v154, v4, v131
	v_fma_f32 v123, v3, v131, -v121
	ds_read_b128 v[1:4], v118 offset:672
	v_fmac_f32_e32 v168, v156, v130
	v_fma_f32 v130, v155, v130, -v119
	s_waitcnt vmcnt(25) lgkmcnt(2)
	v_mul_f32_e32 v131, v159, v127
	s_waitcnt vmcnt(24)
	v_mul_f32_e32 v155, v161, v128
	v_mul_f32_e32 v127, v160, v127
	;; [unrolled: 1-line block ×3, first 2 shown]
	v_fmac_f32_e32 v170, v158, v129
	v_fma_f32 v129, v157, v129, -v120
	ds_read_b128 v[119:122], v118 offset:688
	v_fmac_f32_e32 v131, v160, v126
	s_waitcnt vmcnt(19)
	v_fmac_f32_e32 v155, v162, v142
	v_fma_f32 v126, v159, v126, -v127
	v_fma_f32 v127, v161, v142, -v128
	s_clause 0x4
	buffer_load_dword v128, off, s[0:3], 0 offset:316
	buffer_load_dword v142, off, s[0:3], 0 offset:336
	;; [unrolled: 1-line block ×5, first 2 shown]
	s_waitcnt lgkmcnt(2)
	v_mul_f32_e32 v156, v5, v132
	v_mul_f32_e32 v132, v6, v132
	s_waitcnt vmcnt(23)
	v_mul_f32_e32 v160, v7, v138
	v_mul_f32_e32 v138, v8, v138
	v_fmac_f32_e32 v156, v6, v137
	v_fma_f32 v5, v5, v137, -v132
	s_waitcnt vmcnt(22) lgkmcnt(1)
	v_mul_f32_e32 v132, v1, v135
	v_fmac_f32_e32 v160, v8, v134
	v_fma_f32 v134, v7, v134, -v138
	s_waitcnt vmcnt(21)
	v_mul_f32_e32 v137, v3, v136
	v_mul_f32_e32 v6, v2, v135
	;; [unrolled: 1-line block ×3, first 2 shown]
	s_clause 0x2
	buffer_load_dword v135, off, s[0:3], 0 offset:324
	buffer_load_dword v136, off, s[0:3], 0 offset:332
	;; [unrolled: 1-line block ×3, first 2 shown]
	v_fmac_f32_e32 v132, v2, v133
	s_waitcnt vmcnt(20)
	v_fmac_f32_e32 v137, v4, v151
	v_fma_f32 v133, v1, v133, -v6
	v_fma_f32 v151, v3, v151, -v7
	ds_read_b128 v[1:4], v118 offset:704
	v_add_f32_e32 v6, 0, v165
	v_add_f32_e32 v7, 0, v125
	s_waitcnt vmcnt(19) lgkmcnt(1)
	v_mul_f32_e32 v161, v119, v148
	s_waitcnt vmcnt(18)
	v_mul_f32_e32 v162, v121, v149
	v_mul_f32_e32 v8, v120, v148
	v_add_f32_e32 v6, v6, v166
	v_mul_f32_e32 v125, v122, v149
	v_add_f32_e32 v7, v7, v124
	v_fmac_f32_e32 v161, v120, v146
	v_fmac_f32_e32 v162, v122, v145
	v_add_f32_e32 v6, v6, v153
	v_fma_f32 v119, v119, v146, -v8
	v_fma_f32 v124, v121, v145, -v125
	v_add_f32_e32 v7, v7, v169
	s_clause 0x7
	buffer_load_dword v145, off, s[0:3], 0 offset:348
	buffer_load_dword v146, off, s[0:3], 0 offset:356
	;; [unrolled: 1-line block ×8, first 2 shown]
	v_add_f32_e32 v6, v6, v154
	v_add_f32_e32 v7, v7, v123
	s_waitcnt vmcnt(25) lgkmcnt(0)
	v_mul_f32_e32 v8, v2, v143
	v_mul_f32_e32 v125, v1, v143
	s_clause 0x3
	buffer_load_dword v143, off, s[0:3], 0 offset:380
	buffer_load_dword v154, off, s[0:3], 0 offset:388
	;; [unrolled: 1-line block ×4, first 2 shown]
	v_fma_f32 v123, v1, v140, -v8
	v_add_f32_e32 v1, v6, v168
	v_fmac_f32_e32 v125, v2, v140
	v_add_f32_e32 v6, v7, v130
	s_waitcnt vmcnt(28)
	v_mul_f32_e32 v130, v3, v141
	v_mul_f32_e32 v2, v4, v141
	v_add_f32_e32 v7, v1, v170
	s_clause 0x2
	buffer_load_dword v140, off, s[0:3], 0 offset:412
	buffer_load_dword v168, off, s[0:3], 0 offset:420
	;; [unrolled: 1-line block ×3, first 2 shown]
	s_waitcnt vmcnt(27)
	v_fmac_f32_e32 v130, v4, v152
	v_fma_f32 v152, v3, v152, -v2
	ds_read_b128 v[1:4], v118 offset:720
	v_add_f32_e32 v7, v7, v131
	v_add_f32_e32 v6, v6, v129
	;; [unrolled: 1-line block ×3, first 2 shown]
	s_clause 0x3
	buffer_load_dword v155, off, s[0:3], 0 offset:400
	buffer_load_dword v170, off, s[0:3], 0 offset:392
	buffer_load_dword v173, off, s[0:3], 0 offset:384
	buffer_load_dword v174, off, s[0:3], 0 offset:376
	v_add_f32_e32 v6, v6, v126
	v_add_f32_e32 v120, v7, v156
	;; [unrolled: 1-line block ×5, first 2 shown]
	ds_read_b128 v[5:8], v118 offset:736
	s_waitcnt vmcnt(30) lgkmcnt(1)
	v_mul_f32_e32 v127, v1, v150
	v_mul_f32_e32 v122, v2, v150
	s_waitcnt vmcnt(29)
	v_mul_f32_e32 v131, v3, v163
	v_fmac_f32_e32 v127, v2, v147
	v_fma_f32 v129, v1, v147, -v122
	s_clause 0x3
	buffer_load_dword v147, off, s[0:3], 0 offset:424
	buffer_load_dword v150, off, s[0:3], 0 offset:416
	;; [unrolled: 1-line block ×4, first 2 shown]
	v_add_f32_e32 v1, v121, v134
	v_add_f32_e32 v2, v120, v132
	v_mul_f32_e32 v120, v4, v163
	v_fmac_f32_e32 v131, v4, v144
	v_add_f32_e32 v1, v1, v133
	v_add_f32_e32 v2, v2, v137
	v_fma_f32 v132, v3, v144, -v120
	v_add_f32_e32 v121, v1, v151
	v_add_f32_e32 v126, v2, v161
	ds_read_b128 v[1:4], v118 offset:752
	s_waitcnt vmcnt(32) lgkmcnt(1)
	v_mul_f32_e32 v134, v5, v164
	v_mul_f32_e32 v137, v6, v164
	v_add_f32_e32 v133, v121, v119
	ds_read_b128 v[119:122], v118 offset:768
	v_add_f32_e32 v126, v126, v162
	v_fmac_f32_e32 v134, v6, v139
	v_fma_f32 v137, v5, v139, -v137
	v_add_f32_e32 v124, v133, v124
	v_add_f32_e32 v133, v126, v125
	;; [unrolled: 1-line block ×5, first 2 shown]
	s_waitcnt vmcnt(30)
	v_mul_f32_e32 v144, v7, v128
	v_mul_f32_e32 v128, v8, v128
	s_waitcnt vmcnt(26)
	v_fmac_f32_e32 v144, v8, v159
	v_fma_f32 v139, v7, v159, -v128
	v_add_f32_e32 v128, v124, v123
	ds_read_b128 v[5:8], v118 offset:784
	ds_read_b128 v[123:126], v118 offset:800
	v_add_f32_e32 v128, v128, v152
	s_waitcnt vmcnt(25) lgkmcnt(3)
	v_mul_f32_e32 v151, v1, v135
	v_mul_f32_e32 v133, v2, v135
	s_waitcnt vmcnt(24)
	v_mul_f32_e32 v152, v3, v136
	v_mul_f32_e32 v135, v4, v136
	s_waitcnt vmcnt(23) lgkmcnt(2)
	v_mul_f32_e32 v136, v119, v138
	v_fmac_f32_e32 v151, v2, v158
	v_fma_f32 v158, v1, v158, -v133
	v_add_f32_e32 v133, v128, v129
	v_fmac_f32_e32 v152, v4, v157
	v_fma_f32 v135, v3, v157, -v135
	v_mul_f32_e32 v138, v120, v138
	ds_read_b128 v[1:4], v118 offset:816
	ds_read_b128 v[127:130], v118 offset:832
	v_add_f32_e32 v157, v133, v132
	v_fmac_f32_e32 v136, v120, v142
	v_add_f32_e32 v120, v131, v134
	ds_read_b128 v[131:134], v118 offset:848
	v_fma_f32 v119, v119, v142, -v138
	v_add_f32_e32 v118, v157, v137
	s_waitcnt vmcnt(22)
	v_mul_f32_e32 v138, v122, v145
	v_add_f32_e32 v120, v120, v144
	v_mul_f32_e32 v137, v121, v145
	s_waitcnt vmcnt(21) lgkmcnt(4)
	v_mul_f32_e32 v142, v5, v146
	v_add_f32_e32 v118, v118, v139
	v_mul_f32_e32 v144, v6, v146
	v_add_f32_e32 v120, v120, v151
	s_waitcnt vmcnt(15)
	v_fma_f32 v121, v121, v169, -v138
	v_fmac_f32_e32 v137, v122, v169
	v_add_f32_e32 v118, v118, v158
	v_fmac_f32_e32 v142, v6, v166
	v_add_f32_e32 v120, v120, v152
	v_fma_f32 v5, v5, v166, -v144
	v_mul_f32_e32 v139, v7, v148
	v_add_f32_e32 v118, v118, v135
	v_mul_f32_e32 v135, v8, v148
	s_waitcnt lgkmcnt(3)
	v_mul_f32_e32 v122, v123, v149
	s_waitcnt vmcnt(14)
	v_mul_f32_e32 v138, v125, v143
	v_fmac_f32_e32 v139, v8, v165
	v_add_f32_e32 v118, v118, v119
	v_add_f32_e32 v119, v120, v136
	v_fma_f32 v7, v7, v165, -v135
	v_mul_f32_e32 v8, v126, v143
	v_fmac_f32_e32 v122, v124, v153
	v_add_f32_e32 v6, v118, v121
	v_add_f32_e32 v118, v119, v137
	v_mul_f32_e32 v119, v124, v149
	s_waitcnt vmcnt(13) lgkmcnt(2)
	v_mul_f32_e32 v145, v1, v154
	s_waitcnt vmcnt(12)
	v_mul_f32_e32 v146, v3, v171
	v_add_f32_e32 v5, v6, v5
	v_add_f32_e32 v6, v118, v142
	v_fma_f32 v118, v123, v153, -v119
	s_waitcnt vmcnt(4)
	v_fma_f32 v8, v125, v174, -v8
	v_fmac_f32_e32 v138, v126, v174
	v_add_f32_e32 v5, v5, v7
	v_add_f32_e32 v6, v6, v139
	v_mul_f32_e32 v7, v2, v154
	v_fmac_f32_e32 v145, v2, v173
	s_waitcnt lgkmcnt(1)
	v_mul_f32_e32 v151, v127, v172
	v_add_f32_e32 v5, v5, v118
	v_add_f32_e32 v6, v6, v122
	v_mul_f32_e32 v118, v4, v171
	v_fma_f32 v1, v1, v173, -v7
	v_fmac_f32_e32 v146, v4, v170
	v_add_f32_e32 v2, v5, v8
	v_add_f32_e32 v5, v6, v138
	v_mul_f32_e32 v6, v128, v172
	v_fma_f32 v3, v3, v170, -v118
	v_mul_f32_e32 v4, v130, v140
	v_add_f32_e32 v1, v2, v1
	v_add_f32_e32 v2, v5, v145
	v_fma_f32 v5, v127, v155, -v6
	v_mul_f32_e32 v148, v129, v140
	v_fmac_f32_e32 v151, v128, v155
	v_add_f32_e32 v1, v1, v3
	v_add_f32_e32 v2, v2, v146
	s_waitcnt lgkmcnt(0)
	v_mul_f32_e32 v3, v132, v168
	s_waitcnt vmcnt(1)
	v_fma_f32 v4, v129, v156, -v4
	v_mul_f32_e32 v152, v131, v168
	v_add_f32_e32 v1, v1, v5
	v_fmac_f32_e32 v148, v130, v156
	v_add_f32_e32 v2, v2, v151
	v_mul_f32_e32 v5, v134, v141
	v_fma_f32 v3, v131, v150, -v3
	v_add_f32_e32 v1, v1, v4
	v_mul_f32_e32 v120, v133, v141
	v_fmac_f32_e32 v152, v132, v150
	v_add_f32_e32 v2, v2, v148
	v_fma_f32 v4, v133, v147, -v5
	v_add_f32_e32 v1, v1, v3
	v_fmac_f32_e32 v120, v134, v147
	v_add_f32_e32 v2, v2, v152
	v_add_f32_e32 v1, v1, v4
	;; [unrolled: 1-line block ×3, first 2 shown]
	s_waitcnt vmcnt(0)
	v_sub_f32_e32 v1, v160, v1
	v_sub_f32_e32 v2, v167, v2
	buffer_store_dword v1, off, s[0:3], 0 offset:152
	buffer_store_dword v2, off, s[0:3], 0 offset:156
	v_cmpx_lt_u32_e32 18, v0
	s_cbranch_execz .LBB117_301
; %bb.300:
	s_clause 0x1
	buffer_load_dword v1, off, s[0:3], 0 offset:144
	buffer_load_dword v2, off, s[0:3], 0 offset:148
	v_mov_b32_e32 v3, 0
	buffer_store_dword v3, off, s[0:3], 0 offset:144
	buffer_store_dword v3, off, s[0:3], 0 offset:148
	s_waitcnt vmcnt(0)
	ds_write_b64 v117, v[1:2]
.LBB117_301:
	s_or_b32 exec_lo, exec_lo, s4
	s_waitcnt lgkmcnt(0)
	s_waitcnt_vscnt null, 0x0
	s_barrier
	buffer_gl0_inv
	s_clause 0x2a
	buffer_load_dword v7, off, s[0:3], 0 offset:156
	buffer_load_dword v8, off, s[0:3], 0 offset:164
	;; [unrolled: 1-line block ×43, first 2 shown]
	v_mov_b32_e32 v1, 0
	ds_read2_b64 v[150:153], v1 offset0:73 offset1:74
	ds_read2_b64 v[154:157], v1 offset0:75 offset1:76
	;; [unrolled: 1-line block ×3, first 2 shown]
	buffer_load_dword v168, off, s[0:3], 0 offset:148
	s_mov_b32 s4, exec_lo
	s_waitcnt vmcnt(43) lgkmcnt(2)
	v_mul_f32_e32 v166, v150, v7
	s_waitcnt vmcnt(42)
	v_mul_f32_e32 v167, v152, v8
	v_mul_f32_e32 v7, v151, v7
	;; [unrolled: 1-line block ×3, first 2 shown]
	s_waitcnt vmcnt(39)
	v_fmac_f32_e32 v166, v151, v6
	v_fmac_f32_e32 v167, v153, v5
	v_fma_f32 v169, v150, v6, -v7
	v_fma_f32 v170, v152, v5, -v8
	ds_read2_b64 v[5:8], v1 offset0:79 offset1:80
	ds_read2_b64 v[150:153], v1 offset0:81 offset1:82
	s_waitcnt vmcnt(38) lgkmcnt(3)
	v_mul_f32_e32 v171, v154, v3
	v_mul_f32_e32 v3, v155, v3
	s_waitcnt vmcnt(37)
	v_mul_f32_e32 v172, v156, v4
	v_mul_f32_e32 v4, v157, v4
	s_waitcnt vmcnt(32) lgkmcnt(2)
	v_mul_f32_e32 v174, v158, v125
	v_fmac_f32_e32 v171, v155, v2
	v_fma_f32 v173, v154, v2, -v3
	v_mul_f32_e32 v2, v159, v125
	s_waitcnt vmcnt(31)
	v_mul_f32_e32 v175, v160, v124
	v_mul_f32_e32 v3, v161, v124
	v_fmac_f32_e32 v172, v157, v126
	v_fma_f32 v126, v156, v126, -v4
	v_fmac_f32_e32 v174, v159, v121
	v_fma_f32 v158, v158, v121, -v2
	;; [unrolled: 2-line block ×3, first 2 shown]
	ds_read2_b64 v[154:157], v1 offset0:83 offset1:84
	s_waitcnt vmcnt(30) lgkmcnt(2)
	v_mul_f32_e32 v159, v5, v122
	v_mul_f32_e32 v2, v6, v122
	s_waitcnt vmcnt(29)
	v_mul_f32_e32 v161, v7, v120
	v_mul_f32_e32 v3, v8, v120
	s_waitcnt vmcnt(28) lgkmcnt(1)
	v_mul_f32_e32 v176, v150, v123
	v_fmac_f32_e32 v159, v6, v118
	v_fma_f32 v6, v5, v118, -v2
	s_waitcnt vmcnt(24)
	v_fmac_f32_e32 v161, v8, v133
	v_fma_f32 v7, v7, v133, -v3
	s_waitcnt vmcnt(23)
	v_mul_f32_e32 v8, v152, v132
	v_mul_f32_e32 v118, v151, v123
	;; [unrolled: 1-line block ×3, first 2 shown]
	ds_read2_b64 v[2:5], v1 offset0:85 offset1:86
	v_fmac_f32_e32 v176, v151, v131
	v_fmac_f32_e32 v8, v153, v128
	v_fma_f32 v131, v150, v131, -v118
	v_fma_f32 v128, v152, v128, -v119
	ds_read2_b64 v[118:121], v1 offset0:87 offset1:88
	s_waitcnt vmcnt(22) lgkmcnt(2)
	v_mul_f32_e32 v132, v154, v130
	v_mul_f32_e32 v122, v155, v130
	s_waitcnt vmcnt(21)
	v_mul_f32_e32 v130, v156, v129
	v_mul_f32_e32 v123, v157, v129
	buffer_load_dword v129, off, s[0:3], 0 offset:316
	v_fmac_f32_e32 v132, v155, v127
	v_fma_f32 v127, v154, v127, -v122
	s_waitcnt vmcnt(18)
	v_fmac_f32_e32 v130, v157, v141
	v_fma_f32 v133, v156, v141, -v123
	s_waitcnt vmcnt(17) lgkmcnt(1)
	v_mul_f32_e32 v141, v2, v139
	s_waitcnt vmcnt(16)
	v_mul_f32_e32 v150, v4, v140
	v_mul_f32_e32 v122, v3, v139
	;; [unrolled: 1-line block ×3, first 2 shown]
	v_fmac_f32_e32 v141, v3, v136
	v_fmac_f32_e32 v150, v5, v135
	v_fma_f32 v136, v2, v136, -v122
	v_fma_f32 v135, v4, v135, -v123
	ds_read2_b64 v[2:5], v1 offset0:89 offset1:90
	s_waitcnt vmcnt(15) lgkmcnt(1)
	v_mul_f32_e32 v139, v118, v138
	v_mul_f32_e32 v124, v119, v138
	s_waitcnt vmcnt(14)
	v_mul_f32_e32 v138, v120, v137
	v_mul_f32_e32 v137, v121, v137
	v_fmac_f32_e32 v139, v119, v134
	v_fma_f32 v134, v118, v134, -v124
	ds_read2_b64 v[122:125], v1 offset0:91 offset1:92
	s_waitcnt vmcnt(10)
	v_fmac_f32_e32 v138, v121, v149
	v_fma_f32 v137, v120, v149, -v137
	s_clause 0x1
	buffer_load_dword v140, off, s[0:3], 0 offset:324
	buffer_load_dword v149, off, s[0:3], 0 offset:332
	s_waitcnt vmcnt(11) lgkmcnt(1)
	v_mul_f32_e32 v151, v2, v148
	v_mul_f32_e32 v118, v3, v148
	s_waitcnt vmcnt(10)
	v_mul_f32_e32 v152, v4, v147
	v_mul_f32_e32 v119, v5, v147
	buffer_load_dword v148, off, s[0:3], 0 offset:340
	v_fmac_f32_e32 v151, v3, v145
	v_fma_f32 v145, v2, v145, -v118
	v_fmac_f32_e32 v152, v5, v143
	s_waitcnt vmcnt(10) lgkmcnt(0)
	v_mul_f32_e32 v147, v122, v146
	v_mul_f32_e32 v2, v123, v146
	s_waitcnt vmcnt(9)
	v_mul_f32_e32 v3, v125, v144
	s_clause 0x3
	buffer_load_dword v146, off, s[0:3], 0 offset:360
	buffer_load_dword v153, off, s[0:3], 0 offset:352
	;; [unrolled: 1-line block ×4, first 2 shown]
	v_mul_f32_e32 v156, v124, v144
	v_fmac_f32_e32 v147, v123, v142
	v_fma_f32 v142, v122, v142, -v2
	v_add_f32_e32 v2, 0, v166
	s_clause 0x1
	buffer_load_dword v144, off, s[0:3], 0 offset:348
	buffer_load_dword v166, off, s[0:3], 0 offset:364
	s_waitcnt vmcnt(11)
	v_fma_f32 v157, v124, v165, -v3
	v_add_f32_e32 v3, 0, v169
	v_add_f32_e32 v2, v2, v167
	v_fmac_f32_e32 v156, v125, v165
	s_clause 0x4
	buffer_load_dword v165, off, s[0:3], 0 offset:356
	buffer_load_dword v167, off, s[0:3], 0 offset:372
	buffer_load_dword v169, off, s[0:3], 0 offset:380
	buffer_load_dword v177, off, s[0:3], 0 offset:388
	buffer_load_dword v178, off, s[0:3], 0 offset:396
	v_add_f32_e32 v3, v3, v170
	v_add_f32_e32 v2, v2, v171
	s_clause 0x1
	buffer_load_dword v170, off, s[0:3], 0 offset:404
	buffer_load_dword v171, off, s[0:3], 0 offset:412
	v_fma_f32 v143, v4, v143, -v119
	v_add_f32_e32 v3, v3, v173
	v_add_f32_e32 v2, v2, v172
	s_clause 0x1
	buffer_load_dword v172, off, s[0:3], 0 offset:420
	buffer_load_dword v173, off, s[0:3], 0 offset:428
	v_add_f32_e32 v3, v3, v126
	v_add_f32_e32 v2, v2, v174
	v_add_f32_e32 v3, v3, v158
	v_add_f32_e32 v2, v2, v175
	s_clause 0x3
	buffer_load_dword v158, off, s[0:3], 0 offset:392
	buffer_load_dword v174, off, s[0:3], 0 offset:384
	buffer_load_dword v175, off, s[0:3], 0 offset:376
	buffer_load_dword v179, off, s[0:3], 0 offset:368
	v_add_f32_e32 v3, v3, v160
	v_add_f32_e32 v2, v2, v159
	;; [unrolled: 1-line block ×4, first 2 shown]
	s_clause 0x4
	buffer_load_dword v159, off, s[0:3], 0 offset:424
	buffer_load_dword v160, off, s[0:3], 0 offset:416
	;; [unrolled: 1-line block ×5, first 2 shown]
	ds_read2_b64 v[118:121], v1 offset0:95 offset1:96
	v_add_f32_e32 v3, v3, v7
	v_add_f32_e32 v2, v2, v176
	;; [unrolled: 1-line block ×5, first 2 shown]
	ds_read2_b64 v[2:5], v1 offset0:93 offset1:94
	v_add_f32_e32 v6, v6, v132
	v_add_f32_e32 v7, v7, v127
	;; [unrolled: 1-line block ×14, first 2 shown]
	s_waitcnt vmcnt(27) lgkmcnt(0)
	v_mul_f32_e32 v8, v2, v129
	v_mul_f32_e32 v122, v3, v129
	v_fmac_f32_e32 v8, v3, v164
	v_add_f32_e32 v3, v7, v134
	v_fma_f32 v134, v2, v164, -v122
	v_add_f32_e32 v8, v141, v8
	v_add_f32_e32 v7, v3, v137
	;; [unrolled: 1-line block ×5, first 2 shown]
	s_waitcnt vmcnt(26)
	v_mul_f32_e32 v135, v4, v140
	v_mul_f32_e32 v123, v5, v140
	v_add_f32_e32 v142, v7, v157
	s_waitcnt vmcnt(25)
	v_mul_f32_e32 v130, v119, v149
	v_mul_f32_e32 v137, v118, v149
	v_fmac_f32_e32 v135, v5, v163
	v_fma_f32 v136, v4, v163, -v123
	ds_read2_b64 v[2:5], v1 offset0:97 offset1:98
	ds_read2_b64 v[122:125], v1 offset0:99 offset1:100
	v_add_f32_e32 v134, v142, v134
	v_fma_f32 v140, v118, v162, -v130
	v_fmac_f32_e32 v137, v119, v162
	v_add_f32_e32 v8, v8, v135
	ds_read2_b64 v[126:129], v1 offset0:101 offset1:102
	ds_read2_b64 v[130:133], v1 offset0:103 offset1:104
	s_waitcnt vmcnt(24)
	v_mul_f32_e32 v139, v121, v148
	v_add_f32_e32 v134, v134, v136
	v_mul_f32_e32 v138, v120, v148
	v_add_f32_e32 v8, v8, v137
	v_add_f32_e32 v134, v134, v140
	s_waitcnt vmcnt(20)
	v_fma_f32 v139, v120, v155, -v139
	v_fmac_f32_e32 v138, v121, v155
	ds_read2_b64 v[118:121], v1 offset0:105 offset1:106
	ds_read_b64 v[6:7], v1 offset:856
	s_waitcnt vmcnt(19) lgkmcnt(5)
	v_mul_f32_e32 v142, v3, v144
	v_mul_f32_e32 v143, v2, v144
	v_add_f32_e32 v134, v134, v139
	v_add_f32_e32 v8, v8, v138
	s_waitcnt vmcnt(18) lgkmcnt(4)
	v_mul_f32_e32 v141, v122, v166
	v_fma_f32 v2, v2, v154, -v142
	s_waitcnt vmcnt(17)
	v_mul_f32_e32 v144, v5, v165
	v_mul_f32_e32 v145, v4, v165
	v_fmac_f32_e32 v143, v3, v154
	v_mul_f32_e32 v142, v123, v166
	v_add_f32_e32 v2, v134, v2
	v_fma_f32 v4, v4, v153, -v144
	v_fmac_f32_e32 v145, v5, v153
	v_add_f32_e32 v5, v8, v143
	s_waitcnt vmcnt(16)
	v_mul_f32_e32 v8, v125, v167
	v_fma_f32 v122, v122, v146, -v142
	v_add_f32_e32 v2, v2, v4
	v_mul_f32_e32 v136, v124, v167
	v_fmac_f32_e32 v141, v123, v146
	v_add_f32_e32 v4, v5, v145
	s_waitcnt vmcnt(15) lgkmcnt(3)
	v_mul_f32_e32 v5, v127, v169
	v_add_f32_e32 v2, v2, v122
	v_mul_f32_e32 v147, v126, v169
	s_waitcnt vmcnt(14)
	v_mul_f32_e32 v122, v129, v177
	v_add_f32_e32 v4, v4, v141
	s_waitcnt vmcnt(5)
	v_fma_f32 v8, v124, v179, -v8
	v_fmac_f32_e32 v136, v125, v179
	v_fma_f32 v5, v126, v175, -v5
	v_mul_f32_e32 v135, v128, v177
	v_fmac_f32_e32 v147, v127, v175
	v_add_f32_e32 v2, v2, v8
	v_add_f32_e32 v4, v4, v136
	s_waitcnt lgkmcnt(2)
	v_mul_f32_e32 v8, v131, v178
	v_fma_f32 v122, v128, v174, -v122
	v_mul_f32_e32 v140, v130, v178
	v_add_f32_e32 v2, v2, v5
	v_fmac_f32_e32 v135, v129, v174
	v_add_f32_e32 v4, v4, v147
	v_mul_f32_e32 v5, v133, v170
	v_fma_f32 v8, v130, v158, -v8
	v_add_f32_e32 v2, v2, v122
	v_mul_f32_e32 v3, v132, v170
	v_fmac_f32_e32 v140, v131, v158
	v_add_f32_e32 v4, v4, v135
	s_waitcnt lgkmcnt(1)
	v_mul_f32_e32 v122, v119, v171
	s_waitcnt vmcnt(1)
	v_fma_f32 v5, v132, v180, -v5
	v_add_f32_e32 v2, v2, v8
	v_mul_f32_e32 v137, v118, v171
	v_fmac_f32_e32 v3, v133, v180
	v_add_f32_e32 v4, v4, v140
	v_mul_f32_e32 v8, v121, v172
	v_fma_f32 v118, v118, v161, -v122
	v_add_f32_e32 v2, v2, v5
	v_mul_f32_e32 v139, v120, v172
	v_fmac_f32_e32 v137, v119, v161
	v_add_f32_e32 v3, v4, v3
	s_waitcnt lgkmcnt(0)
	v_mul_f32_e32 v4, v7, v173
	v_fma_f32 v5, v120, v160, -v8
	v_add_f32_e32 v2, v2, v118
	v_mul_f32_e32 v138, v6, v173
	v_fmac_f32_e32 v139, v121, v160
	v_add_f32_e32 v3, v3, v137
	v_fma_f32 v4, v6, v159, -v4
	v_add_f32_e32 v2, v2, v5
	v_fmac_f32_e32 v138, v7, v159
	v_add_f32_e32 v3, v3, v139
	v_add_f32_e32 v2, v2, v4
	;; [unrolled: 1-line block ×3, first 2 shown]
	s_waitcnt vmcnt(0)
	v_sub_f32_e32 v2, v181, v2
	v_sub_f32_e32 v3, v168, v3
	buffer_store_dword v2, off, s[0:3], 0 offset:144
	buffer_store_dword v3, off, s[0:3], 0 offset:148
	v_cmpx_lt_u32_e32 17, v0
	s_cbranch_execz .LBB117_303
; %bb.302:
	s_clause 0x1
	buffer_load_dword v2, off, s[0:3], 0 offset:136
	buffer_load_dword v3, off, s[0:3], 0 offset:140
	buffer_store_dword v1, off, s[0:3], 0 offset:136
	buffer_store_dword v1, off, s[0:3], 0 offset:140
	s_waitcnt vmcnt(0)
	ds_write_b64 v117, v[2:3]
.LBB117_303:
	s_or_b32 exec_lo, exec_lo, s4
	s_waitcnt lgkmcnt(0)
	s_waitcnt_vscnt null, 0x0
	s_barrier
	buffer_gl0_inv
	s_clause 0x2a
	buffer_load_dword v2, off, s[0:3], 0 offset:148
	buffer_load_dword v3, off, s[0:3], 0 offset:156
	;; [unrolled: 1-line block ×43, first 2 shown]
	ds_read_b128 v[4:7], v1 offset:576
	ds_read_b128 v[118:121], v1 offset:592
	;; [unrolled: 1-line block ×3, first 2 shown]
	buffer_load_dword v169, off, s[0:3], 0 offset:140
	s_mov_b32 s4, exec_lo
	s_waitcnt vmcnt(43) lgkmcnt(2)
	v_mul_f32_e32 v166, v5, v2
	v_mul_f32_e32 v167, v4, v2
	s_waitcnt vmcnt(42)
	v_mul_f32_e32 v2, v7, v3
	v_mul_f32_e32 v168, v6, v3
	s_waitcnt vmcnt(39)
	v_fma_f32 v166, v4, v127, -v166
	v_fmac_f32_e32 v167, v5, v127
	v_fma_f32 v6, v6, v126, -v2
	ds_read_b128 v[2:5], v1 offset:624
	v_fmac_f32_e32 v168, v7, v126
	s_waitcnt vmcnt(38) lgkmcnt(2)
	v_mul_f32_e32 v7, v118, v128
	v_mul_f32_e32 v126, v119, v128
	s_waitcnt vmcnt(37)
	v_mul_f32_e32 v127, v120, v129
	v_mul_f32_e32 v128, v121, v129
	s_waitcnt vmcnt(32) lgkmcnt(1)
	v_mul_f32_e32 v129, v123, v134
	v_fmac_f32_e32 v7, v119, v8
	v_fma_f32 v8, v118, v8, -v126
	v_fmac_f32_e32 v127, v121, v133
	v_fma_f32 v126, v120, v133, -v128
	ds_read_b128 v[118:121], v1 offset:640
	v_mul_f32_e32 v128, v122, v134
	s_waitcnt vmcnt(31)
	v_mul_f32_e32 v133, v124, v135
	v_mul_f32_e32 v134, v125, v135
	v_fma_f32 v129, v122, v132, -v129
	v_fmac_f32_e32 v128, v123, v132
	v_fmac_f32_e32 v133, v125, v131
	v_fma_f32 v131, v124, v131, -v134
	ds_read_b128 v[122:125], v1 offset:656
	s_waitcnt vmcnt(30) lgkmcnt(2)
	v_mul_f32_e32 v132, v2, v136
	v_mul_f32_e32 v134, v3, v136
	s_waitcnt vmcnt(29)
	v_mul_f32_e32 v135, v4, v137
	v_mul_f32_e32 v136, v5, v137
	v_fmac_f32_e32 v132, v3, v130
	v_fma_f32 v130, v2, v130, -v134
	s_waitcnt vmcnt(25)
	v_fmac_f32_e32 v135, v5, v141
	v_fma_f32 v134, v4, v141, -v136
	ds_read_b128 v[2:5], v1 offset:672
	s_waitcnt vmcnt(24) lgkmcnt(2)
	v_mul_f32_e32 v136, v118, v142
	v_mul_f32_e32 v137, v119, v142
	s_waitcnt vmcnt(23)
	v_mul_f32_e32 v141, v120, v143
	v_mul_f32_e32 v142, v121, v143
	v_fmac_f32_e32 v136, v119, v140
	v_fma_f32 v137, v118, v140, -v137
	v_fmac_f32_e32 v141, v121, v139
	v_fma_f32 v139, v120, v139, -v142
	ds_read_b128 v[118:121], v1 offset:688
	s_waitcnt vmcnt(22) lgkmcnt(2)
	v_mul_f32_e32 v140, v122, v144
	v_mul_f32_e32 v142, v123, v144
	s_waitcnt vmcnt(21)
	v_mul_f32_e32 v143, v124, v145
	v_mul_f32_e32 v144, v125, v145
	v_fmac_f32_e32 v140, v123, v138
	v_fma_f32 v138, v122, v138, -v142
	s_waitcnt vmcnt(17)
	v_fmac_f32_e32 v143, v125, v149
	v_fma_f32 v142, v124, v149, -v144
	s_waitcnt vmcnt(16) lgkmcnt(1)
	v_mul_f32_e32 v144, v2, v150
	v_mul_f32_e32 v145, v3, v150
	s_waitcnt vmcnt(15)
	v_mul_f32_e32 v149, v4, v151
	v_mul_f32_e32 v150, v5, v151
	ds_read_b128 v[122:125], v1 offset:704
	v_fmac_f32_e32 v144, v3, v148
	v_fma_f32 v145, v2, v148, -v145
	v_fmac_f32_e32 v149, v5, v147
	v_fma_f32 v147, v4, v147, -v150
	s_clause 0x1
	buffer_load_dword v148, off, s[0:3], 0 offset:308
	buffer_load_dword v150, off, s[0:3], 0 offset:316
	s_waitcnt vmcnt(16) lgkmcnt(1)
	v_mul_f32_e32 v151, v118, v152
	v_mul_f32_e32 v2, v119, v152
	s_waitcnt vmcnt(15)
	v_mul_f32_e32 v152, v120, v153
	v_mul_f32_e32 v3, v121, v153
	v_fmac_f32_e32 v151, v119, v146
	v_fma_f32 v146, v118, v146, -v2
	s_waitcnt vmcnt(11)
	v_fmac_f32_e32 v152, v121, v157
	v_fma_f32 v153, v120, v157, -v3
	buffer_load_dword v157, off, s[0:3], 0 offset:324
	ds_read_b128 v[2:5], v1 offset:720
	s_waitcnt vmcnt(11) lgkmcnt(1)
	v_mul_f32_e32 v170, v122, v158
	v_mul_f32_e32 v118, v123, v158
	s_waitcnt vmcnt(10)
	v_mul_f32_e32 v158, v124, v159
	v_mul_f32_e32 v119, v125, v159
	s_clause 0x5
	buffer_load_dword v159, off, s[0:3], 0 offset:332
	buffer_load_dword v171, off, s[0:3], 0 offset:352
	;; [unrolled: 1-line block ×6, first 2 shown]
	v_fmac_f32_e32 v170, v123, v156
	v_fma_f32 v156, v122, v156, -v118
	v_fmac_f32_e32 v158, v125, v155
	v_fma_f32 v155, v124, v155, -v119
	s_waitcnt vmcnt(15) lgkmcnt(0)
	v_mul_f32_e32 v175, v2, v160
	v_mul_f32_e32 v118, v3, v160
	s_waitcnt vmcnt(14)
	v_mul_f32_e32 v160, v4, v161
	v_fmac_f32_e32 v175, v3, v154
	v_add_f32_e32 v3, 0, v166
	v_fma_f32 v154, v2, v154, -v118
	v_add_f32_e32 v2, 0, v167
	v_mul_f32_e32 v118, v5, v161
	s_clause 0x1
	buffer_load_dword v161, off, s[0:3], 0 offset:356
	buffer_load_dword v166, off, s[0:3], 0 offset:364
	v_add_f32_e32 v3, v3, v6
	buffer_load_dword v6, off, s[0:3], 0 offset:348
	v_add_f32_e32 v2, v2, v168
	s_waitcnt vmcnt(13)
	v_fmac_f32_e32 v160, v5, v165
	v_fma_f32 v165, v4, v165, -v118
	v_add_f32_e32 v3, v3, v8
	v_add_f32_e32 v2, v2, v7
	s_clause 0x11
	buffer_load_dword v7, off, s[0:3], 0 offset:372
	buffer_load_dword v8, off, s[0:3], 0 offset:380
	;; [unrolled: 1-line block ×18, first 2 shown]
	v_add_f32_e32 v3, v3, v126
	v_add_f32_e32 v2, v2, v127
	;; [unrolled: 1-line block ×16, first 2 shown]
	ds_read_b128 v[2:5], v1 offset:736
	v_add_f32_e32 v118, v118, v142
	v_add_f32_e32 v119, v119, v143
	;; [unrolled: 1-line block ×4, first 2 shown]
	ds_read_b128 v[118:121], v1 offset:752
	v_add_f32_e32 v122, v122, v147
	v_add_f32_e32 v123, v123, v149
	v_add_f32_e32 v122, v122, v146
	v_add_f32_e32 v126, v123, v151
	v_add_f32_e32 v127, v122, v153
	v_add_f32_e32 v126, v126, v152
	v_add_f32_e32 v127, v127, v156
	v_add_f32_e32 v126, v126, v170
	v_add_f32_e32 v130, v126, v158
	v_add_f32_e32 v135, v130, v175
	v_add_f32_e32 v146, v135, v160
	s_waitcnt vmcnt(29) lgkmcnt(1)
	v_mul_f32_e32 v138, v2, v148
	v_mul_f32_e32 v124, v3, v148
	s_waitcnt vmcnt(28)
	v_mul_f32_e32 v139, v4, v150
	v_mul_f32_e32 v125, v5, v150
	v_fmac_f32_e32 v138, v3, v164
	v_fma_f32 v134, v2, v164, -v124
	v_fmac_f32_e32 v139, v5, v163
	v_fma_f32 v140, v4, v163, -v125
	ds_read_b128 v[2:5], v1 offset:768
	ds_read_b128 v[122:125], v1 offset:784
	s_waitcnt vmcnt(27) lgkmcnt(2)
	v_mul_f32_e32 v141, v118, v157
	v_mul_f32_e32 v128, v119, v157
	v_fmac_f32_e32 v141, v119, v162
	v_add_f32_e32 v119, v127, v155
	v_fma_f32 v143, v118, v162, -v128
	s_waitcnt vmcnt(26)
	v_mul_f32_e32 v142, v120, v159
	v_mul_f32_e32 v129, v121, v159
	v_add_f32_e32 v131, v119, v154
	s_waitcnt vmcnt(22)
	v_fmac_f32_e32 v142, v121, v174
	v_fma_f32 v144, v120, v174, -v129
	v_add_f32_e32 v137, v131, v165
	ds_read_b128 v[118:121], v1 offset:800
	ds_read_b128 v[126:129], v1 offset:816
	s_waitcnt vmcnt(21) lgkmcnt(3)
	v_mul_f32_e32 v145, v2, v176
	v_mul_f32_e32 v136, v3, v176
	ds_read_b128 v[130:133], v1 offset:832
	v_fmac_f32_e32 v145, v3, v173
	v_add_f32_e32 v3, v137, v134
	v_fma_f32 v2, v2, v173, -v136
	ds_read_b128 v[134:137], v1 offset:848
	v_add_f32_e32 v1, v146, v138
	v_add_f32_e32 v3, v3, v140
	s_waitcnt vmcnt(20) lgkmcnt(4)
	v_mul_f32_e32 v146, v123, v161
	v_add_f32_e32 v1, v1, v139
	v_mul_f32_e32 v140, v122, v161
	v_add_f32_e32 v3, v3, v143
	s_waitcnt vmcnt(18)
	v_mul_f32_e32 v138, v4, v6
	v_mul_f32_e32 v6, v5, v6
	v_add_f32_e32 v1, v1, v141
	v_fma_f32 v122, v122, v171, -v146
	v_add_f32_e32 v3, v3, v144
	v_fmac_f32_e32 v138, v5, v172
	v_fma_f32 v4, v4, v172, -v6
	v_add_f32_e32 v1, v1, v142
	v_mul_f32_e32 v142, v125, v166
	v_add_f32_e32 v2, v3, v2
	v_mul_f32_e32 v139, v124, v166
	v_fmac_f32_e32 v140, v123, v171
	v_add_f32_e32 v1, v1, v145
	s_waitcnt vmcnt(17) lgkmcnt(3)
	v_mul_f32_e32 v5, v118, v7
	v_add_f32_e32 v2, v2, v4
	v_mul_f32_e32 v4, v119, v7
	s_waitcnt vmcnt(6)
	v_fma_f32 v7, v124, v184, -v142
	v_add_f32_e32 v1, v1, v138
	v_fmac_f32_e32 v139, v125, v184
	v_add_f32_e32 v2, v2, v122
	v_mul_f32_e32 v6, v120, v8
	v_mul_f32_e32 v8, v121, v8
	v_add_f32_e32 v1, v1, v140
	v_fma_f32 v4, v118, v183, -v4
	v_add_f32_e32 v2, v2, v7
	v_fmac_f32_e32 v5, v119, v183
	s_waitcnt lgkmcnt(2)
	v_mul_f32_e32 v7, v127, v167
	v_add_f32_e32 v1, v1, v139
	v_fma_f32 v8, v120, v182, -v8
	v_add_f32_e32 v2, v2, v4
	v_mul_f32_e32 v141, v126, v167
	v_fmac_f32_e32 v6, v121, v182
	v_add_f32_e32 v1, v1, v5
	v_mul_f32_e32 v4, v129, v168
	v_fma_f32 v5, v126, v181, -v7
	v_add_f32_e32 v2, v2, v8
	v_mul_f32_e32 v143, v128, v168
	v_fmac_f32_e32 v141, v127, v181
	v_add_f32_e32 v1, v1, v6
	s_waitcnt lgkmcnt(1)
	v_mul_f32_e32 v6, v131, v177
	s_waitcnt vmcnt(2)
	v_fma_f32 v4, v128, v188, -v4
	v_add_f32_e32 v2, v2, v5
	v_mul_f32_e32 v147, v130, v177
	v_fmac_f32_e32 v143, v129, v188
	v_add_f32_e32 v1, v1, v141
	v_mul_f32_e32 v5, v133, v178
	v_fma_f32 v6, v130, v187, -v6
	v_add_f32_e32 v2, v2, v4
	v_mul_f32_e32 v144, v132, v178
	v_fmac_f32_e32 v147, v131, v187
	v_add_f32_e32 v1, v1, v143
	s_waitcnt lgkmcnt(0)
	v_mul_f32_e32 v4, v135, v179
	v_fma_f32 v5, v132, v186, -v5
	v_add_f32_e32 v2, v2, v6
	v_mul_f32_e32 v148, v134, v179
	v_fmac_f32_e32 v144, v133, v186
	v_add_f32_e32 v1, v1, v147
	v_mul_f32_e32 v6, v137, v180
	v_fma_f32 v4, v134, v185, -v4
	v_add_f32_e32 v2, v2, v5
	v_mul_f32_e32 v3, v136, v180
	v_fmac_f32_e32 v148, v135, v185
	v_add_f32_e32 v1, v1, v144
	s_waitcnt vmcnt(1)
	v_fma_f32 v5, v136, v189, -v6
	v_add_f32_e32 v2, v2, v4
	v_fmac_f32_e32 v3, v137, v189
	v_add_f32_e32 v1, v1, v148
	v_add_f32_e32 v2, v2, v5
	;; [unrolled: 1-line block ×3, first 2 shown]
	s_waitcnt vmcnt(0)
	v_sub_f32_e32 v2, v190, v2
	v_sub_f32_e32 v1, v169, v1
	buffer_store_dword v2, off, s[0:3], 0 offset:136
	buffer_store_dword v1, off, s[0:3], 0 offset:140
	v_cmpx_lt_u32_e32 16, v0
	s_cbranch_execz .LBB117_305
; %bb.304:
	s_clause 0x1
	buffer_load_dword v1, off, s[0:3], 0 offset:128
	buffer_load_dword v2, off, s[0:3], 0 offset:132
	v_mov_b32_e32 v3, 0
	buffer_store_dword v3, off, s[0:3], 0 offset:128
	buffer_store_dword v3, off, s[0:3], 0 offset:132
	s_waitcnt vmcnt(0)
	ds_write_b64 v117, v[1:2]
.LBB117_305:
	s_or_b32 exec_lo, exec_lo, s4
	s_waitcnt lgkmcnt(0)
	s_waitcnt_vscnt null, 0x0
	s_barrier
	buffer_gl0_inv
	s_clause 0x2b
	buffer_load_dword v6, off, s[0:3], 0 offset:140
	buffer_load_dword v7, off, s[0:3], 0 offset:152
	;; [unrolled: 1-line block ×44, first 2 shown]
	v_mov_b32_e32 v1, 0
	ds_read2_b64 v[2:5], v1 offset0:71 offset1:72
	ds_read2_b64 v[118:121], v1 offset0:73 offset1:74
	ds_read2_b64 v[122:125], v1 offset0:75 offset1:76
	buffer_load_dword v168, off, s[0:3], 0 offset:132
	s_mov_b32 s4, exec_lo
	s_waitcnt vmcnt(44) lgkmcnt(2)
	v_mul_f32_e32 v167, v3, v6
	v_mul_f32_e32 v6, v2, v6
	s_waitcnt vmcnt(41)
	v_fma_f32 v167, v2, v126, -v167
	v_fmac_f32_e32 v6, v3, v126
	s_waitcnt vmcnt(40)
	v_mul_f32_e32 v126, v4, v127
	v_mul_f32_e32 v2, v5, v127
	s_waitcnt vmcnt(39) lgkmcnt(1)
	v_mul_f32_e32 v127, v118, v128
	v_mul_f32_e32 v128, v119, v128
	v_add_f32_e32 v6, 0, v6
	v_fmac_f32_e32 v126, v5, v8
	v_fma_f32 v8, v4, v8, -v2
	ds_read2_b64 v[2:5], v1 offset0:77 offset1:78
	v_fmac_f32_e32 v127, v119, v7
	v_fma_f32 v7, v118, v7, -v128
	s_waitcnt vmcnt(38)
	v_mul_f32_e32 v128, v120, v129
	v_mul_f32_e32 v118, v121, v129
	v_add_f32_e32 v6, v6, v126
	s_waitcnt vmcnt(34)
	v_fmac_f32_e32 v128, v121, v133
	v_fma_f32 v129, v120, v133, -v118
	s_waitcnt vmcnt(33) lgkmcnt(1)
	v_mul_f32_e32 v133, v122, v134
	v_mul_f32_e32 v134, v123, v134
	ds_read2_b64 v[118:121], v1 offset0:79 offset1:80
	v_add_f32_e32 v6, v6, v127
	v_fmac_f32_e32 v133, v123, v132
	v_fma_f32 v132, v122, v132, -v134
	s_waitcnt vmcnt(32)
	v_mul_f32_e32 v134, v124, v135
	v_mul_f32_e32 v122, v125, v135
	v_add_f32_e32 v6, v6, v128
	s_waitcnt vmcnt(31) lgkmcnt(1)
	v_mul_f32_e32 v135, v2, v136
	v_mul_f32_e32 v136, v3, v136
	v_fmac_f32_e32 v134, v125, v131
	v_fma_f32 v131, v124, v131, -v122
	ds_read2_b64 v[122:125], v1 offset0:81 offset1:82
	v_fmac_f32_e32 v135, v3, v130
	v_fma_f32 v130, v2, v130, -v136
	s_waitcnt vmcnt(30)
	v_mul_f32_e32 v136, v4, v137
	v_mul_f32_e32 v2, v5, v137
	v_add_f32_e32 v6, v6, v133
	s_waitcnt vmcnt(26)
	v_fmac_f32_e32 v136, v5, v141
	v_fma_f32 v137, v4, v141, -v2
	ds_read2_b64 v[2:5], v1 offset0:83 offset1:84
	s_waitcnt vmcnt(25) lgkmcnt(2)
	v_mul_f32_e32 v141, v118, v142
	v_mul_f32_e32 v142, v119, v142
	v_add_f32_e32 v6, v6, v134
	v_fmac_f32_e32 v141, v119, v140
	v_fma_f32 v140, v118, v140, -v142
	s_waitcnt vmcnt(24)
	v_mul_f32_e32 v142, v120, v143
	v_mul_f32_e32 v118, v121, v143
	s_waitcnt vmcnt(23) lgkmcnt(1)
	v_mul_f32_e32 v143, v122, v144
	v_mul_f32_e32 v144, v123, v144
	v_add_f32_e32 v6, v6, v135
	v_fmac_f32_e32 v142, v121, v139
	v_fma_f32 v139, v120, v139, -v118
	ds_read2_b64 v[118:121], v1 offset0:85 offset1:86
	v_fmac_f32_e32 v143, v123, v138
	v_fma_f32 v138, v122, v138, -v144
	s_waitcnt vmcnt(22)
	v_mul_f32_e32 v144, v124, v145
	v_mul_f32_e32 v122, v125, v145
	s_waitcnt vmcnt(18)
	v_fmac_f32_e32 v144, v125, v149
	v_fma_f32 v145, v124, v149, -v122
	s_waitcnt vmcnt(17) lgkmcnt(1)
	v_mul_f32_e32 v149, v2, v150
	v_mul_f32_e32 v122, v3, v150
	s_waitcnt vmcnt(16)
	v_mul_f32_e32 v150, v4, v151
	v_mul_f32_e32 v151, v5, v151
	v_fmac_f32_e32 v149, v3, v148
	v_fma_f32 v148, v2, v148, -v122
	ds_read2_b64 v[122:125], v1 offset0:87 offset1:88
	v_fmac_f32_e32 v150, v5, v147
	v_fma_f32 v147, v4, v147, -v151
	s_clause 0x1
	buffer_load_dword v151, off, s[0:3], 0 offset:308
	buffer_load_dword v169, off, s[0:3], 0 offset:316
	v_add_f32_e32 v4, 0, v167
	s_waitcnt vmcnt(17) lgkmcnt(1)
	v_mul_f32_e32 v170, v118, v152
	v_mul_f32_e32 v2, v119, v152
	s_waitcnt vmcnt(16)
	v_mul_f32_e32 v3, v121, v153
	v_mul_f32_e32 v152, v120, v153
	v_add_f32_e32 v8, v4, v8
	v_fmac_f32_e32 v170, v119, v146
	v_fma_f32 v146, v118, v146, -v2
	s_waitcnt vmcnt(12)
	v_fma_f32 v153, v120, v157, -v3
	ds_read2_b64 v[2:5], v1 offset0:89 offset1:90
	v_add_f32_e32 v7, v8, v7
	buffer_load_dword v171, off, s[0:3], 0 offset:324
	v_fmac_f32_e32 v152, v121, v157
	v_add_f32_e32 v7, v7, v129
	s_waitcnt vmcnt(12) lgkmcnt(1)
	v_mul_f32_e32 v157, v122, v158
	v_mul_f32_e32 v118, v123, v158
	s_clause 0x3
	buffer_load_dword v8, off, s[0:3], 0 offset:344
	buffer_load_dword v158, off, s[0:3], 0 offset:336
	;; [unrolled: 1-line block ×4, first 2 shown]
	s_waitcnt vmcnt(15)
	v_mul_f32_e32 v127, v124, v159
	v_add_f32_e32 v7, v7, v132
	v_fmac_f32_e32 v157, v123, v156
	v_fma_f32 v122, v122, v156, -v118
	s_clause 0x1
	buffer_load_dword v156, off, s[0:3], 0 offset:332
	buffer_load_dword v172, off, s[0:3], 0 offset:340
	v_mul_f32_e32 v118, v125, v159
	buffer_load_dword v159, off, s[0:3], 0 offset:348
	v_add_f32_e32 v7, v7, v131
	v_fmac_f32_e32 v127, v125, v155
	s_waitcnt vmcnt(17) lgkmcnt(0)
	v_mul_f32_e32 v131, v2, v160
	v_mul_f32_e32 v123, v3, v160
	v_add_f32_e32 v7, v7, v130
	v_fma_f32 v128, v124, v155, -v118
	s_waitcnt vmcnt(16)
	v_mul_f32_e32 v130, v4, v161
	v_mul_f32_e32 v124, v5, v161
	v_fmac_f32_e32 v131, v3, v154
	v_fma_f32 v132, v2, v154, -v123
	v_add_f32_e32 v2, v7, v137
	v_add_f32_e32 v3, v6, v136
	s_clause 0x3
	buffer_load_dword v155, off, s[0:3], 0 offset:356
	buffer_load_dword v173, off, s[0:3], 0 offset:364
	;; [unrolled: 1-line block ×4, first 2 shown]
	ds_read2_b64 v[118:121], v1 offset0:91 offset1:92
	s_clause 0x3
	buffer_load_dword v134, off, s[0:3], 0 offset:388
	buffer_load_dword v135, off, s[0:3], 0 offset:396
	;; [unrolled: 1-line block ×4, first 2 shown]
	s_waitcnt vmcnt(20)
	v_fmac_f32_e32 v130, v5, v165
	v_fma_f32 v6, v4, v165, -v124
	buffer_load_dword v154, off, s[0:3], 0 offset:420
	v_add_f32_e32 v2, v2, v140
	v_add_f32_e32 v3, v3, v141
	s_clause 0x4
	buffer_load_dword v140, off, s[0:3], 0 offset:376
	buffer_load_dword v141, off, s[0:3], 0 offset:368
	buffer_load_dword v160, off, s[0:3], 0 offset:360
	buffer_load_dword v161, off, s[0:3], 0 offset:352
	buffer_load_dword v165, off, s[0:3], 0 offset:428
	v_add_f32_e32 v2, v2, v139
	v_add_f32_e32 v7, v3, v142
	;; [unrolled: 1-line block ×4, first 2 shown]
	ds_read2_b64 v[2:5], v1 offset0:93 offset1:94
	s_waitcnt vmcnt(25) lgkmcnt(1)
	v_mul_f32_e32 v124, v119, v166
	v_add_f32_e32 v7, v7, v144
	s_clause 0x3
	buffer_load_dword v139, off, s[0:3], 0 offset:408
	buffer_load_dword v142, off, s[0:3], 0 offset:400
	;; [unrolled: 1-line block ×4, first 2 shown]
	v_add_f32_e32 v123, v123, v145
	v_mul_f32_e32 v138, v118, v166
	v_fma_f32 v133, v118, v164, -v124
	v_add_f32_e32 v7, v7, v149
	v_add_f32_e32 v118, v123, v148
	v_fmac_f32_e32 v138, v119, v164
	v_add_f32_e32 v7, v7, v150
	v_add_f32_e32 v118, v118, v147
	s_clause 0x2
	buffer_load_dword v145, off, s[0:3], 0 offset:424
	buffer_load_dword v147, off, s[0:3], 0 offset:416
	buffer_load_dword v148, off, s[0:3], 0 offset:128
	v_add_f32_e32 v7, v7, v170
	v_add_f32_e32 v123, v118, v146
	;; [unrolled: 1-line block ×6, first 2 shown]
	ds_read2_b64 v[122:125], v1 offset0:97 offset1:98
	v_add_f32_e32 v7, v7, v127
	v_add_f32_e32 v152, v152, v128
	v_add_f32_e32 v7, v7, v131
	v_add_f32_e32 v132, v152, v132
	v_add_f32_e32 v7, v7, v130
	v_add_f32_e32 v6, v132, v6
	v_add_f32_e32 v138, v7, v138
	v_add_f32_e32 v6, v6, v133
	s_waitcnt vmcnt(30)
	v_mul_f32_e32 v146, v120, v151
	v_mul_f32_e32 v118, v121, v151
	s_waitcnt vmcnt(29) lgkmcnt(1)
	v_mul_f32_e32 v129, v3, v169
	v_mul_f32_e32 v150, v2, v169
	v_fmac_f32_e32 v146, v121, v163
	v_fma_f32 v149, v120, v163, -v118
	ds_read2_b64 v[118:121], v1 offset0:95 offset1:96
	v_fma_f32 v157, v2, v162, -v129
	v_fmac_f32_e32 v150, v3, v162
	v_add_f32_e32 v138, v138, v146
	v_add_f32_e32 v149, v6, v149
	s_waitcnt vmcnt(28)
	v_mul_f32_e32 v153, v5, v171
	v_mul_f32_e32 v151, v4, v171
	v_add_f32_e32 v138, v138, v150
	v_add_f32_e32 v149, v149, v157
	s_waitcnt vmcnt(24)
	v_fma_f32 v153, v4, v126, -v153
	v_fmac_f32_e32 v151, v5, v126
	ds_read2_b64 v[2:5], v1 offset0:99 offset1:100
	ds_read2_b64 v[126:129], v1 offset0:101 offset1:102
	;; [unrolled: 1-line block ×3, first 2 shown]
	ds_read_b64 v[6:7], v1 offset:856
	v_add_f32_e32 v149, v149, v153
	v_add_f32_e32 v138, v138, v151
	s_waitcnt vmcnt(23) lgkmcnt(4)
	v_mul_f32_e32 v152, v118, v156
	v_mul_f32_e32 v156, v119, v156
	s_waitcnt vmcnt(22)
	v_mul_f32_e32 v162, v120, v172
	v_mul_f32_e32 v163, v121, v172
	s_waitcnt vmcnt(21)
	v_mul_f32_e32 v157, v123, v159
	v_fmac_f32_e32 v152, v119, v167
	v_fma_f32 v156, v118, v167, -v156
	v_fmac_f32_e32 v162, v121, v158
	v_fma_f32 v158, v120, v158, -v163
	v_mul_f32_e32 v163, v122, v159
	ds_read2_b64 v[118:121], v1 offset0:105 offset1:106
	v_add_f32_e32 v149, v149, v156
	s_waitcnt vmcnt(20)
	v_mul_f32_e32 v146, v124, v155
	v_mul_f32_e32 v155, v125, v155
	v_fmac_f32_e32 v163, v123, v8
	v_add_f32_e32 v123, v138, v152
	v_fma_f32 v8, v122, v8, -v157
	v_add_f32_e32 v149, v149, v158
	s_waitcnt vmcnt(19) lgkmcnt(4)
	v_mul_f32_e32 v150, v2, v173
	v_mul_f32_e32 v157, v3, v173
	v_add_f32_e32 v123, v123, v162
	s_waitcnt vmcnt(8)
	v_fma_f32 v124, v124, v161, -v155
	v_add_f32_e32 v8, v149, v8
	v_fmac_f32_e32 v146, v125, v161
	v_mul_f32_e32 v125, v5, v174
	v_add_f32_e32 v123, v123, v163
	v_fmac_f32_e32 v150, v3, v160
	v_fma_f32 v2, v2, v160, -v157
	v_add_f32_e32 v3, v8, v124
	v_mul_f32_e32 v153, v4, v174
	v_add_f32_e32 v8, v123, v146
	s_waitcnt lgkmcnt(3)
	v_mul_f32_e32 v123, v127, v175
	v_fma_f32 v4, v4, v141, -v125
	v_add_f32_e32 v2, v3, v2
	v_mul_f32_e32 v159, v126, v175
	v_fmac_f32_e32 v153, v5, v141
	v_add_f32_e32 v3, v8, v150
	v_mul_f32_e32 v5, v129, v134
	v_fma_f32 v8, v126, v140, -v123
	v_add_f32_e32 v2, v2, v4
	v_mul_f32_e32 v151, v128, v134
	v_fmac_f32_e32 v159, v127, v140
	v_add_f32_e32 v3, v3, v153
	s_waitcnt lgkmcnt(2)
	v_mul_f32_e32 v4, v131, v135
	s_waitcnt vmcnt(3)
	v_fma_f32 v5, v128, v144, -v5
	v_add_f32_e32 v2, v2, v8
	v_mul_f32_e32 v156, v130, v135
	v_fmac_f32_e32 v151, v129, v144
	v_add_f32_e32 v3, v3, v159
	v_mul_f32_e32 v8, v133, v136
	v_fma_f32 v4, v130, v143, -v4
	v_add_f32_e32 v2, v2, v5
	v_mul_f32_e32 v122, v132, v136
	v_fmac_f32_e32 v156, v131, v143
	v_add_f32_e32 v3, v3, v151
	s_waitcnt lgkmcnt(0)
	v_mul_f32_e32 v5, v119, v137
	v_fma_f32 v8, v132, v142, -v8
	v_add_f32_e32 v2, v2, v4
	v_mul_f32_e32 v138, v118, v137
	v_fmac_f32_e32 v122, v133, v142
	v_add_f32_e32 v3, v3, v156
	v_mul_f32_e32 v4, v121, v154
	v_fma_f32 v5, v118, v139, -v5
	v_add_f32_e32 v2, v2, v8
	v_mul_f32_e32 v152, v120, v154
	v_fmac_f32_e32 v138, v119, v139
	v_add_f32_e32 v3, v3, v122
	v_mul_f32_e32 v8, v7, v165
	s_waitcnt vmcnt(1)
	v_fma_f32 v4, v120, v147, -v4
	v_add_f32_e32 v2, v2, v5
	v_mul_f32_e32 v158, v6, v165
	v_fmac_f32_e32 v152, v121, v147
	v_add_f32_e32 v3, v3, v138
	v_fma_f32 v5, v6, v145, -v8
	v_add_f32_e32 v2, v2, v4
	v_fmac_f32_e32 v158, v7, v145
	v_add_f32_e32 v3, v3, v152
	v_add_f32_e32 v2, v2, v5
	;; [unrolled: 1-line block ×3, first 2 shown]
	s_waitcnt vmcnt(0)
	v_sub_f32_e32 v2, v148, v2
	v_sub_f32_e32 v3, v168, v3
	buffer_store_dword v2, off, s[0:3], 0 offset:128
	buffer_store_dword v3, off, s[0:3], 0 offset:132
	v_cmpx_lt_u32_e32 15, v0
	s_cbranch_execz .LBB117_307
; %bb.306:
	s_clause 0x1
	buffer_load_dword v2, off, s[0:3], 0 offset:120
	buffer_load_dword v3, off, s[0:3], 0 offset:124
	buffer_store_dword v1, off, s[0:3], 0 offset:120
	buffer_store_dword v1, off, s[0:3], 0 offset:124
	s_waitcnt vmcnt(0)
	ds_write_b64 v117, v[2:3]
.LBB117_307:
	s_or_b32 exec_lo, exec_lo, s4
	s_waitcnt lgkmcnt(0)
	s_waitcnt_vscnt null, 0x0
	s_barrier
	buffer_gl0_inv
	s_clause 0x2b
	buffer_load_dword v6, off, s[0:3], 0 offset:132
	buffer_load_dword v7, off, s[0:3], 0 offset:144
	;; [unrolled: 1-line block ×44, first 2 shown]
	ds_read_b128 v[2:5], v1 offset:560
	ds_read_b128 v[118:121], v1 offset:576
	;; [unrolled: 1-line block ×3, first 2 shown]
	buffer_load_dword v168, off, s[0:3], 0 offset:124
	s_mov_b32 s4, exec_lo
	s_waitcnt vmcnt(44) lgkmcnt(2)
	v_mul_f32_e32 v167, v3, v6
	v_mul_f32_e32 v6, v2, v6
	s_waitcnt vmcnt(41)
	v_fma_f32 v167, v2, v126, -v167
	v_fmac_f32_e32 v6, v3, v126
	s_waitcnt vmcnt(40)
	v_mul_f32_e32 v126, v4, v127
	v_mul_f32_e32 v2, v5, v127
	s_waitcnt vmcnt(39) lgkmcnt(1)
	v_mul_f32_e32 v127, v118, v128
	v_mul_f32_e32 v128, v119, v128
	v_add_f32_e32 v6, 0, v6
	v_fmac_f32_e32 v126, v5, v8
	v_fma_f32 v8, v4, v8, -v2
	ds_read_b128 v[2:5], v1 offset:608
	v_fmac_f32_e32 v127, v119, v7
	v_fma_f32 v7, v118, v7, -v128
	s_waitcnt vmcnt(38)
	v_mul_f32_e32 v128, v120, v129
	v_mul_f32_e32 v118, v121, v129
	v_add_f32_e32 v6, v6, v126
	s_waitcnt vmcnt(34)
	v_fmac_f32_e32 v128, v121, v133
	v_fma_f32 v129, v120, v133, -v118
	s_waitcnt vmcnt(33) lgkmcnt(1)
	v_mul_f32_e32 v133, v122, v134
	v_mul_f32_e32 v134, v123, v134
	ds_read_b128 v[118:121], v1 offset:624
	v_add_f32_e32 v6, v6, v127
	v_fmac_f32_e32 v133, v123, v132
	v_fma_f32 v132, v122, v132, -v134
	s_waitcnt vmcnt(32)
	v_mul_f32_e32 v134, v124, v135
	v_mul_f32_e32 v122, v125, v135
	v_add_f32_e32 v6, v6, v128
	s_waitcnt vmcnt(31) lgkmcnt(1)
	v_mul_f32_e32 v135, v2, v136
	v_mul_f32_e32 v136, v3, v136
	v_fmac_f32_e32 v134, v125, v131
	v_fma_f32 v131, v124, v131, -v122
	ds_read_b128 v[122:125], v1 offset:640
	v_fmac_f32_e32 v135, v3, v130
	v_fma_f32 v130, v2, v130, -v136
	s_waitcnt vmcnt(30)
	v_mul_f32_e32 v136, v4, v137
	v_mul_f32_e32 v2, v5, v137
	v_add_f32_e32 v6, v6, v133
	s_waitcnt vmcnt(26)
	v_fmac_f32_e32 v136, v5, v141
	v_fma_f32 v137, v4, v141, -v2
	s_waitcnt vmcnt(25) lgkmcnt(1)
	v_mul_f32_e32 v141, v118, v142
	v_mul_f32_e32 v2, v119, v142
	s_waitcnt vmcnt(24)
	v_mul_f32_e32 v142, v120, v143
	v_mul_f32_e32 v143, v121, v143
	v_add_f32_e32 v6, v6, v134
	v_fmac_f32_e32 v141, v119, v140
	v_fma_f32 v140, v118, v140, -v2
	ds_read_b128 v[2:5], v1 offset:656
	v_fmac_f32_e32 v142, v121, v139
	v_fma_f32 v139, v120, v139, -v143
	ds_read_b128 v[118:121], v1 offset:672
	s_waitcnt vmcnt(23) lgkmcnt(2)
	v_mul_f32_e32 v143, v122, v144
	v_mul_f32_e32 v144, v123, v144
	v_fmac_f32_e32 v143, v123, v138
	v_fma_f32 v122, v122, v138, -v144
	s_waitcnt vmcnt(22)
	v_mul_f32_e32 v123, v124, v145
	v_mul_f32_e32 v138, v125, v145
	s_waitcnt vmcnt(18)
	v_fmac_f32_e32 v123, v125, v149
	v_fma_f32 v124, v124, v149, -v138
	s_clause 0x1
	buffer_load_dword v125, off, s[0:3], 0 offset:300
	buffer_load_dword v138, off, s[0:3], 0 offset:308
	s_waitcnt vmcnt(19) lgkmcnt(1)
	v_mul_f32_e32 v144, v2, v150
	v_mul_f32_e32 v145, v3, v150
	s_waitcnt vmcnt(18)
	v_mul_f32_e32 v149, v4, v151
	v_mul_f32_e32 v150, v5, v151
	s_waitcnt vmcnt(17) lgkmcnt(0)
	v_mul_f32_e32 v151, v118, v152
	v_mul_f32_e32 v152, v119, v152
	v_fmac_f32_e32 v144, v3, v148
	v_fma_f32 v145, v2, v148, -v145
	v_fmac_f32_e32 v149, v5, v147
	v_fmac_f32_e32 v151, v119, v146
	v_fma_f32 v146, v118, v146, -v152
	v_add_f32_e32 v118, 0, v167
	v_fma_f32 v147, v4, v147, -v150
	ds_read_b128 v[2:5], v1 offset:688
	s_waitcnt vmcnt(16)
	v_mul_f32_e32 v148, v120, v153
	v_mul_f32_e32 v153, v121, v153
	v_add_f32_e32 v8, v118, v8
	s_waitcnt vmcnt(12)
	v_fmac_f32_e32 v148, v121, v157
	v_fma_f32 v150, v120, v157, -v153
	s_clause 0x4
	buffer_load_dword v152, off, s[0:3], 0 offset:316
	buffer_load_dword v153, off, s[0:3], 0 offset:336
	;; [unrolled: 1-line block ×5, first 2 shown]
	v_add_f32_e32 v7, v8, v7
	s_clause 0x2
	buffer_load_dword v8, off, s[0:3], 0 offset:324
	buffer_load_dword v170, off, s[0:3], 0 offset:332
	;; [unrolled: 1-line block ×3, first 2 shown]
	ds_read_b128 v[118:121], v1 offset:704
	v_add_f32_e32 v7, v7, v129
	v_add_f32_e32 v7, v7, v132
	s_waitcnt vmcnt(19) lgkmcnt(1)
	v_mul_f32_e32 v126, v2, v158
	v_mul_f32_e32 v127, v3, v158
	s_waitcnt vmcnt(18)
	v_mul_f32_e32 v128, v4, v159
	v_mul_f32_e32 v129, v5, v159
	v_fmac_f32_e32 v126, v3, v156
	v_add_f32_e32 v3, v7, v131
	v_fma_f32 v7, v2, v156, -v127
	v_fmac_f32_e32 v128, v5, v155
	v_fma_f32 v127, v4, v155, -v129
	v_add_f32_e32 v2, v3, v130
	v_add_f32_e32 v3, v6, v135
	s_clause 0x7
	buffer_load_dword v6, off, s[0:3], 0 offset:348
	buffer_load_dword v155, off, s[0:3], 0 offset:356
	;; [unrolled: 1-line block ×8, first 2 shown]
	s_waitcnt vmcnt(25) lgkmcnt(0)
	v_mul_f32_e32 v4, v119, v160
	v_mul_f32_e32 v129, v118, v160
	v_add_f32_e32 v2, v2, v137
	v_add_f32_e32 v3, v3, v136
	s_clause 0x3
	buffer_load_dword v160, off, s[0:3], 0 offset:380
	buffer_load_dword v175, off, s[0:3], 0 offset:388
	buffer_load_dword v176, off, s[0:3], 0 offset:396
	buffer_load_dword v177, off, s[0:3], 0 offset:404
	v_fma_f32 v130, v118, v154, -v4
	v_fmac_f32_e32 v129, v119, v154
	v_add_f32_e32 v2, v2, v140
	v_add_f32_e32 v118, v3, v141
	s_waitcnt vmcnt(28)
	v_mul_f32_e32 v3, v121, v161
	s_clause 0x1
	buffer_load_dword v140, off, s[0:3], 0 offset:412
	buffer_load_dword v154, off, s[0:3], 0 offset:420
	v_mul_f32_e32 v131, v120, v161
	v_add_f32_e32 v119, v2, v139
	v_add_f32_e32 v118, v118, v142
	s_waitcnt vmcnt(26)
	v_fma_f32 v132, v120, v165, -v3
	ds_read_b128 v[2:5], v1 offset:720
	buffer_load_dword v139, off, s[0:3], 0 offset:428
	v_add_f32_e32 v119, v119, v122
	v_add_f32_e32 v118, v118, v143
	s_clause 0x3
	buffer_load_dword v141, off, s[0:3], 0 offset:400
	buffer_load_dword v142, off, s[0:3], 0 offset:392
	;; [unrolled: 1-line block ×4, first 2 shown]
	v_fmac_f32_e32 v131, v121, v165
	v_add_f32_e32 v119, v119, v124
	v_add_f32_e32 v118, v118, v123
	;; [unrolled: 1-line block ×4, first 2 shown]
	ds_read_b128 v[118:121], v1 offset:736
	v_add_f32_e32 v122, v122, v147
	s_waitcnt vmcnt(30) lgkmcnt(1)
	v_mul_f32_e32 v133, v2, v166
	v_mul_f32_e32 v124, v3, v166
	v_fmac_f32_e32 v133, v3, v164
	v_add_f32_e32 v3, v122, v146
	s_clause 0x3
	buffer_load_dword v144, off, s[0:3], 0 offset:424
	buffer_load_dword v145, off, s[0:3], 0 offset:416
	;; [unrolled: 1-line block ×4, first 2 shown]
	v_fma_f32 v134, v2, v164, -v124
	v_add_f32_e32 v2, v123, v149
	v_add_f32_e32 v3, v3, v150
	;; [unrolled: 1-line block ×13, first 2 shown]
	s_waitcnt vmcnt(32)
	v_mul_f32_e32 v135, v4, v125
	v_mul_f32_e32 v122, v5, v125
	s_waitcnt vmcnt(31) lgkmcnt(0)
	v_mul_f32_e32 v148, v118, v138
	v_mul_f32_e32 v127, v119, v138
	v_fmac_f32_e32 v135, v5, v163
	v_fma_f32 v136, v4, v163, -v122
	ds_read_b128 v[2:5], v1 offset:752
	ds_read_b128 v[122:125], v1 offset:768
	v_fmac_f32_e32 v148, v119, v162
	v_fma_f32 v137, v118, v162, -v127
	v_add_f32_e32 v162, v130, v133
	v_add_f32_e32 v7, v7, v136
	;; [unrolled: 1-line block ×4, first 2 shown]
	s_waitcnt vmcnt(30)
	v_mul_f32_e32 v128, v121, v152
	v_mul_f32_e32 v138, v120, v152
	s_waitcnt vmcnt(26)
	v_fma_f32 v149, v120, v169, -v128
	v_fmac_f32_e32 v138, v121, v169
	s_waitcnt vmcnt(25) lgkmcnt(1)
	v_mul_f32_e32 v150, v2, v8
	v_mul_f32_e32 v8, v3, v8
	s_waitcnt vmcnt(24)
	v_mul_f32_e32 v151, v4, v170
	v_mul_f32_e32 v131, v5, v170
	s_waitcnt vmcnt(23) lgkmcnt(0)
	v_mul_f32_e32 v134, v123, v171
	ds_read_b128 v[118:121], v1 offset:784
	ds_read_b128 v[126:129], v1 offset:800
	v_mul_f32_e32 v152, v122, v171
	v_fmac_f32_e32 v150, v3, v167
	v_fma_f32 v8, v2, v167, -v8
	v_fmac_f32_e32 v151, v5, v157
	v_fma_f32 v157, v4, v157, -v131
	ds_read_b128 v[2:5], v1 offset:816
	ds_read_b128 v[130:133], v1 offset:832
	v_fma_f32 v122, v122, v153, -v134
	ds_read_b128 v[134:137], v1 offset:848
	v_add_f32_e32 v1, v162, v148
	v_add_f32_e32 v7, v7, v149
	v_fmac_f32_e32 v152, v123, v153
	s_waitcnt vmcnt(22)
	v_mul_f32_e32 v123, v124, v6
	v_mul_f32_e32 v6, v125, v6
	v_add_f32_e32 v1, v1, v138
	v_add_f32_e32 v7, v7, v8
	s_waitcnt vmcnt(15)
	v_fmac_f32_e32 v123, v125, v174
	v_fma_f32 v6, v124, v174, -v6
	v_add_f32_e32 v1, v1, v150
	v_add_f32_e32 v7, v7, v157
	s_waitcnt lgkmcnt(4)
	v_mul_f32_e32 v149, v119, v155
	v_mul_f32_e32 v148, v118, v155
	;; [unrolled: 1-line block ×3, first 2 shown]
	v_add_f32_e32 v1, v1, v151
	v_add_f32_e32 v7, v7, v122
	v_mul_f32_e32 v151, v121, v156
	v_fma_f32 v118, v118, v173, -v149
	v_fmac_f32_e32 v148, v119, v173
	v_add_f32_e32 v1, v1, v152
	v_add_f32_e32 v6, v7, v6
	s_waitcnt lgkmcnt(3)
	v_mul_f32_e32 v7, v127, v158
	v_fma_f32 v119, v120, v172, -v151
	v_mul_f32_e32 v124, v126, v158
	v_add_f32_e32 v1, v1, v123
	v_add_f32_e32 v6, v6, v118
	v_fmac_f32_e32 v138, v121, v172
	s_waitcnt vmcnt(14)
	v_mul_f32_e32 v118, v129, v160
	v_fma_f32 v7, v126, v159, -v7
	v_add_f32_e32 v1, v1, v148
	v_add_f32_e32 v6, v6, v119
	v_mul_f32_e32 v125, v128, v160
	v_fmac_f32_e32 v124, v127, v159
	s_waitcnt vmcnt(13) lgkmcnt(2)
	v_mul_f32_e32 v8, v2, v175
	v_add_f32_e32 v1, v1, v138
	v_mul_f32_e32 v119, v3, v175
	s_waitcnt vmcnt(4)
	v_fma_f32 v118, v128, v161, -v118
	v_add_f32_e32 v6, v6, v7
	v_fmac_f32_e32 v125, v129, v161
	v_add_f32_e32 v1, v1, v124
	v_mul_f32_e32 v7, v5, v176
	v_fmac_f32_e32 v8, v3, v143
	v_fma_f32 v2, v2, v143, -v119
	v_add_f32_e32 v3, v6, v118
	v_mul_f32_e32 v150, v4, v176
	v_add_f32_e32 v1, v1, v125
	s_waitcnt lgkmcnt(1)
	v_mul_f32_e32 v6, v131, v177
	v_fma_f32 v4, v4, v142, -v7
	v_add_f32_e32 v2, v3, v2
	v_mul_f32_e32 v153, v130, v177
	v_fmac_f32_e32 v150, v5, v142
	v_add_f32_e32 v1, v1, v8
	v_mul_f32_e32 v3, v133, v140
	v_fma_f32 v5, v130, v141, -v6
	v_add_f32_e32 v2, v2, v4
	v_mul_f32_e32 v155, v132, v140
	v_fmac_f32_e32 v153, v131, v141
	v_add_f32_e32 v1, v1, v150
	s_waitcnt lgkmcnt(0)
	v_mul_f32_e32 v4, v135, v154
	s_waitcnt vmcnt(1)
	v_fma_f32 v3, v132, v146, -v3
	v_add_f32_e32 v2, v2, v5
	v_mul_f32_e32 v156, v134, v154
	v_fmac_f32_e32 v155, v133, v146
	v_add_f32_e32 v1, v1, v153
	v_mul_f32_e32 v5, v137, v139
	v_fma_f32 v4, v134, v145, -v4
	v_add_f32_e32 v2, v2, v3
	v_mul_f32_e32 v122, v136, v139
	v_fmac_f32_e32 v156, v135, v145
	v_add_f32_e32 v1, v1, v155
	v_fma_f32 v3, v136, v144, -v5
	v_add_f32_e32 v2, v2, v4
	v_fmac_f32_e32 v122, v137, v144
	v_add_f32_e32 v1, v1, v156
	v_add_f32_e32 v2, v2, v3
	;; [unrolled: 1-line block ×3, first 2 shown]
	s_waitcnt vmcnt(0)
	v_sub_f32_e32 v2, v147, v2
	v_sub_f32_e32 v1, v168, v1
	buffer_store_dword v2, off, s[0:3], 0 offset:120
	buffer_store_dword v1, off, s[0:3], 0 offset:124
	v_cmpx_lt_u32_e32 14, v0
	s_cbranch_execz .LBB117_309
; %bb.308:
	s_clause 0x1
	buffer_load_dword v1, off, s[0:3], 0 offset:112
	buffer_load_dword v2, off, s[0:3], 0 offset:116
	v_mov_b32_e32 v3, 0
	buffer_store_dword v3, off, s[0:3], 0 offset:112
	buffer_store_dword v3, off, s[0:3], 0 offset:116
	s_waitcnt vmcnt(0)
	ds_write_b64 v117, v[1:2]
.LBB117_309:
	s_or_b32 exec_lo, exec_lo, s4
	s_waitcnt lgkmcnt(0)
	s_waitcnt_vscnt null, 0x0
	s_barrier
	buffer_gl0_inv
	s_clause 0x2c
	buffer_load_dword v6, off, s[0:3], 0 offset:124
	buffer_load_dword v7, off, s[0:3], 0 offset:132
	;; [unrolled: 1-line block ×45, first 2 shown]
	v_mov_b32_e32 v1, 0
	ds_read2_b64 v[2:5], v1 offset0:69 offset1:70
	ds_read2_b64 v[118:121], v1 offset0:71 offset1:72
	s_clause 0x2
	buffer_load_dword v166, off, s[0:3], 0 offset:116
	buffer_load_dword v167, off, s[0:3], 0 offset:300
	;; [unrolled: 1-line block ×3, first 2 shown]
	s_mov_b32 s4, exec_lo
	s_waitcnt vmcnt(47) lgkmcnt(1)
	v_mul_f32_e32 v164, v3, v6
	v_mul_f32_e32 v6, v2, v6
	s_waitcnt vmcnt(46)
	v_mul_f32_e32 v165, v4, v7
	v_mul_f32_e32 v7, v5, v7
	s_waitcnt vmcnt(43)
	v_fma_f32 v164, v2, v123, -v164
	v_fmac_f32_e32 v6, v3, v123
	v_fmac_f32_e32 v165, v5, v122
	v_fma_f32 v7, v4, v122, -v7
	ds_read2_b64 v[2:5], v1 offset0:73 offset1:74
	s_waitcnt vmcnt(42) lgkmcnt(1)
	v_mul_f32_e32 v122, v118, v124
	v_mul_f32_e32 v123, v119, v124
	s_waitcnt vmcnt(41)
	v_mul_f32_e32 v124, v120, v125
	v_mul_f32_e32 v125, v121, v125
	v_fmac_f32_e32 v122, v119, v8
	v_fma_f32 v8, v118, v8, -v123
	s_waitcnt vmcnt(37)
	v_fmac_f32_e32 v124, v121, v129
	v_fma_f32 v123, v120, v129, -v125
	ds_read2_b64 v[118:121], v1 offset0:75 offset1:76
	s_waitcnt vmcnt(36) lgkmcnt(1)
	v_mul_f32_e32 v125, v2, v130
	v_mul_f32_e32 v129, v3, v130
	s_waitcnt vmcnt(35)
	v_mul_f32_e32 v130, v4, v131
	v_mul_f32_e32 v131, v5, v131
	v_fmac_f32_e32 v125, v3, v128
	v_fma_f32 v128, v2, v128, -v129
	v_fmac_f32_e32 v130, v5, v127
	v_fma_f32 v127, v4, v127, -v131
	ds_read2_b64 v[2:5], v1 offset0:77 offset1:78
	s_waitcnt vmcnt(34) lgkmcnt(1)
	v_mul_f32_e32 v129, v118, v132
	v_mul_f32_e32 v131, v119, v132
	s_waitcnt vmcnt(33)
	v_mul_f32_e32 v132, v120, v133
	v_mul_f32_e32 v133, v121, v133
	v_fmac_f32_e32 v129, v119, v126
	v_fma_f32 v126, v118, v126, -v131
	s_waitcnt vmcnt(29)
	v_fmac_f32_e32 v132, v121, v137
	v_fma_f32 v131, v120, v137, -v133
	ds_read2_b64 v[118:121], v1 offset0:79 offset1:80
	s_waitcnt vmcnt(28) lgkmcnt(1)
	v_mul_f32_e32 v133, v2, v138
	v_mul_f32_e32 v137, v3, v138
	s_waitcnt vmcnt(27)
	v_mul_f32_e32 v138, v4, v139
	v_mul_f32_e32 v139, v5, v139
	v_fmac_f32_e32 v133, v3, v136
	v_fma_f32 v136, v2, v136, -v137
	v_fmac_f32_e32 v138, v5, v135
	v_fma_f32 v135, v4, v135, -v139
	ds_read2_b64 v[2:5], v1 offset0:81 offset1:82
	s_waitcnt vmcnt(26) lgkmcnt(1)
	v_mul_f32_e32 v137, v118, v140
	v_mul_f32_e32 v139, v119, v140
	s_waitcnt vmcnt(25)
	v_mul_f32_e32 v140, v120, v141
	v_mul_f32_e32 v141, v121, v141
	v_fmac_f32_e32 v137, v119, v134
	v_fma_f32 v134, v118, v134, -v139
	s_waitcnt vmcnt(21)
	v_fmac_f32_e32 v140, v121, v145
	v_fma_f32 v139, v120, v145, -v141
	ds_read2_b64 v[118:121], v1 offset0:83 offset1:84
	s_waitcnt vmcnt(20) lgkmcnt(1)
	v_mul_f32_e32 v141, v2, v146
	v_mul_f32_e32 v145, v3, v146
	s_waitcnt vmcnt(19)
	v_mul_f32_e32 v146, v4, v147
	v_mul_f32_e32 v147, v5, v147
	v_fmac_f32_e32 v141, v3, v144
	v_fma_f32 v144, v2, v144, -v145
	v_fmac_f32_e32 v146, v5, v143
	v_fma_f32 v143, v4, v143, -v147
	ds_read2_b64 v[2:5], v1 offset0:85 offset1:86
	s_waitcnt vmcnt(18) lgkmcnt(1)
	v_mul_f32_e32 v145, v118, v148
	v_mul_f32_e32 v147, v119, v148
	s_waitcnt vmcnt(17)
	v_mul_f32_e32 v148, v120, v149
	v_mul_f32_e32 v149, v121, v149
	v_fmac_f32_e32 v145, v119, v142
	v_fma_f32 v142, v118, v142, -v147
	s_waitcnt vmcnt(13)
	v_fmac_f32_e32 v148, v121, v153
	v_fma_f32 v147, v120, v153, -v149
	ds_read2_b64 v[118:121], v1 offset0:87 offset1:88
	s_waitcnt vmcnt(12) lgkmcnt(1)
	v_mul_f32_e32 v149, v2, v154
	v_mul_f32_e32 v153, v3, v154
	s_waitcnt vmcnt(11)
	v_mul_f32_e32 v154, v4, v155
	v_mul_f32_e32 v155, v5, v155
	v_fmac_f32_e32 v149, v3, v152
	v_fma_f32 v152, v2, v152, -v153
	v_fmac_f32_e32 v154, v5, v151
	v_fma_f32 v151, v4, v151, -v155
	ds_read2_b64 v[2:5], v1 offset0:89 offset1:90
	s_waitcnt vmcnt(10) lgkmcnt(1)
	v_mul_f32_e32 v153, v118, v156
	v_mul_f32_e32 v155, v119, v156
	s_waitcnt vmcnt(9)
	v_mul_f32_e32 v156, v120, v157
	v_mul_f32_e32 v157, v121, v157
	v_fmac_f32_e32 v153, v119, v150
	v_fma_f32 v150, v118, v150, -v155
	s_waitcnt vmcnt(5)
	v_fmac_f32_e32 v156, v121, v161
	v_fma_f32 v155, v120, v161, -v157
	ds_read2_b64 v[118:121], v1 offset0:91 offset1:92
	s_waitcnt vmcnt(4) lgkmcnt(1)
	v_mul_f32_e32 v157, v2, v162
	v_mul_f32_e32 v161, v3, v162
	s_waitcnt vmcnt(3)
	v_mul_f32_e32 v162, v4, v163
	v_mul_f32_e32 v163, v5, v163
	v_fmac_f32_e32 v157, v3, v160
	v_fma_f32 v160, v2, v160, -v161
	v_fmac_f32_e32 v162, v5, v159
	v_fma_f32 v159, v4, v159, -v163
	s_clause 0x3
	buffer_load_dword v161, off, s[0:3], 0 offset:328
	buffer_load_dword v163, off, s[0:3], 0 offset:320
	;; [unrolled: 1-line block ×4, first 2 shown]
	s_waitcnt vmcnt(5) lgkmcnt(0)
	v_mul_f32_e32 v170, v118, v167
	v_mul_f32_e32 v3, v119, v167
	s_waitcnt vmcnt(4)
	v_mul_f32_e32 v167, v120, v168
	v_mul_f32_e32 v4, v121, v168
	s_clause 0x1
	buffer_load_dword v168, off, s[0:3], 0 offset:316
	buffer_load_dword v172, off, s[0:3], 0 offset:324
	v_fmac_f32_e32 v170, v119, v158
	v_fma_f32 v158, v118, v158, -v3
	v_add_f32_e32 v3, 0, v6
	buffer_load_dword v6, off, s[0:3], 0 offset:340
	v_add_f32_e32 v3, v3, v165
	v_add_f32_e32 v3, v3, v122
	;; [unrolled: 1-line block ×17, first 2 shown]
	s_waitcnt vmcnt(3)
	v_fmac_f32_e32 v167, v121, v2
	v_fma_f32 v171, v120, v2, -v4
	v_add_f32_e32 v2, 0, v164
	buffer_load_dword v164, off, s[0:3], 0 offset:332
	v_add_f32_e32 v2, v2, v7
	v_add_f32_e32 v2, v2, v8
	s_clause 0xa
	buffer_load_dword v8, off, s[0:3], 0 offset:360
	buffer_load_dword v165, off, s[0:3], 0 offset:352
	buffer_load_dword v173, off, s[0:3], 0 offset:344
	buffer_load_dword v7, off, s[0:3], 0 offset:336
	buffer_load_dword v174, off, s[0:3], 0 offset:348
	buffer_load_dword v175, off, s[0:3], 0 offset:356
	buffer_load_dword v176, off, s[0:3], 0 offset:364
	buffer_load_dword v177, off, s[0:3], 0 offset:372
	buffer_load_dword v178, off, s[0:3], 0 offset:380
	buffer_load_dword v179, off, s[0:3], 0 offset:388
	buffer_load_dword v180, off, s[0:3], 0 offset:396
	v_add_f32_e32 v2, v2, v123
	s_clause 0x3
	buffer_load_dword v181, off, s[0:3], 0 offset:404
	buffer_load_dword v182, off, s[0:3], 0 offset:412
	;; [unrolled: 1-line block ×4, first 2 shown]
	v_add_f32_e32 v2, v2, v128
	v_add_f32_e32 v2, v2, v127
	;; [unrolled: 1-line block ×9, first 2 shown]
	s_clause 0x3
	buffer_load_dword v135, off, s[0:3], 0 offset:392
	buffer_load_dword v136, off, s[0:3], 0 offset:384
	;; [unrolled: 1-line block ×4, first 2 shown]
	v_add_f32_e32 v2, v2, v134
	v_add_f32_e32 v2, v2, v139
	s_clause 0x4
	buffer_load_dword v134, off, s[0:3], 0 offset:424
	buffer_load_dword v137, off, s[0:3], 0 offset:416
	;; [unrolled: 1-line block ×5, first 2 shown]
	v_add_f32_e32 v2, v2, v144
	v_add_f32_e32 v118, v2, v143
	ds_read2_b64 v[2:5], v1 offset0:93 offset1:94
	v_add_f32_e32 v118, v118, v142
	v_add_f32_e32 v118, v118, v147
	;; [unrolled: 1-line block ×3, first 2 shown]
	ds_read2_b64 v[118:121], v1 offset0:95 offset1:96
	v_add_f32_e32 v123, v123, v151
	s_waitcnt vmcnt(27) lgkmcnt(1)
	v_mul_f32_e32 v141, v2, v168
	v_mul_f32_e32 v124, v3, v168
	s_waitcnt vmcnt(26)
	v_mul_f32_e32 v142, v4, v172
	v_mul_f32_e32 v125, v5, v172
	v_fmac_f32_e32 v141, v3, v169
	v_add_f32_e32 v3, v123, v150
	v_fma_f32 v143, v2, v169, -v124
	v_fmac_f32_e32 v142, v5, v163
	v_fma_f32 v144, v4, v163, -v125
	v_add_f32_e32 v130, v3, v155
	ds_read2_b64 v[2:5], v1 offset0:97 offset1:98
	ds_read2_b64 v[122:125], v1 offset0:99 offset1:100
	;; [unrolled: 1-line block ×3, first 2 shown]
	s_waitcnt vmcnt(25) lgkmcnt(3)
	v_mul_f32_e32 v146, v120, v6
	v_add_f32_e32 v130, v130, v160
	v_mul_f32_e32 v6, v121, v6
	v_add_f32_e32 v130, v130, v159
	s_waitcnt vmcnt(24)
	v_mul_f32_e32 v132, v119, v164
	v_mul_f32_e32 v145, v118, v164
	v_fma_f32 v147, v118, v161, -v132
	v_add_f32_e32 v118, v131, v162
	v_fmac_f32_e32 v145, v119, v161
	v_add_f32_e32 v119, v130, v158
	ds_read2_b64 v[130:133], v1 offset0:103 offset1:104
	s_waitcnt vmcnt(20)
	v_fma_f32 v148, v120, v7, -v6
	v_add_f32_e32 v149, v118, v170
	v_fmac_f32_e32 v146, v121, v7
	v_add_f32_e32 v150, v119, v171
	s_waitcnt vmcnt(19) lgkmcnt(3)
	v_mul_f32_e32 v151, v2, v174
	s_waitcnt vmcnt(18)
	v_mul_f32_e32 v153, v5, v175
	v_add_f32_e32 v149, v149, v167
	v_mul_f32_e32 v152, v4, v175
	v_add_f32_e32 v143, v150, v143
	v_mul_f32_e32 v150, v3, v174
	v_fmac_f32_e32 v151, v3, v173
	v_add_f32_e32 v141, v149, v141
	s_waitcnt vmcnt(17) lgkmcnt(2)
	v_mul_f32_e32 v149, v122, v176
	v_add_f32_e32 v143, v143, v144
	v_fma_f32 v2, v2, v173, -v150
	v_mul_f32_e32 v150, v123, v176
	v_add_f32_e32 v141, v141, v142
	v_fma_f32 v4, v4, v165, -v153
	v_add_f32_e32 v143, v143, v147
	v_fmac_f32_e32 v152, v5, v165
	v_fmac_f32_e32 v149, v123, v8
	v_add_f32_e32 v141, v141, v145
	v_fma_f32 v8, v122, v8, -v150
	v_add_f32_e32 v143, v143, v148
	s_waitcnt vmcnt(16)
	v_mul_f32_e32 v144, v124, v177
	ds_read2_b64 v[118:121], v1 offset0:105 offset1:106
	ds_read_b64 v[6:7], v1 offset:856
	v_add_f32_e32 v141, v141, v146
	s_waitcnt vmcnt(15) lgkmcnt(3)
	v_mul_f32_e32 v154, v126, v178
	v_add_f32_e32 v2, v143, v2
	s_waitcnt vmcnt(14)
	v_mul_f32_e32 v142, v128, v179
	s_waitcnt vmcnt(13) lgkmcnt(2)
	v_mul_f32_e32 v147, v130, v180
	v_add_f32_e32 v5, v141, v151
	v_mul_f32_e32 v141, v125, v177
	v_add_f32_e32 v2, v2, v4
	s_waitcnt vmcnt(6)
	v_fmac_f32_e32 v154, v127, v185
	s_waitcnt vmcnt(5)
	v_fmac_f32_e32 v144, v125, v186
	v_add_f32_e32 v4, v5, v152
	v_mul_f32_e32 v5, v127, v178
	v_fma_f32 v122, v124, v186, -v141
	v_add_f32_e32 v2, v2, v8
	v_mul_f32_e32 v8, v129, v179
	v_add_f32_e32 v4, v4, v149
	v_fma_f32 v5, v126, v185, -v5
	v_fmac_f32_e32 v142, v129, v136
	v_add_f32_e32 v2, v2, v122
	v_mul_f32_e32 v122, v131, v180
	v_add_f32_e32 v4, v4, v144
	v_fma_f32 v8, v128, v136, -v8
	v_mul_f32_e32 v3, v132, v181
	v_add_f32_e32 v2, v2, v5
	v_mul_f32_e32 v5, v133, v181
	v_add_f32_e32 v4, v4, v154
	v_fma_f32 v122, v130, v135, -v122
	v_fmac_f32_e32 v147, v131, v135
	v_add_f32_e32 v2, v2, v8
	s_waitcnt lgkmcnt(1)
	v_mul_f32_e32 v8, v119, v182
	v_add_f32_e32 v4, v4, v142
	s_waitcnt vmcnt(1)
	v_fma_f32 v5, v132, v139, -v5
	v_mul_f32_e32 v145, v118, v182
	v_add_f32_e32 v2, v2, v122
	v_fmac_f32_e32 v3, v133, v139
	v_add_f32_e32 v4, v4, v147
	v_mul_f32_e32 v122, v121, v183
	v_fma_f32 v8, v118, v138, -v8
	v_add_f32_e32 v2, v2, v5
	v_mul_f32_e32 v148, v120, v183
	v_fmac_f32_e32 v145, v119, v138
	v_add_f32_e32 v3, v4, v3
	s_waitcnt lgkmcnt(0)
	v_mul_f32_e32 v4, v7, v184
	v_fma_f32 v5, v120, v137, -v122
	v_add_f32_e32 v2, v2, v8
	v_mul_f32_e32 v146, v6, v184
	v_fmac_f32_e32 v148, v121, v137
	v_add_f32_e32 v3, v3, v145
	v_fma_f32 v4, v6, v134, -v4
	v_add_f32_e32 v2, v2, v5
	v_fmac_f32_e32 v146, v7, v134
	v_add_f32_e32 v3, v3, v148
	v_add_f32_e32 v2, v2, v4
	;; [unrolled: 1-line block ×3, first 2 shown]
	s_waitcnt vmcnt(0)
	v_sub_f32_e32 v2, v140, v2
	v_sub_f32_e32 v3, v166, v3
	buffer_store_dword v2, off, s[0:3], 0 offset:112
	buffer_store_dword v3, off, s[0:3], 0 offset:116
	v_cmpx_lt_u32_e32 13, v0
	s_cbranch_execz .LBB117_311
; %bb.310:
	s_clause 0x1
	buffer_load_dword v2, off, s[0:3], 0 offset:104
	buffer_load_dword v3, off, s[0:3], 0 offset:108
	buffer_store_dword v1, off, s[0:3], 0 offset:104
	buffer_store_dword v1, off, s[0:3], 0 offset:108
	s_waitcnt vmcnt(0)
	ds_write_b64 v117, v[2:3]
.LBB117_311:
	s_or_b32 exec_lo, exec_lo, s4
	s_waitcnt lgkmcnt(0)
	s_waitcnt_vscnt null, 0x0
	s_barrier
	buffer_gl0_inv
	s_clause 0x2c
	buffer_load_dword v6, off, s[0:3], 0 offset:116
	buffer_load_dword v7, off, s[0:3], 0 offset:124
	buffer_load_dword v8, off, s[0:3], 0 offset:128
	buffer_load_dword v122, off, s[0:3], 0 offset:120
	buffer_load_dword v123, off, s[0:3], 0 offset:112
	buffer_load_dword v124, off, s[0:3], 0 offset:132
	buffer_load_dword v125, off, s[0:3], 0 offset:140
	buffer_load_dword v126, off, s[0:3], 0 offset:160
	buffer_load_dword v127, off, s[0:3], 0 offset:152
	buffer_load_dword v128, off, s[0:3], 0 offset:144
	buffer_load_dword v129, off, s[0:3], 0 offset:136
	buffer_load_dword v130, off, s[0:3], 0 offset:148
	buffer_load_dword v131, off, s[0:3], 0 offset:156
	buffer_load_dword v132, off, s[0:3], 0 offset:164
	buffer_load_dword v133, off, s[0:3], 0 offset:172
	buffer_load_dword v134, off, s[0:3], 0 offset:192
	buffer_load_dword v135, off, s[0:3], 0 offset:184
	buffer_load_dword v136, off, s[0:3], 0 offset:176
	buffer_load_dword v137, off, s[0:3], 0 offset:168
	buffer_load_dword v138, off, s[0:3], 0 offset:180
	buffer_load_dword v139, off, s[0:3], 0 offset:188
	buffer_load_dword v140, off, s[0:3], 0 offset:196
	buffer_load_dword v141, off, s[0:3], 0 offset:204
	buffer_load_dword v142, off, s[0:3], 0 offset:224
	buffer_load_dword v143, off, s[0:3], 0 offset:216
	buffer_load_dword v144, off, s[0:3], 0 offset:208
	buffer_load_dword v145, off, s[0:3], 0 offset:200
	buffer_load_dword v146, off, s[0:3], 0 offset:212
	buffer_load_dword v147, off, s[0:3], 0 offset:220
	buffer_load_dword v148, off, s[0:3], 0 offset:228
	buffer_load_dword v149, off, s[0:3], 0 offset:236
	buffer_load_dword v150, off, s[0:3], 0 offset:256
	buffer_load_dword v151, off, s[0:3], 0 offset:248
	buffer_load_dword v152, off, s[0:3], 0 offset:240
	buffer_load_dword v153, off, s[0:3], 0 offset:232
	buffer_load_dword v154, off, s[0:3], 0 offset:244
	buffer_load_dword v155, off, s[0:3], 0 offset:252
	buffer_load_dword v156, off, s[0:3], 0 offset:260
	buffer_load_dword v157, off, s[0:3], 0 offset:268
	buffer_load_dword v158, off, s[0:3], 0 offset:288
	buffer_load_dword v159, off, s[0:3], 0 offset:280
	buffer_load_dword v160, off, s[0:3], 0 offset:272
	buffer_load_dword v161, off, s[0:3], 0 offset:264
	buffer_load_dword v162, off, s[0:3], 0 offset:276
	buffer_load_dword v163, off, s[0:3], 0 offset:284
	ds_read_b128 v[2:5], v1 offset:544
	ds_read_b128 v[118:121], v1 offset:560
	s_clause 0x2
	buffer_load_dword v166, off, s[0:3], 0 offset:108
	buffer_load_dword v167, off, s[0:3], 0 offset:292
	;; [unrolled: 1-line block ×3, first 2 shown]
	s_mov_b32 s4, exec_lo
	s_waitcnt vmcnt(47) lgkmcnt(1)
	v_mul_f32_e32 v164, v3, v6
	v_mul_f32_e32 v6, v2, v6
	s_waitcnt vmcnt(46)
	v_mul_f32_e32 v165, v4, v7
	v_mul_f32_e32 v7, v5, v7
	s_waitcnt vmcnt(43)
	v_fma_f32 v164, v2, v123, -v164
	v_fmac_f32_e32 v6, v3, v123
	v_fmac_f32_e32 v165, v5, v122
	v_fma_f32 v7, v4, v122, -v7
	ds_read_b128 v[2:5], v1 offset:576
	s_waitcnt vmcnt(42) lgkmcnt(1)
	v_mul_f32_e32 v122, v118, v124
	v_mul_f32_e32 v123, v119, v124
	s_waitcnt vmcnt(41)
	v_mul_f32_e32 v124, v120, v125
	v_mul_f32_e32 v125, v121, v125
	v_fmac_f32_e32 v122, v119, v8
	v_fma_f32 v8, v118, v8, -v123
	s_waitcnt vmcnt(37)
	v_fmac_f32_e32 v124, v121, v129
	v_fma_f32 v123, v120, v129, -v125
	ds_read_b128 v[118:121], v1 offset:592
	s_waitcnt vmcnt(36) lgkmcnt(1)
	v_mul_f32_e32 v125, v2, v130
	v_mul_f32_e32 v129, v3, v130
	s_waitcnt vmcnt(35)
	v_mul_f32_e32 v130, v4, v131
	v_mul_f32_e32 v131, v5, v131
	v_fmac_f32_e32 v125, v3, v128
	v_fma_f32 v128, v2, v128, -v129
	v_fmac_f32_e32 v130, v5, v127
	v_fma_f32 v127, v4, v127, -v131
	ds_read_b128 v[2:5], v1 offset:608
	s_waitcnt vmcnt(34) lgkmcnt(1)
	v_mul_f32_e32 v129, v118, v132
	v_mul_f32_e32 v131, v119, v132
	s_waitcnt vmcnt(33)
	v_mul_f32_e32 v132, v120, v133
	v_mul_f32_e32 v133, v121, v133
	v_fmac_f32_e32 v129, v119, v126
	v_fma_f32 v126, v118, v126, -v131
	s_waitcnt vmcnt(29)
	v_fmac_f32_e32 v132, v121, v137
	v_fma_f32 v131, v120, v137, -v133
	ds_read_b128 v[118:121], v1 offset:624
	s_waitcnt vmcnt(28) lgkmcnt(1)
	v_mul_f32_e32 v133, v2, v138
	v_mul_f32_e32 v137, v3, v138
	s_waitcnt vmcnt(27)
	v_mul_f32_e32 v138, v4, v139
	v_mul_f32_e32 v139, v5, v139
	v_fmac_f32_e32 v133, v3, v136
	v_fma_f32 v136, v2, v136, -v137
	;; [unrolled: 23-line block ×5, first 2 shown]
	v_fmac_f32_e32 v162, v5, v159
	v_fma_f32 v159, v4, v159, -v163
	s_clause 0x5
	buffer_load_dword v161, off, s[0:3], 0 offset:320
	buffer_load_dword v163, off, s[0:3], 0 offset:312
	;; [unrolled: 1-line block ×6, first 2 shown]
	v_add_f32_e32 v4, 0, v6
	buffer_load_dword v6, off, s[0:3], 0 offset:324
	v_add_f32_e32 v3, 0, v164
	s_waitcnt vmcnt(8) lgkmcnt(0)
	v_mul_f32_e32 v5, v119, v167
	s_waitcnt vmcnt(7)
	v_mul_f32_e32 v174, v120, v168
	v_add_f32_e32 v4, v4, v165
	v_add_f32_e32 v3, v3, v7
	v_mul_f32_e32 v7, v118, v167
	v_add_f32_e32 v4, v4, v122
	v_add_f32_e32 v3, v3, v8
	s_clause 0x7
	buffer_load_dword v8, off, s[0:3], 0 offset:332
	buffer_load_dword v164, off, s[0:3], 0 offset:352
	;; [unrolled: 1-line block ×8, first 2 shown]
	v_add_f32_e32 v3, v3, v123
	v_add_f32_e32 v4, v4, v124
	v_fmac_f32_e32 v7, v119, v158
	v_fma_f32 v158, v118, v158, -v5
	v_mul_f32_e32 v5, v121, v168
	v_add_f32_e32 v3, v3, v128
	v_add_f32_e32 v4, v4, v125
	s_clause 0x7
	buffer_load_dword v168, off, s[0:3], 0 offset:348
	buffer_load_dword v177, off, s[0:3], 0 offset:372
	;; [unrolled: 1-line block ×8, first 2 shown]
	v_add_f32_e32 v3, v3, v127
	v_add_f32_e32 v4, v4, v130
	buffer_load_dword v184, off, s[0:3], 0 offset:428
	s_waitcnt vmcnt(20)
	v_fmac_f32_e32 v174, v121, v2
	v_fma_f32 v130, v120, v2, -v5
	v_add_f32_e32 v2, v3, v126
	v_add_f32_e32 v3, v4, v129
	;; [unrolled: 1-line block ×8, first 2 shown]
	s_clause 0x3
	buffer_load_dword v138, off, s[0:3], 0 offset:384
	buffer_load_dword v185, off, s[0:3], 0 offset:376
	;; [unrolled: 1-line block ×4, first 2 shown]
	v_add_f32_e32 v2, v2, v134
	v_add_f32_e32 v3, v3, v137
	;; [unrolled: 1-line block ×4, first 2 shown]
	s_clause 0x3
	buffer_load_dword v139, off, s[0:3], 0 offset:416
	buffer_load_dword v140, off, s[0:3], 0 offset:408
	buffer_load_dword v188, off, s[0:3], 0 offset:400
	buffer_load_dword v189, off, s[0:3], 0 offset:392
	v_add_f32_e32 v2, v2, v144
	buffer_load_dword v144, off, s[0:3], 0 offset:424
	v_add_f32_e32 v3, v3, v141
	buffer_load_dword v141, off, s[0:3], 0 offset:104
	v_add_f32_e32 v2, v2, v143
	v_add_f32_e32 v3, v3, v146
	;; [unrolled: 1-line block ×4, first 2 shown]
	ds_read_b128 v[2:5], v1 offset:736
	v_add_f32_e32 v118, v118, v147
	v_add_f32_e32 v119, v119, v148
	v_add_f32_e32 v122, v118, v152
	v_add_f32_e32 v123, v119, v149
	ds_read_b128 v[118:121], v1 offset:752
	v_add_f32_e32 v122, v122, v151
	v_add_f32_e32 v123, v123, v154
	;; [unrolled: 1-line block ×4, first 2 shown]
	s_waitcnt vmcnt(29) lgkmcnt(1)
	v_mul_f32_e32 v142, v2, v170
	v_mul_f32_e32 v124, v3, v170
	s_waitcnt vmcnt(28)
	v_mul_f32_e32 v143, v4, v171
	v_mul_f32_e32 v125, v5, v171
	v_add_f32_e32 v127, v122, v155
	v_fmac_f32_e32 v142, v3, v169
	v_fma_f32 v134, v2, v169, -v124
	v_fmac_f32_e32 v143, v5, v163
	v_fma_f32 v145, v4, v163, -v125
	ds_read_b128 v[2:5], v1 offset:768
	ds_read_b128 v[122:125], v1 offset:784
	v_add_f32_e32 v126, v126, v156
	s_waitcnt vmcnt(27) lgkmcnt(2)
	v_mul_f32_e32 v146, v118, v6
	v_add_f32_e32 v127, v127, v160
	v_mul_f32_e32 v6, v119, v6
	s_waitcnt vmcnt(26)
	v_mul_f32_e32 v147, v120, v8
	v_add_f32_e32 v126, v126, v157
	v_fmac_f32_e32 v146, v119, v161
	v_add_f32_e32 v119, v127, v159
	v_mul_f32_e32 v8, v121, v8
	v_fma_f32 v6, v118, v161, -v6
	v_add_f32_e32 v131, v126, v162
	s_waitcnt vmcnt(22)
	v_fmac_f32_e32 v147, v121, v172
	v_add_f32_e32 v132, v119, v158
	v_fma_f32 v8, v120, v172, -v8
	ds_read_b128 v[118:121], v1 offset:800
	ds_read_b128 v[126:129], v1 offset:816
	v_add_f32_e32 v7, v131, v7
	v_add_f32_e32 v136, v132, v130
	s_waitcnt vmcnt(21) lgkmcnt(3)
	v_mul_f32_e32 v148, v2, v173
	v_mul_f32_e32 v135, v3, v173
	v_add_f32_e32 v7, v7, v174
	ds_read_b128 v[130:133], v1 offset:832
	s_waitcnt vmcnt(20) lgkmcnt(3)
	v_mul_f32_e32 v149, v123, v175
	v_fmac_f32_e32 v148, v3, v167
	v_add_f32_e32 v3, v136, v134
	v_fma_f32 v2, v2, v167, -v135
	ds_read_b128 v[134:137], v1 offset:848
	v_add_f32_e32 v1, v7, v142
	s_waitcnt vmcnt(18)
	v_mul_f32_e32 v142, v5, v168
	v_add_f32_e32 v3, v3, v145
	v_mul_f32_e32 v7, v4, v168
	v_mul_f32_e32 v145, v122, v175
	v_add_f32_e32 v1, v1, v143
	v_fma_f32 v4, v4, v165, -v142
	v_add_f32_e32 v3, v3, v6
	v_fmac_f32_e32 v7, v5, v165
	v_fma_f32 v122, v122, v164, -v149
	v_add_f32_e32 v1, v1, v146
	v_mul_f32_e32 v143, v124, v176
	v_add_f32_e32 v3, v3, v8
	v_mul_f32_e32 v8, v125, v176
	v_fmac_f32_e32 v145, v123, v164
	v_add_f32_e32 v1, v1, v147
	s_waitcnt vmcnt(17) lgkmcnt(3)
	v_mul_f32_e32 v5, v118, v177
	v_add_f32_e32 v2, v3, v2
	s_waitcnt vmcnt(16)
	v_mul_f32_e32 v142, v120, v178
	s_waitcnt vmcnt(15) lgkmcnt(2)
	v_mul_f32_e32 v6, v126, v179
	v_add_f32_e32 v1, v1, v148
	s_waitcnt vmcnt(14)
	v_mul_f32_e32 v146, v128, v180
	v_add_f32_e32 v2, v2, v4
	v_mul_f32_e32 v4, v119, v177
	s_waitcnt vmcnt(13) lgkmcnt(1)
	v_mul_f32_e32 v150, v130, v181
	v_add_f32_e32 v1, v1, v7
	s_waitcnt vmcnt(12)
	v_mul_f32_e32 v147, v132, v182
	v_add_f32_e32 v2, v2, v122
	s_waitcnt vmcnt(11) lgkmcnt(0)
	v_mul_f32_e32 v151, v134, v183
	s_waitcnt vmcnt(10)
	v_mul_f32_e32 v3, v136, v184
	v_add_f32_e32 v1, v1, v145
	s_waitcnt vmcnt(9)
	v_fmac_f32_e32 v6, v127, v138
	s_waitcnt vmcnt(8)
	v_fmac_f32_e32 v142, v121, v185
	s_waitcnt vmcnt(7)
	v_fma_f32 v4, v118, v186, -v4
	s_waitcnt vmcnt(6)
	v_fma_f32 v7, v124, v187, -v8
	v_fmac_f32_e32 v143, v125, v187
	v_mul_f32_e32 v8, v121, v178
	v_fmac_f32_e32 v5, v119, v186
	v_add_f32_e32 v2, v2, v7
	v_add_f32_e32 v1, v1, v143
	v_mul_f32_e32 v7, v127, v179
	v_fma_f32 v8, v120, v185, -v8
	s_waitcnt vmcnt(3)
	v_fmac_f32_e32 v150, v131, v188
	v_add_f32_e32 v2, v2, v4
	v_add_f32_e32 v1, v1, v5
	v_mul_f32_e32 v4, v129, v180
	v_fma_f32 v5, v126, v138, -v7
	v_mul_f32_e32 v7, v131, v181
	v_add_f32_e32 v2, v2, v8
	v_add_f32_e32 v1, v1, v142
	s_waitcnt vmcnt(2)
	v_fma_f32 v4, v128, v189, -v4
	v_fmac_f32_e32 v146, v129, v189
	v_fmac_f32_e32 v147, v133, v140
	v_add_f32_e32 v2, v2, v5
	v_add_f32_e32 v1, v1, v6
	v_mul_f32_e32 v5, v133, v182
	v_fma_f32 v6, v130, v188, -v7
	v_fmac_f32_e32 v151, v135, v139
	v_add_f32_e32 v2, v2, v4
	v_add_f32_e32 v1, v1, v146
	v_mul_f32_e32 v4, v135, v183
	v_fma_f32 v5, v132, v140, -v5
	s_waitcnt vmcnt(1)
	v_fmac_f32_e32 v3, v137, v144
	v_add_f32_e32 v2, v2, v6
	v_add_f32_e32 v1, v1, v150
	v_mul_f32_e32 v6, v137, v184
	v_fma_f32 v4, v134, v139, -v4
	v_add_f32_e32 v2, v2, v5
	v_add_f32_e32 v1, v1, v147
	v_fma_f32 v5, v136, v144, -v6
	v_add_f32_e32 v2, v2, v4
	v_add_f32_e32 v1, v1, v151
	;; [unrolled: 1-line block ×4, first 2 shown]
	s_waitcnt vmcnt(0)
	v_sub_f32_e32 v2, v141, v2
	v_sub_f32_e32 v1, v166, v1
	buffer_store_dword v2, off, s[0:3], 0 offset:104
	buffer_store_dword v1, off, s[0:3], 0 offset:108
	v_cmpx_lt_u32_e32 12, v0
	s_cbranch_execz .LBB117_313
; %bb.312:
	s_clause 0x1
	buffer_load_dword v1, off, s[0:3], 0 offset:96
	buffer_load_dword v2, off, s[0:3], 0 offset:100
	v_mov_b32_e32 v3, 0
	buffer_store_dword v3, off, s[0:3], 0 offset:96
	buffer_store_dword v3, off, s[0:3], 0 offset:100
	s_waitcnt vmcnt(0)
	ds_write_b64 v117, v[1:2]
.LBB117_313:
	s_or_b32 exec_lo, exec_lo, s4
	s_waitcnt lgkmcnt(0)
	s_waitcnt_vscnt null, 0x0
	s_barrier
	buffer_gl0_inv
	s_clause 0x24
	buffer_load_dword v2, off, s[0:3], 0 offset:108
	buffer_load_dword v3, off, s[0:3], 0 offset:116
	;; [unrolled: 1-line block ×37, first 2 shown]
	v_mov_b32_e32 v1, 0
	ds_read2_b64 v[126:129], v1 offset0:67 offset1:68
	ds_read2_b64 v[130:133], v1 offset0:69 offset1:70
	;; [unrolled: 1-line block ×3, first 2 shown]
	s_clause 0x1
	buffer_load_dword v164, off, s[0:3], 0 offset:252
	buffer_load_dword v165, off, s[0:3], 0 offset:100
	ds_read2_b64 v[138:141], v1 offset0:73 offset1:74
	s_mov_b32 s4, exec_lo
	s_waitcnt vmcnt(38) lgkmcnt(3)
	v_mul_f32_e32 v166, v127, v2
	v_mul_f32_e32 v2, v126, v2
	s_waitcnt vmcnt(37)
	v_mul_f32_e32 v167, v128, v3
	v_mul_f32_e32 v3, v129, v3
	s_waitcnt vmcnt(34)
	v_fma_f32 v166, v126, v144, -v166
	v_fmac_f32_e32 v2, v127, v144
	v_fmac_f32_e32 v167, v129, v143
	v_fma_f32 v3, v128, v143, -v3
	ds_read2_b64 v[126:129], v1 offset0:75 offset1:76
	s_waitcnt vmcnt(33) lgkmcnt(3)
	v_mul_f32_e32 v143, v130, v145
	v_mul_f32_e32 v144, v131, v145
	s_waitcnt vmcnt(32)
	v_mul_f32_e32 v145, v132, v146
	v_mul_f32_e32 v146, v133, v146
	s_waitcnt vmcnt(31) lgkmcnt(2)
	v_mul_f32_e32 v168, v134, v147
	v_fmac_f32_e32 v143, v131, v142
	v_fma_f32 v142, v130, v142, -v144
	s_waitcnt vmcnt(26)
	v_fmac_f32_e32 v145, v133, v152
	v_fma_f32 v146, v132, v152, -v146
	ds_read2_b64 v[130:133], v1 offset0:77 offset1:78
	v_mul_f32_e32 v147, v135, v147
	v_mul_f32_e32 v144, v136, v148
	;; [unrolled: 1-line block ×3, first 2 shown]
	v_fmac_f32_e32 v168, v135, v151
	s_waitcnt vmcnt(24) lgkmcnt(2)
	v_mul_f32_e32 v152, v140, v154
	v_fma_f32 v147, v134, v151, -v147
	v_fmac_f32_e32 v144, v137, v150
	v_fma_f32 v148, v136, v150, -v148
	v_mul_f32_e32 v150, v138, v153
	v_mul_f32_e32 v151, v139, v153
	;; [unrolled: 1-line block ×3, first 2 shown]
	ds_read2_b64 v[134:137], v1 offset0:79 offset1:80
	s_waitcnt vmcnt(19)
	v_fmac_f32_e32 v152, v141, v157
	v_fmac_f32_e32 v150, v139, v149
	v_fma_f32 v138, v138, v149, -v151
	v_fma_f32 v139, v140, v157, -v153
	s_clause 0x4
	buffer_load_dword v140, off, s[0:3], 0 offset:260
	buffer_load_dword v141, off, s[0:3], 0 offset:280
	;; [unrolled: 1-line block ×5, first 2 shown]
	s_waitcnt lgkmcnt(2)
	v_mul_f32_e32 v154, v126, v155
	v_mul_f32_e32 v155, v127, v155
	s_waitcnt vmcnt(23)
	v_mul_f32_e32 v157, v128, v158
	v_mul_f32_e32 v158, v129, v158
	s_waitcnt vmcnt(21) lgkmcnt(1)
	v_mul_f32_e32 v169, v132, v160
	v_fmac_f32_e32 v154, v127, v156
	v_fma_f32 v155, v126, v156, -v155
	v_mul_f32_e32 v156, v130, v159
	v_mul_f32_e32 v126, v131, v159
	buffer_load_dword v159, off, s[0:3], 0 offset:268
	v_fmac_f32_e32 v157, v129, v123
	v_fma_f32 v158, v128, v123, -v158
	v_mul_f32_e32 v123, v133, v160
	v_fmac_f32_e32 v156, v131, v8
	v_fma_f32 v8, v130, v8, -v126
	ds_read2_b64 v[126:129], v1 offset0:81 offset1:82
	s_waitcnt vmcnt(18)
	v_fmac_f32_e32 v169, v133, v161
	v_fma_f32 v160, v132, v161, -v123
	ds_read2_b64 v[130:133], v1 offset0:83 offset1:84
	s_waitcnt vmcnt(17) lgkmcnt(2)
	v_mul_f32_e32 v161, v134, v162
	v_mul_f32_e32 v123, v135, v162
	s_waitcnt vmcnt(16)
	v_mul_f32_e32 v162, v136, v163
	v_mul_f32_e32 v163, v137, v163
	v_add_f32_e32 v2, 0, v2
	v_fmac_f32_e32 v161, v135, v124
	v_fma_f32 v134, v134, v124, -v123
	v_fmac_f32_e32 v162, v137, v118
	v_fma_f32 v135, v136, v118, -v163
	s_clause 0x2
	buffer_load_dword v136, off, s[0:3], 0 offset:276
	buffer_load_dword v137, off, s[0:3], 0 offset:284
	;; [unrolled: 1-line block ×3, first 2 shown]
	s_waitcnt vmcnt(18) lgkmcnt(1)
	v_mul_f32_e32 v163, v126, v120
	v_mul_f32_e32 v118, v127, v120
	s_waitcnt vmcnt(17)
	v_mul_f32_e32 v170, v128, v119
	v_mul_f32_e32 v119, v129, v119
	v_fmac_f32_e32 v163, v127, v5
	v_fma_f32 v127, v126, v5, -v118
	s_waitcnt vmcnt(13)
	v_fmac_f32_e32 v170, v129, v125
	s_waitcnt vmcnt(12) lgkmcnt(0)
	v_mul_f32_e32 v129, v130, v122
	v_mul_f32_e32 v5, v131, v122
	s_waitcnt vmcnt(11)
	v_mul_f32_e32 v122, v132, v121
	v_mul_f32_e32 v118, v133, v121
	v_fma_f32 v128, v128, v125, -v119
	ds_read2_b64 v[123:126], v1 offset0:85 offset1:86
	v_fmac_f32_e32 v129, v131, v7
	v_fma_f32 v7, v130, v7, -v5
	v_fmac_f32_e32 v122, v133, v6
	v_fma_f32 v6, v132, v6, -v118
	s_clause 0x4
	buffer_load_dword v130, off, s[0:3], 0 offset:312
	buffer_load_dword v131, off, s[0:3], 0 offset:304
	;; [unrolled: 1-line block ×5, first 2 shown]
	v_add_f32_e32 v5, 0, v166
	v_add_f32_e32 v3, v5, v3
	;; [unrolled: 1-line block ×3, first 2 shown]
	s_waitcnt vmcnt(15) lgkmcnt(0)
	v_mul_f32_e32 v166, v123, v164
	v_mul_f32_e32 v118, v124, v164
	v_add_f32_e32 v119, v119, v146
	v_fmac_f32_e32 v166, v124, v4
	buffer_load_dword v124, off, s[0:3], 0 offset:308
	v_fma_f32 v123, v123, v4, -v118
	v_add_f32_e32 v118, v2, v167
	ds_read2_b64 v[2:5], v1 offset0:87 offset1:88
	v_add_f32_e32 v119, v119, v147
	v_add_f32_e32 v118, v118, v143
	buffer_load_dword v143, off, s[0:3], 0 offset:324
	v_add_f32_e32 v118, v118, v145
	v_add_f32_e32 v145, v119, v148
	;; [unrolled: 1-line block ×3, first 2 shown]
	s_waitcnt vmcnt(15)
	v_mul_f32_e32 v142, v125, v140
	v_mul_f32_e32 v120, v126, v140
	buffer_load_dword v140, off, s[0:3], 0 offset:316
	s_waitcnt vmcnt(12)
	v_fmac_f32_e32 v142, v126, v153
	v_add_f32_e32 v126, v118, v168
	v_fma_f32 v125, v125, v153, -v120
	ds_read2_b64 v[118:121], v1 offset0:89 offset1:90
	v_add_f32_e32 v126, v126, v144
	s_clause 0x3
	buffer_load_dword v144, off, s[0:3], 0 offset:344
	buffer_load_dword v145, off, s[0:3], 0 offset:336
	;; [unrolled: 1-line block ×4, first 2 shown]
	s_waitcnt vmcnt(15) lgkmcnt(1)
	v_mul_f32_e32 v146, v2, v159
	v_mul_f32_e32 v147, v3, v159
	v_fmac_f32_e32 v146, v3, v151
	v_fma_f32 v147, v2, v151, -v147
	v_add_f32_e32 v2, v126, v150
	s_clause 0x1
	buffer_load_dword v150, off, s[0:3], 0 offset:332
	buffer_load_dword v151, off, s[0:3], 0 offset:340
	v_add_f32_e32 v3, v138, v139
	buffer_load_dword v138, off, s[0:3], 0 offset:348
	v_add_f32_e32 v2, v2, v152
	v_add_f32_e32 v3, v3, v155
	;; [unrolled: 1-line block ×3, first 2 shown]
	s_waitcnt vmcnt(17)
	v_mul_f32_e32 v126, v4, v136
	v_add_f32_e32 v158, v3, v158
	v_mul_f32_e32 v136, v5, v136
	v_add_f32_e32 v139, v139, v157
	s_waitcnt vmcnt(16) lgkmcnt(0)
	v_mul_f32_e32 v157, v118, v137
	v_add_f32_e32 v8, v158, v8
	v_mul_f32_e32 v137, v119, v137
	v_fmac_f32_e32 v126, v5, v149
	v_add_f32_e32 v139, v139, v156
	v_fma_f32 v136, v4, v149, -v136
	s_clause 0x3
	buffer_load_dword v149, off, s[0:3], 0 offset:356
	buffer_load_dword v152, off, s[0:3], 0 offset:364
	;; [unrolled: 1-line block ×4, first 2 shown]
	ds_read2_b64 v[2:5], v1 offset0:91 offset1:92
	v_add_f32_e32 v8, v8, v160
	s_waitcnt vmcnt(19)
	v_mul_f32_e32 v158, v120, v171
	v_mul_f32_e32 v156, v121, v171
	v_fma_f32 v137, v118, v141, -v137
	v_add_f32_e32 v118, v139, v169
	v_add_f32_e32 v8, v8, v134
	v_fmac_f32_e32 v157, v119, v141
	s_clause 0x3
	buffer_load_dword v139, off, s[0:3], 0 offset:388
	buffer_load_dword v141, off, s[0:3], 0 offset:396
	;; [unrolled: 1-line block ×4, first 2 shown]
	v_add_f32_e32 v118, v118, v161
	v_add_f32_e32 v8, v8, v135
	s_waitcnt vmcnt(19)
	v_fmac_f32_e32 v158, v121, v133
	v_fma_f32 v133, v120, v133, -v156
	s_clause 0x5
	buffer_load_dword v156, off, s[0:3], 0 offset:420
	buffer_load_dword v134, off, s[0:3], 0 offset:376
	;; [unrolled: 1-line block ×6, first 2 shown]
	v_add_f32_e32 v135, v118, v162
	v_add_f32_e32 v8, v8, v127
	ds_read2_b64 v[118:121], v1 offset0:93 offset1:94
	s_waitcnt vmcnt(24) lgkmcnt(1)
	v_mul_f32_e32 v162, v3, v172
	v_add_f32_e32 v127, v135, v163
	v_mul_f32_e32 v135, v2, v172
	v_add_f32_e32 v8, v8, v128
	v_fmac_f32_e32 v135, v3, v132
	v_fma_f32 v132, v2, v132, -v162
	v_add_f32_e32 v3, v8, v7
	s_clause 0x3
	buffer_load_dword v8, off, s[0:3], 0 offset:408
	buffer_load_dword v162, off, s[0:3], 0 offset:400
	;; [unrolled: 1-line block ×4, first 2 shown]
	v_add_f32_e32 v2, v127, v170
	s_clause 0x2
	buffer_load_dword v170, off, s[0:3], 0 offset:424
	buffer_load_dword v171, off, s[0:3], 0 offset:416
	;; [unrolled: 1-line block ×3, first 2 shown]
	v_add_f32_e32 v3, v3, v6
	s_waitcnt vmcnt(30)
	v_mul_f32_e32 v173, v4, v124
	v_add_f32_e32 v2, v2, v129
	v_add_f32_e32 v6, v3, v123
	v_mul_f32_e32 v3, v5, v124
	v_add_f32_e32 v2, v2, v122
	v_fmac_f32_e32 v173, v5, v131
	s_waitcnt vmcnt(29) lgkmcnt(0)
	v_mul_f32_e32 v128, v121, v143
	v_add_f32_e32 v6, v6, v125
	ds_read2_b64 v[122:125], v1 offset0:97 offset1:98
	v_add_f32_e32 v7, v2, v166
	v_fma_f32 v166, v4, v131, -v3
	ds_read2_b64 v[2:5], v1 offset0:95 offset1:96
	v_add_f32_e32 v6, v6, v147
	v_add_f32_e32 v7, v7, v142
	v_add_f32_e32 v6, v6, v136
	v_add_f32_e32 v7, v7, v146
	v_add_f32_e32 v6, v6, v137
	v_add_f32_e32 v7, v7, v126
	v_add_f32_e32 v6, v6, v133
	v_add_f32_e32 v7, v7, v157
	v_add_f32_e32 v6, v6, v132
	s_waitcnt vmcnt(28)
	v_mul_f32_e32 v142, v118, v140
	v_mul_f32_e32 v127, v119, v140
	;; [unrolled: 1-line block ×3, first 2 shown]
	v_fmac_f32_e32 v142, v119, v130
	v_fma_f32 v143, v118, v130, -v127
	s_waitcnt vmcnt(24)
	v_fma_f32 v136, v120, v153, -v128
	v_fmac_f32_e32 v140, v121, v153
	ds_read2_b64 v[118:121], v1 offset0:99 offset1:100
	ds_read2_b64 v[126:129], v1 offset0:101 offset1:102
	s_waitcnt vmcnt(23) lgkmcnt(2)
	v_mul_f32_e32 v137, v2, v150
	v_mul_f32_e32 v130, v3, v150
	s_waitcnt vmcnt(22)
	v_mul_f32_e32 v146, v4, v151
	v_mul_f32_e32 v147, v5, v151
	s_waitcnt vmcnt(21)
	v_mul_f32_e32 v150, v122, v138
	v_fmac_f32_e32 v137, v3, v148
	v_fma_f32 v148, v2, v148, -v130
	v_add_f32_e32 v2, v7, v158
	v_fmac_f32_e32 v146, v5, v145
	v_fma_f32 v145, v4, v145, -v147
	v_add_f32_e32 v147, v6, v166
	v_mul_f32_e32 v138, v123, v138
	v_add_f32_e32 v135, v2, v135
	v_fmac_f32_e32 v150, v123, v144
	ds_read2_b64 v[130:133], v1 offset0:103 offset1:104
	ds_read2_b64 v[2:5], v1 offset0:105 offset1:106
	v_add_f32_e32 v143, v147, v143
	v_add_f32_e32 v135, v135, v173
	v_fma_f32 v122, v122, v144, -v138
	s_waitcnt vmcnt(20)
	v_mul_f32_e32 v147, v125, v149
	v_mul_f32_e32 v151, v124, v149
	v_add_f32_e32 v136, v143, v136
	v_add_f32_e32 v135, v135, v142
	s_waitcnt vmcnt(19) lgkmcnt(3)
	v_mul_f32_e32 v142, v118, v152
	v_mul_f32_e32 v144, v119, v152
	s_waitcnt vmcnt(18)
	v_mul_f32_e32 v143, v120, v154
	v_add_f32_e32 v136, v136, v148
	v_add_f32_e32 v135, v135, v140
	s_waitcnt vmcnt(17) lgkmcnt(2)
	v_mul_f32_e32 v149, v126, v155
	s_waitcnt vmcnt(16)
	v_mul_f32_e32 v140, v128, v139
	ds_read_b64 v[6:7], v1 offset:856
	v_add_f32_e32 v136, v136, v145
	v_add_f32_e32 v135, v135, v137
	s_waitcnt vmcnt(15) lgkmcnt(2)
	v_mul_f32_e32 v148, v130, v141
	s_waitcnt vmcnt(11)
	v_fmac_f32_e32 v149, v127, v134
	v_add_f32_e32 v122, v136, v122
	v_add_f32_e32 v135, v135, v146
	s_waitcnt vmcnt(8)
	v_fma_f32 v124, v124, v167, -v147
	v_fmac_f32_e32 v151, v125, v167
	v_fmac_f32_e32 v142, v119, v164
	v_fma_f32 v118, v118, v164, -v144
	v_add_f32_e32 v125, v135, v150
	v_mul_f32_e32 v135, v121, v154
	v_add_f32_e32 v119, v122, v124
	v_mul_f32_e32 v124, v127, v155
	v_fmac_f32_e32 v143, v121, v161
	v_add_f32_e32 v122, v125, v151
	v_fma_f32 v120, v120, v161, -v135
	v_add_f32_e32 v118, v119, v118
	v_mul_f32_e32 v121, v129, v139
	v_mul_f32_e32 v123, v132, v159
	v_add_f32_e32 v119, v122, v142
	v_fma_f32 v122, v126, v134, -v124
	v_add_f32_e32 v118, v118, v120
	v_mul_f32_e32 v120, v131, v141
	s_waitcnt vmcnt(3)
	v_fma_f32 v121, v128, v169, -v121
	v_add_f32_e32 v119, v119, v143
	v_fmac_f32_e32 v140, v129, v169
	v_add_f32_e32 v118, v118, v122
	v_mul_f32_e32 v122, v133, v159
	v_fma_f32 v120, v130, v163, -v120
	v_add_f32_e32 v119, v119, v149
	v_fmac_f32_e32 v148, v131, v163
	v_add_f32_e32 v118, v118, v121
	s_waitcnt lgkmcnt(1)
	v_mul_f32_e32 v137, v2, v160
	v_mul_f32_e32 v121, v3, v160
	v_add_f32_e32 v119, v119, v140
	v_fma_f32 v122, v132, v162, -v122
	v_add_f32_e32 v118, v118, v120
	v_fmac_f32_e32 v123, v133, v162
	v_mul_f32_e32 v120, v5, v156
	v_add_f32_e32 v119, v119, v148
	v_fmac_f32_e32 v137, v3, v8
	v_fma_f32 v2, v2, v8, -v121
	v_add_f32_e32 v3, v118, v122
	v_mul_f32_e32 v138, v4, v156
	v_add_f32_e32 v8, v119, v123
	s_waitcnt lgkmcnt(0)
	v_mul_f32_e32 v118, v7, v168
	s_waitcnt vmcnt(1)
	v_fma_f32 v4, v4, v171, -v120
	v_add_f32_e32 v2, v3, v2
	v_mul_f32_e32 v145, v6, v168
	v_fmac_f32_e32 v138, v5, v171
	v_add_f32_e32 v3, v8, v137
	v_fma_f32 v5, v6, v170, -v118
	v_add_f32_e32 v2, v2, v4
	v_fmac_f32_e32 v145, v7, v170
	v_add_f32_e32 v3, v3, v138
	v_add_f32_e32 v2, v2, v5
	;; [unrolled: 1-line block ×3, first 2 shown]
	s_waitcnt vmcnt(0)
	v_sub_f32_e32 v2, v172, v2
	v_sub_f32_e32 v3, v165, v3
	buffer_store_dword v2, off, s[0:3], 0 offset:96
	buffer_store_dword v3, off, s[0:3], 0 offset:100
	v_cmpx_lt_u32_e32 11, v0
	s_cbranch_execz .LBB117_315
; %bb.314:
	s_clause 0x1
	buffer_load_dword v2, off, s[0:3], 0 offset:88
	buffer_load_dword v3, off, s[0:3], 0 offset:92
	buffer_store_dword v1, off, s[0:3], 0 offset:88
	buffer_store_dword v1, off, s[0:3], 0 offset:92
	s_waitcnt vmcnt(0)
	ds_write_b64 v117, v[2:3]
.LBB117_315:
	s_or_b32 exec_lo, exec_lo, s4
	s_waitcnt lgkmcnt(0)
	s_waitcnt_vscnt null, 0x0
	s_barrier
	buffer_gl0_inv
	s_clause 0x24
	buffer_load_dword v146, off, s[0:3], 0 offset:100
	buffer_load_dword v2, off, s[0:3], 0 offset:108
	;; [unrolled: 1-line block ×37, first 2 shown]
	ds_read_b128 v[130:133], v1 offset:528
	ds_read_b128 v[134:137], v1 offset:544
	;; [unrolled: 1-line block ×3, first 2 shown]
	s_clause 0x1
	buffer_load_dword v164, off, s[0:3], 0 offset:244
	buffer_load_dword v165, off, s[0:3], 0 offset:252
	ds_read_b128 v[142:145], v1 offset:576
	buffer_load_dword v167, off, s[0:3], 0 offset:92
	s_mov_b32 s4, exec_lo
	s_waitcnt vmcnt(39) lgkmcnt(3)
	v_mul_f32_e32 v166, v131, v146
	v_mul_f32_e32 v146, v130, v146
	s_waitcnt vmcnt(38)
	v_mul_f32_e32 v168, v132, v2
	v_mul_f32_e32 v2, v133, v2
	s_waitcnt vmcnt(35)
	v_fma_f32 v166, v130, v149, -v166
	v_fmac_f32_e32 v146, v131, v149
	v_fmac_f32_e32 v168, v133, v148
	v_fma_f32 v2, v132, v148, -v2
	s_waitcnt vmcnt(33) lgkmcnt(2)
	v_mul_f32_e32 v148, v136, v151
	v_mul_f32_e32 v131, v137, v151
	;; [unrolled: 1-line block ×4, first 2 shown]
	s_waitcnt vmcnt(32) lgkmcnt(1)
	v_mul_f32_e32 v150, v138, v152
	v_mul_f32_e32 v151, v139, v152
	s_waitcnt vmcnt(28)
	v_fmac_f32_e32 v148, v137, v155
	v_fma_f32 v152, v136, v155, -v131
	s_waitcnt vmcnt(27)
	v_mul_f32_e32 v155, v140, v156
	v_mul_f32_e32 v156, v141, v156
	v_fmac_f32_e32 v149, v135, v147
	v_fma_f32 v147, v134, v147, -v130
	ds_read_b128 v[130:133], v1 offset:592
	ds_read_b128 v[134:137], v1 offset:608
	v_fmac_f32_e32 v150, v139, v154
	v_fma_f32 v151, v138, v154, -v151
	s_waitcnt vmcnt(26) lgkmcnt(2)
	v_mul_f32_e32 v154, v142, v157
	v_mul_f32_e32 v138, v143, v157
	v_fmac_f32_e32 v155, v141, v153
	v_fma_f32 v153, v140, v153, -v156
	s_waitcnt vmcnt(25)
	v_mul_f32_e32 v156, v144, v158
	v_mul_f32_e32 v139, v145, v158
	s_clause 0x3
	buffer_load_dword v157, off, s[0:3], 0 offset:272
	buffer_load_dword v158, off, s[0:3], 0 offset:264
	;; [unrolled: 1-line block ×4, first 2 shown]
	v_fmac_f32_e32 v154, v143, v120
	v_fma_f32 v142, v142, v120, -v138
	s_waitcnt vmcnt(25)
	v_fmac_f32_e32 v156, v145, v159
	v_fma_f32 v143, v144, v159, -v139
	ds_read_b128 v[138:141], v1 offset:624
	s_clause 0x1
	buffer_load_dword v171, off, s[0:3], 0 offset:260
	buffer_load_dword v172, off, s[0:3], 0 offset:268
	s_waitcnt vmcnt(26) lgkmcnt(2)
	v_mul_f32_e32 v144, v130, v160
	v_mul_f32_e32 v120, v131, v160
	s_waitcnt vmcnt(25)
	v_mul_f32_e32 v145, v132, v161
	v_mul_f32_e32 v159, v133, v161
	s_waitcnt vmcnt(24) lgkmcnt(1)
	v_mul_f32_e32 v161, v134, v162
	v_fmac_f32_e32 v144, v131, v127
	v_fma_f32 v160, v130, v127, -v120
	v_fmac_f32_e32 v145, v133, v121
	v_fma_f32 v159, v132, v121, -v159
	ds_read_b128 v[130:133], v1 offset:640
	v_mul_f32_e32 v120, v135, v162
	s_waitcnt vmcnt(23)
	v_mul_f32_e32 v121, v137, v126
	v_mul_f32_e32 v162, v136, v126
	v_fmac_f32_e32 v161, v135, v6
	v_fma_f32 v6, v134, v6, -v120
	s_waitcnt vmcnt(19)
	v_fma_f32 v134, v136, v163, -v121
	s_waitcnt vmcnt(18) lgkmcnt(1)
	v_mul_f32_e32 v135, v138, v129
	v_mul_f32_e32 v120, v139, v129
	s_waitcnt vmcnt(17)
	v_mul_f32_e32 v136, v140, v128
	v_mul_f32_e32 v121, v141, v128
	ds_read_b128 v[126:129], v1 offset:656
	v_fmac_f32_e32 v162, v137, v163
	v_fmac_f32_e32 v135, v139, v122
	buffer_load_dword v137, off, s[0:3], 0 offset:276
	v_fma_f32 v122, v138, v122, -v120
	v_fmac_f32_e32 v136, v141, v8
	v_fma_f32 v8, v140, v8, -v121
	s_waitcnt vmcnt(16) lgkmcnt(1)
	v_mul_f32_e32 v139, v132, v118
	v_mul_f32_e32 v118, v133, v118
	;; [unrolled: 1-line block ×4, first 2 shown]
	s_waitcnt vmcnt(12)
	v_fmac_f32_e32 v139, v133, v125
	v_fma_f32 v125, v132, v125, -v118
	buffer_load_dword v132, off, s[0:3], 0 offset:284
	v_fmac_f32_e32 v138, v131, v4
	v_fma_f32 v130, v130, v4, -v119
	ds_read_b128 v[118:121], v1 offset:672
	s_waitcnt vmcnt(12) lgkmcnt(1)
	v_mul_f32_e32 v131, v126, v124
	v_mul_f32_e32 v4, v127, v124
	s_waitcnt vmcnt(11)
	v_mul_f32_e32 v124, v128, v123
	v_mul_f32_e32 v123, v129, v123
	v_fmac_f32_e32 v131, v127, v7
	v_fma_f32 v7, v126, v7, -v4
	v_fmac_f32_e32 v124, v129, v5
	v_fma_f32 v123, v128, v5, -v123
	s_clause 0x4
	buffer_load_dword v126, off, s[0:3], 0 offset:304
	buffer_load_dword v127, off, s[0:3], 0 offset:296
	;; [unrolled: 1-line block ×5, first 2 shown]
	v_add_f32_e32 v4, 0, v166
	v_add_f32_e32 v5, 0, v146
	s_clause 0x1
	buffer_load_dword v140, off, s[0:3], 0 offset:300
	buffer_load_dword v141, off, s[0:3], 0 offset:308
	v_add_f32_e32 v2, v4, v2
	v_add_f32_e32 v4, v5, v168
	s_waitcnt vmcnt(17) lgkmcnt(0)
	v_mul_f32_e32 v146, v118, v164
	v_mul_f32_e32 v5, v119, v164
	v_add_f32_e32 v2, v2, v147
	v_add_f32_e32 v4, v4, v149
	s_waitcnt vmcnt(16)
	v_mul_f32_e32 v149, v121, v165
	v_fmac_f32_e32 v146, v119, v3
	v_fma_f32 v163, v118, v3, -v5
	v_add_f32_e32 v118, v2, v152
	v_add_f32_e32 v119, v4, v148
	ds_read_b128 v[2:5], v1 offset:688
	v_mul_f32_e32 v147, v120, v165
	v_add_f32_e32 v118, v118, v151
	v_add_f32_e32 v119, v119, v150
	;; [unrolled: 1-line block ×10, first 2 shown]
	s_waitcnt vmcnt(11)
	v_fma_f32 v148, v120, v170, -v149
	s_clause 0x7
	buffer_load_dword v149, off, s[0:3], 0 offset:316
	buffer_load_dword v150, off, s[0:3], 0 offset:336
	;; [unrolled: 1-line block ×8, first 2 shown]
	v_fmac_f32_e32 v147, v121, v170
	ds_read_b128 v[118:121], v1 offset:704
	s_waitcnt vmcnt(18) lgkmcnt(1)
	v_mul_f32_e32 v156, v2, v171
	v_mul_f32_e32 v165, v3, v171
	s_waitcnt vmcnt(17)
	v_mul_f32_e32 v155, v4, v172
	v_mul_f32_e32 v160, v5, v172
	v_fmac_f32_e32 v156, v3, v169
	v_add_f32_e32 v3, v143, v159
	v_add_f32_e32 v143, v144, v145
	v_fma_f32 v144, v2, v169, -v165
	v_fmac_f32_e32 v155, v5, v158
	v_fma_f32 v145, v4, v158, -v160
	v_add_f32_e32 v2, v3, v6
	v_add_f32_e32 v3, v143, v161
	s_clause 0x7
	buffer_load_dword v6, off, s[0:3], 0 offset:348
	buffer_load_dword v143, off, s[0:3], 0 offset:356
	;; [unrolled: 1-line block ×8, first 2 shown]
	v_add_f32_e32 v2, v2, v134
	v_add_f32_e32 v3, v3, v162
	s_clause 0x3
	buffer_load_dword v162, off, s[0:3], 0 offset:380
	buffer_load_dword v169, off, s[0:3], 0 offset:388
	;; [unrolled: 1-line block ×4, first 2 shown]
	v_add_f32_e32 v2, v2, v122
	v_add_f32_e32 v8, v2, v8
	s_waitcnt vmcnt(28) lgkmcnt(0)
	v_mul_f32_e32 v4, v119, v137
	v_mul_f32_e32 v168, v118, v137
	v_add_f32_e32 v8, v8, v130
	v_fma_f32 v134, v118, v157, -v4
	v_add_f32_e32 v118, v3, v135
	v_fmac_f32_e32 v168, v119, v157
	s_clause 0x2
	buffer_load_dword v157, off, s[0:3], 0 offset:412
	buffer_load_dword v172, off, s[0:3], 0 offset:420
	;; [unrolled: 1-line block ×3, first 2 shown]
	v_add_f32_e32 v8, v8, v125
	v_add_f32_e32 v118, v118, v136
	s_waitcnt vmcnt(30)
	v_mul_f32_e32 v3, v121, v132
	v_mul_f32_e32 v135, v120, v132
	v_add_f32_e32 v7, v8, v7
	v_add_f32_e32 v118, v118, v138
	;; [unrolled: 1-line block ×4, first 2 shown]
	s_waitcnt vmcnt(26)
	v_fma_f32 v132, v120, v129, -v3
	ds_read_b128 v[2:5], v1 offset:720
	s_clause 0x3
	buffer_load_dword v138, off, s[0:3], 0 offset:400
	buffer_load_dword v174, off, s[0:3], 0 offset:392
	;; [unrolled: 1-line block ×4, first 2 shown]
	v_add_f32_e32 v8, v118, v131
	v_fmac_f32_e32 v135, v121, v129
	ds_read_b128 v[118:121], v1 offset:736
	s_waitcnt vmcnt(29) lgkmcnt(1)
	v_mul_f32_e32 v130, v2, v133
	v_mul_f32_e32 v122, v3, v133
	s_waitcnt vmcnt(28)
	v_mul_f32_e32 v136, v4, v140
	s_waitcnt vmcnt(27) lgkmcnt(0)
	v_mul_f32_e32 v129, v119, v141
	v_fmac_f32_e32 v130, v3, v128
	v_fma_f32 v131, v2, v128, -v122
	v_add_f32_e32 v2, v8, v124
	v_add_f32_e32 v3, v7, v163
	s_clause 0x2
	buffer_load_dword v7, off, s[0:3], 0 offset:424
	buffer_load_dword v8, off, s[0:3], 0 offset:416
	;; [unrolled: 1-line block ×3, first 2 shown]
	v_mul_f32_e32 v122, v5, v140
	v_fmac_f32_e32 v136, v5, v127
	v_add_f32_e32 v2, v2, v146
	buffer_load_dword v146, off, s[0:3], 0 offset:88
	v_add_f32_e32 v3, v3, v148
	v_fma_f32 v133, v4, v127, -v122
	v_mul_f32_e32 v140, v118, v141
	v_add_f32_e32 v123, v2, v147
	v_add_f32_e32 v127, v3, v144
	ds_read_b128 v[2:5], v1 offset:752
	v_fma_f32 v144, v118, v126, -v129
	v_add_f32_e32 v128, v123, v156
	ds_read_b128 v[122:125], v1 offset:768
	v_add_f32_e32 v127, v127, v145
	v_fmac_f32_e32 v140, v119, v126
	v_add_f32_e32 v128, v128, v155
	v_add_f32_e32 v134, v127, v134
	;; [unrolled: 1-line block ×4, first 2 shown]
	s_waitcnt vmcnt(30)
	v_mul_f32_e32 v137, v121, v149
	v_mul_f32_e32 v141, v120, v149
	s_waitcnt vmcnt(25) lgkmcnt(1)
	v_mul_f32_e32 v147, v2, v142
	v_mul_f32_e32 v134, v3, v142
	v_fma_f32 v145, v120, v164, -v137
	v_add_f32_e32 v137, v128, v168
	s_waitcnt vmcnt(23) lgkmcnt(0)
	v_mul_f32_e32 v148, v122, v154
	v_fmac_f32_e32 v147, v3, v152
	v_fma_f32 v152, v2, v152, -v134
	v_mul_f32_e32 v142, v4, v153
	v_add_f32_e32 v135, v137, v135
	v_mul_f32_e32 v137, v5, v153
	v_mul_f32_e32 v149, v123, v154
	v_fmac_f32_e32 v148, v123, v150
	v_fmac_f32_e32 v141, v121, v164
	v_add_f32_e32 v134, v135, v130
	v_add_f32_e32 v135, v131, v133
	ds_read_b128 v[118:121], v1 offset:784
	ds_read_b128 v[126:129], v1 offset:800
	v_fmac_f32_e32 v142, v5, v151
	v_fma_f32 v151, v4, v151, -v137
	v_add_f32_e32 v153, v134, v136
	v_add_f32_e32 v123, v135, v144
	ds_read_b128 v[2:5], v1 offset:816
	ds_read_b128 v[130:133], v1 offset:832
	;; [unrolled: 1-line block ×3, first 2 shown]
	v_fma_f32 v122, v122, v150, -v149
	v_add_f32_e32 v1, v153, v140
	v_add_f32_e32 v123, v123, v145
	s_waitcnt vmcnt(22)
	v_mul_f32_e32 v140, v124, v6
	v_mul_f32_e32 v6, v125, v6
	v_add_f32_e32 v1, v1, v141
	v_add_f32_e32 v123, v123, v152
	s_waitcnt vmcnt(15)
	v_fmac_f32_e32 v140, v125, v166
	v_fma_f32 v6, v124, v166, -v6
	v_add_f32_e32 v1, v1, v147
	v_add_f32_e32 v123, v123, v151
	s_waitcnt lgkmcnt(4)
	v_mul_f32_e32 v144, v118, v143
	v_mul_f32_e32 v143, v119, v143
	;; [unrolled: 1-line block ×3, first 2 shown]
	v_add_f32_e32 v1, v1, v142
	v_add_f32_e32 v122, v123, v122
	v_mul_f32_e32 v142, v121, v158
	v_fma_f32 v118, v118, v165, -v143
	v_fmac_f32_e32 v144, v119, v165
	v_add_f32_e32 v1, v1, v148
	v_add_f32_e32 v6, v122, v6
	s_waitcnt lgkmcnt(3)
	v_mul_f32_e32 v119, v127, v159
	v_fma_f32 v120, v120, v161, -v142
	v_mul_f32_e32 v124, v126, v159
	v_add_f32_e32 v1, v1, v140
	v_add_f32_e32 v6, v6, v118
	v_fmac_f32_e32 v141, v121, v161
	s_waitcnt vmcnt(14)
	v_mul_f32_e32 v118, v129, v162
	v_fma_f32 v119, v126, v160, -v119
	v_add_f32_e32 v1, v1, v144
	v_add_f32_e32 v6, v6, v120
	v_mul_f32_e32 v125, v128, v162
	v_fmac_f32_e32 v124, v127, v160
	s_waitcnt vmcnt(13) lgkmcnt(2)
	v_mul_f32_e32 v145, v2, v169
	v_add_f32_e32 v1, v1, v141
	v_mul_f32_e32 v120, v3, v169
	v_add_f32_e32 v6, v6, v119
	s_waitcnt vmcnt(4)
	v_fma_f32 v118, v128, v176, -v118
	v_fmac_f32_e32 v125, v129, v176
	v_add_f32_e32 v1, v1, v124
	v_mul_f32_e32 v119, v5, v170
	v_fmac_f32_e32 v145, v3, v175
	v_fma_f32 v2, v2, v175, -v120
	v_add_f32_e32 v3, v6, v118
	v_mul_f32_e32 v147, v4, v170
	v_add_f32_e32 v1, v1, v125
	s_waitcnt lgkmcnt(1)
	v_mul_f32_e32 v6, v131, v171
	v_fma_f32 v4, v4, v174, -v119
	v_add_f32_e32 v2, v3, v2
	v_mul_f32_e32 v149, v130, v171
	v_fmac_f32_e32 v147, v5, v174
	v_add_f32_e32 v1, v1, v145
	v_mul_f32_e32 v3, v133, v157
	v_fma_f32 v5, v130, v138, -v6
	v_add_f32_e32 v2, v2, v4
	v_mul_f32_e32 v150, v132, v157
	v_fmac_f32_e32 v149, v131, v138
	v_add_f32_e32 v1, v1, v147
	s_waitcnt lgkmcnt(0)
	v_mul_f32_e32 v4, v135, v172
	v_add_f32_e32 v2, v2, v5
	v_mul_f32_e32 v151, v134, v172
	v_mul_f32_e32 v5, v137, v173
	v_add_f32_e32 v1, v1, v149
	v_mul_f32_e32 v123, v136, v173
	s_waitcnt vmcnt(2)
	v_fma_f32 v4, v134, v8, -v4
	s_waitcnt vmcnt(1)
	v_fma_f32 v3, v132, v139, -v3
	v_fmac_f32_e32 v150, v133, v139
	v_fmac_f32_e32 v151, v135, v8
	;; [unrolled: 1-line block ×3, first 2 shown]
	v_add_f32_e32 v2, v2, v3
	v_add_f32_e32 v1, v1, v150
	v_fma_f32 v3, v136, v7, -v5
	v_add_f32_e32 v2, v2, v4
	v_add_f32_e32 v1, v1, v151
	;; [unrolled: 1-line block ×4, first 2 shown]
	s_waitcnt vmcnt(0)
	v_sub_f32_e32 v2, v146, v2
	v_sub_f32_e32 v1, v167, v1
	buffer_store_dword v2, off, s[0:3], 0 offset:88
	buffer_store_dword v1, off, s[0:3], 0 offset:92
	v_cmpx_lt_u32_e32 10, v0
	s_cbranch_execz .LBB117_317
; %bb.316:
	s_clause 0x1
	buffer_load_dword v1, off, s[0:3], 0 offset:80
	buffer_load_dword v2, off, s[0:3], 0 offset:84
	v_mov_b32_e32 v3, 0
	buffer_store_dword v3, off, s[0:3], 0 offset:80
	buffer_store_dword v3, off, s[0:3], 0 offset:84
	s_waitcnt vmcnt(0)
	ds_write_b64 v117, v[1:2]
.LBB117_317:
	s_or_b32 exec_lo, exec_lo, s4
	s_waitcnt lgkmcnt(0)
	s_waitcnt_vscnt null, 0x0
	s_barrier
	buffer_gl0_inv
	s_clause 0x2c
	buffer_load_dword v156, off, s[0:3], 0 offset:92
	buffer_load_dword v157, off, s[0:3], 0 offset:100
	;; [unrolled: 1-line block ×45, first 2 shown]
	v_mov_b32_e32 v1, 0
	ds_read2_b64 v[148:151], v1 offset0:65 offset1:66
	ds_read2_b64 v[152:155], v1 offset0:67 offset1:68
	buffer_load_dword v166, off, s[0:3], 0 offset:84
	s_mov_b32 s4, exec_lo
	s_waitcnt vmcnt(45) lgkmcnt(1)
	v_mul_f32_e32 v164, v149, v156
	v_mul_f32_e32 v156, v148, v156
	s_waitcnt vmcnt(44)
	v_mul_f32_e32 v165, v150, v157
	v_mul_f32_e32 v157, v151, v157
	s_waitcnt vmcnt(41)
	v_fma_f32 v164, v148, v145, -v164
	v_fmac_f32_e32 v156, v149, v145
	v_fmac_f32_e32 v165, v151, v141
	v_fma_f32 v157, v150, v141, -v157
	ds_read2_b64 v[148:151], v1 offset0:69 offset1:70
	s_waitcnt vmcnt(40) lgkmcnt(1)
	v_mul_f32_e32 v167, v152, v140
	v_mul_f32_e32 v140, v153, v140
	s_waitcnt vmcnt(39)
	v_mul_f32_e32 v168, v154, v138
	v_mul_f32_e32 v138, v155, v138
	v_fmac_f32_e32 v167, v153, v127
	v_fma_f32 v127, v152, v127, -v140
	s_waitcnt vmcnt(35)
	v_fmac_f32_e32 v168, v155, v146
	v_fma_f32 v169, v154, v146, -v138
	ds_read2_b64 v[152:155], v1 offset0:71 offset1:72
	s_waitcnt vmcnt(34) lgkmcnt(1)
	v_mul_f32_e32 v170, v148, v144
	v_mul_f32_e32 v138, v149, v144
	s_waitcnt vmcnt(33)
	v_mul_f32_e32 v171, v150, v143
	v_mul_f32_e32 v140, v151, v143
	ds_read2_b64 v[143:146], v1 offset0:73 offset1:74
	v_fmac_f32_e32 v170, v149, v135
	v_fma_f32 v135, v148, v135, -v138
	v_fmac_f32_e32 v171, v151, v130
	v_fma_f32 v172, v150, v130, -v140
	ds_read2_b64 v[148:151], v1 offset0:75 offset1:76
	s_waitcnt vmcnt(32) lgkmcnt(2)
	v_mul_f32_e32 v173, v152, v134
	v_mul_f32_e32 v130, v153, v134
	s_waitcnt vmcnt(31)
	v_mul_f32_e32 v134, v154, v132
	v_mul_f32_e32 v132, v155, v132
	v_fmac_f32_e32 v173, v153, v8
	v_fma_f32 v8, v152, v8, -v130
	s_waitcnt vmcnt(27)
	v_fmac_f32_e32 v134, v155, v142
	v_fma_f32 v152, v154, v142, -v132
	s_waitcnt vmcnt(26) lgkmcnt(1)
	v_mul_f32_e32 v153, v143, v139
	v_mul_f32_e32 v130, v144, v139
	s_waitcnt vmcnt(25)
	v_mul_f32_e32 v154, v145, v137
	v_mul_f32_e32 v132, v146, v137
	ds_read2_b64 v[137:140], v1 offset0:77 offset1:78
	v_fmac_f32_e32 v153, v144, v128
	v_fma_f32 v128, v143, v128, -v130
	ds_read2_b64 v[141:144], v1 offset0:79 offset1:80
	v_fmac_f32_e32 v154, v146, v122
	v_fma_f32 v145, v145, v122, -v132
	s_waitcnt vmcnt(24) lgkmcnt(2)
	v_mul_f32_e32 v146, v148, v126
	v_mul_f32_e32 v122, v149, v126
	s_waitcnt vmcnt(23)
	v_mul_f32_e32 v126, v150, v124
	v_mul_f32_e32 v124, v151, v124
	v_fmac_f32_e32 v146, v149, v4
	v_fma_f32 v148, v148, v4, -v122
	s_waitcnt vmcnt(19)
	v_fmac_f32_e32 v126, v151, v136
	v_fma_f32 v136, v150, v136, -v124
	s_waitcnt vmcnt(18) lgkmcnt(1)
	v_mul_f32_e32 v149, v137, v133
	v_mul_f32_e32 v4, v138, v133
	s_waitcnt vmcnt(17)
	v_mul_f32_e32 v150, v139, v131
	v_mul_f32_e32 v122, v140, v131
	ds_read2_b64 v[130:133], v1 offset0:81 offset1:82
	v_fmac_f32_e32 v149, v138, v121
	v_fma_f32 v137, v137, v121, -v4
	v_fmac_f32_e32 v150, v140, v118
	v_fma_f32 v138, v139, v118, -v122
	s_waitcnt vmcnt(15) lgkmcnt(1)
	v_mul_f32_e32 v140, v143, v119
	v_mul_f32_e32 v118, v144, v119
	;; [unrolled: 1-line block ×4, first 2 shown]
	s_waitcnt vmcnt(11)
	v_fmac_f32_e32 v140, v144, v129
	v_fma_f32 v129, v143, v129, -v118
	ds_read2_b64 v[118:121], v1 offset0:83 offset1:84
	v_fmac_f32_e32 v139, v142, v3
	v_fma_f32 v141, v141, v3, -v4
	s_waitcnt vmcnt(10) lgkmcnt(1)
	v_mul_f32_e32 v142, v130, v125
	v_mul_f32_e32 v3, v131, v125
	s_waitcnt vmcnt(9)
	v_mul_f32_e32 v143, v132, v123
	v_mul_f32_e32 v4, v133, v123
	ds_read2_b64 v[122:125], v1 offset0:85 offset1:86
	v_fmac_f32_e32 v142, v131, v7
	v_fma_f32 v7, v130, v7, -v3
	v_fmac_f32_e32 v143, v133, v5
	v_fma_f32 v130, v132, v5, -v4
	buffer_load_dword v132, off, s[0:3], 0 offset:268
	s_waitcnt vmcnt(8) lgkmcnt(1)
	v_mul_f32_e32 v4, v121, v147
	v_mul_f32_e32 v131, v118, v6
	;; [unrolled: 1-line block ×4, first 2 shown]
	s_waitcnt vmcnt(4)
	v_fma_f32 v144, v120, v161, -v4
	buffer_load_dword v120, off, s[0:3], 0 offset:276
	v_fmac_f32_e32 v131, v119, v2
	v_fma_f32 v133, v118, v2, -v3
	ds_read2_b64 v[2:5], v1 offset0:87 offset1:88
	v_fmac_f32_e32 v6, v121, v161
	s_waitcnt vmcnt(4) lgkmcnt(1)
	v_mul_f32_e32 v147, v122, v162
	v_mul_f32_e32 v118, v123, v162
	s_waitcnt vmcnt(3)
	v_mul_f32_e32 v151, v124, v163
	v_mul_f32_e32 v119, v125, v163
	v_fmac_f32_e32 v147, v123, v160
	v_fma_f32 v122, v122, v160, -v118
	v_fmac_f32_e32 v151, v125, v159
	v_fma_f32 v123, v124, v159, -v119
	s_clause 0x4
	buffer_load_dword v124, off, s[0:3], 0 offset:296
	buffer_load_dword v125, off, s[0:3], 0 offset:288
	buffer_load_dword v155, off, s[0:3], 0 offset:280
	buffer_load_dword v118, off, s[0:3], 0 offset:272
	buffer_load_dword v159, off, s[0:3], 0 offset:284
	s_waitcnt vmcnt(6) lgkmcnt(0)
	v_mul_f32_e32 v160, v2, v132
	v_mul_f32_e32 v119, v3, v132
	v_fmac_f32_e32 v160, v3, v158
	v_fma_f32 v132, v2, v158, -v119
	s_waitcnt vmcnt(5)
	v_mul_f32_e32 v158, v4, v120
	v_mul_f32_e32 v2, v5, v120
	s_waitcnt vmcnt(1)
	v_fmac_f32_e32 v158, v5, v118
	v_fma_f32 v161, v4, v118, -v2
	ds_read2_b64 v[2:5], v1 offset0:89 offset1:90
	ds_read2_b64 v[118:121], v1 offset0:91 offset1:92
	s_waitcnt vmcnt(0) lgkmcnt(1)
	v_mul_f32_e32 v162, v2, v159
	v_mul_f32_e32 v159, v3, v159
	v_fmac_f32_e32 v162, v3, v155
	v_fma_f32 v155, v2, v155, -v159
	buffer_load_dword v2, off, s[0:3], 0 offset:292
	s_waitcnt vmcnt(0)
	v_mul_f32_e32 v159, v4, v2
	v_mul_f32_e32 v2, v5, v2
	v_fmac_f32_e32 v159, v5, v125
	v_fma_f32 v163, v4, v125, -v2
	buffer_load_dword v2, off, s[0:3], 0 offset:300
	s_waitcnt vmcnt(0) lgkmcnt(0)
	v_mul_f32_e32 v174, v118, v2
	v_mul_f32_e32 v2, v119, v2
	v_fmac_f32_e32 v174, v119, v124
	v_fma_f32 v175, v118, v124, -v2
	s_clause 0x4
	buffer_load_dword v2, off, s[0:3], 0 offset:308
	buffer_load_dword v176, off, s[0:3], 0 offset:328
	;; [unrolled: 1-line block ×5, first 2 shown]
	s_waitcnt vmcnt(4)
	v_mul_f32_e32 v177, v120, v2
	v_mul_f32_e32 v2, v121, v2
	s_waitcnt vmcnt(0)
	v_fmac_f32_e32 v177, v121, v3
	v_fma_f32 v178, v120, v3, -v2
	v_add_f32_e32 v2, 0, v164
	v_add_f32_e32 v3, 0, v156
	buffer_load_dword v156, off, s[0:3], 0 offset:324
	v_add_f32_e32 v2, v2, v157
	v_add_f32_e32 v3, v3, v165
	buffer_load_dword v157, off, s[0:3], 0 offset:340
	v_add_f32_e32 v2, v2, v127
	buffer_load_dword v127, off, s[0:3], 0 offset:316
	v_add_f32_e32 v3, v3, v167
	v_add_f32_e32 v2, v2, v169
	;; [unrolled: 1-line block ×4, first 2 shown]
	buffer_load_dword v135, off, s[0:3], 0 offset:332
	v_add_f32_e32 v3, v3, v170
	v_add_f32_e32 v2, v2, v172
	;; [unrolled: 1-line block ×4, first 2 shown]
	s_clause 0x3
	buffer_load_dword v8, off, s[0:3], 0 offset:360
	buffer_load_dword v164, off, s[0:3], 0 offset:352
	;; [unrolled: 1-line block ×4, first 2 shown]
	v_add_f32_e32 v3, v3, v173
	v_add_f32_e32 v2, v2, v152
	s_clause 0x1
	buffer_load_dword v152, off, s[0:3], 0 offset:348
	buffer_load_dword v168, off, s[0:3], 0 offset:356
	v_add_f32_e32 v3, v3, v134
	buffer_load_dword v134, off, s[0:3], 0 offset:364
	v_add_f32_e32 v2, v2, v128
	v_add_f32_e32 v3, v3, v153
	;; [unrolled: 1-line block ×3, first 2 shown]
	s_clause 0x3
	buffer_load_dword v145, off, s[0:3], 0 offset:372
	buffer_load_dword v153, off, s[0:3], 0 offset:380
	;; [unrolled: 1-line block ×4, first 2 shown]
	v_add_f32_e32 v3, v3, v154
	v_add_f32_e32 v2, v2, v148
	s_clause 0x1
	buffer_load_dword v148, off, s[0:3], 0 offset:404
	buffer_load_dword v154, off, s[0:3], 0 offset:412
	v_add_f32_e32 v3, v3, v146
	v_add_f32_e32 v2, v2, v136
	s_clause 0x1
	buffer_load_dword v136, off, s[0:3], 0 offset:420
	buffer_load_dword v146, off, s[0:3], 0 offset:428
	v_add_f32_e32 v3, v3, v126
	v_add_f32_e32 v2, v2, v137
	;; [unrolled: 1-line block ×4, first 2 shown]
	s_clause 0x3
	buffer_load_dword v137, off, s[0:3], 0 offset:392
	buffer_load_dword v138, off, s[0:3], 0 offset:384
	;; [unrolled: 1-line block ×4, first 2 shown]
	v_add_f32_e32 v3, v3, v150
	v_add_f32_e32 v2, v2, v141
	;; [unrolled: 1-line block ×3, first 2 shown]
	s_clause 0x3
	buffer_load_dword v139, off, s[0:3], 0 offset:424
	buffer_load_dword v141, off, s[0:3], 0 offset:416
	;; [unrolled: 1-line block ×4, first 2 shown]
	v_add_f32_e32 v2, v2, v129
	v_add_f32_e32 v3, v3, v140
	buffer_load_dword v140, off, s[0:3], 0 offset:80
	v_add_f32_e32 v2, v2, v7
	v_add_f32_e32 v3, v3, v142
	;; [unrolled: 1-line block ×4, first 2 shown]
	ds_read2_b64 v[2:5], v1 offset0:93 offset1:94
	v_add_f32_e32 v7, v7, v133
	v_add_f32_e32 v118, v118, v131
	;; [unrolled: 1-line block ×4, first 2 shown]
	ds_read2_b64 v[118:121], v1 offset0:95 offset1:96
	v_add_f32_e32 v7, v7, v122
	v_add_f32_e32 v6, v6, v147
	v_add_f32_e32 v7, v7, v123
	v_add_f32_e32 v6, v6, v151
	v_add_f32_e32 v6, v6, v160
	v_add_f32_e32 v6, v6, v158
	v_add_f32_e32 v6, v6, v162
	v_add_f32_e32 v6, v6, v159
	s_waitcnt vmcnt(27) lgkmcnt(1)
	v_mul_f32_e32 v143, v4, v156
	v_mul_f32_e32 v123, v5, v156
	v_fmac_f32_e32 v143, v5, v124
	v_fma_f32 v147, v4, v124, -v123
	s_waitcnt vmcnt(25)
	v_mul_f32_e32 v142, v2, v127
	v_mul_f32_e32 v122, v3, v127
	v_fmac_f32_e32 v142, v3, v125
	v_add_f32_e32 v3, v7, v132
	v_fma_f32 v144, v2, v125, -v122
	s_waitcnt vmcnt(24) lgkmcnt(0)
	v_mul_f32_e32 v151, v118, v135
	v_add_f32_e32 v7, v3, v161
	ds_read2_b64 v[2:5], v1 offset0:97 offset1:98
	ds_read2_b64 v[122:125], v1 offset0:99 offset1:100
	v_mul_f32_e32 v130, v119, v135
	v_mul_f32_e32 v135, v120, v157
	v_fmac_f32_e32 v151, v119, v176
	v_add_f32_e32 v7, v7, v155
	v_mul_f32_e32 v155, v121, v157
	v_add_f32_e32 v157, v6, v174
	v_fma_f32 v156, v118, v176, -v130
	ds_read2_b64 v[126:129], v1 offset0:101 offset1:102
	ds_read2_b64 v[130:133], v1 offset0:103 offset1:104
	v_add_f32_e32 v7, v7, v163
	v_add_f32_e32 v157, v157, v177
	s_waitcnt vmcnt(20)
	v_fma_f32 v155, v120, v167, -v155
	v_fmac_f32_e32 v135, v121, v167
	v_add_f32_e32 v7, v7, v175
	v_add_f32_e32 v142, v157, v142
	s_waitcnt vmcnt(19) lgkmcnt(3)
	v_mul_f32_e32 v159, v2, v152
	v_add_f32_e32 v158, v7, v178
	v_add_f32_e32 v142, v142, v143
	v_mul_f32_e32 v152, v3, v152
	s_waitcnt vmcnt(18)
	v_mul_f32_e32 v160, v4, v168
	v_fmac_f32_e32 v159, v3, v165
	v_add_f32_e32 v144, v158, v144
	v_add_f32_e32 v142, v142, v151
	v_mul_f32_e32 v158, v5, v168
	v_fma_f32 v2, v2, v165, -v152
	s_waitcnt vmcnt(17) lgkmcnt(2)
	v_mul_f32_e32 v157, v122, v134
	v_add_f32_e32 v144, v144, v147
	v_add_f32_e32 v135, v142, v135
	v_mul_f32_e32 v134, v123, v134
	v_fma_f32 v4, v4, v164, -v158
	v_fmac_f32_e32 v160, v5, v164
	v_add_f32_e32 v144, v144, v156
	v_add_f32_e32 v5, v135, v159
	s_waitcnt vmcnt(16)
	v_mul_f32_e32 v135, v125, v145
	v_fmac_f32_e32 v157, v123, v8
	v_fma_f32 v8, v122, v8, -v134
	v_add_f32_e32 v144, v144, v155
	v_mul_f32_e32 v147, v124, v145
	ds_read2_b64 v[118:121], v1 offset0:105 offset1:106
	ds_read_b64 v[6:7], v1 offset:856
	s_waitcnt vmcnt(5)
	v_fma_f32 v122, v124, v171, -v135
	s_waitcnt lgkmcnt(3)
	v_mul_f32_e32 v161, v126, v153
	v_add_f32_e32 v2, v144, v2
	v_fmac_f32_e32 v147, v125, v171
	v_mul_f32_e32 v143, v128, v169
	s_waitcnt lgkmcnt(2)
	v_mul_f32_e32 v156, v130, v170
	v_fmac_f32_e32 v161, v127, v149
	v_add_f32_e32 v2, v2, v4
	v_add_f32_e32 v4, v5, v160
	v_mul_f32_e32 v5, v127, v153
	v_fmac_f32_e32 v143, v129, v138
	v_mul_f32_e32 v3, v132, v148
	v_add_f32_e32 v2, v2, v8
	v_add_f32_e32 v4, v4, v157
	v_mul_f32_e32 v8, v129, v169
	v_fma_f32 v5, v126, v149, -v5
	v_fmac_f32_e32 v156, v131, v137
	v_add_f32_e32 v2, v2, v122
	v_add_f32_e32 v4, v4, v147
	v_mul_f32_e32 v122, v131, v170
	v_fma_f32 v8, v128, v138, -v8
	s_waitcnt lgkmcnt(1)
	v_mul_f32_e32 v151, v118, v154
	v_add_f32_e32 v2, v2, v5
	v_add_f32_e32 v4, v4, v161
	v_mul_f32_e32 v5, v133, v148
	v_fma_f32 v122, v130, v137, -v122
	s_waitcnt vmcnt(1)
	v_fmac_f32_e32 v3, v133, v172
	v_add_f32_e32 v2, v2, v8
	v_add_f32_e32 v4, v4, v143
	v_mul_f32_e32 v8, v119, v154
	v_fma_f32 v5, v132, v172, -v5
	v_mul_f32_e32 v152, v120, v136
	v_add_f32_e32 v2, v2, v122
	v_add_f32_e32 v4, v4, v156
	v_mul_f32_e32 v122, v121, v136
	v_fma_f32 v8, v118, v150, -v8
	v_fmac_f32_e32 v151, v119, v150
	v_add_f32_e32 v2, v2, v5
	v_add_f32_e32 v3, v4, v3
	s_waitcnt lgkmcnt(0)
	v_mul_f32_e32 v4, v7, v146
	v_fma_f32 v5, v120, v141, -v122
	v_mul_f32_e32 v142, v6, v146
	v_add_f32_e32 v2, v2, v8
	v_fmac_f32_e32 v152, v121, v141
	v_add_f32_e32 v3, v3, v151
	v_fma_f32 v4, v6, v139, -v4
	v_fmac_f32_e32 v142, v7, v139
	v_add_f32_e32 v2, v2, v5
	v_add_f32_e32 v3, v3, v152
	;; [unrolled: 1-line block ×4, first 2 shown]
	s_waitcnt vmcnt(0)
	v_sub_f32_e32 v2, v140, v2
	v_sub_f32_e32 v3, v166, v3
	buffer_store_dword v2, off, s[0:3], 0 offset:80
	buffer_store_dword v3, off, s[0:3], 0 offset:84
	v_cmpx_lt_u32_e32 9, v0
	s_cbranch_execz .LBB117_319
; %bb.318:
	s_clause 0x1
	buffer_load_dword v2, off, s[0:3], 0 offset:72
	buffer_load_dword v3, off, s[0:3], 0 offset:76
	buffer_store_dword v1, off, s[0:3], 0 offset:72
	buffer_store_dword v1, off, s[0:3], 0 offset:76
	s_waitcnt vmcnt(0)
	ds_write_b64 v117, v[2:3]
.LBB117_319:
	s_or_b32 exec_lo, exec_lo, s4
	s_waitcnt lgkmcnt(0)
	s_waitcnt_vscnt null, 0x0
	s_barrier
	buffer_gl0_inv
	s_clause 0x2c
	buffer_load_dword v156, off, s[0:3], 0 offset:84
	buffer_load_dword v157, off, s[0:3], 0 offset:92
	;; [unrolled: 1-line block ×45, first 2 shown]
	ds_read_b128 v[148:151], v1 offset:512
	ds_read_b128 v[152:155], v1 offset:528
	buffer_load_dword v166, off, s[0:3], 0 offset:76
	s_mov_b32 s4, exec_lo
	s_waitcnt vmcnt(45) lgkmcnt(1)
	v_mul_f32_e32 v164, v149, v156
	v_mul_f32_e32 v156, v148, v156
	s_waitcnt vmcnt(44)
	v_mul_f32_e32 v165, v150, v157
	v_mul_f32_e32 v157, v151, v157
	s_waitcnt vmcnt(41)
	v_fma_f32 v164, v148, v146, -v164
	v_fmac_f32_e32 v156, v149, v146
	v_fmac_f32_e32 v165, v151, v142
	v_fma_f32 v157, v150, v142, -v157
	ds_read_b128 v[148:151], v1 offset:544
	s_waitcnt vmcnt(40) lgkmcnt(1)
	v_mul_f32_e32 v167, v152, v141
	v_mul_f32_e32 v141, v153, v141
	s_waitcnt vmcnt(39)
	v_mul_f32_e32 v168, v154, v139
	v_mul_f32_e32 v139, v155, v139
	v_fmac_f32_e32 v167, v153, v128
	v_fma_f32 v128, v152, v128, -v141
	s_waitcnt vmcnt(35)
	v_fmac_f32_e32 v168, v155, v147
	v_fma_f32 v169, v154, v147, -v139
	ds_read_b128 v[152:155], v1 offset:560
	s_waitcnt vmcnt(34) lgkmcnt(1)
	v_mul_f32_e32 v170, v148, v145
	v_mul_f32_e32 v139, v149, v145
	s_waitcnt vmcnt(33)
	v_mul_f32_e32 v171, v150, v144
	v_mul_f32_e32 v141, v151, v144
	ds_read_b128 v[144:147], v1 offset:576
	v_fmac_f32_e32 v170, v149, v136
	v_fma_f32 v136, v148, v136, -v139
	v_fmac_f32_e32 v171, v151, v131
	v_fma_f32 v172, v150, v131, -v141
	ds_read_b128 v[148:151], v1 offset:592
	s_waitcnt vmcnt(32) lgkmcnt(2)
	v_mul_f32_e32 v173, v152, v135
	v_mul_f32_e32 v131, v153, v135
	s_waitcnt vmcnt(31)
	v_mul_f32_e32 v135, v154, v133
	v_mul_f32_e32 v133, v155, v133
	v_fmac_f32_e32 v173, v153, v118
	v_fma_f32 v152, v152, v118, -v131
	s_waitcnt vmcnt(27)
	v_fmac_f32_e32 v135, v155, v143
	v_fma_f32 v153, v154, v143, -v133
	s_waitcnt vmcnt(26) lgkmcnt(1)
	v_mul_f32_e32 v154, v144, v140
	v_mul_f32_e32 v118, v145, v140
	s_waitcnt vmcnt(25)
	v_mul_f32_e32 v155, v146, v138
	v_mul_f32_e32 v131, v147, v138
	ds_read_b128 v[138:141], v1 offset:608
	v_fmac_f32_e32 v154, v145, v129
	v_fma_f32 v129, v144, v129, -v118
	ds_read_b128 v[142:145], v1 offset:624
	v_fmac_f32_e32 v155, v147, v123
	v_fma_f32 v146, v146, v123, -v131
	s_waitcnt vmcnt(24) lgkmcnt(2)
	v_mul_f32_e32 v147, v148, v127
	v_mul_f32_e32 v118, v149, v127
	s_waitcnt vmcnt(23)
	v_mul_f32_e32 v127, v150, v125
	v_mul_f32_e32 v123, v151, v125
	v_fmac_f32_e32 v147, v149, v4
	v_fma_f32 v148, v148, v4, -v118
	s_waitcnt vmcnt(19)
	v_fmac_f32_e32 v127, v151, v137
	v_fma_f32 v137, v150, v137, -v123
	s_waitcnt vmcnt(18) lgkmcnt(1)
	v_mul_f32_e32 v149, v138, v134
	v_mul_f32_e32 v4, v139, v134
	s_waitcnt vmcnt(17)
	v_mul_f32_e32 v150, v140, v132
	v_mul_f32_e32 v118, v141, v132
	ds_read_b128 v[131:134], v1 offset:640
	v_fmac_f32_e32 v149, v139, v122
	v_fma_f32 v138, v138, v122, -v4
	v_fmac_f32_e32 v150, v141, v119
	v_fma_f32 v139, v140, v119, -v118
	s_waitcnt vmcnt(15) lgkmcnt(1)
	v_mul_f32_e32 v141, v144, v120
	v_mul_f32_e32 v118, v145, v120
	;; [unrolled: 1-line block ×4, first 2 shown]
	s_waitcnt vmcnt(11)
	v_fmac_f32_e32 v141, v145, v130
	v_fma_f32 v130, v144, v130, -v118
	ds_read_b128 v[118:121], v1 offset:656
	v_fmac_f32_e32 v140, v143, v3
	v_fma_f32 v142, v142, v3, -v4
	s_waitcnt vmcnt(10) lgkmcnt(1)
	v_mul_f32_e32 v143, v131, v126
	v_mul_f32_e32 v3, v132, v126
	s_waitcnt vmcnt(9)
	v_mul_f32_e32 v126, v133, v124
	v_mul_f32_e32 v4, v134, v124
	ds_read_b128 v[122:125], v1 offset:672
	v_fmac_f32_e32 v143, v132, v8
	v_fma_f32 v8, v131, v8, -v3
	v_fmac_f32_e32 v126, v134, v5
	v_fma_f32 v131, v133, v5, -v4
	s_waitcnt vmcnt(8) lgkmcnt(1)
	v_mul_f32_e32 v132, v118, v7
	v_mul_f32_e32 v3, v119, v7
	s_waitcnt vmcnt(7)
	v_mul_f32_e32 v7, v120, v6
	v_mul_f32_e32 v4, v121, v6
	buffer_load_dword v6, off, s[0:3], 0 offset:260
	v_fmac_f32_e32 v132, v119, v2
	v_fma_f32 v133, v118, v2, -v3
	s_waitcnt vmcnt(4)
	v_fmac_f32_e32 v7, v121, v161
	v_fma_f32 v134, v120, v161, -v4
	buffer_load_dword v120, off, s[0:3], 0 offset:268
	ds_read_b128 v[2:5], v1 offset:688
	s_waitcnt vmcnt(4) lgkmcnt(1)
	v_mul_f32_e32 v144, v122, v162
	v_mul_f32_e32 v118, v123, v162
	s_waitcnt vmcnt(3)
	v_mul_f32_e32 v145, v124, v163
	v_mul_f32_e32 v119, v125, v163
	v_fmac_f32_e32 v144, v123, v160
	v_fma_f32 v122, v122, v160, -v118
	v_fmac_f32_e32 v145, v125, v159
	v_fma_f32 v123, v124, v159, -v119
	s_clause 0x4
	buffer_load_dword v124, off, s[0:3], 0 offset:288
	buffer_load_dword v125, off, s[0:3], 0 offset:280
	;; [unrolled: 1-line block ×5, first 2 shown]
	s_waitcnt vmcnt(6) lgkmcnt(0)
	v_mul_f32_e32 v160, v2, v6
	v_mul_f32_e32 v6, v3, v6
	v_fmac_f32_e32 v160, v3, v158
	v_fma_f32 v6, v2, v158, -v6
	s_waitcnt vmcnt(5)
	v_mul_f32_e32 v158, v4, v120
	v_mul_f32_e32 v2, v5, v120
	s_waitcnt vmcnt(1)
	v_fmac_f32_e32 v158, v5, v118
	v_fma_f32 v161, v4, v118, -v2
	ds_read_b128 v[2:5], v1 offset:704
	ds_read_b128 v[118:121], v1 offset:720
	s_waitcnt vmcnt(0) lgkmcnt(1)
	v_mul_f32_e32 v162, v2, v159
	v_mul_f32_e32 v159, v3, v159
	v_fmac_f32_e32 v162, v3, v151
	v_fma_f32 v151, v2, v151, -v159
	s_clause 0x1
	buffer_load_dword v2, off, s[0:3], 0 offset:284
	buffer_load_dword v3, off, s[0:3], 0 offset:292
	s_waitcnt vmcnt(1)
	v_mul_f32_e32 v159, v4, v2
	v_mul_f32_e32 v2, v5, v2
	v_fmac_f32_e32 v159, v5, v125
	v_fma_f32 v163, v4, v125, -v2
	v_add_f32_e32 v2, 0, v164
	buffer_load_dword v5, off, s[0:3], 0 offset:300
	v_add_f32_e32 v4, 0, v156
	v_add_f32_e32 v2, v2, v157
	;; [unrolled: 1-line block ×4, first 2 shown]
	s_clause 0x3
	buffer_load_dword v128, off, s[0:3], 0 offset:320
	buffer_load_dword v125, off, s[0:3], 0 offset:312
	;; [unrolled: 1-line block ×4, first 2 shown]
	v_add_f32_e32 v4, v4, v167
	s_clause 0x1
	buffer_load_dword v164, off, s[0:3], 0 offset:316
	buffer_load_dword v165, off, s[0:3], 0 offset:324
	v_add_f32_e32 v2, v2, v169
	s_waitcnt vmcnt(7) lgkmcnt(0)
	v_mul_f32_e32 v167, v118, v3
	v_add_f32_e32 v4, v4, v168
	v_mul_f32_e32 v3, v119, v3
	v_add_f32_e32 v2, v2, v136
	buffer_load_dword v136, off, s[0:3], 0 offset:308
	v_add_f32_e32 v4, v4, v170
	v_fma_f32 v168, v118, v124, -v3
	v_fmac_f32_e32 v167, v119, v124
	v_add_f32_e32 v2, v2, v172
	v_add_f32_e32 v4, v4, v171
	;; [unrolled: 1-line block ×3, first 2 shown]
	buffer_load_dword v152, off, s[0:3], 0 offset:332
	v_add_f32_e32 v4, v4, v173
	v_add_f32_e32 v2, v2, v153
	;; [unrolled: 1-line block ×3, first 2 shown]
	s_clause 0x5
	buffer_load_dword v153, off, s[0:3], 0 offset:352
	buffer_load_dword v169, off, s[0:3], 0 offset:344
	;; [unrolled: 1-line block ×6, first 2 shown]
	v_add_f32_e32 v2, v2, v129
	v_add_f32_e32 v3, v3, v154
	;; [unrolled: 1-line block ×4, first 2 shown]
	s_clause 0x1
	buffer_load_dword v146, off, s[0:3], 0 offset:348
	buffer_load_dword v155, off, s[0:3], 0 offset:356
	v_add_f32_e32 v2, v2, v148
	v_add_f32_e32 v3, v3, v147
	s_clause 0x6
	buffer_load_dword v147, off, s[0:3], 0 offset:372
	buffer_load_dword v148, off, s[0:3], 0 offset:380
	;; [unrolled: 1-line block ×7, first 2 shown]
	v_add_f32_e32 v2, v2, v137
	v_add_f32_e32 v3, v3, v127
	;; [unrolled: 1-line block ×4, first 2 shown]
	buffer_load_dword v138, off, s[0:3], 0 offset:428
	v_add_f32_e32 v2, v2, v139
	v_add_f32_e32 v3, v3, v150
	s_clause 0x3
	buffer_load_dword v139, off, s[0:3], 0 offset:384
	buffer_load_dword v149, off, s[0:3], 0 offset:376
	;; [unrolled: 1-line block ×4, first 2 shown]
	v_add_f32_e32 v2, v2, v142
	v_add_f32_e32 v3, v3, v140
	;; [unrolled: 1-line block ×4, first 2 shown]
	s_clause 0x3
	buffer_load_dword v140, off, s[0:3], 0 offset:416
	buffer_load_dword v141, off, s[0:3], 0 offset:408
	;; [unrolled: 1-line block ×4, first 2 shown]
	v_add_f32_e32 v2, v2, v8
	buffer_load_dword v8, off, s[0:3], 0 offset:424
	v_add_f32_e32 v3, v3, v143
	buffer_load_dword v143, off, s[0:3], 0 offset:72
	v_add_f32_e32 v2, v2, v131
	v_add_f32_e32 v3, v3, v126
	;; [unrolled: 1-line block ×20, first 2 shown]
	s_waitcnt vmcnt(34)
	v_mul_f32_e32 v154, v120, v5
	v_mul_f32_e32 v4, v121, v5
	s_waitcnt vmcnt(30)
	v_fmac_f32_e32 v154, v121, v157
	v_fma_f32 v157, v120, v157, -v4
	ds_read_b128 v[2:5], v1 offset:736
	ds_read_b128 v[118:121], v1 offset:752
	v_add_f32_e32 v7, v7, v154
	v_add_f32_e32 v6, v6, v157
	s_waitcnt vmcnt(27) lgkmcnt(1)
	v_mul_f32_e32 v144, v2, v136
	v_mul_f32_e32 v123, v3, v136
	;; [unrolled: 1-line block ×4, first 2 shown]
	s_waitcnt lgkmcnt(0)
	v_mul_f32_e32 v160, v118, v165
	v_fmac_f32_e32 v144, v3, v156
	v_fma_f32 v134, v2, v156, -v123
	v_fmac_f32_e32 v145, v5, v125
	v_fma_f32 v156, v4, v125, -v124
	ds_read_b128 v[2:5], v1 offset:768
	ds_read_b128 v[122:125], v1 offset:784
	v_mul_f32_e32 v126, v119, v165
	s_waitcnt vmcnt(26)
	v_mul_f32_e32 v151, v120, v152
	v_mul_f32_e32 v127, v121, v152
	v_fmac_f32_e32 v160, v119, v128
	v_fma_f32 v152, v118, v128, -v126
	s_waitcnt vmcnt(22)
	v_fmac_f32_e32 v151, v121, v170
	v_fma_f32 v158, v120, v170, -v127
	ds_read_b128 v[118:121], v1 offset:800
	ds_read_b128 v[126:129], v1 offset:816
	;; [unrolled: 1-line block ×3, first 2 shown]
	s_waitcnt vmcnt(21) lgkmcnt(4)
	v_mul_f32_e32 v159, v2, v171
	v_mul_f32_e32 v136, v3, v171
	v_fmac_f32_e32 v159, v3, v135
	v_add_f32_e32 v3, v6, v134
	v_fma_f32 v2, v2, v135, -v136
	ds_read_b128 v[134:137], v1 offset:848
	v_add_f32_e32 v1, v7, v144
	s_waitcnt vmcnt(19)
	v_mul_f32_e32 v7, v5, v146
	v_add_f32_e32 v3, v3, v156
	v_mul_f32_e32 v6, v4, v146
	s_waitcnt vmcnt(18) lgkmcnt(4)
	v_mul_f32_e32 v146, v123, v155
	v_add_f32_e32 v1, v1, v145
	v_fma_f32 v4, v4, v169, -v7
	v_add_f32_e32 v3, v3, v152
	v_mul_f32_e32 v144, v122, v155
	v_fmac_f32_e32 v6, v5, v169
	v_add_f32_e32 v1, v1, v160
	v_fma_f32 v122, v122, v153, -v146
	v_add_f32_e32 v3, v3, v158
	v_mul_f32_e32 v145, v124, v172
	v_fmac_f32_e32 v144, v123, v153
	v_add_f32_e32 v1, v1, v151
	v_mul_f32_e32 v151, v125, v172
	v_add_f32_e32 v2, v3, v2
	s_waitcnt vmcnt(17) lgkmcnt(3)
	v_mul_f32_e32 v5, v118, v147
	s_waitcnt vmcnt(6)
	v_fmac_f32_e32 v145, v125, v178
	v_add_f32_e32 v1, v1, v159
	v_mul_f32_e32 v7, v120, v148
	v_add_f32_e32 v2, v2, v4
	v_mul_f32_e32 v4, v119, v147
	v_fmac_f32_e32 v5, v119, v150
	v_add_f32_e32 v1, v1, v6
	v_fma_f32 v6, v124, v178, -v151
	v_add_f32_e32 v2, v2, v122
	v_mul_f32_e32 v122, v121, v148
	v_fma_f32 v4, v118, v150, -v4
	v_add_f32_e32 v1, v1, v144
	s_waitcnt lgkmcnt(2)
	v_mul_f32_e32 v152, v126, v173
	v_add_f32_e32 v2, v2, v6
	v_mul_f32_e32 v6, v127, v173
	v_fma_f32 v118, v120, v149, -v122
	v_add_f32_e32 v1, v1, v145
	v_fmac_f32_e32 v7, v121, v149
	v_add_f32_e32 v2, v2, v4
	v_mul_f32_e32 v4, v129, v174
	v_mul_f32_e32 v154, v128, v174
	v_add_f32_e32 v1, v1, v5
	v_fma_f32 v5, v126, v139, -v6
	v_add_f32_e32 v2, v2, v118
	v_fmac_f32_e32 v152, v127, v139
	s_waitcnt lgkmcnt(1)
	v_mul_f32_e32 v6, v131, v175
	v_add_f32_e32 v1, v1, v7
	s_waitcnt vmcnt(2)
	v_fma_f32 v4, v128, v179, -v4
	v_add_f32_e32 v2, v2, v5
	v_mul_f32_e32 v155, v130, v175
	v_fmac_f32_e32 v154, v129, v179
	v_add_f32_e32 v1, v1, v152
	v_mul_f32_e32 v5, v133, v176
	v_fma_f32 v6, v130, v142, -v6
	v_add_f32_e32 v2, v2, v4
	v_mul_f32_e32 v156, v132, v176
	v_fmac_f32_e32 v155, v131, v142
	v_add_f32_e32 v1, v1, v154
	s_waitcnt lgkmcnt(0)
	v_mul_f32_e32 v4, v135, v177
	v_fma_f32 v5, v132, v141, -v5
	v_add_f32_e32 v2, v2, v6
	v_mul_f32_e32 v157, v134, v177
	v_fmac_f32_e32 v156, v133, v141
	v_add_f32_e32 v1, v1, v155
	v_mul_f32_e32 v6, v137, v138
	v_fma_f32 v4, v134, v140, -v4
	v_add_f32_e32 v2, v2, v5
	v_mul_f32_e32 v3, v136, v138
	v_fmac_f32_e32 v157, v135, v140
	v_add_f32_e32 v1, v1, v156
	s_waitcnt vmcnt(1)
	v_fma_f32 v5, v136, v8, -v6
	v_add_f32_e32 v2, v2, v4
	v_fmac_f32_e32 v3, v137, v8
	v_add_f32_e32 v1, v1, v157
	v_add_f32_e32 v2, v2, v5
	;; [unrolled: 1-line block ×3, first 2 shown]
	s_waitcnt vmcnt(0)
	v_sub_f32_e32 v2, v143, v2
	v_sub_f32_e32 v1, v166, v1
	buffer_store_dword v2, off, s[0:3], 0 offset:72
	buffer_store_dword v1, off, s[0:3], 0 offset:76
	v_cmpx_lt_u32_e32 8, v0
	s_cbranch_execz .LBB117_321
; %bb.320:
	s_clause 0x1
	buffer_load_dword v1, off, s[0:3], 0 offset:64
	buffer_load_dword v2, off, s[0:3], 0 offset:68
	v_mov_b32_e32 v3, 0
	buffer_store_dword v3, off, s[0:3], 0 offset:64
	buffer_store_dword v3, off, s[0:3], 0 offset:68
	s_waitcnt vmcnt(0)
	ds_write_b64 v117, v[1:2]
.LBB117_321:
	s_or_b32 exec_lo, exec_lo, s4
	s_waitcnt lgkmcnt(0)
	s_waitcnt_vscnt null, 0x0
	s_barrier
	buffer_gl0_inv
	s_clause 0x2c
	buffer_load_dword v148, off, s[0:3], 0 offset:76
	buffer_load_dword v149, off, s[0:3], 0 offset:84
	;; [unrolled: 1-line block ×45, first 2 shown]
	v_mov_b32_e32 v1, 0
	ds_read2_b64 v[154:157], v1 offset0:63 offset1:64
	ds_read2_b64 v[158:161], v1 offset0:65 offset1:66
	buffer_load_dword v166, off, s[0:3], 0 offset:68
	s_mov_b32 s4, exec_lo
	s_waitcnt vmcnt(45) lgkmcnt(1)
	v_mul_f32_e32 v152, v154, v148
	v_mul_f32_e32 v165, v155, v148
	s_waitcnt vmcnt(44)
	v_mul_f32_e32 v148, v156, v149
	v_mul_f32_e32 v149, v157, v149
	s_waitcnt vmcnt(41)
	v_fmac_f32_e32 v152, v155, v119
	v_fma_f32 v165, v154, v119, -v165
	v_fmac_f32_e32 v148, v157, v7
	v_fma_f32 v149, v156, v7, -v149
	ds_read2_b64 v[154:157], v1 offset0:67 offset1:68
	s_waitcnt vmcnt(40) lgkmcnt(1)
	v_mul_f32_e32 v167, v158, v4
	s_waitcnt vmcnt(39)
	v_mul_f32_e32 v168, v160, v5
	v_mul_f32_e32 v4, v159, v4
	;; [unrolled: 1-line block ×3, first 2 shown]
	v_fmac_f32_e32 v167, v159, v2
	s_waitcnt vmcnt(35)
	v_fmac_f32_e32 v168, v161, v122
	v_fma_f32 v169, v158, v2, -v4
	v_fma_f32 v122, v160, v122, -v5
	ds_read2_b64 v[158:161], v1 offset0:69 offset1:70
	s_waitcnt vmcnt(34) lgkmcnt(1)
	v_mul_f32_e32 v170, v154, v121
	s_waitcnt vmcnt(33)
	v_mul_f32_e32 v171, v156, v120
	v_mul_f32_e32 v4, v157, v120
	;; [unrolled: 1-line block ×3, first 2 shown]
	v_fmac_f32_e32 v170, v155, v118
	v_fmac_f32_e32 v171, v157, v6
	v_fma_f32 v155, v156, v6, -v4
	ds_read2_b64 v[4:7], v1 offset0:71 offset1:72
	v_fma_f32 v154, v154, v118, -v2
	s_waitcnt vmcnt(32) lgkmcnt(1)
	v_mul_f32_e32 v156, v158, v8
	v_mul_f32_e32 v2, v159, v8
	s_waitcnt vmcnt(31)
	v_mul_f32_e32 v8, v160, v123
	v_mul_f32_e32 v118, v161, v123
	v_fmac_f32_e32 v156, v159, v3
	v_fma_f32 v123, v158, v3, -v2
	s_waitcnt vmcnt(27)
	v_fmac_f32_e32 v8, v161, v131
	v_fma_f32 v131, v160, v131, -v118
	ds_read2_b64 v[118:121], v1 offset0:73 offset1:74
	buffer_load_dword v161, off, s[0:3], 0 offset:260
	s_waitcnt vmcnt(27) lgkmcnt(1)
	v_mul_f32_e32 v157, v4, v129
	v_mul_f32_e32 v2, v5, v129
	s_waitcnt vmcnt(26)
	v_mul_f32_e32 v3, v7, v128
	v_mul_f32_e32 v129, v6, v128
	v_fmac_f32_e32 v157, v5, v127
	v_fma_f32 v127, v4, v127, -v2
	v_fma_f32 v6, v6, v125, -v3
	ds_read2_b64 v[2:5], v1 offset0:75 offset1:76
	v_fmac_f32_e32 v129, v7, v125
	s_waitcnt vmcnt(25) lgkmcnt(1)
	v_mul_f32_e32 v7, v118, v126
	v_mul_f32_e32 v125, v119, v126
	s_waitcnt vmcnt(24)
	v_mul_f32_e32 v126, v120, v130
	v_mul_f32_e32 v128, v121, v130
	v_fmac_f32_e32 v7, v119, v124
	v_fma_f32 v124, v118, v124, -v125
	s_waitcnt vmcnt(20)
	v_fmac_f32_e32 v126, v121, v139
	v_fma_f32 v125, v120, v139, -v128
	ds_read2_b64 v[118:121], v1 offset0:77 offset1:78
	s_waitcnt vmcnt(19) lgkmcnt(1)
	v_mul_f32_e32 v128, v2, v137
	v_mul_f32_e32 v130, v3, v137
	s_waitcnt vmcnt(18)
	v_mul_f32_e32 v137, v4, v136
	v_mul_f32_e32 v136, v5, v136
	v_fmac_f32_e32 v128, v3, v135
	v_fma_f32 v130, v2, v135, -v130
	v_fmac_f32_e32 v137, v5, v133
	v_fma_f32 v133, v4, v133, -v136
	ds_read2_b64 v[2:5], v1 offset0:79 offset1:80
	s_waitcnt vmcnt(17) lgkmcnt(1)
	v_mul_f32_e32 v135, v118, v134
	v_mul_f32_e32 v134, v119, v134
	s_waitcnt vmcnt(16)
	v_mul_f32_e32 v136, v120, v138
	v_mul_f32_e32 v138, v121, v138
	v_fmac_f32_e32 v135, v119, v132
	v_fma_f32 v132, v118, v132, -v134
	s_waitcnt vmcnt(12)
	v_fmac_f32_e32 v136, v121, v147
	v_fma_f32 v134, v120, v147, -v138
	ds_read2_b64 v[118:121], v1 offset0:81 offset1:82
	s_waitcnt vmcnt(11) lgkmcnt(1)
	v_mul_f32_e32 v138, v2, v145
	v_mul_f32_e32 v139, v3, v145
	s_waitcnt vmcnt(10)
	v_mul_f32_e32 v145, v4, v144
	v_mul_f32_e32 v144, v5, v144
	v_fmac_f32_e32 v138, v3, v143
	v_fma_f32 v139, v2, v143, -v139
	buffer_load_dword v143, off, s[0:3], 0 offset:252
	v_fmac_f32_e32 v145, v5, v141
	v_fma_f32 v141, v4, v141, -v144
	ds_read2_b64 v[2:5], v1 offset0:83 offset1:84
	s_waitcnt vmcnt(10) lgkmcnt(1)
	v_mul_f32_e32 v144, v118, v142
	v_mul_f32_e32 v142, v119, v142
	s_waitcnt vmcnt(9)
	v_mul_f32_e32 v147, v120, v146
	v_mul_f32_e32 v146, v121, v146
	v_fmac_f32_e32 v144, v119, v140
	v_fma_f32 v140, v118, v140, -v142
	s_waitcnt vmcnt(5)
	v_fmac_f32_e32 v147, v121, v162
	v_fma_f32 v142, v120, v162, -v146
	ds_read2_b64 v[118:121], v1 offset0:85 offset1:86
	s_waitcnt vmcnt(4) lgkmcnt(1)
	v_mul_f32_e32 v146, v2, v163
	v_mul_f32_e32 v158, v3, v163
	s_waitcnt vmcnt(3)
	v_mul_f32_e32 v159, v4, v164
	v_mul_f32_e32 v160, v5, v164
	v_fmac_f32_e32 v146, v3, v153
	v_fma_f32 v153, v2, v153, -v158
	v_fmac_f32_e32 v159, v5, v151
	v_fma_f32 v151, v4, v151, -v160
	s_clause 0x5
	buffer_load_dword v158, off, s[0:3], 0 offset:280
	buffer_load_dword v160, off, s[0:3], 0 offset:272
	;; [unrolled: 1-line block ×6, first 2 shown]
	v_add_f32_e32 v2, 0, v152
	v_add_f32_e32 v3, 0, v165
	;; [unrolled: 1-line block ×3, first 2 shown]
	buffer_load_dword v148, off, s[0:3], 0 offset:284
	v_add_f32_e32 v3, v3, v149
	buffer_load_dword v149, off, s[0:3], 0 offset:292
	v_add_f32_e32 v2, v2, v167
	v_add_f32_e32 v3, v3, v169
	;; [unrolled: 1-line block ×4, first 2 shown]
	s_clause 0x4
	buffer_load_dword v152, off, s[0:3], 0 offset:312
	buffer_load_dword v122, off, s[0:3], 0 offset:304
	;; [unrolled: 1-line block ×5, first 2 shown]
	v_add_f32_e32 v2, v2, v170
	v_add_f32_e32 v3, v3, v154
	;; [unrolled: 1-line block ×3, first 2 shown]
	s_waitcnt vmcnt(13) lgkmcnt(0)
	v_mul_f32_e32 v4, v119, v143
	v_mul_f32_e32 v154, v118, v143
	v_fma_f32 v143, v118, v150, -v4
	v_add_f32_e32 v118, v3, v155
	v_fmac_f32_e32 v154, v119, v150
	v_add_f32_e32 v119, v2, v156
	ds_read2_b64 v[2:5], v1 offset0:87 offset1:88
	v_mul_f32_e32 v150, v120, v161
	v_add_f32_e32 v118, v118, v123
	s_clause 0x1
	buffer_load_dword v123, off, s[0:3], 0 offset:308
	buffer_load_dword v155, off, s[0:3], 0 offset:324
	v_add_f32_e32 v8, v119, v8
	v_mul_f32_e32 v119, v121, v161
	v_add_f32_e32 v118, v118, v131
	buffer_load_dword v131, off, s[0:3], 0 offset:316
	v_add_f32_e32 v8, v8, v157
	v_add_f32_e32 v127, v118, v127
	v_add_f32_e32 v8, v8, v129
	v_add_f32_e32 v6, v127, v6
	v_add_f32_e32 v7, v8, v7
	s_waitcnt vmcnt(12)
	v_fmac_f32_e32 v150, v121, v163
	v_fma_f32 v156, v120, v163, -v119
	ds_read2_b64 v[118:121], v1 offset0:89 offset1:90
	s_waitcnt vmcnt(11) lgkmcnt(1)
	v_mul_f32_e32 v129, v2, v164
	v_mul_f32_e32 v157, v3, v164
	s_clause 0x3
	buffer_load_dword v8, off, s[0:3], 0 offset:344
	buffer_load_dword v161, off, s[0:3], 0 offset:336
	;; [unrolled: 1-line block ×4, first 2 shown]
	v_fmac_f32_e32 v129, v3, v162
	v_fma_f32 v157, v2, v162, -v157
	v_add_f32_e32 v2, v6, v124
	s_clause 0x1
	buffer_load_dword v6, off, s[0:3], 0 offset:332
	buffer_load_dword v162, off, s[0:3], 0 offset:340
	v_add_f32_e32 v3, v7, v126
	s_waitcnt vmcnt(16)
	v_mul_f32_e32 v124, v5, v172
	buffer_load_dword v164, off, s[0:3], 0 offset:348
	v_add_f32_e32 v2, v2, v125
	v_mul_f32_e32 v7, v4, v172
	v_add_f32_e32 v3, v3, v128
	v_fma_f32 v126, v4, v160, -v124
	v_add_f32_e32 v124, v2, v130
	v_fmac_f32_e32 v7, v5, v160
	v_add_f32_e32 v125, v3, v137
	s_waitcnt vmcnt(16) lgkmcnt(0)
	v_mul_f32_e32 v128, v119, v148
	v_mul_f32_e32 v130, v118, v148
	v_add_f32_e32 v124, v124, v133
	s_clause 0x3
	buffer_load_dword v160, off, s[0:3], 0 offset:356
	buffer_load_dword v169, off, s[0:3], 0 offset:364
	;; [unrolled: 1-line block ×4, first 2 shown]
	v_add_f32_e32 v125, v125, v135
	ds_read2_b64 v[2:5], v1 offset0:91 offset1:92
	v_fma_f32 v135, v118, v158, -v128
	v_add_f32_e32 v124, v124, v132
	s_waitcnt vmcnt(19)
	v_mul_f32_e32 v133, v120, v149
	v_add_f32_e32 v118, v125, v136
	v_mul_f32_e32 v132, v121, v149
	v_fmac_f32_e32 v130, v119, v158
	v_add_f32_e32 v119, v124, v134
	s_clause 0x3
	buffer_load_dword v134, off, s[0:3], 0 offset:388
	buffer_load_dword v136, off, s[0:3], 0 offset:396
	;; [unrolled: 1-line block ×4, first 2 shown]
	v_add_f32_e32 v118, v118, v138
	s_waitcnt vmcnt(19)
	v_fmac_f32_e32 v133, v121, v167
	v_fma_f32 v132, v120, v167, -v132
	buffer_load_dword v149, off, s[0:3], 0 offset:420
	v_add_f32_e32 v119, v119, v139
	s_clause 0x4
	buffer_load_dword v138, off, s[0:3], 0 offset:376
	buffer_load_dword v139, off, s[0:3], 0 offset:368
	;; [unrolled: 1-line block ×5, first 2 shown]
	v_add_f32_e32 v118, v118, v145
	v_add_f32_e32 v124, v119, v141
	;; [unrolled: 1-line block ×3, first 2 shown]
	s_waitcnt vmcnt(24) lgkmcnt(0)
	v_mul_f32_e32 v128, v3, v168
	ds_read2_b64 v[118:121], v1 offset0:93 offset1:94
	v_add_f32_e32 v124, v124, v140
	v_mul_f32_e32 v140, v2, v168
	v_add_f32_e32 v125, v125, v147
	v_fma_f32 v141, v2, v165, -v128
	v_add_f32_e32 v2, v124, v142
	v_fmac_f32_e32 v140, v3, v165
	v_add_f32_e32 v3, v125, v146
	s_clause 0x3
	buffer_load_dword v142, off, s[0:3], 0 offset:408
	buffer_load_dword v144, off, s[0:3], 0 offset:400
	;; [unrolled: 1-line block ×4, first 2 shown]
	v_add_f32_e32 v2, v2, v153
	s_clause 0x1
	buffer_load_dword v147, off, s[0:3], 0 offset:424
	buffer_load_dword v153, off, s[0:3], 0 offset:416
	v_add_f32_e32 v3, v3, v159
	v_add_f32_e32 v2, v2, v151
	buffer_load_dword v151, off, s[0:3], 0 offset:64
	v_add_f32_e32 v124, v3, v154
	s_waitcnt vmcnt(30)
	v_mul_f32_e32 v154, v4, v123
	v_mul_f32_e32 v3, v5, v123
	v_add_f32_e32 v123, v2, v143
	v_fmac_f32_e32 v154, v5, v122
	v_fma_f32 v143, v4, v122, -v3
	ds_read2_b64 v[2:5], v1 offset0:95 offset1:96
	v_add_f32_e32 v123, v123, v156
	v_add_f32_e32 v122, v124, v150
	s_waitcnt vmcnt(28) lgkmcnt(1)
	v_mul_f32_e32 v150, v118, v131
	v_mul_f32_e32 v128, v119, v131
	;; [unrolled: 1-line block ×3, first 2 shown]
	v_add_f32_e32 v131, v123, v157
	v_add_f32_e32 v129, v122, v129
	ds_read2_b64 v[122:125], v1 offset0:97 offset1:98
	v_mul_f32_e32 v155, v121, v155
	v_fmac_f32_e32 v150, v119, v152
	v_add_f32_e32 v131, v131, v126
	v_add_f32_e32 v7, v129, v7
	v_fma_f32 v152, v118, v152, -v128
	v_add_f32_e32 v131, v131, v135
	v_add_f32_e32 v7, v7, v130
	s_waitcnt vmcnt(24)
	v_fma_f32 v155, v120, v127, -v155
	v_fmac_f32_e32 v156, v121, v127
	ds_read2_b64 v[118:121], v1 offset0:99 offset1:100
	ds_read2_b64 v[126:129], v1 offset0:101 offset1:102
	s_waitcnt vmcnt(23) lgkmcnt(3)
	v_mul_f32_e32 v135, v2, v6
	v_mul_f32_e32 v6, v3, v6
	v_add_f32_e32 v130, v131, v132
	s_waitcnt vmcnt(22)
	v_mul_f32_e32 v157, v4, v162
	v_mul_f32_e32 v159, v5, v162
	v_fmac_f32_e32 v135, v3, v163
	v_fma_f32 v162, v2, v163, -v6
	v_add_f32_e32 v2, v7, v133
	v_add_f32_e32 v6, v130, v141
	v_fma_f32 v141, v4, v161, -v159
	s_waitcnt vmcnt(21) lgkmcnt(2)
	v_mul_f32_e32 v159, v122, v164
	v_fmac_f32_e32 v157, v5, v161
	v_add_f32_e32 v140, v2, v140
	v_add_f32_e32 v143, v6, v143
	ds_read2_b64 v[130:133], v1 offset0:103 offset1:104
	ds_read2_b64 v[2:5], v1 offset0:105 offset1:106
	v_fmac_f32_e32 v159, v123, v8
	v_add_f32_e32 v140, v140, v154
	v_add_f32_e32 v143, v143, v152
	v_mul_f32_e32 v152, v123, v164
	s_waitcnt vmcnt(20)
	v_mul_f32_e32 v154, v124, v160
	v_mul_f32_e32 v160, v125, v160
	v_add_f32_e32 v140, v140, v150
	v_add_f32_e32 v143, v143, v155
	v_fma_f32 v8, v122, v8, -v152
	s_waitcnt vmcnt(19) lgkmcnt(3)
	v_mul_f32_e32 v150, v118, v169
	s_waitcnt vmcnt(18)
	v_mul_f32_e32 v155, v120, v170
	v_add_f32_e32 v140, v140, v156
	v_add_f32_e32 v143, v143, v162
	s_waitcnt vmcnt(17) lgkmcnt(2)
	v_mul_f32_e32 v161, v126, v171
	s_waitcnt vmcnt(9)
	v_fmac_f32_e32 v150, v119, v158
	s_waitcnt vmcnt(8)
	v_fma_f32 v124, v124, v167, -v160
	v_add_f32_e32 v123, v140, v135
	v_add_f32_e32 v140, v143, v141
	v_mul_f32_e32 v143, v119, v169
	v_fmac_f32_e32 v154, v125, v167
	v_mul_f32_e32 v125, v121, v170
	v_add_f32_e32 v123, v123, v157
	v_add_f32_e32 v8, v140, v8
	v_fma_f32 v118, v118, v158, -v143
	v_fmac_f32_e32 v155, v121, v139
	v_fma_f32 v120, v120, v139, -v125
	v_add_f32_e32 v123, v123, v159
	v_add_f32_e32 v8, v8, v124
	v_mul_f32_e32 v156, v128, v134
	v_fmac_f32_e32 v161, v127, v138
	ds_read_b64 v[6:7], v1 offset:856
	v_add_f32_e32 v119, v123, v154
	v_mul_f32_e32 v123, v127, v171
	v_add_f32_e32 v8, v8, v118
	s_waitcnt lgkmcnt(2)
	v_mul_f32_e32 v162, v130, v136
	s_waitcnt vmcnt(3)
	v_fmac_f32_e32 v156, v129, v146
	v_add_f32_e32 v118, v119, v150
	v_mul_f32_e32 v119, v129, v134
	v_fma_f32 v121, v126, v138, -v123
	v_add_f32_e32 v8, v8, v120
	v_mul_f32_e32 v120, v131, v136
	v_add_f32_e32 v118, v118, v155
	v_fma_f32 v119, v128, v146, -v119
	v_mul_f32_e32 v122, v132, v137
	v_add_f32_e32 v8, v8, v121
	v_mul_f32_e32 v121, v133, v137
	v_add_f32_e32 v118, v118, v161
	v_fma_f32 v120, v130, v145, -v120
	v_fmac_f32_e32 v162, v131, v145
	v_add_f32_e32 v8, v8, v119
	s_waitcnt lgkmcnt(1)
	v_mul_f32_e32 v135, v2, v148
	v_add_f32_e32 v118, v118, v156
	v_mul_f32_e32 v119, v3, v148
	v_fma_f32 v121, v132, v144, -v121
	v_add_f32_e32 v8, v8, v120
	v_fmac_f32_e32 v122, v133, v144
	v_add_f32_e32 v118, v118, v162
	v_mul_f32_e32 v120, v5, v149
	v_fmac_f32_e32 v135, v3, v142
	v_fma_f32 v2, v2, v142, -v119
	v_add_f32_e32 v3, v8, v121
	v_mul_f32_e32 v141, v4, v149
	v_add_f32_e32 v8, v118, v122
	s_waitcnt lgkmcnt(0)
	v_mul_f32_e32 v118, v7, v172
	s_waitcnt vmcnt(1)
	v_fma_f32 v4, v4, v153, -v120
	v_add_f32_e32 v2, v3, v2
	v_mul_f32_e32 v152, v6, v172
	v_fmac_f32_e32 v141, v5, v153
	v_add_f32_e32 v3, v8, v135
	v_fma_f32 v5, v6, v147, -v118
	v_add_f32_e32 v2, v2, v4
	v_fmac_f32_e32 v152, v7, v147
	v_add_f32_e32 v3, v3, v141
	v_add_f32_e32 v2, v2, v5
	v_add_f32_e32 v3, v3, v152
	s_waitcnt vmcnt(0)
	v_sub_f32_e32 v2, v151, v2
	v_sub_f32_e32 v3, v166, v3
	buffer_store_dword v2, off, s[0:3], 0 offset:64
	buffer_store_dword v3, off, s[0:3], 0 offset:68
	v_cmpx_lt_u32_e32 7, v0
	s_cbranch_execz .LBB117_323
; %bb.322:
	s_clause 0x1
	buffer_load_dword v2, off, s[0:3], 0 offset:56
	buffer_load_dword v3, off, s[0:3], 0 offset:60
	buffer_store_dword v1, off, s[0:3], 0 offset:56
	buffer_store_dword v1, off, s[0:3], 0 offset:60
	s_waitcnt vmcnt(0)
	ds_write_b64 v117, v[2:3]
.LBB117_323:
	s_or_b32 exec_lo, exec_lo, s4
	s_waitcnt lgkmcnt(0)
	s_waitcnt_vscnt null, 0x0
	s_barrier
	buffer_gl0_inv
	s_clause 0x2c
	buffer_load_dword v148, off, s[0:3], 0 offset:68
	buffer_load_dword v149, off, s[0:3], 0 offset:76
	;; [unrolled: 1-line block ×45, first 2 shown]
	ds_read_b128 v[154:157], v1 offset:496
	ds_read_b128 v[158:161], v1 offset:512
	buffer_load_dword v166, off, s[0:3], 0 offset:60
	s_mov_b32 s4, exec_lo
	s_waitcnt vmcnt(45) lgkmcnt(1)
	v_mul_f32_e32 v151, v154, v148
	v_mul_f32_e32 v165, v155, v148
	s_waitcnt vmcnt(44)
	v_mul_f32_e32 v148, v156, v149
	v_mul_f32_e32 v149, v157, v149
	s_waitcnt vmcnt(41)
	v_fmac_f32_e32 v151, v155, v119
	v_fma_f32 v165, v154, v119, -v165
	v_fmac_f32_e32 v148, v157, v7
	v_fma_f32 v149, v156, v7, -v149
	ds_read_b128 v[154:157], v1 offset:528
	s_waitcnt vmcnt(40) lgkmcnt(1)
	v_mul_f32_e32 v167, v158, v4
	s_waitcnt vmcnt(39)
	v_mul_f32_e32 v168, v160, v5
	v_mul_f32_e32 v4, v159, v4
	;; [unrolled: 1-line block ×3, first 2 shown]
	v_fmac_f32_e32 v167, v159, v2
	s_waitcnt vmcnt(35)
	v_fmac_f32_e32 v168, v161, v122
	v_fma_f32 v169, v158, v2, -v4
	v_fma_f32 v122, v160, v122, -v5
	ds_read_b128 v[158:161], v1 offset:544
	s_waitcnt vmcnt(34) lgkmcnt(1)
	v_mul_f32_e32 v170, v154, v121
	s_waitcnt vmcnt(33)
	v_mul_f32_e32 v171, v156, v120
	v_mul_f32_e32 v4, v157, v120
	;; [unrolled: 1-line block ×3, first 2 shown]
	v_fmac_f32_e32 v170, v155, v118
	v_fmac_f32_e32 v171, v157, v6
	v_fma_f32 v155, v156, v6, -v4
	ds_read_b128 v[4:7], v1 offset:560
	v_fma_f32 v154, v154, v118, -v2
	s_waitcnt vmcnt(32) lgkmcnt(1)
	v_mul_f32_e32 v156, v158, v8
	v_mul_f32_e32 v2, v159, v8
	s_waitcnt vmcnt(31)
	v_mul_f32_e32 v8, v160, v123
	v_mul_f32_e32 v118, v161, v123
	v_fmac_f32_e32 v156, v159, v3
	v_fma_f32 v123, v158, v3, -v2
	s_waitcnt vmcnt(27)
	v_fmac_f32_e32 v8, v161, v131
	v_fma_f32 v131, v160, v131, -v118
	ds_read_b128 v[118:121], v1 offset:576
	buffer_load_dword v161, off, s[0:3], 0 offset:252
	s_waitcnt vmcnt(27) lgkmcnt(1)
	v_mul_f32_e32 v157, v4, v129
	v_mul_f32_e32 v2, v5, v129
	s_waitcnt vmcnt(26)
	v_mul_f32_e32 v3, v7, v128
	v_mul_f32_e32 v129, v6, v128
	v_fmac_f32_e32 v157, v5, v127
	v_fma_f32 v127, v4, v127, -v2
	v_fma_f32 v6, v6, v125, -v3
	ds_read_b128 v[2:5], v1 offset:592
	v_fmac_f32_e32 v129, v7, v125
	s_waitcnt vmcnt(25) lgkmcnt(1)
	v_mul_f32_e32 v7, v118, v126
	v_mul_f32_e32 v125, v119, v126
	s_waitcnt vmcnt(24)
	v_mul_f32_e32 v126, v120, v130
	v_mul_f32_e32 v128, v121, v130
	v_fmac_f32_e32 v7, v119, v124
	v_fma_f32 v124, v118, v124, -v125
	s_waitcnt vmcnt(20)
	v_fmac_f32_e32 v126, v121, v139
	v_fma_f32 v125, v120, v139, -v128
	ds_read_b128 v[118:121], v1 offset:608
	s_waitcnt vmcnt(19) lgkmcnt(1)
	v_mul_f32_e32 v128, v2, v137
	v_mul_f32_e32 v130, v3, v137
	s_waitcnt vmcnt(18)
	v_mul_f32_e32 v137, v4, v136
	v_mul_f32_e32 v136, v5, v136
	v_fmac_f32_e32 v128, v3, v135
	v_fma_f32 v130, v2, v135, -v130
	v_fmac_f32_e32 v137, v5, v133
	v_fma_f32 v133, v4, v133, -v136
	ds_read_b128 v[2:5], v1 offset:624
	s_waitcnt vmcnt(17) lgkmcnt(1)
	v_mul_f32_e32 v135, v118, v134
	v_mul_f32_e32 v134, v119, v134
	s_waitcnt vmcnt(16)
	v_mul_f32_e32 v136, v120, v138
	v_mul_f32_e32 v138, v121, v138
	v_fmac_f32_e32 v135, v119, v132
	v_fma_f32 v132, v118, v132, -v134
	s_waitcnt vmcnt(12)
	v_fmac_f32_e32 v136, v121, v147
	v_fma_f32 v134, v120, v147, -v138
	ds_read_b128 v[118:121], v1 offset:640
	buffer_load_dword v147, off, s[0:3], 0 offset:244
	s_waitcnt vmcnt(12) lgkmcnt(1)
	v_mul_f32_e32 v138, v2, v145
	v_mul_f32_e32 v139, v3, v145
	s_waitcnt vmcnt(11)
	v_mul_f32_e32 v145, v4, v144
	v_mul_f32_e32 v144, v5, v144
	v_fmac_f32_e32 v138, v3, v143
	v_fma_f32 v139, v2, v143, -v139
	v_fmac_f32_e32 v145, v5, v141
	v_fma_f32 v141, v4, v141, -v144
	ds_read_b128 v[2:5], v1 offset:656
	s_waitcnt vmcnt(10) lgkmcnt(1)
	v_mul_f32_e32 v143, v118, v142
	v_mul_f32_e32 v142, v119, v142
	s_waitcnt vmcnt(9)
	v_mul_f32_e32 v144, v120, v146
	v_mul_f32_e32 v146, v121, v146
	v_fmac_f32_e32 v143, v119, v140
	v_fma_f32 v140, v118, v140, -v142
	s_waitcnt vmcnt(5)
	v_fmac_f32_e32 v144, v121, v162
	v_fma_f32 v142, v120, v162, -v146
	ds_read_b128 v[118:121], v1 offset:672
	s_waitcnt vmcnt(4) lgkmcnt(1)
	v_mul_f32_e32 v146, v2, v163
	v_mul_f32_e32 v158, v3, v163
	s_waitcnt vmcnt(3)
	v_mul_f32_e32 v159, v4, v164
	v_mul_f32_e32 v160, v5, v164
	v_fmac_f32_e32 v146, v3, v153
	v_fma_f32 v153, v2, v153, -v158
	v_fmac_f32_e32 v159, v5, v152
	v_fma_f32 v152, v4, v152, -v160
	s_clause 0x5
	buffer_load_dword v158, off, s[0:3], 0 offset:272
	buffer_load_dword v160, off, s[0:3], 0 offset:264
	;; [unrolled: 1-line block ×6, first 2 shown]
	v_add_f32_e32 v2, 0, v151
	v_add_f32_e32 v3, 0, v165
	;; [unrolled: 1-line block ×3, first 2 shown]
	buffer_load_dword v148, off, s[0:3], 0 offset:276
	v_add_f32_e32 v3, v3, v149
	buffer_load_dword v149, off, s[0:3], 0 offset:284
	v_add_f32_e32 v2, v2, v167
	v_add_f32_e32 v3, v3, v169
	;; [unrolled: 1-line block ×4, first 2 shown]
	s_clause 0x4
	buffer_load_dword v151, off, s[0:3], 0 offset:304
	buffer_load_dword v122, off, s[0:3], 0 offset:296
	;; [unrolled: 1-line block ×5, first 2 shown]
	v_add_f32_e32 v2, v2, v170
	v_add_f32_e32 v3, v3, v154
	s_clause 0x1
	buffer_load_dword v154, off, s[0:3], 0 offset:300
	buffer_load_dword v169, off, s[0:3], 0 offset:308
	v_add_f32_e32 v2, v2, v171
	v_add_f32_e32 v3, v3, v155
	;; [unrolled: 1-line block ×10, first 2 shown]
	s_waitcnt vmcnt(16) lgkmcnt(0)
	v_mul_f32_e32 v123, v121, v161
	s_waitcnt vmcnt(15)
	v_mul_f32_e32 v155, v118, v147
	v_mul_f32_e32 v4, v119, v147
	;; [unrolled: 1-line block ×3, first 2 shown]
	v_fmac_f32_e32 v155, v119, v150
	v_fma_f32 v150, v118, v150, -v4
	v_add_f32_e32 v118, v3, v131
	ds_read_b128 v[2:5], v1 offset:688
	v_add_f32_e32 v118, v118, v127
	s_clause 0x4
	buffer_load_dword v127, off, s[0:3], 0 offset:316
	buffer_load_dword v156, off, s[0:3], 0 offset:336
	;; [unrolled: 1-line block ×5, first 2 shown]
	v_add_f32_e32 v6, v118, v6
	v_add_f32_e32 v6, v6, v124
	;; [unrolled: 1-line block ×5, first 2 shown]
	s_waitcnt vmcnt(16)
	v_fmac_f32_e32 v147, v121, v163
	v_fma_f32 v123, v120, v163, -v123
	s_clause 0x2
	buffer_load_dword v8, off, s[0:3], 0 offset:324
	buffer_load_dword v163, off, s[0:3], 0 offset:332
	;; [unrolled: 1-line block ×3, first 2 shown]
	ds_read_b128 v[118:121], v1 offset:704
	s_waitcnt vmcnt(18) lgkmcnt(1)
	v_mul_f32_e32 v124, v2, v164
	v_mul_f32_e32 v125, v3, v164
	s_waitcnt vmcnt(17)
	v_mul_f32_e32 v126, v4, v172
	v_mul_f32_e32 v128, v5, v172
	v_fmac_f32_e32 v124, v3, v162
	v_add_f32_e32 v3, v7, v137
	v_fma_f32 v7, v2, v162, -v125
	v_fmac_f32_e32 v126, v5, v160
	v_fma_f32 v128, v4, v160, -v128
	v_add_f32_e32 v2, v3, v135
	v_add_f32_e32 v3, v6, v132
	s_clause 0x7
	buffer_load_dword v6, off, s[0:3], 0 offset:348
	buffer_load_dword v160, off, s[0:3], 0 offset:356
	;; [unrolled: 1-line block ×8, first 2 shown]
	v_add_f32_e32 v2, v2, v136
	v_add_f32_e32 v3, v3, v134
	s_waitcnt vmcnt(24) lgkmcnt(0)
	v_mul_f32_e32 v129, v118, v148
	v_mul_f32_e32 v4, v119, v148
	v_add_f32_e32 v2, v2, v138
	s_clause 0x3
	buffer_load_dword v148, off, s[0:3], 0 offset:380
	buffer_load_dword v175, off, s[0:3], 0 offset:388
	;; [unrolled: 1-line block ×4, first 2 shown]
	s_waitcnt vmcnt(27)
	v_mul_f32_e32 v132, v120, v149
	v_fmac_f32_e32 v129, v119, v158
	v_fma_f32 v130, v118, v158, -v4
	v_add_f32_e32 v118, v3, v139
	v_add_f32_e32 v119, v2, v145
	v_mul_f32_e32 v3, v121, v149
	s_clause 0x2
	buffer_load_dword v138, off, s[0:3], 0 offset:412
	buffer_load_dword v158, off, s[0:3], 0 offset:420
	;; [unrolled: 1-line block ×3, first 2 shown]
	v_add_f32_e32 v118, v118, v141
	v_add_f32_e32 v119, v119, v143
	s_waitcnt vmcnt(26)
	v_fma_f32 v133, v120, v167, -v3
	ds_read_b128 v[2:5], v1 offset:720
	v_fmac_f32_e32 v132, v121, v167
	v_add_f32_e32 v118, v118, v140
	v_add_f32_e32 v119, v119, v144
	s_clause 0x3
	buffer_load_dword v140, off, s[0:3], 0 offset:400
	buffer_load_dword v141, off, s[0:3], 0 offset:392
	;; [unrolled: 1-line block ×4, first 2 shown]
	v_add_f32_e32 v118, v118, v142
	v_add_f32_e32 v125, v119, v146
	;; [unrolled: 1-line block ×3, first 2 shown]
	ds_read_b128 v[118:121], v1 offset:736
	s_clause 0x3
	buffer_load_dword v142, off, s[0:3], 0 offset:424
	buffer_load_dword v145, off, s[0:3], 0 offset:416
	;; [unrolled: 1-line block ×4, first 2 shown]
	v_add_f32_e32 v125, v125, v159
	s_waitcnt vmcnt(33) lgkmcnt(1)
	v_mul_f32_e32 v136, v3, v168
	v_mul_f32_e32 v135, v2, v168
	v_fma_f32 v136, v2, v165, -v136
	v_add_f32_e32 v2, v134, v152
	v_fmac_f32_e32 v135, v3, v165
	v_add_f32_e32 v3, v125, v155
	s_waitcnt vmcnt(32)
	v_mul_f32_e32 v134, v4, v154
	v_mul_f32_e32 v125, v5, v154
	v_add_f32_e32 v2, v2, v150
	v_add_f32_e32 v3, v3, v147
	v_fmac_f32_e32 v134, v5, v122
	v_fma_f32 v137, v4, v122, -v125
	v_add_f32_e32 v123, v2, v123
	s_waitcnt vmcnt(31) lgkmcnt(0)
	v_mul_f32_e32 v150, v119, v169
	v_add_f32_e32 v147, v3, v124
	ds_read_b128 v[2:5], v1 offset:752
	v_add_f32_e32 v7, v123, v7
	ds_read_b128 v[122:125], v1 offset:768
	v_add_f32_e32 v126, v147, v126
	v_mul_f32_e32 v147, v118, v169
	v_fma_f32 v150, v118, v151, -v150
	v_add_f32_e32 v7, v7, v128
	v_fmac_f32_e32 v147, v119, v151
	v_add_f32_e32 v151, v126, v129
	v_add_f32_e32 v7, v7, v130
	;; [unrolled: 1-line block ×8, first 2 shown]
	s_waitcnt vmcnt(30)
	v_mul_f32_e32 v152, v120, v127
	v_mul_f32_e32 v127, v121, v127
	s_waitcnt vmcnt(26)
	v_fmac_f32_e32 v152, v121, v161
	v_fma_f32 v153, v120, v161, -v127
	ds_read_b128 v[118:121], v1 offset:784
	ds_read_b128 v[126:129], v1 offset:800
	s_waitcnt vmcnt(25) lgkmcnt(3)
	v_mul_f32_e32 v151, v2, v8
	s_waitcnt vmcnt(24)
	v_mul_f32_e32 v154, v4, v163
	v_mul_f32_e32 v8, v3, v8
	v_mul_f32_e32 v132, v5, v163
	s_waitcnt vmcnt(23) lgkmcnt(2)
	v_mul_f32_e32 v155, v122, v170
	v_mul_f32_e32 v135, v123, v170
	v_fmac_f32_e32 v151, v3, v157
	v_fmac_f32_e32 v154, v5, v131
	v_fma_f32 v8, v2, v157, -v8
	v_fma_f32 v157, v4, v131, -v132
	ds_read_b128 v[2:5], v1 offset:816
	ds_read_b128 v[130:133], v1 offset:832
	v_fmac_f32_e32 v155, v123, v156
	v_fma_f32 v122, v122, v156, -v135
	v_add_f32_e32 v123, v134, v147
	ds_read_b128 v[134:137], v1 offset:848
	v_add_f32_e32 v1, v7, v150
	s_waitcnt vmcnt(22)
	v_mul_f32_e32 v7, v124, v6
	v_mul_f32_e32 v6, v125, v6
	v_add_f32_e32 v123, v123, v152
	s_waitcnt vmcnt(21) lgkmcnt(4)
	v_mul_f32_e32 v152, v119, v160
	v_add_f32_e32 v1, v1, v153
	v_mul_f32_e32 v147, v118, v160
	s_waitcnt vmcnt(15)
	v_fma_f32 v6, v124, v174, -v6
	v_fmac_f32_e32 v7, v125, v174
	v_fma_f32 v118, v118, v173, -v152
	v_add_f32_e32 v1, v1, v8
	v_add_f32_e32 v8, v123, v151
	v_mul_f32_e32 v150, v120, v162
	v_fmac_f32_e32 v147, v119, v173
	s_waitcnt lgkmcnt(3)
	v_mul_f32_e32 v124, v126, v164
	v_add_f32_e32 v1, v1, v157
	v_add_f32_e32 v8, v8, v154
	v_mul_f32_e32 v154, v121, v162
	v_fmac_f32_e32 v150, v121, v172
	s_waitcnt vmcnt(14)
	v_mul_f32_e32 v125, v128, v148
	v_add_f32_e32 v1, v1, v122
	v_add_f32_e32 v8, v8, v155
	v_fmac_f32_e32 v124, v127, v171
	s_waitcnt vmcnt(13) lgkmcnt(2)
	v_mul_f32_e32 v123, v2, v175
	s_waitcnt vmcnt(12)
	v_mul_f32_e32 v151, v4, v176
	v_add_f32_e32 v1, v1, v6
	v_add_f32_e32 v6, v8, v7
	v_mul_f32_e32 v7, v127, v164
	v_fma_f32 v8, v120, v172, -v154
	s_waitcnt vmcnt(4)
	v_fmac_f32_e32 v125, v129, v144
	v_add_f32_e32 v1, v1, v118
	v_add_f32_e32 v6, v6, v147
	v_mul_f32_e32 v118, v129, v148
	v_fma_f32 v7, v126, v171, -v7
	v_fmac_f32_e32 v123, v3, v143
	v_add_f32_e32 v1, v1, v8
	v_add_f32_e32 v6, v6, v150
	v_mul_f32_e32 v8, v3, v175
	v_fma_f32 v118, v128, v144, -v118
	s_waitcnt lgkmcnt(1)
	v_mul_f32_e32 v153, v130, v177
	v_add_f32_e32 v1, v1, v7
	v_add_f32_e32 v6, v6, v124
	v_mul_f32_e32 v7, v5, v176
	v_fma_f32 v2, v2, v143, -v8
	v_fmac_f32_e32 v151, v5, v141
	v_add_f32_e32 v1, v1, v118
	v_add_f32_e32 v3, v6, v125
	v_mul_f32_e32 v6, v131, v177
	v_fma_f32 v4, v4, v141, -v7
	v_mul_f32_e32 v156, v132, v138
	v_add_f32_e32 v1, v1, v2
	v_add_f32_e32 v2, v3, v123
	v_mul_f32_e32 v3, v133, v138
	v_fma_f32 v5, v130, v140, -v6
	v_fmac_f32_e32 v153, v131, v140
	v_add_f32_e32 v1, v1, v4
	v_add_f32_e32 v2, v2, v151
	s_waitcnt lgkmcnt(0)
	v_mul_f32_e32 v4, v135, v158
	s_waitcnt vmcnt(1)
	v_fma_f32 v3, v132, v146, -v3
	v_mul_f32_e32 v157, v134, v158
	v_add_f32_e32 v1, v1, v5
	v_fmac_f32_e32 v156, v133, v146
	v_add_f32_e32 v2, v2, v153
	v_mul_f32_e32 v5, v137, v139
	v_fma_f32 v4, v134, v145, -v4
	v_add_f32_e32 v1, v1, v3
	v_mul_f32_e32 v122, v136, v139
	v_fmac_f32_e32 v157, v135, v145
	v_add_f32_e32 v2, v2, v156
	v_fma_f32 v3, v136, v142, -v5
	v_add_f32_e32 v1, v1, v4
	v_fmac_f32_e32 v122, v137, v142
	v_add_f32_e32 v2, v2, v157
	v_add_f32_e32 v1, v1, v3
	;; [unrolled: 1-line block ×3, first 2 shown]
	s_waitcnt vmcnt(0)
	v_sub_f32_e32 v1, v149, v1
	v_sub_f32_e32 v2, v166, v2
	buffer_store_dword v1, off, s[0:3], 0 offset:56
	buffer_store_dword v2, off, s[0:3], 0 offset:60
	v_cmpx_lt_u32_e32 6, v0
	s_cbranch_execz .LBB117_325
; %bb.324:
	s_clause 0x1
	buffer_load_dword v1, off, s[0:3], 0 offset:48
	buffer_load_dword v2, off, s[0:3], 0 offset:52
	v_mov_b32_e32 v3, 0
	buffer_store_dword v3, off, s[0:3], 0 offset:48
	buffer_store_dword v3, off, s[0:3], 0 offset:52
	s_waitcnt vmcnt(0)
	ds_write_b64 v117, v[1:2]
.LBB117_325:
	s_or_b32 exec_lo, exec_lo, s4
	s_waitcnt lgkmcnt(0)
	s_waitcnt_vscnt null, 0x0
	s_barrier
	buffer_gl0_inv
	s_clause 0x2c
	buffer_load_dword v148, off, s[0:3], 0 offset:60
	buffer_load_dword v149, off, s[0:3], 0 offset:68
	;; [unrolled: 1-line block ×45, first 2 shown]
	v_mov_b32_e32 v1, 0
	ds_read2_b64 v[157:160], v1 offset0:61 offset1:62
	ds_read2_b64 v[161:164], v1 offset0:63 offset1:64
	buffer_load_dword v166, off, s[0:3], 0 offset:52
	s_mov_b32 s4, exec_lo
	s_waitcnt vmcnt(45) lgkmcnt(1)
	v_mul_f32_e32 v150, v157, v148
	v_mul_f32_e32 v165, v158, v148
	s_waitcnt vmcnt(44)
	v_mul_f32_e32 v148, v159, v149
	v_mul_f32_e32 v149, v160, v149
	s_waitcnt vmcnt(41)
	v_fmac_f32_e32 v150, v158, v119
	v_fma_f32 v165, v157, v119, -v165
	v_fmac_f32_e32 v148, v160, v7
	v_fma_f32 v149, v159, v7, -v149
	ds_read2_b64 v[157:160], v1 offset0:65 offset1:66
	s_waitcnt vmcnt(40) lgkmcnt(1)
	v_mul_f32_e32 v167, v161, v4
	s_waitcnt vmcnt(39)
	v_mul_f32_e32 v168, v163, v5
	v_mul_f32_e32 v4, v162, v4
	;; [unrolled: 1-line block ×3, first 2 shown]
	v_fmac_f32_e32 v167, v162, v2
	s_waitcnt vmcnt(35)
	v_fmac_f32_e32 v168, v164, v122
	v_fma_f32 v169, v161, v2, -v4
	v_fma_f32 v122, v163, v122, -v5
	ds_read2_b64 v[161:164], v1 offset0:67 offset1:68
	s_waitcnt vmcnt(34) lgkmcnt(1)
	v_mul_f32_e32 v170, v157, v121
	s_waitcnt vmcnt(33)
	v_mul_f32_e32 v171, v159, v120
	v_mul_f32_e32 v4, v160, v120
	;; [unrolled: 1-line block ×3, first 2 shown]
	v_fmac_f32_e32 v170, v158, v118
	v_fmac_f32_e32 v171, v160, v6
	v_fma_f32 v158, v159, v6, -v4
	ds_read2_b64 v[4:7], v1 offset0:69 offset1:70
	v_fma_f32 v157, v157, v118, -v2
	s_waitcnt vmcnt(32) lgkmcnt(1)
	v_mul_f32_e32 v159, v161, v8
	v_mul_f32_e32 v2, v162, v8
	s_waitcnt vmcnt(31)
	v_mul_f32_e32 v8, v163, v123
	v_mul_f32_e32 v118, v164, v123
	v_fmac_f32_e32 v159, v162, v3
	v_fma_f32 v123, v161, v3, -v2
	s_waitcnt vmcnt(27)
	v_fmac_f32_e32 v8, v164, v131
	v_fma_f32 v131, v163, v131, -v118
	ds_read2_b64 v[118:121], v1 offset0:71 offset1:72
	buffer_load_dword v161, off, s[0:3], 0 offset:244
	s_waitcnt vmcnt(27) lgkmcnt(1)
	v_mul_f32_e32 v160, v4, v129
	v_mul_f32_e32 v2, v5, v129
	s_waitcnt vmcnt(26)
	v_mul_f32_e32 v3, v7, v128
	v_mul_f32_e32 v129, v6, v128
	v_fmac_f32_e32 v160, v5, v127
	v_fma_f32 v127, v4, v127, -v2
	v_fma_f32 v6, v6, v125, -v3
	ds_read2_b64 v[2:5], v1 offset0:73 offset1:74
	v_fmac_f32_e32 v129, v7, v125
	s_waitcnt vmcnt(25) lgkmcnt(1)
	v_mul_f32_e32 v7, v118, v126
	v_mul_f32_e32 v125, v119, v126
	s_waitcnt vmcnt(24)
	v_mul_f32_e32 v126, v120, v130
	v_mul_f32_e32 v128, v121, v130
	v_fmac_f32_e32 v7, v119, v124
	v_fma_f32 v124, v118, v124, -v125
	s_waitcnt vmcnt(20)
	v_fmac_f32_e32 v126, v121, v139
	v_fma_f32 v125, v120, v139, -v128
	ds_read2_b64 v[118:121], v1 offset0:75 offset1:76
	s_waitcnt vmcnt(19) lgkmcnt(1)
	v_mul_f32_e32 v128, v2, v137
	v_mul_f32_e32 v130, v3, v137
	s_waitcnt vmcnt(18)
	v_mul_f32_e32 v137, v4, v136
	v_mul_f32_e32 v136, v5, v136
	v_fmac_f32_e32 v128, v3, v135
	v_fma_f32 v130, v2, v135, -v130
	v_fmac_f32_e32 v137, v5, v133
	v_fma_f32 v133, v4, v133, -v136
	ds_read2_b64 v[2:5], v1 offset0:77 offset1:78
	s_waitcnt vmcnt(17) lgkmcnt(1)
	v_mul_f32_e32 v135, v118, v134
	v_mul_f32_e32 v134, v119, v134
	s_waitcnt vmcnt(16)
	v_mul_f32_e32 v136, v120, v138
	v_mul_f32_e32 v138, v121, v138
	v_fmac_f32_e32 v135, v119, v132
	v_fma_f32 v132, v118, v132, -v134
	s_waitcnt vmcnt(12)
	v_fmac_f32_e32 v136, v121, v146
	v_fma_f32 v134, v120, v146, -v138
	ds_read2_b64 v[118:121], v1 offset0:79 offset1:80
	s_waitcnt vmcnt(11) lgkmcnt(1)
	v_mul_f32_e32 v138, v2, v145
	v_mul_f32_e32 v139, v3, v145
	s_waitcnt vmcnt(10)
	v_mul_f32_e32 v145, v4, v144
	v_mul_f32_e32 v144, v5, v144
	v_fmac_f32_e32 v138, v3, v143
	v_fma_f32 v139, v2, v143, -v139
	v_fmac_f32_e32 v145, v5, v141
	v_fma_f32 v141, v4, v141, -v144
	ds_read2_b64 v[2:5], v1 offset0:81 offset1:82
	s_waitcnt vmcnt(8) lgkmcnt(1)
	v_mul_f32_e32 v144, v120, v147
	v_mul_f32_e32 v146, v121, v147
	buffer_load_dword v147, off, s[0:3], 0 offset:236
	v_mul_f32_e32 v143, v118, v142
	v_mul_f32_e32 v142, v119, v142
	s_waitcnt vmcnt(5)
	v_fmac_f32_e32 v144, v121, v156
	v_fmac_f32_e32 v143, v119, v140
	v_fma_f32 v140, v118, v140, -v142
	v_fma_f32 v142, v120, v156, -v146
	ds_read2_b64 v[118:121], v1 offset0:83 offset1:84
	s_waitcnt vmcnt(4) lgkmcnt(1)
	v_mul_f32_e32 v146, v2, v155
	v_mul_f32_e32 v155, v3, v155
	s_waitcnt vmcnt(3)
	v_mul_f32_e32 v156, v4, v154
	v_mul_f32_e32 v154, v5, v154
	v_fmac_f32_e32 v146, v3, v153
	v_fma_f32 v153, v2, v153, -v155
	v_fmac_f32_e32 v156, v5, v152
	v_fma_f32 v152, v4, v152, -v154
	s_clause 0x4
	buffer_load_dword v154, off, s[0:3], 0 offset:264
	buffer_load_dword v155, off, s[0:3], 0 offset:256
	;; [unrolled: 1-line block ×5, first 2 shown]
	s_waitcnt vmcnt(5) lgkmcnt(0)
	v_mul_f32_e32 v164, v118, v147
	v_mul_f32_e32 v3, v119, v147
	v_fmac_f32_e32 v164, v119, v151
	v_fma_f32 v147, v118, v151, -v3
	v_mul_f32_e32 v151, v120, v161
	v_mul_f32_e32 v3, v121, v161
	s_waitcnt vmcnt(1)
	v_fmac_f32_e32 v151, v121, v2
	v_fma_f32 v161, v120, v2, -v3
	ds_read2_b64 v[2:5], v1 offset0:85 offset1:86
	ds_read2_b64 v[118:121], v1 offset0:87 offset1:88
	s_waitcnt vmcnt(0) lgkmcnt(1)
	v_mul_f32_e32 v172, v2, v163
	v_mul_f32_e32 v163, v3, v163
	v_fmac_f32_e32 v172, v3, v162
	v_fma_f32 v162, v2, v162, -v163
	buffer_load_dword v2, off, s[0:3], 0 offset:260
	s_waitcnt vmcnt(0)
	v_mul_f32_e32 v163, v4, v2
	v_mul_f32_e32 v2, v5, v2
	v_fmac_f32_e32 v163, v5, v155
	v_fma_f32 v155, v4, v155, -v2
	buffer_load_dword v2, off, s[0:3], 0 offset:268
	s_waitcnt vmcnt(0) lgkmcnt(0)
	v_mul_f32_e32 v173, v118, v2
	v_mul_f32_e32 v2, v119, v2
	v_fmac_f32_e32 v173, v119, v154
	v_fma_f32 v154, v118, v154, -v2
	s_clause 0x5
	buffer_load_dword v2, off, s[0:3], 0 offset:276
	buffer_load_dword v174, off, s[0:3], 0 offset:296
	;; [unrolled: 1-line block ×6, first 2 shown]
	s_waitcnt vmcnt(5)
	v_mul_f32_e32 v177, v120, v2
	v_mul_f32_e32 v2, v121, v2
	s_waitcnt vmcnt(1)
	v_fmac_f32_e32 v177, v121, v3
	v_fma_f32 v178, v120, v3, -v2
	ds_read2_b64 v[2:5], v1 offset0:89 offset1:90
	ds_read2_b64 v[118:121], v1 offset0:91 offset1:92
	s_waitcnt vmcnt(0) lgkmcnt(1)
	v_mul_f32_e32 v180, v2, v179
	v_mul_f32_e32 v179, v3, v179
	v_fmac_f32_e32 v180, v3, v176
	v_fma_f32 v176, v2, v176, -v179
	buffer_load_dword v2, off, s[0:3], 0 offset:292
	s_waitcnt vmcnt(0)
	v_mul_f32_e32 v179, v4, v2
	v_mul_f32_e32 v2, v5, v2
	v_fmac_f32_e32 v179, v5, v175
	v_fma_f32 v175, v4, v175, -v2
	buffer_load_dword v2, off, s[0:3], 0 offset:300
	s_waitcnt vmcnt(0) lgkmcnt(0)
	v_mul_f32_e32 v181, v118, v2
	v_mul_f32_e32 v2, v119, v2
	v_fmac_f32_e32 v181, v119, v174
	v_fma_f32 v174, v118, v174, -v2
	s_clause 0x4
	buffer_load_dword v2, off, s[0:3], 0 offset:308
	buffer_load_dword v182, off, s[0:3], 0 offset:328
	buffer_load_dword v183, off, s[0:3], 0 offset:320
	buffer_load_dword v184, off, s[0:3], 0 offset:312
	buffer_load_dword v3, off, s[0:3], 0 offset:304
	s_waitcnt vmcnt(4)
	v_mul_f32_e32 v185, v120, v2
	v_mul_f32_e32 v2, v121, v2
	s_waitcnt vmcnt(0)
	v_fmac_f32_e32 v185, v121, v3
	v_fma_f32 v186, v120, v3, -v2
	v_add_f32_e32 v2, 0, v150
	v_add_f32_e32 v3, 0, v165
	;; [unrolled: 1-line block ×8, first 2 shown]
	buffer_load_dword v122, off, s[0:3], 0 offset:316
	v_add_f32_e32 v2, v2, v170
	v_add_f32_e32 v3, v3, v157
	;; [unrolled: 1-line block ×6, first 2 shown]
	buffer_load_dword v123, off, s[0:3], 0 offset:324
	v_add_f32_e32 v2, v2, v8
	v_add_f32_e32 v3, v3, v131
	s_clause 0x1
	buffer_load_dword v8, off, s[0:3], 0 offset:332
	buffer_load_dword v131, off, s[0:3], 0 offset:340
	v_add_f32_e32 v2, v2, v160
	v_add_f32_e32 v3, v3, v127
	;; [unrolled: 1-line block ×4, first 2 shown]
	s_clause 0x6
	buffer_load_dword v148, off, s[0:3], 0 offset:360
	buffer_load_dword v149, off, s[0:3], 0 offset:352
	;; [unrolled: 1-line block ×7, first 2 shown]
	v_add_f32_e32 v2, v2, v7
	v_add_f32_e32 v3, v3, v124
	;; [unrolled: 1-line block ×8, first 2 shown]
	s_clause 0x3
	buffer_load_dword v137, off, s[0:3], 0 offset:372
	buffer_load_dword v160, off, s[0:3], 0 offset:380
	buffer_load_dword v165, off, s[0:3], 0 offset:388
	buffer_load_dword v167, off, s[0:3], 0 offset:396
	v_add_f32_e32 v2, v2, v135
	v_add_f32_e32 v3, v3, v132
	s_clause 0x1
	buffer_load_dword v135, off, s[0:3], 0 offset:404
	buffer_load_dword v168, off, s[0:3], 0 offset:412
	v_add_f32_e32 v2, v2, v136
	v_add_f32_e32 v3, v3, v134
	s_clause 0x1
	buffer_load_dword v136, off, s[0:3], 0 offset:420
	buffer_load_dword v169, off, s[0:3], 0 offset:428
	v_add_f32_e32 v2, v2, v138
	v_add_f32_e32 v3, v3, v139
	;; [unrolled: 1-line block ×3, first 2 shown]
	s_clause 0x3
	buffer_load_dword v134, off, s[0:3], 0 offset:392
	buffer_load_dword v138, off, s[0:3], 0 offset:384
	;; [unrolled: 1-line block ×4, first 2 shown]
	v_add_f32_e32 v3, v3, v141
	v_add_f32_e32 v2, v2, v143
	;; [unrolled: 1-line block ×4, first 2 shown]
	s_clause 0x3
	buffer_load_dword v140, off, s[0:3], 0 offset:424
	buffer_load_dword v141, off, s[0:3], 0 offset:416
	;; [unrolled: 1-line block ×4, first 2 shown]
	v_add_f32_e32 v3, v3, v142
	buffer_load_dword v142, off, s[0:3], 0 offset:48
	v_add_f32_e32 v2, v2, v146
	v_add_f32_e32 v3, v3, v153
	;; [unrolled: 1-line block ×4, first 2 shown]
	ds_read2_b64 v[2:5], v1 offset0:93 offset1:94
	v_add_f32_e32 v7, v7, v164
	v_add_f32_e32 v118, v118, v147
	;; [unrolled: 1-line block ×6, first 2 shown]
	ds_read2_b64 v[118:121], v1 offset0:95 offset1:96
	v_add_f32_e32 v7, v7, v163
	v_add_f32_e32 v124, v124, v155
	;; [unrolled: 1-line block ×8, first 2 shown]
	s_waitcnt vmcnt(27) lgkmcnt(1)
	v_mul_f32_e32 v146, v2, v122
	v_mul_f32_e32 v122, v3, v122
	v_fmac_f32_e32 v146, v3, v184
	v_add_f32_e32 v3, v124, v154
	v_fma_f32 v151, v2, v184, -v122
	v_add_f32_e32 v146, v156, v146
	v_add_f32_e32 v130, v3, v178
	s_waitcnt vmcnt(26)
	v_mul_f32_e32 v147, v4, v123
	v_add_f32_e32 v130, v130, v176
	v_mul_f32_e32 v123, v5, v123
	s_waitcnt vmcnt(25) lgkmcnt(0)
	v_mul_f32_e32 v153, v118, v8
	v_mul_f32_e32 v8, v119, v8
	v_add_f32_e32 v130, v130, v175
	v_fmac_f32_e32 v147, v5, v183
	v_fma_f32 v152, v4, v183, -v123
	ds_read2_b64 v[2:5], v1 offset0:97 offset1:98
	ds_read2_b64 v[122:125], v1 offset0:99 offset1:100
	v_fma_f32 v8, v118, v182, -v8
	v_add_f32_e32 v118, v130, v174
	s_waitcnt vmcnt(24)
	v_mul_f32_e32 v155, v121, v131
	v_mul_f32_e32 v154, v120, v131
	v_fmac_f32_e32 v153, v119, v182
	v_add_f32_e32 v146, v146, v147
	v_add_f32_e32 v161, v118, v186
	ds_read2_b64 v[126:129], v1 offset0:101 offset1:102
	ds_read2_b64 v[130:133], v1 offset0:103 offset1:104
	s_waitcnt vmcnt(20)
	v_fma_f32 v155, v120, v6, -v155
	v_fmac_f32_e32 v154, v121, v6
	v_add_f32_e32 v151, v161, v151
	v_add_f32_e32 v146, v146, v153
	ds_read2_b64 v[118:121], v1 offset0:105 offset1:106
	ds_read_b64 v[6:7], v1 offset:856
	v_add_f32_e32 v151, v151, v152
	v_add_f32_e32 v146, v146, v154
	s_waitcnt vmcnt(19) lgkmcnt(5)
	v_mul_f32_e32 v162, v2, v157
	v_mul_f32_e32 v157, v3, v157
	s_waitcnt vmcnt(18)
	v_mul_f32_e32 v163, v4, v158
	v_add_f32_e32 v8, v151, v8
	v_mul_f32_e32 v158, v5, v158
	v_fmac_f32_e32 v162, v3, v150
	v_fma_f32 v2, v2, v150, -v157
	s_waitcnt vmcnt(17) lgkmcnt(4)
	v_mul_f32_e32 v156, v122, v159
	v_add_f32_e32 v8, v8, v155
	v_mul_f32_e32 v155, v123, v159
	v_fma_f32 v4, v4, v149, -v158
	v_fmac_f32_e32 v163, v5, v149
	v_add_f32_e32 v5, v146, v162
	v_add_f32_e32 v2, v8, v2
	s_waitcnt vmcnt(16)
	v_mul_f32_e32 v8, v125, v137
	v_fma_f32 v122, v122, v148, -v155
	v_mul_f32_e32 v152, v124, v137
	v_fmac_f32_e32 v156, v123, v148
	v_add_f32_e32 v2, v2, v4
	v_add_f32_e32 v4, v5, v163
	s_waitcnt vmcnt(15) lgkmcnt(3)
	v_mul_f32_e32 v5, v127, v160
	v_mul_f32_e32 v161, v126, v160
	s_waitcnt vmcnt(14)
	v_mul_f32_e32 v147, v128, v165
	v_add_f32_e32 v2, v2, v122
	v_add_f32_e32 v4, v4, v156
	s_waitcnt vmcnt(5)
	v_fma_f32 v8, v124, v145, -v8
	v_fmac_f32_e32 v152, v125, v145
	v_mul_f32_e32 v122, v129, v165
	v_fma_f32 v5, v126, v139, -v5
	v_fmac_f32_e32 v161, v127, v139
	v_add_f32_e32 v2, v2, v8
	v_add_f32_e32 v4, v4, v152
	s_waitcnt lgkmcnt(2)
	v_mul_f32_e32 v8, v131, v167
	v_fma_f32 v122, v128, v138, -v122
	v_mul_f32_e32 v151, v130, v167
	v_add_f32_e32 v2, v2, v5
	v_fmac_f32_e32 v147, v129, v138
	v_add_f32_e32 v4, v4, v161
	v_mul_f32_e32 v5, v133, v135
	v_fma_f32 v8, v130, v134, -v8
	v_add_f32_e32 v2, v2, v122
	v_mul_f32_e32 v3, v132, v135
	v_fmac_f32_e32 v151, v131, v134
	v_add_f32_e32 v4, v4, v147
	s_waitcnt lgkmcnt(1)
	v_mul_f32_e32 v122, v119, v168
	s_waitcnt vmcnt(1)
	v_fma_f32 v5, v132, v144, -v5
	v_add_f32_e32 v2, v2, v8
	v_mul_f32_e32 v150, v118, v168
	v_fmac_f32_e32 v3, v133, v144
	v_add_f32_e32 v4, v4, v151
	v_mul_f32_e32 v8, v121, v136
	v_fma_f32 v118, v118, v143, -v122
	v_add_f32_e32 v2, v2, v5
	v_mul_f32_e32 v153, v120, v136
	v_fmac_f32_e32 v150, v119, v143
	v_add_f32_e32 v3, v4, v3
	s_waitcnt lgkmcnt(0)
	v_mul_f32_e32 v4, v7, v169
	v_fma_f32 v5, v120, v141, -v8
	v_add_f32_e32 v2, v2, v118
	v_mul_f32_e32 v154, v6, v169
	v_fmac_f32_e32 v153, v121, v141
	v_add_f32_e32 v3, v3, v150
	v_fma_f32 v4, v6, v140, -v4
	v_add_f32_e32 v2, v2, v5
	v_fmac_f32_e32 v154, v7, v140
	v_add_f32_e32 v3, v3, v153
	v_add_f32_e32 v2, v2, v4
	;; [unrolled: 1-line block ×3, first 2 shown]
	s_waitcnt vmcnt(0)
	v_sub_f32_e32 v2, v142, v2
	v_sub_f32_e32 v3, v166, v3
	buffer_store_dword v2, off, s[0:3], 0 offset:48
	buffer_store_dword v3, off, s[0:3], 0 offset:52
	v_cmpx_lt_u32_e32 5, v0
	s_cbranch_execz .LBB117_327
; %bb.326:
	s_clause 0x1
	buffer_load_dword v2, off, s[0:3], 0 offset:40
	buffer_load_dword v3, off, s[0:3], 0 offset:44
	buffer_store_dword v1, off, s[0:3], 0 offset:40
	buffer_store_dword v1, off, s[0:3], 0 offset:44
	s_waitcnt vmcnt(0)
	ds_write_b64 v117, v[2:3]
.LBB117_327:
	s_or_b32 exec_lo, exec_lo, s4
	s_waitcnt lgkmcnt(0)
	s_waitcnt_vscnt null, 0x0
	s_barrier
	buffer_gl0_inv
	s_clause 0x2c
	buffer_load_dword v148, off, s[0:3], 0 offset:52
	buffer_load_dword v149, off, s[0:3], 0 offset:60
	;; [unrolled: 1-line block ×45, first 2 shown]
	ds_read_b128 v[157:160], v1 offset:480
	ds_read_b128 v[161:164], v1 offset:496
	s_mov_b32 s4, exec_lo
	s_waitcnt vmcnt(44) lgkmcnt(1)
	v_mul_f32_e32 v150, v157, v148
	v_mul_f32_e32 v165, v158, v148
	s_waitcnt vmcnt(43)
	v_mul_f32_e32 v148, v159, v149
	v_mul_f32_e32 v166, v160, v149
	buffer_load_dword v149, off, s[0:3], 0 offset:44
	s_waitcnt vmcnt(41)
	v_fmac_f32_e32 v150, v158, v119
	v_fma_f32 v165, v157, v119, -v165
	v_fmac_f32_e32 v148, v160, v7
	v_fma_f32 v166, v159, v7, -v166
	ds_read_b128 v[157:160], v1 offset:512
	s_waitcnt vmcnt(40) lgkmcnt(1)
	v_mul_f32_e32 v167, v161, v4
	s_waitcnt vmcnt(39)
	v_mul_f32_e32 v168, v163, v5
	v_mul_f32_e32 v4, v162, v4
	;; [unrolled: 1-line block ×3, first 2 shown]
	v_fmac_f32_e32 v167, v162, v2
	s_waitcnt vmcnt(35)
	v_fmac_f32_e32 v168, v164, v122
	v_fma_f32 v169, v161, v2, -v4
	v_fma_f32 v122, v163, v122, -v5
	ds_read_b128 v[161:164], v1 offset:528
	s_waitcnt vmcnt(34) lgkmcnt(1)
	v_mul_f32_e32 v170, v157, v121
	s_waitcnt vmcnt(33)
	v_mul_f32_e32 v171, v159, v120
	v_mul_f32_e32 v4, v160, v120
	;; [unrolled: 1-line block ×3, first 2 shown]
	v_fmac_f32_e32 v170, v158, v118
	v_fmac_f32_e32 v171, v160, v6
	v_fma_f32 v158, v159, v6, -v4
	ds_read_b128 v[4:7], v1 offset:544
	v_fma_f32 v157, v157, v118, -v2
	s_waitcnt vmcnt(32) lgkmcnt(1)
	v_mul_f32_e32 v159, v161, v8
	v_mul_f32_e32 v2, v162, v8
	s_waitcnt vmcnt(31)
	v_mul_f32_e32 v8, v163, v123
	v_mul_f32_e32 v118, v164, v123
	v_fmac_f32_e32 v159, v162, v3
	v_fma_f32 v123, v161, v3, -v2
	s_waitcnt vmcnt(27)
	v_fmac_f32_e32 v8, v164, v131
	v_fma_f32 v131, v163, v131, -v118
	ds_read_b128 v[118:121], v1 offset:560
	buffer_load_dword v161, off, s[0:3], 0 offset:236
	s_waitcnt vmcnt(27) lgkmcnt(1)
	v_mul_f32_e32 v160, v4, v129
	v_mul_f32_e32 v2, v5, v129
	s_waitcnt vmcnt(26)
	v_mul_f32_e32 v3, v7, v128
	v_mul_f32_e32 v129, v6, v128
	v_fmac_f32_e32 v160, v5, v127
	v_fma_f32 v127, v4, v127, -v2
	v_fma_f32 v6, v6, v125, -v3
	ds_read_b128 v[2:5], v1 offset:576
	v_fmac_f32_e32 v129, v7, v125
	s_waitcnt vmcnt(25) lgkmcnt(1)
	v_mul_f32_e32 v7, v118, v126
	v_mul_f32_e32 v125, v119, v126
	s_waitcnt vmcnt(24)
	v_mul_f32_e32 v126, v120, v130
	v_mul_f32_e32 v128, v121, v130
	v_fmac_f32_e32 v7, v119, v124
	v_fma_f32 v124, v118, v124, -v125
	s_waitcnt vmcnt(20)
	v_fmac_f32_e32 v126, v121, v139
	v_fma_f32 v125, v120, v139, -v128
	ds_read_b128 v[118:121], v1 offset:592
	s_waitcnt vmcnt(19) lgkmcnt(1)
	v_mul_f32_e32 v128, v2, v137
	v_mul_f32_e32 v130, v3, v137
	s_waitcnt vmcnt(18)
	v_mul_f32_e32 v137, v4, v136
	v_mul_f32_e32 v136, v5, v136
	v_fmac_f32_e32 v128, v3, v135
	v_fma_f32 v130, v2, v135, -v130
	v_fmac_f32_e32 v137, v5, v133
	v_fma_f32 v133, v4, v133, -v136
	ds_read_b128 v[2:5], v1 offset:608
	s_waitcnt vmcnt(17) lgkmcnt(1)
	v_mul_f32_e32 v135, v118, v134
	v_mul_f32_e32 v134, v119, v134
	s_waitcnt vmcnt(16)
	v_mul_f32_e32 v136, v120, v138
	v_mul_f32_e32 v138, v121, v138
	v_fmac_f32_e32 v135, v119, v132
	v_fma_f32 v132, v118, v132, -v134
	s_waitcnt vmcnt(12)
	v_fmac_f32_e32 v136, v121, v147
	v_fma_f32 v134, v120, v147, -v138
	ds_read_b128 v[118:121], v1 offset:624
	buffer_load_dword v147, off, s[0:3], 0 offset:228
	s_waitcnt vmcnt(12) lgkmcnt(1)
	v_mul_f32_e32 v138, v2, v145
	v_mul_f32_e32 v139, v3, v145
	s_waitcnt vmcnt(11)
	v_mul_f32_e32 v145, v4, v144
	v_mul_f32_e32 v144, v5, v144
	v_fmac_f32_e32 v138, v3, v143
	v_fma_f32 v139, v2, v143, -v139
	v_fmac_f32_e32 v145, v5, v141
	v_fma_f32 v141, v4, v141, -v144
	ds_read_b128 v[2:5], v1 offset:640
	s_waitcnt vmcnt(10) lgkmcnt(1)
	v_mul_f32_e32 v143, v118, v142
	v_mul_f32_e32 v142, v119, v142
	s_waitcnt vmcnt(9)
	v_mul_f32_e32 v144, v120, v146
	v_mul_f32_e32 v146, v121, v146
	v_fmac_f32_e32 v143, v119, v140
	v_fma_f32 v140, v118, v140, -v142
	s_waitcnt vmcnt(5)
	v_fmac_f32_e32 v144, v121, v156
	v_fma_f32 v142, v120, v156, -v146
	ds_read_b128 v[118:121], v1 offset:656
	s_waitcnt vmcnt(4) lgkmcnt(1)
	v_mul_f32_e32 v146, v2, v155
	v_mul_f32_e32 v155, v3, v155
	s_waitcnt vmcnt(3)
	v_mul_f32_e32 v156, v4, v154
	v_mul_f32_e32 v154, v5, v154
	v_fmac_f32_e32 v146, v3, v153
	v_fma_f32 v153, v2, v153, -v155
	v_fmac_f32_e32 v156, v5, v152
	v_fma_f32 v152, v4, v152, -v154
	s_clause 0x4
	buffer_load_dword v154, off, s[0:3], 0 offset:256
	buffer_load_dword v155, off, s[0:3], 0 offset:248
	buffer_load_dword v162, off, s[0:3], 0 offset:240
	buffer_load_dword v2, off, s[0:3], 0 offset:232
	buffer_load_dword v163, off, s[0:3], 0 offset:244
	s_waitcnt vmcnt(5) lgkmcnt(0)
	v_mul_f32_e32 v164, v118, v147
	v_mul_f32_e32 v3, v119, v147
	v_fmac_f32_e32 v164, v119, v151
	v_fma_f32 v147, v118, v151, -v3
	v_mul_f32_e32 v151, v120, v161
	v_mul_f32_e32 v3, v121, v161
	s_waitcnt vmcnt(1)
	v_fmac_f32_e32 v151, v121, v2
	v_fma_f32 v161, v120, v2, -v3
	ds_read_b128 v[2:5], v1 offset:672
	ds_read_b128 v[118:121], v1 offset:688
	s_waitcnt vmcnt(0) lgkmcnt(1)
	v_mul_f32_e32 v172, v2, v163
	v_mul_f32_e32 v163, v3, v163
	v_fmac_f32_e32 v172, v3, v162
	v_fma_f32 v162, v2, v162, -v163
	buffer_load_dword v2, off, s[0:3], 0 offset:252
	s_waitcnt vmcnt(0)
	v_mul_f32_e32 v163, v4, v2
	v_mul_f32_e32 v2, v5, v2
	v_fmac_f32_e32 v163, v5, v155
	v_fma_f32 v155, v4, v155, -v2
	buffer_load_dword v2, off, s[0:3], 0 offset:260
	s_waitcnt vmcnt(0) lgkmcnt(0)
	v_mul_f32_e32 v173, v118, v2
	v_mul_f32_e32 v2, v119, v2
	v_fmac_f32_e32 v173, v119, v154
	v_fma_f32 v154, v118, v154, -v2
	s_clause 0x5
	buffer_load_dword v2, off, s[0:3], 0 offset:268
	buffer_load_dword v174, off, s[0:3], 0 offset:288
	;; [unrolled: 1-line block ×6, first 2 shown]
	s_waitcnt vmcnt(5)
	v_mul_f32_e32 v177, v120, v2
	v_mul_f32_e32 v2, v121, v2
	s_waitcnt vmcnt(1)
	v_fmac_f32_e32 v177, v121, v3
	v_fma_f32 v178, v120, v3, -v2
	ds_read_b128 v[2:5], v1 offset:704
	ds_read_b128 v[118:121], v1 offset:720
	s_waitcnt vmcnt(0) lgkmcnt(1)
	v_mul_f32_e32 v180, v2, v179
	v_mul_f32_e32 v179, v3, v179
	v_fmac_f32_e32 v180, v3, v176
	v_fma_f32 v176, v2, v176, -v179
	buffer_load_dword v2, off, s[0:3], 0 offset:284
	v_add_f32_e32 v3, 0, v165
	v_add_f32_e32 v3, v3, v166
	;; [unrolled: 1-line block ×22, first 2 shown]
	s_waitcnt vmcnt(0)
	v_mul_f32_e32 v179, v4, v2
	v_mul_f32_e32 v2, v5, v2
	v_fmac_f32_e32 v179, v5, v175
	v_fma_f32 v175, v4, v175, -v2
	s_clause 0x1
	buffer_load_dword v4, off, s[0:3], 0 offset:292
	buffer_load_dword v5, off, s[0:3], 0 offset:300
	v_add_f32_e32 v2, 0, v150
	v_add_f32_e32 v2, v2, v148
	;; [unrolled: 1-line block ×8, first 2 shown]
	s_clause 0x6
	buffer_load_dword v8, off, s[0:3], 0 offset:320
	buffer_load_dword v122, off, s[0:3], 0 offset:312
	;; [unrolled: 1-line block ×7, first 2 shown]
	v_add_f32_e32 v2, v2, v160
	v_add_f32_e32 v2, v2, v129
	;; [unrolled: 1-line block ×3, first 2 shown]
	buffer_load_dword v7, off, s[0:3], 0 offset:332
	v_add_f32_e32 v2, v2, v126
	s_clause 0x7
	buffer_load_dword v157, off, s[0:3], 0 offset:352
	buffer_load_dword v158, off, s[0:3], 0 offset:344
	;; [unrolled: 1-line block ×8, first 2 shown]
	v_add_f32_e32 v2, v2, v128
	s_clause 0x2
	buffer_load_dword v168, off, s[0:3], 0 offset:372
	buffer_load_dword v169, off, s[0:3], 0 offset:380
	;; [unrolled: 1-line block ×3, first 2 shown]
	v_add_f32_e32 v2, v2, v137
	v_add_f32_e32 v2, v2, v135
	;; [unrolled: 1-line block ×9, first 2 shown]
	s_waitcnt vmcnt(20) lgkmcnt(0)
	v_mul_f32_e32 v129, v118, v4
	v_mul_f32_e32 v4, v119, v4
	s_waitcnt vmcnt(19)
	v_mul_f32_e32 v130, v120, v5
	v_fmac_f32_e32 v129, v119, v174
	v_fma_f32 v150, v118, v174, -v4
	s_clause 0xe
	buffer_load_dword v171, off, s[0:3], 0 offset:396
	buffer_load_dword v174, off, s[0:3], 0 offset:404
	;; [unrolled: 1-line block ×15, first 2 shown]
	v_mul_f32_e32 v4, v121, v5
	v_add_f32_e32 v118, v2, v164
	v_add_f32_e32 v119, v3, v147
	;; [unrolled: 1-line block ×8, first 2 shown]
	s_waitcnt vmcnt(30)
	v_fma_f32 v137, v120, v131, -v4
	ds_read_b128 v[2:5], v1 offset:736
	v_fmac_f32_e32 v130, v121, v131
	ds_read_b128 v[118:121], v1 offset:752
	s_waitcnt vmcnt(29) lgkmcnt(1)
	v_mul_f32_e32 v134, v2, v148
	v_mul_f32_e32 v128, v3, v148
	s_waitcnt vmcnt(28)
	v_mul_f32_e32 v147, v4, v127
	v_mul_f32_e32 v127, v5, v127
	s_waitcnt vmcnt(27) lgkmcnt(0)
	v_mul_f32_e32 v152, v118, v6
	v_fmac_f32_e32 v134, v3, v123
	v_fma_f32 v148, v2, v123, -v128
	v_add_f32_e32 v123, v124, v173
	v_fma_f32 v151, v4, v122, -v127
	v_add_f32_e32 v127, v125, v154
	v_fmac_f32_e32 v147, v5, v122
	ds_read_b128 v[2:5], v1 offset:768
	v_add_f32_e32 v128, v123, v177
	v_mul_f32_e32 v6, v119, v6
	v_add_f32_e32 v127, v127, v178
	v_fmac_f32_e32 v152, v119, v8
	ds_read_b128 v[122:125], v1 offset:784
	v_add_f32_e32 v128, v128, v180
	v_fma_f32 v6, v118, v8, -v6
	v_add_f32_e32 v127, v127, v176
	s_waitcnt vmcnt(26)
	v_mul_f32_e32 v154, v120, v7
	v_mul_f32_e32 v7, v121, v7
	v_add_f32_e32 v119, v128, v179
	v_add_f32_e32 v8, v127, v175
	s_waitcnt vmcnt(22)
	v_fmac_f32_e32 v154, v121, v126
	v_fma_f32 v7, v120, v126, -v7
	v_add_f32_e32 v131, v119, v129
	ds_read_b128 v[118:121], v1 offset:800
	ds_read_b128 v[126:129], v1 offset:816
	v_add_f32_e32 v8, v8, v150
	s_waitcnt vmcnt(21) lgkmcnt(3)
	v_mul_f32_e32 v150, v2, v160
	v_mul_f32_e32 v135, v3, v160
	v_add_f32_e32 v136, v131, v130
	v_add_f32_e32 v8, v8, v137
	ds_read_b128 v[130:133], v1 offset:832
	v_fmac_f32_e32 v150, v3, v159
	v_fma_f32 v2, v2, v159, -v135
	v_add_f32_e32 v3, v136, v134
	ds_read_b128 v[134:137], v1 offset:848
	v_add_f32_e32 v1, v8, v148
	s_waitcnt vmcnt(20)
	v_mul_f32_e32 v148, v5, v165
	v_mul_f32_e32 v8, v4, v165
	v_add_f32_e32 v3, v3, v147
	s_waitcnt vmcnt(19) lgkmcnt(4)
	v_mul_f32_e32 v155, v123, v166
	v_add_f32_e32 v1, v1, v151
	v_fma_f32 v4, v4, v158, -v148
	v_mul_f32_e32 v147, v122, v166
	v_add_f32_e32 v3, v3, v152
	v_fmac_f32_e32 v8, v5, v158
	v_add_f32_e32 v1, v1, v6
	v_fma_f32 v122, v122, v157, -v155
	s_waitcnt vmcnt(18)
	v_mul_f32_e32 v151, v124, v167
	v_add_f32_e32 v3, v3, v154
	v_fmac_f32_e32 v147, v123, v157
	v_add_f32_e32 v1, v1, v7
	v_mul_f32_e32 v7, v125, v167
	s_waitcnt vmcnt(17) lgkmcnt(3)
	v_mul_f32_e32 v5, v118, v168
	s_waitcnt vmcnt(16)
	v_mul_f32_e32 v148, v120, v169
	s_waitcnt vmcnt(15) lgkmcnt(2)
	v_mul_f32_e32 v6, v126, v170
	v_add_f32_e32 v1, v1, v2
	v_add_f32_e32 v2, v3, v150
	;; [unrolled: 1-line block ×4, first 2 shown]
	v_mul_f32_e32 v4, v119, v168
	v_mul_f32_e32 v8, v121, v169
	v_add_f32_e32 v1, v1, v122
	v_add_f32_e32 v2, v2, v147
	s_waitcnt vmcnt(14)
	v_mul_f32_e32 v152, v128, v171
	s_waitcnt vmcnt(13) lgkmcnt(1)
	v_mul_f32_e32 v156, v130, v174
	s_waitcnt vmcnt(9)
	v_fmac_f32_e32 v6, v127, v139
	s_waitcnt vmcnt(8)
	v_fma_f32 v8, v120, v141, -v8
	s_waitcnt vmcnt(7)
	v_fma_f32 v4, v118, v145, -v4
	;; [unrolled: 2-line block ×3, first 2 shown]
	v_fmac_f32_e32 v151, v125, v183
	v_fmac_f32_e32 v5, v119, v145
	;; [unrolled: 1-line block ×3, first 2 shown]
	s_waitcnt vmcnt(2)
	v_fmac_f32_e32 v152, v129, v144
	v_add_f32_e32 v1, v1, v7
	v_add_f32_e32 v2, v2, v151
	v_mul_f32_e32 v7, v127, v170
	v_mul_f32_e32 v154, v132, v181
	v_fmac_f32_e32 v156, v131, v143
	v_add_f32_e32 v1, v1, v4
	v_add_f32_e32 v2, v2, v5
	v_mul_f32_e32 v4, v129, v171
	v_fma_f32 v5, v126, v139, -v7
	v_mul_f32_e32 v7, v131, v174
	v_add_f32_e32 v1, v1, v8
	v_add_f32_e32 v2, v2, v148
	v_fma_f32 v4, v128, v144, -v4
	s_waitcnt lgkmcnt(0)
	v_mul_f32_e32 v158, v134, v182
	v_fmac_f32_e32 v154, v133, v142
	v_add_f32_e32 v1, v1, v5
	v_add_f32_e32 v2, v2, v6
	v_mul_f32_e32 v5, v133, v181
	v_fma_f32 v6, v130, v143, -v7
	v_mul_f32_e32 v3, v136, v138
	v_add_f32_e32 v1, v1, v4
	v_add_f32_e32 v2, v2, v152
	v_mul_f32_e32 v4, v135, v182
	v_fma_f32 v5, v132, v142, -v5
	v_fmac_f32_e32 v158, v135, v140
	v_add_f32_e32 v1, v1, v6
	v_add_f32_e32 v2, v2, v156
	v_mul_f32_e32 v6, v137, v138
	v_fma_f32 v4, v134, v140, -v4
	s_waitcnt vmcnt(1)
	v_fmac_f32_e32 v3, v137, v146
	v_add_f32_e32 v1, v1, v5
	v_add_f32_e32 v2, v2, v154
	v_fma_f32 v5, v136, v146, -v6
	v_add_f32_e32 v1, v1, v4
	v_add_f32_e32 v2, v2, v158
	;; [unrolled: 1-line block ×4, first 2 shown]
	s_waitcnt vmcnt(0)
	v_sub_f32_e32 v1, v153, v1
	v_sub_f32_e32 v2, v149, v2
	buffer_store_dword v1, off, s[0:3], 0 offset:40
	buffer_store_dword v2, off, s[0:3], 0 offset:44
	v_cmpx_lt_u32_e32 4, v0
	s_cbranch_execz .LBB117_329
; %bb.328:
	s_clause 0x1
	buffer_load_dword v1, off, s[0:3], 0 offset:32
	buffer_load_dword v2, off, s[0:3], 0 offset:36
	v_mov_b32_e32 v3, 0
	buffer_store_dword v3, off, s[0:3], 0 offset:32
	buffer_store_dword v3, off, s[0:3], 0 offset:36
	s_waitcnt vmcnt(0)
	ds_write_b64 v117, v[1:2]
.LBB117_329:
	s_or_b32 exec_lo, exec_lo, s4
	s_waitcnt lgkmcnt(0)
	s_waitcnt_vscnt null, 0x0
	s_barrier
	buffer_gl0_inv
	s_clause 0x2c
	buffer_load_dword v148, off, s[0:3], 0 offset:44
	buffer_load_dword v149, off, s[0:3], 0 offset:52
	;; [unrolled: 1-line block ×45, first 2 shown]
	v_mov_b32_e32 v1, 0
	ds_read2_b64 v[157:160], v1 offset0:59 offset1:60
	ds_read2_b64 v[161:164], v1 offset0:61 offset1:62
	s_mov_b32 s4, exec_lo
	s_waitcnt vmcnt(44) lgkmcnt(1)
	v_mul_f32_e32 v150, v157, v148
	v_mul_f32_e32 v165, v158, v148
	s_waitcnt vmcnt(43)
	v_mul_f32_e32 v148, v159, v149
	v_mul_f32_e32 v166, v160, v149
	buffer_load_dword v149, off, s[0:3], 0 offset:36
	s_waitcnt vmcnt(41)
	v_fmac_f32_e32 v150, v158, v119
	v_fma_f32 v165, v157, v119, -v165
	v_fmac_f32_e32 v148, v160, v7
	v_fma_f32 v166, v159, v7, -v166
	ds_read2_b64 v[157:160], v1 offset0:63 offset1:64
	s_waitcnt vmcnt(40) lgkmcnt(1)
	v_mul_f32_e32 v167, v161, v4
	s_waitcnt vmcnt(39)
	v_mul_f32_e32 v168, v163, v5
	v_mul_f32_e32 v4, v162, v4
	;; [unrolled: 1-line block ×3, first 2 shown]
	v_fmac_f32_e32 v167, v162, v2
	s_waitcnt vmcnt(35)
	v_fmac_f32_e32 v168, v164, v122
	v_fma_f32 v169, v161, v2, -v4
	v_fma_f32 v122, v163, v122, -v5
	ds_read2_b64 v[161:164], v1 offset0:65 offset1:66
	s_waitcnt vmcnt(34) lgkmcnt(1)
	v_mul_f32_e32 v170, v157, v121
	s_waitcnt vmcnt(33)
	v_mul_f32_e32 v171, v159, v120
	v_mul_f32_e32 v4, v160, v120
	;; [unrolled: 1-line block ×3, first 2 shown]
	v_fmac_f32_e32 v170, v158, v118
	v_fmac_f32_e32 v171, v160, v6
	v_fma_f32 v158, v159, v6, -v4
	ds_read2_b64 v[4:7], v1 offset0:67 offset1:68
	v_fma_f32 v157, v157, v118, -v2
	s_waitcnt vmcnt(32) lgkmcnt(1)
	v_mul_f32_e32 v159, v161, v8
	v_mul_f32_e32 v2, v162, v8
	s_waitcnt vmcnt(31)
	v_mul_f32_e32 v8, v163, v123
	v_mul_f32_e32 v118, v164, v123
	v_fmac_f32_e32 v159, v162, v3
	v_fma_f32 v123, v161, v3, -v2
	s_waitcnt vmcnt(27)
	v_fmac_f32_e32 v8, v164, v131
	v_fma_f32 v131, v163, v131, -v118
	ds_read2_b64 v[118:121], v1 offset0:69 offset1:70
	buffer_load_dword v161, off, s[0:3], 0 offset:228
	s_waitcnt vmcnt(27) lgkmcnt(1)
	v_mul_f32_e32 v160, v4, v129
	v_mul_f32_e32 v2, v5, v129
	s_waitcnt vmcnt(26)
	v_mul_f32_e32 v3, v7, v128
	v_mul_f32_e32 v129, v6, v128
	v_fmac_f32_e32 v160, v5, v127
	v_fma_f32 v127, v4, v127, -v2
	v_fma_f32 v6, v6, v125, -v3
	ds_read2_b64 v[2:5], v1 offset0:71 offset1:72
	v_fmac_f32_e32 v129, v7, v125
	s_waitcnt vmcnt(25) lgkmcnt(1)
	v_mul_f32_e32 v7, v118, v126
	v_mul_f32_e32 v125, v119, v126
	s_waitcnt vmcnt(24)
	v_mul_f32_e32 v126, v120, v130
	v_mul_f32_e32 v128, v121, v130
	v_fmac_f32_e32 v7, v119, v124
	v_fma_f32 v124, v118, v124, -v125
	s_waitcnt vmcnt(20)
	v_fmac_f32_e32 v126, v121, v139
	v_fma_f32 v125, v120, v139, -v128
	ds_read2_b64 v[118:121], v1 offset0:73 offset1:74
	s_waitcnt vmcnt(19) lgkmcnt(1)
	v_mul_f32_e32 v128, v2, v137
	v_mul_f32_e32 v130, v3, v137
	s_waitcnt vmcnt(18)
	v_mul_f32_e32 v137, v4, v136
	v_mul_f32_e32 v136, v5, v136
	v_fmac_f32_e32 v128, v3, v135
	v_fma_f32 v130, v2, v135, -v130
	v_fmac_f32_e32 v137, v5, v133
	v_fma_f32 v133, v4, v133, -v136
	ds_read2_b64 v[2:5], v1 offset0:75 offset1:76
	s_waitcnt vmcnt(17) lgkmcnt(1)
	v_mul_f32_e32 v135, v118, v134
	v_mul_f32_e32 v134, v119, v134
	s_waitcnt vmcnt(16)
	v_mul_f32_e32 v136, v120, v138
	v_mul_f32_e32 v138, v121, v138
	v_fmac_f32_e32 v135, v119, v132
	v_fma_f32 v132, v118, v132, -v134
	s_waitcnt vmcnt(12)
	v_fmac_f32_e32 v136, v121, v146
	v_fma_f32 v134, v120, v146, -v138
	ds_read2_b64 v[118:121], v1 offset0:77 offset1:78
	s_waitcnt vmcnt(11) lgkmcnt(1)
	v_mul_f32_e32 v138, v2, v145
	v_mul_f32_e32 v139, v3, v145
	s_waitcnt vmcnt(10)
	v_mul_f32_e32 v145, v4, v144
	v_mul_f32_e32 v144, v5, v144
	v_fmac_f32_e32 v138, v3, v143
	v_fma_f32 v139, v2, v143, -v139
	v_fmac_f32_e32 v145, v5, v141
	v_fma_f32 v141, v4, v141, -v144
	ds_read2_b64 v[2:5], v1 offset0:79 offset1:80
	s_waitcnt vmcnt(8) lgkmcnt(1)
	v_mul_f32_e32 v144, v120, v147
	v_mul_f32_e32 v146, v121, v147
	buffer_load_dword v147, off, s[0:3], 0 offset:220
	v_mul_f32_e32 v143, v118, v142
	v_mul_f32_e32 v142, v119, v142
	s_waitcnt vmcnt(5)
	v_fmac_f32_e32 v144, v121, v156
	v_fmac_f32_e32 v143, v119, v140
	v_fma_f32 v140, v118, v140, -v142
	v_fma_f32 v142, v120, v156, -v146
	ds_read2_b64 v[118:121], v1 offset0:81 offset1:82
	s_waitcnt vmcnt(4) lgkmcnt(1)
	v_mul_f32_e32 v146, v2, v155
	v_mul_f32_e32 v155, v3, v155
	s_waitcnt vmcnt(3)
	v_mul_f32_e32 v156, v4, v154
	v_mul_f32_e32 v154, v5, v154
	v_fmac_f32_e32 v146, v3, v153
	v_fma_f32 v153, v2, v153, -v155
	v_fmac_f32_e32 v156, v5, v152
	v_fma_f32 v152, v4, v152, -v154
	s_clause 0x4
	buffer_load_dword v154, off, s[0:3], 0 offset:248
	buffer_load_dword v155, off, s[0:3], 0 offset:240
	;; [unrolled: 1-line block ×5, first 2 shown]
	s_waitcnt vmcnt(5) lgkmcnt(0)
	v_mul_f32_e32 v164, v118, v147
	v_mul_f32_e32 v3, v119, v147
	v_fmac_f32_e32 v164, v119, v151
	v_fma_f32 v147, v118, v151, -v3
	v_mul_f32_e32 v151, v120, v161
	v_mul_f32_e32 v3, v121, v161
	s_waitcnt vmcnt(1)
	v_fmac_f32_e32 v151, v121, v2
	v_fma_f32 v161, v120, v2, -v3
	ds_read2_b64 v[2:5], v1 offset0:83 offset1:84
	ds_read2_b64 v[118:121], v1 offset0:85 offset1:86
	s_waitcnt vmcnt(0) lgkmcnt(1)
	v_mul_f32_e32 v172, v2, v163
	v_mul_f32_e32 v163, v3, v163
	v_fmac_f32_e32 v172, v3, v162
	v_fma_f32 v162, v2, v162, -v163
	s_clause 0x1
	buffer_load_dword v2, off, s[0:3], 0 offset:244
	buffer_load_dword v3, off, s[0:3], 0 offset:252
	s_waitcnt vmcnt(1)
	v_mul_f32_e32 v163, v4, v2
	v_mul_f32_e32 v2, v5, v2
	v_fmac_f32_e32 v163, v5, v155
	v_fma_f32 v155, v4, v155, -v2
	v_add_f32_e32 v4, 0, v165
	v_add_f32_e32 v2, 0, v150
	;; [unrolled: 1-line block ×4, first 2 shown]
	buffer_load_dword v148, off, s[0:3], 0 offset:260
	v_add_f32_e32 v4, v4, v169
	v_add_f32_e32 v2, v2, v167
	;; [unrolled: 1-line block ×3, first 2 shown]
	s_clause 0x4
	buffer_load_dword v122, off, s[0:3], 0 offset:280
	buffer_load_dword v150, off, s[0:3], 0 offset:272
	;; [unrolled: 1-line block ×5, first 2 shown]
	v_add_f32_e32 v2, v2, v168
	buffer_load_dword v168, off, s[0:3], 0 offset:284
	v_add_f32_e32 v4, v4, v157
	buffer_load_dword v157, off, s[0:3], 0 offset:276
	v_add_f32_e32 v2, v2, v170
	v_add_f32_e32 v4, v4, v158
	buffer_load_dword v158, off, s[0:3], 0 offset:292
	v_add_f32_e32 v2, v2, v171
	v_add_f32_e32 v4, v4, v123
	;; [unrolled: 1-line block ×5, first 2 shown]
	s_clause 0x3
	buffer_load_dword v8, off, s[0:3], 0 offset:312
	buffer_load_dword v123, off, s[0:3], 0 offset:304
	;; [unrolled: 1-line block ×4, first 2 shown]
	v_add_f32_e32 v4, v4, v127
	s_waitcnt vmcnt(13) lgkmcnt(0)
	v_mul_f32_e32 v127, v118, v3
	v_mul_f32_e32 v3, v119, v3
	v_add_f32_e32 v2, v2, v160
	buffer_load_dword v160, off, s[0:3], 0 offset:300
	v_add_f32_e32 v6, v4, v6
	v_fmac_f32_e32 v127, v119, v154
	v_add_f32_e32 v2, v2, v129
	v_fma_f32 v129, v118, v154, -v3
	v_add_f32_e32 v6, v6, v124
	buffer_load_dword v124, off, s[0:3], 0 offset:308
	v_add_f32_e32 v7, v2, v7
	ds_read2_b64 v[2:5], v1 offset0:87 offset1:88
	v_add_f32_e32 v6, v6, v125
	buffer_load_dword v125, off, s[0:3], 0 offset:316
	v_add_f32_e32 v7, v7, v126
	v_add_f32_e32 v6, v6, v130
	;; [unrolled: 1-line block ×3, first 2 shown]
	buffer_load_dword v128, off, s[0:3], 0 offset:324
	v_add_f32_e32 v6, v6, v133
	v_add_f32_e32 v7, v7, v137
	;; [unrolled: 1-line block ×3, first 2 shown]
	s_waitcnt vmcnt(16)
	v_mul_f32_e32 v126, v120, v148
	v_mul_f32_e32 v118, v121, v148
	s_waitcnt vmcnt(12)
	v_fmac_f32_e32 v126, v121, v166
	v_fma_f32 v148, v120, v166, -v118
	ds_read2_b64 v[118:121], v1 offset0:89 offset1:90
	s_waitcnt vmcnt(11) lgkmcnt(1)
	v_mul_f32_e32 v137, v3, v167
	v_mul_f32_e32 v130, v2, v167
	s_clause 0x3
	buffer_load_dword v135, off, s[0:3], 0 offset:344
	buffer_load_dword v154, off, s[0:3], 0 offset:336
	;; [unrolled: 1-line block ×4, first 2 shown]
	v_fma_f32 v137, v2, v165, -v137
	v_add_f32_e32 v2, v6, v132
	s_clause 0x1
	buffer_load_dword v6, off, s[0:3], 0 offset:332
	buffer_load_dword v132, off, s[0:3], 0 offset:340
	v_fmac_f32_e32 v130, v3, v165
	v_add_f32_e32 v3, v7, v136
	s_waitcnt vmcnt(15)
	v_mul_f32_e32 v7, v4, v157
	v_add_f32_e32 v2, v2, v134
	buffer_load_dword v134, off, s[0:3], 0 offset:348
	v_mul_f32_e32 v136, v5, v157
	v_add_f32_e32 v3, v3, v138
	v_fmac_f32_e32 v7, v5, v150
	v_add_f32_e32 v138, v2, v139
	v_fma_f32 v136, v4, v150, -v136
	v_add_f32_e32 v145, v3, v145
	s_waitcnt lgkmcnt(0)
	v_mul_f32_e32 v167, v119, v168
	v_add_f32_e32 v138, v138, v141
	v_mul_f32_e32 v141, v118, v168
	s_clause 0x3
	buffer_load_dword v139, off, s[0:3], 0 offset:356
	buffer_load_dword v150, off, s[0:3], 0 offset:364
	;; [unrolled: 1-line block ×4, first 2 shown]
	v_add_f32_e32 v143, v145, v143
	ds_read2_b64 v[2:5], v1 offset0:91 offset1:92
	v_add_f32_e32 v138, v138, v140
	s_waitcnt vmcnt(19)
	v_mul_f32_e32 v145, v120, v158
	v_mul_f32_e32 v140, v121, v158
	v_fma_f32 v158, v118, v122, -v167
	v_add_f32_e32 v118, v143, v144
	v_fmac_f32_e32 v141, v119, v122
	v_add_f32_e32 v119, v138, v142
	s_clause 0x3
	buffer_load_dword v138, off, s[0:3], 0 offset:388
	buffer_load_dword v142, off, s[0:3], 0 offset:396
	;; [unrolled: 1-line block ×4, first 2 shown]
	s_waitcnt vmcnt(19)
	v_fmac_f32_e32 v145, v121, v159
	v_add_f32_e32 v118, v118, v146
	v_fma_f32 v140, v120, v159, -v140
	buffer_load_dword v159, off, s[0:3], 0 offset:420
	v_add_f32_e32 v119, v119, v153
	s_clause 0x4
	buffer_load_dword v146, off, s[0:3], 0 offset:376
	buffer_load_dword v153, off, s[0:3], 0 offset:368
	;; [unrolled: 1-line block ×5, first 2 shown]
	v_add_f32_e32 v118, v118, v156
	v_add_f32_e32 v122, v119, v152
	;; [unrolled: 1-line block ×3, first 2 shown]
	s_waitcnt vmcnt(24) lgkmcnt(0)
	v_mul_f32_e32 v156, v3, v160
	ds_read2_b64 v[118:121], v1 offset0:93 offset1:94
	v_add_f32_e32 v122, v122, v147
	v_mul_f32_e32 v147, v2, v160
	v_add_f32_e32 v151, v152, v151
	v_fmac_f32_e32 v147, v3, v131
	v_fma_f32 v131, v2, v131, -v156
	v_add_f32_e32 v3, v151, v172
	s_clause 0x3
	buffer_load_dword v151, off, s[0:3], 0 offset:408
	buffer_load_dword v152, off, s[0:3], 0 offset:400
	;; [unrolled: 1-line block ×4, first 2 shown]
	v_add_f32_e32 v2, v122, v161
	v_add_f32_e32 v3, v3, v163
	s_waitcnt vmcnt(27)
	v_mul_f32_e32 v163, v4, v124
	v_add_f32_e32 v2, v2, v162
	s_clause 0x1
	buffer_load_dword v161, off, s[0:3], 0 offset:424
	buffer_load_dword v162, off, s[0:3], 0 offset:416
	v_add_f32_e32 v122, v3, v127
	v_mul_f32_e32 v3, v5, v124
	v_add_f32_e32 v2, v2, v155
	buffer_load_dword v155, off, s[0:3], 0 offset:32
	v_fmac_f32_e32 v163, v5, v123
	v_add_f32_e32 v122, v122, v126
	v_fma_f32 v164, v4, v123, -v3
	v_add_f32_e32 v124, v2, v129
	ds_read2_b64 v[2:5], v1 offset0:95 offset1:96
	s_waitcnt vmcnt(29) lgkmcnt(1)
	v_mul_f32_e32 v126, v119, v125
	v_add_f32_e32 v127, v122, v130
	s_waitcnt vmcnt(28)
	v_mul_f32_e32 v170, v120, v128
	v_add_f32_e32 v123, v124, v148
	v_mul_f32_e32 v148, v118, v125
	v_mul_f32_e32 v128, v121, v128
	v_add_f32_e32 v7, v127, v7
	v_add_f32_e32 v129, v123, v137
	ds_read2_b64 v[122:125], v1 offset0:97 offset1:98
	v_fmac_f32_e32 v148, v119, v8
	v_add_f32_e32 v7, v7, v141
	v_fma_f32 v8, v118, v8, -v126
	v_add_f32_e32 v130, v129, v136
	v_add_f32_e32 v130, v130, v158
	;; [unrolled: 1-line block ×3, first 2 shown]
	s_waitcnt vmcnt(24)
	v_fma_f32 v136, v120, v166, -v128
	v_fmac_f32_e32 v170, v121, v166
	ds_read2_b64 v[118:121], v1 offset0:99 offset1:100
	ds_read2_b64 v[126:129], v1 offset0:101 offset1:102
	s_waitcnt vmcnt(23) lgkmcnt(3)
	v_mul_f32_e32 v137, v2, v6
	v_mul_f32_e32 v6, v3, v6
	s_waitcnt vmcnt(22)
	v_mul_f32_e32 v141, v4, v132
	v_mul_f32_e32 v140, v5, v132
	v_fmac_f32_e32 v137, v3, v133
	v_fma_f32 v158, v2, v133, -v6
	v_add_f32_e32 v2, v7, v145
	v_add_f32_e32 v6, v130, v131
	v_fmac_f32_e32 v141, v5, v154
	v_fma_f32 v140, v4, v154, -v140
	s_waitcnt vmcnt(21) lgkmcnt(2)
	v_mul_f32_e32 v154, v122, v134
	v_add_f32_e32 v145, v2, v147
	v_add_f32_e32 v147, v6, v164
	v_mul_f32_e32 v134, v123, v134
	ds_read2_b64 v[130:133], v1 offset0:103 offset1:104
	ds_read2_b64 v[2:5], v1 offset0:105 offset1:106
	v_add_f32_e32 v145, v145, v163
	v_add_f32_e32 v8, v147, v8
	v_fma_f32 v122, v122, v135, -v134
	s_waitcnt vmcnt(20)
	v_mul_f32_e32 v163, v124, v139
	v_mul_f32_e32 v139, v125, v139
	v_add_f32_e32 v145, v145, v148
	v_add_f32_e32 v8, v8, v136
	v_fmac_f32_e32 v154, v123, v135
	s_waitcnt vmcnt(19) lgkmcnt(3)
	v_mul_f32_e32 v147, v118, v150
	s_waitcnt vmcnt(18)
	v_mul_f32_e32 v136, v120, v157
	v_add_f32_e32 v145, v145, v170
	v_add_f32_e32 v8, v8, v158
	s_waitcnt vmcnt(17) lgkmcnt(2)
	v_mul_f32_e32 v148, v126, v165
	s_waitcnt vmcnt(16)
	v_mul_f32_e32 v164, v128, v138
	s_waitcnt vmcnt(9)
	v_fmac_f32_e32 v147, v119, v167
	v_add_f32_e32 v134, v145, v137
	v_add_f32_e32 v8, v8, v140
	v_mul_f32_e32 v140, v119, v150
	s_waitcnt vmcnt(8)
	v_fma_f32 v124, v124, v168, -v139
	v_fmac_f32_e32 v163, v125, v168
	v_add_f32_e32 v134, v134, v141
	v_add_f32_e32 v8, v8, v122
	v_mul_f32_e32 v125, v121, v157
	v_fma_f32 v118, v118, v167, -v140
	v_fmac_f32_e32 v136, v121, v153
	v_add_f32_e32 v122, v134, v154
	v_add_f32_e32 v8, v8, v124
	v_fma_f32 v120, v120, v153, -v125
	v_fmac_f32_e32 v148, v127, v146
	ds_read_b64 v[6:7], v1 offset:856
	v_add_f32_e32 v119, v122, v163
	v_mul_f32_e32 v122, v127, v165
	v_add_f32_e32 v8, v8, v118
	s_waitcnt lgkmcnt(2)
	v_mul_f32_e32 v158, v130, v142
	s_waitcnt vmcnt(3)
	v_fmac_f32_e32 v164, v129, v160
	v_add_f32_e32 v118, v119, v147
	v_mul_f32_e32 v119, v129, v138
	v_fma_f32 v121, v126, v146, -v122
	v_add_f32_e32 v8, v8, v120
	v_mul_f32_e32 v120, v131, v142
	v_add_f32_e32 v118, v118, v136
	v_fma_f32 v119, v128, v160, -v119
	v_mul_f32_e32 v123, v132, v143
	v_add_f32_e32 v8, v8, v121
	v_mul_f32_e32 v121, v133, v143
	v_add_f32_e32 v118, v118, v148
	v_fma_f32 v120, v130, v156, -v120
	v_fmac_f32_e32 v158, v131, v156
	v_add_f32_e32 v8, v8, v119
	s_waitcnt lgkmcnt(1)
	v_mul_f32_e32 v135, v2, v144
	v_add_f32_e32 v118, v118, v164
	v_mul_f32_e32 v119, v3, v144
	v_fma_f32 v121, v132, v152, -v121
	v_add_f32_e32 v8, v8, v120
	v_fmac_f32_e32 v123, v133, v152
	v_add_f32_e32 v118, v118, v158
	v_mul_f32_e32 v120, v5, v159
	v_fmac_f32_e32 v135, v3, v151
	v_fma_f32 v2, v2, v151, -v119
	v_add_f32_e32 v3, v8, v121
	v_mul_f32_e32 v137, v4, v159
	v_add_f32_e32 v8, v118, v123
	s_waitcnt lgkmcnt(0)
	v_mul_f32_e32 v118, v7, v169
	s_waitcnt vmcnt(1)
	v_fma_f32 v4, v4, v162, -v120
	v_add_f32_e32 v2, v3, v2
	v_mul_f32_e32 v141, v6, v169
	v_fmac_f32_e32 v137, v5, v162
	v_add_f32_e32 v3, v8, v135
	v_fma_f32 v5, v6, v161, -v118
	v_add_f32_e32 v2, v2, v4
	v_fmac_f32_e32 v141, v7, v161
	v_add_f32_e32 v3, v3, v137
	v_add_f32_e32 v2, v2, v5
	;; [unrolled: 1-line block ×3, first 2 shown]
	s_waitcnt vmcnt(0)
	v_sub_f32_e32 v2, v155, v2
	v_sub_f32_e32 v3, v149, v3
	buffer_store_dword v2, off, s[0:3], 0 offset:32
	buffer_store_dword v3, off, s[0:3], 0 offset:36
	v_cmpx_lt_u32_e32 3, v0
	s_cbranch_execz .LBB117_331
; %bb.330:
	s_clause 0x1
	buffer_load_dword v2, off, s[0:3], 0 offset:24
	buffer_load_dword v3, off, s[0:3], 0 offset:28
	buffer_store_dword v1, off, s[0:3], 0 offset:24
	buffer_store_dword v1, off, s[0:3], 0 offset:28
	s_waitcnt vmcnt(0)
	ds_write_b64 v117, v[2:3]
.LBB117_331:
	s_or_b32 exec_lo, exec_lo, s4
	s_waitcnt lgkmcnt(0)
	s_waitcnt_vscnt null, 0x0
	s_barrier
	buffer_gl0_inv
	s_clause 0x2c
	buffer_load_dword v148, off, s[0:3], 0 offset:36
	buffer_load_dword v149, off, s[0:3], 0 offset:44
	;; [unrolled: 1-line block ×45, first 2 shown]
	ds_read_b128 v[157:160], v1 offset:464
	ds_read_b128 v[161:164], v1 offset:480
	s_mov_b32 s4, exec_lo
	s_waitcnt vmcnt(44) lgkmcnt(1)
	v_mul_f32_e32 v150, v157, v148
	v_mul_f32_e32 v165, v158, v148
	s_waitcnt vmcnt(43)
	v_mul_f32_e32 v148, v159, v149
	v_mul_f32_e32 v166, v160, v149
	buffer_load_dword v149, off, s[0:3], 0 offset:28
	s_waitcnt vmcnt(41)
	v_fmac_f32_e32 v150, v158, v119
	v_fma_f32 v165, v157, v119, -v165
	v_fmac_f32_e32 v148, v160, v7
	v_fma_f32 v166, v159, v7, -v166
	ds_read_b128 v[157:160], v1 offset:496
	s_waitcnt vmcnt(40) lgkmcnt(1)
	v_mul_f32_e32 v167, v161, v4
	s_waitcnt vmcnt(39)
	v_mul_f32_e32 v168, v163, v5
	v_mul_f32_e32 v4, v162, v4
	;; [unrolled: 1-line block ×3, first 2 shown]
	v_fmac_f32_e32 v167, v162, v2
	s_waitcnt vmcnt(35)
	v_fmac_f32_e32 v168, v164, v122
	v_fma_f32 v169, v161, v2, -v4
	v_fma_f32 v122, v163, v122, -v5
	ds_read_b128 v[161:164], v1 offset:512
	s_waitcnt vmcnt(34) lgkmcnt(1)
	v_mul_f32_e32 v170, v157, v121
	s_waitcnt vmcnt(33)
	v_mul_f32_e32 v171, v159, v120
	v_mul_f32_e32 v4, v160, v120
	;; [unrolled: 1-line block ×3, first 2 shown]
	v_fmac_f32_e32 v170, v158, v118
	v_fmac_f32_e32 v171, v160, v6
	v_fma_f32 v158, v159, v6, -v4
	ds_read_b128 v[4:7], v1 offset:528
	v_fma_f32 v157, v157, v118, -v2
	s_waitcnt vmcnt(32) lgkmcnt(1)
	v_mul_f32_e32 v159, v161, v8
	v_mul_f32_e32 v2, v162, v8
	s_waitcnt vmcnt(31)
	v_mul_f32_e32 v8, v163, v123
	v_mul_f32_e32 v118, v164, v123
	v_fmac_f32_e32 v159, v162, v3
	v_fma_f32 v123, v161, v3, -v2
	s_waitcnt vmcnt(27)
	v_fmac_f32_e32 v8, v164, v131
	v_fma_f32 v131, v163, v131, -v118
	ds_read_b128 v[118:121], v1 offset:544
	buffer_load_dword v161, off, s[0:3], 0 offset:220
	s_waitcnt vmcnt(27) lgkmcnt(1)
	v_mul_f32_e32 v160, v4, v129
	v_mul_f32_e32 v2, v5, v129
	s_waitcnt vmcnt(26)
	v_mul_f32_e32 v3, v7, v128
	v_mul_f32_e32 v129, v6, v128
	v_fmac_f32_e32 v160, v5, v127
	v_fma_f32 v127, v4, v127, -v2
	v_fma_f32 v6, v6, v125, -v3
	ds_read_b128 v[2:5], v1 offset:560
	v_fmac_f32_e32 v129, v7, v125
	s_waitcnt vmcnt(25) lgkmcnt(1)
	v_mul_f32_e32 v7, v118, v126
	v_mul_f32_e32 v125, v119, v126
	s_waitcnt vmcnt(24)
	v_mul_f32_e32 v126, v120, v130
	v_mul_f32_e32 v128, v121, v130
	v_fmac_f32_e32 v7, v119, v124
	v_fma_f32 v124, v118, v124, -v125
	s_waitcnt vmcnt(20)
	v_fmac_f32_e32 v126, v121, v139
	v_fma_f32 v125, v120, v139, -v128
	ds_read_b128 v[118:121], v1 offset:576
	s_waitcnt vmcnt(19) lgkmcnt(1)
	v_mul_f32_e32 v128, v2, v137
	v_mul_f32_e32 v130, v3, v137
	s_waitcnt vmcnt(18)
	v_mul_f32_e32 v137, v4, v136
	v_mul_f32_e32 v136, v5, v136
	v_fmac_f32_e32 v128, v3, v135
	v_fma_f32 v130, v2, v135, -v130
	v_fmac_f32_e32 v137, v5, v133
	v_fma_f32 v133, v4, v133, -v136
	ds_read_b128 v[2:5], v1 offset:592
	s_waitcnt vmcnt(17) lgkmcnt(1)
	v_mul_f32_e32 v135, v118, v134
	v_mul_f32_e32 v134, v119, v134
	s_waitcnt vmcnt(16)
	v_mul_f32_e32 v136, v120, v138
	v_mul_f32_e32 v138, v121, v138
	v_fmac_f32_e32 v135, v119, v132
	v_fma_f32 v132, v118, v132, -v134
	s_waitcnt vmcnt(12)
	v_fmac_f32_e32 v136, v121, v147
	v_fma_f32 v134, v120, v147, -v138
	ds_read_b128 v[118:121], v1 offset:608
	buffer_load_dword v147, off, s[0:3], 0 offset:212
	s_waitcnt vmcnt(12) lgkmcnt(1)
	v_mul_f32_e32 v138, v2, v145
	v_mul_f32_e32 v139, v3, v145
	s_waitcnt vmcnt(11)
	v_mul_f32_e32 v145, v4, v144
	v_mul_f32_e32 v144, v5, v144
	v_fmac_f32_e32 v138, v3, v143
	v_fma_f32 v139, v2, v143, -v139
	v_fmac_f32_e32 v145, v5, v141
	v_fma_f32 v141, v4, v141, -v144
	ds_read_b128 v[2:5], v1 offset:624
	s_waitcnt vmcnt(10) lgkmcnt(1)
	v_mul_f32_e32 v143, v118, v142
	v_mul_f32_e32 v142, v119, v142
	s_waitcnt vmcnt(9)
	v_mul_f32_e32 v144, v120, v146
	v_mul_f32_e32 v146, v121, v146
	v_fmac_f32_e32 v143, v119, v140
	v_fma_f32 v140, v118, v140, -v142
	s_waitcnt vmcnt(5)
	v_fmac_f32_e32 v144, v121, v156
	v_fma_f32 v142, v120, v156, -v146
	ds_read_b128 v[118:121], v1 offset:640
	s_waitcnt vmcnt(4) lgkmcnt(1)
	v_mul_f32_e32 v146, v2, v155
	v_mul_f32_e32 v155, v3, v155
	s_waitcnt vmcnt(3)
	v_mul_f32_e32 v156, v4, v154
	v_mul_f32_e32 v154, v5, v154
	v_fmac_f32_e32 v146, v3, v153
	v_fma_f32 v153, v2, v153, -v155
	v_fmac_f32_e32 v156, v5, v152
	v_fma_f32 v152, v4, v152, -v154
	s_clause 0x4
	buffer_load_dword v154, off, s[0:3], 0 offset:240
	buffer_load_dword v155, off, s[0:3], 0 offset:232
	;; [unrolled: 1-line block ×5, first 2 shown]
	s_waitcnt vmcnt(5) lgkmcnt(0)
	v_mul_f32_e32 v164, v118, v147
	v_mul_f32_e32 v3, v119, v147
	v_fmac_f32_e32 v164, v119, v151
	v_fma_f32 v147, v118, v151, -v3
	v_mul_f32_e32 v151, v120, v161
	v_mul_f32_e32 v3, v121, v161
	s_waitcnt vmcnt(1)
	v_fmac_f32_e32 v151, v121, v2
	v_fma_f32 v161, v120, v2, -v3
	ds_read_b128 v[2:5], v1 offset:656
	ds_read_b128 v[118:121], v1 offset:672
	s_waitcnt vmcnt(0) lgkmcnt(1)
	v_mul_f32_e32 v172, v2, v163
	v_mul_f32_e32 v163, v3, v163
	v_fmac_f32_e32 v172, v3, v162
	v_fma_f32 v162, v2, v162, -v163
	buffer_load_dword v2, off, s[0:3], 0 offset:236
	v_add_f32_e32 v3, 0, v165
	v_add_f32_e32 v3, v3, v166
	v_add_f32_e32 v3, v3, v169
	v_add_f32_e32 v3, v3, v122
	v_add_f32_e32 v3, v3, v157
	v_add_f32_e32 v3, v3, v158
	v_add_f32_e32 v3, v3, v123
	v_add_f32_e32 v3, v3, v131
	v_add_f32_e32 v3, v3, v127
	v_add_f32_e32 v3, v3, v6
	v_add_f32_e32 v3, v3, v124
	s_waitcnt vmcnt(0)
	v_mul_f32_e32 v163, v4, v2
	v_mul_f32_e32 v2, v5, v2
	v_fmac_f32_e32 v163, v5, v155
	v_fma_f32 v155, v4, v155, -v2
	s_clause 0x1
	buffer_load_dword v4, off, s[0:3], 0 offset:244
	buffer_load_dword v5, off, s[0:3], 0 offset:252
	v_add_f32_e32 v2, 0, v150
	v_add_f32_e32 v2, v2, v148
	s_clause 0x6
	buffer_load_dword v122, off, s[0:3], 0 offset:272
	buffer_load_dword v148, off, s[0:3], 0 offset:264
	buffer_load_dword v150, off, s[0:3], 0 offset:256
	buffer_load_dword v165, off, s[0:3], 0 offset:248
	buffer_load_dword v166, off, s[0:3], 0 offset:260
	buffer_load_dword v157, off, s[0:3], 0 offset:268
	buffer_load_dword v123, off, s[0:3], 0 offset:284
	v_add_f32_e32 v2, v2, v167
	buffer_load_dword v167, off, s[0:3], 0 offset:276
	v_add_f32_e32 v2, v2, v168
	v_add_f32_e32 v2, v2, v170
	;; [unrolled: 1-line block ×5, first 2 shown]
	s_clause 0x3
	buffer_load_dword v8, off, s[0:3], 0 offset:304
	buffer_load_dword v131, off, s[0:3], 0 offset:296
	buffer_load_dword v158, off, s[0:3], 0 offset:288
	buffer_load_dword v159, off, s[0:3], 0 offset:280
	v_add_f32_e32 v2, v2, v160
	buffer_load_dword v160, off, s[0:3], 0 offset:292
	v_add_f32_e32 v2, v2, v129
	s_clause 0x1
	buffer_load_dword v127, off, s[0:3], 0 offset:300
	buffer_load_dword v129, off, s[0:3], 0 offset:308
	v_add_f32_e32 v2, v2, v7
	s_waitcnt vmcnt(16) lgkmcnt(0)
	v_mul_f32_e32 v6, v118, v4
	v_mul_f32_e32 v4, v119, v4
	s_waitcnt vmcnt(15)
	v_mul_f32_e32 v7, v120, v5
	v_mul_f32_e32 v124, v121, v5
	v_fmac_f32_e32 v6, v119, v154
	v_fma_f32 v154, v118, v154, -v4
	v_add_f32_e32 v118, v2, v126
	v_add_f32_e32 v119, v3, v125
	ds_read_b128 v[2:5], v1 offset:688
	s_waitcnt vmcnt(11)
	v_fmac_f32_e32 v7, v121, v165
	v_fma_f32 v124, v120, v165, -v124
	v_add_f32_e32 v118, v118, v128
	v_add_f32_e32 v119, v119, v130
	s_clause 0x4
	buffer_load_dword v126, off, s[0:3], 0 offset:316
	buffer_load_dword v165, off, s[0:3], 0 offset:336
	buffer_load_dword v130, off, s[0:3], 0 offset:328
	buffer_load_dword v168, off, s[0:3], 0 offset:320
	buffer_load_dword v128, off, s[0:3], 0 offset:312
	v_add_f32_e32 v118, v118, v137
	v_add_f32_e32 v119, v119, v133
	;; [unrolled: 1-line block ×4, first 2 shown]
	s_clause 0x2
	buffer_load_dword v132, off, s[0:3], 0 offset:324
	buffer_load_dword v133, off, s[0:3], 0 offset:332
	;; [unrolled: 1-line block ×3, first 2 shown]
	v_add_f32_e32 v125, v118, v136
	v_add_f32_e32 v134, v119, v134
	ds_read_b128 v[118:121], v1 offset:704
	s_waitcnt vmcnt(18) lgkmcnt(1)
	v_mul_f32_e32 v136, v2, v166
	v_mul_f32_e32 v137, v3, v166
	v_add_f32_e32 v125, v125, v138
	v_add_f32_e32 v134, v134, v139
	s_waitcnt vmcnt(17)
	v_mul_f32_e32 v138, v4, v157
	v_fmac_f32_e32 v136, v3, v150
	v_mul_f32_e32 v139, v5, v157
	v_add_f32_e32 v3, v125, v145
	v_add_f32_e32 v125, v134, v141
	v_fma_f32 v134, v2, v150, -v137
	v_fmac_f32_e32 v138, v5, v148
	v_fma_f32 v137, v4, v148, -v139
	v_add_f32_e32 v2, v3, v143
	v_add_f32_e32 v3, v125, v140
	s_clause 0x7
	buffer_load_dword v139, off, s[0:3], 0 offset:348
	buffer_load_dword v140, off, s[0:3], 0 offset:356
	;; [unrolled: 1-line block ×8, first 2 shown]
	v_add_f32_e32 v2, v2, v144
	v_add_f32_e32 v3, v3, v142
	s_waitcnt vmcnt(23) lgkmcnt(0)
	v_mul_f32_e32 v166, v118, v167
	v_mul_f32_e32 v4, v119, v167
	s_clause 0x3
	buffer_load_dword v142, off, s[0:3], 0 offset:380
	buffer_load_dword v144, off, s[0:3], 0 offset:388
	;; [unrolled: 1-line block ×4, first 2 shown]
	v_add_f32_e32 v2, v2, v146
	s_clause 0x1
	buffer_load_dword v146, off, s[0:3], 0 offset:412
	buffer_load_dword v171, off, s[0:3], 0 offset:420
	v_fmac_f32_e32 v166, v119, v122
	v_fma_f32 v170, v118, v122, -v4
	v_add_f32_e32 v118, v3, v153
	v_mul_f32_e32 v153, v120, v123
	v_mul_f32_e32 v3, v121, v123
	v_add_f32_e32 v119, v2, v156
	buffer_load_dword v156, off, s[0:3], 0 offset:428
	v_add_f32_e32 v118, v118, v152
	s_waitcnt vmcnt(26)
	v_fmac_f32_e32 v153, v121, v159
	v_fma_f32 v159, v120, v159, -v3
	ds_read_b128 v[2:5], v1 offset:720
	v_add_f32_e32 v119, v119, v164
	v_add_f32_e32 v118, v118, v147
	;; [unrolled: 1-line block ×3, first 2 shown]
	s_clause 0x3
	buffer_load_dword v147, off, s[0:3], 0 offset:400
	buffer_load_dword v151, off, s[0:3], 0 offset:392
	;; [unrolled: 1-line block ×4, first 2 shown]
	v_add_f32_e32 v118, v118, v161
	v_add_f32_e32 v122, v119, v172
	;; [unrolled: 1-line block ×3, first 2 shown]
	ds_read_b128 v[118:121], v1 offset:736
	v_add_f32_e32 v122, v122, v163
	s_waitcnt vmcnt(29) lgkmcnt(1)
	v_mul_f32_e32 v161, v2, v160
	v_mul_f32_e32 v125, v3, v160
	v_fmac_f32_e32 v161, v3, v158
	v_fma_f32 v158, v2, v158, -v125
	v_add_f32_e32 v2, v123, v155
	v_add_f32_e32 v3, v122, v6
	s_clause 0x2
	buffer_load_dword v6, off, s[0:3], 0 offset:424
	buffer_load_dword v155, off, s[0:3], 0 offset:416
	;; [unrolled: 1-line block ×3, first 2 shown]
	s_waitcnt vmcnt(31)
	v_mul_f32_e32 v122, v5, v127
	v_add_f32_e32 v2, v2, v154
	buffer_load_dword v154, off, s[0:3], 0 offset:24
	v_add_f32_e32 v3, v3, v7
	v_mul_f32_e32 v7, v4, v127
	v_fma_f32 v162, v4, v131, -v122
	v_add_f32_e32 v123, v2, v124
	v_add_f32_e32 v127, v3, v136
	v_fmac_f32_e32 v7, v5, v131
	ds_read_b128 v[2:5], v1 offset:752
	v_add_f32_e32 v131, v123, v134
	ds_read_b128 v[122:125], v1 offset:768
	v_add_f32_e32 v127, v127, v138
	s_waitcnt vmcnt(31) lgkmcnt(2)
	v_mul_f32_e32 v134, v118, v129
	v_mul_f32_e32 v129, v119, v129
	v_add_f32_e32 v131, v131, v137
	v_add_f32_e32 v136, v127, v166
	v_fmac_f32_e32 v134, v119, v8
	v_fma_f32 v8, v118, v8, -v129
	v_add_f32_e32 v131, v131, v170
	v_add_f32_e32 v136, v136, v153
	;; [unrolled: 1-line block ×8, first 2 shown]
	s_waitcnt vmcnt(30)
	v_mul_f32_e32 v138, v120, v126
	v_mul_f32_e32 v126, v121, v126
	s_waitcnt vmcnt(26)
	v_fmac_f32_e32 v138, v121, v128
	v_fma_f32 v163, v120, v128, -v126
	ds_read_b128 v[118:121], v1 offset:784
	ds_read_b128 v[126:129], v1 offset:800
	v_add_f32_e32 v7, v7, v138
	s_waitcnt vmcnt(25) lgkmcnt(3)
	v_mul_f32_e32 v153, v2, v132
	s_waitcnt vmcnt(24)
	v_mul_f32_e32 v159, v4, v133
	v_mul_f32_e32 v132, v3, v132
	;; [unrolled: 1-line block ×3, first 2 shown]
	s_waitcnt vmcnt(23) lgkmcnt(2)
	v_mul_f32_e32 v161, v122, v135
	v_mul_f32_e32 v135, v123, v135
	v_fmac_f32_e32 v153, v3, v168
	v_fmac_f32_e32 v159, v5, v130
	v_fma_f32 v166, v2, v168, -v132
	v_fma_f32 v158, v4, v130, -v133
	ds_read_b128 v[2:5], v1 offset:816
	ds_read_b128 v[130:133], v1 offset:832
	v_fma_f32 v122, v122, v165, -v135
	ds_read_b128 v[134:137], v1 offset:848
	v_add_f32_e32 v1, v162, v8
	v_add_f32_e32 v7, v7, v153
	v_fmac_f32_e32 v161, v123, v165
	s_waitcnt vmcnt(22)
	v_mul_f32_e32 v123, v125, v139
	v_mul_f32_e32 v8, v124, v139
	v_add_f32_e32 v1, v1, v163
	v_add_f32_e32 v7, v7, v159
	s_waitcnt vmcnt(21) lgkmcnt(4)
	v_mul_f32_e32 v138, v118, v140
	v_mul_f32_e32 v140, v119, v140
	s_waitcnt vmcnt(15)
	v_fma_f32 v123, v124, v157, -v123
	v_add_f32_e32 v1, v1, v166
	v_fmac_f32_e32 v8, v125, v157
	v_add_f32_e32 v7, v7, v161
	v_mul_f32_e32 v139, v120, v141
	v_mul_f32_e32 v141, v121, v141
	v_add_f32_e32 v1, v1, v158
	v_fma_f32 v118, v118, v150, -v140
	v_fmac_f32_e32 v138, v119, v150
	v_add_f32_e32 v7, v7, v8
	s_waitcnt lgkmcnt(3)
	v_mul_f32_e32 v8, v127, v143
	v_add_f32_e32 v1, v1, v122
	v_fma_f32 v119, v120, v148, -v141
	v_mul_f32_e32 v124, v126, v143
	v_fmac_f32_e32 v139, v121, v148
	v_add_f32_e32 v7, v7, v138
	v_add_f32_e32 v1, v1, v123
	v_fma_f32 v8, v126, v145, -v8
	s_waitcnt vmcnt(14)
	v_mul_f32_e32 v125, v128, v142
	v_fmac_f32_e32 v124, v127, v145
	v_add_f32_e32 v7, v7, v139
	v_add_f32_e32 v1, v1, v118
	v_mul_f32_e32 v118, v129, v142
	s_waitcnt vmcnt(13) lgkmcnt(2)
	v_mul_f32_e32 v153, v2, v144
	s_waitcnt vmcnt(12)
	v_mul_f32_e32 v157, v4, v167
	v_add_f32_e32 v7, v7, v124
	v_add_f32_e32 v1, v1, v119
	v_mul_f32_e32 v119, v3, v144
	s_waitcnt vmcnt(4)
	v_fma_f32 v118, v128, v164, -v118
	v_fmac_f32_e32 v125, v129, v164
	v_fmac_f32_e32 v153, v3, v152
	v_add_f32_e32 v1, v1, v8
	v_mul_f32_e32 v8, v5, v167
	v_fma_f32 v2, v2, v152, -v119
	v_add_f32_e32 v3, v7, v125
	s_waitcnt lgkmcnt(1)
	v_mul_f32_e32 v7, v131, v169
	v_add_f32_e32 v1, v1, v118
	v_fma_f32 v4, v4, v151, -v8
	v_mul_f32_e32 v162, v130, v169
	v_fmac_f32_e32 v157, v5, v151
	v_fma_f32 v5, v130, v147, -v7
	v_add_f32_e32 v1, v1, v2
	v_add_f32_e32 v2, v3, v153
	v_mul_f32_e32 v3, v133, v146
	v_mul_f32_e32 v158, v132, v146
	v_fmac_f32_e32 v162, v131, v147
	v_add_f32_e32 v1, v1, v4
	v_add_f32_e32 v2, v2, v157
	s_waitcnt lgkmcnt(0)
	v_mul_f32_e32 v4, v135, v171
	s_waitcnt vmcnt(1)
	v_fma_f32 v3, v132, v160, -v3
	v_mul_f32_e32 v159, v134, v171
	v_add_f32_e32 v1, v1, v5
	v_fmac_f32_e32 v158, v133, v160
	v_add_f32_e32 v2, v2, v162
	v_mul_f32_e32 v5, v137, v156
	v_fma_f32 v4, v134, v155, -v4
	v_add_f32_e32 v1, v1, v3
	v_mul_f32_e32 v122, v136, v156
	v_fmac_f32_e32 v159, v135, v155
	v_add_f32_e32 v2, v2, v158
	v_fma_f32 v3, v136, v6, -v5
	v_add_f32_e32 v1, v1, v4
	v_fmac_f32_e32 v122, v137, v6
	v_add_f32_e32 v2, v2, v159
	v_add_f32_e32 v1, v1, v3
	;; [unrolled: 1-line block ×3, first 2 shown]
	s_waitcnt vmcnt(0)
	v_sub_f32_e32 v1, v154, v1
	v_sub_f32_e32 v2, v149, v2
	buffer_store_dword v1, off, s[0:3], 0 offset:24
	buffer_store_dword v2, off, s[0:3], 0 offset:28
	v_cmpx_lt_u32_e32 2, v0
	s_cbranch_execz .LBB117_333
; %bb.332:
	s_clause 0x1
	buffer_load_dword v1, off, s[0:3], 0 offset:16
	buffer_load_dword v2, off, s[0:3], 0 offset:20
	v_mov_b32_e32 v3, 0
	buffer_store_dword v3, off, s[0:3], 0 offset:16
	buffer_store_dword v3, off, s[0:3], 0 offset:20
	s_waitcnt vmcnt(0)
	ds_write_b64 v117, v[1:2]
.LBB117_333:
	s_or_b32 exec_lo, exec_lo, s4
	s_waitcnt lgkmcnt(0)
	s_waitcnt_vscnt null, 0x0
	s_barrier
	buffer_gl0_inv
	s_clause 0x2c
	buffer_load_dword v156, off, s[0:3], 0 offset:28
	buffer_load_dword v157, off, s[0:3], 0 offset:36
	;; [unrolled: 1-line block ×45, first 2 shown]
	v_mov_b32_e32 v118, 0
	ds_read2_b64 v[5:8], v118 offset0:57 offset1:58
	ds_read2_b64 v[1:4], v118 offset0:59 offset1:60
	s_mov_b32 s4, exec_lo
	s_clause 0x1
	buffer_load_dword v167, off, s[0:3], 0 offset:204
	buffer_load_dword v168, off, s[0:3], 0 offset:212
	s_waitcnt vmcnt(46) lgkmcnt(1)
	v_mul_f32_e32 v158, v5, v156
	v_mul_f32_e32 v165, v6, v156
	s_waitcnt vmcnt(45)
	v_mul_f32_e32 v156, v7, v157
	v_mul_f32_e32 v166, v8, v157
	buffer_load_dword v157, off, s[0:3], 0 offset:20
	s_waitcnt vmcnt(43)
	v_fmac_f32_e32 v158, v6, v127
	v_fma_f32 v127, v5, v127, -v165
	v_fmac_f32_e32 v156, v8, v124
	v_fma_f32 v124, v7, v124, -v166
	ds_read2_b64 v[5:8], v118 offset0:61 offset1:62
	s_waitcnt vmcnt(42) lgkmcnt(1)
	v_mul_f32_e32 v165, v1, v121
	s_waitcnt vmcnt(41)
	v_mul_f32_e32 v166, v3, v122
	v_mul_f32_e32 v121, v2, v121
	;; [unrolled: 1-line block ×3, first 2 shown]
	v_fmac_f32_e32 v165, v2, v119
	s_waitcnt vmcnt(37)
	v_fmac_f32_e32 v166, v4, v130
	v_fma_f32 v119, v1, v119, -v121
	v_fma_f32 v121, v3, v130, -v122
	ds_read2_b64 v[1:4], v118 offset0:63 offset1:64
	s_waitcnt vmcnt(36) lgkmcnt(1)
	v_mul_f32_e32 v122, v5, v129
	v_mul_f32_e32 v129, v6, v129
	s_waitcnt vmcnt(35)
	v_mul_f32_e32 v130, v7, v128
	v_mul_f32_e32 v128, v8, v128
	v_fmac_f32_e32 v122, v6, v126
	v_fma_f32 v126, v5, v126, -v129
	v_fmac_f32_e32 v130, v8, v123
	v_fma_f32 v123, v7, v123, -v128
	ds_read2_b64 v[5:8], v118 offset0:65 offset1:66
	s_waitcnt vmcnt(34) lgkmcnt(1)
	v_mul_f32_e32 v128, v1, v125
	v_mul_f32_e32 v125, v2, v125
	s_waitcnt vmcnt(33)
	v_mul_f32_e32 v129, v3, v131
	v_mul_f32_e32 v131, v4, v131
	v_fmac_f32_e32 v128, v2, v120
	v_fma_f32 v120, v1, v120, -v125
	s_waitcnt vmcnt(29)
	v_fmac_f32_e32 v129, v4, v139
	v_fma_f32 v125, v3, v139, -v131
	ds_read2_b64 v[1:4], v118 offset0:67 offset1:68
	s_waitcnt vmcnt(28) lgkmcnt(1)
	v_mul_f32_e32 v131, v5, v137
	v_mul_f32_e32 v137, v6, v137
	s_waitcnt vmcnt(27)
	v_mul_f32_e32 v139, v7, v136
	v_mul_f32_e32 v136, v8, v136
	v_fmac_f32_e32 v131, v6, v135
	v_fma_f32 v135, v5, v135, -v137
	v_fmac_f32_e32 v139, v8, v133
	v_fma_f32 v133, v7, v133, -v136
	ds_read2_b64 v[5:8], v118 offset0:69 offset1:70
	s_waitcnt vmcnt(26) lgkmcnt(1)
	v_mul_f32_e32 v136, v1, v134
	v_mul_f32_e32 v134, v2, v134
	s_waitcnt vmcnt(25)
	v_mul_f32_e32 v137, v3, v138
	v_mul_f32_e32 v138, v4, v138
	v_fmac_f32_e32 v136, v2, v132
	v_fma_f32 v132, v1, v132, -v134
	s_waitcnt vmcnt(21)
	v_fmac_f32_e32 v137, v4, v147
	v_fma_f32 v134, v3, v147, -v138
	ds_read2_b64 v[1:4], v118 offset0:71 offset1:72
	s_waitcnt vmcnt(20) lgkmcnt(1)
	v_mul_f32_e32 v138, v5, v145
	v_mul_f32_e32 v145, v6, v145
	s_waitcnt vmcnt(19)
	v_mul_f32_e32 v147, v7, v144
	v_mul_f32_e32 v144, v8, v144
	v_fmac_f32_e32 v138, v6, v143
	v_fma_f32 v143, v5, v143, -v145
	v_fmac_f32_e32 v147, v8, v141
	v_fma_f32 v141, v7, v141, -v144
	ds_read2_b64 v[5:8], v118 offset0:73 offset1:74
	s_waitcnt vmcnt(18) lgkmcnt(1)
	v_mul_f32_e32 v144, v1, v142
	v_mul_f32_e32 v142, v2, v142
	s_waitcnt vmcnt(17)
	v_mul_f32_e32 v145, v3, v146
	v_mul_f32_e32 v146, v4, v146
	v_fmac_f32_e32 v144, v2, v140
	v_fma_f32 v140, v1, v140, -v142
	s_waitcnt vmcnt(13)
	v_fmac_f32_e32 v145, v4, v154
	v_fma_f32 v142, v3, v154, -v146
	ds_read2_b64 v[1:4], v118 offset0:75 offset1:76
	s_waitcnt vmcnt(12) lgkmcnt(1)
	v_mul_f32_e32 v146, v5, v153
	v_mul_f32_e32 v153, v6, v153
	s_waitcnt vmcnt(11)
	v_mul_f32_e32 v154, v7, v152
	v_mul_f32_e32 v152, v8, v152
	v_fmac_f32_e32 v146, v6, v151
	v_fma_f32 v151, v5, v151, -v153
	v_fmac_f32_e32 v154, v8, v149
	v_fma_f32 v149, v7, v149, -v152
	ds_read2_b64 v[5:8], v118 offset0:77 offset1:78
	s_waitcnt vmcnt(10) lgkmcnt(1)
	v_mul_f32_e32 v152, v1, v150
	v_mul_f32_e32 v150, v2, v150
	s_waitcnt vmcnt(9)
	v_mul_f32_e32 v153, v3, v155
	v_mul_f32_e32 v155, v4, v155
	v_fmac_f32_e32 v152, v2, v148
	v_fma_f32 v148, v1, v148, -v150
	s_waitcnt vmcnt(5)
	v_fmac_f32_e32 v153, v4, v164
	v_fma_f32 v150, v3, v164, -v155
	ds_read2_b64 v[1:4], v118 offset0:79 offset1:80
	s_waitcnt vmcnt(4) lgkmcnt(1)
	v_mul_f32_e32 v155, v5, v163
	v_mul_f32_e32 v163, v6, v163
	s_waitcnt vmcnt(3)
	v_mul_f32_e32 v164, v7, v162
	v_mul_f32_e32 v162, v8, v162
	v_fmac_f32_e32 v155, v6, v161
	v_fma_f32 v161, v5, v161, -v163
	v_fmac_f32_e32 v164, v8, v160
	v_fma_f32 v160, v7, v160, -v162
	s_clause 0x4
	buffer_load_dword v162, off, s[0:3], 0 offset:232
	buffer_load_dword v163, off, s[0:3], 0 offset:224
	;; [unrolled: 1-line block ×5, first 2 shown]
	s_waitcnt vmcnt(7) lgkmcnt(0)
	v_mul_f32_e32 v171, v1, v167
	v_mul_f32_e32 v6, v2, v167
	s_waitcnt vmcnt(6)
	v_mul_f32_e32 v167, v3, v168
	v_fmac_f32_e32 v171, v2, v159
	v_fma_f32 v159, v1, v159, -v6
	v_mul_f32_e32 v1, v4, v168
	s_waitcnt vmcnt(1)
	v_fmac_f32_e32 v167, v4, v5
	v_fma_f32 v168, v3, v5, -v1
	ds_read2_b64 v[1:4], v118 offset0:81 offset1:82
	ds_read2_b64 v[5:8], v118 offset0:83 offset1:84
	s_waitcnt vmcnt(0) lgkmcnt(1)
	v_mul_f32_e32 v172, v1, v170
	v_mul_f32_e32 v170, v2, v170
	v_fmac_f32_e32 v172, v2, v169
	v_fma_f32 v169, v1, v169, -v170
	buffer_load_dword v1, off, s[0:3], 0 offset:228
	s_waitcnt vmcnt(0)
	v_mul_f32_e32 v170, v3, v1
	v_mul_f32_e32 v1, v4, v1
	v_fmac_f32_e32 v170, v4, v163
	v_fma_f32 v163, v3, v163, -v1
	buffer_load_dword v1, off, s[0:3], 0 offset:236
	s_waitcnt vmcnt(0) lgkmcnt(0)
	v_mul_f32_e32 v173, v5, v1
	v_mul_f32_e32 v1, v6, v1
	v_fmac_f32_e32 v173, v6, v162
	v_fma_f32 v162, v5, v162, -v1
	s_clause 0x5
	buffer_load_dword v1, off, s[0:3], 0 offset:244
	buffer_load_dword v174, off, s[0:3], 0 offset:264
	;; [unrolled: 1-line block ×6, first 2 shown]
	s_waitcnt vmcnt(5)
	v_mul_f32_e32 v177, v7, v1
	v_mul_f32_e32 v1, v8, v1
	s_waitcnt vmcnt(1)
	v_fmac_f32_e32 v177, v8, v2
	v_fma_f32 v178, v7, v2, -v1
	ds_read2_b64 v[1:4], v118 offset0:85 offset1:86
	ds_read2_b64 v[5:8], v118 offset0:87 offset1:88
	s_waitcnt vmcnt(0) lgkmcnt(1)
	v_mul_f32_e32 v180, v1, v179
	v_mul_f32_e32 v179, v2, v179
	v_fmac_f32_e32 v180, v2, v176
	v_fma_f32 v176, v1, v176, -v179
	buffer_load_dword v1, off, s[0:3], 0 offset:260
	s_waitcnt vmcnt(0)
	v_mul_f32_e32 v179, v3, v1
	v_mul_f32_e32 v1, v4, v1
	v_fmac_f32_e32 v179, v4, v175
	v_fma_f32 v175, v3, v175, -v1
	buffer_load_dword v1, off, s[0:3], 0 offset:268
	s_waitcnt vmcnt(0) lgkmcnt(0)
	v_mul_f32_e32 v181, v5, v1
	v_mul_f32_e32 v1, v6, v1
	v_fmac_f32_e32 v181, v6, v174
	v_fma_f32 v174, v5, v174, -v1
	s_clause 0x5
	buffer_load_dword v1, off, s[0:3], 0 offset:276
	buffer_load_dword v182, off, s[0:3], 0 offset:296
	;; [unrolled: 1-line block ×6, first 2 shown]
	s_waitcnt vmcnt(5)
	v_mul_f32_e32 v185, v7, v1
	v_mul_f32_e32 v1, v8, v1
	s_waitcnt vmcnt(1)
	v_fmac_f32_e32 v185, v8, v2
	v_fma_f32 v186, v7, v2, -v1
	ds_read2_b64 v[1:4], v118 offset0:89 offset1:90
	ds_read2_b64 v[5:8], v118 offset0:91 offset1:92
	s_waitcnt vmcnt(0) lgkmcnt(1)
	v_mul_f32_e32 v188, v1, v187
	v_mul_f32_e32 v187, v2, v187
	v_fmac_f32_e32 v188, v2, v184
	v_fma_f32 v184, v1, v184, -v187
	buffer_load_dword v1, off, s[0:3], 0 offset:292
	s_waitcnt vmcnt(0)
	v_mul_f32_e32 v187, v3, v1
	v_mul_f32_e32 v1, v4, v1
	v_fmac_f32_e32 v187, v4, v183
	v_fma_f32 v183, v3, v183, -v1
	buffer_load_dword v1, off, s[0:3], 0 offset:300
	s_waitcnt vmcnt(0) lgkmcnt(0)
	v_mul_f32_e32 v189, v5, v1
	v_mul_f32_e32 v1, v6, v1
	v_fmac_f32_e32 v189, v6, v182
	v_fma_f32 v182, v5, v182, -v1
	s_clause 0x4
	buffer_load_dword v1, off, s[0:3], 0 offset:308
	buffer_load_dword v190, off, s[0:3], 0 offset:328
	;; [unrolled: 1-line block ×5, first 2 shown]
	s_waitcnt vmcnt(4)
	v_mul_f32_e32 v193, v7, v1
	v_mul_f32_e32 v1, v8, v1
	s_waitcnt vmcnt(0)
	v_fmac_f32_e32 v193, v8, v2
	v_fma_f32 v194, v7, v2, -v1
	v_add_f32_e32 v2, 0, v127
	v_add_f32_e32 v1, 0, v158
	buffer_load_dword v127, off, s[0:3], 0 offset:332
	v_add_f32_e32 v2, v2, v124
	v_add_f32_e32 v1, v1, v156
	;; [unrolled: 1-line block ×4, first 2 shown]
	buffer_load_dword v119, off, s[0:3], 0 offset:316
	v_add_f32_e32 v2, v2, v121
	v_add_f32_e32 v1, v1, v166
	;; [unrolled: 1-line block ×8, first 2 shown]
	s_clause 0x1
	buffer_load_dword v120, off, s[0:3], 0 offset:324
	buffer_load_dword v128, off, s[0:3], 0 offset:340
	v_add_f32_e32 v2, v2, v125
	v_add_f32_e32 v1, v1, v129
	;; [unrolled: 1-line block ×10, first 2 shown]
	s_clause 0x5
	buffer_load_dword v133, off, s[0:3], 0 offset:360
	buffer_load_dword v134, off, s[0:3], 0 offset:352
	;; [unrolled: 1-line block ×6, first 2 shown]
	v_add_f32_e32 v2, v2, v143
	v_add_f32_e32 v1, v1, v138
	buffer_load_dword v138, off, s[0:3], 0 offset:364
	v_add_f32_e32 v2, v2, v141
	v_add_f32_e32 v1, v1, v147
	;; [unrolled: 1-line block ×6, first 2 shown]
	s_clause 0x5
	buffer_load_dword v139, off, s[0:3], 0 offset:372
	buffer_load_dword v140, off, s[0:3], 0 offset:380
	;; [unrolled: 1-line block ×6, first 2 shown]
	v_add_f32_e32 v2, v2, v151
	v_add_f32_e32 v1, v1, v146
	s_clause 0x1
	buffer_load_dword v145, off, s[0:3], 0 offset:420
	buffer_load_dword v146, off, s[0:3], 0 offset:428
	v_add_f32_e32 v2, v2, v149
	v_add_f32_e32 v1, v1, v154
	;; [unrolled: 1-line block ×5, first 2 shown]
	s_clause 0x3
	buffer_load_dword v147, off, s[0:3], 0 offset:392
	buffer_load_dword v148, off, s[0:3], 0 offset:384
	;; [unrolled: 1-line block ×4, first 2 shown]
	v_add_f32_e32 v1, v1, v153
	s_clause 0x3
	buffer_load_dword v151, off, s[0:3], 0 offset:424
	buffer_load_dword v152, off, s[0:3], 0 offset:416
	;; [unrolled: 1-line block ×4, first 2 shown]
	v_add_f32_e32 v2, v2, v161
	v_add_f32_e32 v1, v1, v155
	buffer_load_dword v155, off, s[0:3], 0 offset:16
	v_add_f32_e32 v2, v2, v160
	v_add_f32_e32 v1, v1, v164
	;; [unrolled: 1-line block ×10, first 2 shown]
	ds_read2_b64 v[1:4], v118 offset0:93 offset1:94
	v_add_f32_e32 v6, v6, v162
	v_add_f32_e32 v5, v5, v173
	;; [unrolled: 1-line block ×5, first 2 shown]
	ds_read2_b64 v[5:8], v118 offset0:95 offset1:96
	v_add_f32_e32 v121, v121, v180
	v_add_f32_e32 v122, v122, v175
	;; [unrolled: 1-line block ×6, first 2 shown]
	s_waitcnt vmcnt(27) lgkmcnt(0)
	v_mul_f32_e32 v161, v5, v127
	v_mul_f32_e32 v127, v6, v127
	v_fmac_f32_e32 v161, v6, v190
	v_fma_f32 v163, v5, v190, -v127
	v_add_f32_e32 v5, v130, v187
	s_waitcnt vmcnt(26)
	v_mul_f32_e32 v156, v1, v119
	v_mul_f32_e32 v119, v2, v119
	v_add_f32_e32 v165, v5, v189
	v_fmac_f32_e32 v156, v2, v192
	v_add_f32_e32 v2, v122, v174
	v_fma_f32 v159, v1, v192, -v119
	v_add_f32_e32 v165, v165, v193
	v_add_f32_e32 v129, v2, v186
	v_add_f32_e32 v156, v165, v156
	v_add_f32_e32 v129, v129, v184
	s_waitcnt vmcnt(25)
	v_mul_f32_e32 v158, v3, v120
	v_mul_f32_e32 v120, v4, v120
	v_add_f32_e32 v129, v129, v183
	s_waitcnt vmcnt(24)
	v_mul_f32_e32 v132, v8, v128
	v_mul_f32_e32 v162, v7, v128
	v_fmac_f32_e32 v158, v4, v191
	v_fma_f32 v160, v3, v191, -v120
	ds_read2_b64 v[1:4], v118 offset0:97 offset1:98
	ds_read2_b64 v[119:122], v118 offset0:99 offset1:100
	v_add_f32_e32 v6, v129, v182
	ds_read2_b64 v[123:126], v118 offset0:101 offset1:102
	ds_read2_b64 v[127:130], v118 offset0:103 offset1:104
	v_add_f32_e32 v156, v156, v158
	v_add_f32_e32 v166, v6, v194
	;; [unrolled: 1-line block ×4, first 2 shown]
	s_waitcnt vmcnt(20)
	v_fma_f32 v164, v7, v131, -v132
	s_waitcnt vmcnt(19) lgkmcnt(3)
	v_mul_f32_e32 v167, v1, v136
	v_mul_f32_e32 v136, v2, v136
	v_add_f32_e32 v159, v159, v163
	v_fmac_f32_e32 v162, v8, v131
	s_waitcnt vmcnt(18)
	v_mul_f32_e32 v168, v3, v137
	v_fmac_f32_e32 v167, v2, v135
	v_fma_f32 v1, v1, v135, -v136
	v_add_f32_e32 v135, v156, v161
	v_mul_f32_e32 v137, v4, v137
	v_add_f32_e32 v156, v159, v164
	s_waitcnt vmcnt(17) lgkmcnt(2)
	v_mul_f32_e32 v165, v119, v138
	v_mul_f32_e32 v138, v120, v138
	v_add_f32_e32 v135, v135, v162
	v_fma_f32 v3, v3, v134, -v137
	v_add_f32_e32 v1, v156, v1
	v_fmac_f32_e32 v168, v4, v134
	s_waitcnt vmcnt(16)
	v_mul_f32_e32 v134, v122, v139
	v_add_f32_e32 v4, v135, v167
	v_fma_f32 v119, v119, v133, -v138
	v_add_f32_e32 v1, v1, v3
	v_mul_f32_e32 v160, v121, v139
	v_fmac_f32_e32 v165, v120, v133
	v_add_f32_e32 v3, v4, v168
	s_waitcnt vmcnt(15) lgkmcnt(1)
	v_mul_f32_e32 v4, v124, v140
	v_add_f32_e32 v1, v1, v119
	ds_read2_b64 v[5:8], v118 offset0:105 offset1:106
	ds_read_b64 v[131:132], v118 offset:856
	v_mul_f32_e32 v166, v123, v140
	v_add_f32_e32 v3, v3, v165
	s_waitcnt vmcnt(14)
	v_mul_f32_e32 v119, v126, v141
	v_mul_f32_e32 v158, v125, v141
	s_waitcnt vmcnt(13) lgkmcnt(2)
	v_mul_f32_e32 v163, v127, v142
	s_waitcnt vmcnt(12)
	v_mul_f32_e32 v2, v129, v143
	s_waitcnt vmcnt(8)
	v_fmac_f32_e32 v163, v128, v147
	s_waitcnt vmcnt(7)
	v_fma_f32 v119, v125, v148, -v119
	s_waitcnt vmcnt(6)
	v_fma_f32 v4, v123, v149, -v4
	;; [unrolled: 2-line block ×3, first 2 shown]
	v_fmac_f32_e32 v160, v122, v150
	v_fmac_f32_e32 v166, v124, v149
	v_fmac_f32_e32 v158, v126, v148
	s_waitcnt vmcnt(1)
	v_fmac_f32_e32 v2, v130, v154
	v_add_f32_e32 v1, v1, v120
	v_add_f32_e32 v3, v3, v160
	v_mul_f32_e32 v120, v128, v142
	s_waitcnt lgkmcnt(1)
	v_mul_f32_e32 v136, v5, v144
	v_mul_f32_e32 v159, v7, v145
	v_add_f32_e32 v1, v1, v4
	v_add_f32_e32 v3, v3, v166
	v_mul_f32_e32 v4, v130, v143
	v_fma_f32 v120, v127, v147, -v120
	v_fmac_f32_e32 v136, v6, v153
	v_add_f32_e32 v1, v1, v119
	v_add_f32_e32 v3, v3, v158
	v_mul_f32_e32 v119, v6, v144
	v_fma_f32 v4, v129, v154, -v4
	s_waitcnt lgkmcnt(0)
	v_mul_f32_e32 v161, v131, v146
	v_add_f32_e32 v1, v1, v120
	v_add_f32_e32 v3, v3, v163
	v_mul_f32_e32 v120, v8, v145
	v_fma_f32 v5, v5, v153, -v119
	v_fmac_f32_e32 v159, v8, v152
	v_add_f32_e32 v1, v1, v4
	v_add_f32_e32 v2, v3, v2
	v_mul_f32_e32 v3, v132, v146
	v_fma_f32 v4, v7, v152, -v120
	v_fmac_f32_e32 v161, v132, v151
	v_add_f32_e32 v1, v1, v5
	v_add_f32_e32 v2, v2, v136
	v_fma_f32 v3, v131, v151, -v3
	v_add_f32_e32 v1, v1, v4
	v_add_f32_e32 v2, v2, v159
	;; [unrolled: 1-line block ×4, first 2 shown]
	s_waitcnt vmcnt(0)
	v_sub_f32_e32 v1, v155, v1
	v_sub_f32_e32 v2, v157, v2
	buffer_store_dword v1, off, s[0:3], 0 offset:16
	buffer_store_dword v2, off, s[0:3], 0 offset:20
	v_cmpx_lt_u32_e32 1, v0
	s_cbranch_execz .LBB117_335
; %bb.334:
	s_clause 0x1
	buffer_load_dword v1, off, s[0:3], 0 offset:8
	buffer_load_dword v2, off, s[0:3], 0 offset:12
	buffer_store_dword v118, off, s[0:3], 0 offset:8
	buffer_store_dword v118, off, s[0:3], 0 offset:12
	s_waitcnt vmcnt(0)
	ds_write_b64 v117, v[1:2]
.LBB117_335:
	s_or_b32 exec_lo, exec_lo, s4
	s_waitcnt lgkmcnt(0)
	s_waitcnt_vscnt null, 0x0
	s_barrier
	buffer_gl0_inv
	s_clause 0x2c
	buffer_load_dword v156, off, s[0:3], 0 offset:20
	buffer_load_dword v157, off, s[0:3], 0 offset:28
	;; [unrolled: 1-line block ×45, first 2 shown]
	ds_read_b128 v[5:8], v118 offset:448
	ds_read_b128 v[1:4], v118 offset:464
	s_mov_b32 s4, exec_lo
	s_clause 0x1
	buffer_load_dword v167, off, s[0:3], 0 offset:196
	buffer_load_dword v168, off, s[0:3], 0 offset:204
	s_waitcnt vmcnt(46) lgkmcnt(1)
	v_mul_f32_e32 v158, v5, v156
	v_mul_f32_e32 v165, v6, v156
	s_waitcnt vmcnt(45)
	v_mul_f32_e32 v156, v7, v157
	v_mul_f32_e32 v166, v8, v157
	buffer_load_dword v157, off, s[0:3], 0 offset:12
	s_waitcnt vmcnt(43)
	v_fmac_f32_e32 v158, v6, v127
	v_fma_f32 v127, v5, v127, -v165
	v_fmac_f32_e32 v156, v8, v124
	v_fma_f32 v124, v7, v124, -v166
	ds_read_b128 v[5:8], v118 offset:480
	s_waitcnt vmcnt(42) lgkmcnt(1)
	v_mul_f32_e32 v165, v1, v121
	s_waitcnt vmcnt(41)
	v_mul_f32_e32 v166, v3, v122
	v_mul_f32_e32 v121, v2, v121
	;; [unrolled: 1-line block ×3, first 2 shown]
	v_fmac_f32_e32 v165, v2, v119
	s_waitcnt vmcnt(37)
	v_fmac_f32_e32 v166, v4, v130
	v_fma_f32 v119, v1, v119, -v121
	v_fma_f32 v121, v3, v130, -v122
	ds_read_b128 v[1:4], v118 offset:496
	s_waitcnt vmcnt(36) lgkmcnt(1)
	v_mul_f32_e32 v122, v5, v129
	v_mul_f32_e32 v129, v6, v129
	s_waitcnt vmcnt(35)
	v_mul_f32_e32 v130, v7, v128
	v_mul_f32_e32 v128, v8, v128
	v_fmac_f32_e32 v122, v6, v126
	v_fma_f32 v126, v5, v126, -v129
	v_fmac_f32_e32 v130, v8, v123
	v_fma_f32 v123, v7, v123, -v128
	ds_read_b128 v[5:8], v118 offset:512
	s_waitcnt vmcnt(34) lgkmcnt(1)
	v_mul_f32_e32 v128, v1, v125
	v_mul_f32_e32 v125, v2, v125
	s_waitcnt vmcnt(33)
	v_mul_f32_e32 v129, v3, v131
	v_mul_f32_e32 v131, v4, v131
	v_fmac_f32_e32 v128, v2, v120
	v_fma_f32 v120, v1, v120, -v125
	s_waitcnt vmcnt(29)
	v_fmac_f32_e32 v129, v4, v139
	v_fma_f32 v125, v3, v139, -v131
	ds_read_b128 v[1:4], v118 offset:528
	s_waitcnt vmcnt(28) lgkmcnt(1)
	v_mul_f32_e32 v131, v5, v137
	v_mul_f32_e32 v137, v6, v137
	s_waitcnt vmcnt(27)
	v_mul_f32_e32 v139, v7, v136
	v_mul_f32_e32 v136, v8, v136
	v_fmac_f32_e32 v131, v6, v135
	v_fma_f32 v135, v5, v135, -v137
	v_fmac_f32_e32 v139, v8, v133
	v_fma_f32 v133, v7, v133, -v136
	ds_read_b128 v[5:8], v118 offset:544
	s_waitcnt vmcnt(26) lgkmcnt(1)
	v_mul_f32_e32 v136, v1, v134
	v_mul_f32_e32 v134, v2, v134
	s_waitcnt vmcnt(25)
	v_mul_f32_e32 v137, v3, v138
	v_mul_f32_e32 v138, v4, v138
	v_fmac_f32_e32 v136, v2, v132
	v_fma_f32 v132, v1, v132, -v134
	s_waitcnt vmcnt(21)
	v_fmac_f32_e32 v137, v4, v147
	;; [unrolled: 23-line block ×4, first 2 shown]
	v_fma_f32 v150, v3, v164, -v154
	ds_read_b128 v[1:4], v118 offset:624
	s_waitcnt vmcnt(4) lgkmcnt(1)
	v_mul_f32_e32 v154, v5, v163
	v_mul_f32_e32 v163, v6, v163
	s_waitcnt vmcnt(3)
	v_mul_f32_e32 v164, v7, v162
	v_mul_f32_e32 v162, v8, v162
	v_fmac_f32_e32 v154, v6, v161
	v_fma_f32 v161, v5, v161, -v163
	v_fmac_f32_e32 v164, v8, v160
	v_fma_f32 v160, v7, v160, -v162
	s_clause 0x4
	buffer_load_dword v162, off, s[0:3], 0 offset:224
	buffer_load_dword v163, off, s[0:3], 0 offset:216
	;; [unrolled: 1-line block ×5, first 2 shown]
	s_waitcnt vmcnt(7) lgkmcnt(0)
	v_mul_f32_e32 v171, v1, v167
	v_mul_f32_e32 v6, v2, v167
	s_waitcnt vmcnt(6)
	v_mul_f32_e32 v167, v3, v168
	v_fmac_f32_e32 v171, v2, v159
	v_fma_f32 v159, v1, v159, -v6
	v_mul_f32_e32 v1, v4, v168
	s_waitcnt vmcnt(1)
	v_fmac_f32_e32 v167, v4, v5
	v_fma_f32 v168, v3, v5, -v1
	ds_read_b128 v[1:4], v118 offset:640
	ds_read_b128 v[5:8], v118 offset:656
	s_waitcnt vmcnt(0) lgkmcnt(1)
	v_mul_f32_e32 v172, v1, v170
	v_mul_f32_e32 v170, v2, v170
	v_fmac_f32_e32 v172, v2, v169
	v_fma_f32 v169, v1, v169, -v170
	buffer_load_dword v1, off, s[0:3], 0 offset:220
	s_waitcnt vmcnt(0)
	v_mul_f32_e32 v170, v3, v1
	v_mul_f32_e32 v1, v4, v1
	v_fmac_f32_e32 v170, v4, v163
	v_fma_f32 v163, v3, v163, -v1
	buffer_load_dword v1, off, s[0:3], 0 offset:228
	s_waitcnt vmcnt(0) lgkmcnt(0)
	v_mul_f32_e32 v173, v5, v1
	v_mul_f32_e32 v1, v6, v1
	v_fmac_f32_e32 v173, v6, v162
	v_fma_f32 v162, v5, v162, -v1
	s_clause 0x5
	buffer_load_dword v1, off, s[0:3], 0 offset:236
	buffer_load_dword v174, off, s[0:3], 0 offset:256
	buffer_load_dword v175, off, s[0:3], 0 offset:248
	buffer_load_dword v176, off, s[0:3], 0 offset:240
	buffer_load_dword v2, off, s[0:3], 0 offset:232
	buffer_load_dword v179, off, s[0:3], 0 offset:244
	s_waitcnt vmcnt(5)
	v_mul_f32_e32 v177, v7, v1
	v_mul_f32_e32 v1, v8, v1
	s_waitcnt vmcnt(1)
	v_fmac_f32_e32 v177, v8, v2
	v_fma_f32 v178, v7, v2, -v1
	ds_read_b128 v[1:4], v118 offset:672
	ds_read_b128 v[5:8], v118 offset:688
	s_waitcnt vmcnt(0) lgkmcnt(1)
	v_mul_f32_e32 v180, v1, v179
	v_mul_f32_e32 v179, v2, v179
	v_fmac_f32_e32 v180, v2, v176
	v_fma_f32 v176, v1, v176, -v179
	buffer_load_dword v1, off, s[0:3], 0 offset:252
	s_waitcnt vmcnt(0)
	v_mul_f32_e32 v179, v3, v1
	v_mul_f32_e32 v1, v4, v1
	v_fmac_f32_e32 v179, v4, v175
	v_fma_f32 v175, v3, v175, -v1
	buffer_load_dword v1, off, s[0:3], 0 offset:260
	s_waitcnt vmcnt(0) lgkmcnt(0)
	v_mul_f32_e32 v181, v5, v1
	v_mul_f32_e32 v1, v6, v1
	v_fmac_f32_e32 v181, v6, v174
	v_fma_f32 v174, v5, v174, -v1
	s_clause 0x5
	buffer_load_dword v1, off, s[0:3], 0 offset:268
	buffer_load_dword v182, off, s[0:3], 0 offset:288
	;; [unrolled: 1-line block ×6, first 2 shown]
	s_waitcnt vmcnt(5)
	v_mul_f32_e32 v185, v7, v1
	v_mul_f32_e32 v1, v8, v1
	s_waitcnt vmcnt(1)
	v_fmac_f32_e32 v185, v8, v2
	v_fma_f32 v186, v7, v2, -v1
	ds_read_b128 v[1:4], v118 offset:704
	ds_read_b128 v[5:8], v118 offset:720
	s_waitcnt vmcnt(0) lgkmcnt(1)
	v_mul_f32_e32 v188, v1, v187
	v_mul_f32_e32 v187, v2, v187
	v_fmac_f32_e32 v188, v2, v184
	v_fma_f32 v184, v1, v184, -v187
	buffer_load_dword v1, off, s[0:3], 0 offset:284
	v_add_f32_e32 v2, 0, v127
	v_add_f32_e32 v2, v2, v124
	;; [unrolled: 1-line block ×26, first 2 shown]
	s_waitcnt vmcnt(0)
	v_mul_f32_e32 v187, v3, v1
	v_mul_f32_e32 v1, v4, v1
	v_fmac_f32_e32 v187, v4, v183
	v_fma_f32 v183, v3, v183, -v1
	s_clause 0x1
	buffer_load_dword v3, off, s[0:3], 0 offset:292
	buffer_load_dword v4, off, s[0:3], 0 offset:300
	v_add_f32_e32 v1, 0, v158
	s_clause 0x6
	buffer_load_dword v123, off, s[0:3], 0 offset:320
	buffer_load_dword v119, off, s[0:3], 0 offset:312
	;; [unrolled: 1-line block ×7, first 2 shown]
	v_add_f32_e32 v1, v1, v156
	v_add_f32_e32 v1, v1, v165
	;; [unrolled: 1-line block ×4, first 2 shown]
	buffer_load_dword v122, off, s[0:3], 0 offset:308
	v_add_f32_e32 v1, v1, v130
	v_add_f32_e32 v1, v1, v128
	;; [unrolled: 1-line block ×6, first 2 shown]
	s_clause 0x5
	buffer_load_dword v135, off, s[0:3], 0 offset:352
	buffer_load_dword v136, off, s[0:3], 0 offset:344
	;; [unrolled: 1-line block ×6, first 2 shown]
	v_add_f32_e32 v1, v1, v137
	buffer_load_dword v137, off, s[0:3], 0 offset:348
	v_add_f32_e32 v1, v1, v138
	s_clause 0x3
	buffer_load_dword v138, off, s[0:3], 0 offset:356
	buffer_load_dword v140, off, s[0:3], 0 offset:372
	;; [unrolled: 1-line block ×4, first 2 shown]
	v_add_f32_e32 v1, v1, v147
	v_add_f32_e32 v1, v1, v144
	;; [unrolled: 1-line block ×4, first 2 shown]
	s_clause 0x8
	buffer_load_dword v143, off, s[0:3], 0 offset:396
	buffer_load_dword v144, off, s[0:3], 0 offset:404
	;; [unrolled: 1-line block ×9, first 2 shown]
	v_add_f32_e32 v1, v1, v155
	v_add_f32_e32 v1, v1, v152
	;; [unrolled: 1-line block ×4, first 2 shown]
	s_clause 0x5
	buffer_load_dword v152, off, s[0:3], 0 offset:416
	buffer_load_dword v153, off, s[0:3], 0 offset:408
	buffer_load_dword v154, off, s[0:3], 0 offset:400
	buffer_load_dword v155, off, s[0:3], 0 offset:392
	buffer_load_dword v156, off, s[0:3], 0 offset:424
	buffer_load_dword v158, off, s[0:3], 0 offset:8
	v_add_f32_e32 v1, v1, v164
	v_add_f32_e32 v1, v1, v171
	;; [unrolled: 1-line block ×5, first 2 shown]
	s_waitcnt vmcnt(35) lgkmcnt(0)
	v_mul_f32_e32 v126, v5, v3
	v_mul_f32_e32 v3, v6, v3
	s_waitcnt vmcnt(34)
	v_mul_f32_e32 v132, v7, v4
	v_fmac_f32_e32 v126, v6, v182
	v_fma_f32 v128, v5, v182, -v3
	v_mul_f32_e32 v3, v8, v4
	v_add_f32_e32 v5, v1, v173
	v_add_f32_e32 v6, v2, v162
	s_waitcnt vmcnt(30)
	v_fmac_f32_e32 v132, v8, v121
	v_fma_f32 v133, v7, v121, -v3
	ds_read_b128 v[1:4], v118 offset:736
	v_add_f32_e32 v5, v5, v177
	v_add_f32_e32 v6, v6, v178
	v_add_f32_e32 v121, v5, v180
	v_add_f32_e32 v134, v6, v176
	ds_read_b128 v[5:8], v118 offset:752
	v_add_f32_e32 v121, v121, v179
	v_add_f32_e32 v134, v134, v175
	s_waitcnt vmcnt(26) lgkmcnt(1)
	v_mul_f32_e32 v159, v1, v122
	v_mul_f32_e32 v122, v2, v122
	;; [unrolled: 1-line block ×4, first 2 shown]
	v_fmac_f32_e32 v159, v2, v120
	v_fma_f32 v161, v1, v120, -v122
	v_add_f32_e32 v120, v121, v181
	v_fma_f32 v162, v3, v119, -v124
	v_add_f32_e32 v124, v134, v174
	v_fmac_f32_e32 v160, v4, v119
	ds_read_b128 v[1:4], v118 offset:768
	v_add_f32_e32 v134, v120, v185
	s_waitcnt lgkmcnt(1)
	v_mul_f32_e32 v163, v5, v125
	v_add_f32_e32 v124, v124, v186
	v_mul_f32_e32 v164, v7, v127
	v_mul_f32_e32 v125, v6, v125
	v_add_f32_e32 v134, v134, v188
	v_mul_f32_e32 v127, v8, v127
	v_add_f32_e32 v124, v124, v184
	v_fmac_f32_e32 v163, v6, v123
	ds_read_b128 v[119:122], v118 offset:784
	v_add_f32_e32 v6, v134, v187
	s_waitcnt vmcnt(22)
	v_fma_f32 v166, v7, v129, -v127
	v_add_f32_e32 v134, v124, v183
	v_fmac_f32_e32 v164, v8, v129
	v_fma_f32 v165, v5, v123, -v125
	v_add_f32_e32 v127, v6, v126
	ds_read_b128 v[5:8], v118 offset:800
	ds_read_b128 v[123:126], v118 offset:816
	v_add_f32_e32 v134, v134, v128
	s_waitcnt vmcnt(21) lgkmcnt(3)
	v_mul_f32_e32 v167, v1, v130
	v_mul_f32_e32 v168, v2, v130
	v_add_f32_e32 v132, v127, v132
	v_add_f32_e32 v169, v134, v133
	ds_read_b128 v[127:130], v118 offset:832
	v_fmac_f32_e32 v167, v2, v131
	v_fma_f32 v1, v1, v131, -v168
	v_add_f32_e32 v2, v132, v159
	ds_read_b128 v[131:134], v118 offset:848
	v_add_f32_e32 v118, v169, v161
	s_waitcnt vmcnt(19)
	v_mul_f32_e32 v159, v3, v137
	v_mul_f32_e32 v137, v4, v137
	v_add_f32_e32 v2, v2, v160
	s_waitcnt vmcnt(18) lgkmcnt(4)
	v_mul_f32_e32 v160, v119, v138
	v_add_f32_e32 v118, v118, v162
	v_mul_f32_e32 v138, v120, v138
	v_fma_f32 v3, v3, v136, -v137
	v_add_f32_e32 v2, v2, v163
	v_fmac_f32_e32 v159, v4, v136
	v_add_f32_e32 v118, v118, v165
	v_mul_f32_e32 v161, v121, v139
	v_mul_f32_e32 v139, v122, v139
	v_add_f32_e32 v2, v2, v164
	v_fma_f32 v119, v119, v135, -v138
	v_add_f32_e32 v118, v118, v166
	v_fmac_f32_e32 v160, v120, v135
	s_waitcnt vmcnt(6)
	v_fma_f32 v120, v121, v151, -v139
	v_add_f32_e32 v2, v2, v167
	s_waitcnt lgkmcnt(3)
	v_mul_f32_e32 v4, v5, v140
	v_add_f32_e32 v1, v118, v1
	v_fmac_f32_e32 v161, v122, v151
	v_mul_f32_e32 v136, v7, v141
	v_add_f32_e32 v2, v2, v159
	v_fmac_f32_e32 v4, v6, v150
	v_add_f32_e32 v1, v1, v3
	v_mul_f32_e32 v3, v6, v140
	s_waitcnt lgkmcnt(2)
	v_mul_f32_e32 v137, v123, v142
	v_add_f32_e32 v2, v2, v160
	v_fmac_f32_e32 v136, v8, v149
	v_add_f32_e32 v1, v1, v119
	v_mul_f32_e32 v119, v8, v141
	v_fma_f32 v3, v5, v150, -v3
	v_add_f32_e32 v2, v2, v161
	v_mul_f32_e32 v5, v124, v142
	v_add_f32_e32 v1, v1, v120
	v_fma_f32 v6, v7, v149, -v119
	v_mul_f32_e32 v162, v125, v143
	v_add_f32_e32 v2, v2, v4
	v_fma_f32 v4, v123, v148, -v5
	v_add_f32_e32 v1, v1, v3
	v_mul_f32_e32 v3, v126, v143
	v_fmac_f32_e32 v137, v124, v148
	v_add_f32_e32 v2, v2, v136
	s_waitcnt lgkmcnt(1)
	v_mul_f32_e32 v5, v128, v144
	v_add_f32_e32 v1, v1, v6
	s_waitcnt vmcnt(2)
	v_fma_f32 v3, v125, v155, -v3
	v_mul_f32_e32 v163, v127, v144
	v_fmac_f32_e32 v162, v126, v155
	v_add_f32_e32 v2, v2, v137
	v_add_f32_e32 v1, v1, v4
	v_mul_f32_e32 v4, v130, v145
	v_fma_f32 v5, v127, v154, -v5
	v_mul_f32_e32 v164, v129, v145
	v_fmac_f32_e32 v163, v128, v154
	v_add_f32_e32 v1, v1, v3
	v_add_f32_e32 v2, v2, v162
	s_waitcnt lgkmcnt(0)
	v_mul_f32_e32 v3, v132, v146
	v_fma_f32 v4, v129, v153, -v4
	v_mul_f32_e32 v165, v131, v146
	v_add_f32_e32 v1, v1, v5
	v_fmac_f32_e32 v164, v130, v153
	v_add_f32_e32 v2, v2, v163
	v_mul_f32_e32 v5, v134, v147
	v_fma_f32 v3, v131, v152, -v3
	v_add_f32_e32 v1, v1, v4
	v_mul_f32_e32 v118, v133, v147
	v_fmac_f32_e32 v165, v132, v152
	v_add_f32_e32 v2, v2, v164
	s_waitcnt vmcnt(1)
	v_fma_f32 v4, v133, v156, -v5
	v_add_f32_e32 v1, v1, v3
	v_fmac_f32_e32 v118, v134, v156
	v_add_f32_e32 v2, v2, v165
	v_add_f32_e32 v1, v1, v4
	;; [unrolled: 1-line block ×3, first 2 shown]
	s_waitcnt vmcnt(0)
	v_sub_f32_e32 v1, v158, v1
	v_sub_f32_e32 v2, v157, v2
	buffer_store_dword v1, off, s[0:3], 0 offset:8
	buffer_store_dword v2, off, s[0:3], 0 offset:12
	v_cmpx_ne_u32_e32 0, v0
	s_cbranch_execz .LBB117_337
; %bb.336:
	s_clause 0x1
	buffer_load_dword v0, off, s[0:3], 0
	buffer_load_dword v1, off, s[0:3], 0 offset:4
	v_mov_b32_e32 v2, 0
	buffer_store_dword v2, off, s[0:3], 0
	buffer_store_dword v2, off, s[0:3], 0 offset:4
	s_waitcnt vmcnt(0)
	ds_write_b64 v117, v[0:1]
.LBB117_337:
	s_or_b32 exec_lo, exec_lo, s4
	s_waitcnt lgkmcnt(0)
	s_waitcnt_vscnt null, 0x0
	s_barrier
	buffer_gl0_inv
	s_clause 0x2c
	buffer_load_dword v155, off, s[0:3], 0 offset:12
	buffer_load_dword v8, off, s[0:3], 0 offset:24
	;; [unrolled: 1-line block ×45, first 2 shown]
	v_mov_b32_e32 v154, 0
	ds_read2_b64 v[4:7], v154 offset0:55 offset1:56
	ds_read2_b64 v[0:3], v154 offset0:57 offset1:58
	;; [unrolled: 1-line block ×3, first 2 shown]
	s_and_b32 vcc_lo, exec_lo, s16
	s_waitcnt vmcnt(44) lgkmcnt(2)
	v_mul_f32_e32 v156, v4, v155
	v_mul_f32_e32 v163, v5, v155
	buffer_load_dword v155, off, s[0:3], 0 offset:4
	s_waitcnt vmcnt(42)
	v_fmac_f32_e32 v156, v5, v124
	v_fma_f32 v124, v4, v124, -v163
	s_waitcnt vmcnt(41)
	v_mul_f32_e32 v163, v6, v123
	v_mul_f32_e32 v4, v7, v123
	s_waitcnt vmcnt(40) lgkmcnt(1)
	v_mul_f32_e32 v168, v0, v121
	s_waitcnt vmcnt(39)
	v_mul_f32_e32 v169, v2, v118
	v_fmac_f32_e32 v163, v7, v119
	v_fma_f32 v123, v6, v119, -v4
	v_mul_f32_e32 v119, v1, v121
	ds_read2_b64 v[4:7], v154 offset0:61 offset1:62
	v_fmac_f32_e32 v168, v1, v8
	s_waitcnt vmcnt(35)
	v_fmac_f32_e32 v169, v3, v128
	s_waitcnt vmcnt(34) lgkmcnt(1)
	v_mul_f32_e32 v170, v164, v127
	v_fma_f32 v8, v0, v8, -v119
	v_mul_f32_e32 v0, v3, v118
	v_mul_f32_e32 v118, v165, v127
	s_waitcnt vmcnt(33)
	v_mul_f32_e32 v127, v166, v126
	v_fmac_f32_e32 v170, v165, v125
	v_fma_f32 v128, v2, v128, -v0
	ds_read2_b64 v[0:3], v154 offset0:63 offset1:64
	v_fma_f32 v125, v164, v125, -v118
	v_mul_f32_e32 v118, v167, v126
	v_fmac_f32_e32 v127, v167, v120
	v_fma_f32 v126, v166, v120, -v118
	ds_read2_b64 v[118:121], v154 offset0:65 offset1:66
	s_waitcnt vmcnt(32) lgkmcnt(2)
	v_mul_f32_e32 v164, v4, v122
	v_mul_f32_e32 v122, v5, v122
	s_waitcnt vmcnt(31)
	v_mul_f32_e32 v165, v6, v129
	v_fmac_f32_e32 v164, v5, v117
	v_fma_f32 v122, v4, v117, -v122
	v_mul_f32_e32 v4, v7, v129
	s_waitcnt vmcnt(27)
	v_fmac_f32_e32 v165, v7, v137
	s_waitcnt vmcnt(26) lgkmcnt(1)
	v_mul_f32_e32 v117, v1, v136
	v_fma_f32 v129, v6, v137, -v4
	v_mul_f32_e32 v137, v0, v136
	ds_read2_b64 v[4:7], v154 offset0:67 offset1:68
	s_waitcnt vmcnt(25)
	v_mul_f32_e32 v136, v2, v134
	v_fmac_f32_e32 v137, v1, v133
	v_fma_f32 v133, v0, v133, -v117
	v_mul_f32_e32 v0, v3, v134
	v_fmac_f32_e32 v136, v3, v131
	s_waitcnt vmcnt(24) lgkmcnt(1)
	v_mul_f32_e32 v134, v118, v132
	v_mul_f32_e32 v117, v119, v132
	s_waitcnt vmcnt(23)
	v_mul_f32_e32 v132, v120, v135
	v_fma_f32 v131, v2, v131, -v0
	ds_read2_b64 v[0:3], v154 offset0:69 offset1:70
	v_fmac_f32_e32 v134, v119, v130
	v_fma_f32 v130, v118, v130, -v117
	v_mul_f32_e32 v117, v121, v135
	s_waitcnt vmcnt(19)
	v_fmac_f32_e32 v132, v121, v145
	v_fma_f32 v121, v120, v145, -v117
	s_waitcnt vmcnt(18) lgkmcnt(1)
	v_mul_f32_e32 v135, v4, v144
	v_mul_f32_e32 v144, v5, v144
	ds_read2_b64 v[117:120], v154 offset0:71 offset1:72
	v_fmac_f32_e32 v135, v5, v141
	v_fma_f32 v141, v4, v141, -v144
	s_waitcnt vmcnt(17)
	v_mul_f32_e32 v144, v6, v142
	v_mul_f32_e32 v4, v7, v142
	s_waitcnt vmcnt(16) lgkmcnt(1)
	v_mul_f32_e32 v142, v0, v140
	v_mul_f32_e32 v140, v1, v140
	v_fmac_f32_e32 v144, v7, v139
	v_fma_f32 v139, v6, v139, -v4
	ds_read2_b64 v[4:7], v154 offset0:73 offset1:74
	v_fmac_f32_e32 v142, v1, v138
	v_fma_f32 v138, v0, v138, -v140
	s_waitcnt vmcnt(15)
	v_mul_f32_e32 v140, v2, v143
	v_mul_f32_e32 v0, v3, v143
	s_waitcnt vmcnt(10) lgkmcnt(1)
	v_mul_f32_e32 v145, v117, v151
	v_fmac_f32_e32 v140, v3, v152
	v_fma_f32 v143, v2, v152, -v0
	ds_read2_b64 v[0:3], v154 offset0:75 offset1:76
	v_mul_f32_e32 v151, v118, v151
	v_fmac_f32_e32 v145, v118, v149
	s_waitcnt vmcnt(9)
	v_mul_f32_e32 v118, v119, v150
	v_fma_f32 v117, v117, v149, -v151
	v_mul_f32_e32 v149, v120, v150
	v_fmac_f32_e32 v118, v120, v147
	buffer_load_dword v150, off, s[0:3], 0 offset:188
	s_waitcnt vmcnt(9) lgkmcnt(1)
	v_mul_f32_e32 v120, v4, v148
	v_fma_f32 v119, v119, v147, -v149
	v_mul_f32_e32 v147, v5, v148
	s_waitcnt vmcnt(8)
	v_mul_f32_e32 v148, v6, v153
	v_mul_f32_e32 v149, v7, v153
	v_fmac_f32_e32 v120, v5, v146
	v_fma_f32 v146, v4, v146, -v147
	s_waitcnt vmcnt(4)
	v_fmac_f32_e32 v148, v7, v162
	v_fma_f32 v147, v6, v162, -v149
	ds_read2_b64 v[4:7], v154 offset0:77 offset1:78
	s_waitcnt vmcnt(2) lgkmcnt(1)
	v_mul_f32_e32 v152, v2, v160
	v_mul_f32_e32 v153, v3, v160
	buffer_load_dword v160, off, s[0:3], 0 offset:196
	v_mul_f32_e32 v149, v0, v161
	v_mul_f32_e32 v151, v1, v161
	v_fmac_f32_e32 v152, v3, v158
	v_fma_f32 v153, v2, v158, -v153
	v_fmac_f32_e32 v149, v1, v159
	v_fma_f32 v151, v0, v159, -v151
	s_clause 0x4
	buffer_load_dword v158, off, s[0:3], 0 offset:216
	buffer_load_dword v159, off, s[0:3], 0 offset:208
	;; [unrolled: 1-line block ×5, first 2 shown]
	s_waitcnt vmcnt(6) lgkmcnt(0)
	v_mul_f32_e32 v166, v4, v150
	v_mul_f32_e32 v1, v5, v150
	v_fmac_f32_e32 v166, v5, v157
	v_fma_f32 v157, v4, v157, -v1
	s_waitcnt vmcnt(5)
	v_mul_f32_e32 v150, v6, v160
	v_mul_f32_e32 v2, v7, v160
	s_waitcnt vmcnt(1)
	v_fmac_f32_e32 v150, v7, v0
	v_fma_f32 v160, v6, v0, -v2
	ds_read2_b64 v[0:3], v154 offset0:79 offset1:80
	ds_read2_b64 v[4:7], v154 offset0:81 offset1:82
	s_waitcnt vmcnt(0) lgkmcnt(1)
	v_mul_f32_e32 v167, v0, v162
	v_mul_f32_e32 v162, v1, v162
	v_fmac_f32_e32 v167, v1, v161
	v_fma_f32 v161, v0, v161, -v162
	buffer_load_dword v0, off, s[0:3], 0 offset:212
	s_waitcnt vmcnt(0)
	v_mul_f32_e32 v162, v2, v0
	v_mul_f32_e32 v0, v3, v0
	v_fmac_f32_e32 v162, v3, v159
	v_fma_f32 v159, v2, v159, -v0
	buffer_load_dword v0, off, s[0:3], 0 offset:220
	s_waitcnt vmcnt(0) lgkmcnt(0)
	v_mul_f32_e32 v171, v4, v0
	v_mul_f32_e32 v0, v5, v0
	v_fmac_f32_e32 v171, v5, v158
	v_fma_f32 v158, v4, v158, -v0
	s_clause 0x5
	buffer_load_dword v0, off, s[0:3], 0 offset:228
	buffer_load_dword v172, off, s[0:3], 0 offset:248
	buffer_load_dword v173, off, s[0:3], 0 offset:240
	buffer_load_dword v174, off, s[0:3], 0 offset:232
	buffer_load_dword v1, off, s[0:3], 0 offset:224
	buffer_load_dword v177, off, s[0:3], 0 offset:236
	s_waitcnt vmcnt(5)
	v_mul_f32_e32 v175, v6, v0
	v_mul_f32_e32 v0, v7, v0
	s_waitcnt vmcnt(1)
	v_fmac_f32_e32 v175, v7, v1
	v_fma_f32 v176, v6, v1, -v0
	ds_read2_b64 v[0:3], v154 offset0:83 offset1:84
	ds_read2_b64 v[4:7], v154 offset0:85 offset1:86
	s_waitcnt vmcnt(0) lgkmcnt(1)
	v_mul_f32_e32 v178, v0, v177
	v_mul_f32_e32 v177, v1, v177
	v_fmac_f32_e32 v178, v1, v174
	v_fma_f32 v174, v0, v174, -v177
	buffer_load_dword v0, off, s[0:3], 0 offset:244
	v_add_f32_e32 v1, 0, v124
	v_add_f32_e32 v1, v1, v123
	buffer_load_dword v123, off, s[0:3], 0 offset:260
	v_add_f32_e32 v1, v1, v8
	buffer_load_dword v8, off, s[0:3], 0 offset:252
	v_add_f32_e32 v1, v1, v128
	v_add_f32_e32 v1, v1, v125
	;; [unrolled: 1-line block ×4, first 2 shown]
	s_clause 0x4
	buffer_load_dword v122, off, s[0:3], 0 offset:280
	buffer_load_dword v124, off, s[0:3], 0 offset:272
	buffer_load_dword v125, off, s[0:3], 0 offset:264
	buffer_load_dword v126, off, s[0:3], 0 offset:256
	buffer_load_dword v128, off, s[0:3], 0 offset:276
	v_add_f32_e32 v1, v1, v129
	buffer_load_dword v129, off, s[0:3], 0 offset:284
	v_add_f32_e32 v1, v1, v133
	buffer_load_dword v133, off, s[0:3], 0 offset:292
	v_add_f32_e32 v1, v1, v131
	v_add_f32_e32 v1, v1, v130
	;; [unrolled: 1-line block ×4, first 2 shown]
	s_waitcnt vmcnt(9)
	v_mul_f32_e32 v177, v2, v0
	v_mul_f32_e32 v0, v3, v0
	v_fmac_f32_e32 v177, v3, v173
	v_fma_f32 v173, v2, v173, -v0
	v_add_f32_e32 v0, 0, v156
	v_add_f32_e32 v0, v0, v163
	;; [unrolled: 1-line block ×6, first 2 shown]
	buffer_load_dword v127, off, s[0:3], 0 offset:268
	v_add_f32_e32 v0, v0, v164
	v_add_f32_e32 v0, v0, v165
	;; [unrolled: 1-line block ×6, first 2 shown]
	s_clause 0x5
	buffer_load_dword v130, off, s[0:3], 0 offset:312
	buffer_load_dword v131, off, s[0:3], 0 offset:304
	;; [unrolled: 1-line block ×6, first 2 shown]
	v_add_f32_e32 v0, v0, v135
	v_add_f32_e32 v135, v1, v139
	s_waitcnt vmcnt(15) lgkmcnt(0)
	v_mul_f32_e32 v139, v6, v123
	v_mul_f32_e32 v123, v7, v123
	v_add_f32_e32 v0, v0, v144
	v_add_f32_e32 v135, v135, v138
	s_waitcnt vmcnt(14)
	v_mul_f32_e32 v138, v4, v8
	v_mul_f32_e32 v8, v5, v8
	s_waitcnt vmcnt(10)
	v_fmac_f32_e32 v139, v7, v126
	v_add_f32_e32 v137, v0, v142
	ds_read2_b64 v[0:3], v154 offset0:87 offset1:88
	v_add_f32_e32 v135, v135, v143
	v_fma_f32 v8, v4, v172, -v8
	v_fma_f32 v123, v6, v126, -v123
	v_add_f32_e32 v137, v137, v140
	buffer_load_dword v140, off, s[0:3], 0 offset:316
	v_add_f32_e32 v117, v135, v117
	v_fmac_f32_e32 v138, v5, v172
	v_add_f32_e32 v4, v137, v145
	s_clause 0x4
	buffer_load_dword v126, off, s[0:3], 0 offset:324
	buffer_load_dword v135, off, s[0:3], 0 offset:344
	;; [unrolled: 1-line block ×5, first 2 shown]
	v_add_f32_e32 v117, v117, v119
	v_add_f32_e32 v118, v4, v118
	ds_read2_b64 v[4:7], v154 offset0:89 offset1:90
	s_waitcnt vmcnt(15) lgkmcnt(1)
	v_mul_f32_e32 v144, v2, v128
	v_fmac_f32_e32 v144, v3, v124
	s_waitcnt vmcnt(12)
	v_mul_f32_e32 v143, v0, v127
	v_mul_f32_e32 v119, v1, v127
	v_fmac_f32_e32 v143, v1, v125
	v_fma_f32 v119, v0, v125, -v119
	s_clause 0x1
	buffer_load_dword v125, off, s[0:3], 0 offset:332
	buffer_load_dword v127, off, s[0:3], 0 offset:340
	v_add_f32_e32 v0, v118, v120
	v_add_f32_e32 v1, v117, v146
	v_mul_f32_e32 v117, v3, v128
	buffer_load_dword v145, off, s[0:3], 0 offset:348
	s_waitcnt lgkmcnt(0)
	v_mul_f32_e32 v120, v5, v129
	v_add_f32_e32 v0, v0, v148
	v_add_f32_e32 v1, v1, v147
	v_fma_f32 v124, v2, v124, -v117
	v_mul_f32_e32 v128, v4, v129
	v_mul_f32_e32 v129, v6, v133
	v_add_f32_e32 v117, v0, v149
	v_add_f32_e32 v118, v1, v151
	v_mul_f32_e32 v133, v7, v133
	v_fma_f32 v151, v4, v122, -v120
	s_clause 0x3
	buffer_load_dword v146, off, s[0:3], 0 offset:356
	buffer_load_dword v147, off, s[0:3], 0 offset:364
	;; [unrolled: 1-line block ×4, first 2 shown]
	v_add_f32_e32 v117, v117, v152
	v_add_f32_e32 v118, v118, v153
	ds_read2_b64 v[0:3], v154 offset0:91 offset1:92
	v_fmac_f32_e32 v128, v5, v122
	v_add_f32_e32 v117, v117, v166
	v_add_f32_e32 v4, v118, v157
	s_waitcnt vmcnt(15)
	v_fmac_f32_e32 v129, v7, v134
	v_fma_f32 v133, v6, v134, -v133
	v_add_f32_e32 v5, v117, v150
	s_clause 0x4
	buffer_load_dword v150, off, s[0:3], 0 offset:388
	buffer_load_dword v152, off, s[0:3], 0 offset:396
	buffer_load_dword v153, off, s[0:3], 0 offset:404
	buffer_load_dword v156, off, s[0:3], 0 offset:412
	buffer_load_dword v134, off, s[0:3], 0 offset:420
	v_add_f32_e32 v4, v4, v160
	s_clause 0x4
	buffer_load_dword v157, off, s[0:3], 0 offset:376
	buffer_load_dword v160, off, s[0:3], 0 offset:368
	;; [unrolled: 1-line block ×5, first 2 shown]
	v_add_f32_e32 v5, v5, v167
	v_add_f32_e32 v4, v4, v161
	;; [unrolled: 1-line block ×3, first 2 shown]
	s_waitcnt vmcnt(24) lgkmcnt(0)
	v_mul_f32_e32 v120, v1, v121
	v_add_f32_e32 v118, v4, v159
	ds_read2_b64 v[4:7], v154 offset0:93 offset1:94
	v_add_f32_e32 v117, v117, v171
	v_mul_f32_e32 v159, v0, v121
	s_waitcnt vmcnt(23)
	v_mul_f32_e32 v170, v2, v136
	v_add_f32_e32 v118, v118, v158
	s_clause 0x6
	buffer_load_dword v158, off, s[0:3], 0 offset:408
	buffer_load_dword v161, off, s[0:3], 0 offset:400
	;; [unrolled: 1-line block ×6, first 2 shown]
	buffer_load_dword v169, off, s[0:3], 0
	v_fmac_f32_e32 v159, v1, v132
	v_fma_f32 v132, v0, v132, -v120
	v_add_f32_e32 v0, v117, v175
	v_add_f32_e32 v1, v118, v176
	v_fmac_f32_e32 v170, v3, v131
	v_add_f32_e32 v0, v0, v178
	v_add_f32_e32 v1, v1, v174
	v_add_f32_e32 v117, v0, v177
	v_add_f32_e32 v0, v1, v173
	v_mul_f32_e32 v1, v3, v136
	s_waitcnt vmcnt(29) lgkmcnt(0)
	v_mul_f32_e32 v136, v4, v140
	v_mul_f32_e32 v121, v5, v140
	v_add_f32_e32 v117, v117, v138
	v_add_f32_e32 v8, v0, v8
	v_fma_f32 v131, v2, v131, -v1
	ds_read2_b64 v[0:3], v154 offset0:95 offset1:96
	s_waitcnt vmcnt(28)
	v_mul_f32_e32 v138, v6, v126
	v_add_f32_e32 v122, v117, v139
	v_add_f32_e32 v8, v8, v123
	v_mul_f32_e32 v123, v7, v126
	v_fmac_f32_e32 v136, v5, v130
	s_waitcnt vmcnt(24)
	v_fmac_f32_e32 v138, v7, v142
	v_add_f32_e32 v126, v122, v143
	v_add_f32_e32 v8, v8, v119
	ds_read2_b64 v[117:120], v154 offset0:97 offset1:98
	v_fma_f32 v140, v6, v142, -v123
	v_fma_f32 v139, v4, v130, -v121
	v_add_f32_e32 v126, v126, v144
	v_add_f32_e32 v8, v8, v124
	ds_read2_b64 v[4:7], v154 offset0:99 offset1:100
	ds_read2_b64 v[121:124], v154 offset0:101 offset1:102
	v_add_f32_e32 v126, v126, v128
	v_add_f32_e32 v8, v8, v151
	s_waitcnt vmcnt(23) lgkmcnt(3)
	v_mul_f32_e32 v142, v0, v125
	v_mul_f32_e32 v125, v1, v125
	s_waitcnt vmcnt(22)
	v_mul_f32_e32 v143, v2, v127
	v_mul_f32_e32 v130, v3, v127
	v_fmac_f32_e32 v142, v1, v141
	v_add_f32_e32 v1, v8, v133
	v_fma_f32 v8, v0, v141, -v125
	v_add_f32_e32 v0, v126, v129
	v_fmac_f32_e32 v143, v3, v137
	v_fma_f32 v133, v2, v137, -v130
	v_add_f32_e32 v132, v1, v132
	s_waitcnt vmcnt(21) lgkmcnt(2)
	v_mul_f32_e32 v144, v118, v145
	v_add_f32_e32 v137, v0, v159
	s_waitcnt vmcnt(20)
	v_mul_f32_e32 v141, v119, v146
	ds_read2_b64 v[125:128], v154 offset0:103 offset1:104
	v_add_f32_e32 v131, v132, v131
	v_mul_f32_e32 v132, v117, v145
	v_add_f32_e32 v137, v137, v170
	v_fma_f32 v117, v117, v135, -v144
	s_waitcnt vmcnt(18) lgkmcnt(2)
	v_mul_f32_e32 v145, v6, v148
	v_add_f32_e32 v131, v131, v139
	v_mul_f32_e32 v139, v120, v146
	v_add_f32_e32 v136, v137, v136
	v_fmac_f32_e32 v132, v118, v135
	v_mul_f32_e32 v137, v4, v147
	v_add_f32_e32 v131, v131, v140
	v_mul_f32_e32 v135, v5, v147
	v_add_f32_e32 v136, v136, v138
	ds_read2_b64 v[0:3], v154 offset0:105 offset1:106
	ds_read_b64 v[129:130], v154 offset:856
	s_waitcnt vmcnt(8)
	v_fma_f32 v119, v119, v164, -v139
	v_add_f32_e32 v8, v131, v8
	v_fmac_f32_e32 v141, v120, v164
	v_add_f32_e32 v136, v136, v142
	v_mul_f32_e32 v120, v7, v148
	v_fmac_f32_e32 v137, v5, v163
	v_add_f32_e32 v8, v8, v133
	v_fma_f32 v4, v4, v163, -v135
	v_add_f32_e32 v133, v136, v143
	v_fma_f32 v6, v6, v160, -v120
	s_waitcnt lgkmcnt(3)
	v_mul_f32_e32 v140, v121, v149
	v_add_f32_e32 v8, v8, v117
	v_fmac_f32_e32 v145, v7, v160
	v_add_f32_e32 v117, v133, v132
	v_mul_f32_e32 v7, v124, v150
	v_mul_f32_e32 v138, v123, v150
	v_add_f32_e32 v5, v8, v119
	v_fmac_f32_e32 v140, v122, v157
	v_add_f32_e32 v8, v117, v141
	v_mul_f32_e32 v117, v122, v149
	s_waitcnt vmcnt(3)
	v_fma_f32 v7, v123, v166, -v7
	v_add_f32_e32 v4, v5, v4
	s_waitcnt lgkmcnt(2)
	v_mul_f32_e32 v146, v125, v152
	v_add_f32_e32 v5, v8, v137
	v_fma_f32 v8, v121, v157, -v117
	v_fmac_f32_e32 v138, v124, v166
	v_add_f32_e32 v4, v4, v6
	v_mul_f32_e32 v6, v126, v152
	v_add_f32_e32 v5, v5, v145
	v_mul_f32_e32 v131, v127, v153
	v_fmac_f32_e32 v146, v126, v162
	v_add_f32_e32 v4, v4, v8
	v_mul_f32_e32 v8, v128, v153
	v_add_f32_e32 v5, v5, v140
	v_fma_f32 v6, v125, v162, -v6
	s_waitcnt lgkmcnt(1)
	v_mul_f32_e32 v142, v0, v156
	v_add_f32_e32 v4, v4, v7
	v_mul_f32_e32 v7, v1, v156
	v_add_f32_e32 v5, v5, v138
	v_fma_f32 v8, v127, v161, -v8
	v_fmac_f32_e32 v131, v128, v161
	v_add_f32_e32 v4, v4, v6
	v_mul_f32_e32 v6, v3, v134
	v_add_f32_e32 v5, v5, v146
	v_fmac_f32_e32 v142, v1, v158
	v_fma_f32 v0, v0, v158, -v7
	v_add_f32_e32 v1, v4, v8
	v_mul_f32_e32 v118, v2, v134
	v_add_f32_e32 v4, v5, v131
	s_waitcnt lgkmcnt(0)
	v_mul_f32_e32 v5, v130, v165
	s_waitcnt vmcnt(1)
	v_fma_f32 v2, v2, v168, -v6
	v_add_f32_e32 v0, v1, v0
	v_mul_f32_e32 v136, v129, v165
	v_fmac_f32_e32 v118, v3, v168
	v_add_f32_e32 v1, v4, v142
	v_fma_f32 v3, v129, v167, -v5
	v_add_f32_e32 v0, v0, v2
	v_fmac_f32_e32 v136, v130, v167
	v_add_f32_e32 v1, v1, v118
	v_add_f32_e32 v0, v0, v3
	;; [unrolled: 1-line block ×3, first 2 shown]
	s_waitcnt vmcnt(0)
	v_sub_f32_e32 v0, v169, v0
	v_sub_f32_e32 v1, v155, v1
	buffer_store_dword v0, off, s[0:3], 0
	buffer_store_dword v1, off, s[0:3], 0 offset:4
	s_cbranch_vccz .LBB117_444
; %bb.338:
	global_load_dword v0, v154, s[12:13] offset:208
	s_waitcnt vmcnt(0)
	v_add_nc_u32_e32 v0, -1, v0
	v_cmp_ne_u32_e32 vcc_lo, 52, v0
	s_cbranch_vccz .LBB117_340
; %bb.339:
	v_lshlrev_b32_e32 v0, 3, v0
	s_clause 0x3
	buffer_load_dword v1, v0, s[0:3], 0 offen
	buffer_load_dword v2, v0, s[0:3], 0 offen offset:4
	buffer_load_dword v3, off, s[0:3], 0 offset:420
	buffer_load_dword v4, off, s[0:3], 0 offset:416
	s_waitcnt vmcnt(3)
	buffer_store_dword v1, off, s[0:3], 0 offset:416
	s_waitcnt vmcnt(2)
	buffer_store_dword v2, off, s[0:3], 0 offset:420
	s_waitcnt vmcnt(1)
	buffer_store_dword v3, v0, s[0:3], 0 offen offset:4
	s_waitcnt vmcnt(0)
	buffer_store_dword v4, v0, s[0:3], 0 offen
.LBB117_340:
	v_mov_b32_e32 v0, 0
	global_load_dword v1, v0, s[12:13] offset:204
	s_waitcnt vmcnt(0)
	v_add_nc_u32_e32 v1, -1, v1
	v_cmp_eq_u32_e32 vcc_lo, 51, v1
	s_cbranch_vccnz .LBB117_342
; %bb.341:
	v_lshlrev_b32_e32 v1, 3, v1
	s_clause 0x3
	buffer_load_dword v2, v1, s[0:3], 0 offen
	buffer_load_dword v3, v1, s[0:3], 0 offen offset:4
	buffer_load_dword v4, off, s[0:3], 0 offset:408
	buffer_load_dword v5, off, s[0:3], 0 offset:412
	s_waitcnt vmcnt(3)
	buffer_store_dword v2, off, s[0:3], 0 offset:408
	s_waitcnt vmcnt(2)
	buffer_store_dword v3, off, s[0:3], 0 offset:412
	s_waitcnt vmcnt(1)
	buffer_store_dword v4, v1, s[0:3], 0 offen
	s_waitcnt vmcnt(0)
	buffer_store_dword v5, v1, s[0:3], 0 offen offset:4
.LBB117_342:
	global_load_dword v0, v0, s[12:13] offset:200
	s_waitcnt vmcnt(0)
	v_add_nc_u32_e32 v0, -1, v0
	v_cmp_eq_u32_e32 vcc_lo, 50, v0
	s_cbranch_vccnz .LBB117_344
; %bb.343:
	v_lshlrev_b32_e32 v0, 3, v0
	s_clause 0x3
	buffer_load_dword v1, v0, s[0:3], 0 offen
	buffer_load_dword v2, v0, s[0:3], 0 offen offset:4
	buffer_load_dword v3, off, s[0:3], 0 offset:404
	buffer_load_dword v4, off, s[0:3], 0 offset:400
	s_waitcnt vmcnt(3)
	buffer_store_dword v1, off, s[0:3], 0 offset:400
	s_waitcnt vmcnt(2)
	buffer_store_dword v2, off, s[0:3], 0 offset:404
	s_waitcnt vmcnt(1)
	buffer_store_dword v3, v0, s[0:3], 0 offen offset:4
	s_waitcnt vmcnt(0)
	buffer_store_dword v4, v0, s[0:3], 0 offen
.LBB117_344:
	v_mov_b32_e32 v0, 0
	global_load_dword v1, v0, s[12:13] offset:196
	s_waitcnt vmcnt(0)
	v_add_nc_u32_e32 v1, -1, v1
	v_cmp_eq_u32_e32 vcc_lo, 49, v1
	s_cbranch_vccnz .LBB117_346
; %bb.345:
	v_lshlrev_b32_e32 v1, 3, v1
	s_clause 0x3
	buffer_load_dword v2, v1, s[0:3], 0 offen
	buffer_load_dword v3, v1, s[0:3], 0 offen offset:4
	buffer_load_dword v4, off, s[0:3], 0 offset:392
	buffer_load_dword v5, off, s[0:3], 0 offset:396
	s_waitcnt vmcnt(3)
	buffer_store_dword v2, off, s[0:3], 0 offset:392
	s_waitcnt vmcnt(2)
	buffer_store_dword v3, off, s[0:3], 0 offset:396
	s_waitcnt vmcnt(1)
	buffer_store_dword v4, v1, s[0:3], 0 offen
	s_waitcnt vmcnt(0)
	buffer_store_dword v5, v1, s[0:3], 0 offen offset:4
.LBB117_346:
	global_load_dword v0, v0, s[12:13] offset:192
	s_waitcnt vmcnt(0)
	v_add_nc_u32_e32 v0, -1, v0
	v_cmp_eq_u32_e32 vcc_lo, 48, v0
	s_cbranch_vccnz .LBB117_348
; %bb.347:
	v_lshlrev_b32_e32 v0, 3, v0
	s_clause 0x3
	buffer_load_dword v1, v0, s[0:3], 0 offen
	buffer_load_dword v2, v0, s[0:3], 0 offen offset:4
	buffer_load_dword v3, off, s[0:3], 0 offset:388
	buffer_load_dword v4, off, s[0:3], 0 offset:384
	s_waitcnt vmcnt(3)
	buffer_store_dword v1, off, s[0:3], 0 offset:384
	s_waitcnt vmcnt(2)
	buffer_store_dword v2, off, s[0:3], 0 offset:388
	s_waitcnt vmcnt(1)
	buffer_store_dword v3, v0, s[0:3], 0 offen offset:4
	s_waitcnt vmcnt(0)
	buffer_store_dword v4, v0, s[0:3], 0 offen
.LBB117_348:
	;; [unrolled: 43-line block ×25, first 2 shown]
	v_mov_b32_e32 v0, 0
	global_load_dword v1, v0, s[12:13] offset:4
	s_waitcnt vmcnt(0)
	v_add_nc_u32_e32 v1, -1, v1
	v_cmp_eq_u32_e32 vcc_lo, 1, v1
	s_cbranch_vccnz .LBB117_442
; %bb.441:
	v_lshlrev_b32_e32 v1, 3, v1
	s_clause 0x3
	buffer_load_dword v2, v1, s[0:3], 0 offen
	buffer_load_dword v3, v1, s[0:3], 0 offen offset:4
	buffer_load_dword v4, off, s[0:3], 0 offset:8
	buffer_load_dword v5, off, s[0:3], 0 offset:12
	s_waitcnt vmcnt(3)
	buffer_store_dword v2, off, s[0:3], 0 offset:8
	s_waitcnt vmcnt(2)
	buffer_store_dword v3, off, s[0:3], 0 offset:12
	s_waitcnt vmcnt(1)
	buffer_store_dword v4, v1, s[0:3], 0 offen
	s_waitcnt vmcnt(0)
	buffer_store_dword v5, v1, s[0:3], 0 offen offset:4
.LBB117_442:
	global_load_dword v0, v0, s[12:13]
	s_waitcnt vmcnt(0)
	v_add_nc_u32_e32 v0, -1, v0
	v_cmp_eq_u32_e32 vcc_lo, 0, v0
	s_cbranch_vccnz .LBB117_444
; %bb.443:
	v_lshlrev_b32_e32 v0, 3, v0
	s_clause 0x3
	buffer_load_dword v1, v0, s[0:3], 0 offen
	buffer_load_dword v2, v0, s[0:3], 0 offen offset:4
	buffer_load_dword v3, off, s[0:3], 0 offset:4
	buffer_load_dword v4, off, s[0:3], 0
	s_waitcnt vmcnt(3)
	buffer_store_dword v1, off, s[0:3], 0
	s_waitcnt vmcnt(2)
	buffer_store_dword v2, off, s[0:3], 0 offset:4
	s_waitcnt vmcnt(1)
	buffer_store_dword v3, v0, s[0:3], 0 offen offset:4
	s_waitcnt vmcnt(0)
	buffer_store_dword v4, v0, s[0:3], 0 offen
.LBB117_444:
	s_clause 0x1
	buffer_load_dword v0, off, s[0:3], 0
	buffer_load_dword v1, off, s[0:3], 0 offset:4
	s_waitcnt vmcnt(0)
	flat_store_dwordx2 v[9:10], v[0:1]
	s_clause 0x1
	buffer_load_dword v0, off, s[0:3], 0 offset:8
	buffer_load_dword v1, off, s[0:3], 0 offset:12
	s_waitcnt vmcnt(0)
	flat_store_dwordx2 v[11:12], v[0:1]
	s_clause 0x1
	buffer_load_dword v0, off, s[0:3], 0 offset:16
	;; [unrolled: 5-line block ×53, first 2 shown]
	buffer_load_dword v1, off, s[0:3], 0 offset:428
	s_waitcnt vmcnt(0)
	flat_store_dwordx2 v[115:116], v[0:1]
	s_endpgm
	.section	.rodata,"a",@progbits
	.p2align	6, 0x0
	.amdhsa_kernel _ZN9rocsolver6v33100L18getri_kernel_smallILi54E19rocblas_complex_numIfEPKPS3_EEvT1_iilPiilS8_bb
		.amdhsa_group_segment_fixed_size 868
		.amdhsa_private_segment_fixed_size 448
		.amdhsa_kernarg_size 60
		.amdhsa_user_sgpr_count 6
		.amdhsa_user_sgpr_private_segment_buffer 1
		.amdhsa_user_sgpr_dispatch_ptr 0
		.amdhsa_user_sgpr_queue_ptr 0
		.amdhsa_user_sgpr_kernarg_segment_ptr 1
		.amdhsa_user_sgpr_dispatch_id 0
		.amdhsa_user_sgpr_flat_scratch_init 0
		.amdhsa_user_sgpr_private_segment_size 0
		.amdhsa_wavefront_size32 1
		.amdhsa_uses_dynamic_stack 0
		.amdhsa_system_sgpr_private_segment_wavefront_offset 1
		.amdhsa_system_sgpr_workgroup_id_x 1
		.amdhsa_system_sgpr_workgroup_id_y 0
		.amdhsa_system_sgpr_workgroup_id_z 0
		.amdhsa_system_sgpr_workgroup_info 0
		.amdhsa_system_vgpr_workitem_id 0
		.amdhsa_next_free_vgpr 252
		.amdhsa_next_free_sgpr 20
		.amdhsa_reserve_vcc 1
		.amdhsa_reserve_flat_scratch 0
		.amdhsa_float_round_mode_32 0
		.amdhsa_float_round_mode_16_64 0
		.amdhsa_float_denorm_mode_32 3
		.amdhsa_float_denorm_mode_16_64 3
		.amdhsa_dx10_clamp 1
		.amdhsa_ieee_mode 1
		.amdhsa_fp16_overflow 0
		.amdhsa_workgroup_processor_mode 1
		.amdhsa_memory_ordered 1
		.amdhsa_forward_progress 1
		.amdhsa_shared_vgpr_count 0
		.amdhsa_exception_fp_ieee_invalid_op 0
		.amdhsa_exception_fp_denorm_src 0
		.amdhsa_exception_fp_ieee_div_zero 0
		.amdhsa_exception_fp_ieee_overflow 0
		.amdhsa_exception_fp_ieee_underflow 0
		.amdhsa_exception_fp_ieee_inexact 0
		.amdhsa_exception_int_div_zero 0
	.end_amdhsa_kernel
	.section	.text._ZN9rocsolver6v33100L18getri_kernel_smallILi54E19rocblas_complex_numIfEPKPS3_EEvT1_iilPiilS8_bb,"axG",@progbits,_ZN9rocsolver6v33100L18getri_kernel_smallILi54E19rocblas_complex_numIfEPKPS3_EEvT1_iilPiilS8_bb,comdat
.Lfunc_end117:
	.size	_ZN9rocsolver6v33100L18getri_kernel_smallILi54E19rocblas_complex_numIfEPKPS3_EEvT1_iilPiilS8_bb, .Lfunc_end117-_ZN9rocsolver6v33100L18getri_kernel_smallILi54E19rocblas_complex_numIfEPKPS3_EEvT1_iilPiilS8_bb
                                        ; -- End function
	.set _ZN9rocsolver6v33100L18getri_kernel_smallILi54E19rocblas_complex_numIfEPKPS3_EEvT1_iilPiilS8_bb.num_vgpr, 252
	.set _ZN9rocsolver6v33100L18getri_kernel_smallILi54E19rocblas_complex_numIfEPKPS3_EEvT1_iilPiilS8_bb.num_agpr, 0
	.set _ZN9rocsolver6v33100L18getri_kernel_smallILi54E19rocblas_complex_numIfEPKPS3_EEvT1_iilPiilS8_bb.numbered_sgpr, 20
	.set _ZN9rocsolver6v33100L18getri_kernel_smallILi54E19rocblas_complex_numIfEPKPS3_EEvT1_iilPiilS8_bb.num_named_barrier, 0
	.set _ZN9rocsolver6v33100L18getri_kernel_smallILi54E19rocblas_complex_numIfEPKPS3_EEvT1_iilPiilS8_bb.private_seg_size, 448
	.set _ZN9rocsolver6v33100L18getri_kernel_smallILi54E19rocblas_complex_numIfEPKPS3_EEvT1_iilPiilS8_bb.uses_vcc, 1
	.set _ZN9rocsolver6v33100L18getri_kernel_smallILi54E19rocblas_complex_numIfEPKPS3_EEvT1_iilPiilS8_bb.uses_flat_scratch, 0
	.set _ZN9rocsolver6v33100L18getri_kernel_smallILi54E19rocblas_complex_numIfEPKPS3_EEvT1_iilPiilS8_bb.has_dyn_sized_stack, 0
	.set _ZN9rocsolver6v33100L18getri_kernel_smallILi54E19rocblas_complex_numIfEPKPS3_EEvT1_iilPiilS8_bb.has_recursion, 0
	.set _ZN9rocsolver6v33100L18getri_kernel_smallILi54E19rocblas_complex_numIfEPKPS3_EEvT1_iilPiilS8_bb.has_indirect_call, 0
	.section	.AMDGPU.csdata,"",@progbits
; Kernel info:
; codeLenInByte = 110488
; TotalNumSgprs: 22
; NumVgprs: 252
; ScratchSize: 448
; MemoryBound: 0
; FloatMode: 240
; IeeeMode: 1
; LDSByteSize: 868 bytes/workgroup (compile time only)
; SGPRBlocks: 0
; VGPRBlocks: 31
; NumSGPRsForWavesPerEU: 22
; NumVGPRsForWavesPerEU: 252
; Occupancy: 4
; WaveLimiterHint : 1
; COMPUTE_PGM_RSRC2:SCRATCH_EN: 1
; COMPUTE_PGM_RSRC2:USER_SGPR: 6
; COMPUTE_PGM_RSRC2:TRAP_HANDLER: 0
; COMPUTE_PGM_RSRC2:TGID_X_EN: 1
; COMPUTE_PGM_RSRC2:TGID_Y_EN: 0
; COMPUTE_PGM_RSRC2:TGID_Z_EN: 0
; COMPUTE_PGM_RSRC2:TIDIG_COMP_CNT: 0
	.section	.text._ZN9rocsolver6v33100L18getri_kernel_smallILi55E19rocblas_complex_numIfEPKPS3_EEvT1_iilPiilS8_bb,"axG",@progbits,_ZN9rocsolver6v33100L18getri_kernel_smallILi55E19rocblas_complex_numIfEPKPS3_EEvT1_iilPiilS8_bb,comdat
	.globl	_ZN9rocsolver6v33100L18getri_kernel_smallILi55E19rocblas_complex_numIfEPKPS3_EEvT1_iilPiilS8_bb ; -- Begin function _ZN9rocsolver6v33100L18getri_kernel_smallILi55E19rocblas_complex_numIfEPKPS3_EEvT1_iilPiilS8_bb
	.p2align	8
	.type	_ZN9rocsolver6v33100L18getri_kernel_smallILi55E19rocblas_complex_numIfEPKPS3_EEvT1_iilPiilS8_bb,@function
_ZN9rocsolver6v33100L18getri_kernel_smallILi55E19rocblas_complex_numIfEPKPS3_EEvT1_iilPiilS8_bb: ; @_ZN9rocsolver6v33100L18getri_kernel_smallILi55E19rocblas_complex_numIfEPKPS3_EEvT1_iilPiilS8_bb
; %bb.0:
	s_add_u32 s0, s0, s7
	s_addc_u32 s1, s1, 0
	s_mov_b32 s7, exec_lo
	v_cmpx_gt_u32_e32 55, v0
	s_cbranch_execz .LBB118_234
; %bb.1:
	s_clause 0x2
	s_load_dword s17, s[4:5], 0x38
	s_load_dwordx2 s[12:13], s[4:5], 0x0
	s_load_dwordx4 s[8:11], s[4:5], 0x28
	s_waitcnt lgkmcnt(0)
	s_bitcmp1_b32 s17, 8
	s_cselect_b32 s16, -1, 0
	s_ashr_i32 s7, s6, 31
	s_lshl_b64 s[14:15], s[6:7], 3
	s_add_u32 s12, s12, s14
	s_addc_u32 s13, s13, s15
	s_load_dwordx2 s[14:15], s[12:13], 0x0
	s_bfe_u32 s12, s17, 0x10008
	s_cmp_eq_u32 s12, 0
                                        ; implicit-def: $sgpr12_sgpr13
	s_cbranch_scc1 .LBB118_3
; %bb.2:
	s_clause 0x1
	s_load_dword s12, s[4:5], 0x20
	s_load_dwordx2 s[18:19], s[4:5], 0x18
	s_mul_i32 s13, s8, s7
	s_mul_hi_u32 s17, s8, s6
	s_mul_i32 s9, s9, s6
	s_add_i32 s13, s17, s13
	s_mul_i32 s8, s8, s6
	s_add_i32 s9, s13, s9
	s_lshl_b64 s[8:9], s[8:9], 2
	s_waitcnt lgkmcnt(0)
	s_ashr_i32 s13, s12, 31
	s_add_u32 s17, s18, s8
	s_addc_u32 s18, s19, s9
	s_lshl_b64 s[8:9], s[12:13], 2
	s_add_u32 s12, s17, s8
	s_addc_u32 s13, s18, s9
.LBB118_3:
	s_clause 0x1
	s_load_dwordx2 s[8:9], s[4:5], 0x8
	s_load_dword s17, s[4:5], 0x38
	v_lshlrev_b32_e32 v3, 3, v0
	s_waitcnt lgkmcnt(0)
	s_ashr_i32 s5, s8, 31
	s_mov_b32 s4, s8
	v_add3_u32 v4, s9, s9, v0
	s_lshl_b64 s[4:5], s[4:5], 3
	s_add_u32 s4, s14, s4
	s_addc_u32 s5, s15, s5
	v_add_co_u32 v12, s8, s4, v3
	v_add_co_ci_u32_e64 v13, null, s5, 0, s8
	s_mov_b32 s14, s9
	s_ashr_i32 s15, s9, 31
	v_ashrrev_i32_e32 v5, 31, v4
	flat_load_dwordx2 v[1:2], v[12:13]
	s_lshl_b64 s[14:15], s[14:15], 3
	s_bitcmp0_b32 s17, 0
	v_add_co_u32 v14, vcc_lo, v12, s14
	v_add_co_ci_u32_e64 v15, null, s15, v13, vcc_lo
	v_lshlrev_b64 v[5:6], 3, v[4:5]
	v_add_nc_u32_e32 v4, s9, v4
	s_waitcnt vmcnt(0) lgkmcnt(0)
	buffer_store_dword v2, off, s[0:3], 0 offset:4
	buffer_store_dword v1, off, s[0:3], 0
	flat_load_dwordx2 v[1:2], v[14:15]
	v_add_co_u32 v16, vcc_lo, s4, v5
	v_add_co_ci_u32_e64 v17, null, s5, v6, vcc_lo
	v_ashrrev_i32_e32 v5, 31, v4
	s_waitcnt vmcnt(0) lgkmcnt(0)
	buffer_store_dword v2, off, s[0:3], 0 offset:12
	buffer_store_dword v1, off, s[0:3], 0 offset:8
	flat_load_dwordx2 v[1:2], v[16:17]
	v_lshlrev_b64 v[5:6], 3, v[4:5]
	v_add_nc_u32_e32 v4, s9, v4
	s_waitcnt vmcnt(0) lgkmcnt(0)
	buffer_store_dword v2, off, s[0:3], 0 offset:20
	buffer_store_dword v1, off, s[0:3], 0 offset:16
	v_add_co_u32 v18, vcc_lo, s4, v5
	v_add_co_ci_u32_e64 v19, null, s5, v6, vcc_lo
	v_ashrrev_i32_e32 v5, 31, v4
	flat_load_dwordx2 v[1:2], v[18:19]
	s_waitcnt vmcnt(0) lgkmcnt(0)
	buffer_store_dword v2, off, s[0:3], 0 offset:28
	buffer_store_dword v1, off, s[0:3], 0 offset:24
	v_lshlrev_b64 v[5:6], 3, v[4:5]
	v_add_nc_u32_e32 v4, s9, v4
	v_add_co_u32 v20, vcc_lo, s4, v5
	v_add_co_ci_u32_e64 v21, null, s5, v6, vcc_lo
	v_ashrrev_i32_e32 v5, 31, v4
	flat_load_dwordx2 v[1:2], v[20:21]
	s_waitcnt vmcnt(0) lgkmcnt(0)
	buffer_store_dword v2, off, s[0:3], 0 offset:36
	buffer_store_dword v1, off, s[0:3], 0 offset:32
	v_lshlrev_b64 v[5:6], 3, v[4:5]
	v_add_nc_u32_e32 v4, s9, v4
	;; [unrolled: 9-line block ×50, first 2 shown]
	v_add_co_u32 v118, vcc_lo, s4, v5
	v_add_co_ci_u32_e64 v119, null, s5, v6, vcc_lo
	v_ashrrev_i32_e32 v5, 31, v4
	flat_load_dwordx2 v[1:2], v[118:119]
	s_waitcnt vmcnt(0) lgkmcnt(0)
	buffer_store_dword v2, off, s[0:3], 0 offset:428
	buffer_store_dword v1, off, s[0:3], 0 offset:424
	v_lshlrev_b64 v[4:5], 3, v[4:5]
	v_add_co_u32 v120, vcc_lo, s4, v4
	v_add_co_ci_u32_e64 v121, null, s5, v5, vcc_lo
	s_mov_b32 s5, -1
	flat_load_dwordx2 v[1:2], v[120:121]
	s_waitcnt vmcnt(0) lgkmcnt(0)
	buffer_store_dword v2, off, s[0:3], 0 offset:436
	buffer_store_dword v1, off, s[0:3], 0 offset:432
	s_cbranch_scc1 .LBB118_232
; %bb.4:
	v_cmp_eq_u32_e64 s4, 0, v0
	s_and_saveexec_b32 s5, s4
; %bb.5:
	v_mov_b32_e32 v1, 0
	ds_write_b32 v1, v1 offset:440
; %bb.6:
	s_or_b32 exec_lo, exec_lo, s5
	v_lshl_add_u32 v5, v0, 3, 0
	s_waitcnt lgkmcnt(0)
	s_waitcnt_vscnt null, 0x0
	s_barrier
	buffer_gl0_inv
	s_clause 0x1
	buffer_load_dword v1, v5, s[0:3], 0 offen
	buffer_load_dword v2, v5, s[0:3], 0 offen offset:4
	s_waitcnt vmcnt(1)
	v_cmp_eq_f32_e32 vcc_lo, 0, v1
	s_waitcnt vmcnt(0)
	v_cmp_eq_f32_e64 s5, 0, v2
	s_and_b32 s5, vcc_lo, s5
	s_and_saveexec_b32 s8, s5
	s_cbranch_execz .LBB118_10
; %bb.7:
	v_mov_b32_e32 v1, 0
	s_mov_b32 s9, 0
	ds_read_b32 v2, v1 offset:440
	s_waitcnt lgkmcnt(0)
	v_readfirstlane_b32 s5, v2
	v_add_nc_u32_e32 v2, 1, v0
	s_cmp_eq_u32 s5, 0
	v_cmp_gt_i32_e32 vcc_lo, s5, v2
	s_cselect_b32 s14, -1, 0
	s_or_b32 s14, s14, vcc_lo
	s_and_b32 exec_lo, exec_lo, s14
	s_cbranch_execz .LBB118_10
; %bb.8:
	v_mov_b32_e32 v4, s5
.LBB118_9:                              ; =>This Inner Loop Header: Depth=1
	ds_cmpst_rtn_b32 v4, v1, v4, v2 offset:440
	s_waitcnt lgkmcnt(0)
	v_cmp_ne_u32_e32 vcc_lo, 0, v4
	v_cmp_le_i32_e64 s5, v4, v2
	s_and_b32 s5, vcc_lo, s5
	s_and_b32 s5, exec_lo, s5
	s_or_b32 s9, s5, s9
	s_andn2_b32 exec_lo, exec_lo, s9
	s_cbranch_execnz .LBB118_9
.LBB118_10:
	s_or_b32 exec_lo, exec_lo, s8
	v_mov_b32_e32 v1, 0
	s_barrier
	buffer_gl0_inv
	ds_read_b32 v2, v1 offset:440
	s_and_saveexec_b32 s5, s4
	s_cbranch_execz .LBB118_12
; %bb.11:
	s_lshl_b64 s[8:9], s[6:7], 2
	s_add_u32 s8, s10, s8
	s_addc_u32 s9, s11, s9
	s_waitcnt lgkmcnt(0)
	global_store_dword v1, v2, s[8:9]
.LBB118_12:
	s_or_b32 exec_lo, exec_lo, s5
	s_waitcnt lgkmcnt(0)
	v_cmp_ne_u32_e32 vcc_lo, 0, v2
	s_mov_b32 s5, 0
	s_cbranch_vccnz .LBB118_232
; %bb.13:
	s_clause 0x1
	buffer_load_dword v2, v5, s[0:3], 0 offen
	buffer_load_dword v4, v5, s[0:3], 0 offen offset:4
                                        ; implicit-def: $vgpr7
                                        ; implicit-def: $vgpr6
                                        ; implicit-def: $vgpr1
	s_waitcnt vmcnt(0)
	v_cmp_ngt_f32_e64 s5, |v2|, |v4|
	s_and_saveexec_b32 s8, s5
	s_xor_b32 s5, exec_lo, s8
	s_cbranch_execz .LBB118_15
; %bb.14:
	v_div_scale_f32 v1, null, v4, v4, v2
	v_div_scale_f32 v8, vcc_lo, v2, v4, v2
	v_rcp_f32_e32 v6, v1
	v_fma_f32 v7, -v1, v6, 1.0
	v_fmac_f32_e32 v6, v7, v6
	v_mul_f32_e32 v7, v8, v6
	v_fma_f32 v9, -v1, v7, v8
	v_fmac_f32_e32 v7, v9, v6
	v_fma_f32 v1, -v1, v7, v8
	v_div_fmas_f32 v1, v1, v6, v7
	v_div_fixup_f32 v1, v1, v4, v2
	v_fmac_f32_e32 v4, v2, v1
	v_div_scale_f32 v2, null, v4, v4, 1.0
	v_rcp_f32_e32 v6, v2
	v_fma_f32 v7, -v2, v6, 1.0
	v_fmac_f32_e32 v6, v7, v6
	v_div_scale_f32 v7, vcc_lo, 1.0, v4, 1.0
	v_mul_f32_e32 v8, v7, v6
	v_fma_f32 v9, -v2, v8, v7
	v_fmac_f32_e32 v8, v9, v6
	v_fma_f32 v2, -v2, v8, v7
	v_div_fmas_f32 v2, v2, v6, v8
	v_div_fixup_f32 v2, v2, v4, 1.0
                                        ; implicit-def: $vgpr4
	v_mul_f32_e32 v7, v1, v2
	v_xor_b32_e32 v6, 0x80000000, v2
                                        ; implicit-def: $vgpr2
	v_xor_b32_e32 v1, 0x80000000, v7
.LBB118_15:
	s_andn2_saveexec_b32 s5, s5
	s_cbranch_execz .LBB118_17
; %bb.16:
	v_div_scale_f32 v1, null, v2, v2, v4
	v_div_scale_f32 v8, vcc_lo, v4, v2, v4
	v_rcp_f32_e32 v6, v1
	v_fma_f32 v7, -v1, v6, 1.0
	v_fmac_f32_e32 v6, v7, v6
	v_mul_f32_e32 v7, v8, v6
	v_fma_f32 v9, -v1, v7, v8
	v_fmac_f32_e32 v7, v9, v6
	v_fma_f32 v1, -v1, v7, v8
	v_div_fmas_f32 v1, v1, v6, v7
	v_div_fixup_f32 v6, v1, v2, v4
	v_fmac_f32_e32 v2, v4, v6
	v_div_scale_f32 v1, null, v2, v2, 1.0
	v_div_scale_f32 v8, vcc_lo, 1.0, v2, 1.0
	v_rcp_f32_e32 v4, v1
	v_fma_f32 v7, -v1, v4, 1.0
	v_fmac_f32_e32 v4, v7, v4
	v_mul_f32_e32 v7, v8, v4
	v_fma_f32 v9, -v1, v7, v8
	v_fmac_f32_e32 v7, v9, v4
	v_fma_f32 v1, -v1, v7, v8
	v_div_fmas_f32 v1, v1, v4, v7
	v_div_fixup_f32 v7, v1, v2, 1.0
	v_xor_b32_e32 v1, 0x80000000, v7
	v_mul_f32_e64 v6, v6, -v7
.LBB118_17:
	s_or_b32 exec_lo, exec_lo, s5
	buffer_store_dword v7, v5, s[0:3], 0 offen
	buffer_store_dword v6, v5, s[0:3], 0 offen offset:4
	s_clause 0x1
	buffer_load_dword v8, off, s[0:3], 0 offset:12
	buffer_load_dword v7, off, s[0:3], 0 offset:8
	v_xor_b32_e32 v2, 0x80000000, v6
	v_add_nc_u32_e32 v4, 0x1c0, v3
	s_waitcnt vmcnt(0)
	ds_write2_b64 v3, v[1:2], v[7:8] offset1:56
	s_waitcnt lgkmcnt(0)
	s_waitcnt_vscnt null, 0x0
	s_barrier
	buffer_gl0_inv
	s_and_saveexec_b32 s5, s4
	s_cbranch_execz .LBB118_19
; %bb.18:
	s_clause 0x1
	buffer_load_dword v8, v5, s[0:3], 0 offen offset:4
	buffer_load_dword v9, v5, s[0:3], 0 offen
	ds_read_b64 v[1:2], v4
	v_mov_b32_e32 v6, 0
	ds_read_b64 v[6:7], v6 offset:8
	s_waitcnt vmcnt(1) lgkmcnt(1)
	v_mul_f32_e32 v10, v1, v8
	v_mul_f32_e32 v8, v2, v8
	s_waitcnt vmcnt(0)
	v_fmac_f32_e32 v10, v2, v9
	v_fma_f32 v1, v1, v9, -v8
	v_add_f32_e32 v2, 0, v10
	v_add_f32_e32 v1, 0, v1
	s_waitcnt lgkmcnt(0)
	v_mul_f32_e32 v8, v2, v7
	v_mul_f32_e32 v7, v1, v7
	v_fma_f32 v1, v1, v6, -v8
	v_fmac_f32_e32 v7, v2, v6
	buffer_store_dword v1, off, s[0:3], 0 offset:8
	buffer_store_dword v7, off, s[0:3], 0 offset:12
.LBB118_19:
	s_or_b32 exec_lo, exec_lo, s5
	s_waitcnt_vscnt null, 0x0
	s_barrier
	buffer_gl0_inv
	s_clause 0x1
	buffer_load_dword v1, off, s[0:3], 0 offset:16
	buffer_load_dword v2, off, s[0:3], 0 offset:20
	s_mov_b32 s5, exec_lo
	s_waitcnt vmcnt(0)
	ds_write_b64 v4, v[1:2]
	s_waitcnt lgkmcnt(0)
	s_barrier
	buffer_gl0_inv
	v_cmpx_gt_u32_e32 2, v0
	s_cbranch_execz .LBB118_23
; %bb.20:
	s_clause 0x1
	buffer_load_dword v6, v5, s[0:3], 0 offen offset:4
	buffer_load_dword v5, v5, s[0:3], 0 offen
	ds_read_b64 v[1:2], v4
	s_waitcnt vmcnt(1) lgkmcnt(0)
	v_mul_f32_e32 v7, v2, v6
	v_mul_f32_e32 v6, v1, v6
	s_waitcnt vmcnt(0)
	v_fma_f32 v1, v1, v5, -v7
	v_fmac_f32_e32 v6, v2, v5
	v_add_f32_e32 v2, 0, v1
	v_add_f32_e32 v1, 0, v6
	s_and_saveexec_b32 s8, s4
	s_cbranch_execz .LBB118_22
; %bb.21:
	s_clause 0x1
	buffer_load_dword v7, off, s[0:3], 0 offset:12
	buffer_load_dword v8, off, s[0:3], 0 offset:8
	v_mov_b32_e32 v5, 0
	ds_read_b64 v[5:6], v5 offset:456
	s_waitcnt vmcnt(1) lgkmcnt(0)
	v_mul_f32_e32 v9, v5, v7
	v_mul_f32_e32 v7, v6, v7
	s_waitcnt vmcnt(0)
	v_fmac_f32_e32 v9, v6, v8
	v_fma_f32 v5, v5, v8, -v7
	v_add_f32_e32 v1, v1, v9
	v_add_f32_e32 v2, v2, v5
.LBB118_22:
	s_or_b32 exec_lo, exec_lo, s8
	v_mov_b32_e32 v5, 0
	ds_read_b64 v[5:6], v5 offset:16
	s_waitcnt lgkmcnt(0)
	v_mul_f32_e32 v7, v1, v6
	v_mul_f32_e32 v6, v2, v6
	v_fma_f32 v2, v2, v5, -v7
	v_fmac_f32_e32 v6, v1, v5
	buffer_store_dword v2, off, s[0:3], 0 offset:16
	buffer_store_dword v6, off, s[0:3], 0 offset:20
.LBB118_23:
	s_or_b32 exec_lo, exec_lo, s5
	s_waitcnt_vscnt null, 0x0
	s_barrier
	buffer_gl0_inv
	s_clause 0x1
	buffer_load_dword v5, off, s[0:3], 0 offset:24
	buffer_load_dword v6, off, s[0:3], 0 offset:28
	v_add_nc_u32_e32 v1, -1, v0
	s_mov_b32 s4, exec_lo
	s_waitcnt vmcnt(0)
	ds_write_b64 v4, v[5:6]
	s_waitcnt lgkmcnt(0)
	s_barrier
	buffer_gl0_inv
	v_cmpx_gt_u32_e32 3, v0
	s_cbranch_execz .LBB118_27
; %bb.24:
	v_add_nc_u32_e32 v5, -1, v0
	v_add_nc_u32_e32 v6, 0x1c0, v3
	v_mov_b32_e32 v7, v3
	v_mov_b32_e32 v2, 0
	v_mov_b32_e32 v8, 0
	s_mov_b32 s5, 0
	.p2align	6
.LBB118_25:                             ; =>This Inner Loop Header: Depth=1
	s_clause 0x1
	buffer_load_dword v11, v7, s[0:3], 0 offen offset:4
	buffer_load_dword v122, v7, s[0:3], 0 offen
	ds_read_b64 v[9:10], v6
	v_add_nc_u32_e32 v5, 1, v5
	v_add_nc_u32_e32 v6, 8, v6
	;; [unrolled: 1-line block ×3, first 2 shown]
	v_cmp_lt_u32_e32 vcc_lo, 1, v5
	s_or_b32 s5, vcc_lo, s5
	s_waitcnt vmcnt(1) lgkmcnt(0)
	v_mul_f32_e32 v123, v10, v11
	v_mul_f32_e32 v11, v9, v11
	s_waitcnt vmcnt(0)
	v_fma_f32 v9, v9, v122, -v123
	v_fmac_f32_e32 v11, v10, v122
	v_add_f32_e32 v8, v8, v9
	v_add_f32_e32 v2, v2, v11
	s_andn2_b32 exec_lo, exec_lo, s5
	s_cbranch_execnz .LBB118_25
; %bb.26:
	s_or_b32 exec_lo, exec_lo, s5
	v_mov_b32_e32 v5, 0
	ds_read_b64 v[5:6], v5 offset:24
	s_waitcnt lgkmcnt(0)
	v_mul_f32_e32 v7, v2, v6
	v_mul_f32_e32 v6, v8, v6
	v_fma_f32 v7, v8, v5, -v7
	v_fmac_f32_e32 v6, v2, v5
	buffer_store_dword v7, off, s[0:3], 0 offset:24
	buffer_store_dword v6, off, s[0:3], 0 offset:28
.LBB118_27:
	s_or_b32 exec_lo, exec_lo, s4
	s_waitcnt_vscnt null, 0x0
	s_barrier
	buffer_gl0_inv
	s_clause 0x1
	buffer_load_dword v5, off, s[0:3], 0 offset:32
	buffer_load_dword v6, off, s[0:3], 0 offset:36
	s_mov_b32 s4, exec_lo
	s_waitcnt vmcnt(0)
	ds_write_b64 v4, v[5:6]
	s_waitcnt lgkmcnt(0)
	s_barrier
	buffer_gl0_inv
	v_cmpx_gt_u32_e32 4, v0
	s_cbranch_execz .LBB118_31
; %bb.28:
	v_add_nc_u32_e32 v5, -1, v0
	v_add_nc_u32_e32 v6, 0x1c0, v3
	v_mov_b32_e32 v7, v3
	v_mov_b32_e32 v2, 0
	;; [unrolled: 1-line block ×3, first 2 shown]
	s_mov_b32 s5, 0
	.p2align	6
.LBB118_29:                             ; =>This Inner Loop Header: Depth=1
	s_clause 0x1
	buffer_load_dword v11, v7, s[0:3], 0 offen offset:4
	buffer_load_dword v122, v7, s[0:3], 0 offen
	ds_read_b64 v[9:10], v6
	v_add_nc_u32_e32 v5, 1, v5
	v_add_nc_u32_e32 v6, 8, v6
	;; [unrolled: 1-line block ×3, first 2 shown]
	v_cmp_lt_u32_e32 vcc_lo, 2, v5
	s_or_b32 s5, vcc_lo, s5
	s_waitcnt vmcnt(1) lgkmcnt(0)
	v_mul_f32_e32 v123, v10, v11
	v_mul_f32_e32 v11, v9, v11
	s_waitcnt vmcnt(0)
	v_fma_f32 v9, v9, v122, -v123
	v_fmac_f32_e32 v11, v10, v122
	v_add_f32_e32 v8, v8, v9
	v_add_f32_e32 v2, v2, v11
	s_andn2_b32 exec_lo, exec_lo, s5
	s_cbranch_execnz .LBB118_29
; %bb.30:
	s_or_b32 exec_lo, exec_lo, s5
	v_mov_b32_e32 v5, 0
	ds_read_b64 v[5:6], v5 offset:32
	s_waitcnt lgkmcnt(0)
	v_mul_f32_e32 v7, v2, v6
	v_mul_f32_e32 v6, v8, v6
	v_fma_f32 v7, v8, v5, -v7
	v_fmac_f32_e32 v6, v2, v5
	buffer_store_dword v7, off, s[0:3], 0 offset:32
	buffer_store_dword v6, off, s[0:3], 0 offset:36
.LBB118_31:
	s_or_b32 exec_lo, exec_lo, s4
	s_waitcnt_vscnt null, 0x0
	s_barrier
	buffer_gl0_inv
	s_clause 0x1
	buffer_load_dword v5, off, s[0:3], 0 offset:40
	buffer_load_dword v6, off, s[0:3], 0 offset:44
	s_mov_b32 s4, exec_lo
	s_waitcnt vmcnt(0)
	ds_write_b64 v4, v[5:6]
	s_waitcnt lgkmcnt(0)
	s_barrier
	buffer_gl0_inv
	v_cmpx_gt_u32_e32 5, v0
	s_cbranch_execz .LBB118_35
; %bb.32:
	v_add_nc_u32_e32 v5, -1, v0
	v_add_nc_u32_e32 v6, 0x1c0, v3
	v_mov_b32_e32 v7, v3
	v_mov_b32_e32 v2, 0
	;; [unrolled: 1-line block ×3, first 2 shown]
	s_mov_b32 s5, 0
	.p2align	6
.LBB118_33:                             ; =>This Inner Loop Header: Depth=1
	s_clause 0x1
	buffer_load_dword v11, v7, s[0:3], 0 offen offset:4
	buffer_load_dword v122, v7, s[0:3], 0 offen
	ds_read_b64 v[9:10], v6
	v_add_nc_u32_e32 v5, 1, v5
	v_add_nc_u32_e32 v6, 8, v6
	;; [unrolled: 1-line block ×3, first 2 shown]
	v_cmp_lt_u32_e32 vcc_lo, 3, v5
	s_or_b32 s5, vcc_lo, s5
	s_waitcnt vmcnt(1) lgkmcnt(0)
	v_mul_f32_e32 v123, v10, v11
	v_mul_f32_e32 v11, v9, v11
	s_waitcnt vmcnt(0)
	v_fma_f32 v9, v9, v122, -v123
	v_fmac_f32_e32 v11, v10, v122
	v_add_f32_e32 v8, v8, v9
	v_add_f32_e32 v2, v2, v11
	s_andn2_b32 exec_lo, exec_lo, s5
	s_cbranch_execnz .LBB118_33
; %bb.34:
	s_or_b32 exec_lo, exec_lo, s5
	v_mov_b32_e32 v5, 0
	ds_read_b64 v[5:6], v5 offset:40
	s_waitcnt lgkmcnt(0)
	v_mul_f32_e32 v7, v2, v6
	v_mul_f32_e32 v6, v8, v6
	v_fma_f32 v7, v8, v5, -v7
	v_fmac_f32_e32 v6, v2, v5
	buffer_store_dword v7, off, s[0:3], 0 offset:40
	buffer_store_dword v6, off, s[0:3], 0 offset:44
.LBB118_35:
	s_or_b32 exec_lo, exec_lo, s4
	s_waitcnt_vscnt null, 0x0
	s_barrier
	buffer_gl0_inv
	s_clause 0x1
	buffer_load_dword v5, off, s[0:3], 0 offset:48
	buffer_load_dword v6, off, s[0:3], 0 offset:52
	s_mov_b32 s4, exec_lo
	s_waitcnt vmcnt(0)
	ds_write_b64 v4, v[5:6]
	s_waitcnt lgkmcnt(0)
	s_barrier
	buffer_gl0_inv
	v_cmpx_gt_u32_e32 6, v0
	s_cbranch_execz .LBB118_39
; %bb.36:
	v_add_nc_u32_e32 v5, -1, v0
	v_add_nc_u32_e32 v6, 0x1c0, v3
	v_mov_b32_e32 v7, v3
	v_mov_b32_e32 v2, 0
	v_mov_b32_e32 v8, 0
	s_mov_b32 s5, 0
	.p2align	6
.LBB118_37:                             ; =>This Inner Loop Header: Depth=1
	s_clause 0x1
	buffer_load_dword v11, v7, s[0:3], 0 offen offset:4
	buffer_load_dword v122, v7, s[0:3], 0 offen
	ds_read_b64 v[9:10], v6
	v_add_nc_u32_e32 v5, 1, v5
	v_add_nc_u32_e32 v6, 8, v6
	;; [unrolled: 1-line block ×3, first 2 shown]
	v_cmp_lt_u32_e32 vcc_lo, 4, v5
	s_or_b32 s5, vcc_lo, s5
	s_waitcnt vmcnt(1) lgkmcnt(0)
	v_mul_f32_e32 v123, v10, v11
	v_mul_f32_e32 v11, v9, v11
	s_waitcnt vmcnt(0)
	v_fma_f32 v9, v9, v122, -v123
	v_fmac_f32_e32 v11, v10, v122
	v_add_f32_e32 v8, v8, v9
	v_add_f32_e32 v2, v2, v11
	s_andn2_b32 exec_lo, exec_lo, s5
	s_cbranch_execnz .LBB118_37
; %bb.38:
	s_or_b32 exec_lo, exec_lo, s5
	v_mov_b32_e32 v5, 0
	ds_read_b64 v[5:6], v5 offset:48
	s_waitcnt lgkmcnt(0)
	v_mul_f32_e32 v7, v2, v6
	v_mul_f32_e32 v6, v8, v6
	v_fma_f32 v7, v8, v5, -v7
	v_fmac_f32_e32 v6, v2, v5
	buffer_store_dword v7, off, s[0:3], 0 offset:48
	buffer_store_dword v6, off, s[0:3], 0 offset:52
.LBB118_39:
	s_or_b32 exec_lo, exec_lo, s4
	s_waitcnt_vscnt null, 0x0
	s_barrier
	buffer_gl0_inv
	s_clause 0x1
	buffer_load_dword v5, off, s[0:3], 0 offset:56
	buffer_load_dword v6, off, s[0:3], 0 offset:60
	s_mov_b32 s4, exec_lo
	s_waitcnt vmcnt(0)
	ds_write_b64 v4, v[5:6]
	s_waitcnt lgkmcnt(0)
	s_barrier
	buffer_gl0_inv
	v_cmpx_gt_u32_e32 7, v0
	s_cbranch_execz .LBB118_43
; %bb.40:
	v_add_nc_u32_e32 v5, -1, v0
	v_add_nc_u32_e32 v6, 0x1c0, v3
	v_mov_b32_e32 v7, v3
	v_mov_b32_e32 v2, 0
	v_mov_b32_e32 v8, 0
	s_mov_b32 s5, 0
	.p2align	6
.LBB118_41:                             ; =>This Inner Loop Header: Depth=1
	s_clause 0x1
	buffer_load_dword v11, v7, s[0:3], 0 offen offset:4
	buffer_load_dword v122, v7, s[0:3], 0 offen
	ds_read_b64 v[9:10], v6
	v_add_nc_u32_e32 v5, 1, v5
	v_add_nc_u32_e32 v6, 8, v6
	;; [unrolled: 1-line block ×3, first 2 shown]
	v_cmp_lt_u32_e32 vcc_lo, 5, v5
	s_or_b32 s5, vcc_lo, s5
	s_waitcnt vmcnt(1) lgkmcnt(0)
	v_mul_f32_e32 v123, v10, v11
	v_mul_f32_e32 v11, v9, v11
	s_waitcnt vmcnt(0)
	v_fma_f32 v9, v9, v122, -v123
	v_fmac_f32_e32 v11, v10, v122
	v_add_f32_e32 v8, v8, v9
	v_add_f32_e32 v2, v2, v11
	s_andn2_b32 exec_lo, exec_lo, s5
	s_cbranch_execnz .LBB118_41
; %bb.42:
	s_or_b32 exec_lo, exec_lo, s5
	v_mov_b32_e32 v5, 0
	ds_read_b64 v[5:6], v5 offset:56
	s_waitcnt lgkmcnt(0)
	v_mul_f32_e32 v7, v2, v6
	v_mul_f32_e32 v6, v8, v6
	v_fma_f32 v7, v8, v5, -v7
	v_fmac_f32_e32 v6, v2, v5
	buffer_store_dword v7, off, s[0:3], 0 offset:56
	buffer_store_dword v6, off, s[0:3], 0 offset:60
.LBB118_43:
	s_or_b32 exec_lo, exec_lo, s4
	s_waitcnt_vscnt null, 0x0
	s_barrier
	buffer_gl0_inv
	s_clause 0x1
	buffer_load_dword v5, off, s[0:3], 0 offset:64
	buffer_load_dword v6, off, s[0:3], 0 offset:68
	s_mov_b32 s4, exec_lo
	s_waitcnt vmcnt(0)
	ds_write_b64 v4, v[5:6]
	s_waitcnt lgkmcnt(0)
	s_barrier
	buffer_gl0_inv
	v_cmpx_gt_u32_e32 8, v0
	s_cbranch_execz .LBB118_47
; %bb.44:
	v_add_nc_u32_e32 v5, -1, v0
	v_add_nc_u32_e32 v6, 0x1c0, v3
	v_mov_b32_e32 v7, v3
	v_mov_b32_e32 v2, 0
	;; [unrolled: 1-line block ×3, first 2 shown]
	s_mov_b32 s5, 0
	.p2align	6
.LBB118_45:                             ; =>This Inner Loop Header: Depth=1
	s_clause 0x1
	buffer_load_dword v11, v7, s[0:3], 0 offen offset:4
	buffer_load_dword v122, v7, s[0:3], 0 offen
	ds_read_b64 v[9:10], v6
	v_add_nc_u32_e32 v5, 1, v5
	v_add_nc_u32_e32 v6, 8, v6
	;; [unrolled: 1-line block ×3, first 2 shown]
	v_cmp_lt_u32_e32 vcc_lo, 6, v5
	s_or_b32 s5, vcc_lo, s5
	s_waitcnt vmcnt(1) lgkmcnt(0)
	v_mul_f32_e32 v123, v10, v11
	v_mul_f32_e32 v11, v9, v11
	s_waitcnt vmcnt(0)
	v_fma_f32 v9, v9, v122, -v123
	v_fmac_f32_e32 v11, v10, v122
	v_add_f32_e32 v8, v8, v9
	v_add_f32_e32 v2, v2, v11
	s_andn2_b32 exec_lo, exec_lo, s5
	s_cbranch_execnz .LBB118_45
; %bb.46:
	s_or_b32 exec_lo, exec_lo, s5
	v_mov_b32_e32 v5, 0
	ds_read_b64 v[5:6], v5 offset:64
	s_waitcnt lgkmcnt(0)
	v_mul_f32_e32 v7, v2, v6
	v_mul_f32_e32 v6, v8, v6
	v_fma_f32 v7, v8, v5, -v7
	v_fmac_f32_e32 v6, v2, v5
	buffer_store_dword v7, off, s[0:3], 0 offset:64
	buffer_store_dword v6, off, s[0:3], 0 offset:68
.LBB118_47:
	s_or_b32 exec_lo, exec_lo, s4
	s_waitcnt_vscnt null, 0x0
	s_barrier
	buffer_gl0_inv
	s_clause 0x1
	buffer_load_dword v5, off, s[0:3], 0 offset:72
	buffer_load_dword v6, off, s[0:3], 0 offset:76
	s_mov_b32 s4, exec_lo
	s_waitcnt vmcnt(0)
	ds_write_b64 v4, v[5:6]
	s_waitcnt lgkmcnt(0)
	s_barrier
	buffer_gl0_inv
	v_cmpx_gt_u32_e32 9, v0
	s_cbranch_execz .LBB118_51
; %bb.48:
	v_add_nc_u32_e32 v5, -1, v0
	v_add_nc_u32_e32 v6, 0x1c0, v3
	v_mov_b32_e32 v7, v3
	v_mov_b32_e32 v2, 0
	;; [unrolled: 1-line block ×3, first 2 shown]
	s_mov_b32 s5, 0
	.p2align	6
.LBB118_49:                             ; =>This Inner Loop Header: Depth=1
	s_clause 0x1
	buffer_load_dword v11, v7, s[0:3], 0 offen offset:4
	buffer_load_dword v122, v7, s[0:3], 0 offen
	ds_read_b64 v[9:10], v6
	v_add_nc_u32_e32 v5, 1, v5
	v_add_nc_u32_e32 v6, 8, v6
	;; [unrolled: 1-line block ×3, first 2 shown]
	v_cmp_lt_u32_e32 vcc_lo, 7, v5
	s_or_b32 s5, vcc_lo, s5
	s_waitcnt vmcnt(1) lgkmcnt(0)
	v_mul_f32_e32 v123, v10, v11
	v_mul_f32_e32 v11, v9, v11
	s_waitcnt vmcnt(0)
	v_fma_f32 v9, v9, v122, -v123
	v_fmac_f32_e32 v11, v10, v122
	v_add_f32_e32 v8, v8, v9
	v_add_f32_e32 v2, v2, v11
	s_andn2_b32 exec_lo, exec_lo, s5
	s_cbranch_execnz .LBB118_49
; %bb.50:
	s_or_b32 exec_lo, exec_lo, s5
	v_mov_b32_e32 v5, 0
	ds_read_b64 v[5:6], v5 offset:72
	s_waitcnt lgkmcnt(0)
	v_mul_f32_e32 v7, v2, v6
	v_mul_f32_e32 v6, v8, v6
	v_fma_f32 v7, v8, v5, -v7
	v_fmac_f32_e32 v6, v2, v5
	buffer_store_dword v7, off, s[0:3], 0 offset:72
	buffer_store_dword v6, off, s[0:3], 0 offset:76
.LBB118_51:
	s_or_b32 exec_lo, exec_lo, s4
	s_waitcnt_vscnt null, 0x0
	s_barrier
	buffer_gl0_inv
	s_clause 0x1
	buffer_load_dword v5, off, s[0:3], 0 offset:80
	buffer_load_dword v6, off, s[0:3], 0 offset:84
	s_mov_b32 s4, exec_lo
	s_waitcnt vmcnt(0)
	ds_write_b64 v4, v[5:6]
	s_waitcnt lgkmcnt(0)
	s_barrier
	buffer_gl0_inv
	v_cmpx_gt_u32_e32 10, v0
	s_cbranch_execz .LBB118_55
; %bb.52:
	v_add_nc_u32_e32 v5, -1, v0
	v_add_nc_u32_e32 v6, 0x1c0, v3
	v_mov_b32_e32 v7, v3
	v_mov_b32_e32 v2, 0
	;; [unrolled: 1-line block ×3, first 2 shown]
	s_mov_b32 s5, 0
	.p2align	6
.LBB118_53:                             ; =>This Inner Loop Header: Depth=1
	s_clause 0x1
	buffer_load_dword v11, v7, s[0:3], 0 offen offset:4
	buffer_load_dword v122, v7, s[0:3], 0 offen
	ds_read_b64 v[9:10], v6
	v_add_nc_u32_e32 v5, 1, v5
	v_add_nc_u32_e32 v6, 8, v6
	;; [unrolled: 1-line block ×3, first 2 shown]
	v_cmp_lt_u32_e32 vcc_lo, 8, v5
	s_or_b32 s5, vcc_lo, s5
	s_waitcnt vmcnt(1) lgkmcnt(0)
	v_mul_f32_e32 v123, v10, v11
	v_mul_f32_e32 v11, v9, v11
	s_waitcnt vmcnt(0)
	v_fma_f32 v9, v9, v122, -v123
	v_fmac_f32_e32 v11, v10, v122
	v_add_f32_e32 v8, v8, v9
	v_add_f32_e32 v2, v2, v11
	s_andn2_b32 exec_lo, exec_lo, s5
	s_cbranch_execnz .LBB118_53
; %bb.54:
	s_or_b32 exec_lo, exec_lo, s5
	v_mov_b32_e32 v5, 0
	ds_read_b64 v[5:6], v5 offset:80
	s_waitcnt lgkmcnt(0)
	v_mul_f32_e32 v7, v2, v6
	v_mul_f32_e32 v6, v8, v6
	v_fma_f32 v7, v8, v5, -v7
	v_fmac_f32_e32 v6, v2, v5
	buffer_store_dword v7, off, s[0:3], 0 offset:80
	buffer_store_dword v6, off, s[0:3], 0 offset:84
.LBB118_55:
	s_or_b32 exec_lo, exec_lo, s4
	s_waitcnt_vscnt null, 0x0
	s_barrier
	buffer_gl0_inv
	s_clause 0x1
	buffer_load_dword v5, off, s[0:3], 0 offset:88
	buffer_load_dword v6, off, s[0:3], 0 offset:92
	s_mov_b32 s4, exec_lo
	s_waitcnt vmcnt(0)
	ds_write_b64 v4, v[5:6]
	s_waitcnt lgkmcnt(0)
	s_barrier
	buffer_gl0_inv
	v_cmpx_gt_u32_e32 11, v0
	s_cbranch_execz .LBB118_59
; %bb.56:
	v_add_nc_u32_e32 v5, -1, v0
	v_add_nc_u32_e32 v6, 0x1c0, v3
	v_mov_b32_e32 v7, v3
	v_mov_b32_e32 v2, 0
	;; [unrolled: 1-line block ×3, first 2 shown]
	s_mov_b32 s5, 0
	.p2align	6
.LBB118_57:                             ; =>This Inner Loop Header: Depth=1
	s_clause 0x1
	buffer_load_dword v11, v7, s[0:3], 0 offen offset:4
	buffer_load_dword v122, v7, s[0:3], 0 offen
	ds_read_b64 v[9:10], v6
	v_add_nc_u32_e32 v5, 1, v5
	v_add_nc_u32_e32 v6, 8, v6
	v_add_nc_u32_e32 v7, 8, v7
	v_cmp_lt_u32_e32 vcc_lo, 9, v5
	s_or_b32 s5, vcc_lo, s5
	s_waitcnt vmcnt(1) lgkmcnt(0)
	v_mul_f32_e32 v123, v10, v11
	v_mul_f32_e32 v11, v9, v11
	s_waitcnt vmcnt(0)
	v_fma_f32 v9, v9, v122, -v123
	v_fmac_f32_e32 v11, v10, v122
	v_add_f32_e32 v8, v8, v9
	v_add_f32_e32 v2, v2, v11
	s_andn2_b32 exec_lo, exec_lo, s5
	s_cbranch_execnz .LBB118_57
; %bb.58:
	s_or_b32 exec_lo, exec_lo, s5
	v_mov_b32_e32 v5, 0
	ds_read_b64 v[5:6], v5 offset:88
	s_waitcnt lgkmcnt(0)
	v_mul_f32_e32 v7, v2, v6
	v_mul_f32_e32 v6, v8, v6
	v_fma_f32 v7, v8, v5, -v7
	v_fmac_f32_e32 v6, v2, v5
	buffer_store_dword v7, off, s[0:3], 0 offset:88
	buffer_store_dword v6, off, s[0:3], 0 offset:92
.LBB118_59:
	s_or_b32 exec_lo, exec_lo, s4
	s_waitcnt_vscnt null, 0x0
	s_barrier
	buffer_gl0_inv
	s_clause 0x1
	buffer_load_dword v5, off, s[0:3], 0 offset:96
	buffer_load_dword v6, off, s[0:3], 0 offset:100
	s_mov_b32 s4, exec_lo
	s_waitcnt vmcnt(0)
	ds_write_b64 v4, v[5:6]
	s_waitcnt lgkmcnt(0)
	s_barrier
	buffer_gl0_inv
	v_cmpx_gt_u32_e32 12, v0
	s_cbranch_execz .LBB118_63
; %bb.60:
	v_add_nc_u32_e32 v5, -1, v0
	v_add_nc_u32_e32 v6, 0x1c0, v3
	v_mov_b32_e32 v7, v3
	v_mov_b32_e32 v2, 0
	v_mov_b32_e32 v8, 0
	s_mov_b32 s5, 0
	.p2align	6
.LBB118_61:                             ; =>This Inner Loop Header: Depth=1
	s_clause 0x1
	buffer_load_dword v11, v7, s[0:3], 0 offen offset:4
	buffer_load_dword v122, v7, s[0:3], 0 offen
	ds_read_b64 v[9:10], v6
	v_add_nc_u32_e32 v5, 1, v5
	v_add_nc_u32_e32 v6, 8, v6
	;; [unrolled: 1-line block ×3, first 2 shown]
	v_cmp_lt_u32_e32 vcc_lo, 10, v5
	s_or_b32 s5, vcc_lo, s5
	s_waitcnt vmcnt(1) lgkmcnt(0)
	v_mul_f32_e32 v123, v10, v11
	v_mul_f32_e32 v11, v9, v11
	s_waitcnt vmcnt(0)
	v_fma_f32 v9, v9, v122, -v123
	v_fmac_f32_e32 v11, v10, v122
	v_add_f32_e32 v8, v8, v9
	v_add_f32_e32 v2, v2, v11
	s_andn2_b32 exec_lo, exec_lo, s5
	s_cbranch_execnz .LBB118_61
; %bb.62:
	s_or_b32 exec_lo, exec_lo, s5
	v_mov_b32_e32 v5, 0
	ds_read_b64 v[5:6], v5 offset:96
	s_waitcnt lgkmcnt(0)
	v_mul_f32_e32 v7, v2, v6
	v_mul_f32_e32 v6, v8, v6
	v_fma_f32 v7, v8, v5, -v7
	v_fmac_f32_e32 v6, v2, v5
	buffer_store_dword v7, off, s[0:3], 0 offset:96
	buffer_store_dword v6, off, s[0:3], 0 offset:100
.LBB118_63:
	s_or_b32 exec_lo, exec_lo, s4
	s_waitcnt_vscnt null, 0x0
	s_barrier
	buffer_gl0_inv
	s_clause 0x1
	buffer_load_dword v5, off, s[0:3], 0 offset:104
	buffer_load_dword v6, off, s[0:3], 0 offset:108
	s_mov_b32 s4, exec_lo
	s_waitcnt vmcnt(0)
	ds_write_b64 v4, v[5:6]
	s_waitcnt lgkmcnt(0)
	s_barrier
	buffer_gl0_inv
	v_cmpx_gt_u32_e32 13, v0
	s_cbranch_execz .LBB118_67
; %bb.64:
	v_add_nc_u32_e32 v5, -1, v0
	v_add_nc_u32_e32 v6, 0x1c0, v3
	v_mov_b32_e32 v7, v3
	v_mov_b32_e32 v2, 0
	;; [unrolled: 1-line block ×3, first 2 shown]
	s_mov_b32 s5, 0
	.p2align	6
.LBB118_65:                             ; =>This Inner Loop Header: Depth=1
	s_clause 0x1
	buffer_load_dword v11, v7, s[0:3], 0 offen offset:4
	buffer_load_dword v122, v7, s[0:3], 0 offen
	ds_read_b64 v[9:10], v6
	v_add_nc_u32_e32 v5, 1, v5
	v_add_nc_u32_e32 v6, 8, v6
	;; [unrolled: 1-line block ×3, first 2 shown]
	v_cmp_lt_u32_e32 vcc_lo, 11, v5
	s_or_b32 s5, vcc_lo, s5
	s_waitcnt vmcnt(1) lgkmcnt(0)
	v_mul_f32_e32 v123, v10, v11
	v_mul_f32_e32 v11, v9, v11
	s_waitcnt vmcnt(0)
	v_fma_f32 v9, v9, v122, -v123
	v_fmac_f32_e32 v11, v10, v122
	v_add_f32_e32 v8, v8, v9
	v_add_f32_e32 v2, v2, v11
	s_andn2_b32 exec_lo, exec_lo, s5
	s_cbranch_execnz .LBB118_65
; %bb.66:
	s_or_b32 exec_lo, exec_lo, s5
	v_mov_b32_e32 v5, 0
	ds_read_b64 v[5:6], v5 offset:104
	s_waitcnt lgkmcnt(0)
	v_mul_f32_e32 v7, v2, v6
	v_mul_f32_e32 v6, v8, v6
	v_fma_f32 v7, v8, v5, -v7
	v_fmac_f32_e32 v6, v2, v5
	buffer_store_dword v7, off, s[0:3], 0 offset:104
	buffer_store_dword v6, off, s[0:3], 0 offset:108
.LBB118_67:
	s_or_b32 exec_lo, exec_lo, s4
	s_waitcnt_vscnt null, 0x0
	s_barrier
	buffer_gl0_inv
	s_clause 0x1
	buffer_load_dword v5, off, s[0:3], 0 offset:112
	buffer_load_dword v6, off, s[0:3], 0 offset:116
	s_mov_b32 s4, exec_lo
	s_waitcnt vmcnt(0)
	ds_write_b64 v4, v[5:6]
	s_waitcnt lgkmcnt(0)
	s_barrier
	buffer_gl0_inv
	v_cmpx_gt_u32_e32 14, v0
	s_cbranch_execz .LBB118_71
; %bb.68:
	v_add_nc_u32_e32 v5, -1, v0
	v_add_nc_u32_e32 v6, 0x1c0, v3
	v_mov_b32_e32 v7, v3
	v_mov_b32_e32 v2, 0
	;; [unrolled: 1-line block ×3, first 2 shown]
	s_mov_b32 s5, 0
	.p2align	6
.LBB118_69:                             ; =>This Inner Loop Header: Depth=1
	s_clause 0x1
	buffer_load_dword v11, v7, s[0:3], 0 offen offset:4
	buffer_load_dword v122, v7, s[0:3], 0 offen
	ds_read_b64 v[9:10], v6
	v_add_nc_u32_e32 v5, 1, v5
	v_add_nc_u32_e32 v6, 8, v6
	;; [unrolled: 1-line block ×3, first 2 shown]
	v_cmp_lt_u32_e32 vcc_lo, 12, v5
	s_or_b32 s5, vcc_lo, s5
	s_waitcnt vmcnt(1) lgkmcnt(0)
	v_mul_f32_e32 v123, v10, v11
	v_mul_f32_e32 v11, v9, v11
	s_waitcnt vmcnt(0)
	v_fma_f32 v9, v9, v122, -v123
	v_fmac_f32_e32 v11, v10, v122
	v_add_f32_e32 v8, v8, v9
	v_add_f32_e32 v2, v2, v11
	s_andn2_b32 exec_lo, exec_lo, s5
	s_cbranch_execnz .LBB118_69
; %bb.70:
	s_or_b32 exec_lo, exec_lo, s5
	v_mov_b32_e32 v5, 0
	ds_read_b64 v[5:6], v5 offset:112
	s_waitcnt lgkmcnt(0)
	v_mul_f32_e32 v7, v2, v6
	v_mul_f32_e32 v6, v8, v6
	v_fma_f32 v7, v8, v5, -v7
	v_fmac_f32_e32 v6, v2, v5
	buffer_store_dword v7, off, s[0:3], 0 offset:112
	buffer_store_dword v6, off, s[0:3], 0 offset:116
.LBB118_71:
	s_or_b32 exec_lo, exec_lo, s4
	s_waitcnt_vscnt null, 0x0
	s_barrier
	buffer_gl0_inv
	s_clause 0x1
	buffer_load_dword v5, off, s[0:3], 0 offset:120
	buffer_load_dword v6, off, s[0:3], 0 offset:124
	s_mov_b32 s4, exec_lo
	s_waitcnt vmcnt(0)
	ds_write_b64 v4, v[5:6]
	s_waitcnt lgkmcnt(0)
	s_barrier
	buffer_gl0_inv
	v_cmpx_gt_u32_e32 15, v0
	s_cbranch_execz .LBB118_75
; %bb.72:
	v_add_nc_u32_e32 v5, -1, v0
	v_add_nc_u32_e32 v6, 0x1c0, v3
	v_mov_b32_e32 v7, v3
	v_mov_b32_e32 v2, 0
	;; [unrolled: 1-line block ×3, first 2 shown]
	s_mov_b32 s5, 0
	.p2align	6
.LBB118_73:                             ; =>This Inner Loop Header: Depth=1
	s_clause 0x1
	buffer_load_dword v11, v7, s[0:3], 0 offen offset:4
	buffer_load_dword v122, v7, s[0:3], 0 offen
	ds_read_b64 v[9:10], v6
	v_add_nc_u32_e32 v5, 1, v5
	v_add_nc_u32_e32 v6, 8, v6
	;; [unrolled: 1-line block ×3, first 2 shown]
	v_cmp_lt_u32_e32 vcc_lo, 13, v5
	s_or_b32 s5, vcc_lo, s5
	s_waitcnt vmcnt(1) lgkmcnt(0)
	v_mul_f32_e32 v123, v10, v11
	v_mul_f32_e32 v11, v9, v11
	s_waitcnt vmcnt(0)
	v_fma_f32 v9, v9, v122, -v123
	v_fmac_f32_e32 v11, v10, v122
	v_add_f32_e32 v8, v8, v9
	v_add_f32_e32 v2, v2, v11
	s_andn2_b32 exec_lo, exec_lo, s5
	s_cbranch_execnz .LBB118_73
; %bb.74:
	s_or_b32 exec_lo, exec_lo, s5
	v_mov_b32_e32 v5, 0
	ds_read_b64 v[5:6], v5 offset:120
	s_waitcnt lgkmcnt(0)
	v_mul_f32_e32 v7, v2, v6
	v_mul_f32_e32 v6, v8, v6
	v_fma_f32 v7, v8, v5, -v7
	v_fmac_f32_e32 v6, v2, v5
	buffer_store_dword v7, off, s[0:3], 0 offset:120
	buffer_store_dword v6, off, s[0:3], 0 offset:124
.LBB118_75:
	s_or_b32 exec_lo, exec_lo, s4
	s_waitcnt_vscnt null, 0x0
	s_barrier
	buffer_gl0_inv
	s_clause 0x1
	buffer_load_dword v5, off, s[0:3], 0 offset:128
	buffer_load_dword v6, off, s[0:3], 0 offset:132
	s_mov_b32 s4, exec_lo
	s_waitcnt vmcnt(0)
	ds_write_b64 v4, v[5:6]
	s_waitcnt lgkmcnt(0)
	s_barrier
	buffer_gl0_inv
	v_cmpx_gt_u32_e32 16, v0
	s_cbranch_execz .LBB118_79
; %bb.76:
	v_add_nc_u32_e32 v5, -1, v0
	v_add_nc_u32_e32 v6, 0x1c0, v3
	v_mov_b32_e32 v7, v3
	v_mov_b32_e32 v2, 0
	;; [unrolled: 1-line block ×3, first 2 shown]
	s_mov_b32 s5, 0
	.p2align	6
.LBB118_77:                             ; =>This Inner Loop Header: Depth=1
	s_clause 0x1
	buffer_load_dword v11, v7, s[0:3], 0 offen offset:4
	buffer_load_dword v122, v7, s[0:3], 0 offen
	ds_read_b64 v[9:10], v6
	v_add_nc_u32_e32 v5, 1, v5
	v_add_nc_u32_e32 v6, 8, v6
	;; [unrolled: 1-line block ×3, first 2 shown]
	v_cmp_lt_u32_e32 vcc_lo, 14, v5
	s_or_b32 s5, vcc_lo, s5
	s_waitcnt vmcnt(1) lgkmcnt(0)
	v_mul_f32_e32 v123, v10, v11
	v_mul_f32_e32 v11, v9, v11
	s_waitcnt vmcnt(0)
	v_fma_f32 v9, v9, v122, -v123
	v_fmac_f32_e32 v11, v10, v122
	v_add_f32_e32 v8, v8, v9
	v_add_f32_e32 v2, v2, v11
	s_andn2_b32 exec_lo, exec_lo, s5
	s_cbranch_execnz .LBB118_77
; %bb.78:
	s_or_b32 exec_lo, exec_lo, s5
	v_mov_b32_e32 v5, 0
	ds_read_b64 v[5:6], v5 offset:128
	s_waitcnt lgkmcnt(0)
	v_mul_f32_e32 v7, v2, v6
	v_mul_f32_e32 v6, v8, v6
	v_fma_f32 v7, v8, v5, -v7
	v_fmac_f32_e32 v6, v2, v5
	buffer_store_dword v7, off, s[0:3], 0 offset:128
	buffer_store_dword v6, off, s[0:3], 0 offset:132
.LBB118_79:
	s_or_b32 exec_lo, exec_lo, s4
	s_waitcnt_vscnt null, 0x0
	s_barrier
	buffer_gl0_inv
	s_clause 0x1
	buffer_load_dword v5, off, s[0:3], 0 offset:136
	buffer_load_dword v6, off, s[0:3], 0 offset:140
	s_mov_b32 s4, exec_lo
	s_waitcnt vmcnt(0)
	ds_write_b64 v4, v[5:6]
	s_waitcnt lgkmcnt(0)
	s_barrier
	buffer_gl0_inv
	v_cmpx_gt_u32_e32 17, v0
	s_cbranch_execz .LBB118_83
; %bb.80:
	v_add_nc_u32_e32 v5, -1, v0
	v_add_nc_u32_e32 v6, 0x1c0, v3
	v_mov_b32_e32 v7, v3
	v_mov_b32_e32 v2, 0
	;; [unrolled: 1-line block ×3, first 2 shown]
	s_mov_b32 s5, 0
	.p2align	6
.LBB118_81:                             ; =>This Inner Loop Header: Depth=1
	s_clause 0x1
	buffer_load_dword v11, v7, s[0:3], 0 offen offset:4
	buffer_load_dword v122, v7, s[0:3], 0 offen
	ds_read_b64 v[9:10], v6
	v_add_nc_u32_e32 v5, 1, v5
	v_add_nc_u32_e32 v6, 8, v6
	;; [unrolled: 1-line block ×3, first 2 shown]
	v_cmp_lt_u32_e32 vcc_lo, 15, v5
	s_or_b32 s5, vcc_lo, s5
	s_waitcnt vmcnt(1) lgkmcnt(0)
	v_mul_f32_e32 v123, v10, v11
	v_mul_f32_e32 v11, v9, v11
	s_waitcnt vmcnt(0)
	v_fma_f32 v9, v9, v122, -v123
	v_fmac_f32_e32 v11, v10, v122
	v_add_f32_e32 v8, v8, v9
	v_add_f32_e32 v2, v2, v11
	s_andn2_b32 exec_lo, exec_lo, s5
	s_cbranch_execnz .LBB118_81
; %bb.82:
	s_or_b32 exec_lo, exec_lo, s5
	v_mov_b32_e32 v5, 0
	ds_read_b64 v[5:6], v5 offset:136
	s_waitcnt lgkmcnt(0)
	v_mul_f32_e32 v7, v2, v6
	v_mul_f32_e32 v6, v8, v6
	v_fma_f32 v7, v8, v5, -v7
	v_fmac_f32_e32 v6, v2, v5
	buffer_store_dword v7, off, s[0:3], 0 offset:136
	buffer_store_dword v6, off, s[0:3], 0 offset:140
.LBB118_83:
	s_or_b32 exec_lo, exec_lo, s4
	s_waitcnt_vscnt null, 0x0
	s_barrier
	buffer_gl0_inv
	s_clause 0x1
	buffer_load_dword v5, off, s[0:3], 0 offset:144
	buffer_load_dword v6, off, s[0:3], 0 offset:148
	s_mov_b32 s4, exec_lo
	s_waitcnt vmcnt(0)
	ds_write_b64 v4, v[5:6]
	s_waitcnt lgkmcnt(0)
	s_barrier
	buffer_gl0_inv
	v_cmpx_gt_u32_e32 18, v0
	s_cbranch_execz .LBB118_87
; %bb.84:
	v_add_nc_u32_e32 v5, -1, v0
	v_add_nc_u32_e32 v6, 0x1c0, v3
	v_mov_b32_e32 v7, v3
	v_mov_b32_e32 v2, 0
	;; [unrolled: 1-line block ×3, first 2 shown]
	s_mov_b32 s5, 0
	.p2align	6
.LBB118_85:                             ; =>This Inner Loop Header: Depth=1
	s_clause 0x1
	buffer_load_dword v11, v7, s[0:3], 0 offen offset:4
	buffer_load_dword v122, v7, s[0:3], 0 offen
	ds_read_b64 v[9:10], v6
	v_add_nc_u32_e32 v5, 1, v5
	v_add_nc_u32_e32 v6, 8, v6
	;; [unrolled: 1-line block ×3, first 2 shown]
	v_cmp_lt_u32_e32 vcc_lo, 16, v5
	s_or_b32 s5, vcc_lo, s5
	s_waitcnt vmcnt(1) lgkmcnt(0)
	v_mul_f32_e32 v123, v10, v11
	v_mul_f32_e32 v11, v9, v11
	s_waitcnt vmcnt(0)
	v_fma_f32 v9, v9, v122, -v123
	v_fmac_f32_e32 v11, v10, v122
	v_add_f32_e32 v8, v8, v9
	v_add_f32_e32 v2, v2, v11
	s_andn2_b32 exec_lo, exec_lo, s5
	s_cbranch_execnz .LBB118_85
; %bb.86:
	s_or_b32 exec_lo, exec_lo, s5
	v_mov_b32_e32 v5, 0
	ds_read_b64 v[5:6], v5 offset:144
	s_waitcnt lgkmcnt(0)
	v_mul_f32_e32 v7, v2, v6
	v_mul_f32_e32 v6, v8, v6
	v_fma_f32 v7, v8, v5, -v7
	v_fmac_f32_e32 v6, v2, v5
	buffer_store_dword v7, off, s[0:3], 0 offset:144
	buffer_store_dword v6, off, s[0:3], 0 offset:148
.LBB118_87:
	s_or_b32 exec_lo, exec_lo, s4
	s_waitcnt_vscnt null, 0x0
	s_barrier
	buffer_gl0_inv
	s_clause 0x1
	buffer_load_dword v5, off, s[0:3], 0 offset:152
	buffer_load_dword v6, off, s[0:3], 0 offset:156
	s_mov_b32 s4, exec_lo
	s_waitcnt vmcnt(0)
	ds_write_b64 v4, v[5:6]
	s_waitcnt lgkmcnt(0)
	s_barrier
	buffer_gl0_inv
	v_cmpx_gt_u32_e32 19, v0
	s_cbranch_execz .LBB118_91
; %bb.88:
	v_add_nc_u32_e32 v5, -1, v0
	v_add_nc_u32_e32 v6, 0x1c0, v3
	v_mov_b32_e32 v7, v3
	v_mov_b32_e32 v2, 0
	;; [unrolled: 1-line block ×3, first 2 shown]
	s_mov_b32 s5, 0
	.p2align	6
.LBB118_89:                             ; =>This Inner Loop Header: Depth=1
	s_clause 0x1
	buffer_load_dword v11, v7, s[0:3], 0 offen offset:4
	buffer_load_dword v122, v7, s[0:3], 0 offen
	ds_read_b64 v[9:10], v6
	v_add_nc_u32_e32 v5, 1, v5
	v_add_nc_u32_e32 v6, 8, v6
	;; [unrolled: 1-line block ×3, first 2 shown]
	v_cmp_lt_u32_e32 vcc_lo, 17, v5
	s_or_b32 s5, vcc_lo, s5
	s_waitcnt vmcnt(1) lgkmcnt(0)
	v_mul_f32_e32 v123, v10, v11
	v_mul_f32_e32 v11, v9, v11
	s_waitcnt vmcnt(0)
	v_fma_f32 v9, v9, v122, -v123
	v_fmac_f32_e32 v11, v10, v122
	v_add_f32_e32 v8, v8, v9
	v_add_f32_e32 v2, v2, v11
	s_andn2_b32 exec_lo, exec_lo, s5
	s_cbranch_execnz .LBB118_89
; %bb.90:
	s_or_b32 exec_lo, exec_lo, s5
	v_mov_b32_e32 v5, 0
	ds_read_b64 v[5:6], v5 offset:152
	s_waitcnt lgkmcnt(0)
	v_mul_f32_e32 v7, v2, v6
	v_mul_f32_e32 v6, v8, v6
	v_fma_f32 v7, v8, v5, -v7
	v_fmac_f32_e32 v6, v2, v5
	buffer_store_dword v7, off, s[0:3], 0 offset:152
	buffer_store_dword v6, off, s[0:3], 0 offset:156
.LBB118_91:
	s_or_b32 exec_lo, exec_lo, s4
	s_waitcnt_vscnt null, 0x0
	s_barrier
	buffer_gl0_inv
	s_clause 0x1
	buffer_load_dword v5, off, s[0:3], 0 offset:160
	buffer_load_dword v6, off, s[0:3], 0 offset:164
	s_mov_b32 s4, exec_lo
	s_waitcnt vmcnt(0)
	ds_write_b64 v4, v[5:6]
	s_waitcnt lgkmcnt(0)
	s_barrier
	buffer_gl0_inv
	v_cmpx_gt_u32_e32 20, v0
	s_cbranch_execz .LBB118_95
; %bb.92:
	v_add_nc_u32_e32 v5, -1, v0
	v_add_nc_u32_e32 v6, 0x1c0, v3
	v_mov_b32_e32 v7, v3
	v_mov_b32_e32 v2, 0
	;; [unrolled: 1-line block ×3, first 2 shown]
	s_mov_b32 s5, 0
	.p2align	6
.LBB118_93:                             ; =>This Inner Loop Header: Depth=1
	s_clause 0x1
	buffer_load_dword v11, v7, s[0:3], 0 offen offset:4
	buffer_load_dword v122, v7, s[0:3], 0 offen
	ds_read_b64 v[9:10], v6
	v_add_nc_u32_e32 v5, 1, v5
	v_add_nc_u32_e32 v6, 8, v6
	;; [unrolled: 1-line block ×3, first 2 shown]
	v_cmp_lt_u32_e32 vcc_lo, 18, v5
	s_or_b32 s5, vcc_lo, s5
	s_waitcnt vmcnt(1) lgkmcnt(0)
	v_mul_f32_e32 v123, v10, v11
	v_mul_f32_e32 v11, v9, v11
	s_waitcnt vmcnt(0)
	v_fma_f32 v9, v9, v122, -v123
	v_fmac_f32_e32 v11, v10, v122
	v_add_f32_e32 v8, v8, v9
	v_add_f32_e32 v2, v2, v11
	s_andn2_b32 exec_lo, exec_lo, s5
	s_cbranch_execnz .LBB118_93
; %bb.94:
	s_or_b32 exec_lo, exec_lo, s5
	v_mov_b32_e32 v5, 0
	ds_read_b64 v[5:6], v5 offset:160
	s_waitcnt lgkmcnt(0)
	v_mul_f32_e32 v7, v2, v6
	v_mul_f32_e32 v6, v8, v6
	v_fma_f32 v7, v8, v5, -v7
	v_fmac_f32_e32 v6, v2, v5
	buffer_store_dword v7, off, s[0:3], 0 offset:160
	buffer_store_dword v6, off, s[0:3], 0 offset:164
.LBB118_95:
	s_or_b32 exec_lo, exec_lo, s4
	s_waitcnt_vscnt null, 0x0
	s_barrier
	buffer_gl0_inv
	s_clause 0x1
	buffer_load_dword v5, off, s[0:3], 0 offset:168
	buffer_load_dword v6, off, s[0:3], 0 offset:172
	s_mov_b32 s4, exec_lo
	s_waitcnt vmcnt(0)
	ds_write_b64 v4, v[5:6]
	s_waitcnt lgkmcnt(0)
	s_barrier
	buffer_gl0_inv
	v_cmpx_gt_u32_e32 21, v0
	s_cbranch_execz .LBB118_99
; %bb.96:
	v_add_nc_u32_e32 v5, -1, v0
	v_add_nc_u32_e32 v6, 0x1c0, v3
	v_mov_b32_e32 v7, v3
	v_mov_b32_e32 v2, 0
	;; [unrolled: 1-line block ×3, first 2 shown]
	s_mov_b32 s5, 0
	.p2align	6
.LBB118_97:                             ; =>This Inner Loop Header: Depth=1
	s_clause 0x1
	buffer_load_dword v11, v7, s[0:3], 0 offen offset:4
	buffer_load_dword v122, v7, s[0:3], 0 offen
	ds_read_b64 v[9:10], v6
	v_add_nc_u32_e32 v5, 1, v5
	v_add_nc_u32_e32 v6, 8, v6
	;; [unrolled: 1-line block ×3, first 2 shown]
	v_cmp_lt_u32_e32 vcc_lo, 19, v5
	s_or_b32 s5, vcc_lo, s5
	s_waitcnt vmcnt(1) lgkmcnt(0)
	v_mul_f32_e32 v123, v10, v11
	v_mul_f32_e32 v11, v9, v11
	s_waitcnt vmcnt(0)
	v_fma_f32 v9, v9, v122, -v123
	v_fmac_f32_e32 v11, v10, v122
	v_add_f32_e32 v8, v8, v9
	v_add_f32_e32 v2, v2, v11
	s_andn2_b32 exec_lo, exec_lo, s5
	s_cbranch_execnz .LBB118_97
; %bb.98:
	s_or_b32 exec_lo, exec_lo, s5
	v_mov_b32_e32 v5, 0
	ds_read_b64 v[5:6], v5 offset:168
	s_waitcnt lgkmcnt(0)
	v_mul_f32_e32 v7, v2, v6
	v_mul_f32_e32 v6, v8, v6
	v_fma_f32 v7, v8, v5, -v7
	v_fmac_f32_e32 v6, v2, v5
	buffer_store_dword v7, off, s[0:3], 0 offset:168
	buffer_store_dword v6, off, s[0:3], 0 offset:172
.LBB118_99:
	s_or_b32 exec_lo, exec_lo, s4
	s_waitcnt_vscnt null, 0x0
	s_barrier
	buffer_gl0_inv
	s_clause 0x1
	buffer_load_dword v5, off, s[0:3], 0 offset:176
	buffer_load_dword v6, off, s[0:3], 0 offset:180
	s_mov_b32 s4, exec_lo
	s_waitcnt vmcnt(0)
	ds_write_b64 v4, v[5:6]
	s_waitcnt lgkmcnt(0)
	s_barrier
	buffer_gl0_inv
	v_cmpx_gt_u32_e32 22, v0
	s_cbranch_execz .LBB118_103
; %bb.100:
	v_add_nc_u32_e32 v5, -1, v0
	v_add_nc_u32_e32 v6, 0x1c0, v3
	v_mov_b32_e32 v7, v3
	v_mov_b32_e32 v2, 0
	;; [unrolled: 1-line block ×3, first 2 shown]
	s_mov_b32 s5, 0
	.p2align	6
.LBB118_101:                            ; =>This Inner Loop Header: Depth=1
	s_clause 0x1
	buffer_load_dword v11, v7, s[0:3], 0 offen offset:4
	buffer_load_dword v122, v7, s[0:3], 0 offen
	ds_read_b64 v[9:10], v6
	v_add_nc_u32_e32 v5, 1, v5
	v_add_nc_u32_e32 v6, 8, v6
	;; [unrolled: 1-line block ×3, first 2 shown]
	v_cmp_lt_u32_e32 vcc_lo, 20, v5
	s_or_b32 s5, vcc_lo, s5
	s_waitcnt vmcnt(1) lgkmcnt(0)
	v_mul_f32_e32 v123, v10, v11
	v_mul_f32_e32 v11, v9, v11
	s_waitcnt vmcnt(0)
	v_fma_f32 v9, v9, v122, -v123
	v_fmac_f32_e32 v11, v10, v122
	v_add_f32_e32 v8, v8, v9
	v_add_f32_e32 v2, v2, v11
	s_andn2_b32 exec_lo, exec_lo, s5
	s_cbranch_execnz .LBB118_101
; %bb.102:
	s_or_b32 exec_lo, exec_lo, s5
	v_mov_b32_e32 v5, 0
	ds_read_b64 v[5:6], v5 offset:176
	s_waitcnt lgkmcnt(0)
	v_mul_f32_e32 v7, v2, v6
	v_mul_f32_e32 v6, v8, v6
	v_fma_f32 v7, v8, v5, -v7
	v_fmac_f32_e32 v6, v2, v5
	buffer_store_dword v7, off, s[0:3], 0 offset:176
	buffer_store_dword v6, off, s[0:3], 0 offset:180
.LBB118_103:
	s_or_b32 exec_lo, exec_lo, s4
	s_waitcnt_vscnt null, 0x0
	s_barrier
	buffer_gl0_inv
	s_clause 0x1
	buffer_load_dword v5, off, s[0:3], 0 offset:184
	buffer_load_dword v6, off, s[0:3], 0 offset:188
	s_mov_b32 s4, exec_lo
	s_waitcnt vmcnt(0)
	ds_write_b64 v4, v[5:6]
	s_waitcnt lgkmcnt(0)
	s_barrier
	buffer_gl0_inv
	v_cmpx_gt_u32_e32 23, v0
	s_cbranch_execz .LBB118_107
; %bb.104:
	v_add_nc_u32_e32 v5, -1, v0
	v_add_nc_u32_e32 v6, 0x1c0, v3
	v_mov_b32_e32 v7, v3
	v_mov_b32_e32 v2, 0
	;; [unrolled: 1-line block ×3, first 2 shown]
	s_mov_b32 s5, 0
	.p2align	6
.LBB118_105:                            ; =>This Inner Loop Header: Depth=1
	s_clause 0x1
	buffer_load_dword v11, v7, s[0:3], 0 offen offset:4
	buffer_load_dword v122, v7, s[0:3], 0 offen
	ds_read_b64 v[9:10], v6
	v_add_nc_u32_e32 v5, 1, v5
	v_add_nc_u32_e32 v6, 8, v6
	;; [unrolled: 1-line block ×3, first 2 shown]
	v_cmp_lt_u32_e32 vcc_lo, 21, v5
	s_or_b32 s5, vcc_lo, s5
	s_waitcnt vmcnt(1) lgkmcnt(0)
	v_mul_f32_e32 v123, v10, v11
	v_mul_f32_e32 v11, v9, v11
	s_waitcnt vmcnt(0)
	v_fma_f32 v9, v9, v122, -v123
	v_fmac_f32_e32 v11, v10, v122
	v_add_f32_e32 v8, v8, v9
	v_add_f32_e32 v2, v2, v11
	s_andn2_b32 exec_lo, exec_lo, s5
	s_cbranch_execnz .LBB118_105
; %bb.106:
	s_or_b32 exec_lo, exec_lo, s5
	v_mov_b32_e32 v5, 0
	ds_read_b64 v[5:6], v5 offset:184
	s_waitcnt lgkmcnt(0)
	v_mul_f32_e32 v7, v2, v6
	v_mul_f32_e32 v6, v8, v6
	v_fma_f32 v7, v8, v5, -v7
	v_fmac_f32_e32 v6, v2, v5
	buffer_store_dword v7, off, s[0:3], 0 offset:184
	buffer_store_dword v6, off, s[0:3], 0 offset:188
.LBB118_107:
	s_or_b32 exec_lo, exec_lo, s4
	s_waitcnt_vscnt null, 0x0
	s_barrier
	buffer_gl0_inv
	s_clause 0x1
	buffer_load_dword v5, off, s[0:3], 0 offset:192
	buffer_load_dword v6, off, s[0:3], 0 offset:196
	s_mov_b32 s4, exec_lo
	s_waitcnt vmcnt(0)
	ds_write_b64 v4, v[5:6]
	s_waitcnt lgkmcnt(0)
	s_barrier
	buffer_gl0_inv
	v_cmpx_gt_u32_e32 24, v0
	s_cbranch_execz .LBB118_111
; %bb.108:
	v_add_nc_u32_e32 v5, -1, v0
	v_add_nc_u32_e32 v6, 0x1c0, v3
	v_mov_b32_e32 v7, v3
	v_mov_b32_e32 v2, 0
	;; [unrolled: 1-line block ×3, first 2 shown]
	s_mov_b32 s5, 0
	.p2align	6
.LBB118_109:                            ; =>This Inner Loop Header: Depth=1
	s_clause 0x1
	buffer_load_dword v11, v7, s[0:3], 0 offen offset:4
	buffer_load_dword v122, v7, s[0:3], 0 offen
	ds_read_b64 v[9:10], v6
	v_add_nc_u32_e32 v5, 1, v5
	v_add_nc_u32_e32 v6, 8, v6
	;; [unrolled: 1-line block ×3, first 2 shown]
	v_cmp_lt_u32_e32 vcc_lo, 22, v5
	s_or_b32 s5, vcc_lo, s5
	s_waitcnt vmcnt(1) lgkmcnt(0)
	v_mul_f32_e32 v123, v10, v11
	v_mul_f32_e32 v11, v9, v11
	s_waitcnt vmcnt(0)
	v_fma_f32 v9, v9, v122, -v123
	v_fmac_f32_e32 v11, v10, v122
	v_add_f32_e32 v8, v8, v9
	v_add_f32_e32 v2, v2, v11
	s_andn2_b32 exec_lo, exec_lo, s5
	s_cbranch_execnz .LBB118_109
; %bb.110:
	s_or_b32 exec_lo, exec_lo, s5
	v_mov_b32_e32 v5, 0
	ds_read_b64 v[5:6], v5 offset:192
	s_waitcnt lgkmcnt(0)
	v_mul_f32_e32 v7, v2, v6
	v_mul_f32_e32 v6, v8, v6
	v_fma_f32 v7, v8, v5, -v7
	v_fmac_f32_e32 v6, v2, v5
	buffer_store_dword v7, off, s[0:3], 0 offset:192
	buffer_store_dword v6, off, s[0:3], 0 offset:196
.LBB118_111:
	s_or_b32 exec_lo, exec_lo, s4
	s_waitcnt_vscnt null, 0x0
	s_barrier
	buffer_gl0_inv
	s_clause 0x1
	buffer_load_dword v5, off, s[0:3], 0 offset:200
	buffer_load_dword v6, off, s[0:3], 0 offset:204
	s_mov_b32 s4, exec_lo
	s_waitcnt vmcnt(0)
	ds_write_b64 v4, v[5:6]
	s_waitcnt lgkmcnt(0)
	s_barrier
	buffer_gl0_inv
	v_cmpx_gt_u32_e32 25, v0
	s_cbranch_execz .LBB118_115
; %bb.112:
	v_add_nc_u32_e32 v5, -1, v0
	v_add_nc_u32_e32 v6, 0x1c0, v3
	v_mov_b32_e32 v7, v3
	v_mov_b32_e32 v2, 0
	;; [unrolled: 1-line block ×3, first 2 shown]
	s_mov_b32 s5, 0
	.p2align	6
.LBB118_113:                            ; =>This Inner Loop Header: Depth=1
	s_clause 0x1
	buffer_load_dword v11, v7, s[0:3], 0 offen offset:4
	buffer_load_dword v122, v7, s[0:3], 0 offen
	ds_read_b64 v[9:10], v6
	v_add_nc_u32_e32 v5, 1, v5
	v_add_nc_u32_e32 v6, 8, v6
	;; [unrolled: 1-line block ×3, first 2 shown]
	v_cmp_lt_u32_e32 vcc_lo, 23, v5
	s_or_b32 s5, vcc_lo, s5
	s_waitcnt vmcnt(1) lgkmcnt(0)
	v_mul_f32_e32 v123, v10, v11
	v_mul_f32_e32 v11, v9, v11
	s_waitcnt vmcnt(0)
	v_fma_f32 v9, v9, v122, -v123
	v_fmac_f32_e32 v11, v10, v122
	v_add_f32_e32 v8, v8, v9
	v_add_f32_e32 v2, v2, v11
	s_andn2_b32 exec_lo, exec_lo, s5
	s_cbranch_execnz .LBB118_113
; %bb.114:
	s_or_b32 exec_lo, exec_lo, s5
	v_mov_b32_e32 v5, 0
	ds_read_b64 v[5:6], v5 offset:200
	s_waitcnt lgkmcnt(0)
	v_mul_f32_e32 v7, v2, v6
	v_mul_f32_e32 v6, v8, v6
	v_fma_f32 v7, v8, v5, -v7
	v_fmac_f32_e32 v6, v2, v5
	buffer_store_dword v7, off, s[0:3], 0 offset:200
	buffer_store_dword v6, off, s[0:3], 0 offset:204
.LBB118_115:
	s_or_b32 exec_lo, exec_lo, s4
	s_waitcnt_vscnt null, 0x0
	s_barrier
	buffer_gl0_inv
	s_clause 0x1
	buffer_load_dword v5, off, s[0:3], 0 offset:208
	buffer_load_dword v6, off, s[0:3], 0 offset:212
	s_mov_b32 s4, exec_lo
	s_waitcnt vmcnt(0)
	ds_write_b64 v4, v[5:6]
	s_waitcnt lgkmcnt(0)
	s_barrier
	buffer_gl0_inv
	v_cmpx_gt_u32_e32 26, v0
	s_cbranch_execz .LBB118_119
; %bb.116:
	v_add_nc_u32_e32 v5, -1, v0
	v_add_nc_u32_e32 v6, 0x1c0, v3
	v_mov_b32_e32 v7, v3
	v_mov_b32_e32 v2, 0
	;; [unrolled: 1-line block ×3, first 2 shown]
	s_mov_b32 s5, 0
	.p2align	6
.LBB118_117:                            ; =>This Inner Loop Header: Depth=1
	s_clause 0x1
	buffer_load_dword v11, v7, s[0:3], 0 offen offset:4
	buffer_load_dword v122, v7, s[0:3], 0 offen
	ds_read_b64 v[9:10], v6
	v_add_nc_u32_e32 v5, 1, v5
	v_add_nc_u32_e32 v6, 8, v6
	;; [unrolled: 1-line block ×3, first 2 shown]
	v_cmp_lt_u32_e32 vcc_lo, 24, v5
	s_or_b32 s5, vcc_lo, s5
	s_waitcnt vmcnt(1) lgkmcnt(0)
	v_mul_f32_e32 v123, v10, v11
	v_mul_f32_e32 v11, v9, v11
	s_waitcnt vmcnt(0)
	v_fma_f32 v9, v9, v122, -v123
	v_fmac_f32_e32 v11, v10, v122
	v_add_f32_e32 v8, v8, v9
	v_add_f32_e32 v2, v2, v11
	s_andn2_b32 exec_lo, exec_lo, s5
	s_cbranch_execnz .LBB118_117
; %bb.118:
	s_or_b32 exec_lo, exec_lo, s5
	v_mov_b32_e32 v5, 0
	ds_read_b64 v[5:6], v5 offset:208
	s_waitcnt lgkmcnt(0)
	v_mul_f32_e32 v7, v2, v6
	v_mul_f32_e32 v6, v8, v6
	v_fma_f32 v7, v8, v5, -v7
	v_fmac_f32_e32 v6, v2, v5
	buffer_store_dword v7, off, s[0:3], 0 offset:208
	buffer_store_dword v6, off, s[0:3], 0 offset:212
.LBB118_119:
	s_or_b32 exec_lo, exec_lo, s4
	s_waitcnt_vscnt null, 0x0
	s_barrier
	buffer_gl0_inv
	s_clause 0x1
	buffer_load_dword v5, off, s[0:3], 0 offset:216
	buffer_load_dword v6, off, s[0:3], 0 offset:220
	s_mov_b32 s4, exec_lo
	s_waitcnt vmcnt(0)
	ds_write_b64 v4, v[5:6]
	s_waitcnt lgkmcnt(0)
	s_barrier
	buffer_gl0_inv
	v_cmpx_gt_u32_e32 27, v0
	s_cbranch_execz .LBB118_123
; %bb.120:
	v_add_nc_u32_e32 v5, -1, v0
	v_add_nc_u32_e32 v6, 0x1c0, v3
	v_mov_b32_e32 v7, v3
	v_mov_b32_e32 v2, 0
	;; [unrolled: 1-line block ×3, first 2 shown]
	s_mov_b32 s5, 0
	.p2align	6
.LBB118_121:                            ; =>This Inner Loop Header: Depth=1
	s_clause 0x1
	buffer_load_dword v11, v7, s[0:3], 0 offen offset:4
	buffer_load_dword v122, v7, s[0:3], 0 offen
	ds_read_b64 v[9:10], v6
	v_add_nc_u32_e32 v5, 1, v5
	v_add_nc_u32_e32 v6, 8, v6
	;; [unrolled: 1-line block ×3, first 2 shown]
	v_cmp_lt_u32_e32 vcc_lo, 25, v5
	s_or_b32 s5, vcc_lo, s5
	s_waitcnt vmcnt(1) lgkmcnt(0)
	v_mul_f32_e32 v123, v10, v11
	v_mul_f32_e32 v11, v9, v11
	s_waitcnt vmcnt(0)
	v_fma_f32 v9, v9, v122, -v123
	v_fmac_f32_e32 v11, v10, v122
	v_add_f32_e32 v8, v8, v9
	v_add_f32_e32 v2, v2, v11
	s_andn2_b32 exec_lo, exec_lo, s5
	s_cbranch_execnz .LBB118_121
; %bb.122:
	s_or_b32 exec_lo, exec_lo, s5
	v_mov_b32_e32 v5, 0
	ds_read_b64 v[5:6], v5 offset:216
	s_waitcnt lgkmcnt(0)
	v_mul_f32_e32 v7, v2, v6
	v_mul_f32_e32 v6, v8, v6
	v_fma_f32 v7, v8, v5, -v7
	v_fmac_f32_e32 v6, v2, v5
	buffer_store_dword v7, off, s[0:3], 0 offset:216
	buffer_store_dword v6, off, s[0:3], 0 offset:220
.LBB118_123:
	s_or_b32 exec_lo, exec_lo, s4
	s_waitcnt_vscnt null, 0x0
	s_barrier
	buffer_gl0_inv
	s_clause 0x1
	buffer_load_dword v5, off, s[0:3], 0 offset:224
	buffer_load_dword v6, off, s[0:3], 0 offset:228
	s_mov_b32 s4, exec_lo
	s_waitcnt vmcnt(0)
	ds_write_b64 v4, v[5:6]
	s_waitcnt lgkmcnt(0)
	s_barrier
	buffer_gl0_inv
	v_cmpx_gt_u32_e32 28, v0
	s_cbranch_execz .LBB118_127
; %bb.124:
	v_add_nc_u32_e32 v5, -1, v0
	v_add_nc_u32_e32 v6, 0x1c0, v3
	v_mov_b32_e32 v7, v3
	v_mov_b32_e32 v2, 0
	;; [unrolled: 1-line block ×3, first 2 shown]
	s_mov_b32 s5, 0
	.p2align	6
.LBB118_125:                            ; =>This Inner Loop Header: Depth=1
	s_clause 0x1
	buffer_load_dword v11, v7, s[0:3], 0 offen offset:4
	buffer_load_dword v122, v7, s[0:3], 0 offen
	ds_read_b64 v[9:10], v6
	v_add_nc_u32_e32 v5, 1, v5
	v_add_nc_u32_e32 v6, 8, v6
	;; [unrolled: 1-line block ×3, first 2 shown]
	v_cmp_lt_u32_e32 vcc_lo, 26, v5
	s_or_b32 s5, vcc_lo, s5
	s_waitcnt vmcnt(1) lgkmcnt(0)
	v_mul_f32_e32 v123, v10, v11
	v_mul_f32_e32 v11, v9, v11
	s_waitcnt vmcnt(0)
	v_fma_f32 v9, v9, v122, -v123
	v_fmac_f32_e32 v11, v10, v122
	v_add_f32_e32 v8, v8, v9
	v_add_f32_e32 v2, v2, v11
	s_andn2_b32 exec_lo, exec_lo, s5
	s_cbranch_execnz .LBB118_125
; %bb.126:
	s_or_b32 exec_lo, exec_lo, s5
	v_mov_b32_e32 v5, 0
	ds_read_b64 v[5:6], v5 offset:224
	s_waitcnt lgkmcnt(0)
	v_mul_f32_e32 v7, v2, v6
	v_mul_f32_e32 v6, v8, v6
	v_fma_f32 v7, v8, v5, -v7
	v_fmac_f32_e32 v6, v2, v5
	buffer_store_dword v7, off, s[0:3], 0 offset:224
	buffer_store_dword v6, off, s[0:3], 0 offset:228
.LBB118_127:
	s_or_b32 exec_lo, exec_lo, s4
	s_waitcnt_vscnt null, 0x0
	s_barrier
	buffer_gl0_inv
	s_clause 0x1
	buffer_load_dword v5, off, s[0:3], 0 offset:232
	buffer_load_dword v6, off, s[0:3], 0 offset:236
	s_mov_b32 s4, exec_lo
	s_waitcnt vmcnt(0)
	ds_write_b64 v4, v[5:6]
	s_waitcnt lgkmcnt(0)
	s_barrier
	buffer_gl0_inv
	v_cmpx_gt_u32_e32 29, v0
	s_cbranch_execz .LBB118_131
; %bb.128:
	v_add_nc_u32_e32 v5, -1, v0
	v_add_nc_u32_e32 v6, 0x1c0, v3
	v_mov_b32_e32 v7, v3
	v_mov_b32_e32 v2, 0
	;; [unrolled: 1-line block ×3, first 2 shown]
	s_mov_b32 s5, 0
	.p2align	6
.LBB118_129:                            ; =>This Inner Loop Header: Depth=1
	s_clause 0x1
	buffer_load_dword v11, v7, s[0:3], 0 offen offset:4
	buffer_load_dword v122, v7, s[0:3], 0 offen
	ds_read_b64 v[9:10], v6
	v_add_nc_u32_e32 v5, 1, v5
	v_add_nc_u32_e32 v6, 8, v6
	;; [unrolled: 1-line block ×3, first 2 shown]
	v_cmp_lt_u32_e32 vcc_lo, 27, v5
	s_or_b32 s5, vcc_lo, s5
	s_waitcnt vmcnt(1) lgkmcnt(0)
	v_mul_f32_e32 v123, v10, v11
	v_mul_f32_e32 v11, v9, v11
	s_waitcnt vmcnt(0)
	v_fma_f32 v9, v9, v122, -v123
	v_fmac_f32_e32 v11, v10, v122
	v_add_f32_e32 v8, v8, v9
	v_add_f32_e32 v2, v2, v11
	s_andn2_b32 exec_lo, exec_lo, s5
	s_cbranch_execnz .LBB118_129
; %bb.130:
	s_or_b32 exec_lo, exec_lo, s5
	v_mov_b32_e32 v5, 0
	ds_read_b64 v[5:6], v5 offset:232
	s_waitcnt lgkmcnt(0)
	v_mul_f32_e32 v7, v2, v6
	v_mul_f32_e32 v6, v8, v6
	v_fma_f32 v7, v8, v5, -v7
	v_fmac_f32_e32 v6, v2, v5
	buffer_store_dword v7, off, s[0:3], 0 offset:232
	buffer_store_dword v6, off, s[0:3], 0 offset:236
.LBB118_131:
	s_or_b32 exec_lo, exec_lo, s4
	s_waitcnt_vscnt null, 0x0
	s_barrier
	buffer_gl0_inv
	s_clause 0x1
	buffer_load_dword v5, off, s[0:3], 0 offset:240
	buffer_load_dword v6, off, s[0:3], 0 offset:244
	s_mov_b32 s4, exec_lo
	s_waitcnt vmcnt(0)
	ds_write_b64 v4, v[5:6]
	s_waitcnt lgkmcnt(0)
	s_barrier
	buffer_gl0_inv
	v_cmpx_gt_u32_e32 30, v0
	s_cbranch_execz .LBB118_135
; %bb.132:
	v_add_nc_u32_e32 v5, -1, v0
	v_add_nc_u32_e32 v6, 0x1c0, v3
	v_mov_b32_e32 v7, v3
	v_mov_b32_e32 v2, 0
	;; [unrolled: 1-line block ×3, first 2 shown]
	s_mov_b32 s5, 0
	.p2align	6
.LBB118_133:                            ; =>This Inner Loop Header: Depth=1
	s_clause 0x1
	buffer_load_dword v11, v7, s[0:3], 0 offen offset:4
	buffer_load_dword v122, v7, s[0:3], 0 offen
	ds_read_b64 v[9:10], v6
	v_add_nc_u32_e32 v5, 1, v5
	v_add_nc_u32_e32 v6, 8, v6
	;; [unrolled: 1-line block ×3, first 2 shown]
	v_cmp_lt_u32_e32 vcc_lo, 28, v5
	s_or_b32 s5, vcc_lo, s5
	s_waitcnt vmcnt(1) lgkmcnt(0)
	v_mul_f32_e32 v123, v10, v11
	v_mul_f32_e32 v11, v9, v11
	s_waitcnt vmcnt(0)
	v_fma_f32 v9, v9, v122, -v123
	v_fmac_f32_e32 v11, v10, v122
	v_add_f32_e32 v8, v8, v9
	v_add_f32_e32 v2, v2, v11
	s_andn2_b32 exec_lo, exec_lo, s5
	s_cbranch_execnz .LBB118_133
; %bb.134:
	s_or_b32 exec_lo, exec_lo, s5
	v_mov_b32_e32 v5, 0
	ds_read_b64 v[5:6], v5 offset:240
	s_waitcnt lgkmcnt(0)
	v_mul_f32_e32 v7, v2, v6
	v_mul_f32_e32 v6, v8, v6
	v_fma_f32 v7, v8, v5, -v7
	v_fmac_f32_e32 v6, v2, v5
	buffer_store_dword v7, off, s[0:3], 0 offset:240
	buffer_store_dword v6, off, s[0:3], 0 offset:244
.LBB118_135:
	s_or_b32 exec_lo, exec_lo, s4
	s_waitcnt_vscnt null, 0x0
	s_barrier
	buffer_gl0_inv
	s_clause 0x1
	buffer_load_dword v5, off, s[0:3], 0 offset:248
	buffer_load_dword v6, off, s[0:3], 0 offset:252
	s_mov_b32 s4, exec_lo
	s_waitcnt vmcnt(0)
	ds_write_b64 v4, v[5:6]
	s_waitcnt lgkmcnt(0)
	s_barrier
	buffer_gl0_inv
	v_cmpx_gt_u32_e32 31, v0
	s_cbranch_execz .LBB118_139
; %bb.136:
	v_add_nc_u32_e32 v5, -1, v0
	v_add_nc_u32_e32 v6, 0x1c0, v3
	v_mov_b32_e32 v7, v3
	v_mov_b32_e32 v2, 0
	;; [unrolled: 1-line block ×3, first 2 shown]
	s_mov_b32 s5, 0
	.p2align	6
.LBB118_137:                            ; =>This Inner Loop Header: Depth=1
	s_clause 0x1
	buffer_load_dword v11, v7, s[0:3], 0 offen offset:4
	buffer_load_dword v122, v7, s[0:3], 0 offen
	ds_read_b64 v[9:10], v6
	v_add_nc_u32_e32 v5, 1, v5
	v_add_nc_u32_e32 v6, 8, v6
	;; [unrolled: 1-line block ×3, first 2 shown]
	v_cmp_lt_u32_e32 vcc_lo, 29, v5
	s_or_b32 s5, vcc_lo, s5
	s_waitcnt vmcnt(1) lgkmcnt(0)
	v_mul_f32_e32 v123, v10, v11
	v_mul_f32_e32 v11, v9, v11
	s_waitcnt vmcnt(0)
	v_fma_f32 v9, v9, v122, -v123
	v_fmac_f32_e32 v11, v10, v122
	v_add_f32_e32 v8, v8, v9
	v_add_f32_e32 v2, v2, v11
	s_andn2_b32 exec_lo, exec_lo, s5
	s_cbranch_execnz .LBB118_137
; %bb.138:
	s_or_b32 exec_lo, exec_lo, s5
	v_mov_b32_e32 v5, 0
	ds_read_b64 v[5:6], v5 offset:248
	s_waitcnt lgkmcnt(0)
	v_mul_f32_e32 v7, v2, v6
	v_mul_f32_e32 v6, v8, v6
	v_fma_f32 v7, v8, v5, -v7
	v_fmac_f32_e32 v6, v2, v5
	buffer_store_dword v7, off, s[0:3], 0 offset:248
	buffer_store_dword v6, off, s[0:3], 0 offset:252
.LBB118_139:
	s_or_b32 exec_lo, exec_lo, s4
	s_waitcnt_vscnt null, 0x0
	s_barrier
	buffer_gl0_inv
	s_clause 0x1
	buffer_load_dword v5, off, s[0:3], 0 offset:256
	buffer_load_dword v6, off, s[0:3], 0 offset:260
	s_mov_b32 s4, exec_lo
	s_waitcnt vmcnt(0)
	ds_write_b64 v4, v[5:6]
	s_waitcnt lgkmcnt(0)
	s_barrier
	buffer_gl0_inv
	v_cmpx_gt_u32_e32 32, v0
	s_cbranch_execz .LBB118_143
; %bb.140:
	v_add_nc_u32_e32 v5, -1, v0
	v_add_nc_u32_e32 v6, 0x1c0, v3
	v_mov_b32_e32 v7, v3
	v_mov_b32_e32 v2, 0
	;; [unrolled: 1-line block ×3, first 2 shown]
	s_mov_b32 s5, 0
	.p2align	6
.LBB118_141:                            ; =>This Inner Loop Header: Depth=1
	s_clause 0x1
	buffer_load_dword v11, v7, s[0:3], 0 offen offset:4
	buffer_load_dword v122, v7, s[0:3], 0 offen
	ds_read_b64 v[9:10], v6
	v_add_nc_u32_e32 v5, 1, v5
	v_add_nc_u32_e32 v6, 8, v6
	;; [unrolled: 1-line block ×3, first 2 shown]
	v_cmp_lt_u32_e32 vcc_lo, 30, v5
	s_or_b32 s5, vcc_lo, s5
	s_waitcnt vmcnt(1) lgkmcnt(0)
	v_mul_f32_e32 v123, v10, v11
	v_mul_f32_e32 v11, v9, v11
	s_waitcnt vmcnt(0)
	v_fma_f32 v9, v9, v122, -v123
	v_fmac_f32_e32 v11, v10, v122
	v_add_f32_e32 v8, v8, v9
	v_add_f32_e32 v2, v2, v11
	s_andn2_b32 exec_lo, exec_lo, s5
	s_cbranch_execnz .LBB118_141
; %bb.142:
	s_or_b32 exec_lo, exec_lo, s5
	v_mov_b32_e32 v5, 0
	ds_read_b64 v[5:6], v5 offset:256
	s_waitcnt lgkmcnt(0)
	v_mul_f32_e32 v7, v2, v6
	v_mul_f32_e32 v6, v8, v6
	v_fma_f32 v7, v8, v5, -v7
	v_fmac_f32_e32 v6, v2, v5
	buffer_store_dword v7, off, s[0:3], 0 offset:256
	buffer_store_dword v6, off, s[0:3], 0 offset:260
.LBB118_143:
	s_or_b32 exec_lo, exec_lo, s4
	s_waitcnt_vscnt null, 0x0
	s_barrier
	buffer_gl0_inv
	s_clause 0x1
	buffer_load_dword v5, off, s[0:3], 0 offset:264
	buffer_load_dword v6, off, s[0:3], 0 offset:268
	s_mov_b32 s4, exec_lo
	s_waitcnt vmcnt(0)
	ds_write_b64 v4, v[5:6]
	s_waitcnt lgkmcnt(0)
	s_barrier
	buffer_gl0_inv
	v_cmpx_gt_u32_e32 33, v0
	s_cbranch_execz .LBB118_147
; %bb.144:
	v_add_nc_u32_e32 v5, -1, v0
	v_add_nc_u32_e32 v6, 0x1c0, v3
	v_mov_b32_e32 v7, v3
	v_mov_b32_e32 v2, 0
	;; [unrolled: 1-line block ×3, first 2 shown]
	s_mov_b32 s5, 0
	.p2align	6
.LBB118_145:                            ; =>This Inner Loop Header: Depth=1
	s_clause 0x1
	buffer_load_dword v11, v7, s[0:3], 0 offen offset:4
	buffer_load_dword v122, v7, s[0:3], 0 offen
	ds_read_b64 v[9:10], v6
	v_add_nc_u32_e32 v5, 1, v5
	v_add_nc_u32_e32 v6, 8, v6
	;; [unrolled: 1-line block ×3, first 2 shown]
	v_cmp_lt_u32_e32 vcc_lo, 31, v5
	s_or_b32 s5, vcc_lo, s5
	s_waitcnt vmcnt(1) lgkmcnt(0)
	v_mul_f32_e32 v123, v10, v11
	v_mul_f32_e32 v11, v9, v11
	s_waitcnt vmcnt(0)
	v_fma_f32 v9, v9, v122, -v123
	v_fmac_f32_e32 v11, v10, v122
	v_add_f32_e32 v8, v8, v9
	v_add_f32_e32 v2, v2, v11
	s_andn2_b32 exec_lo, exec_lo, s5
	s_cbranch_execnz .LBB118_145
; %bb.146:
	s_or_b32 exec_lo, exec_lo, s5
	v_mov_b32_e32 v5, 0
	ds_read_b64 v[5:6], v5 offset:264
	s_waitcnt lgkmcnt(0)
	v_mul_f32_e32 v7, v2, v6
	v_mul_f32_e32 v6, v8, v6
	v_fma_f32 v7, v8, v5, -v7
	v_fmac_f32_e32 v6, v2, v5
	buffer_store_dword v7, off, s[0:3], 0 offset:264
	buffer_store_dword v6, off, s[0:3], 0 offset:268
.LBB118_147:
	s_or_b32 exec_lo, exec_lo, s4
	s_waitcnt_vscnt null, 0x0
	s_barrier
	buffer_gl0_inv
	s_clause 0x1
	buffer_load_dword v5, off, s[0:3], 0 offset:272
	buffer_load_dword v6, off, s[0:3], 0 offset:276
	s_mov_b32 s4, exec_lo
	s_waitcnt vmcnt(0)
	ds_write_b64 v4, v[5:6]
	s_waitcnt lgkmcnt(0)
	s_barrier
	buffer_gl0_inv
	v_cmpx_gt_u32_e32 34, v0
	s_cbranch_execz .LBB118_151
; %bb.148:
	v_add_nc_u32_e32 v5, -1, v0
	v_add_nc_u32_e32 v6, 0x1c0, v3
	v_mov_b32_e32 v7, v3
	v_mov_b32_e32 v2, 0
	;; [unrolled: 1-line block ×3, first 2 shown]
	s_mov_b32 s5, 0
	.p2align	6
.LBB118_149:                            ; =>This Inner Loop Header: Depth=1
	s_clause 0x1
	buffer_load_dword v11, v7, s[0:3], 0 offen offset:4
	buffer_load_dword v122, v7, s[0:3], 0 offen
	ds_read_b64 v[9:10], v6
	v_add_nc_u32_e32 v5, 1, v5
	v_add_nc_u32_e32 v6, 8, v6
	;; [unrolled: 1-line block ×3, first 2 shown]
	v_cmp_lt_u32_e32 vcc_lo, 32, v5
	s_or_b32 s5, vcc_lo, s5
	s_waitcnt vmcnt(1) lgkmcnt(0)
	v_mul_f32_e32 v123, v10, v11
	v_mul_f32_e32 v11, v9, v11
	s_waitcnt vmcnt(0)
	v_fma_f32 v9, v9, v122, -v123
	v_fmac_f32_e32 v11, v10, v122
	v_add_f32_e32 v8, v8, v9
	v_add_f32_e32 v2, v2, v11
	s_andn2_b32 exec_lo, exec_lo, s5
	s_cbranch_execnz .LBB118_149
; %bb.150:
	s_or_b32 exec_lo, exec_lo, s5
	v_mov_b32_e32 v5, 0
	ds_read_b64 v[5:6], v5 offset:272
	s_waitcnt lgkmcnt(0)
	v_mul_f32_e32 v7, v2, v6
	v_mul_f32_e32 v6, v8, v6
	v_fma_f32 v7, v8, v5, -v7
	v_fmac_f32_e32 v6, v2, v5
	buffer_store_dword v7, off, s[0:3], 0 offset:272
	buffer_store_dword v6, off, s[0:3], 0 offset:276
.LBB118_151:
	s_or_b32 exec_lo, exec_lo, s4
	s_waitcnt_vscnt null, 0x0
	s_barrier
	buffer_gl0_inv
	s_clause 0x1
	buffer_load_dword v5, off, s[0:3], 0 offset:280
	buffer_load_dword v6, off, s[0:3], 0 offset:284
	s_mov_b32 s4, exec_lo
	s_waitcnt vmcnt(0)
	ds_write_b64 v4, v[5:6]
	s_waitcnt lgkmcnt(0)
	s_barrier
	buffer_gl0_inv
	v_cmpx_gt_u32_e32 35, v0
	s_cbranch_execz .LBB118_155
; %bb.152:
	v_add_nc_u32_e32 v5, -1, v0
	v_add_nc_u32_e32 v6, 0x1c0, v3
	v_mov_b32_e32 v7, v3
	v_mov_b32_e32 v2, 0
	;; [unrolled: 1-line block ×3, first 2 shown]
	s_mov_b32 s5, 0
	.p2align	6
.LBB118_153:                            ; =>This Inner Loop Header: Depth=1
	s_clause 0x1
	buffer_load_dword v11, v7, s[0:3], 0 offen offset:4
	buffer_load_dword v122, v7, s[0:3], 0 offen
	ds_read_b64 v[9:10], v6
	v_add_nc_u32_e32 v5, 1, v5
	v_add_nc_u32_e32 v6, 8, v6
	;; [unrolled: 1-line block ×3, first 2 shown]
	v_cmp_lt_u32_e32 vcc_lo, 33, v5
	s_or_b32 s5, vcc_lo, s5
	s_waitcnt vmcnt(1) lgkmcnt(0)
	v_mul_f32_e32 v123, v10, v11
	v_mul_f32_e32 v11, v9, v11
	s_waitcnt vmcnt(0)
	v_fma_f32 v9, v9, v122, -v123
	v_fmac_f32_e32 v11, v10, v122
	v_add_f32_e32 v8, v8, v9
	v_add_f32_e32 v2, v2, v11
	s_andn2_b32 exec_lo, exec_lo, s5
	s_cbranch_execnz .LBB118_153
; %bb.154:
	s_or_b32 exec_lo, exec_lo, s5
	v_mov_b32_e32 v5, 0
	ds_read_b64 v[5:6], v5 offset:280
	s_waitcnt lgkmcnt(0)
	v_mul_f32_e32 v7, v2, v6
	v_mul_f32_e32 v6, v8, v6
	v_fma_f32 v7, v8, v5, -v7
	v_fmac_f32_e32 v6, v2, v5
	buffer_store_dword v7, off, s[0:3], 0 offset:280
	buffer_store_dword v6, off, s[0:3], 0 offset:284
.LBB118_155:
	s_or_b32 exec_lo, exec_lo, s4
	s_waitcnt_vscnt null, 0x0
	s_barrier
	buffer_gl0_inv
	s_clause 0x1
	buffer_load_dword v5, off, s[0:3], 0 offset:288
	buffer_load_dword v6, off, s[0:3], 0 offset:292
	s_mov_b32 s4, exec_lo
	s_waitcnt vmcnt(0)
	ds_write_b64 v4, v[5:6]
	s_waitcnt lgkmcnt(0)
	s_barrier
	buffer_gl0_inv
	v_cmpx_gt_u32_e32 36, v0
	s_cbranch_execz .LBB118_159
; %bb.156:
	v_add_nc_u32_e32 v5, -1, v0
	v_add_nc_u32_e32 v6, 0x1c0, v3
	v_mov_b32_e32 v7, v3
	v_mov_b32_e32 v2, 0
	;; [unrolled: 1-line block ×3, first 2 shown]
	s_mov_b32 s5, 0
	.p2align	6
.LBB118_157:                            ; =>This Inner Loop Header: Depth=1
	s_clause 0x1
	buffer_load_dword v11, v7, s[0:3], 0 offen offset:4
	buffer_load_dword v122, v7, s[0:3], 0 offen
	ds_read_b64 v[9:10], v6
	v_add_nc_u32_e32 v5, 1, v5
	v_add_nc_u32_e32 v6, 8, v6
	;; [unrolled: 1-line block ×3, first 2 shown]
	v_cmp_lt_u32_e32 vcc_lo, 34, v5
	s_or_b32 s5, vcc_lo, s5
	s_waitcnt vmcnt(1) lgkmcnt(0)
	v_mul_f32_e32 v123, v10, v11
	v_mul_f32_e32 v11, v9, v11
	s_waitcnt vmcnt(0)
	v_fma_f32 v9, v9, v122, -v123
	v_fmac_f32_e32 v11, v10, v122
	v_add_f32_e32 v8, v8, v9
	v_add_f32_e32 v2, v2, v11
	s_andn2_b32 exec_lo, exec_lo, s5
	s_cbranch_execnz .LBB118_157
; %bb.158:
	s_or_b32 exec_lo, exec_lo, s5
	v_mov_b32_e32 v5, 0
	ds_read_b64 v[5:6], v5 offset:288
	s_waitcnt lgkmcnt(0)
	v_mul_f32_e32 v7, v2, v6
	v_mul_f32_e32 v6, v8, v6
	v_fma_f32 v7, v8, v5, -v7
	v_fmac_f32_e32 v6, v2, v5
	buffer_store_dword v7, off, s[0:3], 0 offset:288
	buffer_store_dword v6, off, s[0:3], 0 offset:292
.LBB118_159:
	s_or_b32 exec_lo, exec_lo, s4
	s_waitcnt_vscnt null, 0x0
	s_barrier
	buffer_gl0_inv
	s_clause 0x1
	buffer_load_dword v5, off, s[0:3], 0 offset:296
	buffer_load_dword v6, off, s[0:3], 0 offset:300
	s_mov_b32 s4, exec_lo
	s_waitcnt vmcnt(0)
	ds_write_b64 v4, v[5:6]
	s_waitcnt lgkmcnt(0)
	s_barrier
	buffer_gl0_inv
	v_cmpx_gt_u32_e32 37, v0
	s_cbranch_execz .LBB118_163
; %bb.160:
	v_add_nc_u32_e32 v5, -1, v0
	v_add_nc_u32_e32 v6, 0x1c0, v3
	v_mov_b32_e32 v7, v3
	v_mov_b32_e32 v2, 0
	;; [unrolled: 1-line block ×3, first 2 shown]
	s_mov_b32 s5, 0
	.p2align	6
.LBB118_161:                            ; =>This Inner Loop Header: Depth=1
	s_clause 0x1
	buffer_load_dword v11, v7, s[0:3], 0 offen offset:4
	buffer_load_dword v122, v7, s[0:3], 0 offen
	ds_read_b64 v[9:10], v6
	v_add_nc_u32_e32 v5, 1, v5
	v_add_nc_u32_e32 v6, 8, v6
	;; [unrolled: 1-line block ×3, first 2 shown]
	v_cmp_lt_u32_e32 vcc_lo, 35, v5
	s_or_b32 s5, vcc_lo, s5
	s_waitcnt vmcnt(1) lgkmcnt(0)
	v_mul_f32_e32 v123, v10, v11
	v_mul_f32_e32 v11, v9, v11
	s_waitcnt vmcnt(0)
	v_fma_f32 v9, v9, v122, -v123
	v_fmac_f32_e32 v11, v10, v122
	v_add_f32_e32 v8, v8, v9
	v_add_f32_e32 v2, v2, v11
	s_andn2_b32 exec_lo, exec_lo, s5
	s_cbranch_execnz .LBB118_161
; %bb.162:
	s_or_b32 exec_lo, exec_lo, s5
	v_mov_b32_e32 v5, 0
	ds_read_b64 v[5:6], v5 offset:296
	s_waitcnt lgkmcnt(0)
	v_mul_f32_e32 v7, v2, v6
	v_mul_f32_e32 v6, v8, v6
	v_fma_f32 v7, v8, v5, -v7
	v_fmac_f32_e32 v6, v2, v5
	buffer_store_dword v7, off, s[0:3], 0 offset:296
	buffer_store_dword v6, off, s[0:3], 0 offset:300
.LBB118_163:
	s_or_b32 exec_lo, exec_lo, s4
	s_waitcnt_vscnt null, 0x0
	s_barrier
	buffer_gl0_inv
	s_clause 0x1
	buffer_load_dword v5, off, s[0:3], 0 offset:304
	buffer_load_dword v6, off, s[0:3], 0 offset:308
	s_mov_b32 s4, exec_lo
	s_waitcnt vmcnt(0)
	ds_write_b64 v4, v[5:6]
	s_waitcnt lgkmcnt(0)
	s_barrier
	buffer_gl0_inv
	v_cmpx_gt_u32_e32 38, v0
	s_cbranch_execz .LBB118_167
; %bb.164:
	v_add_nc_u32_e32 v5, -1, v0
	v_add_nc_u32_e32 v6, 0x1c0, v3
	v_mov_b32_e32 v7, v3
	v_mov_b32_e32 v2, 0
	;; [unrolled: 1-line block ×3, first 2 shown]
	s_mov_b32 s5, 0
	.p2align	6
.LBB118_165:                            ; =>This Inner Loop Header: Depth=1
	s_clause 0x1
	buffer_load_dword v11, v7, s[0:3], 0 offen offset:4
	buffer_load_dword v122, v7, s[0:3], 0 offen
	ds_read_b64 v[9:10], v6
	v_add_nc_u32_e32 v5, 1, v5
	v_add_nc_u32_e32 v6, 8, v6
	;; [unrolled: 1-line block ×3, first 2 shown]
	v_cmp_lt_u32_e32 vcc_lo, 36, v5
	s_or_b32 s5, vcc_lo, s5
	s_waitcnt vmcnt(1) lgkmcnt(0)
	v_mul_f32_e32 v123, v10, v11
	v_mul_f32_e32 v11, v9, v11
	s_waitcnt vmcnt(0)
	v_fma_f32 v9, v9, v122, -v123
	v_fmac_f32_e32 v11, v10, v122
	v_add_f32_e32 v8, v8, v9
	v_add_f32_e32 v2, v2, v11
	s_andn2_b32 exec_lo, exec_lo, s5
	s_cbranch_execnz .LBB118_165
; %bb.166:
	s_or_b32 exec_lo, exec_lo, s5
	v_mov_b32_e32 v5, 0
	ds_read_b64 v[5:6], v5 offset:304
	s_waitcnt lgkmcnt(0)
	v_mul_f32_e32 v7, v2, v6
	v_mul_f32_e32 v6, v8, v6
	v_fma_f32 v7, v8, v5, -v7
	v_fmac_f32_e32 v6, v2, v5
	buffer_store_dword v7, off, s[0:3], 0 offset:304
	buffer_store_dword v6, off, s[0:3], 0 offset:308
.LBB118_167:
	s_or_b32 exec_lo, exec_lo, s4
	s_waitcnt_vscnt null, 0x0
	s_barrier
	buffer_gl0_inv
	s_clause 0x1
	buffer_load_dword v5, off, s[0:3], 0 offset:312
	buffer_load_dword v6, off, s[0:3], 0 offset:316
	s_mov_b32 s4, exec_lo
	s_waitcnt vmcnt(0)
	ds_write_b64 v4, v[5:6]
	s_waitcnt lgkmcnt(0)
	s_barrier
	buffer_gl0_inv
	v_cmpx_gt_u32_e32 39, v0
	s_cbranch_execz .LBB118_171
; %bb.168:
	v_add_nc_u32_e32 v5, -1, v0
	v_add_nc_u32_e32 v6, 0x1c0, v3
	v_mov_b32_e32 v7, v3
	v_mov_b32_e32 v2, 0
	;; [unrolled: 1-line block ×3, first 2 shown]
	s_mov_b32 s5, 0
	.p2align	6
.LBB118_169:                            ; =>This Inner Loop Header: Depth=1
	s_clause 0x1
	buffer_load_dword v11, v7, s[0:3], 0 offen offset:4
	buffer_load_dword v122, v7, s[0:3], 0 offen
	ds_read_b64 v[9:10], v6
	v_add_nc_u32_e32 v5, 1, v5
	v_add_nc_u32_e32 v6, 8, v6
	;; [unrolled: 1-line block ×3, first 2 shown]
	v_cmp_lt_u32_e32 vcc_lo, 37, v5
	s_or_b32 s5, vcc_lo, s5
	s_waitcnt vmcnt(1) lgkmcnt(0)
	v_mul_f32_e32 v123, v10, v11
	v_mul_f32_e32 v11, v9, v11
	s_waitcnt vmcnt(0)
	v_fma_f32 v9, v9, v122, -v123
	v_fmac_f32_e32 v11, v10, v122
	v_add_f32_e32 v8, v8, v9
	v_add_f32_e32 v2, v2, v11
	s_andn2_b32 exec_lo, exec_lo, s5
	s_cbranch_execnz .LBB118_169
; %bb.170:
	s_or_b32 exec_lo, exec_lo, s5
	v_mov_b32_e32 v5, 0
	ds_read_b64 v[5:6], v5 offset:312
	s_waitcnt lgkmcnt(0)
	v_mul_f32_e32 v7, v2, v6
	v_mul_f32_e32 v6, v8, v6
	v_fma_f32 v7, v8, v5, -v7
	v_fmac_f32_e32 v6, v2, v5
	buffer_store_dword v7, off, s[0:3], 0 offset:312
	buffer_store_dword v6, off, s[0:3], 0 offset:316
.LBB118_171:
	s_or_b32 exec_lo, exec_lo, s4
	s_waitcnt_vscnt null, 0x0
	s_barrier
	buffer_gl0_inv
	s_clause 0x1
	buffer_load_dword v5, off, s[0:3], 0 offset:320
	buffer_load_dword v6, off, s[0:3], 0 offset:324
	s_mov_b32 s4, exec_lo
	s_waitcnt vmcnt(0)
	ds_write_b64 v4, v[5:6]
	s_waitcnt lgkmcnt(0)
	s_barrier
	buffer_gl0_inv
	v_cmpx_gt_u32_e32 40, v0
	s_cbranch_execz .LBB118_175
; %bb.172:
	v_add_nc_u32_e32 v5, -1, v0
	v_add_nc_u32_e32 v6, 0x1c0, v3
	v_mov_b32_e32 v7, v3
	v_mov_b32_e32 v2, 0
	;; [unrolled: 1-line block ×3, first 2 shown]
	s_mov_b32 s5, 0
	.p2align	6
.LBB118_173:                            ; =>This Inner Loop Header: Depth=1
	s_clause 0x1
	buffer_load_dword v11, v7, s[0:3], 0 offen offset:4
	buffer_load_dword v122, v7, s[0:3], 0 offen
	ds_read_b64 v[9:10], v6
	v_add_nc_u32_e32 v5, 1, v5
	v_add_nc_u32_e32 v6, 8, v6
	;; [unrolled: 1-line block ×3, first 2 shown]
	v_cmp_lt_u32_e32 vcc_lo, 38, v5
	s_or_b32 s5, vcc_lo, s5
	s_waitcnt vmcnt(1) lgkmcnt(0)
	v_mul_f32_e32 v123, v10, v11
	v_mul_f32_e32 v11, v9, v11
	s_waitcnt vmcnt(0)
	v_fma_f32 v9, v9, v122, -v123
	v_fmac_f32_e32 v11, v10, v122
	v_add_f32_e32 v8, v8, v9
	v_add_f32_e32 v2, v2, v11
	s_andn2_b32 exec_lo, exec_lo, s5
	s_cbranch_execnz .LBB118_173
; %bb.174:
	s_or_b32 exec_lo, exec_lo, s5
	v_mov_b32_e32 v5, 0
	ds_read_b64 v[5:6], v5 offset:320
	s_waitcnt lgkmcnt(0)
	v_mul_f32_e32 v7, v2, v6
	v_mul_f32_e32 v6, v8, v6
	v_fma_f32 v7, v8, v5, -v7
	v_fmac_f32_e32 v6, v2, v5
	buffer_store_dword v7, off, s[0:3], 0 offset:320
	buffer_store_dword v6, off, s[0:3], 0 offset:324
.LBB118_175:
	s_or_b32 exec_lo, exec_lo, s4
	s_waitcnt_vscnt null, 0x0
	s_barrier
	buffer_gl0_inv
	s_clause 0x1
	buffer_load_dword v5, off, s[0:3], 0 offset:328
	buffer_load_dword v6, off, s[0:3], 0 offset:332
	s_mov_b32 s4, exec_lo
	s_waitcnt vmcnt(0)
	ds_write_b64 v4, v[5:6]
	s_waitcnt lgkmcnt(0)
	s_barrier
	buffer_gl0_inv
	v_cmpx_gt_u32_e32 41, v0
	s_cbranch_execz .LBB118_179
; %bb.176:
	v_add_nc_u32_e32 v5, -1, v0
	v_add_nc_u32_e32 v6, 0x1c0, v3
	v_mov_b32_e32 v7, v3
	v_mov_b32_e32 v2, 0
	;; [unrolled: 1-line block ×3, first 2 shown]
	s_mov_b32 s5, 0
	.p2align	6
.LBB118_177:                            ; =>This Inner Loop Header: Depth=1
	s_clause 0x1
	buffer_load_dword v11, v7, s[0:3], 0 offen offset:4
	buffer_load_dword v122, v7, s[0:3], 0 offen
	ds_read_b64 v[9:10], v6
	v_add_nc_u32_e32 v5, 1, v5
	v_add_nc_u32_e32 v6, 8, v6
	;; [unrolled: 1-line block ×3, first 2 shown]
	v_cmp_lt_u32_e32 vcc_lo, 39, v5
	s_or_b32 s5, vcc_lo, s5
	s_waitcnt vmcnt(1) lgkmcnt(0)
	v_mul_f32_e32 v123, v10, v11
	v_mul_f32_e32 v11, v9, v11
	s_waitcnt vmcnt(0)
	v_fma_f32 v9, v9, v122, -v123
	v_fmac_f32_e32 v11, v10, v122
	v_add_f32_e32 v8, v8, v9
	v_add_f32_e32 v2, v2, v11
	s_andn2_b32 exec_lo, exec_lo, s5
	s_cbranch_execnz .LBB118_177
; %bb.178:
	s_or_b32 exec_lo, exec_lo, s5
	v_mov_b32_e32 v5, 0
	ds_read_b64 v[5:6], v5 offset:328
	s_waitcnt lgkmcnt(0)
	v_mul_f32_e32 v7, v2, v6
	v_mul_f32_e32 v6, v8, v6
	v_fma_f32 v7, v8, v5, -v7
	v_fmac_f32_e32 v6, v2, v5
	buffer_store_dword v7, off, s[0:3], 0 offset:328
	buffer_store_dword v6, off, s[0:3], 0 offset:332
.LBB118_179:
	s_or_b32 exec_lo, exec_lo, s4
	s_waitcnt_vscnt null, 0x0
	s_barrier
	buffer_gl0_inv
	s_clause 0x1
	buffer_load_dword v5, off, s[0:3], 0 offset:336
	buffer_load_dword v6, off, s[0:3], 0 offset:340
	s_mov_b32 s4, exec_lo
	s_waitcnt vmcnt(0)
	ds_write_b64 v4, v[5:6]
	s_waitcnt lgkmcnt(0)
	s_barrier
	buffer_gl0_inv
	v_cmpx_gt_u32_e32 42, v0
	s_cbranch_execz .LBB118_183
; %bb.180:
	v_add_nc_u32_e32 v5, -1, v0
	v_add_nc_u32_e32 v6, 0x1c0, v3
	v_mov_b32_e32 v7, v3
	v_mov_b32_e32 v2, 0
	;; [unrolled: 1-line block ×3, first 2 shown]
	s_mov_b32 s5, 0
	.p2align	6
.LBB118_181:                            ; =>This Inner Loop Header: Depth=1
	s_clause 0x1
	buffer_load_dword v11, v7, s[0:3], 0 offen offset:4
	buffer_load_dword v122, v7, s[0:3], 0 offen
	ds_read_b64 v[9:10], v6
	v_add_nc_u32_e32 v5, 1, v5
	v_add_nc_u32_e32 v6, 8, v6
	;; [unrolled: 1-line block ×3, first 2 shown]
	v_cmp_lt_u32_e32 vcc_lo, 40, v5
	s_or_b32 s5, vcc_lo, s5
	s_waitcnt vmcnt(1) lgkmcnt(0)
	v_mul_f32_e32 v123, v10, v11
	v_mul_f32_e32 v11, v9, v11
	s_waitcnt vmcnt(0)
	v_fma_f32 v9, v9, v122, -v123
	v_fmac_f32_e32 v11, v10, v122
	v_add_f32_e32 v8, v8, v9
	v_add_f32_e32 v2, v2, v11
	s_andn2_b32 exec_lo, exec_lo, s5
	s_cbranch_execnz .LBB118_181
; %bb.182:
	s_or_b32 exec_lo, exec_lo, s5
	v_mov_b32_e32 v5, 0
	ds_read_b64 v[5:6], v5 offset:336
	s_waitcnt lgkmcnt(0)
	v_mul_f32_e32 v7, v2, v6
	v_mul_f32_e32 v6, v8, v6
	v_fma_f32 v7, v8, v5, -v7
	v_fmac_f32_e32 v6, v2, v5
	buffer_store_dword v7, off, s[0:3], 0 offset:336
	buffer_store_dword v6, off, s[0:3], 0 offset:340
.LBB118_183:
	s_or_b32 exec_lo, exec_lo, s4
	s_waitcnt_vscnt null, 0x0
	s_barrier
	buffer_gl0_inv
	s_clause 0x1
	buffer_load_dword v5, off, s[0:3], 0 offset:344
	buffer_load_dword v6, off, s[0:3], 0 offset:348
	s_mov_b32 s4, exec_lo
	s_waitcnt vmcnt(0)
	ds_write_b64 v4, v[5:6]
	s_waitcnt lgkmcnt(0)
	s_barrier
	buffer_gl0_inv
	v_cmpx_gt_u32_e32 43, v0
	s_cbranch_execz .LBB118_187
; %bb.184:
	v_add_nc_u32_e32 v5, -1, v0
	v_add_nc_u32_e32 v6, 0x1c0, v3
	v_mov_b32_e32 v7, v3
	v_mov_b32_e32 v2, 0
	;; [unrolled: 1-line block ×3, first 2 shown]
	s_mov_b32 s5, 0
	.p2align	6
.LBB118_185:                            ; =>This Inner Loop Header: Depth=1
	s_clause 0x1
	buffer_load_dword v11, v7, s[0:3], 0 offen offset:4
	buffer_load_dword v122, v7, s[0:3], 0 offen
	ds_read_b64 v[9:10], v6
	v_add_nc_u32_e32 v5, 1, v5
	v_add_nc_u32_e32 v6, 8, v6
	;; [unrolled: 1-line block ×3, first 2 shown]
	v_cmp_lt_u32_e32 vcc_lo, 41, v5
	s_or_b32 s5, vcc_lo, s5
	s_waitcnt vmcnt(1) lgkmcnt(0)
	v_mul_f32_e32 v123, v10, v11
	v_mul_f32_e32 v11, v9, v11
	s_waitcnt vmcnt(0)
	v_fma_f32 v9, v9, v122, -v123
	v_fmac_f32_e32 v11, v10, v122
	v_add_f32_e32 v8, v8, v9
	v_add_f32_e32 v2, v2, v11
	s_andn2_b32 exec_lo, exec_lo, s5
	s_cbranch_execnz .LBB118_185
; %bb.186:
	s_or_b32 exec_lo, exec_lo, s5
	v_mov_b32_e32 v5, 0
	ds_read_b64 v[5:6], v5 offset:344
	s_waitcnt lgkmcnt(0)
	v_mul_f32_e32 v7, v2, v6
	v_mul_f32_e32 v6, v8, v6
	v_fma_f32 v7, v8, v5, -v7
	v_fmac_f32_e32 v6, v2, v5
	buffer_store_dword v7, off, s[0:3], 0 offset:344
	buffer_store_dword v6, off, s[0:3], 0 offset:348
.LBB118_187:
	s_or_b32 exec_lo, exec_lo, s4
	s_waitcnt_vscnt null, 0x0
	s_barrier
	buffer_gl0_inv
	s_clause 0x1
	buffer_load_dword v5, off, s[0:3], 0 offset:352
	buffer_load_dword v6, off, s[0:3], 0 offset:356
	s_mov_b32 s4, exec_lo
	s_waitcnt vmcnt(0)
	ds_write_b64 v4, v[5:6]
	s_waitcnt lgkmcnt(0)
	s_barrier
	buffer_gl0_inv
	v_cmpx_gt_u32_e32 44, v0
	s_cbranch_execz .LBB118_191
; %bb.188:
	v_add_nc_u32_e32 v5, -1, v0
	v_add_nc_u32_e32 v6, 0x1c0, v3
	v_mov_b32_e32 v7, v3
	v_mov_b32_e32 v2, 0
	;; [unrolled: 1-line block ×3, first 2 shown]
	s_mov_b32 s5, 0
	.p2align	6
.LBB118_189:                            ; =>This Inner Loop Header: Depth=1
	s_clause 0x1
	buffer_load_dword v11, v7, s[0:3], 0 offen offset:4
	buffer_load_dword v122, v7, s[0:3], 0 offen
	ds_read_b64 v[9:10], v6
	v_add_nc_u32_e32 v5, 1, v5
	v_add_nc_u32_e32 v6, 8, v6
	;; [unrolled: 1-line block ×3, first 2 shown]
	v_cmp_lt_u32_e32 vcc_lo, 42, v5
	s_or_b32 s5, vcc_lo, s5
	s_waitcnt vmcnt(1) lgkmcnt(0)
	v_mul_f32_e32 v123, v10, v11
	v_mul_f32_e32 v11, v9, v11
	s_waitcnt vmcnt(0)
	v_fma_f32 v9, v9, v122, -v123
	v_fmac_f32_e32 v11, v10, v122
	v_add_f32_e32 v8, v8, v9
	v_add_f32_e32 v2, v2, v11
	s_andn2_b32 exec_lo, exec_lo, s5
	s_cbranch_execnz .LBB118_189
; %bb.190:
	s_or_b32 exec_lo, exec_lo, s5
	v_mov_b32_e32 v5, 0
	ds_read_b64 v[5:6], v5 offset:352
	s_waitcnt lgkmcnt(0)
	v_mul_f32_e32 v7, v2, v6
	v_mul_f32_e32 v6, v8, v6
	v_fma_f32 v7, v8, v5, -v7
	v_fmac_f32_e32 v6, v2, v5
	buffer_store_dword v7, off, s[0:3], 0 offset:352
	buffer_store_dword v6, off, s[0:3], 0 offset:356
.LBB118_191:
	s_or_b32 exec_lo, exec_lo, s4
	s_waitcnt_vscnt null, 0x0
	s_barrier
	buffer_gl0_inv
	s_clause 0x1
	buffer_load_dword v5, off, s[0:3], 0 offset:360
	buffer_load_dword v6, off, s[0:3], 0 offset:364
	s_mov_b32 s4, exec_lo
	s_waitcnt vmcnt(0)
	ds_write_b64 v4, v[5:6]
	s_waitcnt lgkmcnt(0)
	s_barrier
	buffer_gl0_inv
	v_cmpx_gt_u32_e32 45, v0
	s_cbranch_execz .LBB118_195
; %bb.192:
	v_add_nc_u32_e32 v5, -1, v0
	v_add_nc_u32_e32 v6, 0x1c0, v3
	v_mov_b32_e32 v7, v3
	v_mov_b32_e32 v2, 0
	;; [unrolled: 1-line block ×3, first 2 shown]
	s_mov_b32 s5, 0
	.p2align	6
.LBB118_193:                            ; =>This Inner Loop Header: Depth=1
	s_clause 0x1
	buffer_load_dword v11, v7, s[0:3], 0 offen offset:4
	buffer_load_dword v122, v7, s[0:3], 0 offen
	ds_read_b64 v[9:10], v6
	v_add_nc_u32_e32 v5, 1, v5
	v_add_nc_u32_e32 v6, 8, v6
	;; [unrolled: 1-line block ×3, first 2 shown]
	v_cmp_lt_u32_e32 vcc_lo, 43, v5
	s_or_b32 s5, vcc_lo, s5
	s_waitcnt vmcnt(1) lgkmcnt(0)
	v_mul_f32_e32 v123, v10, v11
	v_mul_f32_e32 v11, v9, v11
	s_waitcnt vmcnt(0)
	v_fma_f32 v9, v9, v122, -v123
	v_fmac_f32_e32 v11, v10, v122
	v_add_f32_e32 v8, v8, v9
	v_add_f32_e32 v2, v2, v11
	s_andn2_b32 exec_lo, exec_lo, s5
	s_cbranch_execnz .LBB118_193
; %bb.194:
	s_or_b32 exec_lo, exec_lo, s5
	v_mov_b32_e32 v5, 0
	ds_read_b64 v[5:6], v5 offset:360
	s_waitcnt lgkmcnt(0)
	v_mul_f32_e32 v7, v2, v6
	v_mul_f32_e32 v6, v8, v6
	v_fma_f32 v7, v8, v5, -v7
	v_fmac_f32_e32 v6, v2, v5
	buffer_store_dword v7, off, s[0:3], 0 offset:360
	buffer_store_dword v6, off, s[0:3], 0 offset:364
.LBB118_195:
	s_or_b32 exec_lo, exec_lo, s4
	s_waitcnt_vscnt null, 0x0
	s_barrier
	buffer_gl0_inv
	s_clause 0x1
	buffer_load_dword v5, off, s[0:3], 0 offset:368
	buffer_load_dword v6, off, s[0:3], 0 offset:372
	s_mov_b32 s4, exec_lo
	s_waitcnt vmcnt(0)
	ds_write_b64 v4, v[5:6]
	s_waitcnt lgkmcnt(0)
	s_barrier
	buffer_gl0_inv
	v_cmpx_gt_u32_e32 46, v0
	s_cbranch_execz .LBB118_199
; %bb.196:
	v_add_nc_u32_e32 v5, -1, v0
	v_add_nc_u32_e32 v6, 0x1c0, v3
	v_mov_b32_e32 v7, v3
	v_mov_b32_e32 v2, 0
	;; [unrolled: 1-line block ×3, first 2 shown]
	s_mov_b32 s5, 0
	.p2align	6
.LBB118_197:                            ; =>This Inner Loop Header: Depth=1
	s_clause 0x1
	buffer_load_dword v11, v7, s[0:3], 0 offen offset:4
	buffer_load_dword v122, v7, s[0:3], 0 offen
	ds_read_b64 v[9:10], v6
	v_add_nc_u32_e32 v5, 1, v5
	v_add_nc_u32_e32 v6, 8, v6
	;; [unrolled: 1-line block ×3, first 2 shown]
	v_cmp_lt_u32_e32 vcc_lo, 44, v5
	s_or_b32 s5, vcc_lo, s5
	s_waitcnt vmcnt(1) lgkmcnt(0)
	v_mul_f32_e32 v123, v10, v11
	v_mul_f32_e32 v11, v9, v11
	s_waitcnt vmcnt(0)
	v_fma_f32 v9, v9, v122, -v123
	v_fmac_f32_e32 v11, v10, v122
	v_add_f32_e32 v8, v8, v9
	v_add_f32_e32 v2, v2, v11
	s_andn2_b32 exec_lo, exec_lo, s5
	s_cbranch_execnz .LBB118_197
; %bb.198:
	s_or_b32 exec_lo, exec_lo, s5
	v_mov_b32_e32 v5, 0
	ds_read_b64 v[5:6], v5 offset:368
	s_waitcnt lgkmcnt(0)
	v_mul_f32_e32 v7, v2, v6
	v_mul_f32_e32 v6, v8, v6
	v_fma_f32 v7, v8, v5, -v7
	v_fmac_f32_e32 v6, v2, v5
	buffer_store_dword v7, off, s[0:3], 0 offset:368
	buffer_store_dword v6, off, s[0:3], 0 offset:372
.LBB118_199:
	s_or_b32 exec_lo, exec_lo, s4
	s_waitcnt_vscnt null, 0x0
	s_barrier
	buffer_gl0_inv
	s_clause 0x1
	buffer_load_dword v5, off, s[0:3], 0 offset:376
	buffer_load_dword v6, off, s[0:3], 0 offset:380
	s_mov_b32 s4, exec_lo
	s_waitcnt vmcnt(0)
	ds_write_b64 v4, v[5:6]
	s_waitcnt lgkmcnt(0)
	s_barrier
	buffer_gl0_inv
	v_cmpx_gt_u32_e32 47, v0
	s_cbranch_execz .LBB118_203
; %bb.200:
	v_add_nc_u32_e32 v5, -1, v0
	v_add_nc_u32_e32 v6, 0x1c0, v3
	v_mov_b32_e32 v7, v3
	v_mov_b32_e32 v2, 0
	;; [unrolled: 1-line block ×3, first 2 shown]
	s_mov_b32 s5, 0
	.p2align	6
.LBB118_201:                            ; =>This Inner Loop Header: Depth=1
	s_clause 0x1
	buffer_load_dword v11, v7, s[0:3], 0 offen offset:4
	buffer_load_dword v122, v7, s[0:3], 0 offen
	ds_read_b64 v[9:10], v6
	v_add_nc_u32_e32 v5, 1, v5
	v_add_nc_u32_e32 v6, 8, v6
	;; [unrolled: 1-line block ×3, first 2 shown]
	v_cmp_lt_u32_e32 vcc_lo, 45, v5
	s_or_b32 s5, vcc_lo, s5
	s_waitcnt vmcnt(1) lgkmcnt(0)
	v_mul_f32_e32 v123, v10, v11
	v_mul_f32_e32 v11, v9, v11
	s_waitcnt vmcnt(0)
	v_fma_f32 v9, v9, v122, -v123
	v_fmac_f32_e32 v11, v10, v122
	v_add_f32_e32 v8, v8, v9
	v_add_f32_e32 v2, v2, v11
	s_andn2_b32 exec_lo, exec_lo, s5
	s_cbranch_execnz .LBB118_201
; %bb.202:
	s_or_b32 exec_lo, exec_lo, s5
	v_mov_b32_e32 v5, 0
	ds_read_b64 v[5:6], v5 offset:376
	s_waitcnt lgkmcnt(0)
	v_mul_f32_e32 v7, v2, v6
	v_mul_f32_e32 v6, v8, v6
	v_fma_f32 v7, v8, v5, -v7
	v_fmac_f32_e32 v6, v2, v5
	buffer_store_dword v7, off, s[0:3], 0 offset:376
	buffer_store_dword v6, off, s[0:3], 0 offset:380
.LBB118_203:
	s_or_b32 exec_lo, exec_lo, s4
	s_waitcnt_vscnt null, 0x0
	s_barrier
	buffer_gl0_inv
	s_clause 0x1
	buffer_load_dword v5, off, s[0:3], 0 offset:384
	buffer_load_dword v6, off, s[0:3], 0 offset:388
	s_mov_b32 s4, exec_lo
	s_waitcnt vmcnt(0)
	ds_write_b64 v4, v[5:6]
	s_waitcnt lgkmcnt(0)
	s_barrier
	buffer_gl0_inv
	v_cmpx_gt_u32_e32 48, v0
	s_cbranch_execz .LBB118_207
; %bb.204:
	v_add_nc_u32_e32 v5, -1, v0
	v_add_nc_u32_e32 v6, 0x1c0, v3
	v_mov_b32_e32 v7, v3
	v_mov_b32_e32 v2, 0
	;; [unrolled: 1-line block ×3, first 2 shown]
	s_mov_b32 s5, 0
	.p2align	6
.LBB118_205:                            ; =>This Inner Loop Header: Depth=1
	s_clause 0x1
	buffer_load_dword v11, v7, s[0:3], 0 offen offset:4
	buffer_load_dword v122, v7, s[0:3], 0 offen
	ds_read_b64 v[9:10], v6
	v_add_nc_u32_e32 v5, 1, v5
	v_add_nc_u32_e32 v6, 8, v6
	;; [unrolled: 1-line block ×3, first 2 shown]
	v_cmp_lt_u32_e32 vcc_lo, 46, v5
	s_or_b32 s5, vcc_lo, s5
	s_waitcnt vmcnt(1) lgkmcnt(0)
	v_mul_f32_e32 v123, v10, v11
	v_mul_f32_e32 v11, v9, v11
	s_waitcnt vmcnt(0)
	v_fma_f32 v9, v9, v122, -v123
	v_fmac_f32_e32 v11, v10, v122
	v_add_f32_e32 v8, v8, v9
	v_add_f32_e32 v2, v2, v11
	s_andn2_b32 exec_lo, exec_lo, s5
	s_cbranch_execnz .LBB118_205
; %bb.206:
	s_or_b32 exec_lo, exec_lo, s5
	v_mov_b32_e32 v5, 0
	ds_read_b64 v[5:6], v5 offset:384
	s_waitcnt lgkmcnt(0)
	v_mul_f32_e32 v7, v2, v6
	v_mul_f32_e32 v6, v8, v6
	v_fma_f32 v7, v8, v5, -v7
	v_fmac_f32_e32 v6, v2, v5
	buffer_store_dword v7, off, s[0:3], 0 offset:384
	buffer_store_dword v6, off, s[0:3], 0 offset:388
.LBB118_207:
	s_or_b32 exec_lo, exec_lo, s4
	s_waitcnt_vscnt null, 0x0
	s_barrier
	buffer_gl0_inv
	s_clause 0x1
	buffer_load_dword v5, off, s[0:3], 0 offset:392
	buffer_load_dword v6, off, s[0:3], 0 offset:396
	s_mov_b32 s4, exec_lo
	s_waitcnt vmcnt(0)
	ds_write_b64 v4, v[5:6]
	s_waitcnt lgkmcnt(0)
	s_barrier
	buffer_gl0_inv
	v_cmpx_gt_u32_e32 49, v0
	s_cbranch_execz .LBB118_211
; %bb.208:
	v_add_nc_u32_e32 v5, -1, v0
	v_add_nc_u32_e32 v6, 0x1c0, v3
	v_mov_b32_e32 v7, v3
	v_mov_b32_e32 v2, 0
	;; [unrolled: 1-line block ×3, first 2 shown]
	s_mov_b32 s5, 0
	.p2align	6
.LBB118_209:                            ; =>This Inner Loop Header: Depth=1
	s_clause 0x1
	buffer_load_dword v11, v7, s[0:3], 0 offen offset:4
	buffer_load_dword v122, v7, s[0:3], 0 offen
	ds_read_b64 v[9:10], v6
	v_add_nc_u32_e32 v5, 1, v5
	v_add_nc_u32_e32 v6, 8, v6
	;; [unrolled: 1-line block ×3, first 2 shown]
	v_cmp_lt_u32_e32 vcc_lo, 47, v5
	s_or_b32 s5, vcc_lo, s5
	s_waitcnt vmcnt(1) lgkmcnt(0)
	v_mul_f32_e32 v123, v10, v11
	v_mul_f32_e32 v11, v9, v11
	s_waitcnt vmcnt(0)
	v_fma_f32 v9, v9, v122, -v123
	v_fmac_f32_e32 v11, v10, v122
	v_add_f32_e32 v8, v8, v9
	v_add_f32_e32 v2, v2, v11
	s_andn2_b32 exec_lo, exec_lo, s5
	s_cbranch_execnz .LBB118_209
; %bb.210:
	s_or_b32 exec_lo, exec_lo, s5
	v_mov_b32_e32 v5, 0
	ds_read_b64 v[5:6], v5 offset:392
	s_waitcnt lgkmcnt(0)
	v_mul_f32_e32 v7, v2, v6
	v_mul_f32_e32 v6, v8, v6
	v_fma_f32 v7, v8, v5, -v7
	v_fmac_f32_e32 v6, v2, v5
	buffer_store_dword v7, off, s[0:3], 0 offset:392
	buffer_store_dword v6, off, s[0:3], 0 offset:396
.LBB118_211:
	s_or_b32 exec_lo, exec_lo, s4
	s_waitcnt_vscnt null, 0x0
	s_barrier
	buffer_gl0_inv
	s_clause 0x1
	buffer_load_dword v5, off, s[0:3], 0 offset:400
	buffer_load_dword v6, off, s[0:3], 0 offset:404
	s_mov_b32 s4, exec_lo
	s_waitcnt vmcnt(0)
	ds_write_b64 v4, v[5:6]
	s_waitcnt lgkmcnt(0)
	s_barrier
	buffer_gl0_inv
	v_cmpx_gt_u32_e32 50, v0
	s_cbranch_execz .LBB118_215
; %bb.212:
	v_add_nc_u32_e32 v5, -1, v0
	v_add_nc_u32_e32 v6, 0x1c0, v3
	v_mov_b32_e32 v7, v3
	v_mov_b32_e32 v2, 0
	;; [unrolled: 1-line block ×3, first 2 shown]
	s_mov_b32 s5, 0
	.p2align	6
.LBB118_213:                            ; =>This Inner Loop Header: Depth=1
	s_clause 0x1
	buffer_load_dword v11, v7, s[0:3], 0 offen offset:4
	buffer_load_dword v122, v7, s[0:3], 0 offen
	ds_read_b64 v[9:10], v6
	v_add_nc_u32_e32 v5, 1, v5
	v_add_nc_u32_e32 v6, 8, v6
	v_add_nc_u32_e32 v7, 8, v7
	v_cmp_lt_u32_e32 vcc_lo, 48, v5
	s_or_b32 s5, vcc_lo, s5
	s_waitcnt vmcnt(1) lgkmcnt(0)
	v_mul_f32_e32 v123, v10, v11
	v_mul_f32_e32 v11, v9, v11
	s_waitcnt vmcnt(0)
	v_fma_f32 v9, v9, v122, -v123
	v_fmac_f32_e32 v11, v10, v122
	v_add_f32_e32 v8, v8, v9
	v_add_f32_e32 v2, v2, v11
	s_andn2_b32 exec_lo, exec_lo, s5
	s_cbranch_execnz .LBB118_213
; %bb.214:
	s_or_b32 exec_lo, exec_lo, s5
	v_mov_b32_e32 v5, 0
	ds_read_b64 v[5:6], v5 offset:400
	s_waitcnt lgkmcnt(0)
	v_mul_f32_e32 v7, v2, v6
	v_mul_f32_e32 v6, v8, v6
	v_fma_f32 v7, v8, v5, -v7
	v_fmac_f32_e32 v6, v2, v5
	buffer_store_dword v7, off, s[0:3], 0 offset:400
	buffer_store_dword v6, off, s[0:3], 0 offset:404
.LBB118_215:
	s_or_b32 exec_lo, exec_lo, s4
	s_waitcnt_vscnt null, 0x0
	s_barrier
	buffer_gl0_inv
	s_clause 0x1
	buffer_load_dword v5, off, s[0:3], 0 offset:408
	buffer_load_dword v6, off, s[0:3], 0 offset:412
	s_mov_b32 s4, exec_lo
	s_waitcnt vmcnt(0)
	ds_write_b64 v4, v[5:6]
	s_waitcnt lgkmcnt(0)
	s_barrier
	buffer_gl0_inv
	v_cmpx_gt_u32_e32 51, v0
	s_cbranch_execz .LBB118_219
; %bb.216:
	v_add_nc_u32_e32 v5, -1, v0
	v_add_nc_u32_e32 v6, 0x1c0, v3
	v_mov_b32_e32 v7, v3
	v_mov_b32_e32 v2, 0
	;; [unrolled: 1-line block ×3, first 2 shown]
	s_mov_b32 s5, 0
	.p2align	6
.LBB118_217:                            ; =>This Inner Loop Header: Depth=1
	s_clause 0x1
	buffer_load_dword v11, v7, s[0:3], 0 offen offset:4
	buffer_load_dword v122, v7, s[0:3], 0 offen
	ds_read_b64 v[9:10], v6
	v_add_nc_u32_e32 v5, 1, v5
	v_add_nc_u32_e32 v6, 8, v6
	;; [unrolled: 1-line block ×3, first 2 shown]
	v_cmp_lt_u32_e32 vcc_lo, 49, v5
	s_or_b32 s5, vcc_lo, s5
	s_waitcnt vmcnt(1) lgkmcnt(0)
	v_mul_f32_e32 v123, v10, v11
	v_mul_f32_e32 v11, v9, v11
	s_waitcnt vmcnt(0)
	v_fma_f32 v9, v9, v122, -v123
	v_fmac_f32_e32 v11, v10, v122
	v_add_f32_e32 v8, v8, v9
	v_add_f32_e32 v2, v2, v11
	s_andn2_b32 exec_lo, exec_lo, s5
	s_cbranch_execnz .LBB118_217
; %bb.218:
	s_or_b32 exec_lo, exec_lo, s5
	v_mov_b32_e32 v5, 0
	ds_read_b64 v[5:6], v5 offset:408
	s_waitcnt lgkmcnt(0)
	v_mul_f32_e32 v7, v2, v6
	v_mul_f32_e32 v6, v8, v6
	v_fma_f32 v7, v8, v5, -v7
	v_fmac_f32_e32 v6, v2, v5
	buffer_store_dword v7, off, s[0:3], 0 offset:408
	buffer_store_dword v6, off, s[0:3], 0 offset:412
.LBB118_219:
	s_or_b32 exec_lo, exec_lo, s4
	s_waitcnt_vscnt null, 0x0
	s_barrier
	buffer_gl0_inv
	s_clause 0x1
	buffer_load_dword v5, off, s[0:3], 0 offset:416
	buffer_load_dword v6, off, s[0:3], 0 offset:420
	s_mov_b32 s4, exec_lo
	s_waitcnt vmcnt(0)
	ds_write_b64 v4, v[5:6]
	s_waitcnt lgkmcnt(0)
	s_barrier
	buffer_gl0_inv
	v_cmpx_gt_u32_e32 52, v0
	s_cbranch_execz .LBB118_223
; %bb.220:
	v_add_nc_u32_e32 v5, -1, v0
	v_add_nc_u32_e32 v6, 0x1c0, v3
	v_mov_b32_e32 v7, v3
	v_mov_b32_e32 v2, 0
	;; [unrolled: 1-line block ×3, first 2 shown]
	s_mov_b32 s5, 0
	.p2align	6
.LBB118_221:                            ; =>This Inner Loop Header: Depth=1
	s_clause 0x1
	buffer_load_dword v11, v7, s[0:3], 0 offen offset:4
	buffer_load_dword v122, v7, s[0:3], 0 offen
	ds_read_b64 v[9:10], v6
	v_add_nc_u32_e32 v5, 1, v5
	v_add_nc_u32_e32 v6, 8, v6
	;; [unrolled: 1-line block ×3, first 2 shown]
	v_cmp_lt_u32_e32 vcc_lo, 50, v5
	s_or_b32 s5, vcc_lo, s5
	s_waitcnt vmcnt(1) lgkmcnt(0)
	v_mul_f32_e32 v123, v10, v11
	v_mul_f32_e32 v11, v9, v11
	s_waitcnt vmcnt(0)
	v_fma_f32 v9, v9, v122, -v123
	v_fmac_f32_e32 v11, v10, v122
	v_add_f32_e32 v8, v8, v9
	v_add_f32_e32 v2, v2, v11
	s_andn2_b32 exec_lo, exec_lo, s5
	s_cbranch_execnz .LBB118_221
; %bb.222:
	s_or_b32 exec_lo, exec_lo, s5
	v_mov_b32_e32 v5, 0
	ds_read_b64 v[5:6], v5 offset:416
	s_waitcnt lgkmcnt(0)
	v_mul_f32_e32 v7, v2, v6
	v_mul_f32_e32 v6, v8, v6
	v_fma_f32 v7, v8, v5, -v7
	v_fmac_f32_e32 v6, v2, v5
	buffer_store_dword v7, off, s[0:3], 0 offset:416
	buffer_store_dword v6, off, s[0:3], 0 offset:420
.LBB118_223:
	s_or_b32 exec_lo, exec_lo, s4
	s_waitcnt_vscnt null, 0x0
	s_barrier
	buffer_gl0_inv
	s_clause 0x1
	buffer_load_dword v5, off, s[0:3], 0 offset:424
	buffer_load_dword v6, off, s[0:3], 0 offset:428
	s_mov_b32 s4, exec_lo
	s_waitcnt vmcnt(0)
	ds_write_b64 v4, v[5:6]
	s_waitcnt lgkmcnt(0)
	s_barrier
	buffer_gl0_inv
	v_cmpx_gt_u32_e32 53, v0
	s_cbranch_execz .LBB118_227
; %bb.224:
	v_add_nc_u32_e32 v5, -1, v0
	v_add_nc_u32_e32 v6, 0x1c0, v3
	v_mov_b32_e32 v7, v3
	v_mov_b32_e32 v2, 0
	;; [unrolled: 1-line block ×3, first 2 shown]
	s_mov_b32 s5, 0
	.p2align	6
.LBB118_225:                            ; =>This Inner Loop Header: Depth=1
	s_clause 0x1
	buffer_load_dword v11, v7, s[0:3], 0 offen offset:4
	buffer_load_dword v122, v7, s[0:3], 0 offen
	ds_read_b64 v[9:10], v6
	v_add_nc_u32_e32 v5, 1, v5
	v_add_nc_u32_e32 v6, 8, v6
	;; [unrolled: 1-line block ×3, first 2 shown]
	v_cmp_lt_u32_e32 vcc_lo, 51, v5
	s_or_b32 s5, vcc_lo, s5
	s_waitcnt vmcnt(1) lgkmcnt(0)
	v_mul_f32_e32 v123, v10, v11
	v_mul_f32_e32 v11, v9, v11
	s_waitcnt vmcnt(0)
	v_fma_f32 v9, v9, v122, -v123
	v_fmac_f32_e32 v11, v10, v122
	v_add_f32_e32 v8, v8, v9
	v_add_f32_e32 v2, v2, v11
	s_andn2_b32 exec_lo, exec_lo, s5
	s_cbranch_execnz .LBB118_225
; %bb.226:
	s_or_b32 exec_lo, exec_lo, s5
	v_mov_b32_e32 v5, 0
	ds_read_b64 v[5:6], v5 offset:424
	s_waitcnt lgkmcnt(0)
	v_mul_f32_e32 v7, v2, v6
	v_mul_f32_e32 v6, v8, v6
	v_fma_f32 v7, v8, v5, -v7
	v_fmac_f32_e32 v6, v2, v5
	buffer_store_dword v7, off, s[0:3], 0 offset:424
	buffer_store_dword v6, off, s[0:3], 0 offset:428
.LBB118_227:
	s_or_b32 exec_lo, exec_lo, s4
	s_waitcnt_vscnt null, 0x0
	s_barrier
	buffer_gl0_inv
	s_clause 0x1
	buffer_load_dword v5, off, s[0:3], 0 offset:432
	buffer_load_dword v6, off, s[0:3], 0 offset:436
	s_mov_b32 s4, exec_lo
	s_waitcnt vmcnt(0)
	ds_write_b64 v4, v[5:6]
	s_waitcnt lgkmcnt(0)
	s_barrier
	buffer_gl0_inv
	v_cmpx_ne_u32_e32 54, v0
	s_cbranch_execz .LBB118_231
; %bb.228:
	v_mov_b32_e32 v2, 0
	v_mov_b32_e32 v5, 0
	s_mov_b32 s5, 0
	.p2align	6
.LBB118_229:                            ; =>This Inner Loop Header: Depth=1
	s_clause 0x1
	buffer_load_dword v8, v3, s[0:3], 0 offen offset:4
	buffer_load_dword v9, v3, s[0:3], 0 offen
	ds_read_b64 v[6:7], v4
	v_add_nc_u32_e32 v1, 1, v1
	v_add_nc_u32_e32 v4, 8, v4
	;; [unrolled: 1-line block ×3, first 2 shown]
	v_cmp_lt_u32_e32 vcc_lo, 52, v1
	s_or_b32 s5, vcc_lo, s5
	s_waitcnt vmcnt(1) lgkmcnt(0)
	v_mul_f32_e32 v10, v7, v8
	v_mul_f32_e32 v8, v6, v8
	s_waitcnt vmcnt(0)
	v_fma_f32 v6, v6, v9, -v10
	v_fmac_f32_e32 v8, v7, v9
	v_add_f32_e32 v5, v5, v6
	v_add_f32_e32 v2, v2, v8
	s_andn2_b32 exec_lo, exec_lo, s5
	s_cbranch_execnz .LBB118_229
; %bb.230:
	s_or_b32 exec_lo, exec_lo, s5
	v_mov_b32_e32 v1, 0
	ds_read_b64 v[3:4], v1 offset:432
	s_waitcnt lgkmcnt(0)
	v_mul_f32_e32 v1, v2, v4
	v_mul_f32_e32 v4, v5, v4
	v_fma_f32 v1, v5, v3, -v1
	v_fmac_f32_e32 v4, v2, v3
	buffer_store_dword v1, off, s[0:3], 0 offset:432
	buffer_store_dword v4, off, s[0:3], 0 offset:436
.LBB118_231:
	s_or_b32 exec_lo, exec_lo, s4
	s_mov_b32 s5, -1
	s_waitcnt_vscnt null, 0x0
	s_barrier
	buffer_gl0_inv
.LBB118_232:
	s_and_b32 vcc_lo, exec_lo, s5
	s_cbranch_vccz .LBB118_234
; %bb.233:
	s_lshl_b64 s[4:5], s[6:7], 2
	v_mov_b32_e32 v1, 0
	s_add_u32 s4, s10, s4
	s_addc_u32 s5, s11, s5
	global_load_dword v1, v1, s[4:5]
	s_waitcnt vmcnt(0)
	v_cmp_ne_u32_e32 vcc_lo, 0, v1
	s_cbranch_vccz .LBB118_235
.LBB118_234:
	s_endpgm
.LBB118_235:
	v_lshl_add_u32 v9, v0, 3, 0x1c0
	s_mov_b32 s4, exec_lo
	v_cmpx_eq_u32_e32 54, v0
	s_cbranch_execz .LBB118_237
; %bb.236:
	s_clause 0x1
	buffer_load_dword v1, off, s[0:3], 0 offset:424
	buffer_load_dword v2, off, s[0:3], 0 offset:428
	v_mov_b32_e32 v3, 0
	buffer_store_dword v3, off, s[0:3], 0 offset:424
	buffer_store_dword v3, off, s[0:3], 0 offset:428
	s_waitcnt vmcnt(0)
	ds_write_b64 v9, v[1:2]
.LBB118_237:
	s_or_b32 exec_lo, exec_lo, s4
	s_waitcnt lgkmcnt(0)
	s_waitcnt_vscnt null, 0x0
	s_barrier
	buffer_gl0_inv
	s_clause 0x3
	buffer_load_dword v4, off, s[0:3], 0 offset:436
	buffer_load_dword v5, off, s[0:3], 0 offset:432
	buffer_load_dword v6, off, s[0:3], 0 offset:424
	buffer_load_dword v7, off, s[0:3], 0 offset:428
	v_mov_b32_e32 v1, 0
	s_mov_b32 s4, exec_lo
	ds_read_b64 v[2:3], v1 offset:880
	s_waitcnt vmcnt(3) lgkmcnt(0)
	v_mul_f32_e32 v8, v3, v4
	v_mul_f32_e32 v4, v2, v4
	s_waitcnt vmcnt(2)
	v_fma_f32 v2, v2, v5, -v8
	v_fmac_f32_e32 v4, v3, v5
	v_add_f32_e32 v2, 0, v2
	v_add_f32_e32 v3, 0, v4
	s_waitcnt vmcnt(1)
	v_sub_f32_e32 v2, v6, v2
	s_waitcnt vmcnt(0)
	v_sub_f32_e32 v3, v7, v3
	buffer_store_dword v2, off, s[0:3], 0 offset:424
	buffer_store_dword v3, off, s[0:3], 0 offset:428
	v_cmpx_lt_u32_e32 52, v0
	s_cbranch_execz .LBB118_239
; %bb.238:
	s_clause 0x1
	buffer_load_dword v2, off, s[0:3], 0 offset:416
	buffer_load_dword v3, off, s[0:3], 0 offset:420
	buffer_store_dword v1, off, s[0:3], 0 offset:416
	buffer_store_dword v1, off, s[0:3], 0 offset:420
	s_waitcnt vmcnt(0)
	ds_write_b64 v9, v[2:3]
.LBB118_239:
	s_or_b32 exec_lo, exec_lo, s4
	s_waitcnt lgkmcnt(0)
	s_waitcnt_vscnt null, 0x0
	s_barrier
	buffer_gl0_inv
	s_clause 0x5
	buffer_load_dword v5, off, s[0:3], 0 offset:428
	buffer_load_dword v6, off, s[0:3], 0 offset:436
	;; [unrolled: 1-line block ×6, first 2 shown]
	ds_read2_b64 v[1:4], v1 offset0:109 offset1:110
	s_mov_b32 s4, exec_lo
	s_waitcnt vmcnt(5) lgkmcnt(0)
	v_mul_f32_e32 v122, v2, v5
	v_mul_f32_e32 v5, v1, v5
	s_waitcnt vmcnt(4)
	v_mul_f32_e32 v123, v3, v6
	v_mul_f32_e32 v6, v4, v6
	s_waitcnt vmcnt(3)
	v_fma_f32 v1, v1, v7, -v122
	v_fmac_f32_e32 v5, v2, v7
	s_waitcnt vmcnt(2)
	v_fmac_f32_e32 v123, v4, v8
	v_fma_f32 v2, v3, v8, -v6
	v_add_f32_e32 v1, 0, v1
	v_add_f32_e32 v3, 0, v5
	;; [unrolled: 1-line block ×4, first 2 shown]
	s_waitcnt vmcnt(1)
	v_sub_f32_e32 v1, v10, v1
	s_waitcnt vmcnt(0)
	v_sub_f32_e32 v2, v11, v2
	buffer_store_dword v1, off, s[0:3], 0 offset:416
	buffer_store_dword v2, off, s[0:3], 0 offset:420
	v_cmpx_lt_u32_e32 51, v0
	s_cbranch_execz .LBB118_241
; %bb.240:
	s_clause 0x1
	buffer_load_dword v1, off, s[0:3], 0 offset:408
	buffer_load_dword v2, off, s[0:3], 0 offset:412
	v_mov_b32_e32 v3, 0
	buffer_store_dword v3, off, s[0:3], 0 offset:408
	buffer_store_dword v3, off, s[0:3], 0 offset:412
	s_waitcnt vmcnt(0)
	ds_write_b64 v9, v[1:2]
.LBB118_241:
	s_or_b32 exec_lo, exec_lo, s4
	s_waitcnt lgkmcnt(0)
	s_waitcnt_vscnt null, 0x0
	s_barrier
	buffer_gl0_inv
	s_clause 0x7
	buffer_load_dword v8, off, s[0:3], 0 offset:420
	buffer_load_dword v10, off, s[0:3], 0 offset:428
	;; [unrolled: 1-line block ×8, first 2 shown]
	v_mov_b32_e32 v1, 0
	ds_read_b128 v[2:5], v1 offset:864
	ds_read_b64 v[6:7], v1 offset:880
	s_mov_b32 s4, exec_lo
	s_waitcnt vmcnt(7) lgkmcnt(1)
	v_mul_f32_e32 v127, v3, v8
	v_mul_f32_e32 v8, v2, v8
	s_waitcnt vmcnt(6)
	v_mul_f32_e32 v128, v4, v10
	v_mul_f32_e32 v10, v5, v10
	s_waitcnt vmcnt(5) lgkmcnt(0)
	v_mul_f32_e32 v129, v6, v11
	s_waitcnt vmcnt(4)
	v_fma_f32 v2, v2, v122, -v127
	v_fmac_f32_e32 v8, v3, v122
	v_mul_f32_e32 v3, v7, v11
	s_waitcnt vmcnt(3)
	v_fma_f32 v4, v4, v123, -v10
	v_fmac_f32_e32 v128, v5, v123
	v_add_f32_e32 v2, 0, v2
	v_add_f32_e32 v5, 0, v8
	s_waitcnt vmcnt(2)
	v_fma_f32 v3, v6, v124, -v3
	v_fmac_f32_e32 v129, v7, v124
	v_add_f32_e32 v2, v2, v4
	v_add_f32_e32 v4, v5, v128
	;; [unrolled: 1-line block ×4, first 2 shown]
	s_waitcnt vmcnt(1)
	v_sub_f32_e32 v2, v125, v2
	s_waitcnt vmcnt(0)
	v_sub_f32_e32 v3, v126, v3
	buffer_store_dword v2, off, s[0:3], 0 offset:408
	buffer_store_dword v3, off, s[0:3], 0 offset:412
	v_cmpx_lt_u32_e32 50, v0
	s_cbranch_execz .LBB118_243
; %bb.242:
	s_clause 0x1
	buffer_load_dword v2, off, s[0:3], 0 offset:400
	buffer_load_dword v3, off, s[0:3], 0 offset:404
	buffer_store_dword v1, off, s[0:3], 0 offset:400
	buffer_store_dword v1, off, s[0:3], 0 offset:404
	s_waitcnt vmcnt(0)
	ds_write_b64 v9, v[2:3]
.LBB118_243:
	s_or_b32 exec_lo, exec_lo, s4
	s_waitcnt lgkmcnt(0)
	s_waitcnt_vscnt null, 0x0
	s_barrier
	buffer_gl0_inv
	s_clause 0x9
	buffer_load_dword v6, off, s[0:3], 0 offset:412
	buffer_load_dword v7, off, s[0:3], 0 offset:420
	;; [unrolled: 1-line block ×10, first 2 shown]
	ds_read2_b64 v[2:5], v1 offset0:107 offset1:108
	ds_read2_b64 v[122:125], v1 offset0:109 offset1:110
	s_mov_b32 s4, exec_lo
	s_waitcnt vmcnt(9) lgkmcnt(1)
	v_mul_f32_e32 v1, v2, v6
	v_mul_f32_e32 v6, v3, v6
	s_waitcnt vmcnt(8)
	v_mul_f32_e32 v131, v4, v7
	v_mul_f32_e32 v7, v5, v7
	s_waitcnt vmcnt(7) lgkmcnt(0)
	v_mul_f32_e32 v132, v122, v8
	s_waitcnt vmcnt(5)
	v_fmac_f32_e32 v1, v3, v11
	v_fma_f32 v2, v2, v11, -v6
	v_mul_f32_e32 v3, v123, v8
	s_waitcnt vmcnt(4)
	v_fma_f32 v4, v4, v126, -v7
	v_fmac_f32_e32 v131, v5, v126
	v_add_f32_e32 v1, 0, v1
	v_add_f32_e32 v2, 0, v2
	v_mul_f32_e32 v5, v125, v10
	s_waitcnt vmcnt(3)
	v_fma_f32 v3, v122, v127, -v3
	v_mul_f32_e32 v133, v124, v10
	v_fmac_f32_e32 v132, v123, v127
	v_add_f32_e32 v2, v2, v4
	v_add_f32_e32 v1, v1, v131
	s_waitcnt vmcnt(2)
	v_fma_f32 v4, v124, v128, -v5
	v_fmac_f32_e32 v133, v125, v128
	v_add_f32_e32 v2, v2, v3
	v_add_f32_e32 v1, v1, v132
	;; [unrolled: 1-line block ×4, first 2 shown]
	s_waitcnt vmcnt(1)
	v_sub_f32_e32 v2, v129, v2
	s_waitcnt vmcnt(0)
	v_sub_f32_e32 v1, v130, v1
	buffer_store_dword v2, off, s[0:3], 0 offset:400
	buffer_store_dword v1, off, s[0:3], 0 offset:404
	v_cmpx_lt_u32_e32 49, v0
	s_cbranch_execz .LBB118_245
; %bb.244:
	s_clause 0x1
	buffer_load_dword v1, off, s[0:3], 0 offset:392
	buffer_load_dword v2, off, s[0:3], 0 offset:396
	v_mov_b32_e32 v3, 0
	buffer_store_dword v3, off, s[0:3], 0 offset:392
	buffer_store_dword v3, off, s[0:3], 0 offset:396
	s_waitcnt vmcnt(0)
	ds_write_b64 v9, v[1:2]
.LBB118_245:
	s_or_b32 exec_lo, exec_lo, s4
	s_waitcnt lgkmcnt(0)
	s_waitcnt_vscnt null, 0x0
	s_barrier
	buffer_gl0_inv
	s_clause 0xb
	buffer_load_dword v8, off, s[0:3], 0 offset:404
	buffer_load_dword v10, off, s[0:3], 0 offset:412
	;; [unrolled: 1-line block ×12, first 2 shown]
	v_mov_b32_e32 v1, 0
	ds_read_b128 v[2:5], v1 offset:848
	ds_read_b128 v[122:125], v1 offset:864
	ds_read_b64 v[6:7], v1 offset:880
	s_mov_b32 s4, exec_lo
	s_waitcnt vmcnt(11) lgkmcnt(2)
	v_mul_f32_e32 v135, v2, v8
	v_mul_f32_e32 v8, v3, v8
	s_waitcnt vmcnt(10)
	v_mul_f32_e32 v136, v4, v10
	v_mul_f32_e32 v10, v5, v10
	s_waitcnt vmcnt(9) lgkmcnt(1)
	v_mul_f32_e32 v137, v122, v11
	s_waitcnt vmcnt(6)
	v_fmac_f32_e32 v135, v3, v128
	v_fma_f32 v2, v2, v128, -v8
	v_mul_f32_e32 v3, v123, v11
	s_waitcnt vmcnt(5)
	v_fma_f32 v4, v4, v129, -v10
	v_fmac_f32_e32 v136, v5, v129
	v_add_f32_e32 v5, 0, v135
	v_add_f32_e32 v2, 0, v2
	v_mul_f32_e32 v8, v125, v126
	s_waitcnt vmcnt(4)
	v_fma_f32 v3, v122, v130, -v3
	v_mul_f32_e32 v138, v124, v126
	v_fmac_f32_e32 v137, v123, v130
	v_add_f32_e32 v2, v2, v4
	v_add_f32_e32 v4, v5, v136
	s_waitcnt lgkmcnt(0)
	v_mul_f32_e32 v5, v7, v127
	s_waitcnt vmcnt(3)
	v_fma_f32 v8, v124, v131, -v8
	v_mul_f32_e32 v139, v6, v127
	v_add_f32_e32 v2, v2, v3
	v_fmac_f32_e32 v138, v125, v131
	v_add_f32_e32 v3, v4, v137
	s_waitcnt vmcnt(2)
	v_fma_f32 v4, v6, v132, -v5
	v_fmac_f32_e32 v139, v7, v132
	v_add_f32_e32 v2, v2, v8
	v_add_f32_e32 v3, v3, v138
	v_add_f32_e32 v2, v2, v4
	v_add_f32_e32 v3, v3, v139
	s_waitcnt vmcnt(1)
	v_sub_f32_e32 v2, v133, v2
	s_waitcnt vmcnt(0)
	v_sub_f32_e32 v3, v134, v3
	buffer_store_dword v2, off, s[0:3], 0 offset:392
	buffer_store_dword v3, off, s[0:3], 0 offset:396
	v_cmpx_lt_u32_e32 48, v0
	s_cbranch_execz .LBB118_247
; %bb.246:
	s_clause 0x1
	buffer_load_dword v2, off, s[0:3], 0 offset:384
	buffer_load_dword v3, off, s[0:3], 0 offset:388
	buffer_store_dword v1, off, s[0:3], 0 offset:384
	buffer_store_dword v1, off, s[0:3], 0 offset:388
	s_waitcnt vmcnt(0)
	ds_write_b64 v9, v[2:3]
.LBB118_247:
	s_or_b32 exec_lo, exec_lo, s4
	s_waitcnt lgkmcnt(0)
	s_waitcnt_vscnt null, 0x0
	s_barrier
	buffer_gl0_inv
	s_clause 0xd
	buffer_load_dword v6, off, s[0:3], 0 offset:396
	buffer_load_dword v7, off, s[0:3], 0 offset:404
	;; [unrolled: 1-line block ×14, first 2 shown]
	ds_read2_b64 v[2:5], v1 offset0:105 offset1:106
	ds_read2_b64 v[122:125], v1 offset0:107 offset1:108
	;; [unrolled: 1-line block ×3, first 2 shown]
	s_mov_b32 s4, exec_lo
	s_waitcnt vmcnt(13) lgkmcnt(2)
	v_mul_f32_e32 v1, v2, v6
	v_mul_f32_e32 v6, v3, v6
	s_waitcnt vmcnt(12)
	v_mul_f32_e32 v139, v4, v7
	v_mul_f32_e32 v7, v5, v7
	s_waitcnt vmcnt(11) lgkmcnt(1)
	v_mul_f32_e32 v140, v122, v8
	s_waitcnt vmcnt(10)
	v_mul_f32_e32 v141, v124, v10
	s_waitcnt vmcnt(7)
	v_fma_f32 v2, v2, v131, -v6
	v_fmac_f32_e32 v1, v3, v131
	v_mul_f32_e32 v3, v123, v8
	s_waitcnt vmcnt(6)
	v_fma_f32 v4, v4, v132, -v7
	v_fmac_f32_e32 v139, v5, v132
	v_add_f32_e32 v2, 0, v2
	v_add_f32_e32 v1, 0, v1
	v_mul_f32_e32 v5, v125, v10
	s_waitcnt vmcnt(5)
	v_fma_f32 v3, v122, v133, -v3
	v_fmac_f32_e32 v140, v123, v133
	v_add_f32_e32 v2, v2, v4
	v_add_f32_e32 v1, v1, v139
	s_waitcnt lgkmcnt(0)
	v_mul_f32_e32 v4, v127, v11
	s_waitcnt vmcnt(4)
	v_fma_f32 v5, v124, v134, -v5
	v_mul_f32_e32 v142, v126, v11
	v_add_f32_e32 v2, v2, v3
	v_fmac_f32_e32 v141, v125, v134
	v_add_f32_e32 v1, v1, v140
	v_mul_f32_e32 v3, v129, v130
	s_waitcnt vmcnt(3)
	v_fma_f32 v4, v126, v135, -v4
	v_add_f32_e32 v2, v2, v5
	v_mul_f32_e32 v143, v128, v130
	v_fmac_f32_e32 v142, v127, v135
	v_add_f32_e32 v1, v1, v141
	s_waitcnt vmcnt(2)
	v_fma_f32 v3, v128, v136, -v3
	v_add_f32_e32 v2, v2, v4
	v_fmac_f32_e32 v143, v129, v136
	v_add_f32_e32 v1, v1, v142
	v_add_f32_e32 v2, v2, v3
	v_add_f32_e32 v1, v1, v143
	s_waitcnt vmcnt(1)
	v_sub_f32_e32 v2, v137, v2
	s_waitcnt vmcnt(0)
	v_sub_f32_e32 v1, v138, v1
	buffer_store_dword v2, off, s[0:3], 0 offset:384
	buffer_store_dword v1, off, s[0:3], 0 offset:388
	v_cmpx_lt_u32_e32 47, v0
	s_cbranch_execz .LBB118_249
; %bb.248:
	s_clause 0x1
	buffer_load_dword v1, off, s[0:3], 0 offset:376
	buffer_load_dword v2, off, s[0:3], 0 offset:380
	v_mov_b32_e32 v3, 0
	buffer_store_dword v3, off, s[0:3], 0 offset:376
	buffer_store_dword v3, off, s[0:3], 0 offset:380
	s_waitcnt vmcnt(0)
	ds_write_b64 v9, v[1:2]
.LBB118_249:
	s_or_b32 exec_lo, exec_lo, s4
	s_waitcnt lgkmcnt(0)
	s_waitcnt_vscnt null, 0x0
	s_barrier
	buffer_gl0_inv
	s_clause 0xf
	buffer_load_dword v8, off, s[0:3], 0 offset:388
	buffer_load_dword v10, off, s[0:3], 0 offset:396
	;; [unrolled: 1-line block ×16, first 2 shown]
	v_mov_b32_e32 v1, 0
	ds_read_b128 v[2:5], v1 offset:832
	ds_read_b128 v[122:125], v1 offset:848
	;; [unrolled: 1-line block ×3, first 2 shown]
	ds_read_b64 v[6:7], v1 offset:880
	s_mov_b32 s4, exec_lo
	s_waitcnt vmcnt(15) lgkmcnt(3)
	v_mul_f32_e32 v143, v2, v8
	v_mul_f32_e32 v8, v3, v8
	s_waitcnt vmcnt(14)
	v_mul_f32_e32 v144, v4, v10
	v_mul_f32_e32 v10, v5, v10
	s_waitcnt vmcnt(13) lgkmcnt(2)
	v_mul_f32_e32 v145, v122, v11
	s_waitcnt vmcnt(12)
	v_mul_f32_e32 v146, v124, v130
	s_waitcnt vmcnt(11) lgkmcnt(1)
	v_mul_f32_e32 v147, v126, v131
	s_waitcnt vmcnt(8)
	v_fma_f32 v2, v2, v134, -v8
	v_fmac_f32_e32 v143, v3, v134
	v_mul_f32_e32 v3, v123, v11
	s_waitcnt vmcnt(7)
	v_fma_f32 v4, v4, v135, -v10
	v_fmac_f32_e32 v144, v5, v135
	v_add_f32_e32 v2, 0, v2
	v_add_f32_e32 v5, 0, v143
	v_mul_f32_e32 v8, v125, v130
	s_waitcnt vmcnt(6)
	v_fma_f32 v3, v122, v136, -v3
	v_fmac_f32_e32 v145, v123, v136
	v_add_f32_e32 v2, v2, v4
	v_add_f32_e32 v4, v5, v144
	;; [unrolled: 6-line block ×3, first 2 shown]
	v_mul_f32_e32 v4, v129, v132
	s_waitcnt vmcnt(4)
	v_fma_f32 v5, v126, v138, -v5
	v_mul_f32_e32 v148, v128, v132
	v_add_f32_e32 v2, v2, v8
	v_fmac_f32_e32 v147, v127, v138
	v_add_f32_e32 v3, v3, v146
	s_waitcnt lgkmcnt(0)
	v_mul_f32_e32 v8, v7, v133
	s_waitcnt vmcnt(3)
	v_fma_f32 v4, v128, v139, -v4
	v_add_f32_e32 v2, v2, v5
	v_mul_f32_e32 v149, v6, v133
	v_fmac_f32_e32 v148, v129, v139
	v_add_f32_e32 v3, v3, v147
	s_waitcnt vmcnt(2)
	v_fma_f32 v5, v6, v140, -v8
	v_add_f32_e32 v2, v2, v4
	v_fmac_f32_e32 v149, v7, v140
	v_add_f32_e32 v3, v3, v148
	v_add_f32_e32 v2, v2, v5
	;; [unrolled: 1-line block ×3, first 2 shown]
	s_waitcnt vmcnt(1)
	v_sub_f32_e32 v2, v141, v2
	s_waitcnt vmcnt(0)
	v_sub_f32_e32 v3, v142, v3
	buffer_store_dword v2, off, s[0:3], 0 offset:376
	buffer_store_dword v3, off, s[0:3], 0 offset:380
	v_cmpx_lt_u32_e32 46, v0
	s_cbranch_execz .LBB118_251
; %bb.250:
	s_clause 0x1
	buffer_load_dword v2, off, s[0:3], 0 offset:368
	buffer_load_dword v3, off, s[0:3], 0 offset:372
	buffer_store_dword v1, off, s[0:3], 0 offset:368
	buffer_store_dword v1, off, s[0:3], 0 offset:372
	s_waitcnt vmcnt(0)
	ds_write_b64 v9, v[2:3]
.LBB118_251:
	s_or_b32 exec_lo, exec_lo, s4
	s_waitcnt lgkmcnt(0)
	s_waitcnt_vscnt null, 0x0
	s_barrier
	buffer_gl0_inv
	s_clause 0x11
	buffer_load_dword v6, off, s[0:3], 0 offset:380
	buffer_load_dword v7, off, s[0:3], 0 offset:388
	;; [unrolled: 1-line block ×18, first 2 shown]
	ds_read2_b64 v[2:5], v1 offset0:103 offset1:104
	ds_read2_b64 v[122:125], v1 offset0:105 offset1:106
	;; [unrolled: 1-line block ×4, first 2 shown]
	s_mov_b32 s4, exec_lo
	s_waitcnt vmcnt(17) lgkmcnt(3)
	v_mul_f32_e32 v1, v2, v6
	v_mul_f32_e32 v6, v3, v6
	s_waitcnt vmcnt(16)
	v_mul_f32_e32 v147, v4, v7
	v_mul_f32_e32 v7, v5, v7
	s_waitcnt vmcnt(15) lgkmcnt(2)
	v_mul_f32_e32 v148, v122, v8
	s_waitcnt vmcnt(14)
	v_mul_f32_e32 v149, v124, v10
	s_waitcnt vmcnt(13) lgkmcnt(1)
	v_mul_f32_e32 v150, v126, v11
	s_waitcnt vmcnt(12)
	v_mul_f32_e32 v151, v128, v134
	s_waitcnt vmcnt(9)
	v_fma_f32 v2, v2, v137, -v6
	v_fmac_f32_e32 v1, v3, v137
	v_mul_f32_e32 v3, v123, v8
	s_waitcnt vmcnt(8)
	v_fma_f32 v4, v4, v138, -v7
	v_fmac_f32_e32 v147, v5, v138
	v_add_f32_e32 v2, 0, v2
	v_add_f32_e32 v1, 0, v1
	v_mul_f32_e32 v5, v125, v10
	s_waitcnt vmcnt(7)
	v_fma_f32 v3, v122, v139, -v3
	v_fmac_f32_e32 v148, v123, v139
	v_add_f32_e32 v2, v2, v4
	v_add_f32_e32 v1, v1, v147
	;; [unrolled: 6-line block ×4, first 2 shown]
	s_waitcnt lgkmcnt(0)
	v_mul_f32_e32 v5, v131, v135
	s_waitcnt vmcnt(4)
	v_fma_f32 v3, v128, v142, -v3
	v_mul_f32_e32 v152, v130, v135
	v_add_f32_e32 v2, v2, v4
	v_fmac_f32_e32 v151, v129, v142
	v_add_f32_e32 v1, v1, v150
	v_mul_f32_e32 v4, v133, v136
	s_waitcnt vmcnt(3)
	v_fma_f32 v5, v130, v143, -v5
	v_add_f32_e32 v2, v2, v3
	v_mul_f32_e32 v153, v132, v136
	v_fmac_f32_e32 v152, v131, v143
	v_add_f32_e32 v1, v1, v151
	s_waitcnt vmcnt(2)
	v_fma_f32 v3, v132, v144, -v4
	v_add_f32_e32 v2, v2, v5
	v_fmac_f32_e32 v153, v133, v144
	v_add_f32_e32 v1, v1, v152
	v_add_f32_e32 v2, v2, v3
	;; [unrolled: 1-line block ×3, first 2 shown]
	s_waitcnt vmcnt(1)
	v_sub_f32_e32 v2, v145, v2
	s_waitcnt vmcnt(0)
	v_sub_f32_e32 v1, v146, v1
	buffer_store_dword v2, off, s[0:3], 0 offset:368
	buffer_store_dword v1, off, s[0:3], 0 offset:372
	v_cmpx_lt_u32_e32 45, v0
	s_cbranch_execz .LBB118_253
; %bb.252:
	s_clause 0x1
	buffer_load_dword v1, off, s[0:3], 0 offset:360
	buffer_load_dword v2, off, s[0:3], 0 offset:364
	v_mov_b32_e32 v3, 0
	buffer_store_dword v3, off, s[0:3], 0 offset:360
	buffer_store_dword v3, off, s[0:3], 0 offset:364
	s_waitcnt vmcnt(0)
	ds_write_b64 v9, v[1:2]
.LBB118_253:
	s_or_b32 exec_lo, exec_lo, s4
	s_waitcnt lgkmcnt(0)
	s_waitcnt_vscnt null, 0x0
	s_barrier
	buffer_gl0_inv
	s_clause 0x13
	buffer_load_dword v8, off, s[0:3], 0 offset:372
	buffer_load_dword v10, off, s[0:3], 0 offset:380
	;; [unrolled: 1-line block ×20, first 2 shown]
	v_mov_b32_e32 v1, 0
	ds_read_b128 v[2:5], v1 offset:816
	ds_read_b128 v[122:125], v1 offset:832
	;; [unrolled: 1-line block ×4, first 2 shown]
	ds_read_b64 v[6:7], v1 offset:880
	s_mov_b32 s4, exec_lo
	s_waitcnt vmcnt(19) lgkmcnt(4)
	v_mul_f32_e32 v151, v2, v8
	v_mul_f32_e32 v8, v3, v8
	s_waitcnt vmcnt(18)
	v_mul_f32_e32 v152, v4, v10
	v_mul_f32_e32 v10, v5, v10
	s_waitcnt vmcnt(17) lgkmcnt(3)
	v_mul_f32_e32 v153, v122, v11
	s_waitcnt vmcnt(16)
	v_mul_f32_e32 v154, v124, v134
	s_waitcnt vmcnt(15) lgkmcnt(2)
	v_mul_f32_e32 v155, v126, v135
	s_waitcnt vmcnt(14)
	;; [unrolled: 4-line block ×3, first 2 shown]
	v_fma_f32 v2, v2, v140, -v8
	v_fmac_f32_e32 v151, v3, v140
	v_mul_f32_e32 v3, v123, v11
	s_waitcnt vmcnt(9)
	v_fma_f32 v4, v4, v141, -v10
	v_fmac_f32_e32 v152, v5, v141
	v_add_f32_e32 v2, 0, v2
	v_add_f32_e32 v5, 0, v151
	v_mul_f32_e32 v8, v125, v134
	s_waitcnt vmcnt(8)
	v_fma_f32 v3, v122, v142, -v3
	v_fmac_f32_e32 v153, v123, v142
	v_add_f32_e32 v2, v2, v4
	v_add_f32_e32 v4, v5, v152
	;; [unrolled: 6-line block ×5, first 2 shown]
	v_mul_f32_e32 v5, v133, v138
	s_waitcnt vmcnt(4)
	v_fma_f32 v8, v130, v146, -v8
	v_mul_f32_e32 v158, v132, v138
	v_add_f32_e32 v2, v2, v4
	v_fmac_f32_e32 v157, v131, v146
	v_add_f32_e32 v3, v3, v156
	s_waitcnt lgkmcnt(0)
	v_mul_f32_e32 v4, v7, v139
	s_waitcnt vmcnt(3)
	v_fma_f32 v5, v132, v147, -v5
	v_add_f32_e32 v2, v2, v8
	v_mul_f32_e32 v159, v6, v139
	v_fmac_f32_e32 v158, v133, v147
	v_add_f32_e32 v3, v3, v157
	s_waitcnt vmcnt(2)
	v_fma_f32 v4, v6, v148, -v4
	v_add_f32_e32 v2, v2, v5
	v_fmac_f32_e32 v159, v7, v148
	v_add_f32_e32 v3, v3, v158
	v_add_f32_e32 v2, v2, v4
	v_add_f32_e32 v3, v3, v159
	s_waitcnt vmcnt(1)
	v_sub_f32_e32 v2, v149, v2
	s_waitcnt vmcnt(0)
	v_sub_f32_e32 v3, v150, v3
	buffer_store_dword v2, off, s[0:3], 0 offset:360
	buffer_store_dword v3, off, s[0:3], 0 offset:364
	v_cmpx_lt_u32_e32 44, v0
	s_cbranch_execz .LBB118_255
; %bb.254:
	s_clause 0x1
	buffer_load_dword v2, off, s[0:3], 0 offset:352
	buffer_load_dword v3, off, s[0:3], 0 offset:356
	buffer_store_dword v1, off, s[0:3], 0 offset:352
	buffer_store_dword v1, off, s[0:3], 0 offset:356
	s_waitcnt vmcnt(0)
	ds_write_b64 v9, v[2:3]
.LBB118_255:
	s_or_b32 exec_lo, exec_lo, s4
	s_waitcnt lgkmcnt(0)
	s_waitcnt_vscnt null, 0x0
	s_barrier
	buffer_gl0_inv
	s_clause 0x15
	buffer_load_dword v6, off, s[0:3], 0 offset:364
	buffer_load_dword v7, off, s[0:3], 0 offset:372
	buffer_load_dword v8, off, s[0:3], 0 offset:380
	buffer_load_dword v10, off, s[0:3], 0 offset:388
	buffer_load_dword v11, off, s[0:3], 0 offset:396
	buffer_load_dword v138, off, s[0:3], 0 offset:404
	buffer_load_dword v139, off, s[0:3], 0 offset:412
	buffer_load_dword v140, off, s[0:3], 0 offset:420
	buffer_load_dword v141, off, s[0:3], 0 offset:428
	buffer_load_dword v142, off, s[0:3], 0 offset:436
	buffer_load_dword v143, off, s[0:3], 0 offset:360
	buffer_load_dword v144, off, s[0:3], 0 offset:368
	buffer_load_dword v145, off, s[0:3], 0 offset:376
	buffer_load_dword v146, off, s[0:3], 0 offset:384
	buffer_load_dword v147, off, s[0:3], 0 offset:392
	buffer_load_dword v148, off, s[0:3], 0 offset:400
	buffer_load_dword v149, off, s[0:3], 0 offset:408
	buffer_load_dword v150, off, s[0:3], 0 offset:416
	buffer_load_dword v151, off, s[0:3], 0 offset:424
	buffer_load_dword v152, off, s[0:3], 0 offset:432
	buffer_load_dword v153, off, s[0:3], 0 offset:352
	buffer_load_dword v154, off, s[0:3], 0 offset:356
	ds_read2_b64 v[2:5], v1 offset0:101 offset1:102
	ds_read2_b64 v[122:125], v1 offset0:103 offset1:104
	;; [unrolled: 1-line block ×5, first 2 shown]
	s_mov_b32 s4, exec_lo
	s_waitcnt vmcnt(21) lgkmcnt(4)
	v_mul_f32_e32 v1, v2, v6
	v_mul_f32_e32 v6, v3, v6
	s_waitcnt vmcnt(20)
	v_mul_f32_e32 v155, v4, v7
	v_mul_f32_e32 v7, v5, v7
	s_waitcnt vmcnt(19) lgkmcnt(3)
	v_mul_f32_e32 v156, v122, v8
	s_waitcnt vmcnt(18)
	v_mul_f32_e32 v157, v124, v10
	s_waitcnt vmcnt(17) lgkmcnt(2)
	v_mul_f32_e32 v158, v126, v11
	s_waitcnt vmcnt(16)
	;; [unrolled: 4-line block ×3, first 2 shown]
	v_mul_f32_e32 v161, v132, v140
	s_waitcnt vmcnt(11)
	v_fma_f32 v2, v2, v143, -v6
	v_fmac_f32_e32 v1, v3, v143
	v_mul_f32_e32 v3, v123, v8
	s_waitcnt vmcnt(10)
	v_fma_f32 v4, v4, v144, -v7
	v_fmac_f32_e32 v155, v5, v144
	v_add_f32_e32 v2, 0, v2
	v_add_f32_e32 v1, 0, v1
	v_mul_f32_e32 v5, v125, v10
	s_waitcnt vmcnt(9)
	v_fma_f32 v3, v122, v145, -v3
	v_fmac_f32_e32 v156, v123, v145
	v_add_f32_e32 v2, v2, v4
	v_add_f32_e32 v1, v1, v155
	;; [unrolled: 6-line block ×6, first 2 shown]
	s_waitcnt lgkmcnt(0)
	v_mul_f32_e32 v3, v135, v141
	s_waitcnt vmcnt(4)
	v_fma_f32 v4, v132, v150, -v4
	v_mul_f32_e32 v162, v134, v141
	v_add_f32_e32 v2, v2, v5
	v_fmac_f32_e32 v161, v133, v150
	v_add_f32_e32 v1, v1, v160
	v_mul_f32_e32 v5, v137, v142
	s_waitcnt vmcnt(3)
	v_fma_f32 v3, v134, v151, -v3
	v_add_f32_e32 v2, v2, v4
	v_mul_f32_e32 v163, v136, v142
	v_fmac_f32_e32 v162, v135, v151
	v_add_f32_e32 v1, v1, v161
	s_waitcnt vmcnt(2)
	v_fma_f32 v4, v136, v152, -v5
	v_add_f32_e32 v2, v2, v3
	v_fmac_f32_e32 v163, v137, v152
	v_add_f32_e32 v1, v1, v162
	v_add_f32_e32 v2, v2, v4
	;; [unrolled: 1-line block ×3, first 2 shown]
	s_waitcnt vmcnt(1)
	v_sub_f32_e32 v2, v153, v2
	s_waitcnt vmcnt(0)
	v_sub_f32_e32 v1, v154, v1
	buffer_store_dword v2, off, s[0:3], 0 offset:352
	buffer_store_dword v1, off, s[0:3], 0 offset:356
	v_cmpx_lt_u32_e32 43, v0
	s_cbranch_execz .LBB118_257
; %bb.256:
	s_clause 0x1
	buffer_load_dword v1, off, s[0:3], 0 offset:344
	buffer_load_dword v2, off, s[0:3], 0 offset:348
	v_mov_b32_e32 v3, 0
	buffer_store_dword v3, off, s[0:3], 0 offset:344
	buffer_store_dword v3, off, s[0:3], 0 offset:348
	s_waitcnt vmcnt(0)
	ds_write_b64 v9, v[1:2]
.LBB118_257:
	s_or_b32 exec_lo, exec_lo, s4
	s_waitcnt lgkmcnt(0)
	s_waitcnt_vscnt null, 0x0
	s_barrier
	buffer_gl0_inv
	s_clause 0x17
	buffer_load_dword v8, off, s[0:3], 0 offset:356
	buffer_load_dword v10, off, s[0:3], 0 offset:364
	;; [unrolled: 1-line block ×24, first 2 shown]
	v_mov_b32_e32 v1, 0
	ds_read_b128 v[2:5], v1 offset:800
	ds_read_b128 v[122:125], v1 offset:816
	;; [unrolled: 1-line block ×5, first 2 shown]
	ds_read_b64 v[6:7], v1 offset:880
	s_mov_b32 s4, exec_lo
	s_waitcnt vmcnt(23) lgkmcnt(5)
	v_mul_f32_e32 v159, v2, v8
	v_mul_f32_e32 v8, v3, v8
	s_waitcnt vmcnt(22)
	v_mul_f32_e32 v160, v4, v10
	v_mul_f32_e32 v10, v5, v10
	s_waitcnt vmcnt(21) lgkmcnt(4)
	v_mul_f32_e32 v161, v122, v11
	s_waitcnt vmcnt(20)
	v_mul_f32_e32 v162, v124, v138
	s_waitcnt vmcnt(19) lgkmcnt(3)
	v_mul_f32_e32 v163, v126, v139
	s_waitcnt vmcnt(18)
	;; [unrolled: 4-line block ×4, first 2 shown]
	v_fma_f32 v2, v2, v146, -v8
	v_fmac_f32_e32 v159, v3, v146
	v_mul_f32_e32 v3, v123, v11
	s_waitcnt vmcnt(11)
	v_fma_f32 v4, v4, v147, -v10
	v_fmac_f32_e32 v160, v5, v147
	v_add_f32_e32 v2, 0, v2
	v_add_f32_e32 v5, 0, v159
	v_mul_f32_e32 v8, v125, v138
	s_waitcnt vmcnt(10)
	v_fma_f32 v3, v122, v148, -v3
	v_fmac_f32_e32 v161, v123, v148
	v_add_f32_e32 v2, v2, v4
	v_add_f32_e32 v4, v5, v160
	;; [unrolled: 6-line block ×7, first 2 shown]
	v_mul_f32_e32 v8, v137, v144
	s_waitcnt vmcnt(4)
	v_fma_f32 v4, v134, v154, -v4
	v_mul_f32_e32 v168, v136, v144
	v_add_f32_e32 v2, v2, v5
	v_fmac_f32_e32 v167, v135, v154
	v_add_f32_e32 v3, v3, v166
	s_waitcnt lgkmcnt(0)
	v_mul_f32_e32 v5, v7, v145
	s_waitcnt vmcnt(3)
	v_fma_f32 v8, v136, v155, -v8
	v_add_f32_e32 v2, v2, v4
	v_mul_f32_e32 v169, v6, v145
	v_fmac_f32_e32 v168, v137, v155
	v_add_f32_e32 v3, v3, v167
	s_waitcnt vmcnt(2)
	v_fma_f32 v4, v6, v156, -v5
	v_add_f32_e32 v2, v2, v8
	v_fmac_f32_e32 v169, v7, v156
	v_add_f32_e32 v3, v3, v168
	v_add_f32_e32 v2, v2, v4
	;; [unrolled: 1-line block ×3, first 2 shown]
	s_waitcnt vmcnt(1)
	v_sub_f32_e32 v2, v157, v2
	s_waitcnt vmcnt(0)
	v_sub_f32_e32 v3, v158, v3
	buffer_store_dword v2, off, s[0:3], 0 offset:344
	buffer_store_dword v3, off, s[0:3], 0 offset:348
	v_cmpx_lt_u32_e32 42, v0
	s_cbranch_execz .LBB118_259
; %bb.258:
	s_clause 0x1
	buffer_load_dword v2, off, s[0:3], 0 offset:336
	buffer_load_dword v3, off, s[0:3], 0 offset:340
	buffer_store_dword v1, off, s[0:3], 0 offset:336
	buffer_store_dword v1, off, s[0:3], 0 offset:340
	s_waitcnt vmcnt(0)
	ds_write_b64 v9, v[2:3]
.LBB118_259:
	s_or_b32 exec_lo, exec_lo, s4
	s_waitcnt lgkmcnt(0)
	s_waitcnt_vscnt null, 0x0
	s_barrier
	buffer_gl0_inv
	s_clause 0x19
	buffer_load_dword v6, off, s[0:3], 0 offset:348
	buffer_load_dword v7, off, s[0:3], 0 offset:356
	;; [unrolled: 1-line block ×26, first 2 shown]
	ds_read2_b64 v[2:5], v1 offset0:99 offset1:100
	ds_read2_b64 v[122:125], v1 offset0:101 offset1:102
	;; [unrolled: 1-line block ×6, first 2 shown]
	s_mov_b32 s4, exec_lo
	s_waitcnt vmcnt(25) lgkmcnt(5)
	v_mul_f32_e32 v1, v2, v6
	v_mul_f32_e32 v6, v3, v6
	s_waitcnt vmcnt(24)
	v_mul_f32_e32 v163, v4, v7
	v_mul_f32_e32 v7, v5, v7
	s_waitcnt vmcnt(23) lgkmcnt(4)
	v_mul_f32_e32 v164, v122, v8
	s_waitcnt vmcnt(22)
	v_mul_f32_e32 v165, v124, v10
	s_waitcnt vmcnt(21) lgkmcnt(3)
	v_mul_f32_e32 v166, v126, v11
	s_waitcnt vmcnt(20)
	;; [unrolled: 4-line block ×4, first 2 shown]
	v_mul_f32_e32 v171, v136, v146
	s_waitcnt vmcnt(13)
	v_fma_f32 v2, v2, v149, -v6
	v_fmac_f32_e32 v1, v3, v149
	v_mul_f32_e32 v3, v123, v8
	s_waitcnt vmcnt(12)
	v_fma_f32 v4, v4, v150, -v7
	v_fmac_f32_e32 v163, v5, v150
	v_add_f32_e32 v2, 0, v2
	v_add_f32_e32 v1, 0, v1
	v_mul_f32_e32 v5, v125, v10
	s_waitcnt vmcnt(11)
	v_fma_f32 v3, v122, v151, -v3
	v_fmac_f32_e32 v164, v123, v151
	v_add_f32_e32 v2, v2, v4
	v_add_f32_e32 v1, v1, v163
	;; [unrolled: 6-line block ×8, first 2 shown]
	s_waitcnt lgkmcnt(0)
	v_mul_f32_e32 v4, v139, v147
	s_waitcnt vmcnt(4)
	v_fma_f32 v5, v136, v158, -v5
	v_mul_f32_e32 v172, v138, v147
	v_add_f32_e32 v2, v2, v3
	v_fmac_f32_e32 v171, v137, v158
	v_add_f32_e32 v1, v1, v170
	v_mul_f32_e32 v3, v141, v148
	s_waitcnt vmcnt(3)
	v_fma_f32 v4, v138, v159, -v4
	v_add_f32_e32 v2, v2, v5
	v_mul_f32_e32 v173, v140, v148
	v_fmac_f32_e32 v172, v139, v159
	v_add_f32_e32 v1, v1, v171
	s_waitcnt vmcnt(2)
	v_fma_f32 v3, v140, v160, -v3
	v_add_f32_e32 v2, v2, v4
	v_fmac_f32_e32 v173, v141, v160
	v_add_f32_e32 v1, v1, v172
	v_add_f32_e32 v2, v2, v3
	;; [unrolled: 1-line block ×3, first 2 shown]
	s_waitcnt vmcnt(1)
	v_sub_f32_e32 v2, v161, v2
	s_waitcnt vmcnt(0)
	v_sub_f32_e32 v1, v162, v1
	buffer_store_dword v2, off, s[0:3], 0 offset:336
	buffer_store_dword v1, off, s[0:3], 0 offset:340
	v_cmpx_lt_u32_e32 41, v0
	s_cbranch_execz .LBB118_261
; %bb.260:
	s_clause 0x1
	buffer_load_dword v1, off, s[0:3], 0 offset:328
	buffer_load_dword v2, off, s[0:3], 0 offset:332
	v_mov_b32_e32 v3, 0
	buffer_store_dword v3, off, s[0:3], 0 offset:328
	buffer_store_dword v3, off, s[0:3], 0 offset:332
	s_waitcnt vmcnt(0)
	ds_write_b64 v9, v[1:2]
.LBB118_261:
	s_or_b32 exec_lo, exec_lo, s4
	s_waitcnt lgkmcnt(0)
	s_waitcnt_vscnt null, 0x0
	s_barrier
	buffer_gl0_inv
	s_clause 0x1b
	buffer_load_dword v8, off, s[0:3], 0 offset:340
	buffer_load_dword v10, off, s[0:3], 0 offset:348
	;; [unrolled: 1-line block ×28, first 2 shown]
	v_mov_b32_e32 v1, 0
	ds_read_b128 v[2:5], v1 offset:784
	ds_read_b128 v[122:125], v1 offset:800
	ds_read_b128 v[126:129], v1 offset:816
	ds_read_b128 v[130:133], v1 offset:832
	ds_read_b128 v[134:137], v1 offset:848
	ds_read_b128 v[138:141], v1 offset:864
	ds_read_b64 v[6:7], v1 offset:880
	s_mov_b32 s4, exec_lo
	s_waitcnt vmcnt(27) lgkmcnt(6)
	v_mul_f32_e32 v167, v2, v8
	v_mul_f32_e32 v8, v3, v8
	s_waitcnt vmcnt(26)
	v_mul_f32_e32 v168, v4, v10
	v_mul_f32_e32 v10, v5, v10
	s_waitcnt vmcnt(25) lgkmcnt(5)
	v_mul_f32_e32 v169, v122, v11
	s_waitcnt vmcnt(24)
	v_mul_f32_e32 v170, v124, v142
	s_waitcnt vmcnt(23) lgkmcnt(4)
	v_mul_f32_e32 v171, v126, v143
	s_waitcnt vmcnt(22)
	;; [unrolled: 4-line block ×5, first 2 shown]
	v_fma_f32 v2, v2, v152, -v8
	v_fmac_f32_e32 v167, v3, v152
	v_mul_f32_e32 v3, v123, v11
	s_waitcnt vmcnt(13)
	v_fma_f32 v4, v4, v153, -v10
	v_fmac_f32_e32 v168, v5, v153
	v_add_f32_e32 v2, 0, v2
	v_add_f32_e32 v5, 0, v167
	v_mul_f32_e32 v8, v125, v142
	s_waitcnt vmcnt(12)
	v_fma_f32 v3, v122, v154, -v3
	v_fmac_f32_e32 v169, v123, v154
	v_add_f32_e32 v2, v2, v4
	v_add_f32_e32 v4, v5, v168
	;; [unrolled: 6-line block ×9, first 2 shown]
	v_mul_f32_e32 v4, v141, v150
	s_waitcnt vmcnt(4)
	v_fma_f32 v5, v138, v162, -v5
	v_mul_f32_e32 v178, v140, v150
	v_add_f32_e32 v2, v2, v8
	v_fmac_f32_e32 v177, v139, v162
	v_add_f32_e32 v3, v3, v176
	s_waitcnt lgkmcnt(0)
	v_mul_f32_e32 v8, v7, v151
	s_waitcnt vmcnt(3)
	v_fma_f32 v4, v140, v163, -v4
	v_add_f32_e32 v2, v2, v5
	v_mul_f32_e32 v179, v6, v151
	v_fmac_f32_e32 v178, v141, v163
	v_add_f32_e32 v3, v3, v177
	s_waitcnt vmcnt(2)
	v_fma_f32 v5, v6, v164, -v8
	v_add_f32_e32 v2, v2, v4
	v_fmac_f32_e32 v179, v7, v164
	v_add_f32_e32 v3, v3, v178
	v_add_f32_e32 v2, v2, v5
	;; [unrolled: 1-line block ×3, first 2 shown]
	s_waitcnt vmcnt(1)
	v_sub_f32_e32 v2, v165, v2
	s_waitcnt vmcnt(0)
	v_sub_f32_e32 v3, v166, v3
	buffer_store_dword v2, off, s[0:3], 0 offset:328
	buffer_store_dword v3, off, s[0:3], 0 offset:332
	v_cmpx_lt_u32_e32 40, v0
	s_cbranch_execz .LBB118_263
; %bb.262:
	s_clause 0x1
	buffer_load_dword v2, off, s[0:3], 0 offset:320
	buffer_load_dword v3, off, s[0:3], 0 offset:324
	buffer_store_dword v1, off, s[0:3], 0 offset:320
	buffer_store_dword v1, off, s[0:3], 0 offset:324
	s_waitcnt vmcnt(0)
	ds_write_b64 v9, v[2:3]
.LBB118_263:
	s_or_b32 exec_lo, exec_lo, s4
	s_waitcnt lgkmcnt(0)
	s_waitcnt_vscnt null, 0x0
	s_barrier
	buffer_gl0_inv
	s_clause 0x1d
	buffer_load_dword v6, off, s[0:3], 0 offset:332
	buffer_load_dword v7, off, s[0:3], 0 offset:340
	buffer_load_dword v8, off, s[0:3], 0 offset:348
	buffer_load_dword v10, off, s[0:3], 0 offset:356
	buffer_load_dword v11, off, s[0:3], 0 offset:364
	buffer_load_dword v146, off, s[0:3], 0 offset:372
	buffer_load_dword v147, off, s[0:3], 0 offset:380
	buffer_load_dword v148, off, s[0:3], 0 offset:388
	buffer_load_dword v149, off, s[0:3], 0 offset:396
	buffer_load_dword v150, off, s[0:3], 0 offset:404
	buffer_load_dword v151, off, s[0:3], 0 offset:412
	buffer_load_dword v152, off, s[0:3], 0 offset:420
	buffer_load_dword v153, off, s[0:3], 0 offset:428
	buffer_load_dword v154, off, s[0:3], 0 offset:436
	buffer_load_dword v155, off, s[0:3], 0 offset:328
	buffer_load_dword v156, off, s[0:3], 0 offset:336
	buffer_load_dword v157, off, s[0:3], 0 offset:344
	buffer_load_dword v158, off, s[0:3], 0 offset:352
	buffer_load_dword v159, off, s[0:3], 0 offset:360
	buffer_load_dword v160, off, s[0:3], 0 offset:368
	buffer_load_dword v161, off, s[0:3], 0 offset:376
	buffer_load_dword v162, off, s[0:3], 0 offset:384
	buffer_load_dword v163, off, s[0:3], 0 offset:392
	buffer_load_dword v164, off, s[0:3], 0 offset:400
	buffer_load_dword v165, off, s[0:3], 0 offset:408
	buffer_load_dword v166, off, s[0:3], 0 offset:416
	buffer_load_dword v167, off, s[0:3], 0 offset:424
	buffer_load_dword v168, off, s[0:3], 0 offset:432
	buffer_load_dword v169, off, s[0:3], 0 offset:320
	buffer_load_dword v170, off, s[0:3], 0 offset:324
	ds_read2_b64 v[2:5], v1 offset0:97 offset1:98
	ds_read2_b64 v[122:125], v1 offset0:99 offset1:100
	;; [unrolled: 1-line block ×7, first 2 shown]
	s_mov_b32 s4, exec_lo
	s_waitcnt vmcnt(29) lgkmcnt(6)
	v_mul_f32_e32 v1, v2, v6
	v_mul_f32_e32 v6, v3, v6
	s_waitcnt vmcnt(28)
	v_mul_f32_e32 v171, v4, v7
	v_mul_f32_e32 v7, v5, v7
	s_waitcnt vmcnt(27) lgkmcnt(5)
	v_mul_f32_e32 v172, v122, v8
	s_waitcnt vmcnt(26)
	v_mul_f32_e32 v173, v124, v10
	s_waitcnt vmcnt(25) lgkmcnt(4)
	v_mul_f32_e32 v174, v126, v11
	s_waitcnt vmcnt(24)
	;; [unrolled: 4-line block ×5, first 2 shown]
	v_mul_f32_e32 v181, v140, v152
	s_waitcnt vmcnt(15)
	v_fma_f32 v2, v2, v155, -v6
	v_fmac_f32_e32 v1, v3, v155
	v_mul_f32_e32 v3, v123, v8
	s_waitcnt vmcnt(14)
	v_fma_f32 v4, v4, v156, -v7
	v_fmac_f32_e32 v171, v5, v156
	v_add_f32_e32 v2, 0, v2
	v_add_f32_e32 v1, 0, v1
	v_mul_f32_e32 v5, v125, v10
	s_waitcnt vmcnt(13)
	v_fma_f32 v3, v122, v157, -v3
	v_fmac_f32_e32 v172, v123, v157
	v_add_f32_e32 v2, v2, v4
	v_add_f32_e32 v1, v1, v171
	;; [unrolled: 6-line block ×10, first 2 shown]
	s_waitcnt lgkmcnt(0)
	v_mul_f32_e32 v5, v143, v153
	s_waitcnt vmcnt(4)
	v_fma_f32 v3, v140, v166, -v3
	v_mul_f32_e32 v182, v142, v153
	v_add_f32_e32 v2, v2, v4
	v_fmac_f32_e32 v181, v141, v166
	v_add_f32_e32 v1, v1, v180
	v_mul_f32_e32 v4, v145, v154
	s_waitcnt vmcnt(3)
	v_fma_f32 v5, v142, v167, -v5
	v_add_f32_e32 v2, v2, v3
	v_mul_f32_e32 v183, v144, v154
	v_fmac_f32_e32 v182, v143, v167
	v_add_f32_e32 v1, v1, v181
	s_waitcnt vmcnt(2)
	v_fma_f32 v3, v144, v168, -v4
	v_add_f32_e32 v2, v2, v5
	v_fmac_f32_e32 v183, v145, v168
	v_add_f32_e32 v1, v1, v182
	v_add_f32_e32 v2, v2, v3
	;; [unrolled: 1-line block ×3, first 2 shown]
	s_waitcnt vmcnt(1)
	v_sub_f32_e32 v2, v169, v2
	s_waitcnt vmcnt(0)
	v_sub_f32_e32 v1, v170, v1
	buffer_store_dword v2, off, s[0:3], 0 offset:320
	buffer_store_dword v1, off, s[0:3], 0 offset:324
	v_cmpx_lt_u32_e32 39, v0
	s_cbranch_execz .LBB118_265
; %bb.264:
	s_clause 0x1
	buffer_load_dword v1, off, s[0:3], 0 offset:312
	buffer_load_dword v2, off, s[0:3], 0 offset:316
	v_mov_b32_e32 v3, 0
	buffer_store_dword v3, off, s[0:3], 0 offset:312
	buffer_store_dword v3, off, s[0:3], 0 offset:316
	s_waitcnt vmcnt(0)
	ds_write_b64 v9, v[1:2]
.LBB118_265:
	s_or_b32 exec_lo, exec_lo, s4
	s_waitcnt lgkmcnt(0)
	s_waitcnt_vscnt null, 0x0
	s_barrier
	buffer_gl0_inv
	s_clause 0x1f
	buffer_load_dword v8, off, s[0:3], 0 offset:324
	buffer_load_dword v10, off, s[0:3], 0 offset:332
	;; [unrolled: 1-line block ×32, first 2 shown]
	v_mov_b32_e32 v1, 0
	ds_read_b128 v[2:5], v1 offset:768
	ds_read_b128 v[122:125], v1 offset:784
	;; [unrolled: 1-line block ×7, first 2 shown]
	ds_read_b64 v[6:7], v1 offset:880
	s_mov_b32 s4, exec_lo
	s_waitcnt vmcnt(31) lgkmcnt(7)
	v_mul_f32_e32 v175, v2, v8
	v_mul_f32_e32 v8, v3, v8
	s_waitcnt vmcnt(30)
	v_mul_f32_e32 v176, v4, v10
	v_mul_f32_e32 v10, v5, v10
	s_waitcnt vmcnt(29) lgkmcnt(6)
	v_mul_f32_e32 v177, v122, v11
	s_waitcnt vmcnt(28)
	v_mul_f32_e32 v178, v124, v146
	s_waitcnt vmcnt(27) lgkmcnt(5)
	v_mul_f32_e32 v179, v126, v147
	s_waitcnt vmcnt(26)
	v_mul_f32_e32 v180, v128, v148
	s_waitcnt vmcnt(25) lgkmcnt(4)
	v_mul_f32_e32 v181, v130, v149
	s_waitcnt vmcnt(24)
	v_mul_f32_e32 v182, v132, v150
	s_waitcnt vmcnt(23) lgkmcnt(3)
	v_mul_f32_e32 v183, v134, v151
	s_waitcnt vmcnt(22)
	v_mul_f32_e32 v184, v136, v152
	s_waitcnt vmcnt(21) lgkmcnt(2)
	v_mul_f32_e32 v185, v138, v153
	s_waitcnt vmcnt(20)
	v_mul_f32_e32 v186, v140, v154
	s_waitcnt vmcnt(19) lgkmcnt(1)
	v_mul_f32_e32 v187, v142, v155
	s_waitcnt vmcnt(16)
	v_fma_f32 v2, v2, v158, -v8
	v_fmac_f32_e32 v175, v3, v158
	v_mul_f32_e32 v3, v123, v11
	s_waitcnt vmcnt(15)
	v_fma_f32 v4, v4, v159, -v10
	v_fmac_f32_e32 v176, v5, v159
	v_add_f32_e32 v2, 0, v2
	v_add_f32_e32 v5, 0, v175
	v_mul_f32_e32 v8, v125, v146
	s_waitcnt vmcnt(14)
	v_fma_f32 v3, v122, v160, -v3
	v_fmac_f32_e32 v177, v123, v160
	v_add_f32_e32 v2, v2, v4
	v_add_f32_e32 v4, v5, v176
	;; [unrolled: 6-line block ×11, first 2 shown]
	v_mul_f32_e32 v5, v145, v156
	s_waitcnt vmcnt(4)
	v_fma_f32 v8, v142, v170, -v8
	v_mul_f32_e32 v188, v144, v156
	v_add_f32_e32 v2, v2, v4
	v_fmac_f32_e32 v187, v143, v170
	v_add_f32_e32 v3, v3, v186
	s_waitcnt lgkmcnt(0)
	v_mul_f32_e32 v4, v7, v157
	s_waitcnt vmcnt(3)
	v_fma_f32 v5, v144, v171, -v5
	v_add_f32_e32 v2, v2, v8
	v_mul_f32_e32 v189, v6, v157
	v_fmac_f32_e32 v188, v145, v171
	v_add_f32_e32 v3, v3, v187
	s_waitcnt vmcnt(2)
	v_fma_f32 v4, v6, v172, -v4
	v_add_f32_e32 v2, v2, v5
	v_fmac_f32_e32 v189, v7, v172
	v_add_f32_e32 v3, v3, v188
	v_add_f32_e32 v2, v2, v4
	;; [unrolled: 1-line block ×3, first 2 shown]
	s_waitcnt vmcnt(1)
	v_sub_f32_e32 v2, v173, v2
	s_waitcnt vmcnt(0)
	v_sub_f32_e32 v3, v174, v3
	buffer_store_dword v2, off, s[0:3], 0 offset:312
	buffer_store_dword v3, off, s[0:3], 0 offset:316
	v_cmpx_lt_u32_e32 38, v0
	s_cbranch_execz .LBB118_267
; %bb.266:
	s_clause 0x1
	buffer_load_dword v2, off, s[0:3], 0 offset:304
	buffer_load_dword v3, off, s[0:3], 0 offset:308
	buffer_store_dword v1, off, s[0:3], 0 offset:304
	buffer_store_dword v1, off, s[0:3], 0 offset:308
	s_waitcnt vmcnt(0)
	ds_write_b64 v9, v[2:3]
.LBB118_267:
	s_or_b32 exec_lo, exec_lo, s4
	s_waitcnt lgkmcnt(0)
	s_waitcnt_vscnt null, 0x0
	s_barrier
	buffer_gl0_inv
	s_clause 0x21
	buffer_load_dword v6, off, s[0:3], 0 offset:316
	buffer_load_dword v7, off, s[0:3], 0 offset:324
	;; [unrolled: 1-line block ×34, first 2 shown]
	ds_read2_b64 v[2:5], v1 offset0:95 offset1:96
	ds_read2_b64 v[122:125], v1 offset0:97 offset1:98
	;; [unrolled: 1-line block ×8, first 2 shown]
	s_mov_b32 s4, exec_lo
	s_waitcnt vmcnt(33) lgkmcnt(7)
	v_mul_f32_e32 v1, v2, v6
	v_mul_f32_e32 v6, v3, v6
	s_waitcnt vmcnt(32)
	v_mul_f32_e32 v179, v4, v7
	v_mul_f32_e32 v7, v5, v7
	s_waitcnt vmcnt(31) lgkmcnt(6)
	v_mul_f32_e32 v180, v122, v8
	s_waitcnt vmcnt(30)
	v_mul_f32_e32 v181, v124, v10
	s_waitcnt vmcnt(29) lgkmcnt(5)
	v_mul_f32_e32 v182, v126, v11
	s_waitcnt vmcnt(28)
	v_mul_f32_e32 v183, v128, v150
	s_waitcnt vmcnt(27) lgkmcnt(4)
	v_mul_f32_e32 v184, v130, v151
	s_waitcnt vmcnt(26)
	v_mul_f32_e32 v185, v132, v152
	s_waitcnt vmcnt(25) lgkmcnt(3)
	v_mul_f32_e32 v186, v134, v153
	s_waitcnt vmcnt(24)
	v_mul_f32_e32 v187, v136, v154
	s_waitcnt vmcnt(23) lgkmcnt(2)
	v_mul_f32_e32 v188, v138, v155
	s_waitcnt vmcnt(22)
	v_mul_f32_e32 v189, v140, v156
	s_waitcnt vmcnt(21) lgkmcnt(1)
	v_mul_f32_e32 v190, v142, v157
	s_waitcnt vmcnt(20)
	v_mul_f32_e32 v191, v144, v158
	s_waitcnt vmcnt(17)
	v_fma_f32 v2, v2, v161, -v6
	v_fmac_f32_e32 v1, v3, v161
	v_mul_f32_e32 v3, v123, v8
	s_waitcnt vmcnt(16)
	v_fma_f32 v4, v4, v162, -v7
	v_fmac_f32_e32 v179, v5, v162
	v_add_f32_e32 v2, 0, v2
	v_add_f32_e32 v1, 0, v1
	v_mul_f32_e32 v5, v125, v10
	s_waitcnt vmcnt(15)
	v_fma_f32 v3, v122, v163, -v3
	v_fmac_f32_e32 v180, v123, v163
	v_add_f32_e32 v2, v2, v4
	v_add_f32_e32 v1, v1, v179
	;; [unrolled: 6-line block ×12, first 2 shown]
	s_waitcnt lgkmcnt(0)
	v_mul_f32_e32 v3, v147, v159
	s_waitcnt vmcnt(4)
	v_fma_f32 v4, v144, v174, -v4
	v_mul_f32_e32 v192, v146, v159
	v_add_f32_e32 v2, v2, v5
	v_fmac_f32_e32 v191, v145, v174
	v_add_f32_e32 v1, v1, v190
	v_mul_f32_e32 v5, v149, v160
	s_waitcnt vmcnt(3)
	v_fma_f32 v3, v146, v175, -v3
	v_add_f32_e32 v2, v2, v4
	v_mul_f32_e32 v193, v148, v160
	v_fmac_f32_e32 v192, v147, v175
	v_add_f32_e32 v1, v1, v191
	s_waitcnt vmcnt(2)
	v_fma_f32 v4, v148, v176, -v5
	v_add_f32_e32 v2, v2, v3
	v_fmac_f32_e32 v193, v149, v176
	v_add_f32_e32 v1, v1, v192
	v_add_f32_e32 v2, v2, v4
	;; [unrolled: 1-line block ×3, first 2 shown]
	s_waitcnt vmcnt(1)
	v_sub_f32_e32 v2, v177, v2
	s_waitcnt vmcnt(0)
	v_sub_f32_e32 v1, v178, v1
	buffer_store_dword v2, off, s[0:3], 0 offset:304
	buffer_store_dword v1, off, s[0:3], 0 offset:308
	v_cmpx_lt_u32_e32 37, v0
	s_cbranch_execz .LBB118_269
; %bb.268:
	s_clause 0x1
	buffer_load_dword v1, off, s[0:3], 0 offset:296
	buffer_load_dword v2, off, s[0:3], 0 offset:300
	v_mov_b32_e32 v3, 0
	buffer_store_dword v3, off, s[0:3], 0 offset:296
	buffer_store_dword v3, off, s[0:3], 0 offset:300
	s_waitcnt vmcnt(0)
	ds_write_b64 v9, v[1:2]
.LBB118_269:
	s_or_b32 exec_lo, exec_lo, s4
	s_waitcnt lgkmcnt(0)
	s_waitcnt_vscnt null, 0x0
	s_barrier
	buffer_gl0_inv
	s_clause 0x23
	buffer_load_dword v8, off, s[0:3], 0 offset:308
	buffer_load_dword v10, off, s[0:3], 0 offset:316
	buffer_load_dword v11, off, s[0:3], 0 offset:324
	buffer_load_dword v150, off, s[0:3], 0 offset:332
	buffer_load_dword v151, off, s[0:3], 0 offset:340
	buffer_load_dword v152, off, s[0:3], 0 offset:348
	buffer_load_dword v153, off, s[0:3], 0 offset:356
	buffer_load_dword v154, off, s[0:3], 0 offset:364
	buffer_load_dword v155, off, s[0:3], 0 offset:372
	buffer_load_dword v156, off, s[0:3], 0 offset:380
	buffer_load_dword v157, off, s[0:3], 0 offset:388
	buffer_load_dword v158, off, s[0:3], 0 offset:396
	buffer_load_dword v159, off, s[0:3], 0 offset:404
	buffer_load_dword v160, off, s[0:3], 0 offset:412
	buffer_load_dword v161, off, s[0:3], 0 offset:420
	buffer_load_dword v162, off, s[0:3], 0 offset:428
	buffer_load_dword v163, off, s[0:3], 0 offset:436
	buffer_load_dword v164, off, s[0:3], 0 offset:304
	buffer_load_dword v165, off, s[0:3], 0 offset:312
	buffer_load_dword v166, off, s[0:3], 0 offset:320
	buffer_load_dword v167, off, s[0:3], 0 offset:328
	buffer_load_dword v168, off, s[0:3], 0 offset:336
	buffer_load_dword v169, off, s[0:3], 0 offset:344
	buffer_load_dword v170, off, s[0:3], 0 offset:352
	buffer_load_dword v171, off, s[0:3], 0 offset:360
	buffer_load_dword v172, off, s[0:3], 0 offset:368
	buffer_load_dword v173, off, s[0:3], 0 offset:376
	buffer_load_dword v174, off, s[0:3], 0 offset:384
	buffer_load_dword v175, off, s[0:3], 0 offset:392
	buffer_load_dword v176, off, s[0:3], 0 offset:400
	buffer_load_dword v177, off, s[0:3], 0 offset:408
	buffer_load_dword v178, off, s[0:3], 0 offset:416
	buffer_load_dword v179, off, s[0:3], 0 offset:424
	buffer_load_dword v180, off, s[0:3], 0 offset:432
	buffer_load_dword v181, off, s[0:3], 0 offset:296
	buffer_load_dword v182, off, s[0:3], 0 offset:300
	v_mov_b32_e32 v1, 0
	ds_read_b128 v[2:5], v1 offset:752
	ds_read_b128 v[122:125], v1 offset:768
	;; [unrolled: 1-line block ×8, first 2 shown]
	ds_read_b64 v[6:7], v1 offset:880
	s_mov_b32 s4, exec_lo
	s_waitcnt vmcnt(35) lgkmcnt(8)
	v_mul_f32_e32 v183, v2, v8
	v_mul_f32_e32 v8, v3, v8
	s_waitcnt vmcnt(34)
	v_mul_f32_e32 v184, v4, v10
	v_mul_f32_e32 v10, v5, v10
	s_waitcnt vmcnt(33) lgkmcnt(7)
	v_mul_f32_e32 v185, v122, v11
	s_waitcnt vmcnt(32)
	v_mul_f32_e32 v186, v124, v150
	s_waitcnt vmcnt(31) lgkmcnt(6)
	v_mul_f32_e32 v187, v126, v151
	s_waitcnt vmcnt(30)
	v_mul_f32_e32 v188, v128, v152
	s_waitcnt vmcnt(29) lgkmcnt(5)
	v_mul_f32_e32 v189, v130, v153
	s_waitcnt vmcnt(28)
	v_mul_f32_e32 v190, v132, v154
	s_waitcnt vmcnt(27) lgkmcnt(4)
	v_mul_f32_e32 v191, v134, v155
	s_waitcnt vmcnt(26)
	v_mul_f32_e32 v192, v136, v156
	s_waitcnt vmcnt(25) lgkmcnt(3)
	v_mul_f32_e32 v193, v138, v157
	s_waitcnt vmcnt(24)
	v_mul_f32_e32 v194, v140, v158
	s_waitcnt vmcnt(23) lgkmcnt(2)
	v_mul_f32_e32 v195, v142, v159
	s_waitcnt vmcnt(22)
	v_mul_f32_e32 v196, v144, v160
	s_waitcnt vmcnt(21) lgkmcnt(1)
	v_mul_f32_e32 v197, v146, v161
	s_waitcnt vmcnt(18)
	v_fma_f32 v2, v2, v164, -v8
	v_fmac_f32_e32 v183, v3, v164
	v_mul_f32_e32 v3, v123, v11
	s_waitcnt vmcnt(17)
	v_fma_f32 v4, v4, v165, -v10
	v_fmac_f32_e32 v184, v5, v165
	v_add_f32_e32 v2, 0, v2
	v_add_f32_e32 v5, 0, v183
	v_mul_f32_e32 v8, v125, v150
	s_waitcnt vmcnt(16)
	v_fma_f32 v3, v122, v166, -v3
	v_fmac_f32_e32 v185, v123, v166
	v_add_f32_e32 v2, v2, v4
	v_add_f32_e32 v4, v5, v184
	;; [unrolled: 6-line block ×13, first 2 shown]
	v_mul_f32_e32 v8, v149, v162
	s_waitcnt vmcnt(4)
	v_fma_f32 v4, v146, v178, -v4
	v_mul_f32_e32 v198, v148, v162
	v_add_f32_e32 v2, v2, v5
	v_fmac_f32_e32 v197, v147, v178
	v_add_f32_e32 v3, v3, v196
	s_waitcnt lgkmcnt(0)
	v_mul_f32_e32 v5, v7, v163
	s_waitcnt vmcnt(3)
	v_fma_f32 v8, v148, v179, -v8
	v_add_f32_e32 v2, v2, v4
	v_mul_f32_e32 v199, v6, v163
	v_fmac_f32_e32 v198, v149, v179
	v_add_f32_e32 v3, v3, v197
	s_waitcnt vmcnt(2)
	v_fma_f32 v4, v6, v180, -v5
	v_add_f32_e32 v2, v2, v8
	v_fmac_f32_e32 v199, v7, v180
	v_add_f32_e32 v3, v3, v198
	v_add_f32_e32 v2, v2, v4
	v_add_f32_e32 v3, v3, v199
	s_waitcnt vmcnt(1)
	v_sub_f32_e32 v2, v181, v2
	s_waitcnt vmcnt(0)
	v_sub_f32_e32 v3, v182, v3
	buffer_store_dword v2, off, s[0:3], 0 offset:296
	buffer_store_dword v3, off, s[0:3], 0 offset:300
	v_cmpx_lt_u32_e32 36, v0
	s_cbranch_execz .LBB118_271
; %bb.270:
	s_clause 0x1
	buffer_load_dword v2, off, s[0:3], 0 offset:288
	buffer_load_dword v3, off, s[0:3], 0 offset:292
	buffer_store_dword v1, off, s[0:3], 0 offset:288
	buffer_store_dword v1, off, s[0:3], 0 offset:292
	s_waitcnt vmcnt(0)
	ds_write_b64 v9, v[2:3]
.LBB118_271:
	s_or_b32 exec_lo, exec_lo, s4
	s_waitcnt lgkmcnt(0)
	s_waitcnt_vscnt null, 0x0
	s_barrier
	buffer_gl0_inv
	s_clause 0x25
	buffer_load_dword v6, off, s[0:3], 0 offset:300
	buffer_load_dword v7, off, s[0:3], 0 offset:308
	buffer_load_dword v8, off, s[0:3], 0 offset:316
	buffer_load_dword v10, off, s[0:3], 0 offset:324
	buffer_load_dword v11, off, s[0:3], 0 offset:332
	buffer_load_dword v154, off, s[0:3], 0 offset:340
	buffer_load_dword v155, off, s[0:3], 0 offset:348
	buffer_load_dword v156, off, s[0:3], 0 offset:356
	buffer_load_dword v157, off, s[0:3], 0 offset:364
	buffer_load_dword v158, off, s[0:3], 0 offset:372
	buffer_load_dword v159, off, s[0:3], 0 offset:380
	buffer_load_dword v160, off, s[0:3], 0 offset:388
	buffer_load_dword v161, off, s[0:3], 0 offset:396
	buffer_load_dword v162, off, s[0:3], 0 offset:404
	buffer_load_dword v163, off, s[0:3], 0 offset:412
	buffer_load_dword v164, off, s[0:3], 0 offset:420
	buffer_load_dword v165, off, s[0:3], 0 offset:428
	buffer_load_dword v166, off, s[0:3], 0 offset:436
	buffer_load_dword v167, off, s[0:3], 0 offset:296
	buffer_load_dword v168, off, s[0:3], 0 offset:304
	buffer_load_dword v169, off, s[0:3], 0 offset:312
	buffer_load_dword v170, off, s[0:3], 0 offset:320
	buffer_load_dword v171, off, s[0:3], 0 offset:328
	buffer_load_dword v172, off, s[0:3], 0 offset:336
	buffer_load_dword v173, off, s[0:3], 0 offset:344
	buffer_load_dword v174, off, s[0:3], 0 offset:352
	buffer_load_dword v175, off, s[0:3], 0 offset:360
	buffer_load_dword v176, off, s[0:3], 0 offset:368
	buffer_load_dword v177, off, s[0:3], 0 offset:376
	buffer_load_dword v178, off, s[0:3], 0 offset:384
	buffer_load_dword v179, off, s[0:3], 0 offset:392
	buffer_load_dword v180, off, s[0:3], 0 offset:400
	buffer_load_dword v181, off, s[0:3], 0 offset:408
	buffer_load_dword v182, off, s[0:3], 0 offset:416
	buffer_load_dword v183, off, s[0:3], 0 offset:424
	buffer_load_dword v184, off, s[0:3], 0 offset:432
	buffer_load_dword v185, off, s[0:3], 0 offset:288
	buffer_load_dword v186, off, s[0:3], 0 offset:292
	ds_read2_b64 v[2:5], v1 offset0:93 offset1:94
	ds_read2_b64 v[122:125], v1 offset0:95 offset1:96
	;; [unrolled: 1-line block ×9, first 2 shown]
	s_mov_b32 s4, exec_lo
	s_waitcnt vmcnt(37) lgkmcnt(8)
	v_mul_f32_e32 v1, v2, v6
	v_mul_f32_e32 v6, v3, v6
	s_waitcnt vmcnt(36)
	v_mul_f32_e32 v187, v4, v7
	v_mul_f32_e32 v7, v5, v7
	s_waitcnt vmcnt(35) lgkmcnt(7)
	v_mul_f32_e32 v188, v122, v8
	s_waitcnt vmcnt(34)
	v_mul_f32_e32 v189, v124, v10
	s_waitcnt vmcnt(33) lgkmcnt(6)
	v_mul_f32_e32 v190, v126, v11
	s_waitcnt vmcnt(32)
	;; [unrolled: 4-line block ×7, first 2 shown]
	v_mul_f32_e32 v201, v148, v164
	s_waitcnt vmcnt(19)
	v_fma_f32 v2, v2, v167, -v6
	v_fmac_f32_e32 v1, v3, v167
	v_mul_f32_e32 v3, v123, v8
	s_waitcnt vmcnt(18)
	v_fma_f32 v4, v4, v168, -v7
	v_fmac_f32_e32 v187, v5, v168
	v_add_f32_e32 v2, 0, v2
	v_add_f32_e32 v1, 0, v1
	v_mul_f32_e32 v5, v125, v10
	s_waitcnt vmcnt(17)
	v_fma_f32 v3, v122, v169, -v3
	v_fmac_f32_e32 v188, v123, v169
	v_add_f32_e32 v2, v2, v4
	v_add_f32_e32 v1, v1, v187
	;; [unrolled: 6-line block ×14, first 2 shown]
	s_waitcnt lgkmcnt(0)
	v_mul_f32_e32 v4, v151, v165
	s_waitcnt vmcnt(4)
	v_fma_f32 v5, v148, v182, -v5
	v_mul_f32_e32 v202, v150, v165
	v_add_f32_e32 v2, v2, v3
	v_fmac_f32_e32 v201, v149, v182
	v_add_f32_e32 v1, v1, v200
	v_mul_f32_e32 v3, v153, v166
	s_waitcnt vmcnt(3)
	v_fma_f32 v4, v150, v183, -v4
	v_add_f32_e32 v2, v2, v5
	v_mul_f32_e32 v203, v152, v166
	v_fmac_f32_e32 v202, v151, v183
	v_add_f32_e32 v1, v1, v201
	s_waitcnt vmcnt(2)
	v_fma_f32 v3, v152, v184, -v3
	v_add_f32_e32 v2, v2, v4
	v_fmac_f32_e32 v203, v153, v184
	v_add_f32_e32 v1, v1, v202
	v_add_f32_e32 v2, v2, v3
	;; [unrolled: 1-line block ×3, first 2 shown]
	s_waitcnt vmcnt(1)
	v_sub_f32_e32 v2, v185, v2
	s_waitcnt vmcnt(0)
	v_sub_f32_e32 v1, v186, v1
	buffer_store_dword v2, off, s[0:3], 0 offset:288
	buffer_store_dword v1, off, s[0:3], 0 offset:292
	v_cmpx_lt_u32_e32 35, v0
	s_cbranch_execz .LBB118_273
; %bb.272:
	s_clause 0x1
	buffer_load_dword v1, off, s[0:3], 0 offset:280
	buffer_load_dword v2, off, s[0:3], 0 offset:284
	v_mov_b32_e32 v3, 0
	buffer_store_dword v3, off, s[0:3], 0 offset:280
	buffer_store_dword v3, off, s[0:3], 0 offset:284
	s_waitcnt vmcnt(0)
	ds_write_b64 v9, v[1:2]
.LBB118_273:
	s_or_b32 exec_lo, exec_lo, s4
	s_waitcnt lgkmcnt(0)
	s_waitcnt_vscnt null, 0x0
	s_barrier
	buffer_gl0_inv
	s_clause 0x27
	buffer_load_dword v8, off, s[0:3], 0 offset:292
	buffer_load_dword v10, off, s[0:3], 0 offset:300
	;; [unrolled: 1-line block ×40, first 2 shown]
	v_mov_b32_e32 v1, 0
	ds_read_b128 v[2:5], v1 offset:736
	ds_read_b128 v[122:125], v1 offset:752
	;; [unrolled: 1-line block ×9, first 2 shown]
	ds_read_b64 v[6:7], v1 offset:880
	s_mov_b32 s4, exec_lo
	s_waitcnt vmcnt(39) lgkmcnt(9)
	v_mul_f32_e32 v191, v2, v8
	v_mul_f32_e32 v8, v3, v8
	s_waitcnt vmcnt(38)
	v_mul_f32_e32 v192, v4, v10
	v_mul_f32_e32 v10, v5, v10
	s_waitcnt vmcnt(37) lgkmcnt(8)
	v_mul_f32_e32 v193, v122, v11
	s_waitcnt vmcnt(36)
	v_mul_f32_e32 v194, v124, v154
	s_waitcnt vmcnt(35) lgkmcnt(7)
	v_mul_f32_e32 v195, v126, v155
	s_waitcnt vmcnt(34)
	;; [unrolled: 4-line block ×8, first 2 shown]
	v_fma_f32 v2, v2, v170, -v8
	v_fmac_f32_e32 v191, v3, v170
	v_mul_f32_e32 v3, v123, v11
	s_waitcnt vmcnt(19)
	v_fma_f32 v4, v4, v171, -v10
	v_fmac_f32_e32 v192, v5, v171
	v_add_f32_e32 v2, 0, v2
	v_add_f32_e32 v5, 0, v191
	v_mul_f32_e32 v8, v125, v154
	s_waitcnt vmcnt(18)
	v_fma_f32 v3, v122, v172, -v3
	v_fmac_f32_e32 v193, v123, v172
	v_add_f32_e32 v2, v2, v4
	v_add_f32_e32 v4, v5, v192
	;; [unrolled: 6-line block ×15, first 2 shown]
	v_mul_f32_e32 v4, v153, v168
	s_waitcnt vmcnt(4)
	v_fma_f32 v5, v150, v186, -v5
	v_mul_f32_e32 v208, v152, v168
	v_add_f32_e32 v2, v2, v8
	v_fmac_f32_e32 v207, v151, v186
	v_add_f32_e32 v3, v3, v206
	s_waitcnt lgkmcnt(0)
	v_mul_f32_e32 v8, v7, v169
	s_waitcnt vmcnt(3)
	v_fma_f32 v4, v152, v187, -v4
	v_add_f32_e32 v2, v2, v5
	v_mul_f32_e32 v209, v6, v169
	v_fmac_f32_e32 v208, v153, v187
	v_add_f32_e32 v3, v3, v207
	s_waitcnt vmcnt(2)
	v_fma_f32 v5, v6, v188, -v8
	v_add_f32_e32 v2, v2, v4
	v_fmac_f32_e32 v209, v7, v188
	v_add_f32_e32 v3, v3, v208
	v_add_f32_e32 v2, v2, v5
	v_add_f32_e32 v3, v3, v209
	s_waitcnt vmcnt(1)
	v_sub_f32_e32 v2, v189, v2
	s_waitcnt vmcnt(0)
	v_sub_f32_e32 v3, v190, v3
	buffer_store_dword v2, off, s[0:3], 0 offset:280
	buffer_store_dword v3, off, s[0:3], 0 offset:284
	v_cmpx_lt_u32_e32 34, v0
	s_cbranch_execz .LBB118_275
; %bb.274:
	s_clause 0x1
	buffer_load_dword v2, off, s[0:3], 0 offset:272
	buffer_load_dword v3, off, s[0:3], 0 offset:276
	buffer_store_dword v1, off, s[0:3], 0 offset:272
	buffer_store_dword v1, off, s[0:3], 0 offset:276
	s_waitcnt vmcnt(0)
	ds_write_b64 v9, v[2:3]
.LBB118_275:
	s_or_b32 exec_lo, exec_lo, s4
	s_waitcnt lgkmcnt(0)
	s_waitcnt_vscnt null, 0x0
	s_barrier
	buffer_gl0_inv
	s_clause 0x29
	buffer_load_dword v6, off, s[0:3], 0 offset:284
	buffer_load_dword v7, off, s[0:3], 0 offset:292
	;; [unrolled: 1-line block ×42, first 2 shown]
	ds_read2_b64 v[2:5], v1 offset0:91 offset1:92
	ds_read2_b64 v[122:125], v1 offset0:93 offset1:94
	;; [unrolled: 1-line block ×10, first 2 shown]
	s_mov_b32 s4, exec_lo
	s_waitcnt vmcnt(41) lgkmcnt(9)
	v_mul_f32_e32 v1, v2, v6
	v_mul_f32_e32 v6, v3, v6
	s_waitcnt vmcnt(40)
	v_mul_f32_e32 v195, v4, v7
	v_mul_f32_e32 v7, v5, v7
	s_waitcnt vmcnt(39) lgkmcnt(8)
	v_mul_f32_e32 v196, v122, v8
	s_waitcnt vmcnt(38)
	v_mul_f32_e32 v197, v124, v10
	s_waitcnt vmcnt(37) lgkmcnt(7)
	v_mul_f32_e32 v198, v126, v11
	s_waitcnt vmcnt(36)
	v_mul_f32_e32 v199, v128, v158
	s_waitcnt vmcnt(35) lgkmcnt(6)
	v_mul_f32_e32 v200, v130, v159
	s_waitcnt vmcnt(34)
	v_mul_f32_e32 v201, v132, v160
	s_waitcnt vmcnt(33) lgkmcnt(5)
	v_mul_f32_e32 v202, v134, v161
	s_waitcnt vmcnt(32)
	v_mul_f32_e32 v203, v136, v162
	s_waitcnt vmcnt(31) lgkmcnt(4)
	v_mul_f32_e32 v204, v138, v163
	s_waitcnt vmcnt(30)
	v_mul_f32_e32 v205, v140, v164
	s_waitcnt vmcnt(29) lgkmcnt(3)
	v_mul_f32_e32 v206, v142, v165
	s_waitcnt vmcnt(28)
	v_mul_f32_e32 v207, v144, v166
	s_waitcnt vmcnt(27) lgkmcnt(2)
	v_mul_f32_e32 v208, v146, v167
	s_waitcnt vmcnt(26)
	v_mul_f32_e32 v209, v148, v168
	s_waitcnt vmcnt(25) lgkmcnt(1)
	v_mul_f32_e32 v210, v150, v169
	s_waitcnt vmcnt(24)
	v_mul_f32_e32 v211, v152, v170
	s_waitcnt vmcnt(21)
	v_fma_f32 v2, v2, v173, -v6
	v_fmac_f32_e32 v1, v3, v173
	v_mul_f32_e32 v3, v123, v8
	s_waitcnt vmcnt(20)
	v_fma_f32 v4, v4, v174, -v7
	v_fmac_f32_e32 v195, v5, v174
	v_add_f32_e32 v2, 0, v2
	v_add_f32_e32 v1, 0, v1
	v_mul_f32_e32 v5, v125, v10
	s_waitcnt vmcnt(19)
	v_fma_f32 v3, v122, v175, -v3
	v_fmac_f32_e32 v196, v123, v175
	v_add_f32_e32 v2, v2, v4
	v_add_f32_e32 v1, v1, v195
	;; [unrolled: 6-line block ×16, first 2 shown]
	s_waitcnt lgkmcnt(0)
	v_mul_f32_e32 v5, v155, v171
	s_waitcnt vmcnt(4)
	v_fma_f32 v3, v152, v190, -v3
	v_mul_f32_e32 v212, v154, v171
	v_add_f32_e32 v2, v2, v4
	v_fmac_f32_e32 v211, v153, v190
	v_add_f32_e32 v1, v1, v210
	v_mul_f32_e32 v4, v157, v172
	s_waitcnt vmcnt(3)
	v_fma_f32 v5, v154, v191, -v5
	v_add_f32_e32 v2, v2, v3
	v_mul_f32_e32 v213, v156, v172
	v_fmac_f32_e32 v212, v155, v191
	v_add_f32_e32 v1, v1, v211
	s_waitcnt vmcnt(2)
	v_fma_f32 v3, v156, v192, -v4
	v_add_f32_e32 v2, v2, v5
	v_fmac_f32_e32 v213, v157, v192
	v_add_f32_e32 v1, v1, v212
	v_add_f32_e32 v2, v2, v3
	;; [unrolled: 1-line block ×3, first 2 shown]
	s_waitcnt vmcnt(1)
	v_sub_f32_e32 v2, v193, v2
	s_waitcnt vmcnt(0)
	v_sub_f32_e32 v1, v194, v1
	buffer_store_dword v2, off, s[0:3], 0 offset:272
	buffer_store_dword v1, off, s[0:3], 0 offset:276
	v_cmpx_lt_u32_e32 33, v0
	s_cbranch_execz .LBB118_277
; %bb.276:
	s_clause 0x1
	buffer_load_dword v1, off, s[0:3], 0 offset:264
	buffer_load_dword v2, off, s[0:3], 0 offset:268
	v_mov_b32_e32 v3, 0
	buffer_store_dword v3, off, s[0:3], 0 offset:264
	buffer_store_dword v3, off, s[0:3], 0 offset:268
	s_waitcnt vmcnt(0)
	ds_write_b64 v9, v[1:2]
.LBB118_277:
	s_or_b32 exec_lo, exec_lo, s4
	s_waitcnt lgkmcnt(0)
	s_waitcnt_vscnt null, 0x0
	s_barrier
	buffer_gl0_inv
	s_clause 0x2b
	buffer_load_dword v8, off, s[0:3], 0 offset:276
	buffer_load_dword v10, off, s[0:3], 0 offset:284
	;; [unrolled: 1-line block ×44, first 2 shown]
	v_mov_b32_e32 v1, 0
	ds_read_b128 v[2:5], v1 offset:720
	ds_read_b128 v[122:125], v1 offset:736
	ds_read_b128 v[126:129], v1 offset:752
	ds_read_b128 v[130:133], v1 offset:768
	ds_read_b128 v[134:137], v1 offset:784
	ds_read_b128 v[138:141], v1 offset:800
	ds_read_b128 v[142:145], v1 offset:816
	ds_read_b128 v[146:149], v1 offset:832
	ds_read_b128 v[150:153], v1 offset:848
	ds_read_b128 v[154:157], v1 offset:864
	ds_read_b64 v[6:7], v1 offset:880
	s_mov_b32 s4, exec_lo
	s_waitcnt vmcnt(43) lgkmcnt(10)
	v_mul_f32_e32 v199, v2, v8
	v_mul_f32_e32 v8, v3, v8
	s_waitcnt vmcnt(42)
	v_mul_f32_e32 v200, v4, v10
	v_mul_f32_e32 v10, v5, v10
	s_waitcnt vmcnt(41) lgkmcnt(9)
	v_mul_f32_e32 v201, v122, v11
	s_waitcnt vmcnt(40)
	v_mul_f32_e32 v202, v124, v158
	s_waitcnt vmcnt(39) lgkmcnt(8)
	v_mul_f32_e32 v203, v126, v159
	s_waitcnt vmcnt(38)
	v_mul_f32_e32 v204, v128, v160
	s_waitcnt vmcnt(37) lgkmcnt(7)
	v_mul_f32_e32 v205, v130, v161
	s_waitcnt vmcnt(36)
	v_mul_f32_e32 v206, v132, v162
	s_waitcnt vmcnt(35) lgkmcnt(6)
	v_mul_f32_e32 v207, v134, v163
	s_waitcnt vmcnt(34)
	v_mul_f32_e32 v208, v136, v164
	s_waitcnt vmcnt(33) lgkmcnt(5)
	v_mul_f32_e32 v209, v138, v165
	s_waitcnt vmcnt(32)
	v_mul_f32_e32 v210, v140, v166
	s_waitcnt vmcnt(31) lgkmcnt(4)
	v_mul_f32_e32 v211, v142, v167
	s_waitcnt vmcnt(30)
	v_mul_f32_e32 v212, v144, v168
	s_waitcnt vmcnt(29) lgkmcnt(3)
	v_mul_f32_e32 v213, v146, v169
	s_waitcnt vmcnt(28)
	v_mul_f32_e32 v214, v148, v170
	s_waitcnt vmcnt(27) lgkmcnt(2)
	v_mul_f32_e32 v215, v150, v171
	s_waitcnt vmcnt(26)
	v_mul_f32_e32 v216, v152, v172
	s_waitcnt vmcnt(25) lgkmcnt(1)
	v_mul_f32_e32 v217, v154, v173
	s_waitcnt vmcnt(22)
	v_fma_f32 v2, v2, v176, -v8
	v_fmac_f32_e32 v199, v3, v176
	v_mul_f32_e32 v3, v123, v11
	s_waitcnt vmcnt(21)
	v_fma_f32 v4, v4, v177, -v10
	v_fmac_f32_e32 v200, v5, v177
	v_add_f32_e32 v2, 0, v2
	v_add_f32_e32 v5, 0, v199
	v_mul_f32_e32 v8, v125, v158
	s_waitcnt vmcnt(20)
	v_fma_f32 v3, v122, v178, -v3
	v_fmac_f32_e32 v201, v123, v178
	v_add_f32_e32 v2, v2, v4
	v_add_f32_e32 v4, v5, v200
	;; [unrolled: 6-line block ×17, first 2 shown]
	v_mul_f32_e32 v5, v157, v174
	s_waitcnt vmcnt(4)
	v_fma_f32 v8, v154, v194, -v8
	v_mul_f32_e32 v218, v156, v174
	v_add_f32_e32 v2, v2, v4
	v_fmac_f32_e32 v217, v155, v194
	v_add_f32_e32 v3, v3, v216
	s_waitcnt lgkmcnt(0)
	v_mul_f32_e32 v4, v7, v175
	s_waitcnt vmcnt(3)
	v_fma_f32 v5, v156, v195, -v5
	v_add_f32_e32 v2, v2, v8
	v_mul_f32_e32 v219, v6, v175
	v_fmac_f32_e32 v218, v157, v195
	v_add_f32_e32 v3, v3, v217
	s_waitcnt vmcnt(2)
	v_fma_f32 v4, v6, v196, -v4
	v_add_f32_e32 v2, v2, v5
	v_fmac_f32_e32 v219, v7, v196
	v_add_f32_e32 v3, v3, v218
	v_add_f32_e32 v2, v2, v4
	;; [unrolled: 1-line block ×3, first 2 shown]
	s_waitcnt vmcnt(1)
	v_sub_f32_e32 v2, v197, v2
	s_waitcnt vmcnt(0)
	v_sub_f32_e32 v3, v198, v3
	buffer_store_dword v2, off, s[0:3], 0 offset:264
	buffer_store_dword v3, off, s[0:3], 0 offset:268
	v_cmpx_lt_u32_e32 32, v0
	s_cbranch_execz .LBB118_279
; %bb.278:
	s_clause 0x1
	buffer_load_dword v2, off, s[0:3], 0 offset:256
	buffer_load_dword v3, off, s[0:3], 0 offset:260
	buffer_store_dword v1, off, s[0:3], 0 offset:256
	buffer_store_dword v1, off, s[0:3], 0 offset:260
	s_waitcnt vmcnt(0)
	ds_write_b64 v9, v[2:3]
.LBB118_279:
	s_or_b32 exec_lo, exec_lo, s4
	s_waitcnt lgkmcnt(0)
	s_waitcnt_vscnt null, 0x0
	s_barrier
	buffer_gl0_inv
	s_clause 0x2d
	buffer_load_dword v6, off, s[0:3], 0 offset:268
	buffer_load_dword v7, off, s[0:3], 0 offset:276
	;; [unrolled: 1-line block ×46, first 2 shown]
	ds_read2_b64 v[2:5], v1 offset0:89 offset1:90
	ds_read2_b64 v[122:125], v1 offset0:91 offset1:92
	ds_read2_b64 v[126:129], v1 offset0:93 offset1:94
	ds_read2_b64 v[130:133], v1 offset0:95 offset1:96
	ds_read2_b64 v[134:137], v1 offset0:97 offset1:98
	ds_read2_b64 v[138:141], v1 offset0:99 offset1:100
	ds_read2_b64 v[142:145], v1 offset0:101 offset1:102
	ds_read2_b64 v[146:149], v1 offset0:103 offset1:104
	ds_read2_b64 v[150:153], v1 offset0:105 offset1:106
	ds_read2_b64 v[154:157], v1 offset0:107 offset1:108
	ds_read2_b64 v[158:161], v1 offset0:109 offset1:110
	s_mov_b32 s4, exec_lo
	s_waitcnt vmcnt(45) lgkmcnt(10)
	v_mul_f32_e32 v1, v2, v6
	v_mul_f32_e32 v6, v3, v6
	s_waitcnt vmcnt(44)
	v_mul_f32_e32 v203, v4, v7
	v_mul_f32_e32 v7, v5, v7
	s_waitcnt vmcnt(43) lgkmcnt(9)
	v_mul_f32_e32 v204, v122, v8
	s_waitcnt vmcnt(42)
	v_mul_f32_e32 v205, v124, v10
	s_waitcnt vmcnt(41) lgkmcnt(8)
	v_mul_f32_e32 v206, v126, v11
	s_waitcnt vmcnt(40)
	;; [unrolled: 4-line block ×9, first 2 shown]
	v_mul_f32_e32 v221, v156, v176
	s_waitcnt vmcnt(23)
	v_fma_f32 v2, v2, v179, -v6
	v_fmac_f32_e32 v1, v3, v179
	v_mul_f32_e32 v3, v123, v8
	s_waitcnt vmcnt(22)
	v_fma_f32 v4, v4, v180, -v7
	v_fmac_f32_e32 v203, v5, v180
	v_add_f32_e32 v2, 0, v2
	v_add_f32_e32 v1, 0, v1
	v_mul_f32_e32 v5, v125, v10
	s_waitcnt vmcnt(21)
	v_fma_f32 v3, v122, v181, -v3
	v_fmac_f32_e32 v204, v123, v181
	v_add_f32_e32 v2, v2, v4
	v_add_f32_e32 v1, v1, v203
	v_mul_f32_e32 v4, v127, v11
	s_waitcnt vmcnt(20)
	v_fma_f32 v5, v124, v182, -v5
	v_fmac_f32_e32 v205, v125, v182
	v_add_f32_e32 v2, v2, v3
	v_add_f32_e32 v1, v1, v204
	v_mul_f32_e32 v3, v129, v162
	s_waitcnt vmcnt(19)
	v_fma_f32 v4, v126, v183, -v4
	v_fmac_f32_e32 v206, v127, v183
	v_add_f32_e32 v2, v2, v5
	v_add_f32_e32 v1, v1, v205
	v_mul_f32_e32 v5, v131, v163
	s_waitcnt vmcnt(18)
	v_fma_f32 v3, v128, v184, -v3
	v_fmac_f32_e32 v207, v129, v184
	v_add_f32_e32 v2, v2, v4
	v_add_f32_e32 v1, v1, v206
	v_mul_f32_e32 v4, v133, v164
	s_waitcnt vmcnt(17)
	v_fma_f32 v5, v130, v185, -v5
	v_fmac_f32_e32 v208, v131, v185
	v_add_f32_e32 v2, v2, v3
	v_add_f32_e32 v1, v1, v207
	v_mul_f32_e32 v3, v135, v165
	s_waitcnt vmcnt(16)
	v_fma_f32 v4, v132, v186, -v4
	v_fmac_f32_e32 v209, v133, v186
	v_add_f32_e32 v2, v2, v5
	v_add_f32_e32 v1, v1, v208
	v_mul_f32_e32 v5, v137, v166
	s_waitcnt vmcnt(15)
	v_fma_f32 v3, v134, v187, -v3
	v_fmac_f32_e32 v210, v135, v187
	v_add_f32_e32 v2, v2, v4
	v_add_f32_e32 v1, v1, v209
	v_mul_f32_e32 v4, v139, v167
	s_waitcnt vmcnt(14)
	v_fma_f32 v5, v136, v188, -v5
	v_fmac_f32_e32 v211, v137, v188
	v_add_f32_e32 v2, v2, v3
	v_add_f32_e32 v1, v1, v210
	v_mul_f32_e32 v3, v141, v168
	s_waitcnt vmcnt(13)
	v_fma_f32 v4, v138, v189, -v4
	v_fmac_f32_e32 v212, v139, v189
	v_add_f32_e32 v2, v2, v5
	v_add_f32_e32 v1, v1, v211
	v_mul_f32_e32 v5, v143, v169
	s_waitcnt vmcnt(12)
	v_fma_f32 v3, v140, v190, -v3
	v_fmac_f32_e32 v213, v141, v190
	v_add_f32_e32 v2, v2, v4
	v_add_f32_e32 v1, v1, v212
	v_mul_f32_e32 v4, v145, v170
	s_waitcnt vmcnt(11)
	v_fma_f32 v5, v142, v191, -v5
	v_fmac_f32_e32 v214, v143, v191
	v_add_f32_e32 v2, v2, v3
	v_add_f32_e32 v1, v1, v213
	v_mul_f32_e32 v3, v147, v171
	s_waitcnt vmcnt(10)
	v_fma_f32 v4, v144, v192, -v4
	v_fmac_f32_e32 v215, v145, v192
	v_add_f32_e32 v2, v2, v5
	v_add_f32_e32 v1, v1, v214
	v_mul_f32_e32 v5, v149, v172
	s_waitcnt vmcnt(9)
	v_fma_f32 v3, v146, v193, -v3
	v_fmac_f32_e32 v216, v147, v193
	v_add_f32_e32 v2, v2, v4
	v_add_f32_e32 v1, v1, v215
	v_mul_f32_e32 v4, v151, v173
	s_waitcnt vmcnt(8)
	v_fma_f32 v5, v148, v194, -v5
	v_fmac_f32_e32 v217, v149, v194
	v_add_f32_e32 v2, v2, v3
	v_add_f32_e32 v1, v1, v216
	v_mul_f32_e32 v3, v153, v174
	s_waitcnt vmcnt(7)
	v_fma_f32 v4, v150, v195, -v4
	v_fmac_f32_e32 v218, v151, v195
	v_add_f32_e32 v2, v2, v5
	v_add_f32_e32 v1, v1, v217
	v_mul_f32_e32 v5, v155, v175
	s_waitcnt vmcnt(6)
	v_fma_f32 v3, v152, v196, -v3
	v_fmac_f32_e32 v219, v153, v196
	v_add_f32_e32 v2, v2, v4
	v_add_f32_e32 v1, v1, v218
	v_mul_f32_e32 v4, v157, v176
	s_waitcnt vmcnt(5)
	v_fma_f32 v5, v154, v197, -v5
	v_fmac_f32_e32 v220, v155, v197
	v_add_f32_e32 v2, v2, v3
	v_add_f32_e32 v1, v1, v219
	s_waitcnt lgkmcnt(0)
	v_mul_f32_e32 v3, v159, v177
	s_waitcnt vmcnt(4)
	v_fma_f32 v4, v156, v198, -v4
	v_mul_f32_e32 v222, v158, v177
	v_add_f32_e32 v2, v2, v5
	v_fmac_f32_e32 v221, v157, v198
	v_add_f32_e32 v1, v1, v220
	v_mul_f32_e32 v5, v161, v178
	s_waitcnt vmcnt(3)
	v_fma_f32 v3, v158, v199, -v3
	v_add_f32_e32 v2, v2, v4
	v_mul_f32_e32 v223, v160, v178
	v_fmac_f32_e32 v222, v159, v199
	v_add_f32_e32 v1, v1, v221
	s_waitcnt vmcnt(2)
	v_fma_f32 v4, v160, v200, -v5
	v_add_f32_e32 v2, v2, v3
	v_fmac_f32_e32 v223, v161, v200
	v_add_f32_e32 v1, v1, v222
	v_add_f32_e32 v2, v2, v4
	;; [unrolled: 1-line block ×3, first 2 shown]
	s_waitcnt vmcnt(1)
	v_sub_f32_e32 v2, v201, v2
	s_waitcnt vmcnt(0)
	v_sub_f32_e32 v1, v202, v1
	buffer_store_dword v2, off, s[0:3], 0 offset:256
	buffer_store_dword v1, off, s[0:3], 0 offset:260
	v_cmpx_lt_u32_e32 31, v0
	s_cbranch_execz .LBB118_281
; %bb.280:
	s_clause 0x1
	buffer_load_dword v1, off, s[0:3], 0 offset:248
	buffer_load_dword v2, off, s[0:3], 0 offset:252
	v_mov_b32_e32 v3, 0
	buffer_store_dword v3, off, s[0:3], 0 offset:248
	buffer_store_dword v3, off, s[0:3], 0 offset:252
	s_waitcnt vmcnt(0)
	ds_write_b64 v9, v[1:2]
.LBB118_281:
	s_or_b32 exec_lo, exec_lo, s4
	s_waitcnt lgkmcnt(0)
	s_waitcnt_vscnt null, 0x0
	s_barrier
	buffer_gl0_inv
	s_clause 0x2f
	buffer_load_dword v8, off, s[0:3], 0 offset:260
	buffer_load_dword v10, off, s[0:3], 0 offset:268
	;; [unrolled: 1-line block ×48, first 2 shown]
	v_mov_b32_e32 v1, 0
	ds_read_b128 v[2:5], v1 offset:704
	ds_read_b128 v[122:125], v1 offset:720
	;; [unrolled: 1-line block ×11, first 2 shown]
	ds_read_b64 v[6:7], v1 offset:880
	s_mov_b32 s4, exec_lo
	s_waitcnt vmcnt(47) lgkmcnt(11)
	v_mul_f32_e32 v207, v2, v8
	v_mul_f32_e32 v8, v3, v8
	s_waitcnt vmcnt(46)
	v_mul_f32_e32 v208, v4, v10
	v_mul_f32_e32 v10, v5, v10
	s_waitcnt vmcnt(45) lgkmcnt(10)
	v_mul_f32_e32 v209, v122, v11
	s_waitcnt vmcnt(44)
	v_mul_f32_e32 v210, v124, v162
	s_waitcnt vmcnt(43) lgkmcnt(9)
	v_mul_f32_e32 v211, v126, v163
	s_waitcnt vmcnt(42)
	;; [unrolled: 4-line block ×10, first 2 shown]
	v_fma_f32 v2, v2, v182, -v8
	v_fmac_f32_e32 v207, v3, v182
	v_mul_f32_e32 v3, v123, v11
	s_waitcnt vmcnt(23)
	v_fma_f32 v4, v4, v183, -v10
	v_fmac_f32_e32 v208, v5, v183
	v_add_f32_e32 v2, 0, v2
	v_add_f32_e32 v5, 0, v207
	v_mul_f32_e32 v8, v125, v162
	s_waitcnt vmcnt(22)
	v_fma_f32 v3, v122, v184, -v3
	v_fmac_f32_e32 v209, v123, v184
	v_add_f32_e32 v2, v2, v4
	v_add_f32_e32 v4, v5, v208
	v_mul_f32_e32 v5, v127, v163
	s_waitcnt vmcnt(21)
	v_fma_f32 v8, v124, v185, -v8
	v_fmac_f32_e32 v210, v125, v185
	v_add_f32_e32 v2, v2, v3
	v_add_f32_e32 v3, v4, v209
	v_mul_f32_e32 v4, v129, v164
	s_waitcnt vmcnt(20)
	v_fma_f32 v5, v126, v186, -v5
	v_fmac_f32_e32 v211, v127, v186
	v_add_f32_e32 v2, v2, v8
	v_add_f32_e32 v3, v3, v210
	v_mul_f32_e32 v8, v131, v165
	s_waitcnt vmcnt(19)
	v_fma_f32 v4, v128, v187, -v4
	v_fmac_f32_e32 v212, v129, v187
	v_add_f32_e32 v2, v2, v5
	v_add_f32_e32 v3, v3, v211
	v_mul_f32_e32 v5, v133, v166
	s_waitcnt vmcnt(18)
	v_fma_f32 v8, v130, v188, -v8
	v_fmac_f32_e32 v213, v131, v188
	v_add_f32_e32 v2, v2, v4
	v_add_f32_e32 v3, v3, v212
	v_mul_f32_e32 v4, v135, v167
	s_waitcnt vmcnt(17)
	v_fma_f32 v5, v132, v189, -v5
	v_fmac_f32_e32 v214, v133, v189
	v_add_f32_e32 v2, v2, v8
	v_add_f32_e32 v3, v3, v213
	v_mul_f32_e32 v8, v137, v168
	s_waitcnt vmcnt(16)
	v_fma_f32 v4, v134, v190, -v4
	v_fmac_f32_e32 v215, v135, v190
	v_add_f32_e32 v2, v2, v5
	v_add_f32_e32 v3, v3, v214
	v_mul_f32_e32 v5, v139, v169
	s_waitcnt vmcnt(15)
	v_fma_f32 v8, v136, v191, -v8
	v_fmac_f32_e32 v216, v137, v191
	v_add_f32_e32 v2, v2, v4
	v_add_f32_e32 v3, v3, v215
	v_mul_f32_e32 v4, v141, v170
	s_waitcnt vmcnt(14)
	v_fma_f32 v5, v138, v192, -v5
	v_fmac_f32_e32 v217, v139, v192
	v_add_f32_e32 v2, v2, v8
	v_add_f32_e32 v3, v3, v216
	v_mul_f32_e32 v8, v143, v171
	s_waitcnt vmcnt(13)
	v_fma_f32 v4, v140, v193, -v4
	v_fmac_f32_e32 v218, v141, v193
	v_add_f32_e32 v2, v2, v5
	v_add_f32_e32 v3, v3, v217
	v_mul_f32_e32 v5, v145, v172
	s_waitcnt vmcnt(12)
	v_fma_f32 v8, v142, v194, -v8
	v_fmac_f32_e32 v219, v143, v194
	v_add_f32_e32 v2, v2, v4
	v_add_f32_e32 v3, v3, v218
	v_mul_f32_e32 v4, v147, v173
	s_waitcnt vmcnt(11)
	v_fma_f32 v5, v144, v195, -v5
	v_fmac_f32_e32 v220, v145, v195
	v_add_f32_e32 v2, v2, v8
	v_add_f32_e32 v3, v3, v219
	v_mul_f32_e32 v8, v149, v174
	s_waitcnt vmcnt(10)
	v_fma_f32 v4, v146, v196, -v4
	v_fmac_f32_e32 v221, v147, v196
	v_add_f32_e32 v2, v2, v5
	v_add_f32_e32 v3, v3, v220
	v_mul_f32_e32 v5, v151, v175
	s_waitcnt vmcnt(9)
	v_fma_f32 v8, v148, v197, -v8
	v_fmac_f32_e32 v222, v149, v197
	v_add_f32_e32 v2, v2, v4
	v_add_f32_e32 v3, v3, v221
	v_mul_f32_e32 v4, v153, v176
	s_waitcnt vmcnt(8)
	v_fma_f32 v5, v150, v198, -v5
	v_fmac_f32_e32 v223, v151, v198
	v_add_f32_e32 v2, v2, v8
	v_add_f32_e32 v3, v3, v222
	v_mul_f32_e32 v8, v155, v177
	s_waitcnt vmcnt(7)
	v_fma_f32 v4, v152, v199, -v4
	v_fmac_f32_e32 v224, v153, v199
	v_add_f32_e32 v2, v2, v5
	v_add_f32_e32 v3, v3, v223
	v_mul_f32_e32 v5, v157, v178
	s_waitcnt vmcnt(6)
	v_fma_f32 v8, v154, v200, -v8
	v_fmac_f32_e32 v225, v155, v200
	v_add_f32_e32 v2, v2, v4
	v_add_f32_e32 v3, v3, v224
	v_mul_f32_e32 v4, v159, v179
	s_waitcnt vmcnt(5)
	v_fma_f32 v5, v156, v201, -v5
	v_fmac_f32_e32 v226, v157, v201
	v_add_f32_e32 v2, v2, v8
	v_add_f32_e32 v3, v3, v225
	v_mul_f32_e32 v8, v161, v180
	s_waitcnt vmcnt(4)
	v_fma_f32 v4, v158, v202, -v4
	v_mul_f32_e32 v228, v160, v180
	v_add_f32_e32 v2, v2, v5
	v_fmac_f32_e32 v227, v159, v202
	v_add_f32_e32 v3, v3, v226
	s_waitcnt lgkmcnt(0)
	v_mul_f32_e32 v5, v7, v181
	s_waitcnt vmcnt(3)
	v_fma_f32 v8, v160, v203, -v8
	v_add_f32_e32 v2, v2, v4
	v_mul_f32_e32 v229, v6, v181
	v_fmac_f32_e32 v228, v161, v203
	v_add_f32_e32 v3, v3, v227
	s_waitcnt vmcnt(2)
	v_fma_f32 v4, v6, v204, -v5
	v_add_f32_e32 v2, v2, v8
	v_fmac_f32_e32 v229, v7, v204
	v_add_f32_e32 v3, v3, v228
	v_add_f32_e32 v2, v2, v4
	;; [unrolled: 1-line block ×3, first 2 shown]
	s_waitcnt vmcnt(1)
	v_sub_f32_e32 v2, v205, v2
	s_waitcnt vmcnt(0)
	v_sub_f32_e32 v3, v206, v3
	buffer_store_dword v2, off, s[0:3], 0 offset:248
	buffer_store_dword v3, off, s[0:3], 0 offset:252
	v_cmpx_lt_u32_e32 30, v0
	s_cbranch_execz .LBB118_283
; %bb.282:
	s_clause 0x1
	buffer_load_dword v2, off, s[0:3], 0 offset:240
	buffer_load_dword v3, off, s[0:3], 0 offset:244
	buffer_store_dword v1, off, s[0:3], 0 offset:240
	buffer_store_dword v1, off, s[0:3], 0 offset:244
	s_waitcnt vmcnt(0)
	ds_write_b64 v9, v[2:3]
.LBB118_283:
	s_or_b32 exec_lo, exec_lo, s4
	s_waitcnt lgkmcnt(0)
	s_waitcnt_vscnt null, 0x0
	s_barrier
	buffer_gl0_inv
	s_clause 0x31
	buffer_load_dword v6, off, s[0:3], 0 offset:252
	buffer_load_dword v7, off, s[0:3], 0 offset:260
	;; [unrolled: 1-line block ×50, first 2 shown]
	ds_read2_b64 v[2:5], v1 offset0:87 offset1:88
	ds_read2_b64 v[122:125], v1 offset0:89 offset1:90
	;; [unrolled: 1-line block ×12, first 2 shown]
	s_mov_b32 s4, exec_lo
	s_waitcnt vmcnt(49) lgkmcnt(11)
	v_mul_f32_e32 v1, v2, v6
	v_mul_f32_e32 v6, v3, v6
	s_waitcnt vmcnt(48)
	v_mul_f32_e32 v211, v4, v7
	v_mul_f32_e32 v7, v5, v7
	s_waitcnt vmcnt(47) lgkmcnt(10)
	v_mul_f32_e32 v212, v122, v8
	s_waitcnt vmcnt(46)
	v_mul_f32_e32 v213, v124, v10
	s_waitcnt vmcnt(45) lgkmcnt(9)
	v_mul_f32_e32 v214, v126, v11
	s_waitcnt vmcnt(44)
	;; [unrolled: 4-line block ×10, first 2 shown]
	v_mul_f32_e32 v231, v160, v182
	s_waitcnt vmcnt(25)
	v_fma_f32 v2, v2, v185, -v6
	v_fmac_f32_e32 v1, v3, v185
	v_mul_f32_e32 v3, v123, v8
	s_waitcnt vmcnt(24)
	v_fma_f32 v4, v4, v186, -v7
	v_fmac_f32_e32 v211, v5, v186
	v_add_f32_e32 v2, 0, v2
	v_add_f32_e32 v1, 0, v1
	v_mul_f32_e32 v5, v125, v10
	s_waitcnt vmcnt(23)
	v_fma_f32 v3, v122, v187, -v3
	v_fmac_f32_e32 v212, v123, v187
	v_add_f32_e32 v2, v2, v4
	v_add_f32_e32 v1, v1, v211
	;; [unrolled: 6-line block ×20, first 2 shown]
	s_waitcnt lgkmcnt(0)
	v_mul_f32_e32 v4, v163, v183
	s_waitcnt vmcnt(4)
	v_fma_f32 v5, v160, v206, -v5
	v_mul_f32_e32 v232, v162, v183
	v_add_f32_e32 v2, v2, v3
	v_fmac_f32_e32 v231, v161, v206
	v_add_f32_e32 v1, v1, v230
	v_mul_f32_e32 v3, v165, v184
	s_waitcnt vmcnt(3)
	v_fma_f32 v4, v162, v207, -v4
	v_add_f32_e32 v2, v2, v5
	v_mul_f32_e32 v233, v164, v184
	v_fmac_f32_e32 v232, v163, v207
	v_add_f32_e32 v1, v1, v231
	s_waitcnt vmcnt(2)
	v_fma_f32 v3, v164, v208, -v3
	v_add_f32_e32 v2, v2, v4
	v_fmac_f32_e32 v233, v165, v208
	v_add_f32_e32 v1, v1, v232
	v_add_f32_e32 v2, v2, v3
	;; [unrolled: 1-line block ×3, first 2 shown]
	s_waitcnt vmcnt(1)
	v_sub_f32_e32 v2, v209, v2
	s_waitcnt vmcnt(0)
	v_sub_f32_e32 v1, v210, v1
	buffer_store_dword v2, off, s[0:3], 0 offset:240
	buffer_store_dword v1, off, s[0:3], 0 offset:244
	v_cmpx_lt_u32_e32 29, v0
	s_cbranch_execz .LBB118_285
; %bb.284:
	s_clause 0x1
	buffer_load_dword v1, off, s[0:3], 0 offset:232
	buffer_load_dword v2, off, s[0:3], 0 offset:236
	v_mov_b32_e32 v3, 0
	buffer_store_dword v3, off, s[0:3], 0 offset:232
	buffer_store_dword v3, off, s[0:3], 0 offset:236
	s_waitcnt vmcnt(0)
	ds_write_b64 v9, v[1:2]
.LBB118_285:
	s_or_b32 exec_lo, exec_lo, s4
	s_waitcnt lgkmcnt(0)
	s_waitcnt_vscnt null, 0x0
	s_barrier
	buffer_gl0_inv
	s_clause 0x33
	buffer_load_dword v8, off, s[0:3], 0 offset:244
	buffer_load_dword v10, off, s[0:3], 0 offset:252
	;; [unrolled: 1-line block ×52, first 2 shown]
	v_mov_b32_e32 v1, 0
	ds_read_b128 v[2:5], v1 offset:688
	ds_read_b128 v[122:125], v1 offset:704
	ds_read_b128 v[126:129], v1 offset:720
	ds_read_b128 v[130:133], v1 offset:736
	ds_read_b128 v[134:137], v1 offset:752
	ds_read_b128 v[138:141], v1 offset:768
	ds_read_b128 v[142:145], v1 offset:784
	ds_read_b128 v[146:149], v1 offset:800
	ds_read_b128 v[150:153], v1 offset:816
	ds_read_b128 v[154:157], v1 offset:832
	ds_read_b128 v[158:161], v1 offset:848
	ds_read_b128 v[162:165], v1 offset:864
	ds_read_b64 v[6:7], v1 offset:880
	s_mov_b32 s4, exec_lo
	s_waitcnt vmcnt(51) lgkmcnt(12)
	v_mul_f32_e32 v215, v2, v8
	v_mul_f32_e32 v8, v3, v8
	s_waitcnt vmcnt(50)
	v_mul_f32_e32 v216, v4, v10
	v_mul_f32_e32 v10, v5, v10
	s_waitcnt vmcnt(49) lgkmcnt(11)
	v_mul_f32_e32 v217, v122, v11
	s_waitcnt vmcnt(48)
	v_mul_f32_e32 v218, v124, v166
	s_waitcnt vmcnt(47) lgkmcnt(10)
	v_mul_f32_e32 v219, v126, v167
	s_waitcnt vmcnt(46)
	;; [unrolled: 4-line block ×11, first 2 shown]
	v_fma_f32 v2, v2, v188, -v8
	v_fmac_f32_e32 v215, v3, v188
	v_mul_f32_e32 v3, v123, v11
	s_waitcnt vmcnt(25)
	v_fma_f32 v4, v4, v189, -v10
	v_fmac_f32_e32 v216, v5, v189
	v_add_f32_e32 v2, 0, v2
	v_add_f32_e32 v5, 0, v215
	v_mul_f32_e32 v8, v125, v166
	s_waitcnt vmcnt(24)
	v_fma_f32 v3, v122, v190, -v3
	v_fmac_f32_e32 v217, v123, v190
	v_add_f32_e32 v2, v2, v4
	v_add_f32_e32 v4, v5, v216
	;; [unrolled: 6-line block ×21, first 2 shown]
	v_mul_f32_e32 v4, v165, v186
	s_waitcnt vmcnt(4)
	v_fma_f32 v5, v162, v210, -v5
	v_mul_f32_e32 v238, v164, v186
	v_add_f32_e32 v2, v2, v8
	v_fmac_f32_e32 v237, v163, v210
	v_add_f32_e32 v3, v3, v236
	s_waitcnt lgkmcnt(0)
	v_mul_f32_e32 v8, v7, v187
	s_waitcnt vmcnt(3)
	v_fma_f32 v4, v164, v211, -v4
	v_add_f32_e32 v2, v2, v5
	v_mul_f32_e32 v239, v6, v187
	v_fmac_f32_e32 v238, v165, v211
	v_add_f32_e32 v3, v3, v237
	s_waitcnt vmcnt(2)
	v_fma_f32 v5, v6, v212, -v8
	v_add_f32_e32 v2, v2, v4
	v_fmac_f32_e32 v239, v7, v212
	v_add_f32_e32 v3, v3, v238
	v_add_f32_e32 v2, v2, v5
	;; [unrolled: 1-line block ×3, first 2 shown]
	s_waitcnt vmcnt(1)
	v_sub_f32_e32 v2, v213, v2
	s_waitcnt vmcnt(0)
	v_sub_f32_e32 v3, v214, v3
	buffer_store_dword v2, off, s[0:3], 0 offset:232
	buffer_store_dword v3, off, s[0:3], 0 offset:236
	v_cmpx_lt_u32_e32 28, v0
	s_cbranch_execz .LBB118_287
; %bb.286:
	s_clause 0x1
	buffer_load_dword v2, off, s[0:3], 0 offset:224
	buffer_load_dword v3, off, s[0:3], 0 offset:228
	buffer_store_dword v1, off, s[0:3], 0 offset:224
	buffer_store_dword v1, off, s[0:3], 0 offset:228
	s_waitcnt vmcnt(0)
	ds_write_b64 v9, v[2:3]
.LBB118_287:
	s_or_b32 exec_lo, exec_lo, s4
	s_waitcnt lgkmcnt(0)
	s_waitcnt_vscnt null, 0x0
	s_barrier
	buffer_gl0_inv
	s_clause 0x35
	buffer_load_dword v6, off, s[0:3], 0 offset:236
	buffer_load_dword v7, off, s[0:3], 0 offset:244
	;; [unrolled: 1-line block ×54, first 2 shown]
	ds_read2_b64 v[2:5], v1 offset0:85 offset1:86
	ds_read2_b64 v[122:125], v1 offset0:87 offset1:88
	;; [unrolled: 1-line block ×13, first 2 shown]
	s_mov_b32 s4, exec_lo
	s_waitcnt vmcnt(53) lgkmcnt(12)
	v_mul_f32_e32 v1, v2, v6
	v_mul_f32_e32 v6, v3, v6
	s_waitcnt vmcnt(52)
	v_mul_f32_e32 v219, v4, v7
	v_mul_f32_e32 v7, v5, v7
	s_waitcnt vmcnt(51) lgkmcnt(11)
	v_mul_f32_e32 v220, v122, v8
	s_waitcnt vmcnt(50)
	v_mul_f32_e32 v221, v124, v10
	s_waitcnt vmcnt(49) lgkmcnt(10)
	v_mul_f32_e32 v222, v126, v11
	s_waitcnt vmcnt(48)
	;; [unrolled: 4-line block ×11, first 2 shown]
	v_mul_f32_e32 v241, v164, v188
	s_waitcnt vmcnt(27)
	v_fma_f32 v2, v2, v191, -v6
	v_fmac_f32_e32 v1, v3, v191
	v_mul_f32_e32 v3, v123, v8
	s_waitcnt vmcnt(26)
	v_fma_f32 v4, v4, v192, -v7
	v_fmac_f32_e32 v219, v5, v192
	v_add_f32_e32 v2, 0, v2
	v_add_f32_e32 v1, 0, v1
	v_mul_f32_e32 v5, v125, v10
	s_waitcnt vmcnt(25)
	v_fma_f32 v3, v122, v193, -v3
	v_fmac_f32_e32 v220, v123, v193
	v_add_f32_e32 v2, v2, v4
	v_add_f32_e32 v1, v1, v219
	;; [unrolled: 6-line block ×22, first 2 shown]
	s_waitcnt lgkmcnt(0)
	v_mul_f32_e32 v5, v167, v189
	s_waitcnt vmcnt(4)
	v_fma_f32 v3, v164, v214, -v3
	v_mul_f32_e32 v242, v166, v189
	v_add_f32_e32 v2, v2, v4
	v_fmac_f32_e32 v241, v165, v214
	v_add_f32_e32 v1, v1, v240
	v_mul_f32_e32 v4, v169, v190
	s_waitcnt vmcnt(3)
	v_fma_f32 v5, v166, v215, -v5
	v_add_f32_e32 v2, v2, v3
	v_mul_f32_e32 v243, v168, v190
	v_fmac_f32_e32 v242, v167, v215
	v_add_f32_e32 v1, v1, v241
	s_waitcnt vmcnt(2)
	v_fma_f32 v3, v168, v216, -v4
	v_add_f32_e32 v2, v2, v5
	v_fmac_f32_e32 v243, v169, v216
	v_add_f32_e32 v1, v1, v242
	v_add_f32_e32 v2, v2, v3
	;; [unrolled: 1-line block ×3, first 2 shown]
	s_waitcnt vmcnt(1)
	v_sub_f32_e32 v2, v217, v2
	s_waitcnt vmcnt(0)
	v_sub_f32_e32 v1, v218, v1
	buffer_store_dword v2, off, s[0:3], 0 offset:224
	buffer_store_dword v1, off, s[0:3], 0 offset:228
	v_cmpx_lt_u32_e32 27, v0
	s_cbranch_execz .LBB118_289
; %bb.288:
	s_clause 0x1
	buffer_load_dword v1, off, s[0:3], 0 offset:216
	buffer_load_dword v2, off, s[0:3], 0 offset:220
	v_mov_b32_e32 v3, 0
	buffer_store_dword v3, off, s[0:3], 0 offset:216
	buffer_store_dword v3, off, s[0:3], 0 offset:220
	s_waitcnt vmcnt(0)
	ds_write_b64 v9, v[1:2]
.LBB118_289:
	s_or_b32 exec_lo, exec_lo, s4
	s_waitcnt lgkmcnt(0)
	s_waitcnt_vscnt null, 0x0
	s_barrier
	buffer_gl0_inv
	s_clause 0x37
	buffer_load_dword v8, off, s[0:3], 0 offset:228
	buffer_load_dword v10, off, s[0:3], 0 offset:236
	;; [unrolled: 1-line block ×56, first 2 shown]
	v_mov_b32_e32 v1, 0
	ds_read_b128 v[2:5], v1 offset:672
	ds_read_b128 v[122:125], v1 offset:688
	;; [unrolled: 1-line block ×13, first 2 shown]
	ds_read_b64 v[6:7], v1 offset:880
	s_mov_b32 s4, exec_lo
	s_waitcnt vmcnt(55) lgkmcnt(13)
	v_mul_f32_e32 v223, v2, v8
	v_mul_f32_e32 v8, v3, v8
	s_waitcnt vmcnt(54)
	v_mul_f32_e32 v224, v4, v10
	v_mul_f32_e32 v10, v5, v10
	s_waitcnt vmcnt(53) lgkmcnt(12)
	v_mul_f32_e32 v225, v122, v11
	s_waitcnt vmcnt(52)
	v_mul_f32_e32 v226, v124, v170
	s_waitcnt vmcnt(51) lgkmcnt(11)
	v_mul_f32_e32 v227, v126, v171
	s_waitcnt vmcnt(50)
	;; [unrolled: 4-line block ×12, first 2 shown]
	v_fma_f32 v2, v2, v194, -v8
	v_fmac_f32_e32 v223, v3, v194
	v_mul_f32_e32 v3, v123, v11
	s_waitcnt vmcnt(27)
	v_fma_f32 v4, v4, v195, -v10
	v_fmac_f32_e32 v224, v5, v195
	v_add_f32_e32 v2, 0, v2
	v_add_f32_e32 v5, 0, v223
	v_mul_f32_e32 v8, v125, v170
	s_waitcnt vmcnt(26)
	v_fma_f32 v3, v122, v196, -v3
	v_fmac_f32_e32 v225, v123, v196
	v_add_f32_e32 v2, v2, v4
	v_add_f32_e32 v4, v5, v224
	;; [unrolled: 6-line block ×23, first 2 shown]
	v_mul_f32_e32 v5, v169, v192
	s_waitcnt vmcnt(4)
	v_fma_f32 v8, v166, v218, -v8
	v_mul_f32_e32 v248, v168, v192
	v_add_f32_e32 v2, v2, v4
	v_fmac_f32_e32 v247, v167, v218
	v_add_f32_e32 v3, v3, v246
	s_waitcnt lgkmcnt(0)
	v_mul_f32_e32 v4, v7, v193
	s_waitcnt vmcnt(3)
	v_fma_f32 v5, v168, v219, -v5
	v_add_f32_e32 v2, v2, v8
	v_mul_f32_e32 v249, v6, v193
	v_fmac_f32_e32 v248, v169, v219
	v_add_f32_e32 v3, v3, v247
	s_waitcnt vmcnt(2)
	v_fma_f32 v4, v6, v220, -v4
	v_add_f32_e32 v2, v2, v5
	v_fmac_f32_e32 v249, v7, v220
	v_add_f32_e32 v3, v3, v248
	v_add_f32_e32 v2, v2, v4
	;; [unrolled: 1-line block ×3, first 2 shown]
	s_waitcnt vmcnt(1)
	v_sub_f32_e32 v2, v221, v2
	s_waitcnt vmcnt(0)
	v_sub_f32_e32 v3, v222, v3
	buffer_store_dword v2, off, s[0:3], 0 offset:216
	buffer_store_dword v3, off, s[0:3], 0 offset:220
	v_cmpx_lt_u32_e32 26, v0
	s_cbranch_execz .LBB118_291
; %bb.290:
	s_clause 0x1
	buffer_load_dword v2, off, s[0:3], 0 offset:208
	buffer_load_dword v3, off, s[0:3], 0 offset:212
	buffer_store_dword v1, off, s[0:3], 0 offset:208
	buffer_store_dword v1, off, s[0:3], 0 offset:212
	s_waitcnt vmcnt(0)
	ds_write_b64 v9, v[2:3]
.LBB118_291:
	s_or_b32 exec_lo, exec_lo, s4
	s_waitcnt lgkmcnt(0)
	s_waitcnt_vscnt null, 0x0
	s_barrier
	buffer_gl0_inv
	s_clause 0x39
	buffer_load_dword v6, off, s[0:3], 0 offset:220
	buffer_load_dword v7, off, s[0:3], 0 offset:228
	;; [unrolled: 1-line block ×58, first 2 shown]
	ds_read2_b64 v[2:5], v1 offset0:83 offset1:84
	ds_read2_b64 v[122:125], v1 offset0:85 offset1:86
	;; [unrolled: 1-line block ×14, first 2 shown]
	s_mov_b32 s4, exec_lo
	s_waitcnt vmcnt(57) lgkmcnt(13)
	v_mul_f32_e32 v1, v2, v6
	v_mul_f32_e32 v6, v3, v6
	s_waitcnt vmcnt(56)
	v_mul_f32_e32 v227, v4, v7
	v_mul_f32_e32 v7, v5, v7
	s_waitcnt vmcnt(55) lgkmcnt(12)
	v_mul_f32_e32 v228, v122, v8
	s_waitcnt vmcnt(54)
	v_mul_f32_e32 v229, v124, v10
	s_waitcnt vmcnt(53) lgkmcnt(11)
	v_mul_f32_e32 v230, v126, v11
	s_waitcnt vmcnt(52)
	;; [unrolled: 4-line block ×12, first 2 shown]
	v_mul_f32_e32 v251, v168, v194
	s_waitcnt vmcnt(29)
	v_fma_f32 v2, v2, v197, -v6
	v_fmac_f32_e32 v1, v3, v197
	v_mul_f32_e32 v3, v123, v8
	s_waitcnt vmcnt(28)
	v_fma_f32 v4, v4, v198, -v7
	v_fmac_f32_e32 v227, v5, v198
	v_add_f32_e32 v2, 0, v2
	v_add_f32_e32 v1, 0, v1
	v_mul_f32_e32 v5, v125, v10
	s_waitcnt vmcnt(27)
	v_fma_f32 v3, v122, v199, -v3
	v_fmac_f32_e32 v228, v123, v199
	v_add_f32_e32 v2, v2, v4
	v_add_f32_e32 v1, v1, v227
	;; [unrolled: 6-line block ×24, first 2 shown]
	s_waitcnt lgkmcnt(0)
	v_mul_f32_e32 v3, v171, v195
	s_waitcnt vmcnt(4)
	v_fma_f32 v4, v168, v222, -v4
	v_mul_f32_e32 v252, v170, v195
	v_add_f32_e32 v2, v2, v5
	v_fmac_f32_e32 v251, v169, v222
	v_add_f32_e32 v1, v1, v250
	v_mul_f32_e32 v5, v173, v196
	s_waitcnt vmcnt(3)
	v_fma_f32 v3, v170, v223, -v3
	v_add_f32_e32 v2, v2, v4
	v_mul_f32_e32 v253, v172, v196
	v_fmac_f32_e32 v252, v171, v223
	v_add_f32_e32 v1, v1, v251
	s_waitcnt vmcnt(2)
	v_fma_f32 v4, v172, v224, -v5
	v_add_f32_e32 v2, v2, v3
	v_fmac_f32_e32 v253, v173, v224
	v_add_f32_e32 v1, v1, v252
	v_add_f32_e32 v2, v2, v4
	;; [unrolled: 1-line block ×3, first 2 shown]
	s_waitcnt vmcnt(1)
	v_sub_f32_e32 v2, v225, v2
	s_waitcnt vmcnt(0)
	v_sub_f32_e32 v1, v226, v1
	buffer_store_dword v2, off, s[0:3], 0 offset:208
	buffer_store_dword v1, off, s[0:3], 0 offset:212
	v_cmpx_lt_u32_e32 25, v0
	s_cbranch_execz .LBB118_293
; %bb.292:
	s_clause 0x1
	buffer_load_dword v1, off, s[0:3], 0 offset:200
	buffer_load_dword v2, off, s[0:3], 0 offset:204
	v_mov_b32_e32 v3, 0
	buffer_store_dword v3, off, s[0:3], 0 offset:200
	buffer_store_dword v3, off, s[0:3], 0 offset:204
	s_waitcnt vmcnt(0)
	ds_write_b64 v9, v[1:2]
.LBB118_293:
	s_or_b32 exec_lo, exec_lo, s4
	s_waitcnt lgkmcnt(0)
	s_waitcnt_vscnt null, 0x0
	s_barrier
	buffer_gl0_inv
	s_clause 0x1b
	buffer_load_dword v2, off, s[0:3], 0 offset:212
	buffer_load_dword v4, off, s[0:3], 0 offset:220
	buffer_load_dword v6, off, s[0:3], 0 offset:228
	buffer_load_dword v3, off, s[0:3], 0 offset:224
	buffer_load_dword v5, off, s[0:3], 0 offset:216
	buffer_load_dword v8, off, s[0:3], 0 offset:208
	buffer_load_dword v7, off, s[0:3], 0 offset:236
	buffer_load_dword v10, off, s[0:3], 0 offset:256
	buffer_load_dword v122, off, s[0:3], 0 offset:248
	buffer_load_dword v123, off, s[0:3], 0 offset:240
	buffer_load_dword v128, off, s[0:3], 0 offset:232
	buffer_load_dword v127, off, s[0:3], 0 offset:244
	buffer_load_dword v126, off, s[0:3], 0 offset:252
	buffer_load_dword v125, off, s[0:3], 0 offset:260
	buffer_load_dword v124, off, s[0:3], 0 offset:268
	buffer_load_dword v129, off, s[0:3], 0 offset:288
	buffer_load_dword v131, off, s[0:3], 0 offset:280
	buffer_load_dword v133, off, s[0:3], 0 offset:272
	buffer_load_dword v140, off, s[0:3], 0 offset:264
	buffer_load_dword v137, off, s[0:3], 0 offset:276
	buffer_load_dword v135, off, s[0:3], 0 offset:284
	buffer_load_dword v134, off, s[0:3], 0 offset:292
	buffer_load_dword v132, off, s[0:3], 0 offset:300
	buffer_load_dword v130, off, s[0:3], 0 offset:320
	buffer_load_dword v138, off, s[0:3], 0 offset:312
	buffer_load_dword v142, off, s[0:3], 0 offset:304
	buffer_load_dword v144, off, s[0:3], 0 offset:296
	buffer_load_dword v143, off, s[0:3], 0 offset:308
	v_mov_b32_e32 v1, 0
	ds_read_b128 v[145:148], v1 offset:656
	ds_read_b128 v[149:152], v1 offset:672
	s_clause 0xa
	buffer_load_dword v141, off, s[0:3], 0 offset:316
	buffer_load_dword v139, off, s[0:3], 0 offset:324
	;; [unrolled: 1-line block ×11, first 2 shown]
	ds_read_b128 v[153:156], v1 offset:688
	ds_read_b128 v[157:160], v1 offset:704
	s_mov_b32 s4, exec_lo
	s_waitcnt vmcnt(38) lgkmcnt(3)
	v_mul_f32_e32 v168, v145, v2
	v_mul_f32_e32 v2, v146, v2
	s_waitcnt vmcnt(37)
	v_mul_f32_e32 v169, v147, v4
	v_mul_f32_e32 v4, v148, v4
	s_waitcnt vmcnt(36) lgkmcnt(2)
	v_mul_f32_e32 v170, v149, v6
	v_mul_f32_e32 v6, v150, v6
	s_waitcnt vmcnt(33)
	v_fmac_f32_e32 v168, v146, v8
	v_fma_f32 v8, v145, v8, -v2
	s_waitcnt vmcnt(32)
	v_mul_f32_e32 v171, v151, v7
	v_mul_f32_e32 v2, v152, v7
	v_fmac_f32_e32 v169, v148, v5
	v_fma_f32 v7, v147, v5, -v4
	v_fmac_f32_e32 v170, v150, v3
	v_fma_f32 v6, v149, v3, -v6
	s_waitcnt vmcnt(28)
	v_fmac_f32_e32 v171, v152, v128
	v_fma_f32 v128, v151, v128, -v2
	ds_read_b128 v[2:5], v1 offset:720
	ds_read_b128 v[145:148], v1 offset:736
	s_waitcnt vmcnt(27) lgkmcnt(3)
	v_mul_f32_e32 v149, v153, v127
	v_mul_f32_e32 v127, v154, v127
	s_waitcnt vmcnt(26)
	v_mul_f32_e32 v150, v155, v126
	v_mul_f32_e32 v126, v156, v126
	s_waitcnt vmcnt(24) lgkmcnt(2)
	v_mul_f32_e32 v152, v159, v124
	v_fmac_f32_e32 v149, v154, v123
	v_fma_f32 v127, v153, v123, -v127
	v_mul_f32_e32 v123, v160, v124
	v_mul_f32_e32 v151, v157, v125
	;; [unrolled: 1-line block ×3, first 2 shown]
	v_fmac_f32_e32 v150, v156, v122
	v_fma_f32 v126, v155, v122, -v126
	s_waitcnt vmcnt(20)
	v_fmac_f32_e32 v152, v160, v140
	v_fma_f32 v140, v159, v140, -v123
	s_clause 0x3
	buffer_load_dword v153, off, s[0:3], 0 offset:364
	buffer_load_dword v154, off, s[0:3], 0 offset:372
	;; [unrolled: 1-line block ×4, first 2 shown]
	v_fmac_f32_e32 v151, v158, v10
	v_fma_f32 v10, v157, v10, -v125
	s_clause 0x3
	buffer_load_dword v157, off, s[0:3], 0 offset:396
	buffer_load_dword v158, off, s[0:3], 0 offset:404
	;; [unrolled: 1-line block ×4, first 2 shown]
	s_waitcnt vmcnt(27) lgkmcnt(1)
	v_mul_f32_e32 v172, v2, v137
	v_mul_f32_e32 v122, v3, v137
	s_waitcnt vmcnt(26)
	v_mul_f32_e32 v137, v4, v135
	v_mul_f32_e32 v123, v5, v135
	s_waitcnt vmcnt(25) lgkmcnt(0)
	v_mul_f32_e32 v135, v145, v134
	v_fmac_f32_e32 v172, v3, v133
	v_fma_f32 v133, v2, v133, -v122
	v_mul_f32_e32 v122, v146, v134
	v_fmac_f32_e32 v137, v5, v131
	v_fma_f32 v131, v4, v131, -v123
	ds_read_b128 v[2:5], v1 offset:752
	s_waitcnt vmcnt(24)
	v_mul_f32_e32 v134, v147, v132
	v_mul_f32_e32 v123, v148, v132
	v_fma_f32 v145, v145, v129, -v122
	v_add_f32_e32 v122, 0, v168
	buffer_load_dword v173, off, s[0:3], 0 offset:428
	v_fmac_f32_e32 v135, v146, v129
	s_waitcnt vmcnt(21)
	v_fmac_f32_e32 v134, v148, v144
	v_fma_f32 v144, v147, v144, -v123
	s_clause 0x4
	buffer_load_dword v146, off, s[0:3], 0 offset:384
	buffer_load_dword v147, off, s[0:3], 0 offset:376
	;; [unrolled: 1-line block ×5, first 2 shown]
	v_add_f32_e32 v8, 0, v8
	v_add_f32_e32 v122, v122, v169
	;; [unrolled: 1-line block ×4, first 2 shown]
	ds_read_b128 v[122:125], v1 offset:768
	v_add_f32_e32 v6, v7, v6
	s_waitcnt vmcnt(25) lgkmcnt(1)
	v_mul_f32_e32 v7, v2, v143
	v_add_f32_e32 v8, v8, v171
	v_mul_f32_e32 v129, v3, v143
	v_fmac_f32_e32 v7, v3, v142
	v_add_f32_e32 v3, v8, v149
	s_clause 0x3
	buffer_load_dword v8, off, s[0:3], 0 offset:416
	buffer_load_dword v143, off, s[0:3], 0 offset:408
	;; [unrolled: 1-line block ×4, first 2 shown]
	v_fma_f32 v142, v2, v142, -v129
	v_add_f32_e32 v2, v6, v128
	v_add_f32_e32 v3, v3, v150
	s_clause 0x2
	buffer_load_dword v150, off, s[0:3], 0 offset:432
	buffer_load_dword v170, off, s[0:3], 0 offset:424
	;; [unrolled: 1-line block ×3, first 2 shown]
	v_add_f32_e32 v2, v2, v127
	v_add_f32_e32 v6, v3, v151
	s_waitcnt vmcnt(31)
	v_mul_f32_e32 v151, v4, v141
	v_mul_f32_e32 v3, v5, v141
	v_add_f32_e32 v2, v2, v126
	s_waitcnt vmcnt(30) lgkmcnt(0)
	v_mul_f32_e32 v132, v123, v139
	v_add_f32_e32 v6, v6, v152
	v_fmac_f32_e32 v151, v5, v138
	v_fma_f32 v138, v4, v138, -v3
	v_add_f32_e32 v10, v2, v10
	ds_read_b128 v[2:5], v1 offset:784
	ds_read_b128 v[126:129], v1 offset:800
	v_add_f32_e32 v6, v6, v172
	v_fma_f32 v141, v122, v130, -v132
	v_add_f32_e32 v10, v10, v140
	v_mul_f32_e32 v140, v122, v139
	s_waitcnt vmcnt(29)
	v_mul_f32_e32 v139, v124, v136
	v_add_f32_e32 v6, v6, v137
	v_add_f32_e32 v10, v10, v133
	v_mul_f32_e32 v133, v125, v136
	v_fmac_f32_e32 v140, v123, v130
	v_add_f32_e32 v6, v6, v135
	s_waitcnt vmcnt(22)
	v_fmac_f32_e32 v139, v125, v166
	v_add_f32_e32 v10, v10, v131
	v_fma_f32 v152, v124, v166, -v133
	ds_read_b128 v[122:125], v1 offset:816
	ds_read_b128 v[130:133], v1 offset:832
	v_add_f32_e32 v10, v10, v145
	s_waitcnt lgkmcnt(3)
	v_mul_f32_e32 v145, v2, v161
	v_mul_f32_e32 v136, v3, v161
	;; [unrolled: 1-line block ×3, first 2 shown]
	v_add_f32_e32 v10, v10, v144
	v_fmac_f32_e32 v145, v3, v11
	v_fma_f32 v11, v2, v11, -v136
	v_add_f32_e32 v2, v6, v134
	v_mul_f32_e32 v144, v5, v163
	v_add_f32_e32 v6, v10, v142
	v_fmac_f32_e32 v161, v5, v162
	ds_read_b128 v[134:137], v1 offset:848
	v_add_f32_e32 v142, v2, v7
	v_fma_f32 v10, v4, v162, -v144
	v_add_f32_e32 v138, v6, v138
	s_waitcnt lgkmcnt(3)
	v_mul_f32_e32 v144, v126, v164
	ds_read_b128 v[2:5], v1 offset:864
	v_add_f32_e32 v142, v142, v151
	ds_read_b64 v[6:7], v1 offset:880
	v_add_f32_e32 v138, v138, v141
	v_mul_f32_e32 v141, v127, v164
	v_fmac_f32_e32 v144, v127, v165
	v_add_f32_e32 v140, v142, v140
	v_add_f32_e32 v138, v138, v152
	v_fma_f32 v126, v126, v165, -v141
	v_add_f32_e32 v139, v140, v139
	v_add_f32_e32 v11, v138, v11
	;; [unrolled: 1-line block ×7, first 2 shown]
	s_waitcnt vmcnt(20)
	v_mul_f32_e32 v151, v128, v153
	v_mul_f32_e32 v153, v129, v153
	s_waitcnt vmcnt(19) lgkmcnt(4)
	v_mul_f32_e32 v145, v123, v154
	v_mul_f32_e32 v142, v122, v154
	s_waitcnt vmcnt(18)
	v_mul_f32_e32 v152, v124, v155
	s_waitcnt vmcnt(17) lgkmcnt(3)
	v_mul_f32_e32 v162, v130, v156
	s_waitcnt vmcnt(16)
	v_mul_f32_e32 v140, v132, v157
	s_waitcnt vmcnt(15) lgkmcnt(2)
	;; [unrolled: 4-line block ×3, first 2 shown]
	v_mul_f32_e32 v141, v2, v160
	s_waitcnt vmcnt(11)
	v_fmac_f32_e32 v162, v131, v146
	s_waitcnt vmcnt(10)
	v_fmac_f32_e32 v152, v125, v147
	s_waitcnt vmcnt(9)
	v_fma_f32 v122, v122, v148, -v145
	s_waitcnt vmcnt(8)
	v_fma_f32 v128, v128, v168, -v153
	v_fmac_f32_e32 v151, v129, v168
	v_mul_f32_e32 v129, v125, v155
	v_fmac_f32_e32 v142, v123, v148
	v_mul_f32_e32 v11, v4, v173
	v_add_f32_e32 v10, v10, v128
	v_add_f32_e32 v123, v126, v151
	v_mul_f32_e32 v126, v131, v156
	v_fma_f32 v124, v124, v147, -v129
	s_waitcnt vmcnt(7) lgkmcnt(0)
	v_mul_f32_e32 v154, v6, v174
	v_add_f32_e32 v10, v10, v122
	v_add_f32_e32 v122, v123, v142
	v_mul_f32_e32 v123, v133, v157
	v_fma_f32 v125, v130, v146, -v126
	v_add_f32_e32 v10, v10, v124
	v_add_f32_e32 v122, v122, v152
	v_mul_f32_e32 v124, v135, v158
	s_waitcnt vmcnt(5)
	v_fmac_f32_e32 v127, v137, v143
	s_waitcnt vmcnt(4)
	v_fmac_f32_e32 v138, v135, v149
	s_waitcnt vmcnt(3)
	v_fma_f32 v123, v132, v169, -v123
	v_add_f32_e32 v10, v10, v125
	v_fmac_f32_e32 v140, v133, v169
	v_add_f32_e32 v122, v122, v162
	v_mul_f32_e32 v125, v137, v159
	v_fma_f32 v124, v134, v149, -v124
	v_add_f32_e32 v10, v10, v123
	v_mul_f32_e32 v123, v3, v160
	v_add_f32_e32 v122, v122, v140
	v_fma_f32 v125, v136, v143, -v125
	v_fmac_f32_e32 v141, v3, v8
	v_add_f32_e32 v10, v10, v124
	v_mul_f32_e32 v124, v5, v173
	v_add_f32_e32 v122, v122, v138
	v_fma_f32 v2, v2, v8, -v123
	s_waitcnt vmcnt(1)
	v_fmac_f32_e32 v11, v5, v170
	v_add_f32_e32 v3, v10, v125
	v_mul_f32_e32 v10, v7, v174
	v_add_f32_e32 v8, v122, v127
	v_fma_f32 v4, v4, v170, -v124
	v_fmac_f32_e32 v154, v7, v150
	v_add_f32_e32 v2, v3, v2
	v_fma_f32 v5, v6, v150, -v10
	v_add_f32_e32 v3, v8, v141
	v_add_f32_e32 v2, v2, v4
	;; [unrolled: 1-line block ×5, first 2 shown]
	s_waitcnt vmcnt(0)
	v_sub_f32_e32 v2, v171, v2
	v_sub_f32_e32 v3, v167, v3
	buffer_store_dword v2, off, s[0:3], 0 offset:200
	buffer_store_dword v3, off, s[0:3], 0 offset:204
	v_cmpx_lt_u32_e32 24, v0
	s_cbranch_execz .LBB118_295
; %bb.294:
	s_clause 0x1
	buffer_load_dword v2, off, s[0:3], 0 offset:192
	buffer_load_dword v3, off, s[0:3], 0 offset:196
	buffer_store_dword v1, off, s[0:3], 0 offset:192
	buffer_store_dword v1, off, s[0:3], 0 offset:196
	s_waitcnt vmcnt(0)
	ds_write_b64 v9, v[2:3]
.LBB118_295:
	s_or_b32 exec_lo, exec_lo, s4
	s_waitcnt lgkmcnt(0)
	s_waitcnt_vscnt null, 0x0
	s_barrier
	buffer_gl0_inv
	s_clause 0x1b
	buffer_load_dword v3, off, s[0:3], 0 offset:204
	buffer_load_dword v4, off, s[0:3], 0 offset:212
	;; [unrolled: 1-line block ×28, first 2 shown]
	ds_read2_b64 v[143:146], v1 offset0:81 offset1:82
	ds_read2_b64 v[147:150], v1 offset0:83 offset1:84
	s_clause 0x1
	buffer_load_dword v139, off, s[0:3], 0 offset:308
	buffer_load_dword v136, off, s[0:3], 0 offset:316
	ds_read2_b64 v[151:154], v1 offset0:85 offset1:86
	ds_read2_b64 v[155:158], v1 offset0:87 offset1:88
	;; [unrolled: 1-line block ×3, first 2 shown]
	buffer_load_dword v163, off, s[0:3], 0 offset:196
	s_mov_b32 s4, exec_lo
	s_waitcnt vmcnt(30) lgkmcnt(4)
	v_mul_f32_e32 v164, v143, v3
	s_waitcnt vmcnt(29)
	v_mul_f32_e32 v165, v145, v4
	v_mul_f32_e32 v3, v144, v3
	;; [unrolled: 1-line block ×3, first 2 shown]
	s_waitcnt vmcnt(28) lgkmcnt(3)
	v_mul_f32_e32 v166, v147, v5
	v_mul_f32_e32 v5, v148, v5
	s_waitcnt vmcnt(24)
	v_fmac_f32_e32 v164, v144, v8
	v_fmac_f32_e32 v165, v146, v7
	v_fma_f32 v8, v143, v8, -v3
	v_fma_f32 v7, v145, v7, -v4
	s_clause 0x7
	buffer_load_dword v143, off, s[0:3], 0 offset:324
	buffer_load_dword v144, off, s[0:3], 0 offset:328
	;; [unrolled: 1-line block ×8, first 2 shown]
	v_fmac_f32_e32 v166, v148, v2
	v_fma_f32 v147, v147, v2, -v5
	ds_read2_b64 v[2:5], v1 offset0:91 offset1:92
	v_mul_f32_e32 v167, v149, v6
	v_mul_f32_e32 v6, v150, v6
	s_waitcnt vmcnt(26) lgkmcnt(3)
	v_mul_f32_e32 v148, v153, v126
	v_mul_f32_e32 v126, v154, v126
	v_add_f32_e32 v8, 0, v8
	v_fmac_f32_e32 v167, v150, v127
	v_fma_f32 v6, v149, v127, -v6
	v_mul_f32_e32 v127, v151, v125
	v_mul_f32_e32 v125, v152, v125
	s_waitcnt vmcnt(25) lgkmcnt(2)
	v_mul_f32_e32 v149, v155, v124
	v_mul_f32_e32 v124, v156, v124
	s_waitcnt vmcnt(24)
	v_mul_f32_e32 v150, v157, v123
	v_mul_f32_e32 v123, v158, v123
	v_fmac_f32_e32 v127, v152, v122
	v_fma_f32 v122, v151, v122, -v125
	v_fmac_f32_e32 v148, v154, v11
	v_fma_f32 v11, v153, v11, -v126
	s_waitcnt vmcnt(23) lgkmcnt(1)
	v_mul_f32_e32 v126, v159, v128
	s_waitcnt vmcnt(22)
	v_mul_f32_e32 v151, v161, v131
	v_mul_f32_e32 v125, v160, v128
	;; [unrolled: 1-line block ×3, first 2 shown]
	v_fmac_f32_e32 v149, v156, v10
	v_fma_f32 v10, v155, v10, -v124
	s_waitcnt vmcnt(18)
	v_fmac_f32_e32 v150, v158, v138
	v_fma_f32 v131, v157, v138, -v123
	s_clause 0x7
	buffer_load_dword v152, off, s[0:3], 0 offset:356
	buffer_load_dword v153, off, s[0:3], 0 offset:360
	;; [unrolled: 1-line block ×8, first 2 shown]
	s_waitcnt vmcnt(25) lgkmcnt(0)
	v_mul_f32_e32 v123, v3, v133
	v_add_f32_e32 v124, 0, v164
	v_mul_f32_e32 v138, v2, v133
	s_waitcnt vmcnt(24)
	v_mul_f32_e32 v164, v4, v132
	v_fmac_f32_e32 v126, v160, v135
	v_fma_f32 v133, v2, v129, -v123
	v_mul_f32_e32 v2, v5, v132
	v_add_f32_e32 v123, v124, v165
	v_fmac_f32_e32 v151, v162, v134
	v_fma_f32 v135, v159, v135, -v125
	v_fma_f32 v134, v161, v134, -v128
	s_clause 0x5
	buffer_load_dword v159, off, s[0:3], 0 offset:388
	buffer_load_dword v160, off, s[0:3], 0 offset:396
	;; [unrolled: 1-line block ×6, first 2 shown]
	v_fmac_f32_e32 v138, v3, v129
	s_waitcnt vmcnt(26)
	v_fmac_f32_e32 v164, v5, v142
	v_fma_f32 v142, v4, v142, -v2
	ds_read2_b64 v[2:5], v1 offset0:93 offset1:94
	v_add_f32_e32 v7, v8, v7
	v_add_f32_e32 v8, v123, v166
	buffer_load_dword v165, off, s[0:3], 0 offset:436
	v_add_f32_e32 v7, v7, v147
	v_add_f32_e32 v8, v8, v167
	s_clause 0x3
	buffer_load_dword v147, off, s[0:3], 0 offset:408
	buffer_load_dword v166, off, s[0:3], 0 offset:400
	;; [unrolled: 1-line block ×4, first 2 shown]
	v_add_f32_e32 v6, v7, v6
	v_add_f32_e32 v7, v8, v127
	;; [unrolled: 1-line block ×4, first 2 shown]
	ds_read2_b64 v[122:125], v1 offset0:95 offset1:96
	s_waitcnt vmcnt(30) lgkmcnt(1)
	v_mul_f32_e32 v8, v2, v141
	v_mul_f32_e32 v127, v3, v141
	s_waitcnt vmcnt(29)
	v_mul_f32_e32 v141, v4, v139
	v_fmac_f32_e32 v8, v3, v140
	v_fma_f32 v140, v2, v140, -v127
	v_add_f32_e32 v2, v6, v11
	v_add_f32_e32 v3, v7, v149
	s_clause 0x2
	buffer_load_dword v6, off, s[0:3], 0 offset:432
	buffer_load_dword v7, off, s[0:3], 0 offset:424
	;; [unrolled: 1-line block ×3, first 2 shown]
	v_mul_f32_e32 v127, v5, v139
	v_fmac_f32_e32 v141, v5, v137
	v_add_f32_e32 v2, v2, v10
	buffer_load_dword v10, off, s[0:3], 0 offset:192
	v_add_f32_e32 v3, v3, v150
	v_fma_f32 v139, v4, v137, -v127
	v_add_f32_e32 v128, v2, v131
	s_waitcnt vmcnt(32) lgkmcnt(0)
	v_mul_f32_e32 v148, v122, v136
	v_add_f32_e32 v131, v3, v126
	ds_read2_b64 v[2:5], v1 offset0:97 offset1:98
	v_add_f32_e32 v132, v128, v135
	ds_read2_b64 v[126:129], v1 offset0:99 offset1:100
	v_add_f32_e32 v131, v131, v151
	v_mul_f32_e32 v135, v123, v136
	v_fmac_f32_e32 v148, v123, v130
	v_add_f32_e32 v132, v132, v134
	s_waitcnt vmcnt(30)
	v_mul_f32_e32 v134, v125, v143
	v_mul_f32_e32 v149, v124, v143
	v_fma_f32 v143, v122, v130, -v135
	v_add_f32_e32 v135, v131, v138
	s_waitcnt vmcnt(28) lgkmcnt(1)
	v_mul_f32_e32 v151, v2, v145
	v_mul_f32_e32 v136, v3, v145
	s_waitcnt vmcnt(27)
	v_mul_f32_e32 v137, v5, v146
	s_waitcnt vmcnt(23)
	v_fma_f32 v150, v124, v171, -v134
	v_add_f32_e32 v134, v132, v133
	v_add_f32_e32 v135, v135, v164
	s_waitcnt lgkmcnt(0)
	v_mul_f32_e32 v138, v127, v168
	v_fmac_f32_e32 v149, v125, v171
	ds_read2_b64 v[122:125], v1 offset0:101 offset1:102
	ds_read2_b64 v[130:133], v1 offset0:103 offset1:104
	v_add_f32_e32 v134, v134, v142
	v_add_f32_e32 v8, v135, v8
	v_mul_f32_e32 v142, v4, v146
	v_mul_f32_e32 v145, v126, v168
	v_fmac_f32_e32 v151, v3, v144
	v_add_f32_e32 v140, v134, v140
	v_add_f32_e32 v8, v8, v141
	v_fmac_f32_e32 v142, v5, v170
	v_fma_f32 v144, v2, v144, -v136
	v_fma_f32 v146, v4, v170, -v137
	v_add_f32_e32 v164, v140, v139
	ds_read2_b64 v[2:5], v1 offset0:105 offset1:106
	ds_read2_b64 v[134:137], v1 offset0:107 offset1:108
	v_fma_f32 v126, v126, v169, -v138
	ds_read2_b64 v[138:141], v1 offset0:109 offset1:110
	v_add_f32_e32 v8, v8, v148
	v_add_f32_e32 v1, v164, v143
	s_waitcnt vmcnt(22)
	v_mul_f32_e32 v143, v129, v152
	v_fmac_f32_e32 v145, v127, v169
	v_mul_f32_e32 v127, v128, v152
	v_add_f32_e32 v8, v8, v149
	v_add_f32_e32 v1, v1, v150
	s_waitcnt vmcnt(20) lgkmcnt(4)
	v_mul_f32_e32 v150, v123, v154
	v_mul_f32_e32 v148, v122, v154
	s_waitcnt vmcnt(15)
	v_fma_f32 v128, v128, v172, -v143
	v_add_f32_e32 v8, v8, v151
	v_add_f32_e32 v1, v1, v144
	v_fmac_f32_e32 v127, v129, v172
	v_fma_f32 v122, v122, v153, -v150
	v_mul_f32_e32 v149, v124, v155
	v_add_f32_e32 v8, v8, v142
	v_add_f32_e32 v1, v1, v146
	v_mul_f32_e32 v142, v125, v155
	v_fmac_f32_e32 v148, v123, v153
	s_waitcnt lgkmcnt(3)
	v_mul_f32_e32 v123, v131, v156
	v_add_f32_e32 v8, v8, v145
	v_add_f32_e32 v1, v1, v126
	v_fma_f32 v124, v124, v158, -v142
	v_mul_f32_e32 v129, v130, v156
	v_fmac_f32_e32 v149, v125, v158
	v_add_f32_e32 v8, v8, v127
	v_add_f32_e32 v1, v1, v128
	v_fma_f32 v123, v130, v157, -v123
	s_waitcnt vmcnt(14)
	v_mul_f32_e32 v143, v132, v159
	v_fmac_f32_e32 v129, v131, v157
	v_add_f32_e32 v8, v8, v148
	v_add_f32_e32 v1, v1, v122
	v_mul_f32_e32 v122, v133, v159
	s_waitcnt vmcnt(13) lgkmcnt(2)
	v_mul_f32_e32 v144, v2, v160
	s_waitcnt vmcnt(4)
	v_fmac_f32_e32 v143, v133, v175
	v_add_f32_e32 v8, v8, v149
	v_add_f32_e32 v1, v1, v124
	v_mul_f32_e32 v124, v3, v160
	v_fma_f32 v122, v132, v175, -v122
	v_mul_f32_e32 v151, v4, v161
	v_add_f32_e32 v8, v8, v129
	v_add_f32_e32 v1, v1, v123
	v_mul_f32_e32 v123, v5, v161
	v_fma_f32 v2, v2, v167, -v124
	v_fmac_f32_e32 v144, v3, v167
	v_add_f32_e32 v3, v8, v143
	v_add_f32_e32 v1, v1, v122
	s_waitcnt lgkmcnt(1)
	v_mul_f32_e32 v8, v135, v162
	v_fma_f32 v4, v4, v166, -v123
	v_mul_f32_e32 v152, v134, v162
	v_fmac_f32_e32 v151, v5, v166
	v_add_f32_e32 v1, v1, v2
	v_add_f32_e32 v2, v3, v144
	v_mul_f32_e32 v3, v137, v173
	v_fma_f32 v5, v134, v147, -v8
	v_mul_f32_e32 v146, v136, v173
	v_add_f32_e32 v1, v1, v4
	v_fmac_f32_e32 v152, v135, v147
	v_add_f32_e32 v2, v2, v151
	s_waitcnt lgkmcnt(0)
	v_mul_f32_e32 v4, v139, v174
	s_waitcnt vmcnt(1)
	v_fma_f32 v3, v136, v11, -v3
	v_add_f32_e32 v1, v1, v5
	v_mul_f32_e32 v154, v138, v174
	v_fmac_f32_e32 v146, v137, v11
	v_add_f32_e32 v2, v2, v152
	v_mul_f32_e32 v5, v141, v165
	v_fma_f32 v4, v138, v7, -v4
	v_add_f32_e32 v1, v1, v3
	v_mul_f32_e32 v126, v140, v165
	v_fmac_f32_e32 v154, v139, v7
	v_add_f32_e32 v2, v2, v146
	v_fma_f32 v3, v140, v6, -v5
	v_add_f32_e32 v1, v1, v4
	v_fmac_f32_e32 v126, v141, v6
	v_add_f32_e32 v2, v2, v154
	v_add_f32_e32 v1, v1, v3
	;; [unrolled: 1-line block ×3, first 2 shown]
	s_waitcnt vmcnt(0)
	v_sub_f32_e32 v1, v10, v1
	v_sub_f32_e32 v2, v163, v2
	buffer_store_dword v1, off, s[0:3], 0 offset:192
	buffer_store_dword v2, off, s[0:3], 0 offset:196
	v_cmpx_lt_u32_e32 23, v0
	s_cbranch_execz .LBB118_297
; %bb.296:
	s_clause 0x1
	buffer_load_dword v1, off, s[0:3], 0 offset:184
	buffer_load_dword v2, off, s[0:3], 0 offset:188
	v_mov_b32_e32 v3, 0
	buffer_store_dword v3, off, s[0:3], 0 offset:184
	buffer_store_dword v3, off, s[0:3], 0 offset:188
	s_waitcnt vmcnt(0)
	ds_write_b64 v9, v[1:2]
.LBB118_297:
	s_or_b32 exec_lo, exec_lo, s4
	s_waitcnt lgkmcnt(0)
	s_waitcnt_vscnt null, 0x0
	s_barrier
	buffer_gl0_inv
	s_clause 0x23
	buffer_load_dword v3, off, s[0:3], 0 offset:196
	buffer_load_dword v4, off, s[0:3], 0 offset:204
	;; [unrolled: 1-line block ×36, first 2 shown]
	v_mov_b32_e32 v1, 0
	ds_read_b128 v[144:147], v1 offset:640
	ds_read_b128 v[148:151], v1 offset:656
	ds_read_b128 v[152:155], v1 offset:672
	s_clause 0x3
	buffer_load_dword v165, off, s[0:3], 0 offset:324
	buffer_load_dword v166, off, s[0:3], 0 offset:332
	;; [unrolled: 1-line block ×4, first 2 shown]
	ds_read_b128 v[156:159], v1 offset:688
	s_mov_b32 s4, exec_lo
	s_waitcnt vmcnt(39) lgkmcnt(3)
	v_mul_f32_e32 v169, v144, v3
	v_mul_f32_e32 v3, v145, v3
	s_waitcnt vmcnt(38)
	v_mul_f32_e32 v170, v146, v4
	v_mul_f32_e32 v4, v147, v4
	s_waitcnt vmcnt(35)
	v_fmac_f32_e32 v169, v145, v10
	v_fma_f32 v10, v144, v10, -v3
	s_waitcnt vmcnt(34) lgkmcnt(2)
	v_mul_f32_e32 v171, v148, v8
	v_mul_f32_e32 v3, v149, v8
	v_fmac_f32_e32 v170, v147, v5
	v_fma_f32 v8, v146, v5, -v4
	ds_read_b128 v[144:147], v1 offset:704
	s_waitcnt vmcnt(33)
	v_mul_f32_e32 v172, v150, v6
	v_mul_f32_e32 v4, v151, v6
	v_fmac_f32_e32 v171, v149, v2
	v_fma_f32 v6, v148, v2, -v3
	s_waitcnt vmcnt(32) lgkmcnt(2)
	v_mul_f32_e32 v173, v152, v7
	s_waitcnt vmcnt(28)
	v_fmac_f32_e32 v172, v151, v127
	v_fma_f32 v127, v150, v127, -v4
	ds_read_b128 v[2:5], v1 offset:720
	v_mul_f32_e32 v7, v153, v7
	s_waitcnt vmcnt(27)
	v_mul_f32_e32 v174, v154, v126
	v_mul_f32_e32 v126, v155, v126
	v_fmac_f32_e32 v173, v153, v125
	s_waitcnt vmcnt(25) lgkmcnt(2)
	v_mul_f32_e32 v153, v158, v124
	v_fma_f32 v7, v152, v125, -v7
	v_mul_f32_e32 v152, v156, v123
	v_fmac_f32_e32 v174, v155, v122
	v_fma_f32 v126, v154, v122, -v126
	v_mul_f32_e32 v122, v157, v123
	v_mul_f32_e32 v123, v159, v124
	s_waitcnt vmcnt(19) lgkmcnt(1)
	v_mul_f32_e32 v155, v146, v134
	v_mul_f32_e32 v134, v147, v134
	v_mul_f32_e32 v154, v144, v128
	v_mul_f32_e32 v128, v145, v128
	v_fmac_f32_e32 v152, v157, v11
	v_fmac_f32_e32 v153, v159, v135
	v_fma_f32 v11, v156, v11, -v122
	v_fma_f32 v135, v158, v135, -v123
	ds_read_b128 v[122:125], v1 offset:736
	ds_read_b128 v[148:151], v1 offset:752
	v_fmac_f32_e32 v155, v147, v130
	v_fma_f32 v130, v146, v130, -v134
	s_waitcnt vmcnt(17) lgkmcnt(2)
	v_mul_f32_e32 v134, v4, v131
	v_mul_f32_e32 v131, v5, v131
	v_fmac_f32_e32 v154, v145, v132
	v_fma_f32 v128, v144, v132, -v128
	v_mul_f32_e32 v132, v2, v133
	s_waitcnt vmcnt(13)
	v_fmac_f32_e32 v134, v5, v143
	v_fma_f32 v131, v4, v143, -v131
	s_clause 0x6
	buffer_load_dword v143, off, s[0:3], 0 offset:344
	buffer_load_dword v144, off, s[0:3], 0 offset:356
	;; [unrolled: 1-line block ×7, first 2 shown]
	v_mul_f32_e32 v133, v3, v133
	v_fmac_f32_e32 v132, v3, v129
	v_fma_f32 v129, v2, v129, -v133
	s_waitcnt vmcnt(19) lgkmcnt(1)
	v_mul_f32_e32 v158, v122, v142
	v_mul_f32_e32 v2, v123, v142
	s_waitcnt vmcnt(18)
	v_mul_f32_e32 v142, v124, v141
	v_mul_f32_e32 v3, v125, v141
	s_waitcnt vmcnt(17) lgkmcnt(0)
	v_mul_f32_e32 v141, v148, v139
	v_fmac_f32_e32 v158, v123, v138
	v_fma_f32 v138, v122, v138, -v2
	s_waitcnt vmcnt(16)
	v_mul_f32_e32 v2, v151, v140
	v_mul_f32_e32 v4, v149, v139
	;; [unrolled: 1-line block ×3, first 2 shown]
	v_fmac_f32_e32 v141, v149, v136
	s_clause 0x3
	buffer_load_dword v139, off, s[0:3], 0 offset:380
	buffer_load_dword v159, off, s[0:3], 0 offset:388
	buffer_load_dword v175, off, s[0:3], 0 offset:396
	buffer_load_dword v176, off, s[0:3], 0 offset:404
	s_waitcnt vmcnt(15)
	v_fma_f32 v149, v150, v164, -v2
	v_add_f32_e32 v2, 0, v169
	v_fma_f32 v136, v148, v136, -v4
	s_clause 0x1
	buffer_load_dword v140, off, s[0:3], 0 offset:412
	buffer_load_dword v148, off, s[0:3], 0 offset:420
	v_fmac_f32_e32 v177, v151, v164
	s_clause 0x1
	buffer_load_dword v150, off, s[0:3], 0 offset:428
	buffer_load_dword v151, off, s[0:3], 0 offset:436
	v_add_f32_e32 v2, v2, v170
	s_clause 0x3
	buffer_load_dword v164, off, s[0:3], 0 offset:400
	buffer_load_dword v169, off, s[0:3], 0 offset:392
	;; [unrolled: 1-line block ×4, first 2 shown]
	v_fmac_f32_e32 v142, v125, v137
	v_fma_f32 v137, v124, v137, -v3
	v_add_f32_e32 v3, 0, v10
	v_add_f32_e32 v2, v2, v171
	v_add_f32_e32 v3, v3, v8
	v_add_f32_e32 v2, v2, v172
	s_clause 0x4
	buffer_load_dword v8, off, s[0:3], 0 offset:432
	buffer_load_dword v10, off, s[0:3], 0 offset:424
	buffer_load_dword v171, off, s[0:3], 0 offset:416
	buffer_load_dword v172, off, s[0:3], 0 offset:408
	buffer_load_dword v179, off, s[0:3], 0 offset:184
	ds_read_b128 v[122:125], v1 offset:784
	v_add_f32_e32 v3, v3, v6
	v_add_f32_e32 v2, v2, v173
	;; [unrolled: 1-line block ×7, first 2 shown]
	ds_read_b128 v[2:5], v1 offset:768
	v_add_f32_e32 v6, v6, v153
	v_add_f32_e32 v7, v7, v11
	;; [unrolled: 1-line block ×5, first 2 shown]
	s_waitcnt vmcnt(25) lgkmcnt(1)
	v_mul_f32_e32 v155, v124, v167
	v_add_f32_e32 v7, v7, v128
	v_add_f32_e32 v6, v6, v132
	;; [unrolled: 1-line block ×3, first 2 shown]
	s_waitcnt lgkmcnt(0)
	v_mul_f32_e32 v11, v2, v165
	v_mul_f32_e32 v126, v3, v165
	v_add_f32_e32 v6, v6, v134
	v_mul_f32_e32 v152, v4, v166
	v_mul_f32_e32 v127, v5, v166
	v_fmac_f32_e32 v11, v3, v163
	v_add_f32_e32 v3, v7, v129
	v_add_f32_e32 v6, v6, v158
	v_mul_f32_e32 v158, v125, v167
	v_fma_f32 v153, v2, v163, -v126
	v_fmac_f32_e32 v152, v5, v162
	v_add_f32_e32 v7, v3, v131
	v_add_f32_e32 v6, v6, v142
	v_fma_f32 v154, v4, v162, -v127
	ds_read_b128 v[2:5], v1 offset:800
	ds_read_b128 v[126:129], v1 offset:816
	v_mul_f32_e32 v134, v123, v161
	v_add_f32_e32 v7, v7, v138
	v_add_f32_e32 v141, v6, v141
	v_mul_f32_e32 v138, v122, v161
	ds_read_b128 v[130:133], v1 offset:832
	v_add_f32_e32 v7, v7, v137
	v_add_f32_e32 v141, v141, v177
	v_fmac_f32_e32 v138, v123, v160
	v_fma_f32 v160, v122, v160, -v134
	v_add_f32_e32 v7, v7, v136
	v_add_f32_e32 v11, v141, v11
	ds_read_b128 v[134:137], v1 offset:848
	v_add_f32_e32 v11, v11, v152
	v_add_f32_e32 v11, v11, v138
	s_waitcnt vmcnt(23)
	v_fmac_f32_e32 v155, v125, v143
	v_fma_f32 v142, v124, v143, -v158
	v_add_f32_e32 v143, v7, v149
	s_waitcnt vmcnt(22) lgkmcnt(3)
	v_mul_f32_e32 v149, v2, v144
	v_mul_f32_e32 v144, v3, v144
	s_waitcnt vmcnt(21)
	v_mul_f32_e32 v158, v4, v145
	v_mul_f32_e32 v145, v5, v145
	v_add_f32_e32 v143, v143, v153
	s_waitcnt vmcnt(17)
	v_fmac_f32_e32 v149, v3, v157
	v_fma_f32 v2, v2, v157, -v144
	v_add_f32_e32 v11, v11, v155
	s_waitcnt lgkmcnt(2)
	v_mul_f32_e32 v144, v127, v146
	v_add_f32_e32 v143, v143, v154
	v_fma_f32 v4, v4, v156, -v145
	v_mul_f32_e32 v141, v126, v146
	v_fmac_f32_e32 v158, v5, v156
	v_add_f32_e32 v5, v11, v149
	v_add_f32_e32 v143, v143, v160
	v_fma_f32 v126, v126, v147, -v144
	v_fmac_f32_e32 v141, v127, v147
	ds_read_b128 v[122:125], v1 offset:864
	ds_read_b64 v[6:7], v1 offset:880
	v_add_f32_e32 v142, v143, v142
	s_waitcnt vmcnt(16)
	v_mul_f32_e32 v11, v129, v139
	v_mul_f32_e32 v153, v128, v139
	s_waitcnt vmcnt(15) lgkmcnt(3)
	v_mul_f32_e32 v154, v130, v159
	s_waitcnt vmcnt(14)
	v_mul_f32_e32 v152, v132, v175
	v_add_f32_e32 v2, v142, v2
	s_waitcnt vmcnt(13) lgkmcnt(2)
	v_mul_f32_e32 v160, v134, v176
	s_waitcnt vmcnt(12)
	v_mul_f32_e32 v3, v136, v140
	v_add_f32_e32 v2, v2, v4
	v_add_f32_e32 v4, v5, v158
	v_mul_f32_e32 v5, v131, v159
	s_waitcnt vmcnt(5)
	v_fma_f32 v11, v128, v178, -v11
	v_fmac_f32_e32 v153, v129, v178
	v_add_f32_e32 v2, v2, v126
	v_add_f32_e32 v4, v4, v141
	v_mul_f32_e32 v126, v133, v175
	v_fma_f32 v5, v130, v170, -v5
	v_fmac_f32_e32 v154, v131, v170
	v_add_f32_e32 v2, v2, v11
	v_add_f32_e32 v4, v4, v153
	v_mul_f32_e32 v11, v135, v176
	v_fma_f32 v126, v132, v169, -v126
	v_fmac_f32_e32 v152, v133, v169
	v_add_f32_e32 v2, v2, v5
	v_add_f32_e32 v4, v4, v154
	v_mul_f32_e32 v5, v137, v140
	v_fma_f32 v11, v134, v164, -v11
	v_fmac_f32_e32 v160, v135, v164
	v_add_f32_e32 v2, v2, v126
	v_add_f32_e32 v4, v4, v152
	s_waitcnt lgkmcnt(1)
	v_mul_f32_e32 v126, v123, v148
	s_waitcnt vmcnt(1)
	v_fma_f32 v5, v136, v172, -v5
	v_mul_f32_e32 v138, v122, v148
	v_add_f32_e32 v2, v2, v11
	v_fmac_f32_e32 v3, v137, v172
	v_add_f32_e32 v4, v4, v160
	v_mul_f32_e32 v11, v125, v150
	v_fma_f32 v122, v122, v171, -v126
	v_add_f32_e32 v2, v2, v5
	v_mul_f32_e32 v143, v124, v150
	v_fmac_f32_e32 v138, v123, v171
	v_add_f32_e32 v3, v4, v3
	s_waitcnt lgkmcnt(0)
	v_mul_f32_e32 v4, v7, v151
	v_fma_f32 v5, v124, v10, -v11
	v_add_f32_e32 v2, v2, v122
	v_mul_f32_e32 v146, v6, v151
	v_fmac_f32_e32 v143, v125, v10
	v_add_f32_e32 v3, v3, v138
	v_fma_f32 v4, v6, v8, -v4
	v_add_f32_e32 v2, v2, v5
	v_fmac_f32_e32 v146, v7, v8
	v_add_f32_e32 v3, v3, v143
	v_add_f32_e32 v2, v2, v4
	;; [unrolled: 1-line block ×3, first 2 shown]
	s_waitcnt vmcnt(0)
	v_sub_f32_e32 v2, v179, v2
	v_sub_f32_e32 v3, v168, v3
	buffer_store_dword v2, off, s[0:3], 0 offset:184
	buffer_store_dword v3, off, s[0:3], 0 offset:188
	v_cmpx_lt_u32_e32 22, v0
	s_cbranch_execz .LBB118_299
; %bb.298:
	s_clause 0x1
	buffer_load_dword v2, off, s[0:3], 0 offset:176
	buffer_load_dword v3, off, s[0:3], 0 offset:180
	buffer_store_dword v1, off, s[0:3], 0 offset:176
	buffer_store_dword v1, off, s[0:3], 0 offset:180
	s_waitcnt vmcnt(0)
	ds_write_b64 v9, v[2:3]
.LBB118_299:
	s_or_b32 exec_lo, exec_lo, s4
	s_waitcnt lgkmcnt(0)
	s_waitcnt_vscnt null, 0x0
	s_barrier
	buffer_gl0_inv
	s_clause 0x23
	buffer_load_dword v3, off, s[0:3], 0 offset:188
	buffer_load_dword v4, off, s[0:3], 0 offset:196
	buffer_load_dword v5, off, s[0:3], 0 offset:204
	buffer_load_dword v2, off, s[0:3], 0 offset:200
	buffer_load_dword v6, off, s[0:3], 0 offset:192
	buffer_load_dword v8, off, s[0:3], 0 offset:184
	buffer_load_dword v7, off, s[0:3], 0 offset:212
	buffer_load_dword v10, off, s[0:3], 0 offset:232
	buffer_load_dword v11, off, s[0:3], 0 offset:224
	buffer_load_dword v122, off, s[0:3], 0 offset:216
	buffer_load_dword v127, off, s[0:3], 0 offset:208
	buffer_load_dword v126, off, s[0:3], 0 offset:220
	buffer_load_dword v125, off, s[0:3], 0 offset:228
	buffer_load_dword v123, off, s[0:3], 0 offset:236
	buffer_load_dword v124, off, s[0:3], 0 offset:244
	buffer_load_dword v128, off, s[0:3], 0 offset:264
	buffer_load_dword v131, off, s[0:3], 0 offset:256
	buffer_load_dword v132, off, s[0:3], 0 offset:248
	buffer_load_dword v135, off, s[0:3], 0 offset:240
	buffer_load_dword v133, off, s[0:3], 0 offset:252
	buffer_load_dword v134, off, s[0:3], 0 offset:260
	buffer_load_dword v130, off, s[0:3], 0 offset:268
	buffer_load_dword v129, off, s[0:3], 0 offset:276
	buffer_load_dword v136, off, s[0:3], 0 offset:296
	buffer_load_dword v137, off, s[0:3], 0 offset:288
	buffer_load_dword v139, off, s[0:3], 0 offset:280
	buffer_load_dword v143, off, s[0:3], 0 offset:272
	buffer_load_dword v141, off, s[0:3], 0 offset:284
	buffer_load_dword v142, off, s[0:3], 0 offset:292
	buffer_load_dword v140, off, s[0:3], 0 offset:300
	buffer_load_dword v138, off, s[0:3], 0 offset:308
	buffer_load_dword v160, off, s[0:3], 0 offset:328
	buffer_load_dword v161, off, s[0:3], 0 offset:332
	buffer_load_dword v162, off, s[0:3], 0 offset:320
	buffer_load_dword v163, off, s[0:3], 0 offset:312
	buffer_load_dword v164, off, s[0:3], 0 offset:304
	ds_read2_b64 v[144:147], v1 offset0:79 offset1:80
	ds_read2_b64 v[148:151], v1 offset0:81 offset1:82
	s_clause 0x1
	buffer_load_dword v165, off, s[0:3], 0 offset:316
	buffer_load_dword v166, off, s[0:3], 0 offset:324
	ds_read2_b64 v[152:155], v1 offset0:83 offset1:84
	ds_read2_b64 v[156:159], v1 offset0:85 offset1:86
	buffer_load_dword v167, off, s[0:3], 0 offset:180
	s_mov_b32 s4, exec_lo
	s_waitcnt vmcnt(38) lgkmcnt(3)
	v_mul_f32_e32 v168, v144, v3
	v_mul_f32_e32 v3, v145, v3
	s_waitcnt vmcnt(37)
	v_mul_f32_e32 v169, v146, v4
	v_mul_f32_e32 v4, v147, v4
	s_waitcnt vmcnt(36) lgkmcnt(2)
	v_mul_f32_e32 v170, v148, v5
	s_waitcnt vmcnt(33)
	v_fmac_f32_e32 v168, v145, v8
	v_fma_f32 v8, v144, v8, -v3
	s_waitcnt vmcnt(32)
	v_mul_f32_e32 v171, v150, v7
	v_mul_f32_e32 v3, v149, v5
	;; [unrolled: 1-line block ×3, first 2 shown]
	v_fmac_f32_e32 v169, v147, v6
	v_fma_f32 v6, v146, v6, -v4
	v_fmac_f32_e32 v170, v149, v2
	s_waitcnt vmcnt(28)
	v_fmac_f32_e32 v171, v151, v127
	v_fma_f32 v7, v148, v2, -v3
	v_fma_f32 v127, v150, v127, -v5
	ds_read2_b64 v[2:5], v1 offset0:87 offset1:88
	ds_read2_b64 v[144:147], v1 offset0:89 offset1:90
	s_waitcnt vmcnt(27) lgkmcnt(3)
	v_mul_f32_e32 v172, v152, v126
	s_waitcnt vmcnt(26)
	v_mul_f32_e32 v173, v154, v125
	v_mul_f32_e32 v125, v155, v125
	;; [unrolled: 1-line block ×3, first 2 shown]
	s_waitcnt vmcnt(25) lgkmcnt(2)
	v_mul_f32_e32 v174, v156, v123
	v_fmac_f32_e32 v172, v153, v122
	v_fmac_f32_e32 v173, v155, v11
	v_fma_f32 v11, v154, v11, -v125
	v_fma_f32 v126, v152, v122, -v126
	s_waitcnt vmcnt(24)
	v_mul_f32_e32 v152, v158, v124
	v_mul_f32_e32 v122, v157, v123
	;; [unrolled: 1-line block ×3, first 2 shown]
	v_fmac_f32_e32 v174, v157, v10
	s_waitcnt vmcnt(20)
	v_fmac_f32_e32 v152, v159, v135
	v_fma_f32 v10, v156, v10, -v122
	v_fma_f32 v135, v158, v135, -v123
	ds_read2_b64 v[122:125], v1 offset0:91 offset1:92
	ds_read2_b64 v[148:151], v1 offset0:93 offset1:94
	s_waitcnt vmcnt(19) lgkmcnt(3)
	v_mul_f32_e32 v153, v2, v133
	s_waitcnt vmcnt(18)
	v_mul_f32_e32 v154, v4, v134
	v_mul_f32_e32 v133, v3, v133
	;; [unrolled: 1-line block ×3, first 2 shown]
	buffer_load_dword v155, off, s[0:3], 0 offset:340
	v_fmac_f32_e32 v153, v3, v132
	v_fmac_f32_e32 v154, v5, v131
	v_fma_f32 v132, v2, v132, -v133
	v_fma_f32 v131, v4, v131, -v134
	s_waitcnt vmcnt(18) lgkmcnt(2)
	v_mul_f32_e32 v134, v144, v130
	v_mul_f32_e32 v2, v145, v130
	s_clause 0x3
	buffer_load_dword v156, off, s[0:3], 0 offset:360
	buffer_load_dword v157, off, s[0:3], 0 offset:352
	;; [unrolled: 1-line block ×4, first 2 shown]
	s_waitcnt vmcnt(21)
	v_mul_f32_e32 v130, v146, v129
	v_mul_f32_e32 v3, v147, v129
	v_fmac_f32_e32 v134, v145, v128
	v_fma_f32 v128, v144, v128, -v2
	buffer_load_dword v144, off, s[0:3], 0 offset:348
	s_waitcnt vmcnt(18)
	v_fmac_f32_e32 v130, v147, v143
	s_waitcnt vmcnt(17) lgkmcnt(1)
	v_mul_f32_e32 v147, v122, v141
	v_mul_f32_e32 v2, v123, v141
	v_fma_f32 v143, v146, v143, -v3
	s_clause 0x1
	buffer_load_dword v145, off, s[0:3], 0 offset:356
	buffer_load_dword v146, off, s[0:3], 0 offset:364
	s_waitcnt vmcnt(18)
	v_mul_f32_e32 v159, v124, v142
	v_mul_f32_e32 v3, v125, v142
	v_fmac_f32_e32 v147, v123, v139
	v_fma_f32 v139, v122, v139, -v2
	s_waitcnt vmcnt(16) lgkmcnt(0)
	v_mul_f32_e32 v2, v151, v138
	v_mul_f32_e32 v141, v148, v140
	;; [unrolled: 1-line block ×3, first 2 shown]
	v_fmac_f32_e32 v159, v125, v137
	v_fma_f32 v137, v124, v137, -v3
	v_mul_f32_e32 v140, v150, v138
	s_waitcnt vmcnt(11)
	v_fma_f32 v138, v150, v164, -v2
	v_add_f32_e32 v2, 0, v168
	v_add_f32_e32 v3, 0, v8
	s_clause 0x3
	buffer_load_dword v142, off, s[0:3], 0 offset:372
	buffer_load_dword v175, off, s[0:3], 0 offset:380
	;; [unrolled: 1-line block ×4, first 2 shown]
	v_fmac_f32_e32 v141, v149, v136
	v_fma_f32 v136, v148, v136, -v4
	s_clause 0x1
	buffer_load_dword v148, off, s[0:3], 0 offset:404
	buffer_load_dword v149, off, s[0:3], 0 offset:412
	v_fmac_f32_e32 v140, v151, v164
	s_clause 0x2
	buffer_load_dword v150, off, s[0:3], 0 offset:420
	buffer_load_dword v151, off, s[0:3], 0 offset:428
	;; [unrolled: 1-line block ×3, first 2 shown]
	v_add_f32_e32 v2, v2, v169
	v_add_f32_e32 v3, v3, v6
	s_clause 0x3
	buffer_load_dword v6, off, s[0:3], 0 offset:392
	buffer_load_dword v164, off, s[0:3], 0 offset:384
	;; [unrolled: 1-line block ×4, first 2 shown]
	v_add_f32_e32 v2, v2, v170
	v_add_f32_e32 v3, v3, v7
	;; [unrolled: 1-line block ×3, first 2 shown]
	s_clause 0x4
	buffer_load_dword v7, off, s[0:3], 0 offset:424
	buffer_load_dword v170, off, s[0:3], 0 offset:416
	;; [unrolled: 1-line block ×5, first 2 shown]
	v_add_f32_e32 v3, v3, v127
	ds_read2_b64 v[122:125], v1 offset0:97 offset1:98
	v_add_f32_e32 v2, v2, v172
	buffer_load_dword v172, off, s[0:3], 0 offset:432
	v_add_f32_e32 v3, v3, v126
	v_add_f32_e32 v2, v2, v173
	v_add_f32_e32 v3, v3, v11
	v_add_f32_e32 v11, v2, v174
	v_add_f32_e32 v10, v3, v10
	ds_read2_b64 v[2:5], v1 offset0:95 offset1:96
	v_add_f32_e32 v11, v11, v152
	v_add_f32_e32 v10, v10, v135
	;; [unrolled: 1-line block ×8, first 2 shown]
	s_waitcnt vmcnt(29) lgkmcnt(0)
	v_mul_f32_e32 v152, v2, v165
	v_mul_f32_e32 v126, v3, v165
	s_waitcnt vmcnt(28)
	v_mul_f32_e32 v153, v4, v166
	v_mul_f32_e32 v127, v5, v166
	v_add_f32_e32 v10, v10, v143
	v_fmac_f32_e32 v152, v3, v163
	v_fma_f32 v154, v2, v163, -v126
	v_fmac_f32_e32 v153, v5, v162
	v_fma_f32 v162, v4, v162, -v127
	ds_read2_b64 v[2:5], v1 offset0:99 offset1:100
	ds_read2_b64 v[126:129], v1 offset0:101 offset1:102
	v_add_f32_e32 v11, v11, v130
	v_add_f32_e32 v10, v10, v139
	v_mul_f32_e32 v163, v122, v161
	v_mul_f32_e32 v130, v123, v161
	v_add_f32_e32 v11, v11, v147
	v_add_f32_e32 v10, v10, v137
	v_fmac_f32_e32 v163, v123, v160
	v_fma_f32 v147, v122, v160, -v130
	v_add_f32_e32 v11, v11, v159
	v_add_f32_e32 v10, v10, v136
	;; [unrolled: 1-line block ×5, first 2 shown]
	s_waitcnt vmcnt(26)
	v_mul_f32_e32 v143, v124, v155
	v_mul_f32_e32 v131, v125, v155
	s_waitcnt vmcnt(22)
	v_fmac_f32_e32 v143, v125, v133
	v_fma_f32 v155, v124, v133, -v131
	ds_read2_b64 v[122:125], v1 offset0:103 offset1:104
	ds_read2_b64 v[130:133], v1 offset0:105 offset1:106
	;; [unrolled: 1-line block ×3, first 2 shown]
	s_waitcnt vmcnt(21) lgkmcnt(4)
	v_mul_f32_e32 v139, v3, v144
	v_mul_f32_e32 v159, v2, v144
	v_fma_f32 v2, v2, v158, -v139
	ds_read2_b64 v[138:141], v1 offset0:109 offset1:110
	v_add_f32_e32 v1, v10, v154
	v_fmac_f32_e32 v159, v3, v158
	v_add_f32_e32 v3, v11, v152
	s_waitcnt vmcnt(20)
	v_mul_f32_e32 v11, v5, v145
	v_mul_f32_e32 v10, v4, v145
	v_add_f32_e32 v1, v1, v162
	s_waitcnt vmcnt(19) lgkmcnt(4)
	v_mul_f32_e32 v144, v126, v146
	v_add_f32_e32 v3, v3, v153
	v_mul_f32_e32 v146, v127, v146
	v_fma_f32 v4, v4, v157, -v11
	v_add_f32_e32 v1, v1, v147
	v_fmac_f32_e32 v10, v5, v157
	v_add_f32_e32 v3, v3, v163
	s_waitcnt vmcnt(18)
	v_mul_f32_e32 v145, v128, v142
	v_mul_f32_e32 v142, v129, v142
	v_add_f32_e32 v1, v1, v155
	v_fma_f32 v126, v126, v156, -v146
	v_add_f32_e32 v3, v3, v143
	v_fmac_f32_e32 v144, v127, v156
	s_waitcnt vmcnt(17) lgkmcnt(3)
	v_mul_f32_e32 v5, v122, v175
	v_add_f32_e32 v1, v1, v2
	s_waitcnt vmcnt(6)
	v_fmac_f32_e32 v145, v129, v169
	v_add_f32_e32 v2, v3, v159
	v_mul_f32_e32 v11, v124, v176
	v_fmac_f32_e32 v5, v123, v168
	v_add_f32_e32 v1, v1, v4
	v_mul_f32_e32 v4, v123, v175
	v_add_f32_e32 v2, v2, v10
	v_fma_f32 v10, v128, v169, -v142
	s_waitcnt lgkmcnt(2)
	v_mul_f32_e32 v147, v130, v177
	v_add_f32_e32 v1, v1, v126
	v_mul_f32_e32 v126, v125, v176
	v_add_f32_e32 v2, v2, v144
	v_fma_f32 v4, v122, v168, -v4
	v_fmac_f32_e32 v11, v125, v164
	v_add_f32_e32 v1, v1, v10
	v_mul_f32_e32 v10, v131, v177
	v_add_f32_e32 v2, v2, v145
	v_fma_f32 v122, v124, v164, -v126
	v_mul_f32_e32 v152, v132, v148
	v_add_f32_e32 v1, v1, v4
	v_mul_f32_e32 v4, v133, v148
	v_add_f32_e32 v2, v2, v5
	v_fma_f32 v5, v130, v6, -v10
	v_fmac_f32_e32 v147, v131, v6
	v_add_f32_e32 v1, v1, v122
	s_waitcnt lgkmcnt(1)
	v_mul_f32_e32 v6, v135, v149
	v_add_f32_e32 v2, v2, v11
	s_waitcnt vmcnt(2)
	v_fma_f32 v4, v132, v178, -v4
	v_mul_f32_e32 v153, v134, v149
	v_add_f32_e32 v1, v1, v5
	v_fmac_f32_e32 v152, v133, v178
	v_add_f32_e32 v2, v2, v147
	v_mul_f32_e32 v5, v137, v150
	v_fma_f32 v6, v134, v171, -v6
	v_add_f32_e32 v1, v1, v4
	v_mul_f32_e32 v143, v136, v150
	v_fmac_f32_e32 v153, v135, v171
	v_add_f32_e32 v2, v2, v152
	s_waitcnt lgkmcnt(0)
	v_mul_f32_e32 v4, v139, v151
	v_fma_f32 v5, v136, v170, -v5
	v_add_f32_e32 v1, v1, v6
	v_mul_f32_e32 v154, v138, v151
	v_fmac_f32_e32 v143, v137, v170
	v_add_f32_e32 v2, v2, v153
	v_mul_f32_e32 v6, v141, v8
	v_fma_f32 v4, v138, v7, -v4
	v_add_f32_e32 v1, v1, v5
	v_mul_f32_e32 v3, v140, v8
	v_fmac_f32_e32 v154, v139, v7
	v_add_f32_e32 v2, v2, v143
	s_waitcnt vmcnt(0)
	v_fma_f32 v5, v140, v172, -v6
	v_add_f32_e32 v1, v1, v4
	v_fmac_f32_e32 v3, v141, v172
	v_add_f32_e32 v2, v2, v154
	v_add_f32_e32 v1, v1, v5
	;; [unrolled: 1-line block ×3, first 2 shown]
	v_sub_f32_e32 v1, v179, v1
	v_sub_f32_e32 v2, v167, v2
	buffer_store_dword v1, off, s[0:3], 0 offset:176
	buffer_store_dword v2, off, s[0:3], 0 offset:180
	v_cmpx_lt_u32_e32 21, v0
	s_cbranch_execz .LBB118_301
; %bb.300:
	s_clause 0x1
	buffer_load_dword v1, off, s[0:3], 0 offset:168
	buffer_load_dword v2, off, s[0:3], 0 offset:172
	v_mov_b32_e32 v3, 0
	buffer_store_dword v3, off, s[0:3], 0 offset:168
	buffer_store_dword v3, off, s[0:3], 0 offset:172
	s_waitcnt vmcnt(0)
	ds_write_b64 v9, v[1:2]
.LBB118_301:
	s_or_b32 exec_lo, exec_lo, s4
	s_waitcnt lgkmcnt(0)
	s_waitcnt_vscnt null, 0x0
	s_barrier
	buffer_gl0_inv
	s_clause 0x23
	buffer_load_dword v11, off, s[0:3], 0 offset:180
	buffer_load_dword v123, off, s[0:3], 0 offset:188
	;; [unrolled: 1-line block ×36, first 2 shown]
	v_mov_b32_e32 v10, 0
	ds_read_b128 v[5:8], v10 offset:624
	ds_read_b128 v[1:4], v10 offset:640
	buffer_load_dword v165, off, s[0:3], 0 offset:172
	ds_read_b128 v[157:160], v10 offset:656
	ds_read_b128 v[161:164], v10 offset:672
	s_mov_b32 s4, exec_lo
	s_waitcnt vmcnt(36) lgkmcnt(3)
	v_mul_f32_e32 v166, v5, v11
	v_mul_f32_e32 v11, v6, v11
	s_waitcnt vmcnt(35)
	v_mul_f32_e32 v167, v7, v123
	v_mul_f32_e32 v123, v8, v123
	s_waitcnt vmcnt(34) lgkmcnt(2)
	v_mul_f32_e32 v168, v1, v124
	v_mul_f32_e32 v124, v2, v124
	s_waitcnt vmcnt(31)
	v_fmac_f32_e32 v166, v6, v127
	v_fma_f32 v11, v5, v127, -v11
	s_waitcnt vmcnt(30)
	v_mul_f32_e32 v127, v3, v125
	v_mul_f32_e32 v169, v4, v125
	v_fmac_f32_e32 v167, v8, v126
	v_fma_f32 v126, v7, v126, -v123
	ds_read_b128 v[5:8], v10 offset:688
	v_fmac_f32_e32 v168, v2, v122
	v_fma_f32 v170, v1, v122, -v124
	ds_read_b128 v[122:125], v10 offset:704
	s_waitcnt vmcnt(26)
	v_fmac_f32_e32 v127, v4, v136
	v_fma_f32 v136, v3, v136, -v169
	s_waitcnt vmcnt(25) lgkmcnt(3)
	v_mul_f32_e32 v169, v157, v134
	s_waitcnt vmcnt(24)
	v_mul_f32_e32 v171, v159, v135
	v_mul_f32_e32 v1, v158, v134
	;; [unrolled: 1-line block ×3, first 2 shown]
	s_clause 0x1
	buffer_load_dword v134, off, s[0:3], 0 offset:316
	buffer_load_dword v135, off, s[0:3], 0 offset:324
	v_fmac_f32_e32 v169, v158, v131
	v_fmac_f32_e32 v171, v160, v129
	v_fma_f32 v131, v157, v131, -v1
	v_fma_f32 v129, v159, v129, -v2
	ds_read_b128 v[1:4], v10 offset:720
	s_waitcnt vmcnt(25) lgkmcnt(3)
	v_mul_f32_e32 v157, v161, v132
	v_mul_f32_e32 v132, v162, v132
	s_waitcnt vmcnt(24)
	v_mul_f32_e32 v158, v163, v130
	v_mul_f32_e32 v130, v164, v130
	s_waitcnt vmcnt(23) lgkmcnt(2)
	v_mul_f32_e32 v159, v5, v133
	v_fmac_f32_e32 v157, v162, v128
	v_fma_f32 v128, v161, v128, -v132
	s_waitcnt vmcnt(22)
	v_mul_f32_e32 v132, v7, v137
	v_mul_f32_e32 v133, v6, v133
	;; [unrolled: 1-line block ×3, first 2 shown]
	s_waitcnt vmcnt(18)
	v_fma_f32 v130, v163, v144, -v130
	v_fmac_f32_e32 v159, v6, v142
	v_fmac_f32_e32 v132, v8, v141
	v_fma_f32 v133, v5, v142, -v133
	v_fma_f32 v137, v7, v141, -v137
	s_clause 0x5
	buffer_load_dword v141, off, s[0:3], 0 offset:332
	buffer_load_dword v142, off, s[0:3], 0 offset:340
	;; [unrolled: 1-line block ×6, first 2 shown]
	v_fmac_f32_e32 v158, v164, v144
	s_waitcnt vmcnt(23) lgkmcnt(1)
	v_mul_f32_e32 v144, v122, v143
	v_mul_f32_e32 v143, v123, v143
	s_waitcnt vmcnt(22)
	v_mul_f32_e32 v164, v124, v139
	v_mul_f32_e32 v139, v125, v139
	ds_read_b128 v[5:8], v10 offset:736
	v_fmac_f32_e32 v144, v123, v138
	v_fma_f32 v122, v122, v138, -v143
	s_waitcnt vmcnt(18)
	v_fmac_f32_e32 v164, v125, v155
	v_fma_f32 v123, v124, v155, -v139
	s_waitcnt vmcnt(17) lgkmcnt(1)
	v_mul_f32_e32 v124, v1, v153
	v_mul_f32_e32 v125, v2, v153
	s_clause 0x1
	buffer_load_dword v143, off, s[0:3], 0 offset:348
	buffer_load_dword v153, off, s[0:3], 0 offset:356
	v_add_f32_e32 v11, 0, v11
	s_waitcnt vmcnt(18)
	v_mul_f32_e32 v138, v3, v154
	v_mul_f32_e32 v139, v4, v154
	v_fma_f32 v125, v1, v150, -v125
	v_add_f32_e32 v1, 0, v166
	v_add_f32_e32 v11, v11, v126
	v_fmac_f32_e32 v124, v2, v150
	v_fmac_f32_e32 v138, v4, v149
	v_fma_f32 v139, v3, v149, -v139
	v_add_f32_e32 v166, v1, v167
	s_clause 0x3
	buffer_load_dword v149, off, s[0:3], 0 offset:364
	buffer_load_dword v150, off, s[0:3], 0 offset:372
	;; [unrolled: 1-line block ×4, first 2 shown]
	ds_read_b128 v[1:4], v10 offset:752
	s_waitcnt vmcnt(21) lgkmcnt(1)
	v_mul_f32_e32 v167, v5, v148
	v_mul_f32_e32 v126, v6, v148
	v_add_f32_e32 v148, v166, v168
	v_add_f32_e32 v11, v11, v170
	s_waitcnt vmcnt(20)
	v_mul_f32_e32 v166, v7, v147
	v_fmac_f32_e32 v167, v6, v145
	v_fma_f32 v145, v5, v145, -v126
	v_add_f32_e32 v5, v148, v127
	v_mul_f32_e32 v147, v8, v147
	v_add_f32_e32 v6, v11, v136
	s_clause 0x3
	buffer_load_dword v11, off, s[0:3], 0 offset:396
	buffer_load_dword v136, off, s[0:3], 0 offset:404
	;; [unrolled: 1-line block ×4, first 2 shown]
	s_waitcnt vmcnt(20)
	v_fmac_f32_e32 v166, v8, v156
	v_add_f32_e32 v5, v5, v169
	v_fma_f32 v147, v7, v156, -v147
	s_clause 0x5
	buffer_load_dword v156, off, s[0:3], 0 offset:428
	buffer_load_dword v169, off, s[0:3], 0 offset:384
	;; [unrolled: 1-line block ×6, first 2 shown]
	v_add_f32_e32 v6, v6, v131
	v_add_f32_e32 v5, v5, v171
	;; [unrolled: 1-line block ×4, first 2 shown]
	s_waitcnt vmcnt(25) lgkmcnt(0)
	v_mul_f32_e32 v157, v1, v152
	ds_read_b128 v[5:8], v10 offset:768
	v_add_f32_e32 v126, v126, v128
	v_mul_f32_e32 v128, v2, v152
	v_add_f32_e32 v127, v127, v158
	v_fmac_f32_e32 v157, v2, v151
	v_fma_f32 v131, v1, v151, -v128
	v_add_f32_e32 v2, v127, v159
	s_clause 0x5
	buffer_load_dword v151, off, s[0:3], 0 offset:416
	buffer_load_dword v152, off, s[0:3], 0 offset:408
	;; [unrolled: 1-line block ×6, first 2 shown]
	v_add_f32_e32 v1, v126, v130
	v_add_f32_e32 v2, v2, v132
	;; [unrolled: 1-line block ×5, first 2 shown]
	buffer_load_dword v137, off, s[0:3], 0 offset:168
	v_add_f32_e32 v126, v126, v164
	v_add_f32_e32 v122, v1, v122
	;; [unrolled: 1-line block ×6, first 2 shown]
	ds_read_b128 v[122:125], v10 offset:800
	v_add_f32_e32 v132, v132, v167
	v_add_f32_e32 v130, v128, v139
	;; [unrolled: 1-line block ×4, first 2 shown]
	s_waitcnt vmcnt(30)
	v_mul_f32_e32 v144, v3, v134
	v_mul_f32_e32 v2, v4, v134
	s_waitcnt vmcnt(29) lgkmcnt(1)
	v_mul_f32_e32 v127, v6, v135
	v_fmac_f32_e32 v144, v4, v146
	v_fma_f32 v134, v3, v146, -v2
	ds_read_b128 v[1:4], v10 offset:784
	v_mul_f32_e32 v146, v5, v135
	v_fmac_f32_e32 v146, v6, v140
	v_fma_f32 v140, v5, v140, -v127
	s_waitcnt vmcnt(28)
	v_mul_f32_e32 v164, v7, v141
	v_mul_f32_e32 v129, v8, v141
	s_waitcnt vmcnt(23)
	v_fmac_f32_e32 v164, v8, v163
	v_fma_f32 v139, v7, v163, -v129
	ds_read_b128 v[5:8], v10 offset:816
	ds_read_b128 v[126:129], v10 offset:832
	s_waitcnt lgkmcnt(2)
	v_mul_f32_e32 v133, v2, v142
	v_mul_f32_e32 v138, v1, v142
	v_fma_f32 v142, v1, v162, -v133
	v_add_f32_e32 v1, v132, v166
	s_waitcnt vmcnt(22)
	v_mul_f32_e32 v141, v3, v143
	v_mul_f32_e32 v135, v4, v143
	v_add_f32_e32 v143, v130, v131
	v_fmac_f32_e32 v138, v2, v162
	v_add_f32_e32 v147, v1, v157
	v_fmac_f32_e32 v141, v4, v161
	v_fma_f32 v145, v3, v161, -v135
	v_add_f32_e32 v143, v143, v134
	s_waitcnt vmcnt(21)
	v_mul_f32_e32 v157, v122, v153
	v_add_f32_e32 v144, v147, v144
	s_waitcnt vmcnt(20)
	v_mul_f32_e32 v147, v124, v149
	v_mul_f32_e32 v149, v125, v149
	v_add_f32_e32 v140, v143, v140
	v_mul_f32_e32 v143, v123, v153
	v_add_f32_e32 v144, v144, v146
	v_fmac_f32_e32 v157, v123, v160
	ds_read_b128 v[130:133], v10 offset:848
	ds_read_b128 v[1:4], v10 offset:864
	v_add_f32_e32 v139, v140, v139
	v_add_f32_e32 v144, v144, v164
	v_fma_f32 v122, v122, v160, -v143
	s_waitcnt vmcnt(19) lgkmcnt(3)
	v_mul_f32_e32 v146, v5, v150
	s_waitcnt vmcnt(18)
	v_mul_f32_e32 v140, v7, v154
	v_add_f32_e32 v139, v139, v142
	v_add_f32_e32 v138, v144, v138
	s_waitcnt vmcnt(17) lgkmcnt(2)
	v_mul_f32_e32 v153, v126, v155
	s_waitcnt vmcnt(16)
	v_mul_f32_e32 v161, v128, v11
	s_waitcnt vmcnt(9)
	v_fmac_f32_e32 v146, v6, v172
	v_add_f32_e32 v139, v139, v145
	v_add_f32_e32 v138, v138, v141
	v_mul_f32_e32 v145, v6, v150
	s_waitcnt vmcnt(8)
	v_fma_f32 v124, v124, v173, -v149
	v_fmac_f32_e32 v147, v125, v173
	v_add_f32_e32 v122, v139, v122
	v_add_f32_e32 v125, v138, v157
	v_mul_f32_e32 v138, v8, v154
	v_fma_f32 v5, v5, v172, -v145
	v_fmac_f32_e32 v140, v8, v170
	v_add_f32_e32 v6, v122, v124
	v_add_f32_e32 v122, v125, v147
	v_mul_f32_e32 v124, v127, v155
	v_fma_f32 v7, v7, v170, -v138
	v_mul_f32_e32 v8, v129, v11
	v_add_f32_e32 v5, v6, v5
	v_add_f32_e32 v6, v122, v146
	v_fma_f32 v11, v126, v169, -v124
	v_fmac_f32_e32 v153, v127, v169
	ds_read_b64 v[134:135], v10 offset:880
	v_add_f32_e32 v5, v5, v7
	v_add_f32_e32 v6, v6, v140
	s_waitcnt lgkmcnt(2)
	v_mul_f32_e32 v7, v131, v136
	s_waitcnt vmcnt(3)
	v_fma_f32 v8, v128, v159, -v8
	v_mul_f32_e32 v142, v130, v136
	v_add_f32_e32 v5, v5, v11
	v_fmac_f32_e32 v161, v129, v159
	v_add_f32_e32 v6, v6, v153
	v_mul_f32_e32 v11, v133, v148
	v_fma_f32 v7, v130, v158, -v7
	v_add_f32_e32 v5, v5, v8
	v_mul_f32_e32 v123, v132, v148
	v_fmac_f32_e32 v142, v131, v158
	v_add_f32_e32 v6, v6, v161
	s_waitcnt lgkmcnt(1)
	v_mul_f32_e32 v143, v1, v168
	v_mul_f32_e32 v8, v2, v168
	v_fma_f32 v11, v132, v152, -v11
	v_add_f32_e32 v5, v5, v7
	v_fmac_f32_e32 v123, v133, v152
	v_add_f32_e32 v6, v6, v142
	v_mul_f32_e32 v7, v4, v156
	v_fmac_f32_e32 v143, v2, v151
	v_fma_f32 v1, v1, v151, -v8
	v_add_f32_e32 v2, v5, v11
	v_mul_f32_e32 v144, v3, v156
	v_add_f32_e32 v5, v6, v123
	s_waitcnt lgkmcnt(0)
	v_mul_f32_e32 v6, v135, v174
	s_waitcnt vmcnt(1)
	v_fma_f32 v3, v3, v175, -v7
	v_add_f32_e32 v1, v2, v1
	v_mul_f32_e32 v141, v134, v174
	v_fmac_f32_e32 v144, v4, v175
	v_add_f32_e32 v2, v5, v143
	v_fma_f32 v4, v134, v171, -v6
	v_add_f32_e32 v1, v1, v3
	v_fmac_f32_e32 v141, v135, v171
	v_add_f32_e32 v2, v2, v144
	v_add_f32_e32 v1, v1, v4
	;; [unrolled: 1-line block ×3, first 2 shown]
	s_waitcnt vmcnt(0)
	v_sub_f32_e32 v1, v137, v1
	v_sub_f32_e32 v2, v165, v2
	buffer_store_dword v1, off, s[0:3], 0 offset:168
	buffer_store_dword v2, off, s[0:3], 0 offset:172
	v_cmpx_lt_u32_e32 20, v0
	s_cbranch_execz .LBB118_303
; %bb.302:
	s_clause 0x1
	buffer_load_dword v1, off, s[0:3], 0 offset:160
	buffer_load_dword v2, off, s[0:3], 0 offset:164
	buffer_store_dword v10, off, s[0:3], 0 offset:160
	buffer_store_dword v10, off, s[0:3], 0 offset:164
	s_waitcnt vmcnt(0)
	ds_write_b64 v9, v[1:2]
.LBB118_303:
	s_or_b32 exec_lo, exec_lo, s4
	s_waitcnt lgkmcnt(0)
	s_waitcnt_vscnt null, 0x0
	s_barrier
	buffer_gl0_inv
	s_clause 0x23
	buffer_load_dword v155, off, s[0:3], 0 offset:172
	buffer_load_dword v156, off, s[0:3], 0 offset:180
	;; [unrolled: 1-line block ×36, first 2 shown]
	ds_read2_b64 v[5:8], v10 offset0:77 offset1:78
	ds_read2_b64 v[1:4], v10 offset0:79 offset1:80
	;; [unrolled: 1-line block ×3, first 2 shown]
	s_clause 0x1
	buffer_load_dword v165, off, s[0:3], 0 offset:308
	buffer_load_dword v166, off, s[0:3], 0 offset:316
	ds_read2_b64 v[161:164], v10 offset0:83 offset1:84
	buffer_load_dword v169, off, s[0:3], 0 offset:164
	s_mov_b32 s4, exec_lo
	s_waitcnt vmcnt(38) lgkmcnt(3)
	v_mul_f32_e32 v167, v5, v155
	s_waitcnt vmcnt(37)
	v_mul_f32_e32 v168, v7, v156
	v_mul_f32_e32 v155, v6, v155
	;; [unrolled: 1-line block ×3, first 2 shown]
	s_waitcnt vmcnt(34)
	v_fmac_f32_e32 v167, v6, v127
	v_fmac_f32_e32 v168, v8, v126
	v_fma_f32 v127, v5, v127, -v155
	v_fma_f32 v126, v7, v126, -v156
	ds_read2_b64 v[5:8], v10 offset0:85 offset1:86
	s_waitcnt vmcnt(33) lgkmcnt(3)
	v_mul_f32_e32 v155, v1, v124
	v_mul_f32_e32 v124, v2, v124
	s_waitcnt vmcnt(32)
	v_mul_f32_e32 v156, v3, v123
	v_mul_f32_e32 v123, v4, v123
	s_waitcnt vmcnt(31) lgkmcnt(2)
	v_mul_f32_e32 v170, v157, v122
	v_mul_f32_e32 v122, v158, v122
	v_fmac_f32_e32 v155, v2, v11
	v_fma_f32 v11, v1, v11, -v124
	s_waitcnt vmcnt(26)
	v_fmac_f32_e32 v156, v4, v133
	v_fma_f32 v133, v3, v133, -v123
	ds_read2_b64 v[1:4], v10 offset0:87 offset1:88
	v_mul_f32_e32 v171, v159, v125
	v_mul_f32_e32 v124, v160, v125
	v_fmac_f32_e32 v170, v158, v132
	v_fma_f32 v132, v157, v132, -v122
	s_waitcnt vmcnt(25) lgkmcnt(2)
	v_mul_f32_e32 v157, v161, v129
	s_waitcnt vmcnt(24)
	v_mul_f32_e32 v158, v163, v130
	v_mul_f32_e32 v129, v162, v129
	v_mul_f32_e32 v130, v164, v130
	v_fmac_f32_e32 v171, v160, v131
	v_fma_f32 v131, v159, v131, -v124
	ds_read2_b64 v[122:125], v10 offset0:89 offset1:90
	v_fmac_f32_e32 v157, v162, v128
	s_waitcnt vmcnt(19)
	v_fmac_f32_e32 v158, v164, v144
	v_fma_f32 v128, v161, v128, -v129
	v_fma_f32 v129, v163, v144, -v130
	s_clause 0x4
	buffer_load_dword v130, off, s[0:3], 0 offset:324
	buffer_load_dword v144, off, s[0:3], 0 offset:344
	;; [unrolled: 1-line block ×5, first 2 shown]
	s_waitcnt lgkmcnt(2)
	v_mul_f32_e32 v159, v5, v134
	v_mul_f32_e32 v134, v6, v134
	s_waitcnt vmcnt(23)
	v_mul_f32_e32 v163, v7, v140
	v_mul_f32_e32 v140, v8, v140
	v_fmac_f32_e32 v159, v6, v139
	v_fma_f32 v5, v5, v139, -v134
	s_waitcnt vmcnt(22) lgkmcnt(1)
	v_mul_f32_e32 v134, v1, v137
	v_fmac_f32_e32 v163, v8, v136
	v_fma_f32 v136, v7, v136, -v140
	s_waitcnt vmcnt(21)
	v_mul_f32_e32 v139, v3, v138
	v_mul_f32_e32 v6, v2, v137
	;; [unrolled: 1-line block ×3, first 2 shown]
	s_clause 0x2
	buffer_load_dword v137, off, s[0:3], 0 offset:332
	buffer_load_dword v138, off, s[0:3], 0 offset:340
	;; [unrolled: 1-line block ×3, first 2 shown]
	v_fmac_f32_e32 v134, v2, v135
	s_waitcnt vmcnt(20)
	v_fmac_f32_e32 v139, v4, v153
	v_fma_f32 v135, v1, v135, -v6
	v_fma_f32 v153, v3, v153, -v7
	ds_read2_b64 v[1:4], v10 offset0:91 offset1:92
	v_add_f32_e32 v6, 0, v167
	v_add_f32_e32 v7, 0, v127
	s_waitcnt vmcnt(19) lgkmcnt(1)
	v_mul_f32_e32 v164, v122, v150
	s_waitcnt vmcnt(18)
	v_mul_f32_e32 v172, v124, v151
	v_mul_f32_e32 v8, v123, v150
	v_add_f32_e32 v6, v6, v168
	v_mul_f32_e32 v127, v125, v151
	v_add_f32_e32 v7, v7, v126
	v_fmac_f32_e32 v164, v123, v148
	v_fmac_f32_e32 v172, v125, v147
	v_add_f32_e32 v6, v6, v155
	v_fma_f32 v122, v122, v148, -v8
	v_fma_f32 v126, v124, v147, -v127
	v_add_f32_e32 v7, v7, v11
	s_clause 0x7
	buffer_load_dword v11, off, s[0:3], 0 offset:356
	buffer_load_dword v147, off, s[0:3], 0 offset:364
	;; [unrolled: 1-line block ×8, first 2 shown]
	v_add_f32_e32 v6, v6, v156
	v_add_f32_e32 v7, v7, v133
	s_waitcnt vmcnt(25) lgkmcnt(0)
	v_mul_f32_e32 v8, v2, v145
	v_mul_f32_e32 v127, v1, v145
	s_clause 0x3
	buffer_load_dword v145, off, s[0:3], 0 offset:388
	buffer_load_dword v156, off, s[0:3], 0 offset:396
	;; [unrolled: 1-line block ×4, first 2 shown]
	v_fma_f32 v133, v1, v142, -v8
	v_add_f32_e32 v1, v6, v170
	v_add_f32_e32 v6, v7, v132
	v_fmac_f32_e32 v127, v2, v142
	s_waitcnt vmcnt(28)
	v_mul_f32_e32 v132, v3, v143
	v_mul_f32_e32 v2, v4, v143
	v_add_f32_e32 v7, v1, v171
	s_clause 0x2
	buffer_load_dword v142, off, s[0:3], 0 offset:420
	buffer_load_dword v170, off, s[0:3], 0 offset:428
	;; [unrolled: 1-line block ×3, first 2 shown]
	s_waitcnt vmcnt(27)
	v_fmac_f32_e32 v132, v4, v154
	v_fma_f32 v154, v3, v154, -v2
	v_add_f32_e32 v7, v7, v157
	ds_read2_b64 v[1:4], v10 offset0:93 offset1:94
	v_add_f32_e32 v6, v6, v131
	v_add_f32_e32 v7, v7, v158
	s_clause 0x3
	buffer_load_dword v157, off, s[0:3], 0 offset:408
	buffer_load_dword v158, off, s[0:3], 0 offset:400
	;; [unrolled: 1-line block ×4, first 2 shown]
	v_add_f32_e32 v6, v6, v128
	v_add_f32_e32 v123, v7, v159
	;; [unrolled: 1-line block ×5, first 2 shown]
	ds_read2_b64 v[5:8], v10 offset0:95 offset1:96
	s_waitcnt vmcnt(30) lgkmcnt(1)
	v_mul_f32_e32 v131, v1, v152
	v_mul_f32_e32 v125, v2, v152
	s_clause 0x3
	buffer_load_dword v152, off, s[0:3], 0 offset:432
	buffer_load_dword v159, off, s[0:3], 0 offset:424
	;; [unrolled: 1-line block ×4, first 2 shown]
	v_fmac_f32_e32 v131, v2, v149
	v_fma_f32 v149, v1, v149, -v125
	v_add_f32_e32 v1, v124, v136
	v_add_f32_e32 v2, v123, v134
	s_waitcnt vmcnt(33)
	v_mul_f32_e32 v134, v3, v165
	v_mul_f32_e32 v123, v4, v165
	v_add_f32_e32 v1, v1, v135
	v_add_f32_e32 v2, v2, v139
	v_fmac_f32_e32 v134, v4, v146
	v_fma_f32 v135, v3, v146, -v123
	v_add_f32_e32 v124, v1, v153
	v_add_f32_e32 v128, v2, v164
	ds_read2_b64 v[1:4], v10 offset0:97 offset1:98
	s_waitcnt vmcnt(32) lgkmcnt(1)
	v_mul_f32_e32 v136, v5, v166
	v_mul_f32_e32 v139, v6, v166
	v_add_f32_e32 v129, v124, v122
	ds_read2_b64 v[122:125], v10 offset0:99 offset1:100
	v_add_f32_e32 v128, v128, v172
	v_fmac_f32_e32 v136, v6, v141
	v_fma_f32 v139, v5, v141, -v139
	v_add_f32_e32 v126, v129, v126
	v_add_f32_e32 v133, v126, v133
	s_waitcnt vmcnt(30)
	v_mul_f32_e32 v146, v7, v130
	v_mul_f32_e32 v129, v8, v130
	v_add_f32_e32 v130, v128, v127
	s_waitcnt vmcnt(26)
	v_fmac_f32_e32 v146, v8, v162
	v_fma_f32 v141, v7, v162, -v129
	v_add_f32_e32 v130, v130, v132
	v_add_f32_e32 v132, v133, v154
	ds_read2_b64 v[5:8], v10 offset0:101 offset1:102
	ds_read2_b64 v[126:129], v10 offset0:103 offset1:104
	v_add_f32_e32 v130, v130, v131
	v_add_f32_e32 v149, v132, v149
	s_waitcnt vmcnt(25) lgkmcnt(3)
	v_mul_f32_e32 v153, v1, v137
	s_waitcnt vmcnt(24)
	v_mul_f32_e32 v154, v3, v138
	v_mul_f32_e32 v133, v2, v137
	;; [unrolled: 1-line block ×3, first 2 shown]
	s_waitcnt vmcnt(23) lgkmcnt(2)
	v_mul_f32_e32 v138, v122, v140
	v_add_f32_e32 v134, v130, v134
	v_add_f32_e32 v149, v149, v135
	v_mul_f32_e32 v140, v123, v140
	v_fmac_f32_e32 v153, v2, v161
	v_fmac_f32_e32 v154, v4, v160
	v_fma_f32 v161, v1, v161, -v133
	v_fma_f32 v160, v3, v160, -v137
	ds_read2_b64 v[1:4], v10 offset0:105 offset1:106
	ds_read2_b64 v[130:133], v10 offset0:107 offset1:108
	v_fmac_f32_e32 v138, v123, v144
	v_add_f32_e32 v123, v134, v136
	ds_read2_b64 v[134:137], v10 offset0:109 offset1:110
	v_add_f32_e32 v10, v149, v139
	v_fma_f32 v122, v122, v144, -v140
	s_waitcnt vmcnt(22)
	v_mul_f32_e32 v139, v124, v11
	v_add_f32_e32 v123, v123, v146
	v_mul_f32_e32 v11, v125, v11
	v_add_f32_e32 v10, v10, v141
	s_waitcnt vmcnt(21) lgkmcnt(4)
	v_mul_f32_e32 v140, v5, v147
	v_mul_f32_e32 v144, v6, v147
	v_add_f32_e32 v123, v123, v153
	s_waitcnt vmcnt(15)
	v_fma_f32 v11, v124, v168, -v11
	v_add_f32_e32 v10, v10, v161
	v_fmac_f32_e32 v139, v125, v168
	v_mul_f32_e32 v141, v7, v148
	v_add_f32_e32 v123, v123, v154
	v_mul_f32_e32 v148, v8, v148
	v_add_f32_e32 v10, v10, v160
	v_fmac_f32_e32 v140, v6, v167
	v_fma_f32 v5, v5, v167, -v144
	s_waitcnt lgkmcnt(3)
	v_mul_f32_e32 v124, v126, v150
	v_fma_f32 v7, v7, v155, -v148
	v_add_f32_e32 v10, v10, v122
	v_add_f32_e32 v122, v123, v138
	v_fmac_f32_e32 v141, v8, v155
	s_waitcnt vmcnt(14)
	v_mul_f32_e32 v8, v129, v145
	v_mul_f32_e32 v125, v128, v145
	v_add_f32_e32 v6, v10, v11
	v_add_f32_e32 v10, v122, v139
	v_mul_f32_e32 v11, v127, v150
	v_fmac_f32_e32 v124, v127, v151
	s_waitcnt vmcnt(13) lgkmcnt(2)
	v_mul_f32_e32 v146, v1, v156
	v_add_f32_e32 v5, v6, v5
	v_add_f32_e32 v6, v10, v140
	v_fma_f32 v10, v126, v151, -v11
	s_waitcnt vmcnt(4)
	v_fma_f32 v8, v128, v175, -v8
	v_fmac_f32_e32 v125, v129, v175
	v_add_f32_e32 v5, v5, v7
	v_add_f32_e32 v6, v6, v141
	v_mul_f32_e32 v7, v2, v156
	v_fmac_f32_e32 v146, v2, v171
	v_mul_f32_e32 v147, v3, v173
	v_add_f32_e32 v5, v5, v10
	v_add_f32_e32 v6, v6, v124
	v_mul_f32_e32 v10, v4, v173
	v_fma_f32 v1, v1, v171, -v7
	s_waitcnt lgkmcnt(1)
	v_mul_f32_e32 v149, v130, v174
	v_add_f32_e32 v2, v5, v8
	v_add_f32_e32 v5, v6, v125
	v_mul_f32_e32 v6, v131, v174
	v_fma_f32 v3, v3, v158, -v10
	v_fmac_f32_e32 v147, v4, v158
	v_add_f32_e32 v1, v2, v1
	v_add_f32_e32 v2, v5, v146
	v_mul_f32_e32 v4, v133, v142
	v_fma_f32 v5, v130, v157, -v6
	v_mul_f32_e32 v153, v132, v142
	v_add_f32_e32 v1, v1, v3
	v_fmac_f32_e32 v149, v131, v157
	v_add_f32_e32 v2, v2, v147
	s_waitcnt lgkmcnt(0)
	v_mul_f32_e32 v3, v135, v170
	s_waitcnt vmcnt(1)
	v_fma_f32 v4, v132, v163, -v4
	v_add_f32_e32 v1, v1, v5
	v_mul_f32_e32 v154, v134, v170
	v_fmac_f32_e32 v153, v133, v163
	v_add_f32_e32 v2, v2, v149
	v_mul_f32_e32 v5, v137, v143
	v_fma_f32 v3, v134, v159, -v3
	v_add_f32_e32 v1, v1, v4
	v_mul_f32_e32 v123, v136, v143
	v_fmac_f32_e32 v154, v135, v159
	v_add_f32_e32 v2, v2, v153
	v_fma_f32 v4, v136, v152, -v5
	v_add_f32_e32 v1, v1, v3
	v_fmac_f32_e32 v123, v137, v152
	v_add_f32_e32 v2, v2, v154
	v_add_f32_e32 v1, v1, v4
	;; [unrolled: 1-line block ×3, first 2 shown]
	s_waitcnt vmcnt(0)
	v_sub_f32_e32 v1, v176, v1
	v_sub_f32_e32 v2, v169, v2
	buffer_store_dword v1, off, s[0:3], 0 offset:160
	buffer_store_dword v2, off, s[0:3], 0 offset:164
	v_cmpx_lt_u32_e32 19, v0
	s_cbranch_execz .LBB118_305
; %bb.304:
	s_clause 0x1
	buffer_load_dword v1, off, s[0:3], 0 offset:152
	buffer_load_dword v2, off, s[0:3], 0 offset:156
	v_mov_b32_e32 v3, 0
	buffer_store_dword v3, off, s[0:3], 0 offset:152
	buffer_store_dword v3, off, s[0:3], 0 offset:156
	s_waitcnt vmcnt(0)
	ds_write_b64 v9, v[1:2]
.LBB118_305:
	s_or_b32 exec_lo, exec_lo, s4
	s_waitcnt lgkmcnt(0)
	s_waitcnt_vscnt null, 0x0
	s_barrier
	buffer_gl0_inv
	s_clause 0x2a
	buffer_load_dword v2, off, s[0:3], 0 offset:164
	buffer_load_dword v3, off, s[0:3], 0 offset:172
	;; [unrolled: 1-line block ×43, first 2 shown]
	v_mov_b32_e32 v1, 0
	ds_read_b128 v[4:7], v1 offset:608
	ds_read_b128 v[122:125], v1 offset:624
	;; [unrolled: 1-line block ×3, first 2 shown]
	buffer_load_dword v171, off, s[0:3], 0 offset:156
	s_mov_b32 s4, exec_lo
	s_waitcnt vmcnt(43) lgkmcnt(2)
	v_mul_f32_e32 v168, v5, v2
	v_mul_f32_e32 v169, v4, v2
	s_waitcnt vmcnt(42)
	v_mul_f32_e32 v170, v6, v3
	v_mul_f32_e32 v2, v7, v3
	s_waitcnt vmcnt(39)
	v_fma_f32 v168, v4, v11, -v168
	v_fmac_f32_e32 v169, v5, v11
	v_fmac_f32_e32 v170, v7, v10
	v_fma_f32 v6, v6, v10, -v2
	ds_read_b128 v[2:5], v1 offset:656
	s_waitcnt vmcnt(38) lgkmcnt(2)
	v_mul_f32_e32 v7, v122, v130
	v_mul_f32_e32 v10, v123, v130
	s_waitcnt vmcnt(37)
	v_mul_f32_e32 v11, v124, v131
	v_mul_f32_e32 v130, v125, v131
	s_waitcnt vmcnt(32) lgkmcnt(1)
	v_mul_f32_e32 v131, v127, v136
	v_fmac_f32_e32 v7, v123, v8
	v_fma_f32 v8, v122, v8, -v10
	v_fmac_f32_e32 v11, v125, v135
	v_fma_f32 v10, v124, v135, -v130
	ds_read_b128 v[122:125], v1 offset:672
	v_mul_f32_e32 v130, v126, v136
	s_waitcnt vmcnt(31)
	v_mul_f32_e32 v135, v128, v137
	v_mul_f32_e32 v136, v129, v137
	v_fma_f32 v131, v126, v134, -v131
	v_fmac_f32_e32 v130, v127, v134
	v_fmac_f32_e32 v135, v129, v133
	v_fma_f32 v133, v128, v133, -v136
	ds_read_b128 v[126:129], v1 offset:688
	s_waitcnt vmcnt(30) lgkmcnt(2)
	v_mul_f32_e32 v134, v2, v138
	v_mul_f32_e32 v137, v3, v138
	s_waitcnt vmcnt(29)
	v_mul_f32_e32 v136, v4, v139
	v_mul_f32_e32 v138, v5, v139
	v_fmac_f32_e32 v134, v3, v132
	v_fma_f32 v132, v2, v132, -v137
	s_waitcnt vmcnt(24)
	v_fmac_f32_e32 v136, v5, v144
	v_fma_f32 v138, v4, v144, -v138
	ds_read_b128 v[2:5], v1 offset:704
	s_waitcnt lgkmcnt(2)
	v_mul_f32_e32 v137, v122, v140
	v_mul_f32_e32 v139, v123, v140
	s_waitcnt vmcnt(23)
	v_mul_f32_e32 v140, v124, v145
	v_mul_f32_e32 v144, v125, v145
	v_fmac_f32_e32 v137, v123, v143
	v_fma_f32 v139, v122, v143, -v139
	v_fmac_f32_e32 v140, v125, v142
	v_fma_f32 v142, v124, v142, -v144
	s_waitcnt vmcnt(22) lgkmcnt(1)
	v_mul_f32_e32 v143, v126, v146
	v_mul_f32_e32 v144, v127, v146
	ds_read_b128 v[122:125], v1 offset:720
	s_waitcnt vmcnt(21)
	v_mul_f32_e32 v145, v128, v147
	v_mul_f32_e32 v146, v129, v147
	v_fmac_f32_e32 v143, v127, v141
	v_fma_f32 v141, v126, v141, -v144
	buffer_load_dword v144, off, s[0:3], 0 offset:324
	s_waitcnt vmcnt(18)
	v_fmac_f32_e32 v145, v129, v151
	v_fma_f32 v146, v128, v151, -v146
	s_waitcnt vmcnt(17) lgkmcnt(1)
	v_mul_f32_e32 v147, v2, v152
	v_mul_f32_e32 v126, v3, v152
	s_waitcnt vmcnt(16)
	v_mul_f32_e32 v151, v4, v153
	v_mul_f32_e32 v127, v5, v153
	v_fmac_f32_e32 v147, v3, v150
	v_fma_f32 v150, v2, v150, -v126
	v_fmac_f32_e32 v151, v5, v149
	v_fma_f32 v149, v4, v149, -v127
	ds_read_b128 v[2:5], v1 offset:736
	s_waitcnt vmcnt(15) lgkmcnt(1)
	v_mul_f32_e32 v152, v122, v154
	v_mul_f32_e32 v128, v123, v154
	s_waitcnt vmcnt(14)
	v_mul_f32_e32 v153, v124, v155
	v_mul_f32_e32 v154, v125, v155
	v_fmac_f32_e32 v152, v123, v148
	v_fma_f32 v148, v122, v148, -v128
	ds_read_b128 v[126:129], v1 offset:752
	s_waitcnt vmcnt(10)
	v_fmac_f32_e32 v153, v125, v159
	v_fma_f32 v154, v124, v159, -v154
	s_clause 0x1
	buffer_load_dword v155, off, s[0:3], 0 offset:332
	buffer_load_dword v159, off, s[0:3], 0 offset:340
	s_waitcnt vmcnt(11) lgkmcnt(1)
	v_mul_f32_e32 v172, v2, v160
	v_mul_f32_e32 v122, v3, v160
	buffer_load_dword v160, off, s[0:3], 0 offset:348
	s_waitcnt vmcnt(11)
	v_mul_f32_e32 v173, v4, v161
	v_mul_f32_e32 v123, v5, v161
	v_fmac_f32_e32 v172, v3, v158
	v_fma_f32 v158, v2, v158, -v122
	v_fmac_f32_e32 v173, v5, v157
	v_fma_f32 v157, v4, v157, -v123
	s_waitcnt vmcnt(10) lgkmcnt(0)
	v_mul_f32_e32 v161, v126, v162
	v_mul_f32_e32 v2, v127, v162
	s_clause 0x3
	buffer_load_dword v162, off, s[0:3], 0 offset:368
	buffer_load_dword v174, off, s[0:3], 0 offset:360
	;; [unrolled: 1-line block ×4, first 2 shown]
	s_waitcnt vmcnt(13)
	v_mul_f32_e32 v177, v128, v163
	v_mul_f32_e32 v3, v129, v163
	s_clause 0x1
	buffer_load_dword v163, off, s[0:3], 0 offset:356
	buffer_load_dword v178, off, s[0:3], 0 offset:364
	v_fmac_f32_e32 v161, v127, v156
	v_fma_f32 v156, v126, v156, -v2
	s_waitcnt vmcnt(11)
	v_fmac_f32_e32 v177, v129, v167
	v_fma_f32 v167, v128, v167, -v3
	v_add_f32_e32 v2, 0, v168
	v_add_f32_e32 v3, 0, v169
	s_clause 0x4
	buffer_load_dword v168, off, s[0:3], 0 offset:372
	buffer_load_dword v169, off, s[0:3], 0 offset:380
	;; [unrolled: 1-line block ×5, first 2 shown]
	v_add_f32_e32 v2, v2, v6
	v_add_f32_e32 v3, v3, v170
	;; [unrolled: 1-line block ×4, first 2 shown]
	s_clause 0x1
	buffer_load_dword v8, off, s[0:3], 0 offset:412
	buffer_load_dword v170, off, s[0:3], 0 offset:420
	v_add_f32_e32 v2, v2, v10
	s_clause 0x1
	buffer_load_dword v10, off, s[0:3], 0 offset:428
	buffer_load_dword v182, off, s[0:3], 0 offset:436
	v_add_f32_e32 v3, v3, v11
	s_clause 0x3
	buffer_load_dword v11, off, s[0:3], 0 offset:400
	buffer_load_dword v183, off, s[0:3], 0 offset:392
	;; [unrolled: 1-line block ×4, first 2 shown]
	v_add_f32_e32 v2, v2, v131
	v_add_f32_e32 v3, v3, v130
	;; [unrolled: 1-line block ×7, first 2 shown]
	s_clause 0x4
	buffer_load_dword v138, off, s[0:3], 0 offset:432
	buffer_load_dword v186, off, s[0:3], 0 offset:424
	;; [unrolled: 1-line block ×5, first 2 shown]
	v_add_f32_e32 v3, v3, v136
	ds_read_b128 v[122:125], v1 offset:784
	v_add_f32_e32 v2, v2, v139
	v_add_f32_e32 v3, v3, v137
	;; [unrolled: 1-line block ×4, first 2 shown]
	ds_read_b128 v[2:5], v1 offset:768
	v_add_f32_e32 v6, v6, v141
	v_add_f32_e32 v7, v7, v143
	;; [unrolled: 1-line block ×8, first 2 shown]
	s_waitcnt vmcnt(27) lgkmcnt(0)
	v_mul_f32_e32 v139, v2, v144
	v_mul_f32_e32 v126, v3, v144
	v_fmac_f32_e32 v139, v3, v166
	v_add_f32_e32 v3, v6, v148
	v_add_f32_e32 v6, v7, v152
	v_fma_f32 v141, v2, v166, -v126
	v_add_f32_e32 v7, v3, v154
	v_add_f32_e32 v6, v6, v153
	;; [unrolled: 1-line block ×6, first 2 shown]
	s_waitcnt vmcnt(26)
	v_mul_f32_e32 v140, v4, v155
	v_mul_f32_e32 v127, v5, v155
	v_add_f32_e32 v7, v7, v156
	v_add_f32_e32 v147, v6, v161
	s_waitcnt vmcnt(25)
	v_mul_f32_e32 v134, v123, v159
	v_fmac_f32_e32 v140, v5, v165
	v_fma_f32 v142, v4, v165, -v127
	ds_read_b128 v[2:5], v1 offset:800
	ds_read_b128 v[126:129], v1 offset:816
	v_add_f32_e32 v148, v7, v167
	v_add_f32_e32 v147, v147, v177
	v_mul_f32_e32 v143, v122, v159
	s_waitcnt vmcnt(24)
	v_mul_f32_e32 v145, v125, v160
	v_fma_f32 v146, v122, v164, -v134
	v_add_f32_e32 v141, v148, v141
	v_add_f32_e32 v139, v147, v139
	v_mul_f32_e32 v144, v124, v160
	v_fmac_f32_e32 v143, v123, v164
	ds_read_b128 v[130:133], v1 offset:832
	ds_read_b128 v[134:137], v1 offset:848
	v_add_f32_e32 v141, v141, v142
	v_add_f32_e32 v139, v139, v140
	s_waitcnt vmcnt(20)
	v_fma_f32 v145, v124, v176, -v145
	v_fmac_f32_e32 v144, v125, v176
	ds_read_b128 v[122:125], v1 offset:864
	ds_read_b64 v[6:7], v1 offset:880
	v_add_f32_e32 v141, v141, v146
	v_add_f32_e32 v139, v139, v143
	s_waitcnt vmcnt(19) lgkmcnt(5)
	v_mul_f32_e32 v148, v3, v163
	v_mul_f32_e32 v149, v2, v163
	s_waitcnt vmcnt(18)
	v_mul_f32_e32 v151, v5, v178
	v_add_f32_e32 v141, v141, v145
	v_mul_f32_e32 v150, v4, v178
	v_fma_f32 v2, v2, v175, -v148
	v_fmac_f32_e32 v149, v3, v175
	v_add_f32_e32 v139, v139, v144
	s_waitcnt vmcnt(17) lgkmcnt(4)
	v_mul_f32_e32 v148, v127, v168
	v_fma_f32 v4, v4, v174, -v151
	v_add_f32_e32 v2, v141, v2
	v_mul_f32_e32 v147, v126, v168
	v_fmac_f32_e32 v150, v5, v174
	v_add_f32_e32 v5, v139, v149
	s_waitcnt vmcnt(16)
	v_mul_f32_e32 v139, v129, v169
	v_fma_f32 v126, v126, v162, -v148
	v_add_f32_e32 v2, v2, v4
	v_mul_f32_e32 v142, v128, v169
	v_fmac_f32_e32 v147, v127, v162
	v_add_f32_e32 v4, v5, v150
	s_waitcnt vmcnt(15) lgkmcnt(3)
	v_mul_f32_e32 v5, v131, v179
	s_waitcnt vmcnt(5)
	v_fma_f32 v127, v128, v185, -v139
	v_add_f32_e32 v2, v2, v126
	v_mul_f32_e32 v152, v130, v179
	v_fmac_f32_e32 v142, v129, v185
	v_add_f32_e32 v4, v4, v147
	v_mul_f32_e32 v126, v133, v180
	v_fma_f32 v5, v130, v184, -v5
	v_add_f32_e32 v2, v2, v127
	v_mul_f32_e32 v140, v132, v180
	v_fmac_f32_e32 v152, v131, v184
	v_add_f32_e32 v4, v4, v142
	s_waitcnt lgkmcnt(2)
	v_mul_f32_e32 v127, v135, v181
	v_fma_f32 v126, v132, v183, -v126
	v_add_f32_e32 v2, v2, v5
	v_mul_f32_e32 v146, v134, v181
	v_fmac_f32_e32 v140, v133, v183
	v_add_f32_e32 v4, v4, v152
	v_mul_f32_e32 v3, v136, v8
	v_mul_f32_e32 v5, v137, v8
	v_fma_f32 v8, v134, v11, -v127
	v_add_f32_e32 v2, v2, v126
	v_fmac_f32_e32 v146, v135, v11
	v_add_f32_e32 v4, v4, v140
	s_waitcnt lgkmcnt(1)
	v_mul_f32_e32 v11, v123, v170
	s_waitcnt vmcnt(1)
	v_fma_f32 v5, v136, v188, -v5
	v_add_f32_e32 v2, v2, v8
	v_mul_f32_e32 v143, v122, v170
	v_fmac_f32_e32 v3, v137, v188
	v_add_f32_e32 v4, v4, v146
	v_mul_f32_e32 v145, v124, v10
	v_mul_f32_e32 v8, v125, v10
	v_fma_f32 v10, v122, v187, -v11
	v_add_f32_e32 v2, v2, v5
	v_fmac_f32_e32 v143, v123, v187
	v_add_f32_e32 v3, v4, v3
	s_waitcnt lgkmcnt(0)
	v_mul_f32_e32 v4, v7, v182
	v_fma_f32 v5, v124, v186, -v8
	v_add_f32_e32 v2, v2, v10
	v_mul_f32_e32 v144, v6, v182
	v_fmac_f32_e32 v145, v125, v186
	v_add_f32_e32 v3, v3, v143
	v_fma_f32 v4, v6, v138, -v4
	v_add_f32_e32 v2, v2, v5
	v_fmac_f32_e32 v144, v7, v138
	v_add_f32_e32 v3, v3, v145
	v_add_f32_e32 v2, v2, v4
	;; [unrolled: 1-line block ×3, first 2 shown]
	s_waitcnt vmcnt(0)
	v_sub_f32_e32 v2, v189, v2
	v_sub_f32_e32 v3, v171, v3
	buffer_store_dword v2, off, s[0:3], 0 offset:152
	buffer_store_dword v3, off, s[0:3], 0 offset:156
	v_cmpx_lt_u32_e32 18, v0
	s_cbranch_execz .LBB118_307
; %bb.306:
	s_clause 0x1
	buffer_load_dword v2, off, s[0:3], 0 offset:144
	buffer_load_dword v3, off, s[0:3], 0 offset:148
	buffer_store_dword v1, off, s[0:3], 0 offset:144
	buffer_store_dword v1, off, s[0:3], 0 offset:148
	s_waitcnt vmcnt(0)
	ds_write_b64 v9, v[2:3]
.LBB118_307:
	s_or_b32 exec_lo, exec_lo, s4
	s_waitcnt lgkmcnt(0)
	s_waitcnt_vscnt null, 0x0
	s_barrier
	buffer_gl0_inv
	s_clause 0x2a
	buffer_load_dword v2, off, s[0:3], 0 offset:156
	buffer_load_dword v3, off, s[0:3], 0 offset:164
	;; [unrolled: 1-line block ×43, first 2 shown]
	ds_read2_b64 v[4:7], v1 offset0:75 offset1:76
	ds_read2_b64 v[122:125], v1 offset0:77 offset1:78
	;; [unrolled: 1-line block ×3, first 2 shown]
	buffer_load_dword v171, off, s[0:3], 0 offset:148
	s_mov_b32 s4, exec_lo
	s_waitcnt vmcnt(43) lgkmcnt(2)
	v_mul_f32_e32 v168, v5, v2
	v_mul_f32_e32 v169, v4, v2
	s_waitcnt vmcnt(42)
	v_mul_f32_e32 v2, v7, v3
	v_mul_f32_e32 v170, v6, v3
	s_waitcnt vmcnt(39)
	v_fma_f32 v168, v4, v11, -v168
	v_fmac_f32_e32 v169, v5, v11
	v_fma_f32 v6, v6, v10, -v2
	ds_read2_b64 v[2:5], v1 offset0:81 offset1:82
	v_fmac_f32_e32 v170, v7, v10
	s_waitcnt vmcnt(38) lgkmcnt(2)
	v_mul_f32_e32 v7, v122, v130
	v_mul_f32_e32 v10, v123, v130
	s_waitcnt vmcnt(37)
	v_mul_f32_e32 v11, v124, v131
	v_mul_f32_e32 v130, v125, v131
	s_waitcnt vmcnt(32) lgkmcnt(1)
	v_mul_f32_e32 v131, v127, v136
	v_fmac_f32_e32 v7, v123, v8
	v_fma_f32 v8, v122, v8, -v10
	v_fmac_f32_e32 v11, v125, v135
	v_fma_f32 v10, v124, v135, -v130
	ds_read2_b64 v[122:125], v1 offset0:83 offset1:84
	v_mul_f32_e32 v130, v126, v136
	s_waitcnt vmcnt(31)
	v_mul_f32_e32 v135, v128, v137
	v_mul_f32_e32 v136, v129, v137
	v_fma_f32 v131, v126, v134, -v131
	v_fmac_f32_e32 v130, v127, v134
	v_fmac_f32_e32 v135, v129, v133
	v_fma_f32 v133, v128, v133, -v136
	ds_read2_b64 v[126:129], v1 offset0:85 offset1:86
	s_waitcnt vmcnt(30) lgkmcnt(2)
	v_mul_f32_e32 v134, v2, v138
	v_mul_f32_e32 v136, v3, v138
	s_waitcnt vmcnt(29)
	v_mul_f32_e32 v137, v4, v139
	v_mul_f32_e32 v138, v5, v139
	v_fmac_f32_e32 v134, v3, v132
	v_fma_f32 v132, v2, v132, -v136
	s_waitcnt vmcnt(25)
	v_fmac_f32_e32 v137, v5, v143
	v_fma_f32 v136, v4, v143, -v138
	ds_read2_b64 v[2:5], v1 offset0:87 offset1:88
	s_waitcnt vmcnt(24) lgkmcnt(2)
	v_mul_f32_e32 v138, v122, v144
	v_mul_f32_e32 v139, v123, v144
	s_waitcnt vmcnt(23)
	v_mul_f32_e32 v143, v124, v145
	v_mul_f32_e32 v144, v125, v145
	v_fmac_f32_e32 v138, v123, v142
	v_fma_f32 v139, v122, v142, -v139
	v_fmac_f32_e32 v143, v125, v141
	v_fma_f32 v141, v124, v141, -v144
	ds_read2_b64 v[122:125], v1 offset0:89 offset1:90
	s_waitcnt vmcnt(22) lgkmcnt(2)
	v_mul_f32_e32 v142, v126, v146
	v_mul_f32_e32 v144, v127, v146
	s_waitcnt vmcnt(21)
	v_mul_f32_e32 v145, v128, v147
	v_mul_f32_e32 v146, v129, v147
	v_fmac_f32_e32 v142, v127, v140
	v_fma_f32 v140, v126, v140, -v144
	s_waitcnt vmcnt(17)
	v_fmac_f32_e32 v145, v129, v151
	v_fma_f32 v144, v128, v151, -v146
	s_waitcnt vmcnt(16) lgkmcnt(1)
	v_mul_f32_e32 v146, v2, v152
	v_mul_f32_e32 v147, v3, v152
	s_waitcnt vmcnt(15)
	v_mul_f32_e32 v151, v4, v153
	v_mul_f32_e32 v152, v5, v153
	ds_read2_b64 v[126:129], v1 offset0:91 offset1:92
	v_fmac_f32_e32 v146, v3, v150
	v_fma_f32 v147, v2, v150, -v147
	v_fmac_f32_e32 v151, v5, v149
	v_fma_f32 v149, v4, v149, -v152
	s_clause 0x1
	buffer_load_dword v150, off, s[0:3], 0 offset:316
	buffer_load_dword v152, off, s[0:3], 0 offset:324
	s_waitcnt vmcnt(16) lgkmcnt(1)
	v_mul_f32_e32 v153, v122, v154
	v_mul_f32_e32 v2, v123, v154
	s_waitcnt vmcnt(15)
	v_mul_f32_e32 v154, v124, v155
	v_mul_f32_e32 v3, v125, v155
	v_fmac_f32_e32 v153, v123, v148
	v_fma_f32 v148, v122, v148, -v2
	s_waitcnt vmcnt(11)
	v_fmac_f32_e32 v154, v125, v159
	v_fma_f32 v155, v124, v159, -v3
	buffer_load_dword v159, off, s[0:3], 0 offset:332
	ds_read2_b64 v[2:5], v1 offset0:93 offset1:94
	s_waitcnt vmcnt(11) lgkmcnt(1)
	v_mul_f32_e32 v172, v126, v160
	v_mul_f32_e32 v122, v127, v160
	s_waitcnt vmcnt(10)
	v_mul_f32_e32 v160, v128, v161
	v_mul_f32_e32 v123, v129, v161
	s_clause 0x5
	buffer_load_dword v161, off, s[0:3], 0 offset:340
	buffer_load_dword v173, off, s[0:3], 0 offset:360
	;; [unrolled: 1-line block ×6, first 2 shown]
	v_fmac_f32_e32 v172, v127, v158
	v_fma_f32 v158, v126, v158, -v122
	v_fmac_f32_e32 v160, v129, v157
	v_fma_f32 v157, v128, v157, -v123
	s_waitcnt vmcnt(15) lgkmcnt(0)
	v_mul_f32_e32 v177, v2, v162
	v_mul_f32_e32 v122, v3, v162
	s_waitcnt vmcnt(14)
	v_mul_f32_e32 v162, v4, v163
	v_fmac_f32_e32 v177, v3, v156
	v_add_f32_e32 v3, 0, v168
	v_fma_f32 v156, v2, v156, -v122
	v_add_f32_e32 v2, 0, v169
	v_mul_f32_e32 v122, v5, v163
	s_clause 0x1
	buffer_load_dword v163, off, s[0:3], 0 offset:364
	buffer_load_dword v168, off, s[0:3], 0 offset:372
	v_add_f32_e32 v3, v3, v6
	buffer_load_dword v6, off, s[0:3], 0 offset:356
	v_add_f32_e32 v2, v2, v170
	s_waitcnt vmcnt(13)
	v_fmac_f32_e32 v162, v5, v167
	v_fma_f32 v167, v4, v167, -v122
	v_add_f32_e32 v3, v3, v8
	v_add_f32_e32 v2, v2, v7
	s_clause 0x2
	buffer_load_dword v7, off, s[0:3], 0 offset:380
	buffer_load_dword v8, off, s[0:3], 0 offset:388
	;; [unrolled: 1-line block ×3, first 2 shown]
	v_add_f32_e32 v3, v3, v10
	v_add_f32_e32 v2, v2, v11
	s_clause 0xe
	buffer_load_dword v10, off, s[0:3], 0 offset:404
	buffer_load_dword v11, off, s[0:3], 0 offset:412
	;; [unrolled: 1-line block ×15, first 2 shown]
	v_add_f32_e32 v3, v3, v131
	v_add_f32_e32 v2, v2, v130
	;; [unrolled: 1-line block ×14, first 2 shown]
	ds_read2_b64 v[2:5], v1 offset0:95 offset1:96
	v_add_f32_e32 v122, v122, v144
	v_add_f32_e32 v123, v123, v145
	;; [unrolled: 1-line block ×4, first 2 shown]
	ds_read2_b64 v[122:125], v1 offset0:97 offset1:98
	v_add_f32_e32 v126, v126, v149
	v_add_f32_e32 v127, v127, v151
	;; [unrolled: 1-line block ×10, first 2 shown]
	s_waitcnt vmcnt(29) lgkmcnt(1)
	v_mul_f32_e32 v142, v2, v150
	v_mul_f32_e32 v128, v3, v150
	s_waitcnt vmcnt(28)
	v_mul_f32_e32 v143, v4, v152
	v_mul_f32_e32 v129, v5, v152
	v_add_f32_e32 v150, v139, v162
	v_fmac_f32_e32 v142, v3, v166
	v_fma_f32 v138, v2, v166, -v128
	v_fmac_f32_e32 v143, v5, v165
	v_fma_f32 v144, v4, v165, -v129
	ds_read2_b64 v[2:5], v1 offset0:99 offset1:100
	ds_read2_b64 v[126:129], v1 offset0:101 offset1:102
	s_waitcnt vmcnt(27) lgkmcnt(2)
	v_mul_f32_e32 v145, v122, v159
	v_mul_f32_e32 v132, v123, v159
	v_fmac_f32_e32 v145, v123, v164
	v_add_f32_e32 v123, v131, v157
	v_fma_f32 v147, v122, v164, -v132
	s_waitcnt vmcnt(26)
	v_mul_f32_e32 v146, v124, v161
	v_mul_f32_e32 v133, v125, v161
	v_add_f32_e32 v135, v123, v156
	s_waitcnt vmcnt(22)
	v_fmac_f32_e32 v146, v125, v176
	v_fma_f32 v148, v124, v176, -v133
	v_add_f32_e32 v141, v135, v167
	ds_read2_b64 v[122:125], v1 offset0:103 offset1:104
	ds_read2_b64 v[130:133], v1 offset0:105 offset1:106
	s_waitcnt vmcnt(21) lgkmcnt(3)
	v_mul_f32_e32 v149, v2, v178
	v_mul_f32_e32 v140, v3, v178
	ds_read2_b64 v[134:137], v1 offset0:107 offset1:108
	v_fmac_f32_e32 v149, v3, v175
	v_add_f32_e32 v3, v141, v138
	v_fma_f32 v2, v2, v175, -v140
	ds_read2_b64 v[138:141], v1 offset0:109 offset1:110
	v_add_f32_e32 v1, v150, v142
	v_add_f32_e32 v3, v3, v144
	s_waitcnt vmcnt(20) lgkmcnt(4)
	v_mul_f32_e32 v150, v127, v163
	v_add_f32_e32 v1, v1, v143
	v_mul_f32_e32 v144, v126, v163
	v_add_f32_e32 v3, v3, v147
	s_waitcnt vmcnt(18)
	v_mul_f32_e32 v142, v4, v6
	v_mul_f32_e32 v6, v5, v6
	v_add_f32_e32 v1, v1, v145
	v_fma_f32 v126, v126, v173, -v150
	v_add_f32_e32 v3, v3, v148
	v_fmac_f32_e32 v142, v5, v174
	v_fma_f32 v4, v4, v174, -v6
	v_add_f32_e32 v1, v1, v146
	v_mul_f32_e32 v146, v129, v168
	v_add_f32_e32 v2, v3, v2
	v_mul_f32_e32 v143, v128, v168
	v_fmac_f32_e32 v144, v127, v173
	v_add_f32_e32 v1, v1, v149
	s_waitcnt vmcnt(17) lgkmcnt(3)
	v_mul_f32_e32 v5, v122, v7
	v_add_f32_e32 v2, v2, v4
	v_mul_f32_e32 v4, v123, v7
	s_waitcnt vmcnt(6)
	v_fma_f32 v7, v128, v184, -v146
	v_add_f32_e32 v1, v1, v142
	v_fmac_f32_e32 v143, v129, v184
	v_add_f32_e32 v2, v2, v126
	v_mul_f32_e32 v6, v124, v8
	v_mul_f32_e32 v8, v125, v8
	v_add_f32_e32 v1, v1, v144
	v_fma_f32 v4, v122, v183, -v4
	v_add_f32_e32 v2, v2, v7
	v_fmac_f32_e32 v5, v123, v183
	s_waitcnt lgkmcnt(2)
	v_mul_f32_e32 v7, v131, v169
	v_add_f32_e32 v1, v1, v143
	v_fma_f32 v8, v124, v182, -v8
	v_add_f32_e32 v2, v2, v4
	v_mul_f32_e32 v145, v130, v169
	v_fmac_f32_e32 v6, v125, v182
	v_add_f32_e32 v1, v1, v5
	v_mul_f32_e32 v4, v133, v10
	v_fma_f32 v5, v130, v181, -v7
	v_add_f32_e32 v2, v2, v8
	v_mul_f32_e32 v147, v132, v10
	v_fmac_f32_e32 v145, v131, v181
	v_add_f32_e32 v1, v1, v6
	s_waitcnt lgkmcnt(1)
	v_mul_f32_e32 v6, v135, v11
	s_waitcnt vmcnt(2)
	v_fma_f32 v4, v132, v188, -v4
	v_add_f32_e32 v2, v2, v5
	v_mul_f32_e32 v151, v134, v11
	v_fmac_f32_e32 v147, v133, v188
	v_add_f32_e32 v1, v1, v145
	v_mul_f32_e32 v5, v137, v170
	v_fma_f32 v6, v134, v187, -v6
	v_add_f32_e32 v2, v2, v4
	v_mul_f32_e32 v148, v136, v170
	v_fmac_f32_e32 v151, v135, v187
	v_add_f32_e32 v1, v1, v147
	s_waitcnt lgkmcnt(0)
	v_mul_f32_e32 v4, v139, v179
	v_fma_f32 v5, v136, v186, -v5
	v_add_f32_e32 v2, v2, v6
	v_mul_f32_e32 v152, v138, v179
	v_fmac_f32_e32 v148, v137, v186
	v_add_f32_e32 v1, v1, v151
	v_mul_f32_e32 v6, v141, v180
	v_fma_f32 v4, v138, v185, -v4
	v_add_f32_e32 v2, v2, v5
	v_mul_f32_e32 v3, v140, v180
	v_fmac_f32_e32 v152, v139, v185
	v_add_f32_e32 v1, v1, v148
	s_waitcnt vmcnt(1)
	v_fma_f32 v5, v140, v189, -v6
	v_add_f32_e32 v2, v2, v4
	v_fmac_f32_e32 v3, v141, v189
	v_add_f32_e32 v1, v1, v152
	v_add_f32_e32 v2, v2, v5
	;; [unrolled: 1-line block ×3, first 2 shown]
	s_waitcnt vmcnt(0)
	v_sub_f32_e32 v2, v190, v2
	v_sub_f32_e32 v1, v171, v1
	buffer_store_dword v2, off, s[0:3], 0 offset:144
	buffer_store_dword v1, off, s[0:3], 0 offset:148
	v_cmpx_lt_u32_e32 17, v0
	s_cbranch_execz .LBB118_309
; %bb.308:
	s_clause 0x1
	buffer_load_dword v1, off, s[0:3], 0 offset:136
	buffer_load_dword v2, off, s[0:3], 0 offset:140
	v_mov_b32_e32 v3, 0
	buffer_store_dword v3, off, s[0:3], 0 offset:136
	buffer_store_dword v3, off, s[0:3], 0 offset:140
	s_waitcnt vmcnt(0)
	ds_write_b64 v9, v[1:2]
.LBB118_309:
	s_or_b32 exec_lo, exec_lo, s4
	s_waitcnt lgkmcnt(0)
	s_waitcnt_vscnt null, 0x0
	s_barrier
	buffer_gl0_inv
	s_clause 0x2b
	buffer_load_dword v6, off, s[0:3], 0 offset:148
	buffer_load_dword v7, off, s[0:3], 0 offset:160
	;; [unrolled: 1-line block ×44, first 2 shown]
	v_mov_b32_e32 v1, 0
	ds_read_b128 v[2:5], v1 offset:592
	ds_read_b128 v[122:125], v1 offset:608
	;; [unrolled: 1-line block ×3, first 2 shown]
	buffer_load_dword v170, off, s[0:3], 0 offset:140
	s_mov_b32 s4, exec_lo
	s_waitcnt vmcnt(44) lgkmcnt(2)
	v_mul_f32_e32 v169, v3, v6
	v_mul_f32_e32 v6, v2, v6
	s_waitcnt vmcnt(41)
	v_fma_f32 v169, v2, v10, -v169
	v_fmac_f32_e32 v6, v3, v10
	s_waitcnt vmcnt(40)
	v_mul_f32_e32 v10, v4, v11
	v_mul_f32_e32 v2, v5, v11
	s_waitcnt vmcnt(39) lgkmcnt(1)
	v_mul_f32_e32 v11, v122, v130
	v_mul_f32_e32 v130, v123, v130
	v_add_f32_e32 v6, 0, v6
	v_fmac_f32_e32 v10, v5, v8
	v_fma_f32 v8, v4, v8, -v2
	ds_read_b128 v[2:5], v1 offset:640
	v_fmac_f32_e32 v11, v123, v7
	v_fma_f32 v7, v122, v7, -v130
	s_waitcnt vmcnt(38)
	v_mul_f32_e32 v130, v124, v131
	v_mul_f32_e32 v122, v125, v131
	v_add_f32_e32 v6, v6, v10
	s_waitcnt vmcnt(34)
	v_fmac_f32_e32 v130, v125, v135
	v_fma_f32 v131, v124, v135, -v122
	s_waitcnt vmcnt(33) lgkmcnt(1)
	v_mul_f32_e32 v135, v126, v136
	v_mul_f32_e32 v136, v127, v136
	ds_read_b128 v[122:125], v1 offset:656
	v_add_f32_e32 v6, v6, v11
	v_fmac_f32_e32 v135, v127, v134
	v_fma_f32 v134, v126, v134, -v136
	s_waitcnt vmcnt(32)
	v_mul_f32_e32 v136, v128, v137
	v_mul_f32_e32 v126, v129, v137
	v_add_f32_e32 v6, v6, v130
	s_waitcnt vmcnt(31) lgkmcnt(1)
	v_mul_f32_e32 v137, v2, v138
	v_mul_f32_e32 v138, v3, v138
	v_fmac_f32_e32 v136, v129, v133
	v_fma_f32 v133, v128, v133, -v126
	ds_read_b128 v[126:129], v1 offset:672
	v_fmac_f32_e32 v137, v3, v132
	v_fma_f32 v132, v2, v132, -v138
	s_waitcnt vmcnt(30)
	v_mul_f32_e32 v138, v4, v139
	v_mul_f32_e32 v2, v5, v139
	v_add_f32_e32 v6, v6, v135
	s_waitcnt vmcnt(26)
	v_fmac_f32_e32 v138, v5, v143
	v_fma_f32 v139, v4, v143, -v2
	ds_read_b128 v[2:5], v1 offset:688
	s_waitcnt vmcnt(25) lgkmcnt(2)
	v_mul_f32_e32 v143, v122, v144
	v_mul_f32_e32 v144, v123, v144
	v_add_f32_e32 v6, v6, v136
	v_fmac_f32_e32 v143, v123, v142
	v_fma_f32 v142, v122, v142, -v144
	s_waitcnt vmcnt(24)
	v_mul_f32_e32 v144, v124, v145
	v_mul_f32_e32 v122, v125, v145
	s_waitcnt vmcnt(23) lgkmcnt(1)
	v_mul_f32_e32 v145, v126, v146
	v_mul_f32_e32 v146, v127, v146
	v_add_f32_e32 v6, v6, v137
	v_fmac_f32_e32 v144, v125, v141
	v_fma_f32 v141, v124, v141, -v122
	ds_read_b128 v[122:125], v1 offset:704
	v_fmac_f32_e32 v145, v127, v140
	v_fma_f32 v140, v126, v140, -v146
	s_waitcnt vmcnt(22)
	v_mul_f32_e32 v146, v128, v147
	v_mul_f32_e32 v126, v129, v147
	s_waitcnt vmcnt(18)
	v_fmac_f32_e32 v146, v129, v151
	v_fma_f32 v147, v128, v151, -v126
	s_waitcnt vmcnt(17) lgkmcnt(1)
	v_mul_f32_e32 v151, v2, v152
	v_mul_f32_e32 v126, v3, v152
	s_waitcnt vmcnt(16)
	v_mul_f32_e32 v152, v4, v153
	v_mul_f32_e32 v153, v5, v153
	v_fmac_f32_e32 v151, v3, v150
	v_fma_f32 v150, v2, v150, -v126
	ds_read_b128 v[126:129], v1 offset:720
	v_fmac_f32_e32 v152, v5, v149
	v_fma_f32 v149, v4, v149, -v153
	s_clause 0x1
	buffer_load_dword v153, off, s[0:3], 0 offset:316
	buffer_load_dword v171, off, s[0:3], 0 offset:324
	v_add_f32_e32 v4, 0, v169
	s_waitcnt vmcnt(17) lgkmcnt(1)
	v_mul_f32_e32 v172, v122, v154
	v_mul_f32_e32 v2, v123, v154
	s_waitcnt vmcnt(16)
	v_mul_f32_e32 v3, v125, v155
	v_mul_f32_e32 v154, v124, v155
	v_add_f32_e32 v8, v4, v8
	v_fmac_f32_e32 v172, v123, v148
	v_fma_f32 v148, v122, v148, -v2
	s_waitcnt vmcnt(12)
	v_fma_f32 v155, v124, v159, -v3
	ds_read_b128 v[2:5], v1 offset:736
	v_add_f32_e32 v7, v8, v7
	buffer_load_dword v173, off, s[0:3], 0 offset:332
	v_fmac_f32_e32 v154, v125, v159
	v_add_f32_e32 v7, v7, v131
	s_waitcnt vmcnt(12) lgkmcnt(1)
	v_mul_f32_e32 v159, v126, v160
	v_mul_f32_e32 v122, v127, v160
	s_clause 0x3
	buffer_load_dword v8, off, s[0:3], 0 offset:352
	buffer_load_dword v10, off, s[0:3], 0 offset:344
	buffer_load_dword v160, off, s[0:3], 0 offset:336
	buffer_load_dword v169, off, s[0:3], 0 offset:328
	s_waitcnt vmcnt(15)
	v_mul_f32_e32 v131, v128, v161
	v_add_f32_e32 v7, v7, v134
	v_fmac_f32_e32 v159, v127, v158
	v_fma_f32 v126, v126, v158, -v122
	s_clause 0x1
	buffer_load_dword v11, off, s[0:3], 0 offset:340
	buffer_load_dword v158, off, s[0:3], 0 offset:348
	v_mul_f32_e32 v122, v129, v161
	buffer_load_dword v161, off, s[0:3], 0 offset:356
	v_add_f32_e32 v7, v7, v133
	v_fmac_f32_e32 v131, v129, v157
	s_waitcnt vmcnt(17) lgkmcnt(0)
	v_mul_f32_e32 v134, v2, v162
	v_mul_f32_e32 v127, v3, v162
	v_add_f32_e32 v7, v7, v132
	v_fma_f32 v130, v128, v157, -v122
	s_waitcnt vmcnt(16)
	v_mul_f32_e32 v135, v4, v163
	v_mul_f32_e32 v128, v5, v163
	v_fmac_f32_e32 v134, v3, v156
	v_fma_f32 v136, v2, v156, -v127
	v_add_f32_e32 v2, v7, v139
	v_add_f32_e32 v3, v6, v138
	s_clause 0x3
	buffer_load_dword v157, off, s[0:3], 0 offset:364
	buffer_load_dword v174, off, s[0:3], 0 offset:372
	;; [unrolled: 1-line block ×4, first 2 shown]
	ds_read_b128 v[122:125], v1 offset:752
	s_clause 0x3
	buffer_load_dword v138, off, s[0:3], 0 offset:396
	buffer_load_dword v139, off, s[0:3], 0 offset:404
	;; [unrolled: 1-line block ×4, first 2 shown]
	s_waitcnt vmcnt(20)
	v_fmac_f32_e32 v135, v5, v167
	v_fma_f32 v6, v4, v167, -v128
	buffer_load_dword v163, off, s[0:3], 0 offset:428
	v_add_f32_e32 v2, v2, v142
	v_add_f32_e32 v3, v3, v143
	s_clause 0x4
	buffer_load_dword v142, off, s[0:3], 0 offset:384
	buffer_load_dword v143, off, s[0:3], 0 offset:376
	;; [unrolled: 1-line block ×5, first 2 shown]
	v_add_f32_e32 v2, v2, v141
	v_add_f32_e32 v7, v3, v144
	;; [unrolled: 1-line block ×4, first 2 shown]
	ds_read_b128 v[2:5], v1 offset:768
	s_waitcnt vmcnt(25) lgkmcnt(1)
	v_mul_f32_e32 v128, v123, v168
	v_add_f32_e32 v7, v7, v146
	s_clause 0x3
	buffer_load_dword v141, off, s[0:3], 0 offset:416
	buffer_load_dword v144, off, s[0:3], 0 offset:408
	;; [unrolled: 1-line block ×4, first 2 shown]
	v_add_f32_e32 v127, v127, v147
	v_mul_f32_e32 v140, v122, v168
	v_fma_f32 v137, v122, v166, -v128
	v_add_f32_e32 v7, v7, v151
	v_add_f32_e32 v122, v127, v150
	v_fmac_f32_e32 v140, v123, v166
	v_add_f32_e32 v7, v7, v152
	v_add_f32_e32 v122, v122, v149
	s_clause 0x2
	buffer_load_dword v147, off, s[0:3], 0 offset:432
	buffer_load_dword v149, off, s[0:3], 0 offset:424
	;; [unrolled: 1-line block ×3, first 2 shown]
	v_add_f32_e32 v7, v7, v172
	v_add_f32_e32 v127, v122, v148
	;; [unrolled: 1-line block ×6, first 2 shown]
	ds_read_b128 v[126:129], v1 offset:800
	v_add_f32_e32 v7, v7, v131
	v_add_f32_e32 v159, v133, v130
	;; [unrolled: 1-line block ×8, first 2 shown]
	s_waitcnt vmcnt(30)
	v_mul_f32_e32 v148, v124, v153
	v_mul_f32_e32 v122, v125, v153
	s_waitcnt vmcnt(29) lgkmcnt(1)
	v_mul_f32_e32 v132, v3, v171
	v_mul_f32_e32 v152, v2, v171
	v_fmac_f32_e32 v148, v125, v165
	v_fma_f32 v151, v124, v165, -v122
	ds_read_b128 v[122:125], v1 offset:784
	v_fma_f32 v155, v2, v164, -v132
	v_fmac_f32_e32 v152, v3, v164
	v_add_f32_e32 v140, v140, v148
	v_add_f32_e32 v151, v6, v151
	s_waitcnt vmcnt(28)
	v_mul_f32_e32 v154, v5, v173
	v_mul_f32_e32 v153, v4, v173
	v_add_f32_e32 v140, v140, v152
	v_add_f32_e32 v151, v151, v155
	s_waitcnt vmcnt(24)
	v_fma_f32 v154, v4, v169, -v154
	v_fmac_f32_e32 v153, v5, v169
	ds_read_b128 v[2:5], v1 offset:816
	ds_read_b128 v[130:133], v1 offset:832
	;; [unrolled: 1-line block ×3, first 2 shown]
	ds_read_b64 v[6:7], v1 offset:880
	v_add_f32_e32 v151, v151, v154
	v_add_f32_e32 v140, v140, v153
	s_waitcnt vmcnt(23) lgkmcnt(4)
	v_mul_f32_e32 v159, v122, v11
	v_mul_f32_e32 v11, v123, v11
	s_waitcnt vmcnt(22)
	v_mul_f32_e32 v164, v124, v158
	v_mul_f32_e32 v158, v125, v158
	s_waitcnt vmcnt(21)
	v_mul_f32_e32 v155, v127, v161
	v_fmac_f32_e32 v159, v123, v160
	v_fma_f32 v11, v122, v160, -v11
	v_fmac_f32_e32 v164, v125, v10
	v_fma_f32 v10, v124, v10, -v158
	v_mul_f32_e32 v158, v126, v161
	ds_read_b128 v[122:125], v1 offset:864
	v_add_f32_e32 v11, v151, v11
	s_waitcnt vmcnt(20)
	v_mul_f32_e32 v148, v128, v157
	v_mul_f32_e32 v157, v129, v157
	v_fmac_f32_e32 v158, v127, v8
	v_add_f32_e32 v127, v140, v159
	v_fma_f32 v8, v126, v8, -v155
	v_add_f32_e32 v10, v11, v10
	s_waitcnt vmcnt(19) lgkmcnt(4)
	v_mul_f32_e32 v152, v2, v174
	v_mul_f32_e32 v155, v3, v174
	v_add_f32_e32 v127, v127, v164
	s_waitcnt vmcnt(8)
	v_fma_f32 v128, v128, v177, -v157
	v_add_f32_e32 v8, v10, v8
	v_fmac_f32_e32 v148, v129, v177
	v_fmac_f32_e32 v152, v3, v167
	v_add_f32_e32 v10, v127, v158
	v_mul_f32_e32 v127, v5, v175
	v_fma_f32 v2, v2, v167, -v155
	v_add_f32_e32 v3, v8, v128
	v_mul_f32_e32 v154, v4, v175
	v_add_f32_e32 v8, v10, v148
	s_waitcnt lgkmcnt(3)
	v_mul_f32_e32 v10, v131, v176
	v_fma_f32 v4, v4, v143, -v127
	v_add_f32_e32 v2, v3, v2
	v_mul_f32_e32 v160, v130, v176
	v_fmac_f32_e32 v154, v5, v143
	v_add_f32_e32 v3, v8, v152
	v_mul_f32_e32 v5, v133, v138
	v_fma_f32 v8, v130, v142, -v10
	v_add_f32_e32 v2, v2, v4
	v_mul_f32_e32 v153, v132, v138
	v_fmac_f32_e32 v160, v131, v142
	v_add_f32_e32 v3, v3, v154
	s_waitcnt lgkmcnt(2)
	v_mul_f32_e32 v4, v135, v139
	s_waitcnt vmcnt(3)
	v_fma_f32 v5, v132, v146, -v5
	v_add_f32_e32 v2, v2, v8
	v_mul_f32_e32 v151, v134, v139
	v_fmac_f32_e32 v153, v133, v146
	v_add_f32_e32 v3, v3, v160
	v_mul_f32_e32 v8, v137, v156
	v_fma_f32 v4, v134, v145, -v4
	v_add_f32_e32 v2, v2, v5
	v_mul_f32_e32 v126, v136, v156
	v_fmac_f32_e32 v151, v135, v145
	v_add_f32_e32 v3, v3, v153
	s_waitcnt lgkmcnt(0)
	v_mul_f32_e32 v5, v123, v162
	v_fma_f32 v8, v136, v144, -v8
	v_add_f32_e32 v2, v2, v4
	v_mul_f32_e32 v140, v122, v162
	v_fmac_f32_e32 v126, v137, v144
	v_add_f32_e32 v3, v3, v151
	v_mul_f32_e32 v4, v125, v163
	v_fma_f32 v5, v122, v141, -v5
	v_add_f32_e32 v2, v2, v8
	v_mul_f32_e32 v11, v124, v163
	v_fmac_f32_e32 v140, v123, v141
	v_add_f32_e32 v3, v3, v126
	v_mul_f32_e32 v8, v7, v178
	s_waitcnt vmcnt(1)
	v_fma_f32 v4, v124, v149, -v4
	v_add_f32_e32 v2, v2, v5
	v_mul_f32_e32 v159, v6, v178
	v_fmac_f32_e32 v11, v125, v149
	v_add_f32_e32 v3, v3, v140
	v_fma_f32 v5, v6, v147, -v8
	v_add_f32_e32 v2, v2, v4
	v_fmac_f32_e32 v159, v7, v147
	v_add_f32_e32 v3, v3, v11
	v_add_f32_e32 v2, v2, v5
	;; [unrolled: 1-line block ×3, first 2 shown]
	s_waitcnt vmcnt(0)
	v_sub_f32_e32 v2, v150, v2
	v_sub_f32_e32 v3, v170, v3
	buffer_store_dword v2, off, s[0:3], 0 offset:136
	buffer_store_dword v3, off, s[0:3], 0 offset:140
	v_cmpx_lt_u32_e32 16, v0
	s_cbranch_execz .LBB118_311
; %bb.310:
	s_clause 0x1
	buffer_load_dword v2, off, s[0:3], 0 offset:128
	buffer_load_dword v3, off, s[0:3], 0 offset:132
	buffer_store_dword v1, off, s[0:3], 0 offset:128
	buffer_store_dword v1, off, s[0:3], 0 offset:132
	s_waitcnt vmcnt(0)
	ds_write_b64 v9, v[2:3]
.LBB118_311:
	s_or_b32 exec_lo, exec_lo, s4
	s_waitcnt lgkmcnt(0)
	s_waitcnt_vscnt null, 0x0
	s_barrier
	buffer_gl0_inv
	s_clause 0x2b
	buffer_load_dword v6, off, s[0:3], 0 offset:140
	buffer_load_dword v7, off, s[0:3], 0 offset:152
	;; [unrolled: 1-line block ×44, first 2 shown]
	ds_read2_b64 v[2:5], v1 offset0:73 offset1:74
	ds_read2_b64 v[122:125], v1 offset0:75 offset1:76
	;; [unrolled: 1-line block ×3, first 2 shown]
	buffer_load_dword v170, off, s[0:3], 0 offset:132
	s_mov_b32 s4, exec_lo
	s_waitcnt vmcnt(44) lgkmcnt(2)
	v_mul_f32_e32 v169, v3, v6
	v_mul_f32_e32 v6, v2, v6
	s_waitcnt vmcnt(41)
	v_fma_f32 v169, v2, v10, -v169
	v_fmac_f32_e32 v6, v3, v10
	s_waitcnt vmcnt(40)
	v_mul_f32_e32 v10, v4, v11
	v_mul_f32_e32 v2, v5, v11
	s_waitcnt vmcnt(39) lgkmcnt(1)
	v_mul_f32_e32 v11, v122, v130
	v_mul_f32_e32 v130, v123, v130
	v_add_f32_e32 v6, 0, v6
	v_fmac_f32_e32 v10, v5, v8
	v_fma_f32 v8, v4, v8, -v2
	ds_read2_b64 v[2:5], v1 offset0:79 offset1:80
	v_fmac_f32_e32 v11, v123, v7
	v_fma_f32 v7, v122, v7, -v130
	s_waitcnt vmcnt(38)
	v_mul_f32_e32 v130, v124, v131
	v_mul_f32_e32 v122, v125, v131
	v_add_f32_e32 v6, v6, v10
	s_waitcnt vmcnt(34)
	v_fmac_f32_e32 v130, v125, v135
	v_fma_f32 v131, v124, v135, -v122
	ds_read2_b64 v[122:125], v1 offset0:81 offset1:82
	s_waitcnt vmcnt(33) lgkmcnt(2)
	v_mul_f32_e32 v135, v126, v136
	v_mul_f32_e32 v136, v127, v136
	v_add_f32_e32 v6, v6, v11
	v_fmac_f32_e32 v135, v127, v134
	v_fma_f32 v134, v126, v134, -v136
	s_waitcnt vmcnt(32)
	v_mul_f32_e32 v136, v128, v137
	v_mul_f32_e32 v126, v129, v137
	s_waitcnt vmcnt(31) lgkmcnt(1)
	v_mul_f32_e32 v137, v2, v138
	v_mul_f32_e32 v138, v3, v138
	v_add_f32_e32 v6, v6, v130
	v_fmac_f32_e32 v136, v129, v133
	v_fma_f32 v133, v128, v133, -v126
	ds_read2_b64 v[126:129], v1 offset0:83 offset1:84
	v_fmac_f32_e32 v137, v3, v132
	v_fma_f32 v132, v2, v132, -v138
	s_waitcnt vmcnt(30)
	v_mul_f32_e32 v138, v4, v139
	v_mul_f32_e32 v2, v5, v139
	v_add_f32_e32 v6, v6, v135
	s_waitcnt vmcnt(26)
	v_fmac_f32_e32 v138, v5, v143
	v_fma_f32 v139, v4, v143, -v2
	s_waitcnt vmcnt(25) lgkmcnt(1)
	v_mul_f32_e32 v143, v122, v144
	v_mul_f32_e32 v2, v123, v144
	s_waitcnt vmcnt(24)
	v_mul_f32_e32 v144, v124, v145
	v_mul_f32_e32 v145, v125, v145
	v_add_f32_e32 v6, v6, v136
	v_fmac_f32_e32 v143, v123, v142
	v_fma_f32 v142, v122, v142, -v2
	ds_read2_b64 v[2:5], v1 offset0:85 offset1:86
	v_fmac_f32_e32 v144, v125, v141
	v_fma_f32 v141, v124, v141, -v145
	ds_read2_b64 v[122:125], v1 offset0:87 offset1:88
	s_waitcnt vmcnt(23) lgkmcnt(2)
	v_mul_f32_e32 v145, v126, v146
	v_mul_f32_e32 v146, v127, v146
	v_fmac_f32_e32 v145, v127, v140
	v_fma_f32 v126, v126, v140, -v146
	s_waitcnt vmcnt(22)
	v_mul_f32_e32 v127, v128, v147
	v_mul_f32_e32 v140, v129, v147
	s_waitcnt vmcnt(18)
	v_fmac_f32_e32 v127, v129, v151
	v_fma_f32 v128, v128, v151, -v140
	s_clause 0x1
	buffer_load_dword v129, off, s[0:3], 0 offset:308
	buffer_load_dword v140, off, s[0:3], 0 offset:316
	s_waitcnt vmcnt(19) lgkmcnt(1)
	v_mul_f32_e32 v146, v2, v152
	v_mul_f32_e32 v147, v3, v152
	s_waitcnt vmcnt(18)
	v_mul_f32_e32 v151, v4, v153
	v_mul_f32_e32 v152, v5, v153
	s_waitcnt vmcnt(17) lgkmcnt(0)
	v_mul_f32_e32 v153, v122, v154
	v_mul_f32_e32 v154, v123, v154
	v_fmac_f32_e32 v146, v3, v150
	v_fma_f32 v147, v2, v150, -v147
	s_waitcnt vmcnt(16)
	v_mul_f32_e32 v150, v124, v155
	v_mul_f32_e32 v155, v125, v155
	v_fmac_f32_e32 v151, v5, v149
	v_fma_f32 v149, v4, v149, -v152
	ds_read2_b64 v[2:5], v1 offset0:89 offset1:90
	v_fmac_f32_e32 v153, v123, v148
	v_fma_f32 v148, v122, v148, -v154
	s_waitcnt vmcnt(12)
	v_fmac_f32_e32 v150, v125, v159
	v_fma_f32 v152, v124, v159, -v155
	v_add_f32_e32 v122, 0, v169
	s_clause 0x4
	buffer_load_dword v154, off, s[0:3], 0 offset:324
	buffer_load_dword v155, off, s[0:3], 0 offset:344
	;; [unrolled: 1-line block ×5, first 2 shown]
	v_add_f32_e32 v8, v122, v8
	v_add_f32_e32 v7, v8, v7
	s_clause 0x2
	buffer_load_dword v8, off, s[0:3], 0 offset:332
	buffer_load_dword v10, off, s[0:3], 0 offset:340
	;; [unrolled: 1-line block ×3, first 2 shown]
	ds_read2_b64 v[122:125], v1 offset0:91 offset1:92
	v_add_f32_e32 v7, v7, v131
	s_waitcnt vmcnt(19) lgkmcnt(1)
	v_mul_f32_e32 v130, v2, v160
	v_mul_f32_e32 v131, v3, v160
	s_waitcnt vmcnt(18)
	v_mul_f32_e32 v135, v5, v161
	v_add_f32_e32 v7, v7, v134
	v_mul_f32_e32 v134, v4, v161
	v_fmac_f32_e32 v130, v3, v158
	v_add_f32_e32 v3, v7, v133
	v_fma_f32 v7, v2, v158, -v131
	v_fmac_f32_e32 v134, v5, v157
	v_fma_f32 v131, v4, v157, -v135
	v_add_f32_e32 v2, v3, v132
	v_add_f32_e32 v3, v6, v137
	s_clause 0x7
	buffer_load_dword v6, off, s[0:3], 0 offset:356
	buffer_load_dword v157, off, s[0:3], 0 offset:364
	;; [unrolled: 1-line block ×8, first 2 shown]
	s_waitcnt vmcnt(25) lgkmcnt(0)
	v_mul_f32_e32 v4, v123, v162
	v_mul_f32_e32 v132, v122, v162
	v_add_f32_e32 v2, v2, v139
	v_add_f32_e32 v3, v3, v138
	s_clause 0x3
	buffer_load_dword v162, off, s[0:3], 0 offset:388
	buffer_load_dword v175, off, s[0:3], 0 offset:396
	;; [unrolled: 1-line block ×4, first 2 shown]
	v_fma_f32 v133, v122, v156, -v4
	v_fmac_f32_e32 v132, v123, v156
	v_add_f32_e32 v2, v2, v142
	v_add_f32_e32 v122, v3, v143
	s_waitcnt vmcnt(28)
	v_mul_f32_e32 v3, v125, v163
	s_clause 0x1
	buffer_load_dword v142, off, s[0:3], 0 offset:420
	buffer_load_dword v156, off, s[0:3], 0 offset:428
	v_mul_f32_e32 v135, v124, v163
	v_add_f32_e32 v123, v2, v141
	v_add_f32_e32 v122, v122, v144
	s_waitcnt vmcnt(26)
	v_fma_f32 v136, v124, v167, -v3
	ds_read2_b64 v[2:5], v1 offset0:93 offset1:94
	buffer_load_dword v143, off, s[0:3], 0 offset:436
	v_fmac_f32_e32 v135, v125, v167
	v_add_f32_e32 v123, v123, v126
	v_add_f32_e32 v122, v122, v145
	s_clause 0x3
	buffer_load_dword v144, off, s[0:3], 0 offset:408
	buffer_load_dword v145, off, s[0:3], 0 offset:400
	buffer_load_dword v163, off, s[0:3], 0 offset:392
	buffer_load_dword v167, off, s[0:3], 0 offset:384
	v_add_f32_e32 v123, v123, v128
	v_add_f32_e32 v122, v122, v127
	;; [unrolled: 1-line block ×4, first 2 shown]
	ds_read2_b64 v[122:125], v1 offset0:95 offset1:96
	v_add_f32_e32 v126, v126, v149
	s_waitcnt vmcnt(30) lgkmcnt(1)
	v_mul_f32_e32 v137, v2, v168
	v_mul_f32_e32 v128, v3, v168
	v_fmac_f32_e32 v137, v3, v166
	v_add_f32_e32 v3, v126, v148
	s_clause 0x3
	buffer_load_dword v146, off, s[0:3], 0 offset:432
	buffer_load_dword v147, off, s[0:3], 0 offset:424
	;; [unrolled: 1-line block ×4, first 2 shown]
	v_fma_f32 v138, v2, v166, -v128
	v_add_f32_e32 v2, v127, v151
	v_add_f32_e32 v3, v3, v152
	;; [unrolled: 1-line block ×11, first 2 shown]
	s_waitcnt vmcnt(32)
	v_mul_f32_e32 v139, v4, v129
	v_mul_f32_e32 v126, v5, v129
	s_waitcnt vmcnt(31) lgkmcnt(0)
	v_mul_f32_e32 v131, v123, v140
	v_mul_f32_e32 v150, v122, v140
	v_fmac_f32_e32 v139, v5, v165
	v_fma_f32 v141, v4, v165, -v126
	ds_read2_b64 v[2:5], v1 offset0:97 offset1:98
	ds_read2_b64 v[126:129], v1 offset0:99 offset1:100
	v_fma_f32 v140, v122, v164, -v131
	v_fmac_f32_e32 v150, v123, v164
	v_add_f32_e32 v7, v7, v141
	v_add_f32_e32 v7, v7, v140
	s_waitcnt vmcnt(30)
	v_mul_f32_e32 v134, v125, v154
	v_mul_f32_e32 v151, v124, v154
	s_waitcnt vmcnt(26)
	v_fma_f32 v152, v124, v171, -v134
	v_add_f32_e32 v134, v130, v132
	v_fmac_f32_e32 v151, v125, v171
	ds_read2_b64 v[122:125], v1 offset0:101 offset1:102
	ds_read2_b64 v[130:133], v1 offset0:103 offset1:104
	v_add_f32_e32 v7, v7, v152
	v_add_f32_e32 v134, v134, v135
	s_waitcnt vmcnt(25) lgkmcnt(3)
	v_mul_f32_e32 v153, v2, v8
	s_waitcnt vmcnt(24)
	v_mul_f32_e32 v154, v4, v10
	v_mul_f32_e32 v10, v5, v10
	v_mul_f32_e32 v8, v3, v8
	v_add_f32_e32 v138, v134, v137
	v_fmac_f32_e32 v153, v3, v169
	v_fmac_f32_e32 v154, v5, v159
	v_fma_f32 v10, v4, v159, -v10
	v_fma_f32 v8, v2, v169, -v8
	v_add_f32_e32 v159, v138, v139
	ds_read2_b64 v[2:5], v1 offset0:105 offset1:106
	ds_read2_b64 v[134:137], v1 offset0:107 offset1:108
	ds_read2_b64 v[138:141], v1 offset0:109 offset1:110
	s_waitcnt vmcnt(23) lgkmcnt(5)
	v_mul_f32_e32 v164, v126, v11
	v_mul_f32_e32 v11, v127, v11
	v_add_f32_e32 v1, v159, v150
	v_add_f32_e32 v7, v7, v8
	v_fmac_f32_e32 v164, v127, v155
	v_fma_f32 v11, v126, v155, -v11
	v_add_f32_e32 v1, v1, v151
	s_waitcnt vmcnt(22)
	v_mul_f32_e32 v126, v128, v6
	v_mul_f32_e32 v6, v129, v6
	v_add_f32_e32 v7, v7, v10
	s_waitcnt vmcnt(21) lgkmcnt(4)
	v_mul_f32_e32 v151, v123, v157
	v_add_f32_e32 v1, v1, v153
	v_mul_f32_e32 v127, v122, v157
	s_waitcnt vmcnt(15)
	v_fma_f32 v6, v128, v174, -v6
	v_add_f32_e32 v7, v7, v11
	v_fmac_f32_e32 v126, v129, v174
	v_add_f32_e32 v1, v1, v154
	v_mul_f32_e32 v10, v125, v158
	v_fma_f32 v122, v122, v173, -v151
	v_add_f32_e32 v6, v7, v6
	v_mul_f32_e32 v150, v124, v158
	v_add_f32_e32 v1, v1, v164
	v_fmac_f32_e32 v127, v123, v173
	s_waitcnt lgkmcnt(3)
	v_mul_f32_e32 v7, v131, v160
	v_fma_f32 v10, v124, v172, -v10
	v_add_f32_e32 v6, v6, v122
	v_add_f32_e32 v1, v1, v126
	v_mul_f32_e32 v128, v130, v160
	v_fmac_f32_e32 v150, v125, v172
	s_waitcnt vmcnt(14)
	v_mul_f32_e32 v122, v133, v162
	v_fma_f32 v7, v130, v161, -v7
	v_add_f32_e32 v1, v1, v127
	v_add_f32_e32 v6, v6, v10
	v_mul_f32_e32 v129, v132, v162
	v_fmac_f32_e32 v128, v131, v161
	s_waitcnt vmcnt(13) lgkmcnt(2)
	v_mul_f32_e32 v8, v2, v175
	v_add_f32_e32 v1, v1, v150
	v_mul_f32_e32 v10, v3, v175
	s_waitcnt vmcnt(4)
	v_fma_f32 v122, v132, v167, -v122
	v_add_f32_e32 v6, v6, v7
	v_fmac_f32_e32 v129, v133, v167
	v_add_f32_e32 v1, v1, v128
	v_mul_f32_e32 v7, v5, v176
	v_fmac_f32_e32 v8, v3, v163
	v_fma_f32 v2, v2, v163, -v10
	v_add_f32_e32 v3, v6, v122
	v_mul_f32_e32 v152, v4, v176
	v_add_f32_e32 v1, v1, v129
	s_waitcnt lgkmcnt(1)
	v_mul_f32_e32 v6, v135, v177
	v_fma_f32 v4, v4, v145, -v7
	v_add_f32_e32 v2, v3, v2
	v_mul_f32_e32 v153, v134, v177
	v_fmac_f32_e32 v152, v5, v145
	v_add_f32_e32 v1, v1, v8
	v_mul_f32_e32 v3, v137, v142
	v_fma_f32 v5, v134, v144, -v6
	v_add_f32_e32 v2, v2, v4
	v_mul_f32_e32 v154, v136, v142
	v_fmac_f32_e32 v153, v135, v144
	v_add_f32_e32 v1, v1, v152
	s_waitcnt lgkmcnt(0)
	v_mul_f32_e32 v4, v139, v156
	s_waitcnt vmcnt(1)
	v_fma_f32 v3, v136, v148, -v3
	v_add_f32_e32 v2, v2, v5
	v_mul_f32_e32 v155, v138, v156
	v_fmac_f32_e32 v154, v137, v148
	v_add_f32_e32 v1, v1, v153
	v_mul_f32_e32 v5, v141, v143
	v_fma_f32 v4, v138, v147, -v4
	v_add_f32_e32 v2, v2, v3
	v_mul_f32_e32 v11, v140, v143
	v_fmac_f32_e32 v155, v139, v147
	v_add_f32_e32 v1, v1, v154
	v_fma_f32 v3, v140, v146, -v5
	v_add_f32_e32 v2, v2, v4
	v_fmac_f32_e32 v11, v141, v146
	v_add_f32_e32 v1, v1, v155
	v_add_f32_e32 v2, v2, v3
	;; [unrolled: 1-line block ×3, first 2 shown]
	s_waitcnt vmcnt(0)
	v_sub_f32_e32 v2, v149, v2
	v_sub_f32_e32 v1, v170, v1
	buffer_store_dword v2, off, s[0:3], 0 offset:128
	buffer_store_dword v1, off, s[0:3], 0 offset:132
	v_cmpx_lt_u32_e32 15, v0
	s_cbranch_execz .LBB118_313
; %bb.312:
	s_clause 0x1
	buffer_load_dword v1, off, s[0:3], 0 offset:120
	buffer_load_dword v2, off, s[0:3], 0 offset:124
	v_mov_b32_e32 v3, 0
	buffer_store_dword v3, off, s[0:3], 0 offset:120
	buffer_store_dword v3, off, s[0:3], 0 offset:124
	s_waitcnt vmcnt(0)
	ds_write_b64 v9, v[1:2]
.LBB118_313:
	s_or_b32 exec_lo, exec_lo, s4
	s_waitcnt lgkmcnt(0)
	s_waitcnt_vscnt null, 0x0
	s_barrier
	buffer_gl0_inv
	s_clause 0x2c
	buffer_load_dword v6, off, s[0:3], 0 offset:132
	buffer_load_dword v7, off, s[0:3], 0 offset:140
	;; [unrolled: 1-line block ×45, first 2 shown]
	v_mov_b32_e32 v1, 0
	ds_read_b128 v[2:5], v1 offset:576
	ds_read_b128 v[122:125], v1 offset:592
	s_clause 0x2
	buffer_load_dword v168, off, s[0:3], 0 offset:124
	buffer_load_dword v169, off, s[0:3], 0 offset:308
	;; [unrolled: 1-line block ×3, first 2 shown]
	s_mov_b32 s4, exec_lo
	s_waitcnt vmcnt(47) lgkmcnt(1)
	v_mul_f32_e32 v166, v3, v6
	v_mul_f32_e32 v6, v2, v6
	s_waitcnt vmcnt(46)
	v_mul_f32_e32 v167, v4, v7
	v_mul_f32_e32 v7, v5, v7
	s_waitcnt vmcnt(43)
	v_fma_f32 v166, v2, v11, -v166
	v_fmac_f32_e32 v6, v3, v11
	v_fmac_f32_e32 v167, v5, v10
	v_fma_f32 v7, v4, v10, -v7
	ds_read_b128 v[2:5], v1 offset:608
	s_waitcnt vmcnt(42) lgkmcnt(1)
	v_mul_f32_e32 v10, v122, v126
	v_mul_f32_e32 v11, v123, v126
	s_waitcnt vmcnt(41)
	v_mul_f32_e32 v126, v124, v127
	v_mul_f32_e32 v127, v125, v127
	v_fmac_f32_e32 v10, v123, v8
	v_fma_f32 v8, v122, v8, -v11
	s_waitcnt vmcnt(37)
	v_fmac_f32_e32 v126, v125, v131
	v_fma_f32 v11, v124, v131, -v127
	ds_read_b128 v[122:125], v1 offset:624
	s_waitcnt vmcnt(36) lgkmcnt(1)
	v_mul_f32_e32 v127, v2, v132
	v_mul_f32_e32 v131, v3, v132
	s_waitcnt vmcnt(35)
	v_mul_f32_e32 v132, v4, v133
	v_mul_f32_e32 v133, v5, v133
	v_fmac_f32_e32 v127, v3, v130
	v_fma_f32 v130, v2, v130, -v131
	v_fmac_f32_e32 v132, v5, v129
	v_fma_f32 v129, v4, v129, -v133
	ds_read_b128 v[2:5], v1 offset:640
	s_waitcnt vmcnt(34) lgkmcnt(1)
	v_mul_f32_e32 v131, v122, v134
	v_mul_f32_e32 v133, v123, v134
	s_waitcnt vmcnt(33)
	v_mul_f32_e32 v134, v124, v135
	v_mul_f32_e32 v135, v125, v135
	v_fmac_f32_e32 v131, v123, v128
	v_fma_f32 v128, v122, v128, -v133
	s_waitcnt vmcnt(29)
	v_fmac_f32_e32 v134, v125, v139
	v_fma_f32 v133, v124, v139, -v135
	ds_read_b128 v[122:125], v1 offset:656
	s_waitcnt vmcnt(28) lgkmcnt(1)
	v_mul_f32_e32 v135, v2, v140
	v_mul_f32_e32 v139, v3, v140
	s_waitcnt vmcnt(27)
	v_mul_f32_e32 v140, v4, v141
	v_mul_f32_e32 v141, v5, v141
	v_fmac_f32_e32 v135, v3, v138
	v_fma_f32 v138, v2, v138, -v139
	;; [unrolled: 23-line block ×5, first 2 shown]
	v_fmac_f32_e32 v164, v5, v161
	v_fma_f32 v161, v4, v161, -v165
	s_clause 0x3
	buffer_load_dword v163, off, s[0:3], 0 offset:336
	buffer_load_dword v165, off, s[0:3], 0 offset:328
	;; [unrolled: 1-line block ×4, first 2 shown]
	s_waitcnt vmcnt(5) lgkmcnt(0)
	v_mul_f32_e32 v172, v122, v169
	v_mul_f32_e32 v3, v123, v169
	s_waitcnt vmcnt(4)
	v_mul_f32_e32 v169, v124, v170
	v_mul_f32_e32 v4, v125, v170
	s_clause 0x1
	buffer_load_dword v170, off, s[0:3], 0 offset:324
	buffer_load_dword v174, off, s[0:3], 0 offset:332
	v_fmac_f32_e32 v172, v123, v160
	v_fma_f32 v160, v122, v160, -v3
	v_add_f32_e32 v3, 0, v6
	buffer_load_dword v6, off, s[0:3], 0 offset:348
	v_add_f32_e32 v3, v3, v167
	v_add_f32_e32 v3, v3, v10
	;; [unrolled: 1-line block ×17, first 2 shown]
	s_waitcnt vmcnt(3)
	v_fmac_f32_e32 v169, v125, v2
	v_fma_f32 v173, v124, v2, -v4
	v_add_f32_e32 v2, 0, v166
	buffer_load_dword v166, off, s[0:3], 0 offset:340
	v_add_f32_e32 v2, v2, v7
	v_add_f32_e32 v2, v2, v8
	s_clause 0x3
	buffer_load_dword v8, off, s[0:3], 0 offset:368
	buffer_load_dword v167, off, s[0:3], 0 offset:360
	buffer_load_dword v175, off, s[0:3], 0 offset:352
	buffer_load_dword v7, off, s[0:3], 0 offset:344
	v_add_f32_e32 v2, v2, v11
	s_clause 0x8
	buffer_load_dword v10, off, s[0:3], 0 offset:356
	buffer_load_dword v11, off, s[0:3], 0 offset:364
	;; [unrolled: 1-line block ×9, first 2 shown]
	v_add_f32_e32 v2, v2, v130
	s_clause 0x1
	buffer_load_dword v183, off, s[0:3], 0 offset:428
	buffer_load_dword v184, off, s[0:3], 0 offset:436
	v_add_f32_e32 v130, v126, v155
	v_add_f32_e32 v2, v2, v129
	;; [unrolled: 1-line block ×7, first 2 shown]
	s_clause 0x3
	buffer_load_dword v138, off, s[0:3], 0 offset:400
	buffer_load_dword v185, off, s[0:3], 0 offset:392
	;; [unrolled: 1-line block ×4, first 2 shown]
	v_add_f32_e32 v2, v2, v137
	v_add_f32_e32 v2, v2, v136
	;; [unrolled: 1-line block ×3, first 2 shown]
	s_clause 0x4
	buffer_load_dword v139, off, s[0:3], 0 offset:432
	buffer_load_dword v140, off, s[0:3], 0 offset:424
	;; [unrolled: 1-line block ×5, first 2 shown]
	v_add_f32_e32 v2, v2, v146
	v_add_f32_e32 v122, v2, v145
	ds_read_b128 v[2:5], v1 offset:768
	v_add_f32_e32 v122, v122, v144
	v_add_f32_e32 v122, v122, v149
	;; [unrolled: 1-line block ×3, first 2 shown]
	ds_read_b128 v[122:125], v1 offset:784
	v_add_f32_e32 v127, v127, v153
	s_waitcnt vmcnt(27) lgkmcnt(1)
	v_mul_f32_e32 v143, v2, v170
	v_mul_f32_e32 v128, v3, v170
	s_waitcnt vmcnt(26)
	v_mul_f32_e32 v144, v4, v174
	v_mul_f32_e32 v129, v5, v174
	v_fmac_f32_e32 v143, v3, v171
	v_add_f32_e32 v3, v127, v152
	v_fma_f32 v145, v2, v171, -v128
	v_fmac_f32_e32 v144, v5, v165
	v_fma_f32 v146, v4, v165, -v129
	v_add_f32_e32 v134, v3, v157
	ds_read_b128 v[2:5], v1 offset:800
	ds_read_b128 v[126:129], v1 offset:816
	ds_read_b128 v[130:133], v1 offset:832
	s_waitcnt vmcnt(25) lgkmcnt(3)
	v_mul_f32_e32 v148, v124, v6
	v_add_f32_e32 v134, v134, v162
	v_mul_f32_e32 v6, v125, v6
	v_add_f32_e32 v134, v134, v161
	s_waitcnt vmcnt(24)
	v_mul_f32_e32 v136, v123, v166
	v_mul_f32_e32 v147, v122, v166
	v_fma_f32 v149, v122, v163, -v136
	v_add_f32_e32 v122, v135, v164
	v_fmac_f32_e32 v147, v123, v163
	v_add_f32_e32 v123, v134, v160
	ds_read_b128 v[134:137], v1 offset:848
	s_waitcnt vmcnt(20)
	v_fma_f32 v150, v124, v7, -v6
	v_add_f32_e32 v151, v122, v172
	v_fmac_f32_e32 v148, v125, v7
	v_add_f32_e32 v152, v123, v173
	s_waitcnt vmcnt(19) lgkmcnt(3)
	v_mul_f32_e32 v153, v2, v10
	v_mul_f32_e32 v10, v3, v10
	v_add_f32_e32 v151, v151, v169
	s_waitcnt vmcnt(18)
	v_mul_f32_e32 v154, v4, v11
	v_add_f32_e32 v145, v152, v145
	v_mul_f32_e32 v11, v5, v11
	v_fma_f32 v2, v2, v175, -v10
	v_add_f32_e32 v143, v151, v143
	v_fmac_f32_e32 v153, v3, v175
	v_add_f32_e32 v145, v145, v146
	s_waitcnt vmcnt(17) lgkmcnt(2)
	v_mul_f32_e32 v151, v126, v176
	v_fma_f32 v4, v4, v167, -v11
	v_add_f32_e32 v143, v143, v144
	v_fmac_f32_e32 v154, v5, v167
	v_add_f32_e32 v145, v145, v149
	v_fmac_f32_e32 v151, v127, v8
	s_waitcnt vmcnt(16)
	v_mul_f32_e32 v146, v128, v177
	v_add_f32_e32 v10, v143, v147
	ds_read_b128 v[122:125], v1 offset:864
	ds_read_b64 v[6:7], v1 offset:880
	v_add_f32_e32 v145, v145, v150
	v_mul_f32_e32 v150, v127, v176
	s_waitcnt vmcnt(15) lgkmcnt(3)
	v_mul_f32_e32 v152, v130, v178
	v_add_f32_e32 v10, v10, v148
	s_waitcnt vmcnt(14)
	v_mul_f32_e32 v144, v132, v179
	v_add_f32_e32 v2, v145, v2
	v_fma_f32 v8, v126, v8, -v150
	s_waitcnt vmcnt(5)
	v_fmac_f32_e32 v146, v129, v187
	v_add_f32_e32 v5, v10, v153
	v_mul_f32_e32 v10, v129, v177
	v_add_f32_e32 v2, v2, v4
	v_fmac_f32_e32 v152, v131, v186
	s_waitcnt lgkmcnt(2)
	v_mul_f32_e32 v149, v134, v180
	v_add_f32_e32 v4, v5, v154
	v_mul_f32_e32 v5, v131, v178
	v_fma_f32 v10, v128, v187, -v10
	v_add_f32_e32 v2, v2, v8
	v_mul_f32_e32 v8, v133, v179
	v_add_f32_e32 v4, v4, v151
	v_fma_f32 v5, v130, v186, -v5
	v_fmac_f32_e32 v144, v133, v185
	v_add_f32_e32 v2, v2, v10
	v_mul_f32_e32 v10, v135, v180
	v_add_f32_e32 v4, v4, v146
	v_fma_f32 v8, v132, v185, -v8
	v_mul_f32_e32 v3, v136, v181
	v_add_f32_e32 v2, v2, v5
	v_mul_f32_e32 v5, v137, v181
	v_add_f32_e32 v4, v4, v152
	v_fma_f32 v10, v134, v138, -v10
	v_fmac_f32_e32 v149, v135, v138
	v_add_f32_e32 v2, v2, v8
	s_waitcnt lgkmcnt(1)
	v_mul_f32_e32 v8, v123, v182
	v_add_f32_e32 v4, v4, v144
	s_waitcnt vmcnt(1)
	v_fma_f32 v5, v136, v188, -v5
	v_mul_f32_e32 v143, v122, v182
	v_add_f32_e32 v2, v2, v10
	v_fmac_f32_e32 v3, v137, v188
	v_add_f32_e32 v4, v4, v149
	v_mul_f32_e32 v10, v125, v183
	v_fma_f32 v8, v122, v141, -v8
	v_add_f32_e32 v2, v2, v5
	v_mul_f32_e32 v147, v124, v183
	v_fmac_f32_e32 v143, v123, v141
	v_add_f32_e32 v3, v4, v3
	s_waitcnt lgkmcnt(0)
	v_mul_f32_e32 v4, v7, v184
	v_fma_f32 v5, v124, v140, -v10
	v_add_f32_e32 v2, v2, v8
	v_mul_f32_e32 v148, v6, v184
	v_fmac_f32_e32 v147, v125, v140
	v_add_f32_e32 v3, v3, v143
	v_fma_f32 v4, v6, v139, -v4
	v_add_f32_e32 v2, v2, v5
	v_fmac_f32_e32 v148, v7, v139
	v_add_f32_e32 v3, v3, v147
	v_add_f32_e32 v2, v2, v4
	;; [unrolled: 1-line block ×3, first 2 shown]
	s_waitcnt vmcnt(0)
	v_sub_f32_e32 v2, v142, v2
	v_sub_f32_e32 v3, v168, v3
	buffer_store_dword v2, off, s[0:3], 0 offset:120
	buffer_store_dword v3, off, s[0:3], 0 offset:124
	v_cmpx_lt_u32_e32 14, v0
	s_cbranch_execz .LBB118_315
; %bb.314:
	s_clause 0x1
	buffer_load_dword v2, off, s[0:3], 0 offset:112
	buffer_load_dword v3, off, s[0:3], 0 offset:116
	buffer_store_dword v1, off, s[0:3], 0 offset:112
	buffer_store_dword v1, off, s[0:3], 0 offset:116
	s_waitcnt vmcnt(0)
	ds_write_b64 v9, v[2:3]
.LBB118_315:
	s_or_b32 exec_lo, exec_lo, s4
	s_waitcnt lgkmcnt(0)
	s_waitcnt_vscnt null, 0x0
	s_barrier
	buffer_gl0_inv
	s_clause 0x2c
	buffer_load_dword v6, off, s[0:3], 0 offset:124
	buffer_load_dword v7, off, s[0:3], 0 offset:132
	;; [unrolled: 1-line block ×45, first 2 shown]
	ds_read2_b64 v[2:5], v1 offset0:71 offset1:72
	ds_read2_b64 v[122:125], v1 offset0:73 offset1:74
	s_clause 0x2
	buffer_load_dword v168, off, s[0:3], 0 offset:116
	buffer_load_dword v169, off, s[0:3], 0 offset:300
	;; [unrolled: 1-line block ×3, first 2 shown]
	s_mov_b32 s4, exec_lo
	s_waitcnt vmcnt(47) lgkmcnt(1)
	v_mul_f32_e32 v166, v3, v6
	v_mul_f32_e32 v6, v2, v6
	s_waitcnt vmcnt(46)
	v_mul_f32_e32 v167, v4, v7
	v_mul_f32_e32 v7, v5, v7
	s_waitcnt vmcnt(43)
	v_fma_f32 v166, v2, v11, -v166
	v_fmac_f32_e32 v6, v3, v11
	v_fmac_f32_e32 v167, v5, v10
	v_fma_f32 v7, v4, v10, -v7
	ds_read2_b64 v[2:5], v1 offset0:75 offset1:76
	s_waitcnt vmcnt(42) lgkmcnt(1)
	v_mul_f32_e32 v10, v122, v126
	v_mul_f32_e32 v11, v123, v126
	s_waitcnt vmcnt(41)
	v_mul_f32_e32 v126, v124, v127
	v_mul_f32_e32 v127, v125, v127
	v_fmac_f32_e32 v10, v123, v8
	v_fma_f32 v8, v122, v8, -v11
	s_waitcnt vmcnt(37)
	v_fmac_f32_e32 v126, v125, v131
	v_fma_f32 v11, v124, v131, -v127
	ds_read2_b64 v[122:125], v1 offset0:77 offset1:78
	s_waitcnt vmcnt(36) lgkmcnt(1)
	v_mul_f32_e32 v127, v2, v132
	v_mul_f32_e32 v131, v3, v132
	s_waitcnt vmcnt(35)
	v_mul_f32_e32 v132, v4, v133
	v_mul_f32_e32 v133, v5, v133
	v_fmac_f32_e32 v127, v3, v130
	v_fma_f32 v130, v2, v130, -v131
	v_fmac_f32_e32 v132, v5, v129
	v_fma_f32 v129, v4, v129, -v133
	ds_read2_b64 v[2:5], v1 offset0:79 offset1:80
	s_waitcnt vmcnt(34) lgkmcnt(1)
	v_mul_f32_e32 v131, v122, v134
	v_mul_f32_e32 v133, v123, v134
	s_waitcnt vmcnt(33)
	v_mul_f32_e32 v134, v124, v135
	v_mul_f32_e32 v135, v125, v135
	v_fmac_f32_e32 v131, v123, v128
	v_fma_f32 v128, v122, v128, -v133
	s_waitcnt vmcnt(29)
	v_fmac_f32_e32 v134, v125, v139
	v_fma_f32 v133, v124, v139, -v135
	ds_read2_b64 v[122:125], v1 offset0:81 offset1:82
	s_waitcnt vmcnt(28) lgkmcnt(1)
	v_mul_f32_e32 v135, v2, v140
	v_mul_f32_e32 v139, v3, v140
	s_waitcnt vmcnt(27)
	v_mul_f32_e32 v140, v4, v141
	v_mul_f32_e32 v141, v5, v141
	v_fmac_f32_e32 v135, v3, v138
	v_fma_f32 v138, v2, v138, -v139
	;; [unrolled: 23-line block ×5, first 2 shown]
	v_fmac_f32_e32 v164, v5, v161
	v_fma_f32 v161, v4, v161, -v165
	s_clause 0x5
	buffer_load_dword v163, off, s[0:3], 0 offset:328
	buffer_load_dword v165, off, s[0:3], 0 offset:320
	;; [unrolled: 1-line block ×6, first 2 shown]
	v_add_f32_e32 v3, 0, v166
	v_add_f32_e32 v4, 0, v6
	buffer_load_dword v6, off, s[0:3], 0 offset:332
	s_waitcnt vmcnt(8) lgkmcnt(0)
	v_mul_f32_e32 v5, v123, v169
	s_waitcnt vmcnt(7)
	v_mul_f32_e32 v174, v124, v170
	v_add_f32_e32 v3, v3, v7
	v_add_f32_e32 v4, v4, v167
	v_mul_f32_e32 v7, v122, v169
	v_add_f32_e32 v3, v3, v8
	v_add_f32_e32 v4, v4, v10
	buffer_load_dword v8, off, s[0:3], 0 offset:340
	v_fmac_f32_e32 v7, v123, v160
	v_fma_f32 v10, v122, v160, -v5
	v_add_f32_e32 v3, v3, v11
	s_clause 0x6
	buffer_load_dword v11, off, s[0:3], 0 offset:360
	buffer_load_dword v160, off, s[0:3], 0 offset:352
	;; [unrolled: 1-line block ×7, first 2 shown]
	v_add_f32_e32 v4, v4, v126
	v_add_f32_e32 v3, v3, v130
	v_mul_f32_e32 v5, v125, v170
	s_clause 0x3
	buffer_load_dword v170, off, s[0:3], 0 offset:356
	buffer_load_dword v178, off, s[0:3], 0 offset:380
	;; [unrolled: 1-line block ×4, first 2 shown]
	v_add_f32_e32 v4, v4, v127
	v_add_f32_e32 v3, v3, v129
	s_clause 0x8
	buffer_load_dword v181, off, s[0:3], 0 offset:404
	buffer_load_dword v182, off, s[0:3], 0 offset:412
	;; [unrolled: 1-line block ×9, first 2 shown]
	v_add_f32_e32 v4, v4, v132
	s_waitcnt vmcnt(24)
	v_fmac_f32_e32 v174, v125, v2
	v_fma_f32 v176, v124, v2, -v5
	v_add_f32_e32 v2, v3, v128
	v_add_f32_e32 v3, v4, v131
	;; [unrolled: 1-line block ×12, first 2 shown]
	s_clause 0x3
	buffer_load_dword v142, off, s[0:3], 0 offset:424
	buffer_load_dword v190, off, s[0:3], 0 offset:416
	;; [unrolled: 1-line block ×4, first 2 shown]
	v_add_f32_e32 v2, v2, v146
	buffer_load_dword v146, off, s[0:3], 0 offset:432
	v_add_f32_e32 v3, v3, v143
	buffer_load_dword v143, off, s[0:3], 0 offset:112
	v_add_f32_e32 v2, v2, v145
	v_add_f32_e32 v3, v3, v148
	;; [unrolled: 1-line block ×4, first 2 shown]
	ds_read2_b64 v[2:5], v1 offset0:95 offset1:96
	v_add_f32_e32 v122, v122, v149
	v_add_f32_e32 v123, v123, v150
	;; [unrolled: 1-line block ×4, first 2 shown]
	ds_read2_b64 v[122:125], v1 offset0:97 offset1:98
	v_add_f32_e32 v126, v126, v153
	v_add_f32_e32 v127, v127, v156
	;; [unrolled: 1-line block ×4, first 2 shown]
	s_waitcnt vmcnt(29) lgkmcnt(1)
	v_mul_f32_e32 v144, v2, v172
	v_mul_f32_e32 v128, v3, v172
	s_waitcnt vmcnt(28)
	v_mul_f32_e32 v145, v4, v173
	v_mul_f32_e32 v129, v5, v173
	v_add_f32_e32 v131, v126, v157
	v_fmac_f32_e32 v144, v3, v171
	v_fma_f32 v138, v2, v171, -v128
	v_fmac_f32_e32 v145, v5, v165
	v_fma_f32 v147, v4, v165, -v129
	ds_read2_b64 v[2:5], v1 offset0:99 offset1:100
	ds_read2_b64 v[126:129], v1 offset0:101 offset1:102
	v_add_f32_e32 v130, v130, v158
	s_waitcnt vmcnt(27) lgkmcnt(2)
	v_mul_f32_e32 v148, v122, v6
	v_add_f32_e32 v131, v131, v162
	v_mul_f32_e32 v6, v123, v6
	s_waitcnt vmcnt(26)
	v_mul_f32_e32 v149, v124, v8
	v_add_f32_e32 v130, v130, v159
	v_fmac_f32_e32 v148, v123, v163
	v_add_f32_e32 v123, v131, v161
	v_mul_f32_e32 v8, v125, v8
	v_fma_f32 v6, v122, v163, -v6
	v_add_f32_e32 v134, v130, v164
	s_waitcnt vmcnt(22)
	v_fmac_f32_e32 v149, v125, v167
	v_add_f32_e32 v10, v123, v10
	v_fma_f32 v8, v124, v167, -v8
	ds_read2_b64 v[122:125], v1 offset0:103 offset1:104
	ds_read2_b64 v[130:133], v1 offset0:105 offset1:106
	v_add_f32_e32 v7, v134, v7
	ds_read2_b64 v[134:137], v1 offset0:107 offset1:108
	v_add_f32_e32 v10, v10, v176
	s_waitcnt vmcnt(21) lgkmcnt(4)
	v_mul_f32_e32 v150, v2, v169
	v_mul_f32_e32 v139, v3, v169
	v_add_f32_e32 v7, v7, v174
	v_fmac_f32_e32 v150, v3, v166
	v_add_f32_e32 v3, v10, v138
	v_fma_f32 v2, v2, v166, -v139
	ds_read2_b64 v[138:141], v1 offset0:109 offset1:110
	v_add_f32_e32 v1, v7, v144
	s_waitcnt vmcnt(18)
	v_mul_f32_e32 v10, v5, v170
	v_add_f32_e32 v3, v3, v147
	v_mul_f32_e32 v7, v4, v170
	s_waitcnt lgkmcnt(4)
	v_mul_f32_e32 v144, v126, v175
	v_add_f32_e32 v1, v1, v145
	v_mul_f32_e32 v147, v127, v175
	v_add_f32_e32 v3, v3, v6
	v_fma_f32 v4, v4, v160, -v10
	v_fmac_f32_e32 v7, v5, v160
	v_add_f32_e32 v1, v1, v148
	v_fmac_f32_e32 v144, v127, v11
	v_add_f32_e32 v3, v3, v8
	v_mul_f32_e32 v8, v129, v177
	v_fma_f32 v11, v126, v11, -v147
	v_add_f32_e32 v1, v1, v149
	v_mul_f32_e32 v145, v128, v177
	v_add_f32_e32 v2, v3, v2
	s_waitcnt vmcnt(17) lgkmcnt(3)
	v_mul_f32_e32 v5, v122, v178
	s_waitcnt vmcnt(16)
	v_mul_f32_e32 v10, v124, v179
	v_add_f32_e32 v1, v1, v150
	s_waitcnt vmcnt(6)
	v_fmac_f32_e32 v145, v129, v189
	v_add_f32_e32 v2, v2, v4
	v_mul_f32_e32 v4, v123, v178
	v_fmac_f32_e32 v5, v123, v188
	v_add_f32_e32 v1, v1, v7
	v_fma_f32 v7, v128, v189, -v8
	v_add_f32_e32 v2, v2, v11
	v_mul_f32_e32 v8, v125, v179
	v_fma_f32 v4, v122, v188, -v4
	v_add_f32_e32 v1, v1, v144
	s_waitcnt lgkmcnt(2)
	v_mul_f32_e32 v6, v130, v180
	v_add_f32_e32 v2, v2, v7
	v_mul_f32_e32 v7, v131, v180
	v_fma_f32 v8, v124, v187, -v8
	v_add_f32_e32 v1, v1, v145
	v_fmac_f32_e32 v10, v125, v187
	v_add_f32_e32 v2, v2, v4
	v_mul_f32_e32 v4, v133, v181
	v_mul_f32_e32 v148, v132, v181
	v_add_f32_e32 v1, v1, v5
	v_fma_f32 v5, v130, v186, -v7
	v_add_f32_e32 v2, v2, v8
	v_fmac_f32_e32 v6, v131, v186
	s_waitcnt lgkmcnt(1)
	v_mul_f32_e32 v7, v135, v182
	v_add_f32_e32 v1, v1, v10
	v_mul_f32_e32 v151, v134, v182
	v_add_f32_e32 v2, v2, v5
	v_mul_f32_e32 v5, v137, v183
	v_mul_f32_e32 v149, v136, v183
	v_add_f32_e32 v1, v1, v6
	s_waitcnt lgkmcnt(0)
	v_mul_f32_e32 v152, v138, v184
	v_mul_f32_e32 v3, v140, v185
	s_waitcnt vmcnt(5)
	v_fmac_f32_e32 v152, v139, v142
	s_waitcnt vmcnt(4)
	v_fma_f32 v5, v136, v190, -v5
	s_waitcnt vmcnt(3)
	v_fma_f32 v6, v134, v191, -v7
	;; [unrolled: 2-line block ×3, first 2 shown]
	v_fmac_f32_e32 v148, v133, v192
	v_fmac_f32_e32 v151, v135, v191
	;; [unrolled: 1-line block ×3, first 2 shown]
	s_waitcnt vmcnt(1)
	v_fmac_f32_e32 v3, v141, v146
	v_add_f32_e32 v2, v2, v4
	v_add_f32_e32 v1, v1, v148
	v_mul_f32_e32 v4, v139, v184
	v_add_f32_e32 v2, v2, v6
	v_add_f32_e32 v1, v1, v151
	v_mul_f32_e32 v6, v141, v185
	v_fma_f32 v4, v138, v142, -v4
	v_add_f32_e32 v2, v2, v5
	v_add_f32_e32 v1, v1, v149
	v_fma_f32 v5, v140, v146, -v6
	v_add_f32_e32 v2, v2, v4
	v_add_f32_e32 v1, v1, v152
	v_add_f32_e32 v2, v2, v5
	v_add_f32_e32 v1, v1, v3
	s_waitcnt vmcnt(0)
	v_sub_f32_e32 v2, v143, v2
	v_sub_f32_e32 v1, v168, v1
	buffer_store_dword v2, off, s[0:3], 0 offset:112
	buffer_store_dword v1, off, s[0:3], 0 offset:116
	v_cmpx_lt_u32_e32 13, v0
	s_cbranch_execz .LBB118_317
; %bb.316:
	s_clause 0x1
	buffer_load_dword v1, off, s[0:3], 0 offset:104
	buffer_load_dword v2, off, s[0:3], 0 offset:108
	v_mov_b32_e32 v3, 0
	buffer_store_dword v3, off, s[0:3], 0 offset:104
	buffer_store_dword v3, off, s[0:3], 0 offset:108
	s_waitcnt vmcnt(0)
	ds_write_b64 v9, v[1:2]
.LBB118_317:
	s_or_b32 exec_lo, exec_lo, s4
	s_waitcnt lgkmcnt(0)
	s_waitcnt_vscnt null, 0x0
	s_barrier
	buffer_gl0_inv
	s_clause 0x24
	buffer_load_dword v2, off, s[0:3], 0 offset:116
	buffer_load_dword v3, off, s[0:3], 0 offset:124
	;; [unrolled: 1-line block ×37, first 2 shown]
	v_mov_b32_e32 v1, 0
	ds_read_b128 v[128:131], v1 offset:560
	ds_read_b128 v[132:135], v1 offset:576
	;; [unrolled: 1-line block ×3, first 2 shown]
	s_clause 0x1
	buffer_load_dword v166, off, s[0:3], 0 offset:260
	buffer_load_dword v167, off, s[0:3], 0 offset:108
	ds_read_b128 v[140:143], v1 offset:608
	s_mov_b32 s4, exec_lo
	s_waitcnt vmcnt(38) lgkmcnt(3)
	v_mul_f32_e32 v168, v129, v2
	v_mul_f32_e32 v2, v128, v2
	s_waitcnt vmcnt(37)
	v_mul_f32_e32 v169, v130, v3
	v_mul_f32_e32 v3, v131, v3
	s_waitcnt vmcnt(34)
	v_fma_f32 v168, v128, v146, -v168
	v_fmac_f32_e32 v2, v129, v146
	v_fmac_f32_e32 v169, v131, v145
	v_fma_f32 v3, v130, v145, -v3
	ds_read_b128 v[128:131], v1 offset:624
	s_waitcnt vmcnt(33) lgkmcnt(3)
	v_mul_f32_e32 v145, v132, v147
	v_mul_f32_e32 v146, v133, v147
	s_waitcnt vmcnt(32)
	v_mul_f32_e32 v147, v134, v148
	v_mul_f32_e32 v148, v135, v148
	s_waitcnt vmcnt(31) lgkmcnt(2)
	v_mul_f32_e32 v170, v136, v149
	v_fmac_f32_e32 v145, v133, v144
	v_fma_f32 v144, v132, v144, -v146
	s_waitcnt vmcnt(26)
	v_fmac_f32_e32 v147, v135, v154
	v_fma_f32 v148, v134, v154, -v148
	ds_read_b128 v[132:135], v1 offset:640
	v_mul_f32_e32 v149, v137, v149
	v_mul_f32_e32 v146, v138, v150
	v_mul_f32_e32 v150, v139, v150
	v_fmac_f32_e32 v170, v137, v153
	s_waitcnt vmcnt(24) lgkmcnt(2)
	v_mul_f32_e32 v154, v142, v156
	v_fma_f32 v149, v136, v153, -v149
	v_fmac_f32_e32 v146, v139, v152
	v_fma_f32 v150, v138, v152, -v150
	v_mul_f32_e32 v152, v140, v155
	v_mul_f32_e32 v153, v141, v155
	;; [unrolled: 1-line block ×3, first 2 shown]
	ds_read_b128 v[136:139], v1 offset:656
	s_waitcnt vmcnt(19)
	v_fmac_f32_e32 v154, v143, v159
	v_fmac_f32_e32 v152, v141, v151
	v_fma_f32 v140, v140, v151, -v153
	v_fma_f32 v141, v142, v159, -v155
	s_clause 0x4
	buffer_load_dword v142, off, s[0:3], 0 offset:268
	buffer_load_dword v143, off, s[0:3], 0 offset:288
	;; [unrolled: 1-line block ×5, first 2 shown]
	s_waitcnt lgkmcnt(2)
	v_mul_f32_e32 v156, v128, v157
	v_mul_f32_e32 v157, v129, v157
	s_waitcnt vmcnt(23)
	v_mul_f32_e32 v159, v130, v160
	v_mul_f32_e32 v160, v131, v160
	s_waitcnt vmcnt(21) lgkmcnt(1)
	v_mul_f32_e32 v171, v134, v162
	v_fmac_f32_e32 v156, v129, v158
	v_fma_f32 v157, v128, v158, -v157
	v_mul_f32_e32 v158, v132, v161
	v_mul_f32_e32 v128, v133, v161
	buffer_load_dword v161, off, s[0:3], 0 offset:276
	v_fmac_f32_e32 v159, v131, v125
	v_fma_f32 v160, v130, v125, -v160
	v_mul_f32_e32 v125, v135, v162
	v_fmac_f32_e32 v158, v133, v8
	v_fma_f32 v8, v132, v8, -v128
	ds_read_b128 v[128:131], v1 offset:672
	s_waitcnt vmcnt(18)
	v_fmac_f32_e32 v171, v135, v163
	v_fma_f32 v162, v134, v163, -v125
	s_waitcnt vmcnt(17) lgkmcnt(1)
	v_mul_f32_e32 v163, v136, v164
	v_mul_f32_e32 v125, v137, v164
	s_waitcnt vmcnt(16)
	v_mul_f32_e32 v164, v138, v165
	v_mul_f32_e32 v165, v139, v165
	ds_read_b128 v[132:135], v1 offset:688
	v_fmac_f32_e32 v163, v137, v126
	v_fma_f32 v136, v136, v126, -v125
	v_fmac_f32_e32 v164, v139, v10
	v_fma_f32 v10, v138, v10, -v165
	s_clause 0x2
	buffer_load_dword v137, off, s[0:3], 0 offset:284
	buffer_load_dword v138, off, s[0:3], 0 offset:292
	;; [unrolled: 1-line block ×3, first 2 shown]
	v_add_f32_e32 v2, 0, v2
	s_waitcnt vmcnt(18) lgkmcnt(1)
	v_mul_f32_e32 v139, v128, v122
	v_mul_f32_e32 v122, v129, v122
	s_waitcnt vmcnt(17)
	v_mul_f32_e32 v165, v130, v11
	v_mul_f32_e32 v11, v131, v11
	v_fmac_f32_e32 v139, v129, v5
	v_fma_f32 v129, v128, v5, -v122
	s_waitcnt vmcnt(13)
	v_fmac_f32_e32 v165, v131, v127
	v_fma_f32 v11, v130, v127, -v11
	s_waitcnt vmcnt(12) lgkmcnt(0)
	v_mul_f32_e32 v130, v132, v124
	v_mul_f32_e32 v5, v133, v124
	s_waitcnt vmcnt(11)
	v_mul_f32_e32 v131, v134, v123
	v_mul_f32_e32 v122, v135, v123
	ds_read_b128 v[125:128], v1 offset:704
	v_fmac_f32_e32 v130, v133, v7
	v_fma_f32 v7, v132, v7, -v5
	v_fmac_f32_e32 v131, v135, v6
	v_fma_f32 v6, v134, v6, -v122
	s_clause 0x4
	buffer_load_dword v132, off, s[0:3], 0 offset:320
	buffer_load_dword v133, off, s[0:3], 0 offset:312
	;; [unrolled: 1-line block ×5, first 2 shown]
	v_add_f32_e32 v5, 0, v168
	v_add_f32_e32 v3, v5, v3
	v_add_f32_e32 v123, v3, v144
	buffer_load_dword v144, off, s[0:3], 0 offset:316
	s_waitcnt vmcnt(16) lgkmcnt(0)
	v_mul_f32_e32 v168, v125, v166
	v_mul_f32_e32 v122, v126, v166
	v_add_f32_e32 v123, v123, v148
	v_fmac_f32_e32 v168, v126, v4
	v_fma_f32 v126, v125, v4, -v122
	v_add_f32_e32 v122, v2, v169
	ds_read_b128 v[2:5], v1 offset:720
	v_add_f32_e32 v123, v123, v149
	v_add_f32_e32 v122, v122, v145
	;; [unrolled: 1-line block ×4, first 2 shown]
	buffer_load_dword v147, off, s[0:3], 0 offset:332
	v_add_f32_e32 v140, v148, v140
	s_waitcnt vmcnt(15)
	v_mul_f32_e32 v145, v127, v142
	v_mul_f32_e32 v124, v128, v142
	buffer_load_dword v142, off, s[0:3], 0 offset:324
	s_waitcnt vmcnt(12)
	v_fmac_f32_e32 v145, v128, v155
	v_add_f32_e32 v128, v122, v170
	v_fma_f32 v127, v127, v155, -v124
	ds_read_b128 v[122:125], v1 offset:736
	v_add_f32_e32 v128, v128, v146
	s_waitcnt vmcnt(11) lgkmcnt(1)
	v_mul_f32_e32 v149, v2, v161
	v_mul_f32_e32 v150, v3, v161
	s_clause 0x3
	buffer_load_dword v146, off, s[0:3], 0 offset:352
	buffer_load_dword v148, off, s[0:3], 0 offset:344
	;; [unrolled: 1-line block ×4, first 2 shown]
	v_fmac_f32_e32 v149, v3, v153
	v_fma_f32 v150, v2, v153, -v150
	v_add_f32_e32 v2, v128, v152
	s_clause 0x1
	buffer_load_dword v152, off, s[0:3], 0 offset:340
	buffer_load_dword v153, off, s[0:3], 0 offset:348
	v_add_f32_e32 v3, v140, v141
	buffer_load_dword v141, off, s[0:3], 0 offset:356
	v_add_f32_e32 v2, v2, v154
	v_add_f32_e32 v3, v3, v157
	s_waitcnt vmcnt(17)
	v_mul_f32_e32 v128, v5, v137
	v_mul_f32_e32 v140, v4, v137
	v_add_f32_e32 v160, v3, v160
	v_fma_f32 v137, v4, v151, -v128
	v_add_f32_e32 v128, v2, v156
	v_add_f32_e32 v8, v160, v8
	v_fmac_f32_e32 v140, v5, v151
	s_clause 0x3
	buffer_load_dword v151, off, s[0:3], 0 offset:364
	buffer_load_dword v154, off, s[0:3], 0 offset:372
	buffer_load_dword v156, off, s[0:3], 0 offset:380
	buffer_load_dword v157, off, s[0:3], 0 offset:388
	ds_read_b128 v[2:5], v1 offset:752
	v_add_f32_e32 v128, v128, v159
	s_waitcnt vmcnt(20) lgkmcnt(1)
	v_mul_f32_e32 v159, v122, v138
	v_mul_f32_e32 v138, v123, v138
	v_add_f32_e32 v8, v8, v162
	s_waitcnt vmcnt(19)
	v_mul_f32_e32 v160, v124, v172
	v_add_f32_e32 v128, v128, v158
	v_mul_f32_e32 v158, v125, v172
	v_fma_f32 v138, v122, v143, -v138
	v_add_f32_e32 v8, v8, v136
	v_fmac_f32_e32 v159, v123, v143
	v_add_f32_e32 v122, v128, v171
	s_clause 0x3
	buffer_load_dword v143, off, s[0:3], 0 offset:396
	buffer_load_dword v162, off, s[0:3], 0 offset:404
	;; [unrolled: 1-line block ×4, first 2 shown]
	v_add_f32_e32 v8, v8, v10
	s_waitcnt vmcnt(19)
	v_fmac_f32_e32 v160, v125, v135
	v_fma_f32 v135, v124, v135, -v158
	buffer_load_dword v158, off, s[0:3], 0 offset:428
	v_add_f32_e32 v122, v122, v163
	s_clause 0x4
	buffer_load_dword v163, off, s[0:3], 0 offset:384
	buffer_load_dword v170, off, s[0:3], 0 offset:376
	;; [unrolled: 1-line block ×5, first 2 shown]
	v_add_f32_e32 v8, v8, v129
	s_waitcnt vmcnt(24) lgkmcnt(0)
	v_mul_f32_e32 v128, v3, v173
	v_add_f32_e32 v10, v122, v164
	ds_read_b128 v[122:125], v1 offset:768
	v_add_f32_e32 v8, v8, v11
	v_fma_f32 v11, v2, v134, -v128
	v_add_f32_e32 v10, v10, v139
	v_mul_f32_e32 v139, v2, v173
	s_waitcnt vmcnt(23)
	v_mul_f32_e32 v177, v4, v144
	v_add_f32_e32 v2, v10, v165
	v_fmac_f32_e32 v139, v3, v134
	v_add_f32_e32 v3, v8, v7
	s_clause 0x6
	buffer_load_dword v8, off, s[0:3], 0 offset:416
	buffer_load_dword v10, off, s[0:3], 0 offset:408
	;; [unrolled: 1-line block ×7, first 2 shown]
	v_add_f32_e32 v2, v2, v130
	v_add_f32_e32 v3, v3, v6
	v_fmac_f32_e32 v177, v5, v133
	v_add_f32_e32 v2, v2, v131
	v_add_f32_e32 v6, v3, v126
	v_mul_f32_e32 v3, v5, v144
	v_add_f32_e32 v7, v2, v168
	v_add_f32_e32 v6, v6, v127
	v_fma_f32 v144, v4, v133, -v3
	ds_read_b128 v[2:5], v1 offset:784
	ds_read_b128 v[126:129], v1 offset:800
	v_add_f32_e32 v7, v7, v145
	v_add_f32_e32 v6, v6, v150
	s_waitcnt vmcnt(29) lgkmcnt(2)
	v_mul_f32_e32 v131, v125, v147
	v_add_f32_e32 v7, v7, v149
	v_add_f32_e32 v6, v6, v137
	;; [unrolled: 1-line block ×8, first 2 shown]
	s_waitcnt vmcnt(28)
	v_mul_f32_e32 v130, v123, v142
	v_mul_f32_e32 v145, v122, v142
	;; [unrolled: 1-line block ×3, first 2 shown]
	v_fma_f32 v147, v122, v132, -v130
	v_fmac_f32_e32 v145, v123, v132
	v_add_f32_e32 v144, v144, v147
	s_waitcnt vmcnt(24)
	v_fma_f32 v149, v124, v161, -v131
	v_fmac_f32_e32 v142, v125, v161
	ds_read_b128 v[122:125], v1 offset:816
	ds_read_b128 v[130:133], v1 offset:832
	s_waitcnt vmcnt(23) lgkmcnt(3)
	v_mul_f32_e32 v134, v3, v152
	v_mul_f32_e32 v138, v2, v152
	s_waitcnt vmcnt(22)
	v_mul_f32_e32 v140, v4, v153
	v_mul_f32_e32 v150, v5, v153
	v_add_f32_e32 v144, v144, v149
	v_fma_f32 v152, v2, v155, -v134
	v_add_f32_e32 v2, v7, v160
	v_fmac_f32_e32 v138, v3, v155
	v_fmac_f32_e32 v140, v5, v148
	v_fma_f32 v11, v4, v148, -v150
	s_waitcnt vmcnt(21) lgkmcnt(2)
	v_mul_f32_e32 v148, v126, v141
	v_add_f32_e32 v139, v2, v139
	v_mul_f32_e32 v141, v127, v141
	v_add_f32_e32 v144, v144, v152
	ds_read_b128 v[134:137], v1 offset:848
	ds_read_b128 v[2:5], v1 offset:864
	v_add_f32_e32 v139, v139, v177
	s_waitcnt vmcnt(20)
	v_mul_f32_e32 v147, v129, v151
	v_fma_f32 v126, v126, v146, -v141
	v_add_f32_e32 v11, v144, v11
	v_mul_f32_e32 v150, v128, v151
	v_add_f32_e32 v139, v139, v145
	v_fmac_f32_e32 v148, v127, v146
	s_waitcnt vmcnt(19) lgkmcnt(3)
	v_mul_f32_e32 v144, v123, v154
	v_add_f32_e32 v11, v11, v126
	v_mul_f32_e32 v145, v122, v154
	v_add_f32_e32 v139, v139, v142
	s_waitcnt vmcnt(18)
	v_mul_f32_e32 v149, v124, v156
	s_waitcnt vmcnt(17) lgkmcnt(2)
	v_mul_f32_e32 v151, v130, v157
	s_waitcnt vmcnt(16)
	v_mul_f32_e32 v142, v132, v143
	ds_read_b64 v[6:7], v1 offset:880
	v_add_f32_e32 v138, v139, v138
	s_waitcnt vmcnt(15) lgkmcnt(2)
	v_mul_f32_e32 v152, v134, v162
	s_waitcnt vmcnt(14)
	v_mul_f32_e32 v127, v136, v166
	v_add_f32_e32 v138, v138, v140
	s_waitcnt vmcnt(10)
	v_fmac_f32_e32 v149, v125, v170
	s_waitcnt vmcnt(9)
	v_fma_f32 v122, v122, v171, -v144
	s_waitcnt vmcnt(8)
	v_fma_f32 v128, v128, v172, -v147
	v_fmac_f32_e32 v150, v129, v172
	v_add_f32_e32 v126, v138, v148
	v_mul_f32_e32 v129, v125, v156
	v_fmac_f32_e32 v145, v123, v171
	v_add_f32_e32 v11, v11, v128
	v_fmac_f32_e32 v151, v131, v163
	v_add_f32_e32 v123, v126, v150
	v_mul_f32_e32 v126, v131, v157
	v_fma_f32 v124, v124, v170, -v129
	v_add_f32_e32 v11, v11, v122
	s_waitcnt lgkmcnt(1)
	v_mul_f32_e32 v139, v2, v169
	v_add_f32_e32 v122, v123, v145
	v_mul_f32_e32 v123, v133, v143
	v_fma_f32 v125, v130, v163, -v126
	v_add_f32_e32 v11, v11, v124
	v_mul_f32_e32 v124, v135, v162
	v_add_f32_e32 v122, v122, v149
	s_waitcnt vmcnt(3)
	v_fma_f32 v123, v132, v165, -v123
	v_fmac_f32_e32 v142, v133, v165
	v_add_f32_e32 v11, v11, v125
	v_mul_f32_e32 v125, v137, v166
	v_add_f32_e32 v122, v122, v151
	v_fma_f32 v124, v134, v164, -v124
	v_fmac_f32_e32 v152, v135, v164
	v_add_f32_e32 v11, v11, v123
	v_mul_f32_e32 v123, v3, v169
	v_add_f32_e32 v122, v122, v142
	v_fmac_f32_e32 v127, v137, v10
	v_fma_f32 v10, v136, v10, -v125
	v_add_f32_e32 v11, v11, v124
	v_mul_f32_e32 v124, v5, v158
	v_add_f32_e32 v122, v122, v152
	v_fmac_f32_e32 v139, v3, v8
	v_fma_f32 v2, v2, v8, -v123
	v_add_f32_e32 v3, v11, v10
	v_mul_f32_e32 v141, v4, v158
	v_add_f32_e32 v8, v122, v127
	s_waitcnt lgkmcnt(0)
	v_mul_f32_e32 v10, v7, v174
	s_waitcnt vmcnt(1)
	v_fma_f32 v4, v4, v175, -v124
	v_add_f32_e32 v2, v3, v2
	v_mul_f32_e32 v140, v6, v174
	v_fmac_f32_e32 v141, v5, v175
	v_add_f32_e32 v3, v8, v139
	v_fma_f32 v5, v6, v173, -v10
	v_add_f32_e32 v2, v2, v4
	v_fmac_f32_e32 v140, v7, v173
	v_add_f32_e32 v3, v3, v141
	v_add_f32_e32 v2, v2, v5
	v_add_f32_e32 v3, v3, v140
	s_waitcnt vmcnt(0)
	v_sub_f32_e32 v2, v176, v2
	v_sub_f32_e32 v3, v167, v3
	buffer_store_dword v2, off, s[0:3], 0 offset:104
	buffer_store_dword v3, off, s[0:3], 0 offset:108
	v_cmpx_lt_u32_e32 12, v0
	s_cbranch_execz .LBB118_319
; %bb.318:
	s_clause 0x1
	buffer_load_dword v2, off, s[0:3], 0 offset:96
	buffer_load_dword v3, off, s[0:3], 0 offset:100
	buffer_store_dword v1, off, s[0:3], 0 offset:96
	buffer_store_dword v1, off, s[0:3], 0 offset:100
	s_waitcnt vmcnt(0)
	ds_write_b64 v9, v[2:3]
.LBB118_319:
	s_or_b32 exec_lo, exec_lo, s4
	s_waitcnt lgkmcnt(0)
	s_waitcnt_vscnt null, 0x0
	s_barrier
	buffer_gl0_inv
	s_clause 0x24
	buffer_load_dword v148, off, s[0:3], 0 offset:108
	buffer_load_dword v2, off, s[0:3], 0 offset:116
	;; [unrolled: 1-line block ×37, first 2 shown]
	ds_read2_b64 v[132:135], v1 offset0:69 offset1:70
	ds_read2_b64 v[136:139], v1 offset0:71 offset1:72
	;; [unrolled: 1-line block ×3, first 2 shown]
	s_clause 0x1
	buffer_load_dword v166, off, s[0:3], 0 offset:252
	buffer_load_dword v167, off, s[0:3], 0 offset:260
	ds_read2_b64 v[144:147], v1 offset0:75 offset1:76
	buffer_load_dword v169, off, s[0:3], 0 offset:100
	s_mov_b32 s4, exec_lo
	s_waitcnt vmcnt(39) lgkmcnt(3)
	v_mul_f32_e32 v168, v133, v148
	v_mul_f32_e32 v148, v132, v148
	s_waitcnt vmcnt(38)
	v_mul_f32_e32 v170, v134, v2
	v_mul_f32_e32 v2, v135, v2
	s_waitcnt vmcnt(35)
	v_fma_f32 v168, v132, v151, -v168
	v_fmac_f32_e32 v148, v133, v151
	v_fmac_f32_e32 v170, v135, v150
	v_fma_f32 v2, v134, v150, -v2
	s_waitcnt vmcnt(33) lgkmcnt(2)
	v_mul_f32_e32 v150, v138, v153
	v_mul_f32_e32 v133, v139, v153
	;; [unrolled: 1-line block ×4, first 2 shown]
	s_waitcnt vmcnt(32) lgkmcnt(1)
	v_mul_f32_e32 v152, v140, v154
	v_mul_f32_e32 v153, v141, v154
	s_waitcnt vmcnt(28)
	v_fmac_f32_e32 v150, v139, v157
	v_fma_f32 v154, v138, v157, -v133
	s_waitcnt vmcnt(27)
	v_mul_f32_e32 v157, v142, v158
	v_mul_f32_e32 v158, v143, v158
	v_fmac_f32_e32 v151, v137, v149
	v_fma_f32 v149, v136, v149, -v132
	ds_read2_b64 v[132:135], v1 offset0:77 offset1:78
	ds_read2_b64 v[136:139], v1 offset0:79 offset1:80
	v_fmac_f32_e32 v152, v141, v156
	v_fma_f32 v153, v140, v156, -v153
	s_waitcnt vmcnt(26) lgkmcnt(2)
	v_mul_f32_e32 v156, v144, v159
	v_mul_f32_e32 v140, v145, v159
	v_fmac_f32_e32 v157, v143, v155
	v_fma_f32 v155, v142, v155, -v158
	s_waitcnt vmcnt(25)
	v_mul_f32_e32 v158, v146, v160
	v_mul_f32_e32 v141, v147, v160
	s_clause 0x3
	buffer_load_dword v159, off, s[0:3], 0 offset:280
	buffer_load_dword v160, off, s[0:3], 0 offset:272
	;; [unrolled: 1-line block ×4, first 2 shown]
	v_fmac_f32_e32 v156, v145, v122
	v_fma_f32 v122, v144, v122, -v140
	s_waitcnt vmcnt(25)
	v_fmac_f32_e32 v158, v147, v161
	v_fma_f32 v144, v146, v161, -v141
	ds_read2_b64 v[140:143], v1 offset0:81 offset1:82
	s_waitcnt vmcnt(24) lgkmcnt(2)
	v_mul_f32_e32 v145, v132, v162
	v_mul_f32_e32 v146, v133, v162
	s_waitcnt vmcnt(23)
	v_mul_f32_e32 v147, v134, v163
	v_mul_f32_e32 v161, v135, v163
	s_waitcnt vmcnt(22) lgkmcnt(1)
	v_mul_f32_e32 v162, v136, v164
	v_fmac_f32_e32 v145, v133, v129
	v_fma_f32 v146, v132, v129, -v146
	v_mul_f32_e32 v129, v137, v164
	v_fmac_f32_e32 v147, v135, v123
	v_fma_f32 v161, v134, v123, -v161
	s_waitcnt vmcnt(21)
	v_mul_f32_e32 v123, v139, v128
	v_mul_f32_e32 v163, v138, v128
	s_clause 0x1
	buffer_load_dword v164, off, s[0:3], 0 offset:268
	buffer_load_dword v173, off, s[0:3], 0 offset:276
	v_fmac_f32_e32 v162, v137, v6
	v_fma_f32 v6, v136, v6, -v129
	s_waitcnt vmcnt(19)
	v_fma_f32 v136, v138, v165, -v123
	ds_read2_b64 v[132:135], v1 offset0:83 offset1:84
	s_waitcnt vmcnt(17) lgkmcnt(1)
	v_mul_f32_e32 v138, v142, v130
	v_mul_f32_e32 v128, v143, v130
	;; [unrolled: 1-line block ×4, first 2 shown]
	v_fmac_f32_e32 v163, v139, v165
	v_fmac_f32_e32 v138, v143, v8
	v_fma_f32 v8, v142, v8, -v128
	ds_read2_b64 v[128:131], v1 offset0:85 offset1:86
	v_fma_f32 v139, v140, v124, -v123
	s_clause 0x1
	buffer_load_dword v140, off, s[0:3], 0 offset:284
	buffer_load_dword v143, off, s[0:3], 0 offset:292
	v_fmac_f32_e32 v137, v141, v124
	s_waitcnt vmcnt(18) lgkmcnt(1)
	v_mul_f32_e32 v141, v132, v11
	v_mul_f32_e32 v11, v133, v11
	s_waitcnt vmcnt(17)
	v_mul_f32_e32 v142, v134, v10
	v_mul_f32_e32 v10, v135, v10
	v_fmac_f32_e32 v141, v133, v4
	v_fma_f32 v11, v132, v4, -v11
	s_waitcnt vmcnt(13)
	v_fmac_f32_e32 v142, v135, v127
	v_fma_f32 v10, v134, v127, -v10
	s_waitcnt vmcnt(12) lgkmcnt(0)
	v_mul_f32_e32 v127, v128, v126
	v_mul_f32_e32 v4, v129, v126
	s_waitcnt vmcnt(11)
	v_mul_f32_e32 v126, v130, v125
	v_mul_f32_e32 v123, v131, v125
	ds_read2_b64 v[132:135], v1 offset0:87 offset1:88
	v_fmac_f32_e32 v127, v129, v7
	v_fma_f32 v7, v128, v7, -v4
	v_fmac_f32_e32 v126, v131, v5
	v_fma_f32 v128, v130, v5, -v123
	s_clause 0x4
	buffer_load_dword v130, off, s[0:3], 0 offset:312
	buffer_load_dword v129, off, s[0:3], 0 offset:304
	;; [unrolled: 1-line block ×5, first 2 shown]
	v_add_f32_e32 v4, 0, v168
	v_add_f32_e32 v5, 0, v148
	s_clause 0x1
	buffer_load_dword v148, off, s[0:3], 0 offset:308
	buffer_load_dword v168, off, s[0:3], 0 offset:316
	v_add_f32_e32 v2, v4, v2
	v_add_f32_e32 v4, v5, v170
	;; [unrolled: 1-line block ×4, first 2 shown]
	s_waitcnt vmcnt(17) lgkmcnt(0)
	v_mul_f32_e32 v170, v132, v166
	v_mul_f32_e32 v5, v133, v166
	s_waitcnt vmcnt(16)
	v_mul_f32_e32 v149, v134, v167
	v_mul_f32_e32 v123, v135, v167
	v_add_f32_e32 v124, v2, v154
	v_add_f32_e32 v125, v4, v150
	v_fmac_f32_e32 v170, v133, v3
	v_fma_f32 v132, v132, v3, -v5
	ds_read2_b64 v[2:5], v1 offset0:89 offset1:90
	s_waitcnt vmcnt(11)
	v_fmac_f32_e32 v149, v135, v172
	v_fma_f32 v133, v134, v172, -v123
	v_add_f32_e32 v123, v124, v153
	v_add_f32_e32 v124, v125, v152
	s_clause 0x4
	buffer_load_dword v134, off, s[0:3], 0 offset:324
	buffer_load_dword v150, off, s[0:3], 0 offset:344
	;; [unrolled: 1-line block ×5, first 2 shown]
	v_add_f32_e32 v123, v123, v155
	s_clause 0x2
	buffer_load_dword v153, off, s[0:3], 0 offset:332
	buffer_load_dword v154, off, s[0:3], 0 offset:340
	;; [unrolled: 1-line block ×3, first 2 shown]
	v_add_f32_e32 v124, v124, v157
	v_add_f32_e32 v122, v123, v122
	;; [unrolled: 1-line block ×5, first 2 shown]
	ds_read2_b64 v[122:125], v1 offset0:91 offset1:92
	s_waitcnt vmcnt(18) lgkmcnt(1)
	v_mul_f32_e32 v157, v2, v164
	v_add_f32_e32 v144, v144, v146
	v_mul_f32_e32 v158, v3, v164
	v_add_f32_e32 v145, v156, v145
	s_waitcnt vmcnt(17)
	v_mul_f32_e32 v146, v4, v173
	v_fmac_f32_e32 v157, v3, v171
	v_add_f32_e32 v3, v144, v161
	v_mul_f32_e32 v156, v5, v173
	v_add_f32_e32 v144, v145, v147
	v_fma_f32 v145, v2, v171, -v158
	v_fmac_f32_e32 v146, v5, v160
	v_add_f32_e32 v2, v3, v6
	v_fma_f32 v147, v4, v160, -v156
	v_add_f32_e32 v3, v144, v162
	s_clause 0x7
	buffer_load_dword v6, off, s[0:3], 0 offset:356
	buffer_load_dword v144, off, s[0:3], 0 offset:364
	;; [unrolled: 1-line block ×8, first 2 shown]
	v_add_f32_e32 v2, v2, v136
	v_add_f32_e32 v3, v3, v163
	s_waitcnt vmcnt(24) lgkmcnt(0)
	v_mul_f32_e32 v4, v123, v140
	v_mul_f32_e32 v166, v122, v140
	v_add_f32_e32 v2, v2, v139
	s_clause 0x3
	buffer_load_dword v163, off, s[0:3], 0 offset:388
	buffer_load_dword v167, off, s[0:3], 0 offset:396
	;; [unrolled: 1-line block ×4, first 2 shown]
	v_fma_f32 v136, v122, v159, -v4
	v_add_f32_e32 v122, v3, v137
	s_waitcnt vmcnt(27)
	v_mul_f32_e32 v3, v125, v143
	v_add_f32_e32 v8, v2, v8
	v_fmac_f32_e32 v166, v123, v159
	s_clause 0x1
	buffer_load_dword v159, off, s[0:3], 0 offset:420
	buffer_load_dword v173, off, s[0:3], 0 offset:428
	v_mul_f32_e32 v137, v124, v143
	buffer_load_dword v143, off, s[0:3], 0 offset:436
	v_add_f32_e32 v8, v8, v11
	v_add_f32_e32 v122, v122, v138
	;; [unrolled: 1-line block ×4, first 2 shown]
	s_waitcnt vmcnt(26)
	v_fma_f32 v139, v124, v165, -v3
	ds_read2_b64 v[2:5], v1 offset0:93 offset1:94
	v_fmac_f32_e32 v137, v125, v165
	s_clause 0x3
	buffer_load_dword v10, off, s[0:3], 0 offset:408
	buffer_load_dword v165, off, s[0:3], 0 offset:400
	;; [unrolled: 1-line block ×4, first 2 shown]
	v_add_f32_e32 v11, v11, v142
	v_add_f32_e32 v7, v8, v7
	ds_read2_b64 v[122:125], v1 offset0:95 offset1:96
	v_add_f32_e32 v8, v11, v127
	v_add_f32_e32 v7, v7, v128
	s_waitcnt vmcnt(29) lgkmcnt(1)
	v_mul_f32_e32 v11, v2, v174
	v_mul_f32_e32 v127, v3, v174
	s_waitcnt vmcnt(28)
	v_mul_f32_e32 v140, v4, v148
	v_fmac_f32_e32 v11, v3, v131
	v_fma_f32 v138, v2, v131, -v127
	v_add_f32_e32 v2, v8, v126
	v_add_f32_e32 v3, v7, v132
	s_clause 0x2
	buffer_load_dword v7, off, s[0:3], 0 offset:432
	buffer_load_dword v8, off, s[0:3], 0 offset:424
	;; [unrolled: 1-line block ×3, first 2 shown]
	v_mul_f32_e32 v126, v5, v148
	v_fmac_f32_e32 v140, v5, v129
	v_add_f32_e32 v2, v2, v170
	buffer_load_dword v170, off, s[0:3], 0 offset:96
	v_add_f32_e32 v3, v3, v133
	v_fma_f32 v141, v4, v129, -v126
	s_waitcnt vmcnt(31) lgkmcnt(0)
	v_mul_f32_e32 v133, v123, v168
	v_add_f32_e32 v127, v2, v149
	v_add_f32_e32 v131, v3, v145
	ds_read2_b64 v[2:5], v1 offset0:97 offset1:98
	v_mul_f32_e32 v145, v122, v168
	v_add_f32_e32 v132, v127, v157
	ds_read2_b64 v[126:129], v1 offset0:99 offset1:100
	v_add_f32_e32 v131, v131, v147
	v_fma_f32 v147, v122, v130, -v133
	v_fmac_f32_e32 v145, v123, v130
	v_add_f32_e32 v132, v132, v146
	v_add_f32_e32 v136, v131, v136
	;; [unrolled: 1-line block ×4, first 2 shown]
	s_waitcnt vmcnt(30)
	v_mul_f32_e32 v146, v124, v134
	v_mul_f32_e32 v134, v125, v134
	s_waitcnt vmcnt(26)
	v_fmac_f32_e32 v146, v125, v152
	v_fma_f32 v148, v124, v152, -v134
	v_add_f32_e32 v134, v132, v166
	s_waitcnt vmcnt(25) lgkmcnt(1)
	v_mul_f32_e32 v149, v2, v153
	v_mul_f32_e32 v139, v3, v153
	s_waitcnt vmcnt(23) lgkmcnt(0)
	v_mul_f32_e32 v153, v126, v155
	v_mul_f32_e32 v152, v4, v154
	v_add_f32_e32 v134, v134, v137
	v_fmac_f32_e32 v149, v3, v151
	v_fma_f32 v151, v2, v151, -v139
	v_add_f32_e32 v139, v136, v141
	v_mul_f32_e32 v137, v5, v154
	v_add_f32_e32 v11, v134, v11
	v_mul_f32_e32 v138, v127, v155
	v_fmac_f32_e32 v153, v127, v150
	v_add_f32_e32 v127, v139, v147
	ds_read2_b64 v[122:125], v1 offset0:101 offset1:102
	ds_read2_b64 v[130:133], v1 offset0:103 offset1:104
	v_add_f32_e32 v11, v11, v140
	v_fmac_f32_e32 v152, v5, v135
	v_fma_f32 v154, v4, v135, -v137
	ds_read2_b64 v[2:5], v1 offset0:105 offset1:106
	ds_read2_b64 v[134:137], v1 offset0:107 offset1:108
	v_fma_f32 v126, v126, v150, -v138
	ds_read2_b64 v[138:141], v1 offset0:109 offset1:110
	v_add_f32_e32 v1, v11, v145
	v_add_f32_e32 v127, v127, v148
	s_waitcnt vmcnt(22)
	v_mul_f32_e32 v11, v128, v6
	v_mul_f32_e32 v6, v129, v6
	v_add_f32_e32 v1, v1, v146
	v_add_f32_e32 v127, v127, v151
	s_waitcnt vmcnt(15)
	v_fmac_f32_e32 v11, v129, v164
	v_fma_f32 v6, v128, v164, -v6
	v_add_f32_e32 v1, v1, v149
	v_add_f32_e32 v127, v127, v154
	s_waitcnt lgkmcnt(4)
	v_mul_f32_e32 v145, v122, v144
	v_mul_f32_e32 v144, v123, v144
	;; [unrolled: 1-line block ×3, first 2 shown]
	v_add_f32_e32 v1, v1, v152
	v_add_f32_e32 v126, v127, v126
	v_mul_f32_e32 v146, v124, v156
	v_fma_f32 v122, v122, v162, -v144
	v_fmac_f32_e32 v145, v123, v162
	v_add_f32_e32 v1, v1, v153
	v_add_f32_e32 v6, v126, v6
	v_fma_f32 v123, v124, v161, -v150
	s_waitcnt lgkmcnt(3)
	v_mul_f32_e32 v128, v130, v158
	v_fmac_f32_e32 v146, v125, v161
	v_add_f32_e32 v1, v1, v11
	v_mul_f32_e32 v11, v131, v158
	v_add_f32_e32 v6, v6, v122
	s_waitcnt vmcnt(14)
	v_mul_f32_e32 v122, v133, v163
	v_mul_f32_e32 v129, v132, v163
	v_add_f32_e32 v1, v1, v145
	v_fma_f32 v11, v130, v160, -v11
	v_add_f32_e32 v6, v6, v123
	v_fmac_f32_e32 v128, v131, v160
	s_waitcnt vmcnt(13) lgkmcnt(2)
	v_mul_f32_e32 v147, v2, v167
	v_add_f32_e32 v1, v1, v146
	v_mul_f32_e32 v123, v3, v167
	v_add_f32_e32 v6, v6, v11
	s_waitcnt vmcnt(4)
	v_fma_f32 v122, v132, v176, -v122
	v_fmac_f32_e32 v129, v133, v176
	v_add_f32_e32 v1, v1, v128
	v_mul_f32_e32 v11, v5, v171
	v_fmac_f32_e32 v147, v3, v175
	v_fma_f32 v2, v2, v175, -v123
	v_add_f32_e32 v3, v6, v122
	v_mul_f32_e32 v148, v4, v171
	v_add_f32_e32 v1, v1, v129
	s_waitcnt lgkmcnt(1)
	v_mul_f32_e32 v6, v135, v172
	v_fma_f32 v4, v4, v165, -v11
	v_add_f32_e32 v2, v3, v2
	v_mul_f32_e32 v149, v134, v172
	v_fmac_f32_e32 v148, v5, v165
	v_add_f32_e32 v1, v1, v147
	v_mul_f32_e32 v3, v137, v159
	v_fma_f32 v5, v134, v10, -v6
	v_add_f32_e32 v2, v2, v4
	v_mul_f32_e32 v151, v136, v159
	v_fmac_f32_e32 v149, v135, v10
	v_add_f32_e32 v1, v1, v148
	s_waitcnt lgkmcnt(0)
	v_mul_f32_e32 v4, v139, v173
	v_add_f32_e32 v2, v2, v5
	v_mul_f32_e32 v152, v138, v173
	v_mul_f32_e32 v5, v141, v143
	v_add_f32_e32 v1, v1, v149
	s_waitcnt vmcnt(2)
	v_fma_f32 v4, v138, v8, -v4
	s_waitcnt vmcnt(1)
	v_fma_f32 v3, v136, v142, -v3
	v_fmac_f32_e32 v151, v137, v142
	v_mul_f32_e32 v127, v140, v143
	v_fmac_f32_e32 v152, v139, v8
	v_add_f32_e32 v2, v2, v3
	v_add_f32_e32 v1, v1, v151
	v_fma_f32 v3, v140, v7, -v5
	v_fmac_f32_e32 v127, v141, v7
	v_add_f32_e32 v2, v2, v4
	v_add_f32_e32 v1, v1, v152
	;; [unrolled: 1-line block ×4, first 2 shown]
	s_waitcnt vmcnt(0)
	v_sub_f32_e32 v2, v170, v2
	v_sub_f32_e32 v1, v169, v1
	buffer_store_dword v2, off, s[0:3], 0 offset:96
	buffer_store_dword v1, off, s[0:3], 0 offset:100
	v_cmpx_lt_u32_e32 11, v0
	s_cbranch_execz .LBB118_321
; %bb.320:
	s_clause 0x1
	buffer_load_dword v1, off, s[0:3], 0 offset:88
	buffer_load_dword v2, off, s[0:3], 0 offset:92
	v_mov_b32_e32 v3, 0
	buffer_store_dword v3, off, s[0:3], 0 offset:88
	buffer_store_dword v3, off, s[0:3], 0 offset:92
	s_waitcnt vmcnt(0)
	ds_write_b64 v9, v[1:2]
.LBB118_321:
	s_or_b32 exec_lo, exec_lo, s4
	s_waitcnt lgkmcnt(0)
	s_waitcnt_vscnt null, 0x0
	s_barrier
	buffer_gl0_inv
	s_clause 0x2c
	buffer_load_dword v158, off, s[0:3], 0 offset:100
	buffer_load_dword v159, off, s[0:3], 0 offset:108
	;; [unrolled: 1-line block ×45, first 2 shown]
	v_mov_b32_e32 v1, 0
	ds_read_b128 v[150:153], v1 offset:544
	ds_read_b128 v[154:157], v1 offset:560
	buffer_load_dword v168, off, s[0:3], 0 offset:92
	s_mov_b32 s4, exec_lo
	s_waitcnt vmcnt(45) lgkmcnt(1)
	v_mul_f32_e32 v166, v151, v158
	v_mul_f32_e32 v158, v150, v158
	s_waitcnt vmcnt(44)
	v_mul_f32_e32 v167, v152, v159
	v_mul_f32_e32 v159, v153, v159
	s_waitcnt vmcnt(41)
	v_fma_f32 v166, v150, v147, -v166
	v_fmac_f32_e32 v158, v151, v147
	v_fmac_f32_e32 v167, v153, v143
	v_fma_f32 v159, v152, v143, -v159
	ds_read_b128 v[150:153], v1 offset:576
	s_waitcnt vmcnt(40) lgkmcnt(1)
	v_mul_f32_e32 v169, v154, v142
	v_mul_f32_e32 v142, v155, v142
	s_waitcnt vmcnt(39)
	v_mul_f32_e32 v170, v156, v140
	v_mul_f32_e32 v140, v157, v140
	v_fmac_f32_e32 v169, v155, v129
	v_fma_f32 v171, v154, v129, -v142
	s_waitcnt vmcnt(35)
	v_fmac_f32_e32 v170, v157, v148
	v_fma_f32 v172, v156, v148, -v140
	ds_read_b128 v[154:157], v1 offset:592
	s_waitcnt vmcnt(34) lgkmcnt(1)
	v_mul_f32_e32 v173, v150, v146
	v_mul_f32_e32 v129, v151, v146
	s_waitcnt vmcnt(33)
	v_mul_f32_e32 v174, v152, v145
	v_mul_f32_e32 v140, v153, v145
	ds_read_b128 v[145:148], v1 offset:608
	v_fmac_f32_e32 v173, v151, v137
	v_fma_f32 v137, v150, v137, -v129
	v_fmac_f32_e32 v174, v153, v132
	v_fma_f32 v175, v152, v132, -v140
	ds_read_b128 v[150:153], v1 offset:624
	s_waitcnt vmcnt(32) lgkmcnt(2)
	v_mul_f32_e32 v176, v154, v136
	v_mul_f32_e32 v129, v155, v136
	s_waitcnt vmcnt(31)
	v_mul_f32_e32 v132, v157, v134
	v_mul_f32_e32 v136, v156, v134
	v_fmac_f32_e32 v176, v155, v8
	v_fma_f32 v8, v154, v8, -v129
	s_waitcnt vmcnt(27)
	v_fma_f32 v154, v156, v144, -v132
	v_fmac_f32_e32 v136, v157, v144
	s_waitcnt vmcnt(26) lgkmcnt(1)
	v_mul_f32_e32 v155, v145, v141
	v_mul_f32_e32 v129, v146, v141
	s_waitcnt vmcnt(25)
	v_mul_f32_e32 v156, v147, v139
	v_mul_f32_e32 v132, v148, v139
	ds_read_b128 v[139:142], v1 offset:640
	v_fmac_f32_e32 v155, v146, v130
	v_fma_f32 v157, v145, v130, -v129
	ds_read_b128 v[143:146], v1 offset:656
	v_fmac_f32_e32 v156, v148, v124
	v_fma_f32 v147, v147, v124, -v132
	s_waitcnt vmcnt(24) lgkmcnt(2)
	v_mul_f32_e32 v148, v150, v128
	v_mul_f32_e32 v124, v151, v128
	s_waitcnt vmcnt(23)
	v_mul_f32_e32 v177, v152, v126
	v_mul_f32_e32 v126, v153, v126
	v_fmac_f32_e32 v148, v151, v4
	v_fma_f32 v150, v150, v4, -v124
	s_waitcnt vmcnt(19)
	v_fmac_f32_e32 v177, v153, v138
	v_fma_f32 v126, v152, v138, -v126
	s_waitcnt vmcnt(18) lgkmcnt(1)
	v_mul_f32_e32 v138, v139, v135
	v_mul_f32_e32 v4, v140, v135
	s_waitcnt vmcnt(17)
	v_mul_f32_e32 v151, v141, v133
	v_mul_f32_e32 v124, v142, v133
	ds_read_b128 v[132:135], v1 offset:672
	v_fmac_f32_e32 v138, v140, v123
	v_fma_f32 v139, v139, v123, -v4
	v_fmac_f32_e32 v151, v142, v10
	v_fma_f32 v10, v141, v10, -v124
	s_waitcnt vmcnt(15) lgkmcnt(1)
	v_mul_f32_e32 v141, v145, v11
	v_mul_f32_e32 v11, v146, v11
	;; [unrolled: 1-line block ×4, first 2 shown]
	s_waitcnt vmcnt(11)
	v_fmac_f32_e32 v141, v146, v131
	v_fma_f32 v11, v145, v131, -v11
	ds_read_b128 v[128:131], v1 offset:688
	v_fmac_f32_e32 v140, v144, v3
	v_fma_f32 v142, v143, v3, -v4
	buffer_load_dword v145, off, s[0:3], 0 offset:284
	s_waitcnt vmcnt(11) lgkmcnt(1)
	v_mul_f32_e32 v143, v132, v127
	v_mul_f32_e32 v3, v133, v127
	s_waitcnt vmcnt(10)
	v_mul_f32_e32 v127, v134, v125
	v_mul_f32_e32 v4, v135, v125
	ds_read_b128 v[122:125], v1 offset:704
	v_fmac_f32_e32 v143, v133, v7
	v_fma_f32 v7, v132, v7, -v3
	v_fmac_f32_e32 v127, v135, v5
	v_fma_f32 v132, v134, v5, -v4
	buffer_load_dword v134, off, s[0:3], 0 offset:276
	s_waitcnt vmcnt(10) lgkmcnt(1)
	v_mul_f32_e32 v133, v128, v6
	v_mul_f32_e32 v3, v129, v6
	s_waitcnt vmcnt(9)
	v_mul_f32_e32 v6, v130, v149
	v_mul_f32_e32 v4, v131, v149
	v_fmac_f32_e32 v133, v129, v2
	v_fma_f32 v128, v128, v2, -v3
	s_waitcnt vmcnt(5)
	v_fmac_f32_e32 v6, v131, v163
	v_fma_f32 v129, v130, v163, -v4
	ds_read_b128 v[2:5], v1 offset:720
	s_waitcnt vmcnt(4) lgkmcnt(1)
	v_mul_f32_e32 v131, v123, v164
	v_mul_f32_e32 v130, v122, v164
	s_waitcnt vmcnt(3)
	v_mul_f32_e32 v135, v124, v165
	v_mul_f32_e32 v144, v125, v165
	v_fma_f32 v131, v122, v162, -v131
	s_clause 0x4
	buffer_load_dword v146, off, s[0:3], 0 offset:304
	buffer_load_dword v149, off, s[0:3], 0 offset:296
	;; [unrolled: 1-line block ×5, first 2 shown]
	v_fmac_f32_e32 v130, v123, v162
	v_fmac_f32_e32 v135, v125, v161
	v_fma_f32 v144, v124, v161, -v144
	s_waitcnt vmcnt(5) lgkmcnt(0)
	v_mul_f32_e32 v161, v2, v134
	v_mul_f32_e32 v123, v3, v134
	v_fmac_f32_e32 v161, v3, v160
	v_fma_f32 v134, v2, v160, -v123
	v_mul_f32_e32 v160, v4, v145
	v_mul_f32_e32 v2, v5, v145
	s_waitcnt vmcnt(1)
	v_fmac_f32_e32 v160, v5, v122
	v_fma_f32 v145, v4, v122, -v2
	ds_read_b128 v[2:5], v1 offset:736
	ds_read_b128 v[122:125], v1 offset:752
	s_waitcnt vmcnt(0) lgkmcnt(1)
	v_mul_f32_e32 v162, v2, v153
	v_mul_f32_e32 v153, v3, v153
	v_fmac_f32_e32 v162, v3, v152
	v_fma_f32 v152, v2, v152, -v153
	buffer_load_dword v2, off, s[0:3], 0 offset:300
	s_waitcnt vmcnt(0)
	v_mul_f32_e32 v153, v4, v2
	v_mul_f32_e32 v2, v5, v2
	v_fmac_f32_e32 v153, v5, v149
	v_fma_f32 v149, v4, v149, -v2
	buffer_load_dword v2, off, s[0:3], 0 offset:308
	s_waitcnt vmcnt(0) lgkmcnt(0)
	v_mul_f32_e32 v163, v122, v2
	v_mul_f32_e32 v2, v123, v2
	v_fmac_f32_e32 v163, v123, v146
	v_fma_f32 v146, v122, v146, -v2
	s_clause 0x4
	buffer_load_dword v2, off, s[0:3], 0 offset:316
	buffer_load_dword v164, off, s[0:3], 0 offset:336
	;; [unrolled: 1-line block ×5, first 2 shown]
	s_waitcnt vmcnt(4)
	v_mul_f32_e32 v179, v124, v2
	v_mul_f32_e32 v2, v125, v2
	s_waitcnt vmcnt(0)
	v_fmac_f32_e32 v179, v125, v3
	v_fma_f32 v180, v124, v3, -v2
	v_add_f32_e32 v2, 0, v166
	v_add_f32_e32 v3, 0, v158
	s_clause 0x1
	buffer_load_dword v158, off, s[0:3], 0 offset:324
	buffer_load_dword v166, off, s[0:3], 0 offset:348
	v_add_f32_e32 v2, v2, v159
	v_add_f32_e32 v3, v3, v167
	buffer_load_dword v159, off, s[0:3], 0 offset:332
	v_add_f32_e32 v2, v2, v171
	v_add_f32_e32 v3, v3, v169
	;; [unrolled: 1-line block ×5, first 2 shown]
	buffer_load_dword v137, off, s[0:3], 0 offset:340
	v_add_f32_e32 v3, v3, v173
	v_add_f32_e32 v2, v2, v175
	;; [unrolled: 1-line block ×4, first 2 shown]
	s_clause 0x3
	buffer_load_dword v8, off, s[0:3], 0 offset:368
	buffer_load_dword v167, off, s[0:3], 0 offset:360
	buffer_load_dword v169, off, s[0:3], 0 offset:352
	buffer_load_dword v170, off, s[0:3], 0 offset:344
	v_add_f32_e32 v3, v3, v176
	v_add_f32_e32 v2, v2, v154
	s_clause 0x1
	buffer_load_dword v154, off, s[0:3], 0 offset:356
	buffer_load_dword v171, off, s[0:3], 0 offset:364
	v_add_f32_e32 v3, v3, v136
	v_add_f32_e32 v2, v2, v157
	buffer_load_dword v157, off, s[0:3], 0 offset:372
	v_add_f32_e32 v3, v3, v155
	v_add_f32_e32 v2, v2, v147
	s_clause 0x3
	buffer_load_dword v147, off, s[0:3], 0 offset:380
	buffer_load_dword v155, off, s[0:3], 0 offset:388
	;; [unrolled: 1-line block ×4, first 2 shown]
	v_add_f32_e32 v3, v3, v156
	v_add_f32_e32 v2, v2, v150
	s_clause 0x1
	buffer_load_dword v150, off, s[0:3], 0 offset:412
	buffer_load_dword v156, off, s[0:3], 0 offset:420
	v_add_f32_e32 v3, v3, v148
	s_clause 0x1
	buffer_load_dword v148, off, s[0:3], 0 offset:428
	buffer_load_dword v174, off, s[0:3], 0 offset:436
	v_add_f32_e32 v2, v2, v126
	v_add_f32_e32 v3, v3, v177
	;; [unrolled: 1-line block ×5, first 2 shown]
	s_clause 0x3
	buffer_load_dword v10, off, s[0:3], 0 offset:400
	buffer_load_dword v138, off, s[0:3], 0 offset:392
	;; [unrolled: 1-line block ×4, first 2 shown]
	v_add_f32_e32 v3, v3, v151
	v_add_f32_e32 v2, v2, v142
	;; [unrolled: 1-line block ×4, first 2 shown]
	s_clause 0x3
	buffer_load_dword v11, off, s[0:3], 0 offset:432
	buffer_load_dword v140, off, s[0:3], 0 offset:424
	;; [unrolled: 1-line block ×4, first 2 shown]
	v_add_f32_e32 v3, v3, v141
	buffer_load_dword v141, off, s[0:3], 0 offset:88
	v_add_f32_e32 v2, v2, v7
	v_add_f32_e32 v3, v3, v143
	;; [unrolled: 1-line block ×4, first 2 shown]
	ds_read_b128 v[2:5], v1 offset:768
	v_add_f32_e32 v7, v7, v128
	v_add_f32_e32 v122, v122, v133
	;; [unrolled: 1-line block ×4, first 2 shown]
	ds_read_b128 v[122:125], v1 offset:784
	v_add_f32_e32 v7, v7, v131
	v_add_f32_e32 v6, v6, v130
	;; [unrolled: 1-line block ×8, first 2 shown]
	s_waitcnt vmcnt(27) lgkmcnt(1)
	v_mul_f32_e32 v143, v2, v158
	v_mul_f32_e32 v126, v3, v158
	v_fmac_f32_e32 v143, v3, v178
	v_add_f32_e32 v3, v7, v134
	s_waitcnt vmcnt(25)
	v_mul_f32_e32 v144, v4, v159
	v_mul_f32_e32 v127, v5, v159
	v_fma_f32 v158, v2, v178, -v126
	v_add_f32_e32 v7, v3, v145
	v_fmac_f32_e32 v144, v5, v165
	v_fma_f32 v159, v4, v165, -v127
	ds_read_b128 v[2:5], v1 offset:800
	ds_read_b128 v[126:129], v1 offset:816
	;; [unrolled: 1-line block ×3, first 2 shown]
	v_add_f32_e32 v7, v7, v152
	s_waitcnt lgkmcnt(3)
	v_mul_f32_e32 v152, v124, v166
	s_waitcnt vmcnt(24)
	v_mul_f32_e32 v134, v123, v137
	v_mul_f32_e32 v145, v122, v137
	v_add_f32_e32 v7, v7, v149
	v_mul_f32_e32 v149, v125, v166
	v_fma_f32 v160, v122, v164, -v134
	v_fmac_f32_e32 v145, v123, v164
	v_add_f32_e32 v7, v7, v146
	ds_read_b128 v[134:137], v1 offset:848
	s_waitcnt vmcnt(20)
	v_fma_f32 v146, v124, v170, -v149
	v_add_f32_e32 v149, v6, v163
	v_add_f32_e32 v153, v7, v180
	v_fmac_f32_e32 v152, v125, v170
	s_waitcnt vmcnt(19) lgkmcnt(3)
	v_mul_f32_e32 v161, v2, v154
	v_mul_f32_e32 v154, v3, v154
	v_add_f32_e32 v149, v149, v179
	v_add_f32_e32 v153, v153, v158
	s_waitcnt vmcnt(18)
	v_mul_f32_e32 v158, v5, v171
	v_mul_f32_e32 v162, v4, v171
	v_fma_f32 v2, v2, v169, -v154
	v_add_f32_e32 v143, v149, v143
	v_add_f32_e32 v153, v153, v159
	v_fmac_f32_e32 v161, v3, v169
	s_waitcnt vmcnt(17) lgkmcnt(2)
	v_mul_f32_e32 v149, v126, v157
	v_mul_f32_e32 v154, v127, v157
	v_add_f32_e32 v143, v143, v144
	v_add_f32_e32 v153, v153, v160
	v_fma_f32 v4, v4, v167, -v158
	v_fmac_f32_e32 v162, v5, v167
	v_fmac_f32_e32 v149, v127, v8
	v_add_f32_e32 v143, v143, v145
	v_add_f32_e32 v146, v153, v146
	v_fma_f32 v8, v126, v8, -v154
	s_waitcnt vmcnt(16)
	v_mul_f32_e32 v159, v128, v147
	ds_read_b128 v[122:125], v1 offset:864
	ds_read_b64 v[6:7], v1 offset:880
	v_add_f32_e32 v143, v143, v152
	v_add_f32_e32 v2, v146, v2
	s_waitcnt vmcnt(15) lgkmcnt(3)
	v_mul_f32_e32 v163, v130, v155
	s_waitcnt vmcnt(14)
	v_mul_f32_e32 v144, v132, v172
	s_waitcnt vmcnt(13) lgkmcnt(2)
	v_mul_f32_e32 v160, v134, v173
	v_add_f32_e32 v5, v143, v161
	v_mul_f32_e32 v143, v129, v147
	v_add_f32_e32 v2, v2, v4
	s_waitcnt vmcnt(6)
	v_fmac_f32_e32 v163, v131, v139
	s_waitcnt vmcnt(5)
	v_fmac_f32_e32 v159, v129, v175
	v_add_f32_e32 v4, v5, v162
	v_mul_f32_e32 v5, v131, v155
	v_fma_f32 v126, v128, v175, -v143
	v_add_f32_e32 v2, v2, v8
	v_mul_f32_e32 v8, v133, v172
	v_add_f32_e32 v4, v4, v149
	v_fma_f32 v5, v130, v139, -v5
	v_fmac_f32_e32 v144, v133, v138
	v_add_f32_e32 v2, v2, v126
	v_mul_f32_e32 v126, v135, v173
	v_add_f32_e32 v4, v4, v159
	v_fma_f32 v8, v132, v138, -v8
	v_fmac_f32_e32 v160, v135, v10
	v_add_f32_e32 v2, v2, v5
	v_mul_f32_e32 v5, v137, v150
	v_add_f32_e32 v4, v4, v163
	v_fma_f32 v10, v134, v10, -v126
	v_mul_f32_e32 v3, v136, v150
	v_add_f32_e32 v2, v2, v8
	s_waitcnt lgkmcnt(1)
	v_mul_f32_e32 v8, v123, v156
	v_add_f32_e32 v4, v4, v144
	s_waitcnt vmcnt(1)
	v_fma_f32 v5, v136, v151, -v5
	v_mul_f32_e32 v145, v122, v156
	v_add_f32_e32 v2, v2, v10
	v_fmac_f32_e32 v3, v137, v151
	v_add_f32_e32 v4, v4, v160
	v_mul_f32_e32 v10, v125, v148
	v_fma_f32 v8, v122, v142, -v8
	v_add_f32_e32 v2, v2, v5
	v_mul_f32_e32 v153, v124, v148
	v_fmac_f32_e32 v145, v123, v142
	v_add_f32_e32 v3, v4, v3
	s_waitcnt lgkmcnt(0)
	v_mul_f32_e32 v4, v7, v174
	v_fma_f32 v5, v124, v140, -v10
	v_add_f32_e32 v2, v2, v8
	v_mul_f32_e32 v152, v6, v174
	v_fmac_f32_e32 v153, v125, v140
	v_add_f32_e32 v3, v3, v145
	v_fma_f32 v4, v6, v11, -v4
	v_add_f32_e32 v2, v2, v5
	v_fmac_f32_e32 v152, v7, v11
	v_add_f32_e32 v3, v3, v153
	v_add_f32_e32 v2, v2, v4
	;; [unrolled: 1-line block ×3, first 2 shown]
	s_waitcnt vmcnt(0)
	v_sub_f32_e32 v2, v141, v2
	v_sub_f32_e32 v3, v168, v3
	buffer_store_dword v2, off, s[0:3], 0 offset:88
	buffer_store_dword v3, off, s[0:3], 0 offset:92
	v_cmpx_lt_u32_e32 10, v0
	s_cbranch_execz .LBB118_323
; %bb.322:
	s_clause 0x1
	buffer_load_dword v2, off, s[0:3], 0 offset:80
	buffer_load_dword v3, off, s[0:3], 0 offset:84
	buffer_store_dword v1, off, s[0:3], 0 offset:80
	buffer_store_dword v1, off, s[0:3], 0 offset:84
	s_waitcnt vmcnt(0)
	ds_write_b64 v9, v[2:3]
.LBB118_323:
	s_or_b32 exec_lo, exec_lo, s4
	s_waitcnt lgkmcnt(0)
	s_waitcnt_vscnt null, 0x0
	s_barrier
	buffer_gl0_inv
	s_clause 0x2c
	buffer_load_dword v158, off, s[0:3], 0 offset:92
	buffer_load_dword v159, off, s[0:3], 0 offset:100
	;; [unrolled: 1-line block ×45, first 2 shown]
	ds_read2_b64 v[150:153], v1 offset0:67 offset1:68
	ds_read2_b64 v[154:157], v1 offset0:69 offset1:70
	buffer_load_dword v168, off, s[0:3], 0 offset:84
	s_mov_b32 s4, exec_lo
	s_waitcnt vmcnt(45) lgkmcnt(1)
	v_mul_f32_e32 v166, v151, v158
	v_mul_f32_e32 v158, v150, v158
	s_waitcnt vmcnt(44)
	v_mul_f32_e32 v167, v152, v159
	v_mul_f32_e32 v159, v153, v159
	s_waitcnt vmcnt(41)
	v_fma_f32 v166, v150, v148, -v166
	v_fmac_f32_e32 v158, v151, v148
	v_fmac_f32_e32 v167, v153, v144
	v_fma_f32 v159, v152, v144, -v159
	ds_read2_b64 v[150:153], v1 offset0:71 offset1:72
	s_waitcnt vmcnt(40) lgkmcnt(1)
	v_mul_f32_e32 v169, v154, v143
	v_mul_f32_e32 v143, v155, v143
	s_waitcnt vmcnt(39)
	v_mul_f32_e32 v170, v156, v141
	v_mul_f32_e32 v141, v157, v141
	v_fmac_f32_e32 v169, v155, v130
	v_fma_f32 v130, v154, v130, -v143
	s_waitcnt vmcnt(35)
	v_fmac_f32_e32 v170, v157, v149
	v_fma_f32 v171, v156, v149, -v141
	ds_read2_b64 v[154:157], v1 offset0:73 offset1:74
	s_waitcnt vmcnt(34) lgkmcnt(1)
	v_mul_f32_e32 v172, v150, v147
	v_mul_f32_e32 v141, v151, v147
	s_waitcnt vmcnt(33)
	v_mul_f32_e32 v173, v152, v146
	v_mul_f32_e32 v143, v153, v146
	ds_read2_b64 v[146:149], v1 offset0:75 offset1:76
	v_fmac_f32_e32 v172, v151, v138
	v_fma_f32 v138, v150, v138, -v141
	v_fmac_f32_e32 v173, v153, v133
	v_fma_f32 v174, v152, v133, -v143
	ds_read2_b64 v[150:153], v1 offset0:77 offset1:78
	s_waitcnt vmcnt(32) lgkmcnt(2)
	v_mul_f32_e32 v175, v154, v137
	v_mul_f32_e32 v133, v155, v137
	s_waitcnt vmcnt(31)
	v_mul_f32_e32 v137, v156, v135
	v_mul_f32_e32 v135, v157, v135
	v_fmac_f32_e32 v175, v155, v10
	v_fma_f32 v10, v154, v10, -v133
	s_waitcnt vmcnt(27)
	v_fmac_f32_e32 v137, v157, v145
	v_fma_f32 v154, v156, v145, -v135
	s_waitcnt vmcnt(26) lgkmcnt(1)
	v_mul_f32_e32 v155, v146, v142
	v_mul_f32_e32 v133, v147, v142
	s_waitcnt vmcnt(25)
	v_mul_f32_e32 v156, v148, v140
	v_mul_f32_e32 v135, v149, v140
	ds_read2_b64 v[140:143], v1 offset0:79 offset1:80
	v_fmac_f32_e32 v155, v147, v131
	v_fma_f32 v131, v146, v131, -v133
	ds_read2_b64 v[144:147], v1 offset0:81 offset1:82
	v_fmac_f32_e32 v156, v149, v125
	v_fma_f32 v148, v148, v125, -v135
	s_waitcnt vmcnt(24) lgkmcnt(2)
	v_mul_f32_e32 v149, v150, v129
	v_mul_f32_e32 v125, v151, v129
	s_waitcnt vmcnt(23)
	v_mul_f32_e32 v157, v152, v127
	v_mul_f32_e32 v127, v153, v127
	v_fmac_f32_e32 v149, v151, v4
	v_fma_f32 v150, v150, v4, -v125
	s_waitcnt vmcnt(19)
	v_fmac_f32_e32 v157, v153, v139
	v_fma_f32 v139, v152, v139, -v127
	s_waitcnt vmcnt(18) lgkmcnt(1)
	v_mul_f32_e32 v151, v140, v136
	v_mul_f32_e32 v4, v141, v136
	s_waitcnt vmcnt(17)
	v_mul_f32_e32 v152, v142, v134
	v_mul_f32_e32 v125, v143, v134
	ds_read2_b64 v[133:136], v1 offset0:83 offset1:84
	v_fmac_f32_e32 v151, v141, v124
	v_fma_f32 v140, v140, v124, -v4
	v_fmac_f32_e32 v152, v143, v11
	v_fma_f32 v11, v142, v11, -v125
	s_waitcnt vmcnt(15) lgkmcnt(1)
	v_mul_f32_e32 v142, v146, v122
	v_mul_f32_e32 v122, v147, v122
	;; [unrolled: 1-line block ×4, first 2 shown]
	s_waitcnt vmcnt(11)
	v_fmac_f32_e32 v142, v147, v132
	v_fma_f32 v132, v146, v132, -v122
	ds_read2_b64 v[122:125], v1 offset0:85 offset1:86
	v_fmac_f32_e32 v141, v145, v3
	v_fma_f32 v143, v144, v3, -v4
	s_waitcnt vmcnt(10) lgkmcnt(1)
	v_mul_f32_e32 v144, v133, v128
	v_mul_f32_e32 v3, v134, v128
	s_waitcnt vmcnt(9)
	v_mul_f32_e32 v145, v135, v126
	v_mul_f32_e32 v4, v136, v126
	ds_read2_b64 v[126:129], v1 offset0:87 offset1:88
	v_fmac_f32_e32 v144, v134, v8
	v_fma_f32 v8, v133, v8, -v3
	v_fmac_f32_e32 v145, v136, v5
	v_fma_f32 v133, v135, v5, -v4
	s_waitcnt vmcnt(8) lgkmcnt(1)
	v_mul_f32_e32 v134, v122, v7
	v_mul_f32_e32 v3, v123, v7
	s_waitcnt vmcnt(7)
	v_mul_f32_e32 v7, v124, v6
	v_mul_f32_e32 v4, v125, v6
	buffer_load_dword v6, off, s[0:3], 0 offset:268
	v_fmac_f32_e32 v134, v123, v2
	v_fma_f32 v135, v122, v2, -v3
	s_waitcnt vmcnt(4)
	v_fmac_f32_e32 v7, v125, v163
	v_fma_f32 v136, v124, v163, -v4
	buffer_load_dword v124, off, s[0:3], 0 offset:276
	ds_read2_b64 v[2:5], v1 offset0:89 offset1:90
	s_waitcnt vmcnt(4) lgkmcnt(1)
	v_mul_f32_e32 v146, v126, v164
	v_mul_f32_e32 v122, v127, v164
	s_waitcnt vmcnt(3)
	v_mul_f32_e32 v147, v128, v165
	v_mul_f32_e32 v123, v129, v165
	v_fmac_f32_e32 v146, v127, v162
	v_fma_f32 v126, v126, v162, -v122
	v_fmac_f32_e32 v147, v129, v161
	v_fma_f32 v127, v128, v161, -v123
	s_clause 0x4
	buffer_load_dword v128, off, s[0:3], 0 offset:296
	buffer_load_dword v129, off, s[0:3], 0 offset:288
	;; [unrolled: 1-line block ×5, first 2 shown]
	s_waitcnt vmcnt(6) lgkmcnt(0)
	v_mul_f32_e32 v162, v2, v6
	v_mul_f32_e32 v6, v3, v6
	v_fmac_f32_e32 v162, v3, v160
	v_fma_f32 v6, v2, v160, -v6
	s_waitcnt vmcnt(5)
	v_mul_f32_e32 v160, v4, v124
	v_mul_f32_e32 v2, v5, v124
	s_waitcnt vmcnt(1)
	v_fmac_f32_e32 v160, v5, v122
	v_fma_f32 v163, v4, v122, -v2
	ds_read2_b64 v[2:5], v1 offset0:91 offset1:92
	ds_read2_b64 v[122:125], v1 offset0:93 offset1:94
	s_waitcnt vmcnt(0) lgkmcnt(1)
	v_mul_f32_e32 v164, v2, v161
	v_mul_f32_e32 v161, v3, v161
	v_fmac_f32_e32 v164, v3, v153
	v_fma_f32 v153, v2, v153, -v161
	s_clause 0x1
	buffer_load_dword v2, off, s[0:3], 0 offset:292
	buffer_load_dword v3, off, s[0:3], 0 offset:300
	s_waitcnt vmcnt(1)
	v_mul_f32_e32 v161, v4, v2
	v_mul_f32_e32 v2, v5, v2
	v_fmac_f32_e32 v161, v5, v129
	v_fma_f32 v165, v4, v129, -v2
	v_add_f32_e32 v2, 0, v166
	buffer_load_dword v5, off, s[0:3], 0 offset:308
	v_add_f32_e32 v4, 0, v158
	v_add_f32_e32 v2, v2, v159
	;; [unrolled: 1-line block ×4, first 2 shown]
	s_clause 0x3
	buffer_load_dword v130, off, s[0:3], 0 offset:328
	buffer_load_dword v129, off, s[0:3], 0 offset:320
	;; [unrolled: 1-line block ×4, first 2 shown]
	v_add_f32_e32 v4, v4, v169
	s_clause 0x1
	buffer_load_dword v166, off, s[0:3], 0 offset:324
	buffer_load_dword v167, off, s[0:3], 0 offset:332
	v_add_f32_e32 v2, v2, v171
	s_waitcnt vmcnt(7) lgkmcnt(0)
	v_mul_f32_e32 v169, v122, v3
	v_add_f32_e32 v4, v4, v170
	v_mul_f32_e32 v3, v123, v3
	v_add_f32_e32 v2, v2, v138
	buffer_load_dword v138, off, s[0:3], 0 offset:316
	v_add_f32_e32 v4, v4, v172
	v_fma_f32 v170, v122, v128, -v3
	v_fmac_f32_e32 v169, v123, v128
	v_add_f32_e32 v2, v2, v174
	v_add_f32_e32 v4, v4, v173
	v_add_f32_e32 v2, v2, v10
	buffer_load_dword v10, off, s[0:3], 0 offset:340
	v_add_f32_e32 v4, v4, v175
	v_add_f32_e32 v2, v2, v154
	v_add_f32_e32 v3, v4, v137
	s_clause 0x5
	buffer_load_dword v154, off, s[0:3], 0 offset:360
	buffer_load_dword v171, off, s[0:3], 0 offset:352
	;; [unrolled: 1-line block ×6, first 2 shown]
	v_add_f32_e32 v2, v2, v131
	v_add_f32_e32 v3, v3, v155
	;; [unrolled: 1-line block ×4, first 2 shown]
	s_clause 0x1
	buffer_load_dword v148, off, s[0:3], 0 offset:356
	buffer_load_dword v156, off, s[0:3], 0 offset:364
	v_add_f32_e32 v2, v2, v150
	v_add_f32_e32 v3, v3, v149
	s_clause 0x2
	buffer_load_dword v149, off, s[0:3], 0 offset:380
	buffer_load_dword v150, off, s[0:3], 0 offset:388
	;; [unrolled: 1-line block ×3, first 2 shown]
	v_add_f32_e32 v2, v2, v139
	v_add_f32_e32 v3, v3, v157
	s_clause 0x3
	buffer_load_dword v157, off, s[0:3], 0 offset:404
	buffer_load_dword v176, off, s[0:3], 0 offset:412
	;; [unrolled: 1-line block ×4, first 2 shown]
	v_add_f32_e32 v2, v2, v140
	v_add_f32_e32 v3, v3, v151
	buffer_load_dword v151, off, s[0:3], 0 offset:436
	v_add_f32_e32 v2, v2, v11
	v_add_f32_e32 v3, v3, v152
	s_clause 0x3
	buffer_load_dword v11, off, s[0:3], 0 offset:392
	buffer_load_dword v152, off, s[0:3], 0 offset:384
	;; [unrolled: 1-line block ×4, first 2 shown]
	v_add_f32_e32 v2, v2, v143
	v_add_f32_e32 v3, v3, v141
	;; [unrolled: 1-line block ×4, first 2 shown]
	s_clause 0x3
	buffer_load_dword v142, off, s[0:3], 0 offset:424
	buffer_load_dword v143, off, s[0:3], 0 offset:416
	;; [unrolled: 1-line block ×4, first 2 shown]
	v_add_f32_e32 v2, v2, v8
	buffer_load_dword v8, off, s[0:3], 0 offset:432
	v_add_f32_e32 v3, v3, v144
	buffer_load_dword v144, off, s[0:3], 0 offset:80
	v_add_f32_e32 v2, v2, v133
	v_add_f32_e32 v3, v3, v145
	;; [unrolled: 1-line block ×20, first 2 shown]
	s_waitcnt vmcnt(34)
	v_mul_f32_e32 v155, v124, v5
	v_mul_f32_e32 v4, v125, v5
	s_waitcnt vmcnt(30)
	v_fmac_f32_e32 v155, v125, v159
	v_fma_f32 v159, v124, v159, -v4
	ds_read2_b64 v[2:5], v1 offset0:95 offset1:96
	ds_read2_b64 v[122:125], v1 offset0:97 offset1:98
	v_add_f32_e32 v7, v7, v155
	v_add_f32_e32 v6, v6, v159
	s_waitcnt vmcnt(27) lgkmcnt(1)
	v_mul_f32_e32 v145, v2, v138
	v_mul_f32_e32 v127, v3, v138
	;; [unrolled: 1-line block ×4, first 2 shown]
	s_waitcnt lgkmcnt(0)
	v_mul_f32_e32 v131, v123, v167
	v_fmac_f32_e32 v145, v3, v158
	v_fma_f32 v138, v2, v158, -v127
	v_fmac_f32_e32 v146, v5, v129
	v_fma_f32 v147, v4, v129, -v128
	ds_read2_b64 v[2:5], v1 offset0:99 offset1:100
	ds_read2_b64 v[126:129], v1 offset0:101 offset1:102
	v_mul_f32_e32 v158, v122, v167
	s_waitcnt vmcnt(26)
	v_mul_f32_e32 v153, v124, v10
	v_mul_f32_e32 v10, v125, v10
	v_fma_f32 v160, v122, v130, -v131
	v_fmac_f32_e32 v158, v123, v130
	s_waitcnt vmcnt(22)
	v_fmac_f32_e32 v153, v125, v137
	v_fma_f32 v10, v124, v137, -v10
	ds_read2_b64 v[122:125], v1 offset0:103 offset1:104
	ds_read2_b64 v[130:133], v1 offset0:105 offset1:106
	ds_read2_b64 v[134:137], v1 offset0:107 offset1:108
	s_waitcnt vmcnt(21) lgkmcnt(4)
	v_mul_f32_e32 v161, v2, v173
	v_mul_f32_e32 v139, v3, v173
	v_fmac_f32_e32 v161, v3, v172
	v_add_f32_e32 v3, v6, v138
	v_fma_f32 v2, v2, v172, -v139
	ds_read2_b64 v[138:141], v1 offset0:109 offset1:110
	v_add_f32_e32 v1, v7, v145
	s_waitcnt vmcnt(19)
	v_mul_f32_e32 v7, v5, v148
	v_add_f32_e32 v3, v3, v147
	v_mul_f32_e32 v6, v4, v148
	s_waitcnt vmcnt(18) lgkmcnt(4)
	v_mul_f32_e32 v147, v127, v156
	v_add_f32_e32 v1, v1, v146
	v_fma_f32 v4, v4, v171, -v7
	v_add_f32_e32 v3, v3, v160
	v_mul_f32_e32 v145, v126, v156
	v_fmac_f32_e32 v6, v5, v171
	v_add_f32_e32 v1, v1, v158
	v_fma_f32 v126, v126, v154, -v147
	v_add_f32_e32 v3, v3, v10
	v_mul_f32_e32 v10, v129, v174
	v_mul_f32_e32 v146, v128, v174
	v_add_f32_e32 v1, v1, v153
	v_fmac_f32_e32 v145, v127, v154
	v_add_f32_e32 v2, v3, v2
	s_waitcnt vmcnt(17) lgkmcnt(3)
	v_mul_f32_e32 v5, v122, v149
	s_waitcnt vmcnt(6)
	v_fmac_f32_e32 v146, v129, v180
	v_add_f32_e32 v1, v1, v161
	v_mul_f32_e32 v7, v124, v150
	v_add_f32_e32 v2, v2, v4
	v_mul_f32_e32 v4, v123, v149
	v_fmac_f32_e32 v5, v123, v179
	v_add_f32_e32 v1, v1, v6
	v_fma_f32 v6, v128, v180, -v10
	v_add_f32_e32 v2, v2, v126
	v_mul_f32_e32 v10, v125, v150
	v_fma_f32 v4, v122, v179, -v4
	v_add_f32_e32 v1, v1, v145
	s_waitcnt lgkmcnt(2)
	v_mul_f32_e32 v148, v130, v175
	v_add_f32_e32 v2, v2, v6
	v_mul_f32_e32 v6, v131, v175
	v_fma_f32 v10, v124, v152, -v10
	v_add_f32_e32 v1, v1, v146
	v_fmac_f32_e32 v7, v125, v152
	v_add_f32_e32 v2, v2, v4
	v_mul_f32_e32 v4, v133, v157
	v_mul_f32_e32 v155, v132, v157
	v_add_f32_e32 v1, v1, v5
	v_fma_f32 v5, v130, v11, -v6
	v_add_f32_e32 v2, v2, v10
	v_fmac_f32_e32 v148, v131, v11
	s_waitcnt lgkmcnt(1)
	v_mul_f32_e32 v6, v135, v176
	v_add_f32_e32 v1, v1, v7
	s_waitcnt vmcnt(2)
	v_fma_f32 v4, v132, v182, -v4
	v_add_f32_e32 v2, v2, v5
	v_mul_f32_e32 v156, v134, v176
	v_fmac_f32_e32 v155, v133, v182
	v_add_f32_e32 v1, v1, v148
	v_mul_f32_e32 v5, v137, v177
	v_fma_f32 v6, v134, v181, -v6
	v_add_f32_e32 v2, v2, v4
	v_mul_f32_e32 v153, v136, v177
	v_fmac_f32_e32 v156, v135, v181
	v_add_f32_e32 v1, v1, v155
	s_waitcnt lgkmcnt(0)
	v_mul_f32_e32 v4, v139, v178
	v_fma_f32 v5, v136, v143, -v5
	v_add_f32_e32 v2, v2, v6
	v_mul_f32_e32 v158, v138, v178
	v_fmac_f32_e32 v153, v137, v143
	v_add_f32_e32 v1, v1, v156
	v_mul_f32_e32 v6, v141, v151
	v_fma_f32 v4, v138, v142, -v4
	v_add_f32_e32 v2, v2, v5
	v_mul_f32_e32 v3, v140, v151
	v_fmac_f32_e32 v158, v139, v142
	v_add_f32_e32 v1, v1, v153
	s_waitcnt vmcnt(1)
	v_fma_f32 v5, v140, v8, -v6
	v_add_f32_e32 v2, v2, v4
	v_fmac_f32_e32 v3, v141, v8
	v_add_f32_e32 v1, v1, v158
	v_add_f32_e32 v2, v2, v5
	;; [unrolled: 1-line block ×3, first 2 shown]
	s_waitcnt vmcnt(0)
	v_sub_f32_e32 v2, v144, v2
	v_sub_f32_e32 v1, v168, v1
	buffer_store_dword v2, off, s[0:3], 0 offset:80
	buffer_store_dword v1, off, s[0:3], 0 offset:84
	v_cmpx_lt_u32_e32 9, v0
	s_cbranch_execz .LBB118_325
; %bb.324:
	s_clause 0x1
	buffer_load_dword v1, off, s[0:3], 0 offset:72
	buffer_load_dword v2, off, s[0:3], 0 offset:76
	v_mov_b32_e32 v3, 0
	buffer_store_dword v3, off, s[0:3], 0 offset:72
	buffer_store_dword v3, off, s[0:3], 0 offset:76
	s_waitcnt vmcnt(0)
	ds_write_b64 v9, v[1:2]
.LBB118_325:
	s_or_b32 exec_lo, exec_lo, s4
	s_waitcnt lgkmcnt(0)
	s_waitcnt_vscnt null, 0x0
	s_barrier
	buffer_gl0_inv
	s_clause 0x2c
	buffer_load_dword v150, off, s[0:3], 0 offset:84
	buffer_load_dword v151, off, s[0:3], 0 offset:92
	;; [unrolled: 1-line block ×45, first 2 shown]
	v_mov_b32_e32 v1, 0
	ds_read_b128 v[156:159], v1 offset:528
	ds_read_b128 v[160:163], v1 offset:544
	buffer_load_dword v168, off, s[0:3], 0 offset:76
	s_mov_b32 s4, exec_lo
	s_waitcnt vmcnt(45) lgkmcnt(1)
	v_mul_f32_e32 v154, v156, v150
	v_mul_f32_e32 v167, v157, v150
	s_waitcnt vmcnt(44)
	v_mul_f32_e32 v150, v158, v151
	v_mul_f32_e32 v151, v159, v151
	s_waitcnt vmcnt(41)
	v_fmac_f32_e32 v154, v157, v11
	v_fma_f32 v11, v156, v11, -v167
	v_fmac_f32_e32 v150, v159, v7
	v_fma_f32 v151, v158, v7, -v151
	ds_read_b128 v[156:159], v1 offset:560
	s_waitcnt vmcnt(40) lgkmcnt(1)
	v_mul_f32_e32 v167, v160, v4
	s_waitcnt vmcnt(39)
	v_mul_f32_e32 v169, v162, v5
	v_mul_f32_e32 v4, v161, v4
	;; [unrolled: 1-line block ×3, first 2 shown]
	v_fmac_f32_e32 v167, v161, v2
	s_waitcnt vmcnt(35)
	v_fmac_f32_e32 v169, v163, v124
	v_fma_f32 v170, v160, v2, -v4
	v_fma_f32 v171, v162, v124, -v5
	ds_read_b128 v[160:163], v1 offset:576
	s_waitcnt vmcnt(34) lgkmcnt(1)
	v_mul_f32_e32 v172, v156, v123
	v_mul_f32_e32 v2, v157, v123
	s_waitcnt vmcnt(33)
	v_mul_f32_e32 v173, v158, v122
	v_mul_f32_e32 v4, v159, v122
	v_fmac_f32_e32 v172, v157, v10
	v_fma_f32 v10, v156, v10, -v2
	v_fmac_f32_e32 v173, v159, v6
	v_fma_f32 v156, v158, v6, -v4
	ds_read_b128 v[4:7], v1 offset:592
	s_waitcnt vmcnt(32) lgkmcnt(1)
	v_mul_f32_e32 v157, v160, v8
	v_mul_f32_e32 v2, v161, v8
	s_waitcnt vmcnt(31)
	v_mul_f32_e32 v8, v162, v125
	v_mul_f32_e32 v122, v163, v125
	v_fmac_f32_e32 v157, v161, v3
	v_fma_f32 v158, v160, v3, -v2
	s_waitcnt vmcnt(27)
	v_fmac_f32_e32 v8, v163, v133
	v_fma_f32 v133, v162, v133, -v122
	ds_read_b128 v[122:125], v1 offset:608
	buffer_load_dword v163, off, s[0:3], 0 offset:268
	s_waitcnt vmcnt(27) lgkmcnt(1)
	v_mul_f32_e32 v159, v4, v131
	v_mul_f32_e32 v2, v5, v131
	s_waitcnt vmcnt(26)
	v_mul_f32_e32 v3, v7, v130
	v_mul_f32_e32 v131, v6, v130
	v_fmac_f32_e32 v159, v5, v129
	v_fma_f32 v129, v4, v129, -v2
	v_fma_f32 v6, v6, v127, -v3
	ds_read_b128 v[2:5], v1 offset:624
	v_fmac_f32_e32 v131, v7, v127
	s_waitcnt vmcnt(25) lgkmcnt(1)
	v_mul_f32_e32 v7, v122, v128
	v_mul_f32_e32 v127, v123, v128
	s_waitcnt vmcnt(24)
	v_mul_f32_e32 v128, v124, v132
	v_mul_f32_e32 v130, v125, v132
	v_fmac_f32_e32 v7, v123, v126
	v_fma_f32 v126, v122, v126, -v127
	s_waitcnt vmcnt(20)
	v_fmac_f32_e32 v128, v125, v141
	v_fma_f32 v127, v124, v141, -v130
	ds_read_b128 v[122:125], v1 offset:640
	s_waitcnt vmcnt(19) lgkmcnt(1)
	v_mul_f32_e32 v130, v2, v139
	v_mul_f32_e32 v132, v3, v139
	s_waitcnt vmcnt(18)
	v_mul_f32_e32 v139, v4, v138
	v_mul_f32_e32 v138, v5, v138
	v_fmac_f32_e32 v130, v3, v137
	v_fma_f32 v132, v2, v137, -v132
	v_fmac_f32_e32 v139, v5, v135
	v_fma_f32 v135, v4, v135, -v138
	ds_read_b128 v[2:5], v1 offset:656
	s_waitcnt vmcnt(17) lgkmcnt(1)
	v_mul_f32_e32 v137, v122, v136
	v_mul_f32_e32 v136, v123, v136
	s_waitcnt vmcnt(16)
	v_mul_f32_e32 v138, v124, v140
	v_mul_f32_e32 v140, v125, v140
	v_fmac_f32_e32 v137, v123, v134
	v_fma_f32 v134, v122, v134, -v136
	s_waitcnt vmcnt(12)
	v_fmac_f32_e32 v138, v125, v149
	v_fma_f32 v136, v124, v149, -v140
	ds_read_b128 v[122:125], v1 offset:672
	s_waitcnt vmcnt(11) lgkmcnt(1)
	v_mul_f32_e32 v140, v2, v147
	v_mul_f32_e32 v141, v3, v147
	s_waitcnt vmcnt(10)
	v_mul_f32_e32 v147, v4, v146
	v_mul_f32_e32 v146, v5, v146
	v_fmac_f32_e32 v140, v3, v145
	v_fma_f32 v141, v2, v145, -v141
	buffer_load_dword v145, off, s[0:3], 0 offset:260
	v_fmac_f32_e32 v147, v5, v143
	v_fma_f32 v143, v4, v143, -v146
	ds_read_b128 v[2:5], v1 offset:688
	s_waitcnt vmcnt(10) lgkmcnt(1)
	v_mul_f32_e32 v146, v122, v144
	v_mul_f32_e32 v144, v123, v144
	s_waitcnt vmcnt(9)
	v_mul_f32_e32 v149, v124, v148
	v_mul_f32_e32 v148, v125, v148
	v_fmac_f32_e32 v146, v123, v142
	v_fma_f32 v142, v122, v142, -v144
	s_waitcnt vmcnt(5)
	v_fmac_f32_e32 v149, v125, v164
	v_fma_f32 v144, v124, v164, -v148
	ds_read_b128 v[122:125], v1 offset:704
	s_waitcnt vmcnt(4) lgkmcnt(1)
	v_mul_f32_e32 v148, v2, v165
	v_mul_f32_e32 v160, v3, v165
	s_waitcnt vmcnt(3)
	v_mul_f32_e32 v161, v4, v166
	v_mul_f32_e32 v162, v5, v166
	v_fmac_f32_e32 v148, v3, v155
	v_fma_f32 v155, v2, v155, -v160
	v_fmac_f32_e32 v161, v5, v153
	v_fma_f32 v153, v4, v153, -v162
	s_clause 0x5
	buffer_load_dword v160, off, s[0:3], 0 offset:288
	buffer_load_dword v162, off, s[0:3], 0 offset:280
	buffer_load_dword v164, off, s[0:3], 0 offset:272
	buffer_load_dword v165, off, s[0:3], 0 offset:264
	buffer_load_dword v166, off, s[0:3], 0 offset:276
	buffer_load_dword v174, off, s[0:3], 0 offset:284
	v_add_f32_e32 v2, 0, v154
	v_add_f32_e32 v3, 0, v11
	buffer_load_dword v11, off, s[0:3], 0 offset:292
	v_add_f32_e32 v2, v2, v150
	buffer_load_dword v150, off, s[0:3], 0 offset:300
	v_add_f32_e32 v3, v3, v151
	v_add_f32_e32 v2, v2, v167
	;; [unrolled: 1-line block ×4, first 2 shown]
	s_clause 0x4
	buffer_load_dword v151, off, s[0:3], 0 offset:320
	buffer_load_dword v154, off, s[0:3], 0 offset:312
	;; [unrolled: 1-line block ×5, first 2 shown]
	v_add_f32_e32 v3, v3, v171
	v_add_f32_e32 v2, v2, v172
	;; [unrolled: 1-line block ×4, first 2 shown]
	s_waitcnt vmcnt(13) lgkmcnt(0)
	v_mul_f32_e32 v10, v122, v145
	v_mul_f32_e32 v4, v123, v145
	v_fmac_f32_e32 v10, v123, v152
	v_fma_f32 v145, v122, v152, -v4
	buffer_load_dword v152, off, s[0:3], 0 offset:316
	v_add_f32_e32 v122, v3, v156
	v_add_f32_e32 v123, v2, v157
	ds_read_b128 v[2:5], v1 offset:720
	v_mul_f32_e32 v156, v124, v163
	buffer_load_dword v157, off, s[0:3], 0 offset:332
	v_add_f32_e32 v122, v122, v158
	v_add_f32_e32 v8, v123, v8
	v_mul_f32_e32 v123, v125, v163
	v_add_f32_e32 v122, v122, v133
	v_add_f32_e32 v8, v8, v159
	buffer_load_dword v133, off, s[0:3], 0 offset:324
	v_add_f32_e32 v129, v122, v129
	v_add_f32_e32 v8, v8, v131
	;; [unrolled: 1-line block ×4, first 2 shown]
	s_waitcnt vmcnt(12)
	v_fmac_f32_e32 v156, v125, v165
	v_fma_f32 v158, v124, v165, -v123
	ds_read_b128 v[122:125], v1 offset:736
	s_waitcnt vmcnt(11) lgkmcnt(1)
	v_mul_f32_e32 v159, v3, v166
	v_mul_f32_e32 v131, v2, v166
	s_clause 0x3
	buffer_load_dword v8, off, s[0:3], 0 offset:352
	buffer_load_dword v163, off, s[0:3], 0 offset:344
	;; [unrolled: 1-line block ×4, first 2 shown]
	v_fma_f32 v129, v2, v164, -v159
	v_add_f32_e32 v2, v6, v126
	s_clause 0x1
	buffer_load_dword v6, off, s[0:3], 0 offset:340
	buffer_load_dword v159, off, s[0:3], 0 offset:348
	v_fmac_f32_e32 v131, v3, v164
	v_add_f32_e32 v3, v7, v128
	s_waitcnt vmcnt(16)
	v_mul_f32_e32 v7, v4, v174
	v_mul_f32_e32 v126, v5, v174
	v_add_f32_e32 v2, v2, v127
	buffer_load_dword v164, off, s[0:3], 0 offset:356
	v_add_f32_e32 v3, v3, v130
	v_fmac_f32_e32 v7, v5, v162
	v_fma_f32 v162, v4, v162, -v126
	v_add_f32_e32 v126, v2, v132
	s_clause 0x3
	buffer_load_dword v171, off, s[0:3], 0 offset:364
	buffer_load_dword v172, off, s[0:3], 0 offset:372
	buffer_load_dword v173, off, s[0:3], 0 offset:380
	buffer_load_dword v174, off, s[0:3], 0 offset:388
	v_add_f32_e32 v127, v3, v139
	ds_read_b128 v[2:5], v1 offset:752
	s_waitcnt vmcnt(19) lgkmcnt(1)
	v_mul_f32_e32 v128, v125, v150
	v_add_f32_e32 v126, v126, v135
	v_mul_f32_e32 v135, v122, v11
	v_mul_f32_e32 v11, v123, v11
	v_add_f32_e32 v127, v127, v137
	v_mul_f32_e32 v137, v124, v150
	v_add_f32_e32 v126, v126, v134
	v_fmac_f32_e32 v135, v123, v160
	v_fma_f32 v11, v122, v160, -v11
	v_add_f32_e32 v122, v127, v138
	s_clause 0x3
	buffer_load_dword v138, off, s[0:3], 0 offset:396
	buffer_load_dword v139, off, s[0:3], 0 offset:404
	;; [unrolled: 1-line block ×4, first 2 shown]
	v_add_f32_e32 v123, v126, v136
	s_waitcnt vmcnt(19)
	v_fmac_f32_e32 v137, v125, v169
	v_fma_f32 v134, v124, v169, -v128
	buffer_load_dword v169, off, s[0:3], 0 offset:428
	v_add_f32_e32 v122, v122, v140
	v_add_f32_e32 v123, v123, v141
	s_clause 0x4
	buffer_load_dword v140, off, s[0:3], 0 offset:384
	buffer_load_dword v141, off, s[0:3], 0 offset:376
	;; [unrolled: 1-line block ×5, first 2 shown]
	s_waitcnt vmcnt(24) lgkmcnt(0)
	v_mul_f32_e32 v128, v3, v170
	v_add_f32_e32 v122, v122, v147
	v_add_f32_e32 v126, v123, v143
	v_fma_f32 v136, v2, v167, -v128
	v_add_f32_e32 v127, v122, v146
	v_add_f32_e32 v126, v126, v142
	ds_read_b128 v[122:125], v1 offset:768
	v_mul_f32_e32 v142, v2, v170
	v_add_f32_e32 v127, v127, v149
	v_add_f32_e32 v2, v126, v144
	s_clause 0x3
	buffer_load_dword v143, off, s[0:3], 0 offset:416
	buffer_load_dword v144, off, s[0:3], 0 offset:408
	;; [unrolled: 1-line block ×4, first 2 shown]
	v_fmac_f32_e32 v142, v3, v167
	v_add_f32_e32 v3, v127, v148
	s_clause 0x1
	buffer_load_dword v148, off, s[0:3], 0 offset:432
	buffer_load_dword v149, off, s[0:3], 0 offset:424
	v_add_f32_e32 v2, v2, v155
	v_add_f32_e32 v3, v3, v161
	;; [unrolled: 1-line block ×3, first 2 shown]
	buffer_load_dword v153, off, s[0:3], 0 offset:72
	v_add_f32_e32 v10, v3, v10
	v_add_f32_e32 v126, v2, v145
	;; [unrolled: 1-line block ×6, first 2 shown]
	ds_read_b128 v[126:129], v1 offset:800
	v_add_f32_e32 v7, v10, v7
	v_add_f32_e32 v156, v131, v162
	;; [unrolled: 1-line block ×5, first 2 shown]
	s_waitcnt vmcnt(30)
	v_mul_f32_e32 v155, v4, v152
	v_mul_f32_e32 v3, v5, v152
	v_fmac_f32_e32 v155, v5, v154
	v_fma_f32 v145, v4, v154, -v3
	ds_read_b128 v[2:5], v1 offset:784
	s_waitcnt vmcnt(29) lgkmcnt(2)
	v_mul_f32_e32 v132, v125, v157
	v_mul_f32_e32 v154, v124, v157
	s_waitcnt vmcnt(28)
	v_mul_f32_e32 v152, v122, v133
	v_mul_f32_e32 v130, v123, v133
	v_fmac_f32_e32 v152, v123, v151
	v_fma_f32 v151, v122, v151, -v130
	s_waitcnt vmcnt(24)
	v_fma_f32 v157, v124, v166, -v132
	v_fmac_f32_e32 v154, v125, v166
	ds_read_b128 v[122:125], v1 offset:816
	ds_read_b128 v[130:133], v1 offset:832
	s_waitcnt vmcnt(23) lgkmcnt(2)
	v_mul_f32_e32 v11, v2, v6
	v_mul_f32_e32 v6, v3, v6
	s_waitcnt vmcnt(22)
	v_mul_f32_e32 v156, v4, v159
	v_mul_f32_e32 v158, v5, v159
	v_fmac_f32_e32 v11, v3, v165
	v_fma_f32 v159, v2, v165, -v6
	v_add_f32_e32 v2, v7, v137
	v_add_f32_e32 v6, v10, v136
	v_fma_f32 v10, v4, v163, -v158
	s_waitcnt vmcnt(21)
	v_mul_f32_e32 v158, v126, v164
	v_fmac_f32_e32 v156, v5, v163
	v_add_f32_e32 v142, v2, v142
	v_add_f32_e32 v145, v6, v145
	s_waitcnt vmcnt(20)
	v_mul_f32_e32 v161, v129, v171
	v_fmac_f32_e32 v158, v127, v8
	ds_read_b128 v[134:137], v1 offset:848
	ds_read_b128 v[2:5], v1 offset:864
	v_add_f32_e32 v142, v142, v155
	v_add_f32_e32 v145, v145, v151
	v_mul_f32_e32 v151, v127, v164
	v_mul_f32_e32 v155, v128, v171
	s_waitcnt vmcnt(17) lgkmcnt(2)
	v_mul_f32_e32 v162, v130, v174
	v_add_f32_e32 v142, v142, v152
	v_add_f32_e32 v145, v145, v157
	v_fma_f32 v8, v126, v8, -v151
	v_mul_f32_e32 v152, v122, v172
	v_mul_f32_e32 v157, v124, v173
	v_add_f32_e32 v142, v142, v154
	v_add_f32_e32 v145, v145, v159
	s_waitcnt vmcnt(16)
	v_mul_f32_e32 v154, v132, v138
	s_waitcnt vmcnt(8)
	v_fma_f32 v128, v128, v176, -v161
	v_fmac_f32_e32 v155, v129, v176
	v_add_f32_e32 v11, v142, v11
	v_add_f32_e32 v10, v145, v10
	v_mul_f32_e32 v145, v123, v172
	v_fmac_f32_e32 v152, v123, v175
	v_mul_f32_e32 v123, v131, v174
	v_add_f32_e32 v11, v11, v156
	v_add_f32_e32 v8, v10, v8
	v_fma_f32 v122, v122, v175, -v145
	v_fmac_f32_e32 v157, v125, v141
	v_fma_f32 v123, v130, v140, -v123
	v_add_f32_e32 v10, v11, v158
	v_mul_f32_e32 v11, v125, v173
	v_add_f32_e32 v8, v8, v128
	v_fmac_f32_e32 v162, v131, v140
	ds_read_b64 v[6:7], v1 offset:880
	v_add_f32_e32 v10, v10, v155
	v_fma_f32 v11, v124, v141, -v11
	v_add_f32_e32 v8, v8, v122
	v_mul_f32_e32 v122, v133, v138
	s_waitcnt lgkmcnt(2)
	v_mul_f32_e32 v159, v134, v139
	v_add_f32_e32 v10, v10, v152
	s_waitcnt vmcnt(3)
	v_fmac_f32_e32 v154, v133, v147
	v_add_f32_e32 v8, v8, v11
	v_mul_f32_e32 v11, v135, v139
	v_fma_f32 v122, v132, v147, -v122
	v_add_f32_e32 v10, v10, v157
	v_mul_f32_e32 v126, v136, v150
	v_add_f32_e32 v8, v8, v123
	v_mul_f32_e32 v123, v137, v150
	v_fma_f32 v11, v134, v146, -v11
	v_add_f32_e32 v10, v10, v162
	v_fmac_f32_e32 v159, v135, v146
	v_add_f32_e32 v8, v8, v122
	s_waitcnt lgkmcnt(1)
	v_mul_f32_e32 v127, v2, v160
	v_mul_f32_e32 v122, v3, v160
	v_add_f32_e32 v10, v10, v154
	v_fma_f32 v123, v136, v144, -v123
	v_add_f32_e32 v8, v8, v11
	v_fmac_f32_e32 v126, v137, v144
	v_mul_f32_e32 v11, v5, v169
	v_add_f32_e32 v10, v10, v159
	v_fmac_f32_e32 v127, v3, v143
	v_fma_f32 v2, v2, v143, -v122
	v_add_f32_e32 v3, v8, v123
	v_mul_f32_e32 v142, v4, v169
	v_add_f32_e32 v8, v10, v126
	s_waitcnt lgkmcnt(0)
	v_mul_f32_e32 v10, v7, v177
	s_waitcnt vmcnt(1)
	v_fma_f32 v4, v4, v149, -v11
	v_add_f32_e32 v2, v3, v2
	v_mul_f32_e32 v151, v6, v177
	v_fmac_f32_e32 v142, v5, v149
	v_add_f32_e32 v3, v8, v127
	v_fma_f32 v5, v6, v148, -v10
	v_add_f32_e32 v2, v2, v4
	v_fmac_f32_e32 v151, v7, v148
	v_add_f32_e32 v3, v3, v142
	v_add_f32_e32 v2, v2, v5
	;; [unrolled: 1-line block ×3, first 2 shown]
	s_waitcnt vmcnt(0)
	v_sub_f32_e32 v2, v153, v2
	v_sub_f32_e32 v3, v168, v3
	buffer_store_dword v2, off, s[0:3], 0 offset:72
	buffer_store_dword v3, off, s[0:3], 0 offset:76
	v_cmpx_lt_u32_e32 8, v0
	s_cbranch_execz .LBB118_327
; %bb.326:
	s_clause 0x1
	buffer_load_dword v2, off, s[0:3], 0 offset:64
	buffer_load_dword v3, off, s[0:3], 0 offset:68
	buffer_store_dword v1, off, s[0:3], 0 offset:64
	buffer_store_dword v1, off, s[0:3], 0 offset:68
	s_waitcnt vmcnt(0)
	ds_write_b64 v9, v[2:3]
.LBB118_327:
	s_or_b32 exec_lo, exec_lo, s4
	s_waitcnt lgkmcnt(0)
	s_waitcnt_vscnt null, 0x0
	s_barrier
	buffer_gl0_inv
	s_clause 0x2c
	buffer_load_dword v150, off, s[0:3], 0 offset:76
	buffer_load_dword v151, off, s[0:3], 0 offset:84
	;; [unrolled: 1-line block ×45, first 2 shown]
	ds_read2_b64 v[156:159], v1 offset0:65 offset1:66
	ds_read2_b64 v[160:163], v1 offset0:67 offset1:68
	buffer_load_dword v168, off, s[0:3], 0 offset:68
	s_mov_b32 s4, exec_lo
	s_waitcnt vmcnt(45) lgkmcnt(1)
	v_mul_f32_e32 v153, v156, v150
	v_mul_f32_e32 v167, v157, v150
	s_waitcnt vmcnt(44)
	v_mul_f32_e32 v150, v158, v151
	v_mul_f32_e32 v151, v159, v151
	s_waitcnt vmcnt(41)
	v_fmac_f32_e32 v153, v157, v11
	v_fma_f32 v11, v156, v11, -v167
	v_fmac_f32_e32 v150, v159, v7
	v_fma_f32 v151, v158, v7, -v151
	ds_read2_b64 v[156:159], v1 offset0:69 offset1:70
	s_waitcnt vmcnt(40) lgkmcnt(1)
	v_mul_f32_e32 v167, v160, v4
	s_waitcnt vmcnt(39)
	v_mul_f32_e32 v169, v162, v5
	v_mul_f32_e32 v4, v161, v4
	;; [unrolled: 1-line block ×3, first 2 shown]
	v_fmac_f32_e32 v167, v161, v2
	s_waitcnt vmcnt(35)
	v_fmac_f32_e32 v169, v163, v124
	v_fma_f32 v170, v160, v2, -v4
	v_fma_f32 v171, v162, v124, -v5
	ds_read2_b64 v[160:163], v1 offset0:71 offset1:72
	s_waitcnt vmcnt(34) lgkmcnt(1)
	v_mul_f32_e32 v172, v156, v123
	v_mul_f32_e32 v2, v157, v123
	s_waitcnt vmcnt(33)
	v_mul_f32_e32 v173, v158, v122
	v_mul_f32_e32 v4, v159, v122
	v_fmac_f32_e32 v172, v157, v10
	v_fma_f32 v10, v156, v10, -v2
	v_fmac_f32_e32 v173, v159, v6
	v_fma_f32 v156, v158, v6, -v4
	ds_read2_b64 v[4:7], v1 offset0:73 offset1:74
	s_waitcnt vmcnt(32) lgkmcnt(1)
	v_mul_f32_e32 v157, v160, v8
	v_mul_f32_e32 v2, v161, v8
	s_waitcnt vmcnt(31)
	v_mul_f32_e32 v8, v162, v125
	v_mul_f32_e32 v122, v163, v125
	v_fmac_f32_e32 v157, v161, v3
	v_fma_f32 v158, v160, v3, -v2
	s_waitcnt vmcnt(27)
	v_fmac_f32_e32 v8, v163, v133
	v_fma_f32 v133, v162, v133, -v122
	ds_read2_b64 v[122:125], v1 offset0:75 offset1:76
	buffer_load_dword v163, off, s[0:3], 0 offset:260
	s_waitcnt vmcnt(27) lgkmcnt(1)
	v_mul_f32_e32 v159, v4, v131
	v_mul_f32_e32 v2, v5, v131
	s_waitcnt vmcnt(26)
	v_mul_f32_e32 v3, v7, v130
	v_mul_f32_e32 v131, v6, v130
	v_fmac_f32_e32 v159, v5, v129
	v_fma_f32 v129, v4, v129, -v2
	v_fma_f32 v6, v6, v127, -v3
	ds_read2_b64 v[2:5], v1 offset0:77 offset1:78
	v_fmac_f32_e32 v131, v7, v127
	s_waitcnt vmcnt(25) lgkmcnt(1)
	v_mul_f32_e32 v7, v122, v128
	v_mul_f32_e32 v127, v123, v128
	s_waitcnt vmcnt(24)
	v_mul_f32_e32 v128, v124, v132
	v_mul_f32_e32 v130, v125, v132
	v_fmac_f32_e32 v7, v123, v126
	v_fma_f32 v126, v122, v126, -v127
	s_waitcnt vmcnt(20)
	v_fmac_f32_e32 v128, v125, v141
	v_fma_f32 v127, v124, v141, -v130
	ds_read2_b64 v[122:125], v1 offset0:79 offset1:80
	s_waitcnt vmcnt(19) lgkmcnt(1)
	v_mul_f32_e32 v130, v2, v139
	v_mul_f32_e32 v132, v3, v139
	s_waitcnt vmcnt(18)
	v_mul_f32_e32 v139, v4, v138
	v_mul_f32_e32 v138, v5, v138
	v_fmac_f32_e32 v130, v3, v137
	v_fma_f32 v132, v2, v137, -v132
	v_fmac_f32_e32 v139, v5, v135
	v_fma_f32 v135, v4, v135, -v138
	ds_read2_b64 v[2:5], v1 offset0:81 offset1:82
	s_waitcnt vmcnt(17) lgkmcnt(1)
	v_mul_f32_e32 v137, v122, v136
	v_mul_f32_e32 v136, v123, v136
	s_waitcnt vmcnt(16)
	v_mul_f32_e32 v138, v124, v140
	v_mul_f32_e32 v140, v125, v140
	v_fmac_f32_e32 v137, v123, v134
	v_fma_f32 v134, v122, v134, -v136
	s_waitcnt vmcnt(12)
	v_fmac_f32_e32 v138, v125, v149
	v_fma_f32 v136, v124, v149, -v140
	ds_read2_b64 v[122:125], v1 offset0:83 offset1:84
	buffer_load_dword v149, off, s[0:3], 0 offset:252
	s_waitcnt vmcnt(12) lgkmcnt(1)
	v_mul_f32_e32 v140, v2, v147
	v_mul_f32_e32 v141, v3, v147
	s_waitcnt vmcnt(11)
	v_mul_f32_e32 v147, v4, v146
	v_mul_f32_e32 v146, v5, v146
	v_fmac_f32_e32 v140, v3, v145
	v_fma_f32 v141, v2, v145, -v141
	v_fmac_f32_e32 v147, v5, v143
	v_fma_f32 v143, v4, v143, -v146
	ds_read2_b64 v[2:5], v1 offset0:85 offset1:86
	s_waitcnt vmcnt(10) lgkmcnt(1)
	v_mul_f32_e32 v145, v122, v144
	v_mul_f32_e32 v144, v123, v144
	s_waitcnt vmcnt(9)
	v_mul_f32_e32 v146, v124, v148
	v_mul_f32_e32 v148, v125, v148
	v_fmac_f32_e32 v145, v123, v142
	v_fma_f32 v142, v122, v142, -v144
	s_waitcnt vmcnt(5)
	v_fmac_f32_e32 v146, v125, v164
	v_fma_f32 v144, v124, v164, -v148
	ds_read2_b64 v[122:125], v1 offset0:87 offset1:88
	s_waitcnt vmcnt(4) lgkmcnt(1)
	v_mul_f32_e32 v148, v2, v165
	v_mul_f32_e32 v160, v3, v165
	s_waitcnt vmcnt(3)
	v_mul_f32_e32 v161, v4, v166
	v_mul_f32_e32 v162, v5, v166
	v_fmac_f32_e32 v148, v3, v155
	v_fma_f32 v155, v2, v155, -v160
	v_fmac_f32_e32 v161, v5, v154
	v_fma_f32 v154, v4, v154, -v162
	s_clause 0x5
	buffer_load_dword v160, off, s[0:3], 0 offset:280
	buffer_load_dword v162, off, s[0:3], 0 offset:272
	;; [unrolled: 1-line block ×6, first 2 shown]
	v_add_f32_e32 v2, 0, v153
	v_add_f32_e32 v3, 0, v11
	buffer_load_dword v11, off, s[0:3], 0 offset:292
	v_add_f32_e32 v2, v2, v150
	buffer_load_dword v150, off, s[0:3], 0 offset:284
	v_add_f32_e32 v3, v3, v151
	v_add_f32_e32 v2, v2, v167
	v_add_f32_e32 v3, v3, v170
	v_add_f32_e32 v2, v2, v169
	s_clause 0x4
	buffer_load_dword v151, off, s[0:3], 0 offset:312
	buffer_load_dword v153, off, s[0:3], 0 offset:304
	;; [unrolled: 1-line block ×5, first 2 shown]
	v_add_f32_e32 v3, v3, v171
	v_add_f32_e32 v2, v2, v172
	v_add_f32_e32 v3, v3, v10
	s_clause 0x1
	buffer_load_dword v10, off, s[0:3], 0 offset:308
	buffer_load_dword v171, off, s[0:3], 0 offset:316
	v_add_f32_e32 v2, v2, v173
	v_add_f32_e32 v3, v3, v156
	;; [unrolled: 1-line block ×10, first 2 shown]
	s_waitcnt vmcnt(16) lgkmcnt(0)
	v_mul_f32_e32 v157, v125, v163
	s_waitcnt vmcnt(15)
	v_mul_f32_e32 v156, v122, v149
	v_mul_f32_e32 v4, v123, v149
	;; [unrolled: 1-line block ×3, first 2 shown]
	v_fmac_f32_e32 v156, v123, v152
	v_fma_f32 v152, v122, v152, -v4
	v_add_f32_e32 v122, v3, v133
	ds_read2_b64 v[2:5], v1 offset0:89 offset1:90
	v_add_f32_e32 v122, v122, v129
	v_add_f32_e32 v6, v122, v6
	v_add_f32_e32 v6, v6, v126
	v_add_f32_e32 v6, v6, v127
	v_add_f32_e32 v6, v6, v132
	v_add_f32_e32 v6, v6, v135
	s_waitcnt vmcnt(11)
	v_fmac_f32_e32 v149, v125, v165
	v_fma_f32 v133, v124, v165, -v157
	s_clause 0x7
	buffer_load_dword v157, off, s[0:3], 0 offset:324
	buffer_load_dword v158, off, s[0:3], 0 offset:344
	;; [unrolled: 1-line block ×8, first 2 shown]
	ds_read2_b64 v[122:125], v1 offset0:91 offset1:92
	s_waitcnt vmcnt(18) lgkmcnt(1)
	v_mul_f32_e32 v126, v2, v166
	v_mul_f32_e32 v127, v3, v166
	s_waitcnt vmcnt(17)
	v_mul_f32_e32 v130, v4, v174
	v_mul_f32_e32 v128, v5, v174
	v_fmac_f32_e32 v126, v3, v164
	v_add_f32_e32 v3, v7, v139
	v_fma_f32 v7, v2, v164, -v127
	v_fmac_f32_e32 v130, v5, v162
	v_fma_f32 v131, v4, v162, -v128
	v_add_f32_e32 v2, v3, v137
	v_add_f32_e32 v3, v6, v134
	s_clause 0x7
	buffer_load_dword v6, off, s[0:3], 0 offset:356
	buffer_load_dword v162, off, s[0:3], 0 offset:364
	buffer_load_dword v164, off, s[0:3], 0 offset:372
	buffer_load_dword v166, off, s[0:3], 0 offset:380
	buffer_load_dword v174, off, s[0:3], 0 offset:376
	buffer_load_dword v175, off, s[0:3], 0 offset:368
	buffer_load_dword v176, off, s[0:3], 0 offset:360
	buffer_load_dword v177, off, s[0:3], 0 offset:352
	v_add_f32_e32 v2, v2, v138
	v_add_f32_e32 v3, v3, v136
	s_waitcnt vmcnt(23) lgkmcnt(0)
	v_mul_f32_e32 v4, v123, v150
	v_mul_f32_e32 v132, v122, v150
	v_add_f32_e32 v2, v2, v140
	v_mul_f32_e32 v135, v124, v11
	s_clause 0x3
	buffer_load_dword v150, off, s[0:3], 0 offset:388
	buffer_load_dword v178, off, s[0:3], 0 offset:396
	;; [unrolled: 1-line block ×4, first 2 shown]
	v_fma_f32 v134, v122, v160, -v4
	v_add_f32_e32 v122, v3, v141
	v_mul_f32_e32 v3, v125, v11
	v_add_f32_e32 v11, v2, v147
	v_fmac_f32_e32 v132, v123, v160
	s_clause 0x1
	buffer_load_dword v160, off, s[0:3], 0 offset:420
	buffer_load_dword v181, off, s[0:3], 0 offset:428
	v_add_f32_e32 v122, v122, v143
	s_waitcnt vmcnt(25)
	v_fma_f32 v136, v124, v169, -v3
	ds_read2_b64 v[2:5], v1 offset0:93 offset1:94
	v_add_f32_e32 v11, v11, v145
	buffer_load_dword v147, off, s[0:3], 0 offset:436
	v_add_f32_e32 v122, v122, v142
	v_fmac_f32_e32 v135, v125, v169
	v_add_f32_e32 v11, v11, v146
	s_clause 0x3
	buffer_load_dword v142, off, s[0:3], 0 offset:408
	buffer_load_dword v143, off, s[0:3], 0 offset:400
	;; [unrolled: 1-line block ×4, first 2 shown]
	v_add_f32_e32 v122, v122, v144
	v_add_f32_e32 v11, v11, v148
	;; [unrolled: 1-line block ×3, first 2 shown]
	ds_read2_b64 v[122:125], v1 offset0:95 offset1:96
	v_add_f32_e32 v11, v11, v161
	s_waitcnt vmcnt(29) lgkmcnt(1)
	v_mul_f32_e32 v137, v2, v170
	v_mul_f32_e32 v128, v3, v170
	s_waitcnt vmcnt(28)
	v_mul_f32_e32 v139, v4, v10
	v_mul_f32_e32 v10, v5, v10
	v_fmac_f32_e32 v137, v3, v167
	v_add_f32_e32 v3, v11, v156
	s_clause 0x2
	buffer_load_dword v11, off, s[0:3], 0 offset:432
	buffer_load_dword v144, off, s[0:3], 0 offset:424
	buffer_load_dword v148, off, s[0:3], 0 offset:416
	v_fma_f32 v138, v2, v167, -v128
	v_add_f32_e32 v2, v127, v154
	v_fmac_f32_e32 v139, v5, v153
	v_add_f32_e32 v3, v3, v149
	v_fma_f32 v10, v4, v153, -v10
	v_add_f32_e32 v2, v2, v152
	buffer_load_dword v152, off, s[0:3], 0 offset:64
	s_waitcnt vmcnt(31) lgkmcnt(0)
	v_mul_f32_e32 v140, v122, v171
	v_add_f32_e32 v127, v2, v133
	v_add_f32_e32 v133, v3, v126
	ds_read2_b64 v[2:5], v1 offset0:97 offset1:98
	v_fmac_f32_e32 v140, v123, v151
	v_add_f32_e32 v7, v127, v7
	ds_read2_b64 v[126:129], v1 offset0:99 offset1:100
	v_add_f32_e32 v130, v133, v130
	v_mul_f32_e32 v133, v123, v171
	v_add_f32_e32 v7, v7, v131
	v_add_f32_e32 v141, v130, v132
	v_fma_f32 v151, v122, v151, -v133
	v_add_f32_e32 v7, v7, v134
	v_add_f32_e32 v134, v141, v135
	;; [unrolled: 1-line block ×7, first 2 shown]
	s_waitcnt vmcnt(30)
	v_mul_f32_e32 v149, v124, v157
	v_mul_f32_e32 v131, v125, v157
	s_waitcnt vmcnt(25) lgkmcnt(1)
	v_mul_f32_e32 v154, v2, v8
	s_waitcnt vmcnt(24)
	v_mul_f32_e32 v155, v4, v172
	v_mul_f32_e32 v8, v3, v8
	;; [unrolled: 1-line block ×3, first 2 shown]
	s_waitcnt vmcnt(23) lgkmcnt(0)
	v_mul_f32_e32 v141, v127, v173
	v_fmac_f32_e32 v149, v125, v165
	v_fma_f32 v153, v124, v165, -v131
	ds_read2_b64 v[122:125], v1 offset0:101 offset1:102
	ds_read2_b64 v[130:133], v1 offset0:103 offset1:104
	v_mul_f32_e32 v156, v126, v173
	v_fmac_f32_e32 v154, v3, v163
	v_fmac_f32_e32 v155, v5, v159
	v_fma_f32 v8, v2, v163, -v8
	v_fma_f32 v157, v4, v159, -v135
	ds_read2_b64 v[2:5], v1 offset0:105 offset1:106
	ds_read2_b64 v[134:137], v1 offset0:107 offset1:108
	v_fma_f32 v10, v126, v158, -v141
	v_add_f32_e32 v126, v138, v140
	ds_read2_b64 v[138:141], v1 offset0:109 offset1:110
	v_add_f32_e32 v1, v7, v151
	s_waitcnt vmcnt(22)
	v_mul_f32_e32 v7, v128, v6
	v_mul_f32_e32 v6, v129, v6
	v_add_f32_e32 v126, v126, v149
	v_fmac_f32_e32 v156, v127, v158
	v_add_f32_e32 v1, v1, v153
	s_waitcnt vmcnt(15)
	v_fmac_f32_e32 v7, v129, v177
	v_fma_f32 v6, v128, v177, -v6
	s_waitcnt lgkmcnt(4)
	v_mul_f32_e32 v151, v123, v162
	v_add_f32_e32 v1, v1, v8
	v_add_f32_e32 v8, v126, v154
	v_mul_f32_e32 v127, v122, v162
	v_mul_f32_e32 v149, v124, v164
	v_fma_f32 v122, v122, v176, -v151
	v_add_f32_e32 v1, v1, v157
	v_add_f32_e32 v8, v8, v155
	v_mul_f32_e32 v155, v125, v164
	v_fmac_f32_e32 v127, v123, v176
	s_waitcnt lgkmcnt(3)
	v_mul_f32_e32 v128, v130, v166
	v_add_f32_e32 v1, v1, v10
	v_add_f32_e32 v8, v8, v156
	v_fmac_f32_e32 v149, v125, v175
	s_waitcnt vmcnt(14)
	v_mul_f32_e32 v129, v132, v150
	v_fmac_f32_e32 v128, v131, v174
	v_add_f32_e32 v1, v1, v6
	v_add_f32_e32 v6, v8, v7
	v_mul_f32_e32 v7, v131, v166
	v_fma_f32 v8, v124, v175, -v155
	s_waitcnt vmcnt(13) lgkmcnt(2)
	v_mul_f32_e32 v126, v2, v178
	v_add_f32_e32 v1, v1, v122
	v_add_f32_e32 v6, v6, v127
	v_mul_f32_e32 v122, v133, v150
	v_fma_f32 v7, v130, v174, -v7
	s_waitcnt vmcnt(4)
	v_fmac_f32_e32 v129, v133, v146
	v_add_f32_e32 v1, v1, v8
	v_add_f32_e32 v6, v6, v149
	v_mul_f32_e32 v8, v3, v178
	v_fma_f32 v122, v132, v146, -v122
	v_mul_f32_e32 v153, v4, v179
	v_add_f32_e32 v1, v1, v7
	v_add_f32_e32 v6, v6, v128
	v_mul_f32_e32 v7, v5, v179
	v_fma_f32 v2, v2, v145, -v8
	v_fmac_f32_e32 v126, v3, v145
	v_add_f32_e32 v1, v1, v122
	v_add_f32_e32 v3, v6, v129
	s_waitcnt lgkmcnt(1)
	v_mul_f32_e32 v6, v135, v180
	v_fma_f32 v4, v4, v143, -v7
	v_mul_f32_e32 v154, v134, v180
	v_add_f32_e32 v1, v1, v2
	v_fmac_f32_e32 v153, v5, v143
	v_add_f32_e32 v2, v3, v126
	v_mul_f32_e32 v3, v137, v160
	v_fma_f32 v5, v134, v142, -v6
	v_add_f32_e32 v1, v1, v4
	v_mul_f32_e32 v157, v136, v160
	v_fmac_f32_e32 v154, v135, v142
	v_add_f32_e32 v2, v2, v153
	s_waitcnt lgkmcnt(0)
	v_mul_f32_e32 v4, v139, v181
	s_waitcnt vmcnt(1)
	v_fma_f32 v3, v136, v148, -v3
	v_add_f32_e32 v1, v1, v5
	v_mul_f32_e32 v158, v138, v181
	v_fmac_f32_e32 v157, v137, v148
	v_add_f32_e32 v2, v2, v154
	v_mul_f32_e32 v5, v141, v147
	v_fma_f32 v4, v138, v144, -v4
	v_add_f32_e32 v1, v1, v3
	v_mul_f32_e32 v10, v140, v147
	v_fmac_f32_e32 v158, v139, v144
	v_add_f32_e32 v2, v2, v157
	v_fma_f32 v3, v140, v11, -v5
	v_add_f32_e32 v1, v1, v4
	v_fmac_f32_e32 v10, v141, v11
	v_add_f32_e32 v2, v2, v158
	v_add_f32_e32 v1, v1, v3
	;; [unrolled: 1-line block ×3, first 2 shown]
	s_waitcnt vmcnt(0)
	v_sub_f32_e32 v1, v152, v1
	v_sub_f32_e32 v2, v168, v2
	buffer_store_dword v1, off, s[0:3], 0 offset:64
	buffer_store_dword v2, off, s[0:3], 0 offset:68
	v_cmpx_lt_u32_e32 7, v0
	s_cbranch_execz .LBB118_329
; %bb.328:
	s_clause 0x1
	buffer_load_dword v1, off, s[0:3], 0 offset:56
	buffer_load_dword v2, off, s[0:3], 0 offset:60
	v_mov_b32_e32 v3, 0
	buffer_store_dword v3, off, s[0:3], 0 offset:56
	buffer_store_dword v3, off, s[0:3], 0 offset:60
	s_waitcnt vmcnt(0)
	ds_write_b64 v9, v[1:2]
.LBB118_329:
	s_or_b32 exec_lo, exec_lo, s4
	s_waitcnt lgkmcnt(0)
	s_waitcnt_vscnt null, 0x0
	s_barrier
	buffer_gl0_inv
	s_clause 0x2c
	buffer_load_dword v150, off, s[0:3], 0 offset:68
	buffer_load_dword v151, off, s[0:3], 0 offset:76
	;; [unrolled: 1-line block ×45, first 2 shown]
	v_mov_b32_e32 v1, 0
	ds_read_b128 v[159:162], v1 offset:512
	ds_read_b128 v[163:166], v1 offset:528
	buffer_load_dword v168, off, s[0:3], 0 offset:60
	s_mov_b32 s4, exec_lo
	s_waitcnt vmcnt(45) lgkmcnt(1)
	v_mul_f32_e32 v152, v159, v150
	v_mul_f32_e32 v167, v160, v150
	s_waitcnt vmcnt(44)
	v_mul_f32_e32 v150, v161, v151
	v_mul_f32_e32 v151, v162, v151
	s_waitcnt vmcnt(41)
	v_fmac_f32_e32 v152, v160, v11
	v_fma_f32 v11, v159, v11, -v167
	v_fmac_f32_e32 v150, v162, v7
	v_fma_f32 v151, v161, v7, -v151
	ds_read_b128 v[159:162], v1 offset:544
	s_waitcnt vmcnt(40) lgkmcnt(1)
	v_mul_f32_e32 v167, v163, v4
	s_waitcnt vmcnt(39)
	v_mul_f32_e32 v169, v165, v5
	v_mul_f32_e32 v4, v164, v4
	;; [unrolled: 1-line block ×3, first 2 shown]
	v_fmac_f32_e32 v167, v164, v2
	s_waitcnt vmcnt(35)
	v_fmac_f32_e32 v169, v166, v124
	v_fma_f32 v170, v163, v2, -v4
	v_fma_f32 v171, v165, v124, -v5
	ds_read_b128 v[163:166], v1 offset:560
	s_waitcnt vmcnt(34) lgkmcnt(1)
	v_mul_f32_e32 v172, v159, v123
	v_mul_f32_e32 v2, v160, v123
	s_waitcnt vmcnt(33)
	v_mul_f32_e32 v173, v161, v122
	v_mul_f32_e32 v4, v162, v122
	v_fmac_f32_e32 v172, v160, v10
	v_fma_f32 v10, v159, v10, -v2
	v_fmac_f32_e32 v173, v162, v6
	v_fma_f32 v159, v161, v6, -v4
	ds_read_b128 v[4:7], v1 offset:576
	s_waitcnt vmcnt(32) lgkmcnt(1)
	v_mul_f32_e32 v160, v163, v8
	v_mul_f32_e32 v2, v164, v8
	s_waitcnt vmcnt(31)
	v_mul_f32_e32 v8, v165, v125
	v_mul_f32_e32 v122, v166, v125
	v_fmac_f32_e32 v160, v164, v3
	v_fma_f32 v161, v163, v3, -v2
	s_waitcnt vmcnt(27)
	v_fmac_f32_e32 v8, v166, v133
	v_fma_f32 v133, v165, v133, -v122
	ds_read_b128 v[122:125], v1 offset:592
	buffer_load_dword v163, off, s[0:3], 0 offset:252
	s_waitcnt vmcnt(27) lgkmcnt(1)
	v_mul_f32_e32 v162, v4, v131
	v_mul_f32_e32 v2, v5, v131
	s_waitcnt vmcnt(26)
	v_mul_f32_e32 v3, v7, v130
	v_mul_f32_e32 v131, v6, v130
	v_fmac_f32_e32 v162, v5, v129
	v_fma_f32 v129, v4, v129, -v2
	v_fma_f32 v6, v6, v127, -v3
	ds_read_b128 v[2:5], v1 offset:608
	v_fmac_f32_e32 v131, v7, v127
	s_waitcnt vmcnt(25) lgkmcnt(1)
	v_mul_f32_e32 v7, v122, v128
	v_mul_f32_e32 v127, v123, v128
	s_waitcnt vmcnt(24)
	v_mul_f32_e32 v128, v124, v132
	v_mul_f32_e32 v130, v125, v132
	v_fmac_f32_e32 v7, v123, v126
	v_fma_f32 v126, v122, v126, -v127
	s_waitcnt vmcnt(20)
	v_fmac_f32_e32 v128, v125, v141
	v_fma_f32 v127, v124, v141, -v130
	ds_read_b128 v[122:125], v1 offset:624
	s_waitcnt vmcnt(19) lgkmcnt(1)
	v_mul_f32_e32 v130, v2, v139
	v_mul_f32_e32 v132, v3, v139
	s_waitcnt vmcnt(18)
	v_mul_f32_e32 v139, v4, v138
	v_mul_f32_e32 v138, v5, v138
	v_fmac_f32_e32 v130, v3, v137
	v_fma_f32 v132, v2, v137, -v132
	v_fmac_f32_e32 v139, v5, v135
	v_fma_f32 v135, v4, v135, -v138
	ds_read_b128 v[2:5], v1 offset:640
	s_waitcnt vmcnt(17) lgkmcnt(1)
	v_mul_f32_e32 v137, v122, v136
	v_mul_f32_e32 v136, v123, v136
	s_waitcnt vmcnt(16)
	v_mul_f32_e32 v138, v124, v140
	v_mul_f32_e32 v140, v125, v140
	v_fmac_f32_e32 v137, v123, v134
	v_fma_f32 v134, v122, v134, -v136
	s_waitcnt vmcnt(12)
	v_fmac_f32_e32 v138, v125, v148
	v_fma_f32 v136, v124, v148, -v140
	ds_read_b128 v[122:125], v1 offset:656
	s_waitcnt vmcnt(11) lgkmcnt(1)
	v_mul_f32_e32 v140, v2, v147
	v_mul_f32_e32 v141, v3, v147
	s_waitcnt vmcnt(10)
	v_mul_f32_e32 v147, v4, v146
	v_mul_f32_e32 v146, v5, v146
	v_fmac_f32_e32 v140, v3, v145
	v_fma_f32 v141, v2, v145, -v141
	v_fmac_f32_e32 v147, v5, v143
	v_fma_f32 v143, v4, v143, -v146
	ds_read_b128 v[2:5], v1 offset:672
	s_waitcnt vmcnt(8) lgkmcnt(1)
	v_mul_f32_e32 v146, v124, v149
	v_mul_f32_e32 v148, v125, v149
	buffer_load_dword v149, off, s[0:3], 0 offset:244
	v_mul_f32_e32 v145, v122, v144
	v_mul_f32_e32 v144, v123, v144
	s_waitcnt vmcnt(5)
	v_fmac_f32_e32 v146, v125, v158
	v_fmac_f32_e32 v145, v123, v142
	v_fma_f32 v142, v122, v142, -v144
	v_fma_f32 v144, v124, v158, -v148
	ds_read_b128 v[122:125], v1 offset:688
	s_waitcnt vmcnt(4) lgkmcnt(1)
	v_mul_f32_e32 v148, v2, v157
	v_mul_f32_e32 v157, v3, v157
	s_waitcnt vmcnt(3)
	v_mul_f32_e32 v158, v4, v156
	v_mul_f32_e32 v156, v5, v156
	v_fmac_f32_e32 v148, v3, v155
	v_fma_f32 v155, v2, v155, -v157
	v_fmac_f32_e32 v158, v5, v154
	v_fma_f32 v154, v4, v154, -v156
	s_clause 0x4
	buffer_load_dword v156, off, s[0:3], 0 offset:272
	buffer_load_dword v157, off, s[0:3], 0 offset:264
	buffer_load_dword v164, off, s[0:3], 0 offset:256
	buffer_load_dword v2, off, s[0:3], 0 offset:248
	buffer_load_dword v165, off, s[0:3], 0 offset:260
	s_waitcnt vmcnt(5) lgkmcnt(0)
	v_mul_f32_e32 v166, v122, v149
	v_mul_f32_e32 v3, v123, v149
	v_fmac_f32_e32 v166, v123, v153
	v_fma_f32 v149, v122, v153, -v3
	v_mul_f32_e32 v153, v124, v163
	v_mul_f32_e32 v3, v125, v163
	s_waitcnt vmcnt(1)
	v_fmac_f32_e32 v153, v125, v2
	v_fma_f32 v163, v124, v2, -v3
	ds_read_b128 v[2:5], v1 offset:704
	ds_read_b128 v[122:125], v1 offset:720
	s_waitcnt vmcnt(0) lgkmcnt(1)
	v_mul_f32_e32 v174, v2, v165
	v_mul_f32_e32 v165, v3, v165
	v_fmac_f32_e32 v174, v3, v164
	v_fma_f32 v164, v2, v164, -v165
	buffer_load_dword v2, off, s[0:3], 0 offset:268
	s_waitcnt vmcnt(0)
	v_mul_f32_e32 v165, v4, v2
	v_mul_f32_e32 v2, v5, v2
	v_fmac_f32_e32 v165, v5, v157
	v_fma_f32 v157, v4, v157, -v2
	buffer_load_dword v2, off, s[0:3], 0 offset:276
	s_waitcnt vmcnt(0) lgkmcnt(0)
	v_mul_f32_e32 v175, v122, v2
	v_mul_f32_e32 v2, v123, v2
	v_fmac_f32_e32 v175, v123, v156
	v_fma_f32 v156, v122, v156, -v2
	s_clause 0x5
	buffer_load_dword v2, off, s[0:3], 0 offset:284
	buffer_load_dword v176, off, s[0:3], 0 offset:304
	;; [unrolled: 1-line block ×6, first 2 shown]
	s_waitcnt vmcnt(5)
	v_mul_f32_e32 v179, v124, v2
	v_mul_f32_e32 v2, v125, v2
	s_waitcnt vmcnt(1)
	v_fmac_f32_e32 v179, v125, v3
	v_fma_f32 v180, v124, v3, -v2
	ds_read_b128 v[2:5], v1 offset:736
	ds_read_b128 v[122:125], v1 offset:752
	s_waitcnt vmcnt(0) lgkmcnt(1)
	v_mul_f32_e32 v182, v2, v181
	v_mul_f32_e32 v181, v3, v181
	v_fmac_f32_e32 v182, v3, v178
	v_fma_f32 v178, v2, v178, -v181
	buffer_load_dword v2, off, s[0:3], 0 offset:300
	s_waitcnt vmcnt(0)
	v_mul_f32_e32 v181, v4, v2
	v_mul_f32_e32 v2, v5, v2
	v_fmac_f32_e32 v181, v5, v177
	v_fma_f32 v177, v4, v177, -v2
	buffer_load_dword v2, off, s[0:3], 0 offset:308
	s_waitcnt vmcnt(0) lgkmcnt(0)
	v_mul_f32_e32 v183, v122, v2
	v_mul_f32_e32 v2, v123, v2
	v_fmac_f32_e32 v183, v123, v176
	v_fma_f32 v176, v122, v176, -v2
	s_clause 0x4
	buffer_load_dword v2, off, s[0:3], 0 offset:316
	buffer_load_dword v184, off, s[0:3], 0 offset:336
	;; [unrolled: 1-line block ×5, first 2 shown]
	s_waitcnt vmcnt(4)
	v_mul_f32_e32 v187, v124, v2
	v_mul_f32_e32 v2, v125, v2
	s_waitcnt vmcnt(0)
	v_fmac_f32_e32 v187, v125, v3
	v_fma_f32 v188, v124, v3, -v2
	v_add_f32_e32 v2, 0, v152
	v_add_f32_e32 v3, 0, v11
	buffer_load_dword v11, off, s[0:3], 0 offset:332
	v_add_f32_e32 v2, v2, v150
	v_add_f32_e32 v3, v3, v151
	buffer_load_dword v150, off, s[0:3], 0 offset:348
	v_add_f32_e32 v2, v2, v167
	v_add_f32_e32 v3, v3, v170
	v_add_f32_e32 v2, v2, v169
	v_add_f32_e32 v3, v3, v171
	v_add_f32_e32 v2, v2, v172
	v_add_f32_e32 v3, v3, v10
	buffer_load_dword v10, off, s[0:3], 0 offset:324
	v_add_f32_e32 v2, v2, v173
	v_add_f32_e32 v3, v3, v159
	v_add_f32_e32 v2, v2, v160
	v_add_f32_e32 v3, v3, v161
	;; [unrolled: 7-line block ×3, first 2 shown]
	s_clause 0x6
	buffer_load_dword v151, off, s[0:3], 0 offset:368
	buffer_load_dword v152, off, s[0:3], 0 offset:360
	;; [unrolled: 1-line block ×7, first 2 shown]
	v_add_f32_e32 v2, v2, v7
	v_add_f32_e32 v3, v3, v126
	;; [unrolled: 1-line block ×8, first 2 shown]
	s_clause 0x5
	buffer_load_dword v139, off, s[0:3], 0 offset:380
	buffer_load_dword v167, off, s[0:3], 0 offset:388
	;; [unrolled: 1-line block ×6, first 2 shown]
	v_add_f32_e32 v2, v2, v137
	v_add_f32_e32 v3, v3, v134
	;; [unrolled: 1-line block ×4, first 2 shown]
	s_clause 0x1
	buffer_load_dword v138, off, s[0:3], 0 offset:428
	buffer_load_dword v173, off, s[0:3], 0 offset:436
	v_add_f32_e32 v2, v2, v140
	v_add_f32_e32 v3, v3, v141
	;; [unrolled: 1-line block ×3, first 2 shown]
	s_clause 0x3
	buffer_load_dword v140, off, s[0:3], 0 offset:400
	buffer_load_dword v141, off, s[0:3], 0 offset:392
	;; [unrolled: 1-line block ×4, first 2 shown]
	v_add_f32_e32 v3, v3, v143
	v_add_f32_e32 v2, v2, v145
	;; [unrolled: 1-line block ×4, first 2 shown]
	s_clause 0x3
	buffer_load_dword v142, off, s[0:3], 0 offset:432
	buffer_load_dword v143, off, s[0:3], 0 offset:424
	buffer_load_dword v145, off, s[0:3], 0 offset:416
	buffer_load_dword v146, off, s[0:3], 0 offset:408
	v_add_f32_e32 v3, v3, v144
	buffer_load_dword v144, off, s[0:3], 0 offset:56
	v_add_f32_e32 v2, v2, v148
	v_add_f32_e32 v3, v3, v155
	;; [unrolled: 1-line block ×4, first 2 shown]
	ds_read_b128 v[2:5], v1 offset:768
	v_add_f32_e32 v7, v7, v166
	v_add_f32_e32 v122, v122, v149
	;; [unrolled: 1-line block ×6, first 2 shown]
	ds_read_b128 v[122:125], v1 offset:784
	v_add_f32_e32 v7, v7, v165
	v_add_f32_e32 v126, v126, v157
	;; [unrolled: 1-line block ×8, first 2 shown]
	s_waitcnt vmcnt(27) lgkmcnt(1)
	v_mul_f32_e32 v149, v4, v11
	v_mul_f32_e32 v11, v5, v11
	v_fmac_f32_e32 v149, v5, v185
	v_fma_f32 v11, v4, v185, -v11
	s_waitcnt vmcnt(26) lgkmcnt(0)
	v_mul_f32_e32 v154, v124, v150
	v_mul_f32_e32 v150, v125, v150
	s_waitcnt vmcnt(25)
	v_mul_f32_e32 v148, v2, v10
	v_mul_f32_e32 v10, v3, v10
	v_fmac_f32_e32 v148, v3, v186
	v_add_f32_e32 v3, v126, v156
	v_fma_f32 v10, v2, v186, -v10
	v_add_f32_e32 v148, v155, v148
	v_add_f32_e32 v134, v3, v180
	ds_read_b128 v[2:5], v1 offset:800
	ds_read_b128 v[126:129], v1 offset:816
	;; [unrolled: 1-line block ×3, first 2 shown]
	s_waitcnt vmcnt(24)
	v_mul_f32_e32 v153, v122, v8
	v_add_f32_e32 v134, v134, v178
	v_mul_f32_e32 v8, v123, v8
	v_add_f32_e32 v148, v148, v149
	v_fmac_f32_e32 v153, v123, v184
	v_add_f32_e32 v134, v134, v177
	v_fma_f32 v8, v122, v184, -v8
	s_waitcnt vmcnt(20)
	v_fma_f32 v150, v124, v6, -v150
	v_add_f32_e32 v122, v134, v176
	v_fmac_f32_e32 v154, v125, v6
	v_add_f32_e32 v148, v148, v153
	ds_read_b128 v[134:137], v1 offset:848
	v_add_f32_e32 v156, v122, v188
	s_waitcnt vmcnt(19) lgkmcnt(3)
	v_mul_f32_e32 v157, v2, v160
	s_waitcnt vmcnt(18)
	v_mul_f32_e32 v158, v4, v161
	v_add_f32_e32 v148, v148, v154
	s_waitcnt vmcnt(17) lgkmcnt(2)
	v_mul_f32_e32 v155, v126, v162
	v_add_f32_e32 v10, v156, v10
	v_mul_f32_e32 v156, v3, v160
	v_mul_f32_e32 v160, v5, v161
	v_fmac_f32_e32 v157, v3, v159
	v_fmac_f32_e32 v158, v5, v152
	v_add_f32_e32 v10, v10, v11
	v_fma_f32 v2, v2, v159, -v156
	v_mul_f32_e32 v156, v127, v162
	v_fma_f32 v4, v4, v152, -v160
	v_add_f32_e32 v5, v148, v157
	v_add_f32_e32 v8, v10, v8
	s_waitcnt vmcnt(16)
	v_mul_f32_e32 v11, v128, v139
	v_fma_f32 v126, v126, v151, -v156
	v_fmac_f32_e32 v155, v127, v151
	ds_read_b128 v[122:125], v1 offset:864
	ds_read_b64 v[6:7], v1 offset:880
	v_add_f32_e32 v8, v8, v150
	s_waitcnt vmcnt(15) lgkmcnt(3)
	v_mul_f32_e32 v161, v130, v167
	s_waitcnt vmcnt(14)
	v_mul_f32_e32 v149, v132, v169
	s_waitcnt vmcnt(13) lgkmcnt(2)
	v_mul_f32_e32 v10, v134, v170
	s_waitcnt vmcnt(12)
	v_mul_f32_e32 v3, v136, v171
	v_add_f32_e32 v2, v8, v2
	v_mul_f32_e32 v8, v129, v139
	v_add_f32_e32 v2, v2, v4
	v_add_f32_e32 v4, v5, v158
	v_mul_f32_e32 v5, v131, v167
	s_waitcnt vmcnt(5)
	v_fma_f32 v8, v128, v189, -v8
	v_fmac_f32_e32 v11, v129, v189
	v_add_f32_e32 v2, v2, v126
	v_add_f32_e32 v4, v4, v155
	v_mul_f32_e32 v126, v133, v169
	v_fma_f32 v5, v130, v147, -v5
	v_fmac_f32_e32 v161, v131, v147
	v_add_f32_e32 v2, v2, v8
	v_add_f32_e32 v4, v4, v11
	v_mul_f32_e32 v8, v135, v170
	;; [unrolled: 5-line block ×3, first 2 shown]
	v_fma_f32 v8, v134, v140, -v8
	v_fmac_f32_e32 v10, v135, v140
	v_add_f32_e32 v2, v2, v11
	v_add_f32_e32 v4, v4, v149
	s_waitcnt lgkmcnt(1)
	v_mul_f32_e32 v11, v123, v172
	s_waitcnt vmcnt(1)
	v_fma_f32 v5, v136, v146, -v5
	v_mul_f32_e32 v153, v122, v172
	v_add_f32_e32 v2, v2, v8
	v_fmac_f32_e32 v3, v137, v146
	v_add_f32_e32 v4, v4, v10
	v_mul_f32_e32 v8, v125, v138
	v_fma_f32 v10, v122, v145, -v11
	v_add_f32_e32 v2, v2, v5
	v_mul_f32_e32 v150, v124, v138
	v_fmac_f32_e32 v153, v123, v145
	v_add_f32_e32 v3, v4, v3
	s_waitcnt lgkmcnt(0)
	v_mul_f32_e32 v4, v7, v173
	v_fma_f32 v5, v124, v143, -v8
	v_add_f32_e32 v2, v2, v10
	v_mul_f32_e32 v154, v6, v173
	v_fmac_f32_e32 v150, v125, v143
	v_add_f32_e32 v3, v3, v153
	v_fma_f32 v4, v6, v142, -v4
	v_add_f32_e32 v2, v2, v5
	v_fmac_f32_e32 v154, v7, v142
	v_add_f32_e32 v3, v3, v150
	v_add_f32_e32 v2, v2, v4
	;; [unrolled: 1-line block ×3, first 2 shown]
	s_waitcnt vmcnt(0)
	v_sub_f32_e32 v2, v144, v2
	v_sub_f32_e32 v3, v168, v3
	buffer_store_dword v2, off, s[0:3], 0 offset:56
	buffer_store_dword v3, off, s[0:3], 0 offset:60
	v_cmpx_lt_u32_e32 6, v0
	s_cbranch_execz .LBB118_331
; %bb.330:
	s_clause 0x1
	buffer_load_dword v2, off, s[0:3], 0 offset:48
	buffer_load_dword v3, off, s[0:3], 0 offset:52
	buffer_store_dword v1, off, s[0:3], 0 offset:48
	buffer_store_dword v1, off, s[0:3], 0 offset:52
	s_waitcnt vmcnt(0)
	ds_write_b64 v9, v[2:3]
.LBB118_331:
	s_or_b32 exec_lo, exec_lo, s4
	s_waitcnt lgkmcnt(0)
	s_waitcnt_vscnt null, 0x0
	s_barrier
	buffer_gl0_inv
	s_clause 0x2c
	buffer_load_dword v150, off, s[0:3], 0 offset:60
	buffer_load_dword v151, off, s[0:3], 0 offset:68
	;; [unrolled: 1-line block ×45, first 2 shown]
	ds_read2_b64 v[159:162], v1 offset0:63 offset1:64
	ds_read2_b64 v[163:166], v1 offset0:65 offset1:66
	s_mov_b32 s4, exec_lo
	s_waitcnt vmcnt(44) lgkmcnt(1)
	v_mul_f32_e32 v152, v159, v150
	v_mul_f32_e32 v167, v160, v150
	s_waitcnt vmcnt(43)
	v_mul_f32_e32 v150, v161, v151
	v_mul_f32_e32 v168, v162, v151
	buffer_load_dword v151, off, s[0:3], 0 offset:52
	s_waitcnt vmcnt(41)
	v_fmac_f32_e32 v152, v160, v11
	v_fma_f32 v11, v159, v11, -v167
	v_fmac_f32_e32 v150, v162, v7
	v_fma_f32 v167, v161, v7, -v168
	ds_read2_b64 v[159:162], v1 offset0:67 offset1:68
	s_waitcnt vmcnt(40) lgkmcnt(1)
	v_mul_f32_e32 v168, v163, v4
	s_waitcnt vmcnt(39)
	v_mul_f32_e32 v169, v165, v5
	v_mul_f32_e32 v4, v164, v4
	;; [unrolled: 1-line block ×3, first 2 shown]
	v_fmac_f32_e32 v168, v164, v2
	s_waitcnt vmcnt(35)
	v_fmac_f32_e32 v169, v166, v124
	v_fma_f32 v170, v163, v2, -v4
	v_fma_f32 v171, v165, v124, -v5
	ds_read2_b64 v[163:166], v1 offset0:69 offset1:70
	s_waitcnt vmcnt(34) lgkmcnt(1)
	v_mul_f32_e32 v172, v159, v123
	v_mul_f32_e32 v2, v160, v123
	s_waitcnt vmcnt(33)
	v_mul_f32_e32 v173, v161, v122
	v_mul_f32_e32 v4, v162, v122
	v_fmac_f32_e32 v172, v160, v10
	v_fma_f32 v10, v159, v10, -v2
	v_fmac_f32_e32 v173, v162, v6
	v_fma_f32 v159, v161, v6, -v4
	ds_read2_b64 v[4:7], v1 offset0:71 offset1:72
	s_waitcnt vmcnt(32) lgkmcnt(1)
	v_mul_f32_e32 v160, v163, v8
	v_mul_f32_e32 v2, v164, v8
	s_waitcnt vmcnt(31)
	v_mul_f32_e32 v8, v165, v125
	v_mul_f32_e32 v122, v166, v125
	v_fmac_f32_e32 v160, v164, v3
	v_fma_f32 v161, v163, v3, -v2
	s_waitcnt vmcnt(27)
	v_fmac_f32_e32 v8, v166, v133
	v_fma_f32 v133, v165, v133, -v122
	ds_read2_b64 v[122:125], v1 offset0:73 offset1:74
	buffer_load_dword v163, off, s[0:3], 0 offset:244
	s_waitcnt vmcnt(27) lgkmcnt(1)
	v_mul_f32_e32 v162, v4, v131
	v_mul_f32_e32 v2, v5, v131
	s_waitcnt vmcnt(26)
	v_mul_f32_e32 v3, v7, v130
	v_mul_f32_e32 v131, v6, v130
	v_fmac_f32_e32 v162, v5, v129
	v_fma_f32 v129, v4, v129, -v2
	v_fma_f32 v6, v6, v127, -v3
	ds_read2_b64 v[2:5], v1 offset0:75 offset1:76
	v_fmac_f32_e32 v131, v7, v127
	s_waitcnt vmcnt(25) lgkmcnt(1)
	v_mul_f32_e32 v7, v122, v128
	v_mul_f32_e32 v127, v123, v128
	s_waitcnt vmcnt(24)
	v_mul_f32_e32 v128, v124, v132
	v_mul_f32_e32 v130, v125, v132
	v_fmac_f32_e32 v7, v123, v126
	v_fma_f32 v126, v122, v126, -v127
	s_waitcnt vmcnt(20)
	v_fmac_f32_e32 v128, v125, v141
	v_fma_f32 v127, v124, v141, -v130
	ds_read2_b64 v[122:125], v1 offset0:77 offset1:78
	s_waitcnt vmcnt(19) lgkmcnt(1)
	v_mul_f32_e32 v130, v2, v139
	v_mul_f32_e32 v132, v3, v139
	s_waitcnt vmcnt(18)
	v_mul_f32_e32 v139, v4, v138
	v_mul_f32_e32 v138, v5, v138
	v_fmac_f32_e32 v130, v3, v137
	v_fma_f32 v132, v2, v137, -v132
	v_fmac_f32_e32 v139, v5, v135
	v_fma_f32 v135, v4, v135, -v138
	ds_read2_b64 v[2:5], v1 offset0:79 offset1:80
	s_waitcnt vmcnt(17) lgkmcnt(1)
	v_mul_f32_e32 v137, v122, v136
	v_mul_f32_e32 v136, v123, v136
	s_waitcnt vmcnt(16)
	v_mul_f32_e32 v138, v124, v140
	v_mul_f32_e32 v140, v125, v140
	v_fmac_f32_e32 v137, v123, v134
	v_fma_f32 v134, v122, v134, -v136
	s_waitcnt vmcnt(12)
	v_fmac_f32_e32 v138, v125, v149
	v_fma_f32 v136, v124, v149, -v140
	ds_read2_b64 v[122:125], v1 offset0:81 offset1:82
	buffer_load_dword v149, off, s[0:3], 0 offset:236
	s_waitcnt vmcnt(12) lgkmcnt(1)
	v_mul_f32_e32 v140, v2, v147
	v_mul_f32_e32 v141, v3, v147
	s_waitcnt vmcnt(11)
	v_mul_f32_e32 v147, v4, v146
	v_mul_f32_e32 v146, v5, v146
	v_fmac_f32_e32 v140, v3, v145
	v_fma_f32 v141, v2, v145, -v141
	v_fmac_f32_e32 v147, v5, v143
	v_fma_f32 v143, v4, v143, -v146
	ds_read2_b64 v[2:5], v1 offset0:83 offset1:84
	s_waitcnt vmcnt(10) lgkmcnt(1)
	v_mul_f32_e32 v145, v122, v144
	v_mul_f32_e32 v144, v123, v144
	s_waitcnt vmcnt(9)
	v_mul_f32_e32 v146, v124, v148
	v_mul_f32_e32 v148, v125, v148
	v_fmac_f32_e32 v145, v123, v142
	v_fma_f32 v142, v122, v142, -v144
	s_waitcnt vmcnt(5)
	v_fmac_f32_e32 v146, v125, v158
	v_fma_f32 v144, v124, v158, -v148
	ds_read2_b64 v[122:125], v1 offset0:85 offset1:86
	s_waitcnt vmcnt(4) lgkmcnt(1)
	v_mul_f32_e32 v148, v2, v157
	v_mul_f32_e32 v157, v3, v157
	s_waitcnt vmcnt(3)
	v_mul_f32_e32 v158, v4, v156
	v_mul_f32_e32 v156, v5, v156
	v_fmac_f32_e32 v148, v3, v155
	v_fma_f32 v155, v2, v155, -v157
	v_fmac_f32_e32 v158, v5, v154
	v_fma_f32 v154, v4, v154, -v156
	s_clause 0x4
	buffer_load_dword v156, off, s[0:3], 0 offset:264
	buffer_load_dword v157, off, s[0:3], 0 offset:256
	;; [unrolled: 1-line block ×5, first 2 shown]
	s_waitcnt vmcnt(5) lgkmcnt(0)
	v_mul_f32_e32 v166, v122, v149
	v_mul_f32_e32 v3, v123, v149
	v_fmac_f32_e32 v166, v123, v153
	v_fma_f32 v149, v122, v153, -v3
	v_mul_f32_e32 v153, v124, v163
	v_mul_f32_e32 v3, v125, v163
	s_waitcnt vmcnt(1)
	v_fmac_f32_e32 v153, v125, v2
	v_fma_f32 v163, v124, v2, -v3
	ds_read2_b64 v[2:5], v1 offset0:87 offset1:88
	ds_read2_b64 v[122:125], v1 offset0:89 offset1:90
	s_waitcnt vmcnt(0) lgkmcnt(1)
	v_mul_f32_e32 v174, v2, v165
	v_mul_f32_e32 v165, v3, v165
	v_fmac_f32_e32 v174, v3, v164
	v_fma_f32 v164, v2, v164, -v165
	buffer_load_dword v2, off, s[0:3], 0 offset:260
	s_waitcnt vmcnt(0)
	v_mul_f32_e32 v165, v4, v2
	v_mul_f32_e32 v2, v5, v2
	v_fmac_f32_e32 v165, v5, v157
	v_fma_f32 v157, v4, v157, -v2
	buffer_load_dword v2, off, s[0:3], 0 offset:268
	s_waitcnt vmcnt(0) lgkmcnt(0)
	v_mul_f32_e32 v175, v122, v2
	v_mul_f32_e32 v2, v123, v2
	v_fmac_f32_e32 v175, v123, v156
	v_fma_f32 v156, v122, v156, -v2
	s_clause 0x5
	buffer_load_dword v2, off, s[0:3], 0 offset:276
	buffer_load_dword v176, off, s[0:3], 0 offset:296
	;; [unrolled: 1-line block ×6, first 2 shown]
	s_waitcnt vmcnt(5)
	v_mul_f32_e32 v179, v124, v2
	v_mul_f32_e32 v2, v125, v2
	s_waitcnt vmcnt(1)
	v_fmac_f32_e32 v179, v125, v3
	v_fma_f32 v180, v124, v3, -v2
	ds_read2_b64 v[2:5], v1 offset0:91 offset1:92
	ds_read2_b64 v[122:125], v1 offset0:93 offset1:94
	s_waitcnt vmcnt(0) lgkmcnt(1)
	v_mul_f32_e32 v182, v2, v181
	v_mul_f32_e32 v181, v3, v181
	v_fmac_f32_e32 v182, v3, v178
	v_fma_f32 v178, v2, v178, -v181
	buffer_load_dword v2, off, s[0:3], 0 offset:292
	v_add_f32_e32 v3, 0, v11
	v_add_f32_e32 v3, v3, v167
	;; [unrolled: 1-line block ×22, first 2 shown]
	s_waitcnt vmcnt(0)
	v_mul_f32_e32 v181, v4, v2
	v_mul_f32_e32 v2, v5, v2
	v_fmac_f32_e32 v181, v5, v177
	v_fma_f32 v177, v4, v177, -v2
	s_clause 0x1
	buffer_load_dword v4, off, s[0:3], 0 offset:300
	buffer_load_dword v5, off, s[0:3], 0 offset:308
	v_add_f32_e32 v2, 0, v152
	v_add_f32_e32 v2, v2, v150
	v_add_f32_e32 v2, v2, v168
	v_add_f32_e32 v2, v2, v169
	v_add_f32_e32 v2, v2, v172
	v_add_f32_e32 v2, v2, v173
	v_add_f32_e32 v2, v2, v160
	v_add_f32_e32 v2, v2, v8
	s_clause 0x6
	buffer_load_dword v8, off, s[0:3], 0 offset:328
	buffer_load_dword v10, off, s[0:3], 0 offset:320
	;; [unrolled: 1-line block ×7, first 2 shown]
	v_add_f32_e32 v2, v2, v162
	v_add_f32_e32 v2, v2, v131
	v_add_f32_e32 v2, v2, v7
	s_clause 0x8
	buffer_load_dword v7, off, s[0:3], 0 offset:340
	buffer_load_dword v159, off, s[0:3], 0 offset:360
	;; [unrolled: 1-line block ×9, first 2 shown]
	v_add_f32_e32 v2, v2, v128
	v_add_f32_e32 v2, v2, v130
	;; [unrolled: 1-line block ×11, first 2 shown]
	s_waitcnt vmcnt(17) lgkmcnt(0)
	v_mul_f32_e32 v131, v122, v4
	v_mul_f32_e32 v4, v123, v4
	s_waitcnt vmcnt(16)
	v_mul_f32_e32 v168, v124, v5
	v_fmac_f32_e32 v131, v123, v176
	v_fma_f32 v152, v122, v176, -v4
	s_clause 0x11
	buffer_load_dword v172, off, s[0:3], 0 offset:380
	buffer_load_dword v173, off, s[0:3], 0 offset:388
	;; [unrolled: 1-line block ×18, first 2 shown]
	v_mul_f32_e32 v4, v125, v5
	v_add_f32_e32 v122, v2, v166
	v_add_f32_e32 v123, v3, v149
	;; [unrolled: 1-line block ×10, first 2 shown]
	s_waitcnt vmcnt(30)
	v_fma_f32 v139, v124, v133, -v4
	ds_read2_b64 v[2:5], v1 offset0:95 offset1:96
	v_fmac_f32_e32 v168, v125, v133
	ds_read2_b64 v[122:125], v1 offset0:97 offset1:98
	v_add_f32_e32 v132, v126, v179
	v_add_f32_e32 v130, v130, v180
	;; [unrolled: 1-line block ×4, first 2 shown]
	s_waitcnt vmcnt(29) lgkmcnt(1)
	v_mul_f32_e32 v138, v2, v150
	v_mul_f32_e32 v128, v3, v150
	s_waitcnt vmcnt(28)
	v_mul_f32_e32 v149, v4, v129
	v_mul_f32_e32 v129, v5, v129
	s_waitcnt vmcnt(27) lgkmcnt(0)
	v_mul_f32_e32 v150, v122, v6
	v_fmac_f32_e32 v138, v3, v11
	v_fma_f32 v11, v2, v11, -v128
	v_fmac_f32_e32 v149, v5, v10
	v_fma_f32 v10, v4, v10, -v129
	ds_read2_b64 v[2:5], v1 offset0:99 offset1:100
	ds_read2_b64 v[126:129], v1 offset0:101 offset1:102
	v_mul_f32_e32 v6, v123, v6
	v_fmac_f32_e32 v150, v123, v8
	v_add_f32_e32 v123, v132, v181
	s_waitcnt vmcnt(26)
	v_mul_f32_e32 v153, v124, v7
	v_mul_f32_e32 v7, v125, v7
	v_fma_f32 v6, v122, v8, -v6
	v_add_f32_e32 v8, v130, v177
	v_add_f32_e32 v134, v123, v131
	s_waitcnt vmcnt(22)
	v_fmac_f32_e32 v153, v125, v162
	v_fma_f32 v7, v124, v162, -v7
	ds_read2_b64 v[122:125], v1 offset0:103 offset1:104
	ds_read2_b64 v[130:133], v1 offset0:105 offset1:106
	v_add_f32_e32 v8, v8, v152
	v_add_f32_e32 v141, v134, v168
	ds_read2_b64 v[134:137], v1 offset0:107 offset1:108
	v_add_f32_e32 v8, v8, v139
	s_waitcnt vmcnt(21) lgkmcnt(4)
	v_mul_f32_e32 v152, v2, v167
	v_mul_f32_e32 v140, v3, v167
	s_waitcnt vmcnt(19) lgkmcnt(3)
	v_mul_f32_e32 v154, v127, v170
	v_fmac_f32_e32 v152, v3, v161
	v_fma_f32 v2, v2, v161, -v140
	v_add_f32_e32 v3, v141, v138
	ds_read2_b64 v[138:141], v1 offset0:109 offset1:110
	v_add_f32_e32 v1, v8, v11
	v_mul_f32_e32 v11, v5, v169
	v_mul_f32_e32 v8, v4, v169
	v_add_f32_e32 v3, v3, v149
	v_mul_f32_e32 v149, v126, v170
	v_add_f32_e32 v1, v1, v10
	v_fma_f32 v4, v4, v160, -v11
	v_fmac_f32_e32 v8, v5, v160
	v_add_f32_e32 v3, v3, v150
	v_fma_f32 v126, v126, v159, -v154
	v_add_f32_e32 v1, v1, v6
	s_waitcnt vmcnt(18)
	v_mul_f32_e32 v10, v128, v171
	v_fmac_f32_e32 v149, v127, v159
	v_add_f32_e32 v3, v3, v153
	v_add_f32_e32 v1, v1, v7
	v_mul_f32_e32 v7, v129, v171
	v_add_f32_e32 v1, v1, v2
	v_add_f32_e32 v2, v3, v152
	;; [unrolled: 1-line block ×6, first 2 shown]
	s_waitcnt vmcnt(14) lgkmcnt(2)
	v_mul_f32_e32 v150, v132, v183
	v_mul_f32_e32 v4, v123, v172
	;; [unrolled: 1-line block ×5, first 2 shown]
	s_waitcnt vmcnt(6)
	v_fma_f32 v7, v128, v189, -v7
	v_fmac_f32_e32 v10, v129, v189
	v_fma_f32 v4, v122, v188, -v4
	v_fmac_f32_e32 v5, v123, v188
	v_fma_f32 v8, v124, v147, -v8
	v_add_f32_e32 v1, v1, v7
	v_add_f32_e32 v2, v2, v10
	v_mul_f32_e32 v7, v131, v176
	v_mul_f32_e32 v6, v130, v176
	v_fmac_f32_e32 v11, v125, v147
	v_add_f32_e32 v1, v1, v4
	v_add_f32_e32 v2, v2, v5
	v_mul_f32_e32 v4, v133, v183
	v_fma_f32 v5, v130, v143, -v7
	v_fmac_f32_e32 v6, v131, v143
	v_add_f32_e32 v1, v1, v8
	v_add_f32_e32 v2, v2, v11
	s_waitcnt lgkmcnt(1)
	v_mul_f32_e32 v7, v135, v184
	s_waitcnt vmcnt(2)
	v_fma_f32 v4, v132, v146, -v4
	v_mul_f32_e32 v156, v134, v184
	v_add_f32_e32 v1, v1, v5
	v_fmac_f32_e32 v150, v133, v146
	v_add_f32_e32 v2, v2, v6
	v_mul_f32_e32 v5, v137, v185
	v_fma_f32 v6, v134, v145, -v7
	v_add_f32_e32 v1, v1, v4
	v_mul_f32_e32 v153, v136, v185
	v_fmac_f32_e32 v156, v135, v145
	v_add_f32_e32 v2, v2, v150
	s_waitcnt lgkmcnt(0)
	v_mul_f32_e32 v4, v139, v186
	v_fma_f32 v5, v136, v144, -v5
	v_add_f32_e32 v1, v1, v6
	v_mul_f32_e32 v157, v138, v186
	v_fmac_f32_e32 v153, v137, v144
	v_add_f32_e32 v2, v2, v156
	v_mul_f32_e32 v6, v141, v187
	v_fma_f32 v4, v138, v142, -v4
	v_add_f32_e32 v1, v1, v5
	v_mul_f32_e32 v3, v140, v187
	v_fmac_f32_e32 v157, v139, v142
	v_add_f32_e32 v2, v2, v153
	s_waitcnt vmcnt(1)
	v_fma_f32 v5, v140, v148, -v6
	v_add_f32_e32 v1, v1, v4
	v_fmac_f32_e32 v3, v141, v148
	v_add_f32_e32 v2, v2, v157
	v_add_f32_e32 v1, v1, v5
	;; [unrolled: 1-line block ×3, first 2 shown]
	s_waitcnt vmcnt(0)
	v_sub_f32_e32 v1, v155, v1
	v_sub_f32_e32 v2, v151, v2
	buffer_store_dword v1, off, s[0:3], 0 offset:48
	buffer_store_dword v2, off, s[0:3], 0 offset:52
	v_cmpx_lt_u32_e32 5, v0
	s_cbranch_execz .LBB118_333
; %bb.332:
	s_clause 0x1
	buffer_load_dword v1, off, s[0:3], 0 offset:40
	buffer_load_dword v2, off, s[0:3], 0 offset:44
	v_mov_b32_e32 v3, 0
	buffer_store_dword v3, off, s[0:3], 0 offset:40
	buffer_store_dword v3, off, s[0:3], 0 offset:44
	s_waitcnt vmcnt(0)
	ds_write_b64 v9, v[1:2]
.LBB118_333:
	s_or_b32 exec_lo, exec_lo, s4
	s_waitcnt lgkmcnt(0)
	s_waitcnt_vscnt null, 0x0
	s_barrier
	buffer_gl0_inv
	s_clause 0x2c
	buffer_load_dword v150, off, s[0:3], 0 offset:52
	buffer_load_dword v151, off, s[0:3], 0 offset:60
	;; [unrolled: 1-line block ×45, first 2 shown]
	v_mov_b32_e32 v1, 0
	ds_read_b128 v[159:162], v1 offset:496
	ds_read_b128 v[163:166], v1 offset:512
	s_mov_b32 s4, exec_lo
	s_waitcnt vmcnt(44) lgkmcnt(1)
	v_mul_f32_e32 v152, v159, v150
	v_mul_f32_e32 v167, v160, v150
	s_waitcnt vmcnt(43)
	v_mul_f32_e32 v150, v161, v151
	v_mul_f32_e32 v168, v162, v151
	buffer_load_dword v151, off, s[0:3], 0 offset:44
	s_waitcnt vmcnt(41)
	v_fmac_f32_e32 v152, v160, v11
	v_fma_f32 v11, v159, v11, -v167
	v_fmac_f32_e32 v150, v162, v7
	v_fma_f32 v167, v161, v7, -v168
	ds_read_b128 v[159:162], v1 offset:528
	s_waitcnt vmcnt(40) lgkmcnt(1)
	v_mul_f32_e32 v168, v163, v4
	s_waitcnt vmcnt(39)
	v_mul_f32_e32 v169, v165, v5
	v_mul_f32_e32 v4, v164, v4
	;; [unrolled: 1-line block ×3, first 2 shown]
	v_fmac_f32_e32 v168, v164, v2
	s_waitcnt vmcnt(35)
	v_fmac_f32_e32 v169, v166, v124
	v_fma_f32 v170, v163, v2, -v4
	v_fma_f32 v171, v165, v124, -v5
	ds_read_b128 v[163:166], v1 offset:544
	s_waitcnt vmcnt(34) lgkmcnt(1)
	v_mul_f32_e32 v172, v159, v123
	v_mul_f32_e32 v2, v160, v123
	s_waitcnt vmcnt(33)
	v_mul_f32_e32 v173, v161, v122
	v_mul_f32_e32 v4, v162, v122
	v_fmac_f32_e32 v172, v160, v10
	v_fma_f32 v10, v159, v10, -v2
	v_fmac_f32_e32 v173, v162, v6
	v_fma_f32 v159, v161, v6, -v4
	ds_read_b128 v[4:7], v1 offset:560
	s_waitcnt vmcnt(32) lgkmcnt(1)
	v_mul_f32_e32 v160, v163, v8
	v_mul_f32_e32 v2, v164, v8
	s_waitcnt vmcnt(31)
	v_mul_f32_e32 v8, v165, v125
	v_mul_f32_e32 v122, v166, v125
	v_fmac_f32_e32 v160, v164, v3
	v_fma_f32 v161, v163, v3, -v2
	s_waitcnt vmcnt(27)
	v_fmac_f32_e32 v8, v166, v133
	v_fma_f32 v133, v165, v133, -v122
	ds_read_b128 v[122:125], v1 offset:576
	buffer_load_dword v163, off, s[0:3], 0 offset:236
	s_waitcnt vmcnt(27) lgkmcnt(1)
	v_mul_f32_e32 v162, v4, v131
	v_mul_f32_e32 v2, v5, v131
	s_waitcnt vmcnt(26)
	v_mul_f32_e32 v3, v7, v130
	v_mul_f32_e32 v131, v6, v130
	v_fmac_f32_e32 v162, v5, v129
	v_fma_f32 v129, v4, v129, -v2
	v_fma_f32 v6, v6, v127, -v3
	ds_read_b128 v[2:5], v1 offset:592
	v_fmac_f32_e32 v131, v7, v127
	s_waitcnt vmcnt(25) lgkmcnt(1)
	v_mul_f32_e32 v7, v122, v128
	v_mul_f32_e32 v127, v123, v128
	s_waitcnt vmcnt(24)
	v_mul_f32_e32 v128, v124, v132
	v_mul_f32_e32 v130, v125, v132
	v_fmac_f32_e32 v7, v123, v126
	v_fma_f32 v126, v122, v126, -v127
	s_waitcnt vmcnt(20)
	v_fmac_f32_e32 v128, v125, v141
	v_fma_f32 v127, v124, v141, -v130
	ds_read_b128 v[122:125], v1 offset:608
	s_waitcnt vmcnt(19) lgkmcnt(1)
	v_mul_f32_e32 v130, v2, v139
	v_mul_f32_e32 v132, v3, v139
	s_waitcnt vmcnt(18)
	v_mul_f32_e32 v139, v4, v138
	v_mul_f32_e32 v138, v5, v138
	v_fmac_f32_e32 v130, v3, v137
	v_fma_f32 v132, v2, v137, -v132
	v_fmac_f32_e32 v139, v5, v135
	v_fma_f32 v135, v4, v135, -v138
	ds_read_b128 v[2:5], v1 offset:624
	s_waitcnt vmcnt(17) lgkmcnt(1)
	v_mul_f32_e32 v137, v122, v136
	v_mul_f32_e32 v136, v123, v136
	s_waitcnt vmcnt(16)
	v_mul_f32_e32 v138, v124, v140
	v_mul_f32_e32 v140, v125, v140
	v_fmac_f32_e32 v137, v123, v134
	v_fma_f32 v134, v122, v134, -v136
	s_waitcnt vmcnt(12)
	v_fmac_f32_e32 v138, v125, v148
	v_fma_f32 v136, v124, v148, -v140
	ds_read_b128 v[122:125], v1 offset:640
	s_waitcnt vmcnt(11) lgkmcnt(1)
	v_mul_f32_e32 v140, v2, v147
	v_mul_f32_e32 v141, v3, v147
	s_waitcnt vmcnt(10)
	v_mul_f32_e32 v147, v4, v146
	v_mul_f32_e32 v146, v5, v146
	v_fmac_f32_e32 v140, v3, v145
	v_fma_f32 v141, v2, v145, -v141
	v_fmac_f32_e32 v147, v5, v143
	v_fma_f32 v143, v4, v143, -v146
	ds_read_b128 v[2:5], v1 offset:656
	s_waitcnt vmcnt(8) lgkmcnt(1)
	v_mul_f32_e32 v146, v124, v149
	v_mul_f32_e32 v148, v125, v149
	buffer_load_dword v149, off, s[0:3], 0 offset:228
	v_mul_f32_e32 v145, v122, v144
	v_mul_f32_e32 v144, v123, v144
	s_waitcnt vmcnt(5)
	v_fmac_f32_e32 v146, v125, v158
	v_fmac_f32_e32 v145, v123, v142
	v_fma_f32 v142, v122, v142, -v144
	v_fma_f32 v144, v124, v158, -v148
	ds_read_b128 v[122:125], v1 offset:672
	s_waitcnt vmcnt(4) lgkmcnt(1)
	v_mul_f32_e32 v148, v2, v157
	v_mul_f32_e32 v157, v3, v157
	s_waitcnt vmcnt(3)
	v_mul_f32_e32 v158, v4, v156
	v_mul_f32_e32 v156, v5, v156
	v_fmac_f32_e32 v148, v3, v155
	v_fma_f32 v155, v2, v155, -v157
	v_fmac_f32_e32 v158, v5, v154
	v_fma_f32 v154, v4, v154, -v156
	s_clause 0x4
	buffer_load_dword v156, off, s[0:3], 0 offset:256
	buffer_load_dword v157, off, s[0:3], 0 offset:248
	;; [unrolled: 1-line block ×5, first 2 shown]
	s_waitcnt vmcnt(5) lgkmcnt(0)
	v_mul_f32_e32 v166, v122, v149
	v_mul_f32_e32 v3, v123, v149
	v_fmac_f32_e32 v166, v123, v153
	v_fma_f32 v149, v122, v153, -v3
	v_mul_f32_e32 v153, v124, v163
	v_mul_f32_e32 v3, v125, v163
	s_waitcnt vmcnt(1)
	v_fmac_f32_e32 v153, v125, v2
	v_fma_f32 v163, v124, v2, -v3
	ds_read_b128 v[2:5], v1 offset:688
	ds_read_b128 v[122:125], v1 offset:704
	s_waitcnt vmcnt(0) lgkmcnt(1)
	v_mul_f32_e32 v174, v2, v165
	v_mul_f32_e32 v165, v3, v165
	v_fmac_f32_e32 v174, v3, v164
	v_fma_f32 v164, v2, v164, -v165
	s_clause 0x1
	buffer_load_dword v2, off, s[0:3], 0 offset:252
	buffer_load_dword v3, off, s[0:3], 0 offset:260
	s_waitcnt vmcnt(1)
	v_mul_f32_e32 v165, v4, v2
	v_mul_f32_e32 v2, v5, v2
	v_fmac_f32_e32 v165, v5, v157
	v_fma_f32 v157, v4, v157, -v2
	v_add_f32_e32 v2, 0, v152
	v_add_f32_e32 v4, 0, v11
	buffer_load_dword v11, off, s[0:3], 0 offset:268
	v_add_f32_e32 v2, v2, v150
	v_add_f32_e32 v4, v4, v167
	;; [unrolled: 1-line block ×3, first 2 shown]
	s_clause 0x3
	buffer_load_dword v150, off, s[0:3], 0 offset:288
	buffer_load_dword v152, off, s[0:3], 0 offset:280
	;; [unrolled: 1-line block ×4, first 2 shown]
	v_add_f32_e32 v4, v4, v170
	buffer_load_dword v170, off, s[0:3], 0 offset:292
	v_add_f32_e32 v2, v2, v169
	buffer_load_dword v169, off, s[0:3], 0 offset:276
	v_add_f32_e32 v4, v4, v171
	v_add_f32_e32 v2, v2, v172
	;; [unrolled: 1-line block ×3, first 2 shown]
	buffer_load_dword v10, off, s[0:3], 0 offset:284
	v_add_f32_e32 v2, v2, v173
	v_add_f32_e32 v4, v4, v159
	buffer_load_dword v159, off, s[0:3], 0 offset:300
	v_add_f32_e32 v2, v2, v160
	v_add_f32_e32 v4, v4, v161
	;; [unrolled: 1-line block ×4, first 2 shown]
	s_clause 0x3
	buffer_load_dword v8, off, s[0:3], 0 offset:320
	buffer_load_dword v133, off, s[0:3], 0 offset:312
	;; [unrolled: 1-line block ×4, first 2 shown]
	v_add_f32_e32 v2, v2, v162
	buffer_load_dword v162, off, s[0:3], 0 offset:308
	v_add_f32_e32 v4, v4, v129
	s_waitcnt vmcnt(14) lgkmcnt(0)
	v_mul_f32_e32 v129, v122, v3
	v_mul_f32_e32 v3, v123, v3
	v_add_f32_e32 v2, v2, v131
	v_add_f32_e32 v6, v4, v6
	v_fmac_f32_e32 v129, v123, v156
	v_fma_f32 v131, v122, v156, -v3
	v_add_f32_e32 v7, v2, v7
	ds_read_b128 v[2:5], v1 offset:720
	v_add_f32_e32 v6, v6, v126
	buffer_load_dword v126, off, s[0:3], 0 offset:316
	v_add_f32_e32 v7, v7, v128
	v_add_f32_e32 v6, v6, v127
	buffer_load_dword v127, off, s[0:3], 0 offset:324
	v_add_f32_e32 v7, v7, v130
	buffer_load_dword v130, off, s[0:3], 0 offset:332
	v_add_f32_e32 v6, v6, v132
	v_add_f32_e32 v7, v7, v139
	;; [unrolled: 1-line block ×4, first 2 shown]
	s_waitcnt vmcnt(16)
	v_mul_f32_e32 v128, v124, v11
	v_mul_f32_e32 v11, v125, v11
	s_waitcnt vmcnt(12)
	v_fmac_f32_e32 v128, v125, v168
	v_fma_f32 v11, v124, v168, -v11
	ds_read_b128 v[122:125], v1 offset:736
	s_clause 0x3
	buffer_load_dword v156, off, s[0:3], 0 offset:352
	buffer_load_dword v168, off, s[0:3], 0 offset:344
	;; [unrolled: 1-line block ×4, first 2 shown]
	s_waitcnt vmcnt(14) lgkmcnt(1)
	v_mul_f32_e32 v139, v3, v169
	v_mul_f32_e32 v132, v2, v169
	v_fma_f32 v139, v2, v167, -v139
	v_add_f32_e32 v2, v6, v134
	s_clause 0x1
	buffer_load_dword v6, off, s[0:3], 0 offset:340
	buffer_load_dword v134, off, s[0:3], 0 offset:348
	v_fmac_f32_e32 v132, v3, v167
	v_add_f32_e32 v3, v7, v138
	buffer_load_dword v138, off, s[0:3], 0 offset:356
	v_add_f32_e32 v2, v2, v136
	s_waitcnt vmcnt(16)
	v_mul_f32_e32 v7, v4, v10
	v_mul_f32_e32 v10, v5, v10
	v_add_f32_e32 v3, v3, v140
	v_add_f32_e32 v136, v2, v141
	s_waitcnt lgkmcnt(0)
	v_mul_f32_e32 v169, v123, v170
	v_fmac_f32_e32 v7, v5, v152
	v_add_f32_e32 v147, v3, v147
	v_fma_f32 v10, v4, v152, -v10
	v_add_f32_e32 v136, v136, v143
	v_mul_f32_e32 v143, v122, v170
	s_clause 0x3
	buffer_load_dword v140, off, s[0:3], 0 offset:364
	buffer_load_dword v141, off, s[0:3], 0 offset:372
	;; [unrolled: 1-line block ×4, first 2 shown]
	v_add_f32_e32 v145, v147, v145
	ds_read_b128 v[2:5], v1 offset:752
	v_add_f32_e32 v136, v136, v142
	v_fmac_f32_e32 v143, v123, v150
	v_fma_f32 v150, v122, v150, -v169
	v_add_f32_e32 v122, v145, v146
	s_waitcnt vmcnt(19)
	v_mul_f32_e32 v147, v124, v159
	v_mul_f32_e32 v142, v125, v159
	v_add_f32_e32 v123, v136, v144
	s_clause 0x3
	buffer_load_dword v144, off, s[0:3], 0 offset:396
	buffer_load_dword v145, off, s[0:3], 0 offset:404
	;; [unrolled: 1-line block ×4, first 2 shown]
	v_add_f32_e32 v122, v122, v148
	s_waitcnt vmcnt(19)
	v_fmac_f32_e32 v147, v125, v161
	v_fma_f32 v136, v124, v161, -v142
	buffer_load_dword v142, off, s[0:3], 0 offset:428
	v_add_f32_e32 v123, v123, v155
	s_clause 0x4
	buffer_load_dword v148, off, s[0:3], 0 offset:384
	buffer_load_dword v155, off, s[0:3], 0 offset:376
	;; [unrolled: 1-line block ×5, first 2 shown]
	v_add_f32_e32 v122, v122, v158
	v_add_f32_e32 v154, v123, v154
	;; [unrolled: 1-line block ×3, first 2 shown]
	ds_read_b128 v[122:125], v1 offset:768
	v_add_f32_e32 v149, v154, v149
	s_waitcnt vmcnt(24) lgkmcnt(1)
	v_mul_f32_e32 v154, v2, v162
	v_mul_f32_e32 v162, v3, v162
	v_add_f32_e32 v153, v158, v153
	v_fmac_f32_e32 v154, v3, v160
	v_fma_f32 v158, v2, v160, -v162
	v_add_f32_e32 v2, v149, v163
	v_add_f32_e32 v3, v153, v174
	s_clause 0x3
	buffer_load_dword v149, off, s[0:3], 0 offset:416
	buffer_load_dword v153, off, s[0:3], 0 offset:408
	;; [unrolled: 1-line block ×4, first 2 shown]
	v_add_f32_e32 v2, v2, v164
	s_clause 0x1
	buffer_load_dword v163, off, s[0:3], 0 offset:432
	buffer_load_dword v164, off, s[0:3], 0 offset:424
	v_add_f32_e32 v3, v3, v165
	s_waitcnt vmcnt(29)
	v_mul_f32_e32 v165, v4, v126
	v_add_f32_e32 v2, v2, v157
	buffer_load_dword v157, off, s[0:3], 0 offset:40
	v_add_f32_e32 v129, v3, v129
	v_mul_f32_e32 v3, v5, v126
	v_fmac_f32_e32 v165, v5, v133
	v_add_f32_e32 v126, v2, v131
	s_waitcnt vmcnt(29) lgkmcnt(0)
	v_mul_f32_e32 v171, v122, v127
	v_add_f32_e32 v128, v129, v128
	v_fma_f32 v166, v4, v133, -v3
	ds_read_b128 v[2:5], v1 offset:784
	v_add_f32_e32 v11, v126, v11
	v_mul_f32_e32 v131, v123, v127
	v_add_f32_e32 v132, v128, v132
	ds_read_b128 v[126:129], v1 offset:800
	s_waitcnt vmcnt(28)
	v_mul_f32_e32 v172, v124, v130
	v_add_f32_e32 v11, v11, v139
	v_mul_f32_e32 v130, v125, v130
	v_add_f32_e32 v7, v132, v7
	v_fmac_f32_e32 v171, v123, v8
	v_fma_f32 v8, v122, v8, -v131
	v_add_f32_e32 v10, v11, v10
	v_add_f32_e32 v7, v7, v143
	v_add_f32_e32 v10, v10, v150
	v_add_f32_e32 v10, v10, v136
	s_waitcnt vmcnt(24)
	v_fma_f32 v11, v124, v137, -v130
	v_fmac_f32_e32 v172, v125, v137
	ds_read_b128 v[122:125], v1 offset:816
	ds_read_b128 v[130:133], v1 offset:832
	s_waitcnt vmcnt(23) lgkmcnt(3)
	v_mul_f32_e32 v139, v2, v6
	v_mul_f32_e32 v6, v3, v6
	s_waitcnt vmcnt(22)
	v_mul_f32_e32 v150, v5, v134
	v_mul_f32_e32 v143, v4, v134
	v_fmac_f32_e32 v139, v3, v135
	v_fma_f32 v173, v2, v135, -v6
	v_add_f32_e32 v2, v7, v147
	v_add_f32_e32 v6, v10, v158
	v_fma_f32 v10, v4, v168, -v150
	v_fmac_f32_e32 v143, v5, v168
	ds_read_b128 v[134:137], v1 offset:848
	v_add_f32_e32 v147, v2, v154
	v_add_f32_e32 v150, v6, v166
	s_waitcnt vmcnt(21) lgkmcnt(3)
	v_mul_f32_e32 v154, v126, v138
	v_mul_f32_e32 v138, v127, v138
	s_waitcnt vmcnt(20)
	v_mul_f32_e32 v158, v128, v140
	v_add_f32_e32 v147, v147, v165
	v_add_f32_e32 v8, v150, v8
	v_mul_f32_e32 v140, v129, v140
	v_fma_f32 v126, v126, v156, -v138
	v_fmac_f32_e32 v154, v127, v156
	v_add_f32_e32 v147, v147, v171
	v_add_f32_e32 v8, v8, v11
	s_waitcnt vmcnt(19) lgkmcnt(2)
	v_mul_f32_e32 v150, v122, v141
	v_mul_f32_e32 v141, v123, v141
	s_waitcnt vmcnt(18)
	v_mul_f32_e32 v11, v124, v152
	v_add_f32_e32 v147, v147, v172
	v_add_f32_e32 v8, v8, v173
	ds_read_b128 v[2:5], v1 offset:864
	s_waitcnt vmcnt(17) lgkmcnt(2)
	v_mul_f32_e32 v165, v130, v167
	s_waitcnt vmcnt(9)
	v_fma_f32 v122, v122, v161, -v141
	v_add_f32_e32 v138, v147, v139
	v_add_f32_e32 v8, v8, v10
	s_waitcnt vmcnt(8)
	v_fma_f32 v128, v128, v169, -v140
	v_fmac_f32_e32 v158, v129, v169
	v_mul_f32_e32 v129, v125, v152
	v_add_f32_e32 v138, v138, v143
	v_add_f32_e32 v8, v8, v126
	v_fmac_f32_e32 v150, v123, v161
	v_fmac_f32_e32 v11, v125, v155
	v_fma_f32 v124, v124, v155, -v129
	v_add_f32_e32 v126, v138, v154
	v_add_f32_e32 v8, v8, v128
	v_mul_f32_e32 v166, v132, v144
	v_fmac_f32_e32 v165, v131, v148
	ds_read_b64 v[6:7], v1 offset:880
	v_add_f32_e32 v123, v126, v158
	v_mul_f32_e32 v126, v131, v167
	v_add_f32_e32 v8, v8, v122
	s_waitcnt lgkmcnt(2)
	v_mul_f32_e32 v168, v134, v145
	v_mul_f32_e32 v127, v136, v146
	v_add_f32_e32 v122, v123, v150
	v_mul_f32_e32 v123, v133, v144
	v_fma_f32 v125, v130, v148, -v126
	v_add_f32_e32 v8, v8, v124
	s_waitcnt vmcnt(3)
	v_fmac_f32_e32 v166, v133, v162
	v_add_f32_e32 v11, v122, v11
	v_mul_f32_e32 v122, v135, v145
	v_fma_f32 v123, v132, v162, -v123
	v_add_f32_e32 v8, v8, v125
	v_mul_f32_e32 v124, v137, v146
	v_add_f32_e32 v11, v11, v165
	v_fma_f32 v122, v134, v160, -v122
	v_fmac_f32_e32 v168, v135, v160
	v_add_f32_e32 v8, v8, v123
	s_waitcnt lgkmcnt(1)
	v_mul_f32_e32 v139, v2, v159
	v_add_f32_e32 v11, v11, v166
	v_mul_f32_e32 v123, v3, v159
	v_fma_f32 v124, v136, v153, -v124
	v_add_f32_e32 v8, v8, v122
	v_fmac_f32_e32 v127, v137, v153
	v_add_f32_e32 v11, v11, v168
	v_mul_f32_e32 v122, v5, v142
	v_fmac_f32_e32 v139, v3, v149
	v_fma_f32 v2, v2, v149, -v123
	v_add_f32_e32 v3, v8, v124
	v_mul_f32_e32 v10, v4, v142
	v_add_f32_e32 v8, v11, v127
	s_waitcnt lgkmcnt(0)
	v_mul_f32_e32 v11, v7, v170
	s_waitcnt vmcnt(1)
	v_fma_f32 v4, v4, v164, -v122
	v_add_f32_e32 v2, v3, v2
	v_mul_f32_e32 v143, v6, v170
	v_fmac_f32_e32 v10, v5, v164
	v_add_f32_e32 v3, v8, v139
	v_fma_f32 v5, v6, v163, -v11
	v_add_f32_e32 v2, v2, v4
	v_fmac_f32_e32 v143, v7, v163
	v_add_f32_e32 v3, v3, v10
	v_add_f32_e32 v2, v2, v5
	;; [unrolled: 1-line block ×3, first 2 shown]
	s_waitcnt vmcnt(0)
	v_sub_f32_e32 v2, v157, v2
	v_sub_f32_e32 v3, v151, v3
	buffer_store_dword v2, off, s[0:3], 0 offset:40
	buffer_store_dword v3, off, s[0:3], 0 offset:44
	v_cmpx_lt_u32_e32 4, v0
	s_cbranch_execz .LBB118_335
; %bb.334:
	s_clause 0x1
	buffer_load_dword v2, off, s[0:3], 0 offset:32
	buffer_load_dword v3, off, s[0:3], 0 offset:36
	buffer_store_dword v1, off, s[0:3], 0 offset:32
	buffer_store_dword v1, off, s[0:3], 0 offset:36
	s_waitcnt vmcnt(0)
	ds_write_b64 v9, v[2:3]
.LBB118_335:
	s_or_b32 exec_lo, exec_lo, s4
	s_waitcnt lgkmcnt(0)
	s_waitcnt_vscnt null, 0x0
	s_barrier
	buffer_gl0_inv
	s_clause 0x2c
	buffer_load_dword v150, off, s[0:3], 0 offset:44
	buffer_load_dword v151, off, s[0:3], 0 offset:52
	;; [unrolled: 1-line block ×45, first 2 shown]
	ds_read2_b64 v[159:162], v1 offset0:61 offset1:62
	ds_read2_b64 v[163:166], v1 offset0:63 offset1:64
	s_mov_b32 s4, exec_lo
	s_waitcnt vmcnt(44) lgkmcnt(1)
	v_mul_f32_e32 v152, v159, v150
	v_mul_f32_e32 v167, v160, v150
	s_waitcnt vmcnt(43)
	v_mul_f32_e32 v150, v161, v151
	v_mul_f32_e32 v168, v162, v151
	buffer_load_dword v151, off, s[0:3], 0 offset:36
	s_waitcnt vmcnt(41)
	v_fmac_f32_e32 v152, v160, v11
	v_fma_f32 v11, v159, v11, -v167
	v_fmac_f32_e32 v150, v162, v7
	v_fma_f32 v167, v161, v7, -v168
	ds_read2_b64 v[159:162], v1 offset0:65 offset1:66
	s_waitcnt vmcnt(40) lgkmcnt(1)
	v_mul_f32_e32 v168, v163, v4
	s_waitcnt vmcnt(39)
	v_mul_f32_e32 v169, v165, v5
	v_mul_f32_e32 v4, v164, v4
	;; [unrolled: 1-line block ×3, first 2 shown]
	v_fmac_f32_e32 v168, v164, v2
	s_waitcnt vmcnt(35)
	v_fmac_f32_e32 v169, v166, v124
	v_fma_f32 v170, v163, v2, -v4
	v_fma_f32 v171, v165, v124, -v5
	ds_read2_b64 v[163:166], v1 offset0:67 offset1:68
	s_waitcnt vmcnt(34) lgkmcnt(1)
	v_mul_f32_e32 v172, v159, v123
	v_mul_f32_e32 v2, v160, v123
	s_waitcnt vmcnt(33)
	v_mul_f32_e32 v173, v161, v122
	v_mul_f32_e32 v4, v162, v122
	v_fmac_f32_e32 v172, v160, v10
	v_fma_f32 v10, v159, v10, -v2
	v_fmac_f32_e32 v173, v162, v6
	v_fma_f32 v159, v161, v6, -v4
	ds_read2_b64 v[4:7], v1 offset0:69 offset1:70
	s_waitcnt vmcnt(32) lgkmcnt(1)
	v_mul_f32_e32 v160, v163, v8
	v_mul_f32_e32 v2, v164, v8
	s_waitcnt vmcnt(31)
	v_mul_f32_e32 v8, v165, v125
	v_mul_f32_e32 v122, v166, v125
	v_fmac_f32_e32 v160, v164, v3
	v_fma_f32 v161, v163, v3, -v2
	s_waitcnt vmcnt(27)
	v_fmac_f32_e32 v8, v166, v133
	v_fma_f32 v133, v165, v133, -v122
	ds_read2_b64 v[122:125], v1 offset0:71 offset1:72
	buffer_load_dword v163, off, s[0:3], 0 offset:228
	s_waitcnt vmcnt(27) lgkmcnt(1)
	v_mul_f32_e32 v162, v4, v131
	v_mul_f32_e32 v2, v5, v131
	s_waitcnt vmcnt(26)
	v_mul_f32_e32 v3, v7, v130
	v_mul_f32_e32 v131, v6, v130
	v_fmac_f32_e32 v162, v5, v129
	v_fma_f32 v129, v4, v129, -v2
	v_fma_f32 v6, v6, v127, -v3
	ds_read2_b64 v[2:5], v1 offset0:73 offset1:74
	v_fmac_f32_e32 v131, v7, v127
	s_waitcnt vmcnt(25) lgkmcnt(1)
	v_mul_f32_e32 v7, v122, v128
	v_mul_f32_e32 v127, v123, v128
	s_waitcnt vmcnt(24)
	v_mul_f32_e32 v128, v124, v132
	v_mul_f32_e32 v130, v125, v132
	v_fmac_f32_e32 v7, v123, v126
	v_fma_f32 v126, v122, v126, -v127
	s_waitcnt vmcnt(20)
	v_fmac_f32_e32 v128, v125, v141
	v_fma_f32 v127, v124, v141, -v130
	ds_read2_b64 v[122:125], v1 offset0:75 offset1:76
	s_waitcnt vmcnt(19) lgkmcnt(1)
	v_mul_f32_e32 v130, v2, v139
	v_mul_f32_e32 v132, v3, v139
	s_waitcnt vmcnt(18)
	v_mul_f32_e32 v139, v4, v138
	v_mul_f32_e32 v138, v5, v138
	v_fmac_f32_e32 v130, v3, v137
	v_fma_f32 v132, v2, v137, -v132
	v_fmac_f32_e32 v139, v5, v135
	v_fma_f32 v135, v4, v135, -v138
	ds_read2_b64 v[2:5], v1 offset0:77 offset1:78
	s_waitcnt vmcnt(17) lgkmcnt(1)
	v_mul_f32_e32 v137, v122, v136
	v_mul_f32_e32 v136, v123, v136
	s_waitcnt vmcnt(16)
	v_mul_f32_e32 v138, v124, v140
	v_mul_f32_e32 v140, v125, v140
	v_fmac_f32_e32 v137, v123, v134
	v_fma_f32 v134, v122, v134, -v136
	s_waitcnt vmcnt(12)
	v_fmac_f32_e32 v138, v125, v149
	v_fma_f32 v136, v124, v149, -v140
	ds_read2_b64 v[122:125], v1 offset0:79 offset1:80
	buffer_load_dword v149, off, s[0:3], 0 offset:220
	s_waitcnt vmcnt(12) lgkmcnt(1)
	v_mul_f32_e32 v140, v2, v147
	v_mul_f32_e32 v141, v3, v147
	s_waitcnt vmcnt(11)
	v_mul_f32_e32 v147, v4, v146
	v_mul_f32_e32 v146, v5, v146
	v_fmac_f32_e32 v140, v3, v145
	v_fma_f32 v141, v2, v145, -v141
	v_fmac_f32_e32 v147, v5, v143
	v_fma_f32 v143, v4, v143, -v146
	ds_read2_b64 v[2:5], v1 offset0:81 offset1:82
	s_waitcnt vmcnt(10) lgkmcnt(1)
	v_mul_f32_e32 v145, v122, v144
	v_mul_f32_e32 v144, v123, v144
	s_waitcnt vmcnt(9)
	v_mul_f32_e32 v146, v124, v148
	v_mul_f32_e32 v148, v125, v148
	v_fmac_f32_e32 v145, v123, v142
	v_fma_f32 v142, v122, v142, -v144
	s_waitcnt vmcnt(5)
	v_fmac_f32_e32 v146, v125, v158
	v_fma_f32 v144, v124, v158, -v148
	ds_read2_b64 v[122:125], v1 offset0:83 offset1:84
	s_waitcnt vmcnt(4) lgkmcnt(1)
	v_mul_f32_e32 v148, v2, v157
	v_mul_f32_e32 v157, v3, v157
	s_waitcnt vmcnt(3)
	v_mul_f32_e32 v158, v4, v156
	v_mul_f32_e32 v156, v5, v156
	v_fmac_f32_e32 v148, v3, v155
	v_fma_f32 v155, v2, v155, -v157
	v_fmac_f32_e32 v158, v5, v154
	v_fma_f32 v154, v4, v154, -v156
	s_clause 0x4
	buffer_load_dword v156, off, s[0:3], 0 offset:248
	buffer_load_dword v157, off, s[0:3], 0 offset:240
	;; [unrolled: 1-line block ×5, first 2 shown]
	s_waitcnt vmcnt(5) lgkmcnt(0)
	v_mul_f32_e32 v166, v122, v149
	v_mul_f32_e32 v3, v123, v149
	v_fmac_f32_e32 v166, v123, v153
	v_fma_f32 v149, v122, v153, -v3
	v_mul_f32_e32 v153, v124, v163
	v_mul_f32_e32 v3, v125, v163
	s_waitcnt vmcnt(1)
	v_fmac_f32_e32 v153, v125, v2
	v_fma_f32 v163, v124, v2, -v3
	ds_read2_b64 v[2:5], v1 offset0:85 offset1:86
	ds_read2_b64 v[122:125], v1 offset0:87 offset1:88
	s_waitcnt vmcnt(0) lgkmcnt(1)
	v_mul_f32_e32 v174, v2, v165
	v_mul_f32_e32 v165, v3, v165
	v_fmac_f32_e32 v174, v3, v164
	v_fma_f32 v164, v2, v164, -v165
	buffer_load_dword v2, off, s[0:3], 0 offset:244
	v_add_f32_e32 v3, 0, v11
	v_add_f32_e32 v3, v3, v167
	;; [unrolled: 1-line block ×11, first 2 shown]
	s_waitcnt vmcnt(0)
	v_mul_f32_e32 v165, v4, v2
	v_mul_f32_e32 v2, v5, v2
	v_fmac_f32_e32 v165, v5, v157
	v_fma_f32 v157, v4, v157, -v2
	s_clause 0x1
	buffer_load_dword v4, off, s[0:3], 0 offset:252
	buffer_load_dword v5, off, s[0:3], 0 offset:260
	v_add_f32_e32 v2, 0, v152
	v_add_f32_e32 v2, v2, v150
	s_clause 0x5
	buffer_load_dword v11, off, s[0:3], 0 offset:280
	buffer_load_dword v150, off, s[0:3], 0 offset:272
	;; [unrolled: 1-line block ×6, first 2 shown]
	v_add_f32_e32 v2, v2, v168
	buffer_load_dword v168, off, s[0:3], 0 offset:268
	v_add_f32_e32 v2, v2, v169
	buffer_load_dword v169, off, s[0:3], 0 offset:284
	v_add_f32_e32 v2, v2, v172
	v_add_f32_e32 v2, v2, v173
	;; [unrolled: 1-line block ×4, first 2 shown]
	s_clause 0x3
	buffer_load_dword v8, off, s[0:3], 0 offset:312
	buffer_load_dword v133, off, s[0:3], 0 offset:304
	;; [unrolled: 1-line block ×4, first 2 shown]
	v_add_f32_e32 v2, v2, v162
	buffer_load_dword v162, off, s[0:3], 0 offset:300
	v_add_f32_e32 v2, v2, v131
	s_clause 0x1
	buffer_load_dword v129, off, s[0:3], 0 offset:308
	buffer_load_dword v131, off, s[0:3], 0 offset:316
	v_add_f32_e32 v2, v2, v7
	s_waitcnt vmcnt(16) lgkmcnt(0)
	v_mul_f32_e32 v6, v122, v4
	v_mul_f32_e32 v4, v123, v4
	s_waitcnt vmcnt(15)
	v_mul_f32_e32 v7, v124, v5
	v_mul_f32_e32 v126, v125, v5
	v_fmac_f32_e32 v6, v123, v156
	v_fma_f32 v156, v122, v156, -v4
	v_add_f32_e32 v122, v2, v128
	v_add_f32_e32 v123, v3, v127
	ds_read2_b64 v[2:5], v1 offset0:89 offset1:90
	s_waitcnt vmcnt(11)
	v_fmac_f32_e32 v7, v125, v167
	v_fma_f32 v126, v124, v167, -v126
	v_add_f32_e32 v122, v122, v130
	v_add_f32_e32 v123, v123, v132
	s_clause 0x4
	buffer_load_dword v130, off, s[0:3], 0 offset:324
	buffer_load_dword v167, off, s[0:3], 0 offset:344
	;; [unrolled: 1-line block ×5, first 2 shown]
	v_add_f32_e32 v122, v122, v139
	v_add_f32_e32 v123, v123, v135
	;; [unrolled: 1-line block ×4, first 2 shown]
	s_clause 0x2
	buffer_load_dword v134, off, s[0:3], 0 offset:332
	buffer_load_dword v135, off, s[0:3], 0 offset:340
	;; [unrolled: 1-line block ×3, first 2 shown]
	v_add_f32_e32 v127, v122, v138
	v_add_f32_e32 v128, v123, v136
	ds_read2_b64 v[122:125], v1 offset0:91 offset1:92
	s_waitcnt vmcnt(16) lgkmcnt(1)
	v_mul_f32_e32 v136, v2, v168
	v_mul_f32_e32 v138, v3, v168
	v_add_f32_e32 v127, v127, v140
	v_add_f32_e32 v128, v128, v141
	v_mul_f32_e32 v139, v4, v10
	v_fmac_f32_e32 v136, v3, v152
	v_mul_f32_e32 v10, v5, v10
	v_add_f32_e32 v3, v127, v147
	v_add_f32_e32 v127, v128, v143
	v_fma_f32 v128, v2, v152, -v138
	v_fmac_f32_e32 v139, v5, v150
	v_fma_f32 v10, v4, v150, -v10
	v_add_f32_e32 v2, v3, v145
	v_add_f32_e32 v3, v127, v142
	s_clause 0x7
	buffer_load_dword v142, off, s[0:3], 0 offset:356
	buffer_load_dword v143, off, s[0:3], 0 offset:364
	;; [unrolled: 1-line block ×8, first 2 shown]
	v_add_f32_e32 v2, v2, v146
	v_add_f32_e32 v3, v3, v144
	s_waitcnt vmcnt(23) lgkmcnt(0)
	v_mul_f32_e32 v138, v122, v169
	v_mul_f32_e32 v4, v123, v169
	s_clause 0x3
	buffer_load_dword v144, off, s[0:3], 0 offset:388
	buffer_load_dword v146, off, s[0:3], 0 offset:396
	;; [unrolled: 1-line block ×4, first 2 shown]
	v_add_f32_e32 v2, v2, v148
	s_clause 0x1
	buffer_load_dword v148, off, s[0:3], 0 offset:420
	buffer_load_dword v175, off, s[0:3], 0 offset:428
	v_fmac_f32_e32 v138, v123, v11
	v_fma_f32 v11, v122, v11, -v4
	v_add_f32_e32 v122, v3, v155
	v_mul_f32_e32 v3, v125, v159
	v_add_f32_e32 v123, v2, v158
	buffer_load_dword v155, off, s[0:3], 0 offset:436
	v_mul_f32_e32 v140, v124, v159
	v_add_f32_e32 v122, v122, v154
	s_waitcnt vmcnt(26)
	v_fma_f32 v141, v124, v161, -v3
	ds_read2_b64 v[2:5], v1 offset0:93 offset1:94
	v_add_f32_e32 v123, v123, v166
	v_fmac_f32_e32 v140, v125, v161
	v_add_f32_e32 v122, v122, v149
	v_add_f32_e32 v123, v123, v153
	s_clause 0x3
	buffer_load_dword v149, off, s[0:3], 0 offset:408
	buffer_load_dword v153, off, s[0:3], 0 offset:400
	;; [unrolled: 1-line block ×4, first 2 shown]
	v_add_f32_e32 v122, v122, v163
	v_add_f32_e32 v127, v123, v174
	;; [unrolled: 1-line block ×3, first 2 shown]
	ds_read2_b64 v[122:125], v1 offset0:95 offset1:96
	v_add_f32_e32 v127, v127, v165
	s_waitcnt vmcnt(29) lgkmcnt(1)
	v_mul_f32_e32 v161, v2, v162
	v_mul_f32_e32 v162, v3, v162
	v_fmac_f32_e32 v161, v3, v160
	v_fma_f32 v160, v2, v160, -v162
	v_add_f32_e32 v2, v159, v157
	v_add_f32_e32 v3, v127, v6
	s_clause 0x2
	buffer_load_dword v6, off, s[0:3], 0 offset:432
	buffer_load_dword v157, off, s[0:3], 0 offset:424
	;; [unrolled: 1-line block ×3, first 2 shown]
	s_waitcnt vmcnt(31)
	v_mul_f32_e32 v127, v5, v129
	v_add_f32_e32 v2, v2, v156
	buffer_load_dword v156, off, s[0:3], 0 offset:32
	v_add_f32_e32 v3, v3, v7
	v_mul_f32_e32 v7, v4, v129
	v_fma_f32 v162, v4, v133, -v127
	v_add_f32_e32 v126, v2, v126
	v_fmac_f32_e32 v7, v5, v133
	v_add_f32_e32 v133, v3, v136
	v_add_f32_e32 v136, v126, v128
	ds_read2_b64 v[2:5], v1 offset0:97 offset1:98
	ds_read2_b64 v[126:129], v1 offset0:99 offset1:100
	v_add_f32_e32 v133, v133, v139
	v_add_f32_e32 v10, v136, v10
	s_waitcnt vmcnt(31) lgkmcnt(2)
	v_mul_f32_e32 v139, v122, v131
	v_mul_f32_e32 v131, v123, v131
	v_add_f32_e32 v136, v133, v138
	v_add_f32_e32 v10, v10, v11
	v_fmac_f32_e32 v139, v123, v8
	v_fma_f32 v8, v122, v8, -v131
	v_add_f32_e32 v11, v136, v140
	v_add_f32_e32 v10, v10, v141
	v_add_f32_e32 v11, v11, v161
	v_add_f32_e32 v10, v10, v160
	v_add_f32_e32 v7, v11, v7
	v_add_f32_e32 v10, v10, v162
	v_add_f32_e32 v7, v7, v139
	s_waitcnt vmcnt(30)
	v_mul_f32_e32 v163, v124, v130
	v_mul_f32_e32 v130, v125, v130
	s_waitcnt vmcnt(26)
	v_fmac_f32_e32 v163, v125, v132
	v_fma_f32 v164, v124, v132, -v130
	ds_read2_b64 v[122:125], v1 offset0:101 offset1:102
	ds_read2_b64 v[130:133], v1 offset0:103 offset1:104
	v_add_f32_e32 v7, v7, v163
	s_waitcnt vmcnt(25) lgkmcnt(3)
	v_mul_f32_e32 v165, v2, v134
	s_waitcnt vmcnt(24)
	v_mul_f32_e32 v166, v4, v135
	v_mul_f32_e32 v134, v3, v134
	;; [unrolled: 1-line block ×3, first 2 shown]
	s_waitcnt vmcnt(23) lgkmcnt(2)
	v_mul_f32_e32 v138, v127, v137
	v_mul_f32_e32 v161, v126, v137
	v_fmac_f32_e32 v165, v3, v171
	v_fmac_f32_e32 v166, v5, v170
	v_fma_f32 v171, v2, v171, -v134
	v_fma_f32 v160, v4, v170, -v135
	ds_read2_b64 v[2:5], v1 offset0:105 offset1:106
	ds_read2_b64 v[134:137], v1 offset0:107 offset1:108
	v_fma_f32 v11, v126, v167, -v138
	ds_read2_b64 v[138:141], v1 offset0:109 offset1:110
	v_add_f32_e32 v1, v10, v8
	v_add_f32_e32 v7, v7, v165
	s_waitcnt vmcnt(22)
	v_mul_f32_e32 v10, v129, v142
	v_fmac_f32_e32 v161, v127, v167
	v_mul_f32_e32 v8, v128, v142
	v_add_f32_e32 v1, v1, v164
	v_add_f32_e32 v7, v7, v166
	s_waitcnt vmcnt(21) lgkmcnt(4)
	v_mul_f32_e32 v142, v123, v143
	v_mul_f32_e32 v126, v122, v143
	s_waitcnt vmcnt(15)
	v_fma_f32 v10, v128, v172, -v10
	v_add_f32_e32 v1, v1, v171
	v_fmac_f32_e32 v8, v129, v172
	v_add_f32_e32 v7, v7, v161
	v_mul_f32_e32 v127, v124, v145
	v_mul_f32_e32 v145, v125, v145
	v_add_f32_e32 v1, v1, v160
	v_fma_f32 v122, v122, v168, -v142
	v_fmac_f32_e32 v126, v123, v168
	v_add_f32_e32 v7, v7, v8
	s_waitcnt lgkmcnt(3)
	v_mul_f32_e32 v8, v131, v147
	v_add_f32_e32 v1, v1, v11
	v_mul_f32_e32 v128, v130, v147
	v_fmac_f32_e32 v127, v125, v152
	v_add_f32_e32 v7, v7, v126
	v_fma_f32 v8, v130, v150, -v8
	v_add_f32_e32 v1, v1, v10
	v_fma_f32 v10, v124, v152, -v145
	s_waitcnt vmcnt(14)
	v_mul_f32_e32 v129, v132, v144
	v_fmac_f32_e32 v128, v131, v150
	v_add_f32_e32 v7, v7, v127
	v_add_f32_e32 v1, v1, v122
	v_mul_f32_e32 v122, v133, v144
	s_waitcnt vmcnt(13) lgkmcnt(2)
	v_mul_f32_e32 v143, v2, v146
	s_waitcnt vmcnt(12)
	v_mul_f32_e32 v162, v4, v169
	v_add_f32_e32 v7, v7, v128
	v_add_f32_e32 v1, v1, v10
	v_mul_f32_e32 v10, v3, v146
	s_waitcnt vmcnt(4)
	v_fma_f32 v122, v132, v158, -v122
	v_fmac_f32_e32 v129, v133, v158
	v_fmac_f32_e32 v143, v3, v154
	v_add_f32_e32 v1, v1, v8
	v_mul_f32_e32 v8, v5, v169
	v_fma_f32 v2, v2, v154, -v10
	v_add_f32_e32 v3, v7, v129
	s_waitcnt lgkmcnt(1)
	v_mul_f32_e32 v7, v135, v173
	v_add_f32_e32 v1, v1, v122
	v_fma_f32 v4, v4, v153, -v8
	v_mul_f32_e32 v163, v134, v173
	v_fmac_f32_e32 v162, v5, v153
	v_fma_f32 v5, v134, v149, -v7
	v_add_f32_e32 v1, v1, v2
	v_add_f32_e32 v2, v3, v143
	v_mul_f32_e32 v3, v137, v148
	v_mul_f32_e32 v160, v136, v148
	v_fmac_f32_e32 v163, v135, v149
	v_add_f32_e32 v1, v1, v4
	v_add_f32_e32 v2, v2, v162
	s_waitcnt lgkmcnt(0)
	v_mul_f32_e32 v4, v139, v175
	s_waitcnt vmcnt(1)
	v_fma_f32 v3, v136, v159, -v3
	v_mul_f32_e32 v164, v138, v175
	v_add_f32_e32 v1, v1, v5
	v_fmac_f32_e32 v160, v137, v159
	v_add_f32_e32 v2, v2, v163
	v_mul_f32_e32 v5, v141, v155
	v_fma_f32 v4, v138, v157, -v4
	v_add_f32_e32 v1, v1, v3
	v_mul_f32_e32 v11, v140, v155
	v_fmac_f32_e32 v164, v139, v157
	v_add_f32_e32 v2, v2, v160
	v_fma_f32 v3, v140, v6, -v5
	v_add_f32_e32 v1, v1, v4
	v_fmac_f32_e32 v11, v141, v6
	v_add_f32_e32 v2, v2, v164
	v_add_f32_e32 v1, v1, v3
	;; [unrolled: 1-line block ×3, first 2 shown]
	s_waitcnt vmcnt(0)
	v_sub_f32_e32 v1, v156, v1
	v_sub_f32_e32 v2, v151, v2
	buffer_store_dword v1, off, s[0:3], 0 offset:32
	buffer_store_dword v2, off, s[0:3], 0 offset:36
	v_cmpx_lt_u32_e32 3, v0
	s_cbranch_execz .LBB118_337
; %bb.336:
	s_clause 0x1
	buffer_load_dword v1, off, s[0:3], 0 offset:24
	buffer_load_dword v2, off, s[0:3], 0 offset:28
	v_mov_b32_e32 v3, 0
	buffer_store_dword v3, off, s[0:3], 0 offset:24
	buffer_store_dword v3, off, s[0:3], 0 offset:28
	s_waitcnt vmcnt(0)
	ds_write_b64 v9, v[1:2]
.LBB118_337:
	s_or_b32 exec_lo, exec_lo, s4
	s_waitcnt lgkmcnt(0)
	s_waitcnt_vscnt null, 0x0
	s_barrier
	buffer_gl0_inv
	s_clause 0x2c
	buffer_load_dword v158, off, s[0:3], 0 offset:36
	buffer_load_dword v159, off, s[0:3], 0 offset:44
	buffer_load_dword v11, off, s[0:3], 0 offset:48
	buffer_load_dword v126, off, s[0:3], 0 offset:40
	buffer_load_dword v129, off, s[0:3], 0 offset:32
	buffer_load_dword v123, off, s[0:3], 0 offset:52
	buffer_load_dword v124, off, s[0:3], 0 offset:60
	buffer_load_dword v122, off, s[0:3], 0 offset:80
	buffer_load_dword v125, off, s[0:3], 0 offset:72
	buffer_load_dword v128, off, s[0:3], 0 offset:64
	buffer_load_dword v132, off, s[0:3], 0 offset:56
	buffer_load_dword v131, off, s[0:3], 0 offset:68
	buffer_load_dword v130, off, s[0:3], 0 offset:76
	buffer_load_dword v127, off, s[0:3], 0 offset:84
	buffer_load_dword v133, off, s[0:3], 0 offset:92
	buffer_load_dword v134, off, s[0:3], 0 offset:112
	buffer_load_dword v135, off, s[0:3], 0 offset:104
	buffer_load_dword v137, off, s[0:3], 0 offset:96
	buffer_load_dword v141, off, s[0:3], 0 offset:88
	buffer_load_dword v139, off, s[0:3], 0 offset:100
	buffer_load_dword v138, off, s[0:3], 0 offset:108
	buffer_load_dword v136, off, s[0:3], 0 offset:116
	buffer_load_dword v140, off, s[0:3], 0 offset:124
	buffer_load_dword v142, off, s[0:3], 0 offset:144
	buffer_load_dword v143, off, s[0:3], 0 offset:136
	buffer_load_dword v145, off, s[0:3], 0 offset:128
	buffer_load_dword v149, off, s[0:3], 0 offset:120
	buffer_load_dword v147, off, s[0:3], 0 offset:132
	buffer_load_dword v146, off, s[0:3], 0 offset:140
	buffer_load_dword v144, off, s[0:3], 0 offset:148
	buffer_load_dword v148, off, s[0:3], 0 offset:156
	buffer_load_dword v150, off, s[0:3], 0 offset:176
	buffer_load_dword v151, off, s[0:3], 0 offset:168
	buffer_load_dword v153, off, s[0:3], 0 offset:160
	buffer_load_dword v156, off, s[0:3], 0 offset:152
	buffer_load_dword v155, off, s[0:3], 0 offset:164
	buffer_load_dword v154, off, s[0:3], 0 offset:172
	buffer_load_dword v152, off, s[0:3], 0 offset:180
	buffer_load_dword v157, off, s[0:3], 0 offset:188
	buffer_load_dword v161, off, s[0:3], 0 offset:208
	buffer_load_dword v162, off, s[0:3], 0 offset:200
	buffer_load_dword v163, off, s[0:3], 0 offset:192
	buffer_load_dword v166, off, s[0:3], 0 offset:184
	buffer_load_dword v165, off, s[0:3], 0 offset:196
	buffer_load_dword v164, off, s[0:3], 0 offset:204
	v_mov_b32_e32 v10, 0
	ds_read_b128 v[5:8], v10 offset:480
	ds_read_b128 v[1:4], v10 offset:496
	s_mov_b32 s4, exec_lo
	s_clause 0x1
	buffer_load_dword v169, off, s[0:3], 0 offset:212
	buffer_load_dword v170, off, s[0:3], 0 offset:220
	s_waitcnt vmcnt(46) lgkmcnt(1)
	v_mul_f32_e32 v160, v5, v158
	v_mul_f32_e32 v167, v6, v158
	s_waitcnt vmcnt(45)
	v_mul_f32_e32 v158, v7, v159
	v_mul_f32_e32 v168, v8, v159
	buffer_load_dword v159, off, s[0:3], 0 offset:28
	s_waitcnt vmcnt(43)
	v_fmac_f32_e32 v160, v6, v129
	v_fma_f32 v129, v5, v129, -v167
	v_fmac_f32_e32 v158, v8, v126
	v_fma_f32 v126, v7, v126, -v168
	ds_read_b128 v[5:8], v10 offset:512
	s_waitcnt vmcnt(42) lgkmcnt(1)
	v_mul_f32_e32 v167, v1, v123
	s_waitcnt vmcnt(41)
	v_mul_f32_e32 v168, v3, v124
	v_mul_f32_e32 v123, v2, v123
	;; [unrolled: 1-line block ×3, first 2 shown]
	v_fmac_f32_e32 v167, v2, v11
	s_waitcnt vmcnt(37)
	v_fmac_f32_e32 v168, v4, v132
	v_fma_f32 v11, v1, v11, -v123
	v_fma_f32 v123, v3, v132, -v124
	ds_read_b128 v[1:4], v10 offset:528
	s_waitcnt vmcnt(36) lgkmcnt(1)
	v_mul_f32_e32 v124, v5, v131
	v_mul_f32_e32 v131, v6, v131
	s_waitcnt vmcnt(35)
	v_mul_f32_e32 v132, v7, v130
	v_mul_f32_e32 v130, v8, v130
	v_fmac_f32_e32 v124, v6, v128
	v_fma_f32 v128, v5, v128, -v131
	v_fmac_f32_e32 v132, v8, v125
	v_fma_f32 v125, v7, v125, -v130
	ds_read_b128 v[5:8], v10 offset:544
	s_waitcnt vmcnt(34) lgkmcnt(1)
	v_mul_f32_e32 v130, v1, v127
	v_mul_f32_e32 v127, v2, v127
	s_waitcnt vmcnt(33)
	v_mul_f32_e32 v131, v3, v133
	v_mul_f32_e32 v133, v4, v133
	v_fmac_f32_e32 v130, v2, v122
	v_fma_f32 v122, v1, v122, -v127
	s_waitcnt vmcnt(29)
	v_fmac_f32_e32 v131, v4, v141
	v_fma_f32 v127, v3, v141, -v133
	ds_read_b128 v[1:4], v10 offset:560
	s_waitcnt vmcnt(28) lgkmcnt(1)
	v_mul_f32_e32 v133, v5, v139
	v_mul_f32_e32 v139, v6, v139
	s_waitcnt vmcnt(27)
	v_mul_f32_e32 v141, v7, v138
	v_mul_f32_e32 v138, v8, v138
	v_fmac_f32_e32 v133, v6, v137
	v_fma_f32 v137, v5, v137, -v139
	v_fmac_f32_e32 v141, v8, v135
	v_fma_f32 v135, v7, v135, -v138
	ds_read_b128 v[5:8], v10 offset:576
	s_waitcnt vmcnt(26) lgkmcnt(1)
	v_mul_f32_e32 v138, v1, v136
	v_mul_f32_e32 v136, v2, v136
	s_waitcnt vmcnt(25)
	v_mul_f32_e32 v139, v3, v140
	v_mul_f32_e32 v140, v4, v140
	v_fmac_f32_e32 v138, v2, v134
	v_fma_f32 v134, v1, v134, -v136
	s_waitcnt vmcnt(21)
	v_fmac_f32_e32 v139, v4, v149
	;; [unrolled: 23-line block ×4, first 2 shown]
	v_fma_f32 v152, v3, v166, -v157
	ds_read_b128 v[1:4], v10 offset:656
	s_waitcnt vmcnt(4) lgkmcnt(1)
	v_mul_f32_e32 v157, v5, v165
	v_mul_f32_e32 v165, v6, v165
	s_waitcnt vmcnt(3)
	v_mul_f32_e32 v166, v7, v164
	v_mul_f32_e32 v164, v8, v164
	v_fmac_f32_e32 v157, v6, v163
	v_fma_f32 v163, v5, v163, -v165
	v_fmac_f32_e32 v166, v8, v162
	v_fma_f32 v162, v7, v162, -v164
	s_clause 0x4
	buffer_load_dword v164, off, s[0:3], 0 offset:240
	buffer_load_dword v165, off, s[0:3], 0 offset:232
	buffer_load_dword v171, off, s[0:3], 0 offset:224
	buffer_load_dword v5, off, s[0:3], 0 offset:216
	buffer_load_dword v172, off, s[0:3], 0 offset:228
	s_waitcnt vmcnt(7) lgkmcnt(0)
	v_mul_f32_e32 v173, v1, v169
	v_mul_f32_e32 v6, v2, v169
	s_waitcnt vmcnt(6)
	v_mul_f32_e32 v169, v3, v170
	v_fmac_f32_e32 v173, v2, v161
	v_fma_f32 v161, v1, v161, -v6
	v_mul_f32_e32 v1, v4, v170
	s_waitcnt vmcnt(1)
	v_fmac_f32_e32 v169, v4, v5
	v_fma_f32 v170, v3, v5, -v1
	ds_read_b128 v[1:4], v10 offset:672
	ds_read_b128 v[5:8], v10 offset:688
	s_waitcnt vmcnt(0) lgkmcnt(1)
	v_mul_f32_e32 v174, v1, v172
	v_mul_f32_e32 v172, v2, v172
	v_fmac_f32_e32 v174, v2, v171
	v_fma_f32 v171, v1, v171, -v172
	buffer_load_dword v1, off, s[0:3], 0 offset:236
	s_waitcnt vmcnt(0)
	v_mul_f32_e32 v172, v3, v1
	v_mul_f32_e32 v1, v4, v1
	v_fmac_f32_e32 v172, v4, v165
	v_fma_f32 v165, v3, v165, -v1
	buffer_load_dword v1, off, s[0:3], 0 offset:244
	s_waitcnt vmcnt(0) lgkmcnt(0)
	v_mul_f32_e32 v175, v5, v1
	v_mul_f32_e32 v1, v6, v1
	v_fmac_f32_e32 v175, v6, v164
	v_fma_f32 v164, v5, v164, -v1
	s_clause 0x5
	buffer_load_dword v1, off, s[0:3], 0 offset:252
	buffer_load_dword v176, off, s[0:3], 0 offset:272
	buffer_load_dword v177, off, s[0:3], 0 offset:264
	buffer_load_dword v178, off, s[0:3], 0 offset:256
	buffer_load_dword v2, off, s[0:3], 0 offset:248
	buffer_load_dword v181, off, s[0:3], 0 offset:260
	s_waitcnt vmcnt(5)
	v_mul_f32_e32 v179, v7, v1
	v_mul_f32_e32 v1, v8, v1
	s_waitcnt vmcnt(1)
	v_fmac_f32_e32 v179, v8, v2
	v_fma_f32 v180, v7, v2, -v1
	ds_read_b128 v[1:4], v10 offset:704
	ds_read_b128 v[5:8], v10 offset:720
	s_waitcnt vmcnt(0) lgkmcnt(1)
	v_mul_f32_e32 v182, v1, v181
	v_mul_f32_e32 v181, v2, v181
	v_fmac_f32_e32 v182, v2, v178
	v_fma_f32 v178, v1, v178, -v181
	buffer_load_dword v1, off, s[0:3], 0 offset:268
	s_waitcnt vmcnt(0)
	v_mul_f32_e32 v181, v3, v1
	v_mul_f32_e32 v1, v4, v1
	v_fmac_f32_e32 v181, v4, v177
	v_fma_f32 v177, v3, v177, -v1
	buffer_load_dword v1, off, s[0:3], 0 offset:276
	s_waitcnt vmcnt(0) lgkmcnt(0)
	v_mul_f32_e32 v183, v5, v1
	v_mul_f32_e32 v1, v6, v1
	v_fmac_f32_e32 v183, v6, v176
	v_fma_f32 v176, v5, v176, -v1
	s_clause 0x5
	buffer_load_dword v1, off, s[0:3], 0 offset:284
	buffer_load_dword v184, off, s[0:3], 0 offset:304
	;; [unrolled: 1-line block ×6, first 2 shown]
	s_waitcnt vmcnt(5)
	v_mul_f32_e32 v187, v7, v1
	v_mul_f32_e32 v1, v8, v1
	s_waitcnt vmcnt(1)
	v_fmac_f32_e32 v187, v8, v2
	v_fma_f32 v188, v7, v2, -v1
	ds_read_b128 v[1:4], v10 offset:736
	ds_read_b128 v[5:8], v10 offset:752
	s_waitcnt vmcnt(0) lgkmcnt(1)
	v_mul_f32_e32 v190, v1, v189
	v_mul_f32_e32 v189, v2, v189
	v_fmac_f32_e32 v190, v2, v186
	v_fma_f32 v186, v1, v186, -v189
	buffer_load_dword v1, off, s[0:3], 0 offset:300
	s_waitcnt vmcnt(0)
	v_mul_f32_e32 v189, v3, v1
	v_mul_f32_e32 v1, v4, v1
	v_fmac_f32_e32 v189, v4, v185
	v_fma_f32 v185, v3, v185, -v1
	buffer_load_dword v1, off, s[0:3], 0 offset:308
	s_waitcnt vmcnt(0) lgkmcnt(0)
	v_mul_f32_e32 v191, v5, v1
	v_mul_f32_e32 v1, v6, v1
	v_fmac_f32_e32 v191, v6, v184
	v_fma_f32 v184, v5, v184, -v1
	s_clause 0x4
	buffer_load_dword v1, off, s[0:3], 0 offset:316
	buffer_load_dword v192, off, s[0:3], 0 offset:336
	;; [unrolled: 1-line block ×5, first 2 shown]
	s_waitcnt vmcnt(4)
	v_mul_f32_e32 v195, v7, v1
	v_mul_f32_e32 v1, v8, v1
	s_waitcnt vmcnt(0)
	v_fmac_f32_e32 v195, v8, v2
	v_fma_f32 v196, v7, v2, -v1
	v_add_f32_e32 v2, 0, v129
	v_add_f32_e32 v1, 0, v160
	v_add_f32_e32 v2, v2, v126
	v_add_f32_e32 v1, v1, v158
	v_add_f32_e32 v2, v2, v11
	v_add_f32_e32 v1, v1, v167
	buffer_load_dword v11, off, s[0:3], 0 offset:324
	v_add_f32_e32 v2, v2, v123
	v_add_f32_e32 v1, v1, v168
	;; [unrolled: 1-line block ×8, first 2 shown]
	s_clause 0x1
	buffer_load_dword v122, off, s[0:3], 0 offset:332
	buffer_load_dword v130, off, s[0:3], 0 offset:340
	v_add_f32_e32 v2, v2, v127
	v_add_f32_e32 v1, v1, v131
	buffer_load_dword v131, off, s[0:3], 0 offset:348
	v_add_f32_e32 v2, v2, v137
	v_add_f32_e32 v1, v1, v133
	;; [unrolled: 1-line block ×8, first 2 shown]
	s_clause 0x3
	buffer_load_dword v136, off, s[0:3], 0 offset:368
	buffer_load_dword v137, off, s[0:3], 0 offset:360
	;; [unrolled: 1-line block ×4, first 2 shown]
	v_add_f32_e32 v2, v2, v145
	v_add_f32_e32 v1, v1, v140
	s_clause 0x2
	buffer_load_dword v139, off, s[0:3], 0 offset:356
	buffer_load_dword v140, off, s[0:3], 0 offset:364
	;; [unrolled: 1-line block ×3, first 2 shown]
	v_add_f32_e32 v2, v2, v143
	v_add_f32_e32 v1, v1, v149
	;; [unrolled: 1-line block ×6, first 2 shown]
	s_clause 0x5
	buffer_load_dword v142, off, s[0:3], 0 offset:380
	buffer_load_dword v143, off, s[0:3], 0 offset:388
	;; [unrolled: 1-line block ×6, first 2 shown]
	v_add_f32_e32 v2, v2, v153
	v_add_f32_e32 v1, v1, v148
	s_clause 0x1
	buffer_load_dword v148, off, s[0:3], 0 offset:428
	buffer_load_dword v149, off, s[0:3], 0 offset:436
	v_add_f32_e32 v2, v2, v151
	v_add_f32_e32 v1, v1, v156
	;; [unrolled: 1-line block ×5, first 2 shown]
	s_clause 0x3
	buffer_load_dword v150, off, s[0:3], 0 offset:400
	buffer_load_dword v151, off, s[0:3], 0 offset:392
	;; [unrolled: 1-line block ×4, first 2 shown]
	v_add_f32_e32 v1, v1, v155
	v_add_f32_e32 v2, v2, v163
	;; [unrolled: 1-line block ×3, first 2 shown]
	s_clause 0x4
	buffer_load_dword v154, off, s[0:3], 0 offset:432
	buffer_load_dword v155, off, s[0:3], 0 offset:424
	;; [unrolled: 1-line block ×5, first 2 shown]
	v_add_f32_e32 v2, v2, v162
	v_add_f32_e32 v1, v1, v166
	v_add_f32_e32 v2, v2, v161
	v_add_f32_e32 v1, v1, v173
	v_add_f32_e32 v2, v2, v170
	v_add_f32_e32 v1, v1, v169
	v_add_f32_e32 v2, v2, v171
	v_add_f32_e32 v1, v1, v174
	v_add_f32_e32 v6, v2, v165
	v_add_f32_e32 v5, v1, v172
	ds_read_b128 v[1:4], v10 offset:768
	v_add_f32_e32 v6, v6, v164
	v_add_f32_e32 v5, v5, v175
	;; [unrolled: 1-line block ×5, first 2 shown]
	ds_read_b128 v[5:8], v10 offset:784
	v_add_f32_e32 v123, v123, v182
	v_add_f32_e32 v124, v124, v177
	;; [unrolled: 1-line block ×6, first 2 shown]
	s_waitcnt vmcnt(27) lgkmcnt(1)
	v_mul_f32_e32 v160, v1, v11
	v_mul_f32_e32 v11, v2, v11
	v_fmac_f32_e32 v160, v2, v194
	v_add_f32_e32 v2, v124, v176
	v_fma_f32 v11, v1, v194, -v11
	v_add_f32_e32 v132, v2, v188
	v_add_f32_e32 v132, v132, v186
	s_waitcnt vmcnt(26)
	v_mul_f32_e32 v161, v3, v122
	s_waitcnt vmcnt(25) lgkmcnt(0)
	v_mul_f32_e32 v163, v5, v130
	v_mul_f32_e32 v130, v6, v130
	;; [unrolled: 1-line block ×3, first 2 shown]
	v_add_f32_e32 v132, v132, v185
	v_fmac_f32_e32 v161, v4, v193
	v_fmac_f32_e32 v163, v6, v192
	v_fma_f32 v165, v5, v192, -v130
	v_add_f32_e32 v5, v133, v189
	v_fma_f32 v162, v3, v193, -v122
	ds_read_b128 v[1:4], v10 offset:800
	ds_read_b128 v[122:125], v10 offset:816
	v_add_f32_e32 v6, v132, v184
	s_waitcnt vmcnt(24)
	v_mul_f32_e32 v135, v8, v131
	v_add_f32_e32 v167, v5, v191
	v_mul_f32_e32 v164, v7, v131
	ds_read_b128 v[126:129], v10 offset:832
	ds_read_b128 v[130:133], v10 offset:848
	v_add_f32_e32 v168, v6, v196
	v_add_f32_e32 v167, v167, v195
	;; [unrolled: 1-line block ×4, first 2 shown]
	s_waitcnt vmcnt(20)
	v_fma_f32 v166, v7, v134, -v135
	v_fmac_f32_e32 v164, v8, v134
	v_add_f32_e32 v11, v11, v162
	v_add_f32_e32 v160, v160, v161
	s_waitcnt vmcnt(19) lgkmcnt(3)
	v_mul_f32_e32 v169, v1, v139
	v_mul_f32_e32 v139, v2, v139
	s_waitcnt vmcnt(18)
	v_mul_f32_e32 v170, v3, v140
	v_add_f32_e32 v11, v11, v165
	v_mul_f32_e32 v140, v4, v140
	v_fmac_f32_e32 v169, v2, v138
	v_fma_f32 v1, v1, v138, -v139
	v_add_f32_e32 v138, v160, v163
	v_add_f32_e32 v11, v11, v166
	s_waitcnt vmcnt(17) lgkmcnt(2)
	v_mul_f32_e32 v167, v122, v141
	v_mul_f32_e32 v141, v123, v141
	v_fma_f32 v3, v3, v137, -v140
	v_add_f32_e32 v138, v138, v164
	v_add_f32_e32 v1, v11, v1
	v_fmac_f32_e32 v170, v4, v137
	s_waitcnt vmcnt(16)
	v_mul_f32_e32 v11, v125, v142
	v_fma_f32 v122, v122, v136, -v141
	v_add_f32_e32 v4, v138, v169
	v_add_f32_e32 v1, v1, v3
	v_mul_f32_e32 v162, v124, v142
	v_fmac_f32_e32 v167, v123, v136
	ds_read_b128 v[5:8], v10 offset:864
	ds_read_b64 v[134:135], v10 offset:880
	v_add_f32_e32 v3, v4, v170
	s_waitcnt vmcnt(15) lgkmcnt(3)
	v_mul_f32_e32 v4, v127, v143
	v_add_f32_e32 v1, v1, v122
	v_mul_f32_e32 v168, v126, v143
	s_waitcnt vmcnt(14)
	v_mul_f32_e32 v122, v129, v144
	v_add_f32_e32 v3, v3, v167
	v_mul_f32_e32 v161, v128, v144
	s_waitcnt vmcnt(13) lgkmcnt(2)
	v_mul_f32_e32 v165, v130, v145
	s_waitcnt vmcnt(12)
	v_mul_f32_e32 v2, v132, v146
	s_waitcnt vmcnt(7)
	v_fma_f32 v122, v128, v151, -v122
	s_waitcnt vmcnt(6)
	v_fma_f32 v4, v126, v152, -v4
	;; [unrolled: 2-line block ×3, first 2 shown]
	v_fmac_f32_e32 v162, v125, v153
	v_fmac_f32_e32 v168, v127, v152
	;; [unrolled: 1-line block ×4, first 2 shown]
	v_add_f32_e32 v1, v1, v11
	v_add_f32_e32 v3, v3, v162
	v_mul_f32_e32 v11, v131, v145
	s_waitcnt lgkmcnt(1)
	v_mul_f32_e32 v139, v5, v147
	s_waitcnt vmcnt(1)
	v_fmac_f32_e32 v2, v133, v157
	v_add_f32_e32 v1, v1, v4
	v_add_f32_e32 v3, v3, v168
	v_mul_f32_e32 v4, v133, v146
	v_fma_f32 v11, v130, v150, -v11
	v_mul_f32_e32 v160, v7, v148
	v_add_f32_e32 v1, v1, v122
	v_add_f32_e32 v3, v3, v161
	v_mul_f32_e32 v122, v6, v147
	v_fma_f32 v4, v132, v157, -v4
	v_fmac_f32_e32 v139, v6, v156
	v_add_f32_e32 v1, v1, v11
	v_add_f32_e32 v3, v3, v165
	v_mul_f32_e32 v11, v8, v148
	v_fma_f32 v5, v5, v156, -v122
	s_waitcnt lgkmcnt(0)
	v_mul_f32_e32 v163, v134, v149
	v_add_f32_e32 v1, v1, v4
	v_add_f32_e32 v2, v3, v2
	v_mul_f32_e32 v3, v135, v149
	v_fma_f32 v4, v7, v155, -v11
	v_fmac_f32_e32 v160, v8, v155
	v_add_f32_e32 v1, v1, v5
	v_add_f32_e32 v2, v2, v139
	v_fma_f32 v3, v134, v154, -v3
	v_fmac_f32_e32 v163, v135, v154
	v_add_f32_e32 v1, v1, v4
	v_add_f32_e32 v2, v2, v160
	v_add_f32_e32 v1, v1, v3
	v_add_f32_e32 v2, v2, v163
	s_waitcnt vmcnt(0)
	v_sub_f32_e32 v1, v158, v1
	v_sub_f32_e32 v2, v159, v2
	buffer_store_dword v1, off, s[0:3], 0 offset:24
	buffer_store_dword v2, off, s[0:3], 0 offset:28
	v_cmpx_lt_u32_e32 2, v0
	s_cbranch_execz .LBB118_339
; %bb.338:
	s_clause 0x1
	buffer_load_dword v1, off, s[0:3], 0 offset:16
	buffer_load_dword v2, off, s[0:3], 0 offset:20
	buffer_store_dword v10, off, s[0:3], 0 offset:16
	buffer_store_dword v10, off, s[0:3], 0 offset:20
	s_waitcnt vmcnt(0)
	ds_write_b64 v9, v[1:2]
.LBB118_339:
	s_or_b32 exec_lo, exec_lo, s4
	s_waitcnt lgkmcnt(0)
	s_waitcnt_vscnt null, 0x0
	s_barrier
	buffer_gl0_inv
	s_clause 0x2c
	buffer_load_dword v158, off, s[0:3], 0 offset:28
	buffer_load_dword v159, off, s[0:3], 0 offset:36
	buffer_load_dword v11, off, s[0:3], 0 offset:40
	buffer_load_dword v126, off, s[0:3], 0 offset:32
	buffer_load_dword v129, off, s[0:3], 0 offset:24
	buffer_load_dword v123, off, s[0:3], 0 offset:44
	buffer_load_dword v124, off, s[0:3], 0 offset:52
	buffer_load_dword v122, off, s[0:3], 0 offset:72
	buffer_load_dword v125, off, s[0:3], 0 offset:64
	buffer_load_dword v128, off, s[0:3], 0 offset:56
	buffer_load_dword v132, off, s[0:3], 0 offset:48
	buffer_load_dword v131, off, s[0:3], 0 offset:60
	buffer_load_dword v130, off, s[0:3], 0 offset:68
	buffer_load_dword v127, off, s[0:3], 0 offset:76
	buffer_load_dword v133, off, s[0:3], 0 offset:84
	buffer_load_dword v134, off, s[0:3], 0 offset:104
	buffer_load_dword v135, off, s[0:3], 0 offset:96
	buffer_load_dword v137, off, s[0:3], 0 offset:88
	buffer_load_dword v141, off, s[0:3], 0 offset:80
	buffer_load_dword v139, off, s[0:3], 0 offset:92
	buffer_load_dword v138, off, s[0:3], 0 offset:100
	buffer_load_dword v136, off, s[0:3], 0 offset:108
	buffer_load_dword v140, off, s[0:3], 0 offset:116
	buffer_load_dword v142, off, s[0:3], 0 offset:136
	buffer_load_dword v143, off, s[0:3], 0 offset:128
	buffer_load_dword v145, off, s[0:3], 0 offset:120
	buffer_load_dword v149, off, s[0:3], 0 offset:112
	buffer_load_dword v147, off, s[0:3], 0 offset:124
	buffer_load_dword v146, off, s[0:3], 0 offset:132
	buffer_load_dword v144, off, s[0:3], 0 offset:140
	buffer_load_dword v148, off, s[0:3], 0 offset:148
	buffer_load_dword v150, off, s[0:3], 0 offset:168
	buffer_load_dword v151, off, s[0:3], 0 offset:160
	buffer_load_dword v153, off, s[0:3], 0 offset:152
	buffer_load_dword v157, off, s[0:3], 0 offset:144
	buffer_load_dword v155, off, s[0:3], 0 offset:156
	buffer_load_dword v154, off, s[0:3], 0 offset:164
	buffer_load_dword v152, off, s[0:3], 0 offset:172
	buffer_load_dword v156, off, s[0:3], 0 offset:180
	buffer_load_dword v161, off, s[0:3], 0 offset:200
	buffer_load_dword v162, off, s[0:3], 0 offset:192
	buffer_load_dword v163, off, s[0:3], 0 offset:184
	buffer_load_dword v166, off, s[0:3], 0 offset:176
	buffer_load_dword v165, off, s[0:3], 0 offset:188
	buffer_load_dword v164, off, s[0:3], 0 offset:196
	ds_read2_b64 v[5:8], v10 offset0:59 offset1:60
	ds_read2_b64 v[1:4], v10 offset0:61 offset1:62
	s_mov_b32 s4, exec_lo
	s_clause 0x1
	buffer_load_dword v169, off, s[0:3], 0 offset:204
	buffer_load_dword v170, off, s[0:3], 0 offset:212
	s_waitcnt vmcnt(46) lgkmcnt(1)
	v_mul_f32_e32 v160, v5, v158
	v_mul_f32_e32 v167, v6, v158
	s_waitcnt vmcnt(45)
	v_mul_f32_e32 v158, v7, v159
	v_mul_f32_e32 v168, v8, v159
	buffer_load_dword v159, off, s[0:3], 0 offset:20
	s_waitcnt vmcnt(43)
	v_fmac_f32_e32 v160, v6, v129
	v_fma_f32 v129, v5, v129, -v167
	v_fmac_f32_e32 v158, v8, v126
	v_fma_f32 v126, v7, v126, -v168
	ds_read2_b64 v[5:8], v10 offset0:63 offset1:64
	s_waitcnt vmcnt(42) lgkmcnt(1)
	v_mul_f32_e32 v167, v1, v123
	s_waitcnt vmcnt(41)
	v_mul_f32_e32 v168, v3, v124
	v_mul_f32_e32 v123, v2, v123
	;; [unrolled: 1-line block ×3, first 2 shown]
	v_fmac_f32_e32 v167, v2, v11
	s_waitcnt vmcnt(37)
	v_fmac_f32_e32 v168, v4, v132
	v_fma_f32 v11, v1, v11, -v123
	v_fma_f32 v123, v3, v132, -v124
	ds_read2_b64 v[1:4], v10 offset0:65 offset1:66
	s_waitcnt vmcnt(36) lgkmcnt(1)
	v_mul_f32_e32 v124, v5, v131
	v_mul_f32_e32 v131, v6, v131
	s_waitcnt vmcnt(35)
	v_mul_f32_e32 v132, v7, v130
	v_mul_f32_e32 v130, v8, v130
	v_fmac_f32_e32 v124, v6, v128
	v_fma_f32 v128, v5, v128, -v131
	v_fmac_f32_e32 v132, v8, v125
	v_fma_f32 v125, v7, v125, -v130
	ds_read2_b64 v[5:8], v10 offset0:67 offset1:68
	s_waitcnt vmcnt(34) lgkmcnt(1)
	v_mul_f32_e32 v130, v1, v127
	v_mul_f32_e32 v127, v2, v127
	s_waitcnt vmcnt(33)
	v_mul_f32_e32 v131, v3, v133
	v_mul_f32_e32 v133, v4, v133
	v_fmac_f32_e32 v130, v2, v122
	v_fma_f32 v122, v1, v122, -v127
	s_waitcnt vmcnt(29)
	v_fmac_f32_e32 v131, v4, v141
	v_fma_f32 v127, v3, v141, -v133
	ds_read2_b64 v[1:4], v10 offset0:69 offset1:70
	s_waitcnt vmcnt(28) lgkmcnt(1)
	v_mul_f32_e32 v133, v5, v139
	v_mul_f32_e32 v139, v6, v139
	s_waitcnt vmcnt(27)
	v_mul_f32_e32 v141, v7, v138
	v_mul_f32_e32 v138, v8, v138
	v_fmac_f32_e32 v133, v6, v137
	v_fma_f32 v137, v5, v137, -v139
	v_fmac_f32_e32 v141, v8, v135
	v_fma_f32 v135, v7, v135, -v138
	ds_read2_b64 v[5:8], v10 offset0:71 offset1:72
	s_waitcnt vmcnt(26) lgkmcnt(1)
	v_mul_f32_e32 v138, v1, v136
	v_mul_f32_e32 v136, v2, v136
	s_waitcnt vmcnt(25)
	v_mul_f32_e32 v139, v3, v140
	v_mul_f32_e32 v140, v4, v140
	v_fmac_f32_e32 v138, v2, v134
	v_fma_f32 v134, v1, v134, -v136
	s_waitcnt vmcnt(21)
	v_fmac_f32_e32 v139, v4, v149
	;; [unrolled: 23-line block ×4, first 2 shown]
	v_fma_f32 v152, v3, v166, -v156
	ds_read2_b64 v[1:4], v10 offset0:81 offset1:82
	s_waitcnt vmcnt(4) lgkmcnt(1)
	v_mul_f32_e32 v156, v5, v165
	v_mul_f32_e32 v165, v6, v165
	s_waitcnt vmcnt(3)
	v_mul_f32_e32 v166, v7, v164
	v_mul_f32_e32 v164, v8, v164
	v_fmac_f32_e32 v156, v6, v163
	v_fma_f32 v163, v5, v163, -v165
	v_fmac_f32_e32 v166, v8, v162
	v_fma_f32 v162, v7, v162, -v164
	s_clause 0x4
	buffer_load_dword v164, off, s[0:3], 0 offset:232
	buffer_load_dword v165, off, s[0:3], 0 offset:224
	;; [unrolled: 1-line block ×5, first 2 shown]
	s_waitcnt vmcnt(7) lgkmcnt(0)
	v_mul_f32_e32 v173, v1, v169
	v_mul_f32_e32 v6, v2, v169
	s_waitcnt vmcnt(6)
	v_mul_f32_e32 v169, v3, v170
	v_fmac_f32_e32 v173, v2, v161
	v_fma_f32 v161, v1, v161, -v6
	v_mul_f32_e32 v1, v4, v170
	s_waitcnt vmcnt(1)
	v_fmac_f32_e32 v169, v4, v5
	v_fma_f32 v170, v3, v5, -v1
	ds_read2_b64 v[1:4], v10 offset0:83 offset1:84
	ds_read2_b64 v[5:8], v10 offset0:85 offset1:86
	s_waitcnt vmcnt(0) lgkmcnt(1)
	v_mul_f32_e32 v174, v1, v172
	v_mul_f32_e32 v172, v2, v172
	v_fmac_f32_e32 v174, v2, v171
	v_fma_f32 v171, v1, v171, -v172
	buffer_load_dword v1, off, s[0:3], 0 offset:228
	s_waitcnt vmcnt(0)
	v_mul_f32_e32 v172, v3, v1
	v_mul_f32_e32 v1, v4, v1
	v_fmac_f32_e32 v172, v4, v165
	v_fma_f32 v165, v3, v165, -v1
	buffer_load_dword v1, off, s[0:3], 0 offset:236
	s_waitcnt vmcnt(0) lgkmcnt(0)
	v_mul_f32_e32 v175, v5, v1
	v_mul_f32_e32 v1, v6, v1
	v_fmac_f32_e32 v175, v6, v164
	v_fma_f32 v164, v5, v164, -v1
	s_clause 0x5
	buffer_load_dword v1, off, s[0:3], 0 offset:244
	buffer_load_dword v176, off, s[0:3], 0 offset:264
	;; [unrolled: 1-line block ×6, first 2 shown]
	s_waitcnt vmcnt(5)
	v_mul_f32_e32 v179, v7, v1
	v_mul_f32_e32 v1, v8, v1
	s_waitcnt vmcnt(1)
	v_fmac_f32_e32 v179, v8, v2
	v_fma_f32 v180, v7, v2, -v1
	ds_read2_b64 v[1:4], v10 offset0:87 offset1:88
	ds_read2_b64 v[5:8], v10 offset0:89 offset1:90
	s_waitcnt vmcnt(0) lgkmcnt(1)
	v_mul_f32_e32 v182, v1, v181
	v_mul_f32_e32 v181, v2, v181
	v_fmac_f32_e32 v182, v2, v178
	v_fma_f32 v178, v1, v178, -v181
	buffer_load_dword v1, off, s[0:3], 0 offset:260
	s_waitcnt vmcnt(0)
	v_mul_f32_e32 v181, v3, v1
	v_mul_f32_e32 v1, v4, v1
	v_fmac_f32_e32 v181, v4, v177
	v_fma_f32 v177, v3, v177, -v1
	buffer_load_dword v1, off, s[0:3], 0 offset:268
	s_waitcnt vmcnt(0) lgkmcnt(0)
	v_mul_f32_e32 v183, v5, v1
	v_mul_f32_e32 v1, v6, v1
	v_fmac_f32_e32 v183, v6, v176
	v_fma_f32 v176, v5, v176, -v1
	s_clause 0x5
	buffer_load_dword v1, off, s[0:3], 0 offset:276
	buffer_load_dword v184, off, s[0:3], 0 offset:296
	;; [unrolled: 1-line block ×6, first 2 shown]
	s_waitcnt vmcnt(5)
	v_mul_f32_e32 v187, v7, v1
	v_mul_f32_e32 v1, v8, v1
	s_waitcnt vmcnt(1)
	v_fmac_f32_e32 v187, v8, v2
	v_fma_f32 v188, v7, v2, -v1
	ds_read2_b64 v[1:4], v10 offset0:91 offset1:92
	ds_read2_b64 v[5:8], v10 offset0:93 offset1:94
	s_waitcnt vmcnt(0) lgkmcnt(1)
	v_mul_f32_e32 v190, v1, v189
	v_mul_f32_e32 v189, v2, v189
	v_fmac_f32_e32 v190, v2, v186
	v_fma_f32 v186, v1, v186, -v189
	buffer_load_dword v1, off, s[0:3], 0 offset:292
	v_add_f32_e32 v2, 0, v129
	v_add_f32_e32 v2, v2, v126
	;; [unrolled: 1-line block ×26, first 2 shown]
	s_waitcnt vmcnt(0)
	v_mul_f32_e32 v189, v3, v1
	v_mul_f32_e32 v1, v4, v1
	v_fmac_f32_e32 v189, v4, v185
	v_fma_f32 v185, v3, v185, -v1
	v_add_f32_e32 v1, 0, v160
	s_clause 0x1
	buffer_load_dword v3, off, s[0:3], 0 offset:300
	buffer_load_dword v4, off, s[0:3], 0 offset:308
	v_add_f32_e32 v1, v1, v158
	v_add_f32_e32 v1, v1, v167
	;; [unrolled: 1-line block ×4, first 2 shown]
	s_clause 0x7
	buffer_load_dword v11, off, s[0:3], 0 offset:328
	buffer_load_dword v122, off, s[0:3], 0 offset:320
	;; [unrolled: 1-line block ×8, first 2 shown]
	v_add_f32_e32 v1, v1, v132
	v_add_f32_e32 v1, v1, v130
	;; [unrolled: 1-line block ×7, first 2 shown]
	s_clause 0x6
	buffer_load_dword v138, off, s[0:3], 0 offset:360
	buffer_load_dword v139, off, s[0:3], 0 offset:352
	;; [unrolled: 1-line block ×7, first 2 shown]
	v_add_f32_e32 v1, v1, v140
	s_clause 0x3
	buffer_load_dword v140, off, s[0:3], 0 offset:356
	buffer_load_dword v143, off, s[0:3], 0 offset:380
	;; [unrolled: 1-line block ×4, first 2 shown]
	v_add_f32_e32 v1, v1, v149
	v_add_f32_e32 v1, v1, v146
	;; [unrolled: 1-line block ×4, first 2 shown]
	s_clause 0x4
	buffer_load_dword v146, off, s[0:3], 0 offset:404
	buffer_load_dword v147, off, s[0:3], 0 offset:412
	;; [unrolled: 1-line block ×5, first 2 shown]
	v_add_f32_e32 v1, v1, v157
	v_add_f32_e32 v1, v1, v154
	s_clause 0x3
	buffer_load_dword v151, off, s[0:3], 0 offset:392
	buffer_load_dword v152, off, s[0:3], 0 offset:384
	;; [unrolled: 1-line block ×4, first 2 shown]
	v_add_f32_e32 v1, v1, v155
	v_add_f32_e32 v1, v1, v156
	s_clause 0x5
	buffer_load_dword v155, off, s[0:3], 0 offset:424
	buffer_load_dword v156, off, s[0:3], 0 offset:416
	;; [unrolled: 1-line block ×6, first 2 shown]
	v_add_f32_e32 v1, v1, v166
	v_add_f32_e32 v1, v1, v173
	;; [unrolled: 1-line block ×5, first 2 shown]
	s_waitcnt vmcnt(35) lgkmcnt(0)
	v_mul_f32_e32 v128, v5, v3
	v_mul_f32_e32 v3, v6, v3
	s_waitcnt vmcnt(34)
	v_mul_f32_e32 v133, v7, v4
	v_fmac_f32_e32 v128, v6, v184
	v_fma_f32 v130, v5, v184, -v3
	v_mul_f32_e32 v3, v8, v4
	v_add_f32_e32 v5, v1, v175
	v_add_f32_e32 v6, v2, v164
	;; [unrolled: 1-line block ×5, first 2 shown]
	s_waitcnt vmcnt(30)
	v_fma_f32 v135, v7, v124, -v3
	ds_read2_b64 v[1:4], v10 offset0:95 offset1:96
	v_fmac_f32_e32 v133, v8, v124
	v_add_f32_e32 v124, v5, v182
	ds_read2_b64 v[5:8], v10 offset0:97 offset1:98
	v_add_f32_e32 v136, v136, v177
	v_add_f32_e32 v124, v124, v181
	s_waitcnt vmcnt(29) lgkmcnt(1)
	v_mul_f32_e32 v137, v1, v125
	v_mul_f32_e32 v125, v2, v125
	s_waitcnt vmcnt(28)
	v_mul_f32_e32 v162, v3, v126
	v_mul_f32_e32 v126, v4, v126
	s_waitcnt vmcnt(27) lgkmcnt(0)
	v_mul_f32_e32 v165, v5, v127
	v_fmac_f32_e32 v137, v2, v123
	v_fma_f32 v163, v1, v123, -v125
	v_add_f32_e32 v123, v124, v183
	v_fma_f32 v164, v3, v122, -v126
	v_add_f32_e32 v126, v136, v176
	v_fmac_f32_e32 v162, v4, v122
	ds_read2_b64 v[1:4], v10 offset0:99 offset1:100
	v_add_f32_e32 v136, v123, v187
	s_waitcnt vmcnt(26)
	v_mul_f32_e32 v166, v7, v129
	v_add_f32_e32 v126, v126, v188
	v_mul_f32_e32 v127, v6, v127
	v_mul_f32_e32 v129, v8, v129
	v_add_f32_e32 v136, v136, v190
	v_fmac_f32_e32 v165, v6, v11
	v_add_f32_e32 v126, v126, v186
	s_waitcnt vmcnt(22)
	v_fmac_f32_e32 v166, v8, v131
	v_fma_f32 v167, v7, v131, -v129
	v_add_f32_e32 v6, v136, v189
	ds_read2_b64 v[122:125], v10 offset0:101 offset1:102
	v_add_f32_e32 v136, v126, v185
	v_fma_f32 v11, v5, v11, -v127
	v_add_f32_e32 v131, v6, v128
	ds_read2_b64 v[5:8], v10 offset0:103 offset1:104
	ds_read2_b64 v[126:129], v10 offset0:105 offset1:106
	v_add_f32_e32 v136, v136, v130
	s_waitcnt vmcnt(21) lgkmcnt(3)
	v_mul_f32_e32 v168, v1, v132
	v_mul_f32_e32 v169, v2, v132
	v_add_f32_e32 v170, v131, v133
	v_add_f32_e32 v171, v136, v135
	ds_read2_b64 v[130:133], v10 offset0:107 offset1:108
	v_fmac_f32_e32 v168, v2, v134
	v_fma_f32 v1, v1, v134, -v169
	v_add_f32_e32 v2, v170, v137
	ds_read2_b64 v[134:137], v10 offset0:109 offset1:110
	v_add_f32_e32 v10, v171, v163
	s_waitcnt vmcnt(18)
	v_mul_f32_e32 v163, v3, v140
	v_mul_f32_e32 v140, v4, v140
	v_add_f32_e32 v2, v2, v162
	s_waitcnt lgkmcnt(4)
	v_mul_f32_e32 v162, v122, v141
	v_add_f32_e32 v10, v10, v164
	v_mul_f32_e32 v141, v123, v141
	v_fma_f32 v3, v3, v139, -v140
	v_add_f32_e32 v2, v2, v165
	v_fmac_f32_e32 v163, v4, v139
	v_add_f32_e32 v10, v10, v11
	v_mul_f32_e32 v164, v124, v142
	v_mul_f32_e32 v142, v125, v142
	v_add_f32_e32 v2, v2, v166
	v_fma_f32 v122, v122, v138, -v141
	v_add_f32_e32 v10, v10, v167
	v_fmac_f32_e32 v162, v123, v138
	s_waitcnt vmcnt(6)
	v_fma_f32 v123, v124, v154, -v142
	v_add_f32_e32 v2, v2, v168
	s_waitcnt lgkmcnt(3)
	v_mul_f32_e32 v4, v5, v143
	v_add_f32_e32 v1, v10, v1
	v_fmac_f32_e32 v164, v125, v154
	v_mul_f32_e32 v139, v7, v144
	v_add_f32_e32 v2, v2, v163
	v_fmac_f32_e32 v4, v6, v153
	v_add_f32_e32 v1, v1, v3
	v_mul_f32_e32 v3, v6, v143
	s_waitcnt lgkmcnt(2)
	v_mul_f32_e32 v11, v126, v145
	v_add_f32_e32 v2, v2, v162
	v_fmac_f32_e32 v139, v8, v152
	v_add_f32_e32 v1, v1, v122
	v_mul_f32_e32 v122, v8, v144
	v_fma_f32 v3, v5, v153, -v3
	v_add_f32_e32 v2, v2, v164
	v_mul_f32_e32 v5, v127, v145
	v_add_f32_e32 v1, v1, v123
	v_fma_f32 v6, v7, v152, -v122
	v_mul_f32_e32 v140, v128, v146
	v_add_f32_e32 v2, v2, v4
	v_fma_f32 v4, v126, v151, -v5
	v_add_f32_e32 v1, v1, v3
	v_mul_f32_e32 v3, v129, v146
	v_fmac_f32_e32 v11, v127, v151
	v_add_f32_e32 v2, v2, v139
	s_waitcnt lgkmcnt(1)
	v_mul_f32_e32 v5, v131, v147
	v_add_f32_e32 v1, v1, v6
	s_waitcnt vmcnt(2)
	v_fma_f32 v3, v128, v158, -v3
	v_mul_f32_e32 v165, v130, v147
	v_fmac_f32_e32 v140, v129, v158
	v_add_f32_e32 v2, v2, v11
	v_add_f32_e32 v1, v1, v4
	v_mul_f32_e32 v4, v133, v148
	v_fma_f32 v5, v130, v157, -v5
	v_mul_f32_e32 v166, v132, v148
	v_fmac_f32_e32 v165, v131, v157
	v_add_f32_e32 v1, v1, v3
	v_add_f32_e32 v2, v2, v140
	s_waitcnt lgkmcnt(0)
	v_mul_f32_e32 v3, v135, v149
	v_fma_f32 v4, v132, v156, -v4
	v_mul_f32_e32 v167, v134, v149
	v_add_f32_e32 v1, v1, v5
	v_fmac_f32_e32 v166, v133, v156
	v_add_f32_e32 v2, v2, v165
	v_mul_f32_e32 v5, v137, v150
	v_fma_f32 v3, v134, v155, -v3
	v_add_f32_e32 v1, v1, v4
	v_mul_f32_e32 v10, v136, v150
	v_fmac_f32_e32 v167, v135, v155
	v_add_f32_e32 v2, v2, v166
	s_waitcnt vmcnt(1)
	v_fma_f32 v4, v136, v160, -v5
	v_add_f32_e32 v1, v1, v3
	v_fmac_f32_e32 v10, v137, v160
	v_add_f32_e32 v2, v2, v167
	v_add_f32_e32 v1, v1, v4
	;; [unrolled: 1-line block ×3, first 2 shown]
	s_waitcnt vmcnt(0)
	v_sub_f32_e32 v1, v161, v1
	v_sub_f32_e32 v2, v159, v2
	buffer_store_dword v1, off, s[0:3], 0 offset:16
	buffer_store_dword v2, off, s[0:3], 0 offset:20
	v_cmpx_lt_u32_e32 1, v0
	s_cbranch_execz .LBB118_341
; %bb.340:
	s_clause 0x1
	buffer_load_dword v1, off, s[0:3], 0 offset:8
	buffer_load_dword v2, off, s[0:3], 0 offset:12
	v_mov_b32_e32 v3, 0
	buffer_store_dword v3, off, s[0:3], 0 offset:8
	buffer_store_dword v3, off, s[0:3], 0 offset:12
	s_waitcnt vmcnt(0)
	ds_write_b64 v9, v[1:2]
.LBB118_341:
	s_or_b32 exec_lo, exec_lo, s4
	s_waitcnt lgkmcnt(0)
	s_waitcnt_vscnt null, 0x0
	s_barrier
	buffer_gl0_inv
	s_clause 0x2c
	buffer_load_dword v158, off, s[0:3], 0 offset:20
	buffer_load_dword v159, off, s[0:3], 0 offset:28
	;; [unrolled: 1-line block ×45, first 2 shown]
	v_mov_b32_e32 v122, 0
	ds_read_b128 v[5:8], v122 offset:464
	ds_read_b128 v[1:4], v122 offset:480
	s_mov_b32 s4, exec_lo
	s_clause 0x1
	buffer_load_dword v169, off, s[0:3], 0 offset:196
	buffer_load_dword v170, off, s[0:3], 0 offset:204
	s_waitcnt vmcnt(46) lgkmcnt(1)
	v_mul_f32_e32 v160, v5, v158
	v_mul_f32_e32 v167, v6, v158
	s_waitcnt vmcnt(45)
	v_mul_f32_e32 v158, v7, v159
	v_mul_f32_e32 v168, v8, v159
	buffer_load_dword v159, off, s[0:3], 0 offset:12
	s_waitcnt vmcnt(43)
	v_fmac_f32_e32 v160, v6, v129
	v_fma_f32 v129, v5, v129, -v167
	v_fmac_f32_e32 v158, v8, v126
	v_fma_f32 v126, v7, v126, -v168
	ds_read_b128 v[5:8], v122 offset:496
	s_waitcnt vmcnt(42) lgkmcnt(1)
	v_mul_f32_e32 v167, v1, v123
	s_waitcnt vmcnt(41)
	v_mul_f32_e32 v168, v3, v124
	v_mul_f32_e32 v123, v2, v123
	;; [unrolled: 1-line block ×3, first 2 shown]
	v_fmac_f32_e32 v167, v2, v10
	s_waitcnt vmcnt(37)
	v_fmac_f32_e32 v168, v4, v132
	v_fma_f32 v10, v1, v10, -v123
	v_fma_f32 v123, v3, v132, -v124
	ds_read_b128 v[1:4], v122 offset:512
	s_waitcnt vmcnt(36) lgkmcnt(1)
	v_mul_f32_e32 v124, v5, v131
	v_mul_f32_e32 v131, v6, v131
	s_waitcnt vmcnt(35)
	v_mul_f32_e32 v132, v7, v130
	v_mul_f32_e32 v130, v8, v130
	v_fmac_f32_e32 v124, v6, v128
	v_fma_f32 v128, v5, v128, -v131
	v_fmac_f32_e32 v132, v8, v125
	v_fma_f32 v125, v7, v125, -v130
	ds_read_b128 v[5:8], v122 offset:528
	s_waitcnt vmcnt(34) lgkmcnt(1)
	v_mul_f32_e32 v130, v1, v127
	v_mul_f32_e32 v127, v2, v127
	s_waitcnt vmcnt(33)
	v_mul_f32_e32 v131, v3, v133
	v_mul_f32_e32 v133, v4, v133
	v_fmac_f32_e32 v130, v2, v11
	v_fma_f32 v11, v1, v11, -v127
	s_waitcnt vmcnt(29)
	v_fmac_f32_e32 v131, v4, v141
	v_fma_f32 v127, v3, v141, -v133
	ds_read_b128 v[1:4], v122 offset:544
	s_waitcnt vmcnt(28) lgkmcnt(1)
	v_mul_f32_e32 v133, v5, v139
	v_mul_f32_e32 v139, v6, v139
	s_waitcnt vmcnt(27)
	v_mul_f32_e32 v141, v7, v138
	v_mul_f32_e32 v138, v8, v138
	v_fmac_f32_e32 v133, v6, v137
	v_fma_f32 v137, v5, v137, -v139
	v_fmac_f32_e32 v141, v8, v135
	v_fma_f32 v135, v7, v135, -v138
	ds_read_b128 v[5:8], v122 offset:560
	s_waitcnt vmcnt(26) lgkmcnt(1)
	v_mul_f32_e32 v138, v1, v136
	v_mul_f32_e32 v136, v2, v136
	s_waitcnt vmcnt(25)
	v_mul_f32_e32 v139, v3, v140
	v_mul_f32_e32 v140, v4, v140
	v_fmac_f32_e32 v138, v2, v134
	v_fma_f32 v134, v1, v134, -v136
	s_waitcnt vmcnt(21)
	v_fmac_f32_e32 v139, v4, v149
	;; [unrolled: 23-line block ×4, first 2 shown]
	v_fma_f32 v152, v3, v166, -v157
	ds_read_b128 v[1:4], v122 offset:640
	s_waitcnt vmcnt(4) lgkmcnt(1)
	v_mul_f32_e32 v157, v5, v165
	v_mul_f32_e32 v165, v6, v165
	s_waitcnt vmcnt(3)
	v_mul_f32_e32 v166, v7, v164
	v_mul_f32_e32 v164, v8, v164
	v_fmac_f32_e32 v157, v6, v163
	v_fma_f32 v163, v5, v163, -v165
	v_fmac_f32_e32 v166, v8, v162
	v_fma_f32 v162, v7, v162, -v164
	s_clause 0x4
	buffer_load_dword v164, off, s[0:3], 0 offset:224
	buffer_load_dword v165, off, s[0:3], 0 offset:216
	;; [unrolled: 1-line block ×5, first 2 shown]
	s_waitcnt vmcnt(7) lgkmcnt(0)
	v_mul_f32_e32 v173, v1, v169
	v_mul_f32_e32 v6, v2, v169
	s_waitcnt vmcnt(6)
	v_mul_f32_e32 v169, v3, v170
	v_fmac_f32_e32 v173, v2, v161
	v_fma_f32 v161, v1, v161, -v6
	v_mul_f32_e32 v1, v4, v170
	s_waitcnt vmcnt(1)
	v_fmac_f32_e32 v169, v4, v5
	v_fma_f32 v170, v3, v5, -v1
	ds_read_b128 v[1:4], v122 offset:656
	ds_read_b128 v[5:8], v122 offset:672
	s_waitcnt vmcnt(0) lgkmcnt(1)
	v_mul_f32_e32 v174, v1, v172
	v_mul_f32_e32 v172, v2, v172
	v_fmac_f32_e32 v174, v2, v171
	v_fma_f32 v171, v1, v171, -v172
	buffer_load_dword v1, off, s[0:3], 0 offset:220
	s_waitcnt vmcnt(0)
	v_mul_f32_e32 v172, v3, v1
	v_mul_f32_e32 v1, v4, v1
	v_fmac_f32_e32 v172, v4, v165
	v_fma_f32 v165, v3, v165, -v1
	buffer_load_dword v1, off, s[0:3], 0 offset:228
	s_waitcnt vmcnt(0) lgkmcnt(0)
	v_mul_f32_e32 v175, v5, v1
	v_mul_f32_e32 v1, v6, v1
	v_fmac_f32_e32 v175, v6, v164
	v_fma_f32 v164, v5, v164, -v1
	s_clause 0x5
	buffer_load_dword v1, off, s[0:3], 0 offset:236
	buffer_load_dword v176, off, s[0:3], 0 offset:256
	;; [unrolled: 1-line block ×6, first 2 shown]
	s_waitcnt vmcnt(5)
	v_mul_f32_e32 v179, v7, v1
	v_mul_f32_e32 v1, v8, v1
	s_waitcnt vmcnt(1)
	v_fmac_f32_e32 v179, v8, v2
	v_fma_f32 v180, v7, v2, -v1
	ds_read_b128 v[1:4], v122 offset:688
	ds_read_b128 v[5:8], v122 offset:704
	s_waitcnt vmcnt(0) lgkmcnt(1)
	v_mul_f32_e32 v182, v1, v181
	v_mul_f32_e32 v181, v2, v181
	v_fmac_f32_e32 v182, v2, v178
	v_fma_f32 v178, v1, v178, -v181
	buffer_load_dword v1, off, s[0:3], 0 offset:252
	v_add_f32_e32 v2, 0, v129
	v_add_f32_e32 v2, v2, v126
	;; [unrolled: 1-line block ×3, first 2 shown]
	buffer_load_dword v10, off, s[0:3], 0 offset:268
	v_add_f32_e32 v2, v2, v123
	v_add_f32_e32 v2, v2, v128
	;; [unrolled: 1-line block ×10, first 2 shown]
	s_waitcnt vmcnt(1)
	v_mul_f32_e32 v181, v3, v1
	v_mul_f32_e32 v1, v4, v1
	v_fmac_f32_e32 v181, v4, v177
	v_fma_f32 v177, v3, v177, -v1
	v_add_f32_e32 v1, 0, v160
	buffer_load_dword v3, off, s[0:3], 0 offset:260
	v_add_f32_e32 v1, v1, v158
	v_add_f32_e32 v1, v1, v167
	;; [unrolled: 1-line block ×4, first 2 shown]
	s_clause 0x7
	buffer_load_dword v11, off, s[0:3], 0 offset:288
	buffer_load_dword v123, off, s[0:3], 0 offset:280
	;; [unrolled: 1-line block ×8, first 2 shown]
	v_add_f32_e32 v1, v1, v132
	v_add_f32_e32 v1, v1, v130
	;; [unrolled: 1-line block ×4, first 2 shown]
	s_clause 0x5
	buffer_load_dword v130, off, s[0:3], 0 offset:320
	buffer_load_dword v131, off, s[0:3], 0 offset:312
	;; [unrolled: 1-line block ×6, first 2 shown]
	v_add_f32_e32 v1, v1, v141
	v_add_f32_e32 v1, v1, v138
	s_waitcnt vmcnt(15) lgkmcnt(0)
	v_mul_f32_e32 v138, v7, v10
	v_mul_f32_e32 v10, v8, v10
	v_add_f32_e32 v1, v1, v139
	buffer_load_dword v139, off, s[0:3], 0 offset:324
	v_add_f32_e32 v1, v1, v140
	buffer_load_dword v140, off, s[0:3], 0 offset:332
	v_add_f32_e32 v1, v1, v149
	s_waitcnt vmcnt(16)
	v_mul_f32_e32 v135, v5, v3
	v_mul_f32_e32 v3, v6, v3
	v_fmac_f32_e32 v135, v6, v176
	v_fma_f32 v136, v5, v176, -v3
	v_add_f32_e32 v5, v2, v143
	v_add_f32_e32 v6, v1, v146
	ds_read_b128 v[1:4], v122 offset:720
	v_add_f32_e32 v5, v5, v142
	v_add_f32_e32 v6, v6, v147
	;; [unrolled: 1-line block ×4, first 2 shown]
	s_waitcnt vmcnt(12)
	v_fmac_f32_e32 v138, v8, v125
	v_fma_f32 v10, v7, v125, -v10
	v_add_f32_e32 v125, v5, v153
	v_add_f32_e32 v141, v6, v156
	ds_read_b128 v[5:8], v122 offset:736
	s_clause 0x5
	buffer_load_dword v143, off, s[0:3], 0 offset:352
	buffer_load_dword v144, off, s[0:3], 0 offset:344
	;; [unrolled: 1-line block ×6, first 2 shown]
	v_add_f32_e32 v125, v125, v151
	v_add_f32_e32 v141, v141, v154
	s_waitcnt vmcnt(17) lgkmcnt(1)
	v_mul_f32_e32 v142, v1, v126
	v_mul_f32_e32 v126, v2, v126
	buffer_load_dword v149, off, s[0:3], 0 offset:356
	v_fmac_f32_e32 v142, v2, v124
	v_fma_f32 v124, v1, v124, -v126
	v_add_f32_e32 v1, v125, v150
	v_add_f32_e32 v2, v141, v155
	s_waitcnt vmcnt(17)
	v_mul_f32_e32 v141, v3, v127
	v_mul_f32_e32 v125, v4, v127
	v_add_f32_e32 v1, v1, v152
	v_add_f32_e32 v2, v2, v157
	v_fmac_f32_e32 v141, v4, v123
	v_fma_f32 v127, v3, v123, -v125
	s_clause 0x3
	buffer_load_dword v150, off, s[0:3], 0 offset:364
	buffer_load_dword v151, off, s[0:3], 0 offset:372
	;; [unrolled: 1-line block ×4, first 2 shown]
	v_add_f32_e32 v123, v1, v163
	v_add_f32_e32 v125, v2, v166
	s_waitcnt vmcnt(20) lgkmcnt(0)
	v_mul_f32_e32 v154, v5, v128
	v_mul_f32_e32 v126, v6, v128
	ds_read_b128 v[1:4], v122 offset:752
	v_add_f32_e32 v123, v123, v162
	v_add_f32_e32 v125, v125, v173
	s_clause 0x3
	buffer_load_dword v156, off, s[0:3], 0 offset:396
	buffer_load_dword v157, off, s[0:3], 0 offset:404
	;; [unrolled: 1-line block ×4, first 2 shown]
	v_fmac_f32_e32 v154, v6, v11
	v_fma_f32 v11, v5, v11, -v126
	v_add_f32_e32 v123, v123, v161
	s_clause 0x5
	buffer_load_dword v161, off, s[0:3], 0 offset:428
	buffer_load_dword v162, off, s[0:3], 0 offset:384
	;; [unrolled: 1-line block ×6, first 2 shown]
	v_add_f32_e32 v5, v125, v169
	s_waitcnt vmcnt(29)
	v_mul_f32_e32 v155, v7, v129
	v_add_f32_e32 v6, v123, v170
	v_mul_f32_e32 v128, v8, v129
	v_add_f32_e32 v5, v5, v174
	s_waitcnt vmcnt(25)
	v_fmac_f32_e32 v155, v8, v133
	v_add_f32_e32 v6, v6, v171
	v_fma_f32 v133, v7, v133, -v128
	v_add_f32_e32 v5, v5, v172
	s_waitcnt vmcnt(24) lgkmcnt(0)
	v_mul_f32_e32 v126, v2, v134
	v_add_f32_e32 v123, v6, v165
	v_add_f32_e32 v125, v5, v175
	ds_read_b128 v[5:8], v122 offset:768
	s_clause 0x6
	buffer_load_dword v165, off, s[0:3], 0 offset:416
	buffer_load_dword v169, off, s[0:3], 0 offset:408
	;; [unrolled: 1-line block ×7, first 2 shown]
	v_add_f32_e32 v123, v123, v164
	v_mul_f32_e32 v164, v1, v134
	v_add_f32_e32 v125, v125, v179
	v_fmac_f32_e32 v164, v2, v132
	v_fma_f32 v132, v1, v132, -v126
	v_add_f32_e32 v1, v123, v180
	v_add_f32_e32 v2, v125, v182
	;; [unrolled: 1-line block ×4, first 2 shown]
	s_waitcnt vmcnt(29) lgkmcnt(0)
	v_mul_f32_e32 v128, v6, v139
	v_add_f32_e32 v1, v1, v177
	v_add_f32_e32 v123, v2, v135
	v_mul_f32_e32 v135, v3, v137
	v_mul_f32_e32 v2, v4, v137
	;; [unrolled: 1-line block ×3, first 2 shown]
	v_add_f32_e32 v125, v1, v136
	v_add_f32_e32 v123, v123, v138
	v_fmac_f32_e32 v135, v4, v131
	v_fma_f32 v136, v3, v131, -v2
	ds_read_b128 v[1:4], v122 offset:784
	v_add_f32_e32 v10, v125, v10
	v_add_f32_e32 v129, v123, v142
	s_waitcnt vmcnt(28)
	v_mul_f32_e32 v131, v8, v140
	v_mul_f32_e32 v138, v7, v140
	v_fma_f32 v139, v5, v130, -v128
	v_add_f32_e32 v10, v10, v124
	ds_read_b128 v[123:126], v122 offset:800
	v_fmac_f32_e32 v137, v6, v130
	v_add_f32_e32 v10, v10, v127
	v_add_f32_e32 v10, v10, v11
	;; [unrolled: 1-line block ×6, first 2 shown]
	s_waitcnt vmcnt(23) lgkmcnt(1)
	v_mul_f32_e32 v11, v2, v147
	v_fma_f32 v140, v7, v146, -v131
	v_add_f32_e32 v131, v129, v141
	v_mul_f32_e32 v141, v1, v147
	v_fmac_f32_e32 v138, v8, v146
	s_waitcnt vmcnt(22)
	v_mul_f32_e32 v142, v3, v148
	v_mul_f32_e32 v146, v4, v148
	v_add_f32_e32 v131, v131, v154
	v_fmac_f32_e32 v141, v2, v145
	v_fma_f32 v145, v1, v145, -v11
	v_fmac_f32_e32 v142, v4, v144
	v_fma_f32 v144, v3, v144, -v146
	v_add_f32_e32 v1, v131, v155
	ds_read_b128 v[5:8], v122 offset:816
	ds_read_b128 v[127:130], v122 offset:832
	v_add_f32_e32 v136, v136, v140
	s_waitcnt vmcnt(21) lgkmcnt(2)
	v_mul_f32_e32 v139, v124, v149
	v_mul_f32_e32 v147, v123, v149
	v_add_f32_e32 v146, v1, v164
	s_waitcnt vmcnt(20)
	v_mul_f32_e32 v148, v126, v150
	v_add_f32_e32 v136, v136, v145
	v_fma_f32 v123, v123, v143, -v139
	v_fmac_f32_e32 v147, v124, v143
	v_add_f32_e32 v135, v146, v135
	v_mul_f32_e32 v146, v125, v150
	v_add_f32_e32 v136, v136, v144
	ds_read_b128 v[131:134], v122 offset:848
	ds_read_b128 v[1:4], v122 offset:864
	v_add_f32_e32 v135, v135, v137
	ds_read_b64 v[10:11], v122 offset:880
	v_add_f32_e32 v123, v136, v123
	v_add_f32_e32 v135, v135, v138
	s_waitcnt vmcnt(19) lgkmcnt(4)
	v_mul_f32_e32 v137, v5, v151
	v_mul_f32_e32 v143, v6, v151
	s_waitcnt vmcnt(8)
	v_fma_f32 v125, v125, v167, -v148
	v_fmac_f32_e32 v146, v126, v167
	v_add_f32_e32 v135, v135, v141
	v_fmac_f32_e32 v137, v6, v166
	v_fma_f32 v5, v5, v166, -v143
	v_add_f32_e32 v6, v123, v125
	v_mul_f32_e32 v140, v7, v152
	v_add_f32_e32 v135, v135, v142
	s_waitcnt lgkmcnt(3)
	v_mul_f32_e32 v125, v128, v153
	v_mul_f32_e32 v149, v127, v153
	v_add_f32_e32 v5, v6, v5
	v_fmac_f32_e32 v140, v8, v163
	v_add_f32_e32 v126, v135, v147
	v_mul_f32_e32 v135, v8, v152
	v_mul_f32_e32 v8, v130, v156
	;; [unrolled: 1-line block ×3, first 2 shown]
	v_fmac_f32_e32 v149, v128, v162
	v_add_f32_e32 v123, v126, v146
	v_fma_f32 v7, v7, v163, -v135
	s_waitcnt vmcnt(3)
	v_fma_f32 v8, v129, v171, -v8
	s_waitcnt lgkmcnt(2)
	v_mul_f32_e32 v145, v131, v157
	v_fmac_f32_e32 v138, v130, v171
	v_add_f32_e32 v6, v123, v137
	v_fma_f32 v123, v127, v162, -v125
	v_add_f32_e32 v5, v5, v7
	v_mul_f32_e32 v7, v132, v157
	v_mul_f32_e32 v124, v133, v158
	v_add_f32_e32 v6, v6, v140
	v_fmac_f32_e32 v145, v132, v170
	v_add_f32_e32 v5, v5, v123
	v_mul_f32_e32 v123, v134, v158
	v_fma_f32 v7, v131, v170, -v7
	v_add_f32_e32 v6, v6, v149
	s_waitcnt lgkmcnt(1)
	v_mul_f32_e32 v139, v1, v160
	v_add_f32_e32 v5, v5, v8
	v_mul_f32_e32 v8, v2, v160
	v_fma_f32 v123, v133, v169, -v123
	v_add_f32_e32 v6, v6, v138
	v_fmac_f32_e32 v124, v134, v169
	v_add_f32_e32 v5, v5, v7
	v_mul_f32_e32 v7, v4, v161
	v_fmac_f32_e32 v139, v2, v165
	v_add_f32_e32 v6, v6, v145
	v_fma_f32 v1, v1, v165, -v8
	v_add_f32_e32 v2, v5, v123
	v_mul_f32_e32 v141, v3, v161
	s_waitcnt vmcnt(1)
	v_fma_f32 v3, v3, v173, -v7
	v_add_f32_e32 v5, v6, v124
	s_waitcnt lgkmcnt(0)
	v_mul_f32_e32 v6, v11, v168
	v_add_f32_e32 v1, v2, v1
	v_mul_f32_e32 v142, v10, v168
	v_fmac_f32_e32 v141, v4, v173
	v_add_f32_e32 v2, v5, v139
	v_fma_f32 v4, v10, v172, -v6
	v_add_f32_e32 v1, v1, v3
	v_fmac_f32_e32 v142, v11, v172
	v_add_f32_e32 v2, v2, v141
	v_add_f32_e32 v1, v1, v4
	;; [unrolled: 1-line block ×3, first 2 shown]
	s_waitcnt vmcnt(0)
	v_sub_f32_e32 v1, v174, v1
	v_sub_f32_e32 v2, v159, v2
	buffer_store_dword v1, off, s[0:3], 0 offset:8
	buffer_store_dword v2, off, s[0:3], 0 offset:12
	v_cmpx_ne_u32_e32 0, v0
	s_cbranch_execz .LBB118_343
; %bb.342:
	s_clause 0x1
	buffer_load_dword v0, off, s[0:3], 0
	buffer_load_dword v1, off, s[0:3], 0 offset:4
	buffer_store_dword v122, off, s[0:3], 0
	buffer_store_dword v122, off, s[0:3], 0 offset:4
	s_waitcnt vmcnt(0)
	ds_write_b64 v9, v[0:1]
.LBB118_343:
	s_or_b32 exec_lo, exec_lo, s4
	s_waitcnt lgkmcnt(0)
	s_waitcnt_vscnt null, 0x0
	s_barrier
	buffer_gl0_inv
	s_clause 0x2c
	buffer_load_dword v0, off, s[0:3], 0 offset:12
	buffer_load_dword v123, off, s[0:3], 0 offset:24
	;; [unrolled: 1-line block ×45, first 2 shown]
	ds_read2_b64 v[8:11], v122 offset0:57 offset1:58
	ds_read2_b64 v[4:7], v122 offset0:59 offset1:60
	buffer_load_dword v168, off, s[0:3], 0 offset:4
	s_and_b32 vcc_lo, exec_lo, s16
	s_waitcnt vmcnt(45) lgkmcnt(1)
	v_mul_f32_e32 v161, v8, v0
	v_mul_f32_e32 v169, v9, v0
	ds_read2_b64 v[0:3], v122 offset0:61 offset1:62
	s_waitcnt vmcnt(42)
	v_fmac_f32_e32 v161, v9, v131
	v_fma_f32 v131, v8, v131, -v169
	s_waitcnt vmcnt(41)
	v_mul_f32_e32 v169, v10, v130
	v_mul_f32_e32 v8, v11, v130
	s_waitcnt vmcnt(40) lgkmcnt(1)
	v_mul_f32_e32 v130, v4, v128
	v_mul_f32_e32 v128, v5, v128
	v_fmac_f32_e32 v169, v11, v126
	v_fma_f32 v126, v10, v126, -v8
	ds_read2_b64 v[8:11], v122 offset0:63 offset1:64
	v_fmac_f32_e32 v130, v5, v123
	v_fma_f32 v123, v4, v123, -v128
	s_waitcnt vmcnt(39)
	v_mul_f32_e32 v128, v6, v125
	v_mul_f32_e32 v4, v7, v125
	s_waitcnt vmcnt(35)
	v_fmac_f32_e32 v128, v7, v135
	v_fma_f32 v125, v6, v135, -v4
	ds_read2_b64 v[4:7], v122 offset0:65 offset1:66
	s_waitcnt vmcnt(34) lgkmcnt(2)
	v_mul_f32_e32 v135, v0, v134
	v_mul_f32_e32 v134, v1, v134
	v_fmac_f32_e32 v135, v1, v132
	v_fma_f32 v132, v0, v132, -v134
	s_waitcnt vmcnt(33)
	v_mul_f32_e32 v134, v2, v133
	v_mul_f32_e32 v0, v3, v133
	s_waitcnt vmcnt(32) lgkmcnt(1)
	v_mul_f32_e32 v133, v8, v129
	v_mul_f32_e32 v129, v9, v129
	v_fmac_f32_e32 v134, v3, v127
	v_fma_f32 v127, v2, v127, -v0
	ds_read2_b64 v[0:3], v122 offset0:67 offset1:68
	v_fmac_f32_e32 v133, v9, v124
	v_fma_f32 v124, v8, v124, -v129
	s_waitcnt vmcnt(31)
	v_mul_f32_e32 v129, v10, v136
	v_mul_f32_e32 v8, v11, v136
	s_waitcnt vmcnt(27)
	v_fmac_f32_e32 v129, v11, v144
	v_fma_f32 v136, v10, v144, -v8
	s_waitcnt vmcnt(26) lgkmcnt(1)
	v_mul_f32_e32 v144, v4, v143
	v_mul_f32_e32 v143, v5, v143
	ds_read2_b64 v[8:11], v122 offset0:69 offset1:70
	v_fmac_f32_e32 v144, v5, v140
	v_fma_f32 v140, v4, v140, -v143
	s_waitcnt vmcnt(25)
	v_mul_f32_e32 v143, v6, v141
	v_mul_f32_e32 v4, v7, v141
	s_waitcnt vmcnt(24) lgkmcnt(1)
	v_mul_f32_e32 v141, v0, v139
	v_mul_f32_e32 v139, v1, v139
	v_fmac_f32_e32 v143, v7, v138
	v_fma_f32 v138, v6, v138, -v4
	ds_read2_b64 v[4:7], v122 offset0:71 offset1:72
	v_fmac_f32_e32 v141, v1, v137
	v_fma_f32 v137, v0, v137, -v139
	s_waitcnt vmcnt(23)
	v_mul_f32_e32 v139, v2, v142
	v_mul_f32_e32 v0, v3, v142
	s_waitcnt vmcnt(19)
	v_fmac_f32_e32 v139, v3, v152
	v_fma_f32 v142, v2, v152, -v0
	s_waitcnt vmcnt(18) lgkmcnt(1)
	v_mul_f32_e32 v152, v8, v151
	v_mul_f32_e32 v151, v9, v151
	ds_read2_b64 v[0:3], v122 offset0:73 offset1:74
	v_fmac_f32_e32 v152, v9, v148
	v_fma_f32 v148, v8, v148, -v151
	s_waitcnt vmcnt(17)
	v_mul_f32_e32 v151, v10, v149
	v_mul_f32_e32 v8, v11, v149
	s_waitcnt vmcnt(16) lgkmcnt(1)
	v_mul_f32_e32 v149, v4, v147
	v_mul_f32_e32 v147, v5, v147
	v_fmac_f32_e32 v151, v11, v146
	v_fma_f32 v146, v10, v146, -v8
	ds_read2_b64 v[8:11], v122 offset0:75 offset1:76
	v_fmac_f32_e32 v149, v5, v145
	v_fma_f32 v145, v4, v145, -v147
	s_waitcnt vmcnt(15)
	v_mul_f32_e32 v147, v6, v150
	v_mul_f32_e32 v4, v7, v150
	s_waitcnt vmcnt(11)
	v_fmac_f32_e32 v147, v7, v159
	v_fma_f32 v150, v6, v159, -v4
	ds_read2_b64 v[4:7], v122 offset0:77 offset1:78
	s_waitcnt vmcnt(10) lgkmcnt(2)
	v_mul_f32_e32 v159, v0, v158
	v_mul_f32_e32 v158, v1, v158
	v_fmac_f32_e32 v159, v1, v156
	v_fma_f32 v156, v0, v156, -v158
	s_waitcnt vmcnt(9)
	v_mul_f32_e32 v158, v2, v157
	v_mul_f32_e32 v0, v3, v157
	s_waitcnt vmcnt(8) lgkmcnt(1)
	v_mul_f32_e32 v157, v8, v155
	s_waitcnt vmcnt(7)
	v_mul_f32_e32 v1, v11, v160
	v_fmac_f32_e32 v158, v3, v154
	v_fma_f32 v154, v2, v154, -v0
	v_mul_f32_e32 v0, v9, v155
	v_mul_f32_e32 v155, v10, v160
	buffer_load_dword v160, off, s[0:3], 0 offset:188
	v_fmac_f32_e32 v157, v9, v153
	s_waitcnt vmcnt(4)
	v_fma_f32 v9, v10, v167, -v1
	v_fma_f32 v8, v8, v153, -v0
	v_fmac_f32_e32 v155, v11, v167
	ds_read2_b64 v[0:3], v122 offset0:79 offset1:80
	s_waitcnt vmcnt(3) lgkmcnt(1)
	v_mul_f32_e32 v10, v4, v166
	v_mul_f32_e32 v11, v5, v166
	buffer_load_dword v166, off, s[0:3], 0 offset:196
	s_waitcnt vmcnt(3)
	v_mul_f32_e32 v153, v6, v165
	v_mul_f32_e32 v165, v7, v165
	v_fmac_f32_e32 v10, v5, v164
	v_fma_f32 v11, v4, v164, -v11
	v_fmac_f32_e32 v153, v7, v163
	v_fma_f32 v163, v6, v163, -v165
	s_clause 0x4
	buffer_load_dword v164, off, s[0:3], 0 offset:216
	buffer_load_dword v165, off, s[0:3], 0 offset:208
	;; [unrolled: 1-line block ×5, first 2 shown]
	s_waitcnt vmcnt(6) lgkmcnt(0)
	v_mul_f32_e32 v171, v0, v160
	v_mul_f32_e32 v5, v1, v160
	v_fmac_f32_e32 v171, v1, v162
	v_fma_f32 v162, v0, v162, -v5
	s_waitcnt vmcnt(5)
	v_mul_f32_e32 v160, v2, v166
	v_mul_f32_e32 v6, v3, v166
	s_waitcnt vmcnt(1)
	v_fmac_f32_e32 v160, v3, v4
	v_fma_f32 v166, v2, v4, -v6
	ds_read2_b64 v[0:3], v122 offset0:81 offset1:82
	ds_read2_b64 v[4:7], v122 offset0:83 offset1:84
	s_waitcnt vmcnt(0) lgkmcnt(1)
	v_mul_f32_e32 v172, v0, v170
	v_mul_f32_e32 v170, v1, v170
	v_fmac_f32_e32 v172, v1, v167
	v_fma_f32 v167, v0, v167, -v170
	buffer_load_dword v0, off, s[0:3], 0 offset:212
	s_waitcnt vmcnt(0)
	v_mul_f32_e32 v170, v2, v0
	v_mul_f32_e32 v0, v3, v0
	v_fmac_f32_e32 v170, v3, v165
	v_fma_f32 v165, v2, v165, -v0
	buffer_load_dword v0, off, s[0:3], 0 offset:220
	s_waitcnt vmcnt(0) lgkmcnt(0)
	v_mul_f32_e32 v173, v4, v0
	v_mul_f32_e32 v0, v5, v0
	v_fmac_f32_e32 v173, v5, v164
	v_fma_f32 v164, v4, v164, -v0
	s_clause 0x5
	buffer_load_dword v0, off, s[0:3], 0 offset:228
	buffer_load_dword v174, off, s[0:3], 0 offset:248
	;; [unrolled: 1-line block ×6, first 2 shown]
	s_waitcnt vmcnt(5)
	v_mul_f32_e32 v177, v6, v0
	v_mul_f32_e32 v0, v7, v0
	s_waitcnt vmcnt(1)
	v_fmac_f32_e32 v177, v7, v1
	v_fma_f32 v178, v6, v1, -v0
	ds_read2_b64 v[0:3], v122 offset0:85 offset1:86
	ds_read2_b64 v[4:7], v122 offset0:87 offset1:88
	s_waitcnt vmcnt(0) lgkmcnt(1)
	v_mul_f32_e32 v180, v0, v179
	v_mul_f32_e32 v179, v1, v179
	v_fmac_f32_e32 v180, v1, v176
	v_fma_f32 v176, v0, v176, -v179
	buffer_load_dword v0, off, s[0:3], 0 offset:244
	v_add_f32_e32 v1, 0, v131
	v_add_f32_e32 v1, v1, v126
	;; [unrolled: 1-line block ×14, first 2 shown]
	s_waitcnt vmcnt(0)
	v_mul_f32_e32 v179, v2, v0
	v_mul_f32_e32 v0, v3, v0
	v_fmac_f32_e32 v179, v3, v175
	v_fma_f32 v175, v2, v175, -v0
	s_clause 0x5
	buffer_load_dword v2, off, s[0:3], 0 offset:252
	buffer_load_dword v3, off, s[0:3], 0 offset:260
	;; [unrolled: 1-line block ×6, first 2 shown]
	v_add_f32_e32 v0, 0, v161
	buffer_load_dword v127, off, s[0:3], 0 offset:268
	v_add_f32_e32 v0, v0, v169
	v_add_f32_e32 v0, v0, v130
	buffer_load_dword v130, off, s[0:3], 0 offset:292
	v_add_f32_e32 v0, v0, v128
	buffer_load_dword v128, off, s[0:3], 0 offset:276
	v_add_f32_e32 v0, v0, v135
	v_add_f32_e32 v0, v0, v134
	;; [unrolled: 1-line block ×4, first 2 shown]
	s_clause 0x7
	buffer_load_dword v129, off, s[0:3], 0 offset:284
	buffer_load_dword v131, off, s[0:3], 0 offset:312
	;; [unrolled: 1-line block ×8, first 2 shown]
	v_add_f32_e32 v0, v0, v144
	buffer_load_dword v138, off, s[0:3], 0 offset:324
	v_add_f32_e32 v0, v0, v143
	v_add_f32_e32 v0, v0, v141
	;; [unrolled: 1-line block ×6, first 2 shown]
	s_waitcnt vmcnt(17) lgkmcnt(0)
	v_mul_f32_e32 v139, v4, v2
	v_mul_f32_e32 v2, v5, v2
	s_waitcnt vmcnt(16)
	v_mul_f32_e32 v140, v6, v3
	v_mul_f32_e32 v3, v7, v3
	v_fmac_f32_e32 v139, v5, v174
	v_fma_f32 v141, v4, v174, -v2
	v_add_f32_e32 v4, v1, v145
	v_add_f32_e32 v5, v0, v147
	s_waitcnt vmcnt(12)
	v_fmac_f32_e32 v140, v7, v126
	v_fma_f32 v126, v6, v126, -v3
	ds_read2_b64 v[0:3], v122 offset0:89 offset1:90
	v_add_f32_e32 v4, v4, v150
	s_clause 0x4
	buffer_load_dword v142, off, s[0:3], 0 offset:344
	buffer_load_dword v143, off, s[0:3], 0 offset:336
	;; [unrolled: 1-line block ×5, first 2 shown]
	v_add_f32_e32 v5, v5, v159
	s_clause 0x1
	buffer_load_dword v148, off, s[0:3], 0 offset:340
	buffer_load_dword v149, off, s[0:3], 0 offset:348
	v_add_f32_e32 v4, v4, v156
	v_add_f32_e32 v5, v5, v158
	;; [unrolled: 1-line block ×5, first 2 shown]
	ds_read2_b64 v[4:7], v122 offset0:91 offset1:92
	v_add_f32_e32 v147, v147, v155
	s_waitcnt vmcnt(18) lgkmcnt(1)
	v_mul_f32_e32 v150, v0, v127
	v_mul_f32_e32 v127, v1, v127
	v_add_f32_e32 v8, v8, v9
	s_waitcnt vmcnt(16)
	v_mul_f32_e32 v9, v2, v128
	v_mul_f32_e32 v128, v3, v128
	v_fmac_f32_e32 v150, v1, v125
	v_add_f32_e32 v1, v147, v10
	v_fma_f32 v10, v0, v125, -v127
	v_add_f32_e32 v0, v8, v11
	v_fmac_f32_e32 v9, v3, v124
	v_fma_f32 v124, v2, v124, -v128
	v_add_f32_e32 v1, v1, v153
	s_clause 0x7
	buffer_load_dword v147, off, s[0:3], 0 offset:356
	buffer_load_dword v151, off, s[0:3], 0 offset:364
	;; [unrolled: 1-line block ×8, first 2 shown]
	v_add_f32_e32 v0, v0, v163
	buffer_load_dword v158, off, s[0:3], 0 offset:388
	v_add_f32_e32 v1, v1, v171
	s_waitcnt vmcnt(24) lgkmcnt(0)
	v_mul_f32_e32 v125, v4, v129
	v_add_f32_e32 v0, v0, v162
	v_mul_f32_e32 v2, v5, v129
	v_mul_f32_e32 v128, v6, v130
	v_add_f32_e32 v1, v1, v160
	v_fmac_f32_e32 v125, v5, v123
	v_add_f32_e32 v0, v0, v166
	v_fma_f32 v127, v4, v123, -v2
	s_clause 0x2
	buffer_load_dword v159, off, s[0:3], 0 offset:396
	buffer_load_dword v160, off, s[0:3], 0 offset:404
	;; [unrolled: 1-line block ×3, first 2 shown]
	v_add_f32_e32 v4, v1, v172
	v_mul_f32_e32 v1, v7, v130
	v_add_f32_e32 v5, v0, v167
	s_clause 0x2
	buffer_load_dword v162, off, s[0:3], 0 offset:420
	buffer_load_dword v163, off, s[0:3], 0 offset:428
	;; [unrolled: 1-line block ×3, first 2 shown]
	v_add_f32_e32 v4, v4, v170
	s_waitcnt vmcnt(26)
	v_fma_f32 v129, v6, v134, -v1
	v_add_f32_e32 v5, v5, v165
	ds_read2_b64 v[0:3], v122 offset0:93 offset1:94
	v_fmac_f32_e32 v128, v7, v134
	v_add_f32_e32 v4, v4, v173
	v_add_f32_e32 v5, v5, v164
	s_clause 0x3
	buffer_load_dword v164, off, s[0:3], 0 offset:408
	buffer_load_dword v165, off, s[0:3], 0 offset:400
	;; [unrolled: 1-line block ×4, first 2 shown]
	v_add_f32_e32 v4, v4, v177
	v_add_f32_e32 v8, v5, v178
	v_add_f32_e32 v11, v4, v180
	ds_read2_b64 v[4:7], v122 offset0:95 offset1:96
	v_add_f32_e32 v8, v8, v176
	s_waitcnt vmcnt(29) lgkmcnt(1)
	v_mul_f32_e32 v130, v0, v135
	v_mul_f32_e32 v123, v1, v135
	s_clause 0x2
	buffer_load_dword v135, off, s[0:3], 0 offset:432
	buffer_load_dword v170, off, s[0:3], 0 offset:424
	;; [unrolled: 1-line block ×3, first 2 shown]
	s_waitcnt vmcnt(31)
	v_mul_f32_e32 v134, v2, v136
	v_fmac_f32_e32 v130, v1, v133
	v_fma_f32 v133, v0, v133, -v123
	v_add_f32_e32 v0, v11, v179
	v_add_f32_e32 v1, v8, v175
	v_fmac_f32_e32 v134, v3, v132
	v_add_f32_e32 v0, v0, v139
	buffer_load_dword v139, off, s[0:3], 0
	v_add_f32_e32 v8, v1, v141
	v_mul_f32_e32 v1, v3, v136
	s_waitcnt vmcnt(31) lgkmcnt(0)
	v_mul_f32_e32 v136, v4, v137
	v_add_f32_e32 v11, v0, v140
	v_mul_f32_e32 v123, v5, v137
	v_add_f32_e32 v8, v8, v126
	v_fma_f32 v132, v2, v132, -v1
	ds_read2_b64 v[0:3], v122 offset0:97 offset1:98
	v_add_f32_e32 v11, v11, v150
	v_fmac_f32_e32 v136, v5, v131
	v_add_f32_e32 v126, v8, v10
	v_fma_f32 v141, v4, v131, -v123
	s_waitcnt vmcnt(30)
	v_mul_f32_e32 v137, v6, v138
	v_add_f32_e32 v140, v11, v9
	v_mul_f32_e32 v138, v7, v138
	v_add_f32_e32 v131, v126, v124
	ds_read2_b64 v[8:11], v122 offset0:99 offset1:100
	v_add_f32_e32 v140, v140, v125
	v_add_f32_e32 v127, v131, v127
	;; [unrolled: 1-line block ×4, first 2 shown]
	s_waitcnt vmcnt(26)
	v_fmac_f32_e32 v137, v7, v145
	v_fma_f32 v138, v6, v145, -v138
	s_waitcnt vmcnt(25) lgkmcnt(1)
	v_mul_f32_e32 v145, v0, v146
	v_mul_f32_e32 v131, v1, v146
	s_waitcnt vmcnt(24)
	v_mul_f32_e32 v140, v2, v148
	v_mul_f32_e32 v146, v3, v148
	ds_read2_b64 v[4:7], v122 offset0:101 offset1:102
	ds_read2_b64 v[123:126], v122 offset0:103 offset1:104
	v_fmac_f32_e32 v145, v1, v144
	v_fma_f32 v144, v0, v144, -v131
	v_add_f32_e32 v131, v127, v133
	v_add_f32_e32 v1, v128, v130
	v_fmac_f32_e32 v140, v3, v143
	v_fma_f32 v143, v2, v143, -v146
	v_add_f32_e32 v148, v131, v132
	v_add_f32_e32 v146, v1, v134
	ds_read2_b64 v[0:3], v122 offset0:105 offset1:106
	ds_read2_b64 v[127:130], v122 offset0:107 offset1:108
	;; [unrolled: 1-line block ×3, first 2 shown]
	v_add_f32_e32 v141, v148, v141
	v_add_f32_e32 v122, v146, v136
	s_waitcnt vmcnt(23) lgkmcnt(5)
	v_mul_f32_e32 v146, v9, v149
	v_mul_f32_e32 v136, v8, v149
	s_waitcnt vmcnt(22)
	v_mul_f32_e32 v148, v10, v147
	v_add_f32_e32 v138, v141, v138
	v_add_f32_e32 v122, v122, v137
	v_mul_f32_e32 v147, v11, v147
	v_fma_f32 v8, v8, v142, -v146
	v_fmac_f32_e32 v136, v9, v142
	v_add_f32_e32 v138, v138, v144
	v_add_f32_e32 v122, v122, v145
	s_waitcnt vmcnt(21) lgkmcnt(4)
	v_mul_f32_e32 v137, v4, v151
	v_mul_f32_e32 v145, v5, v151
	s_waitcnt vmcnt(15)
	v_fma_f32 v10, v10, v157, -v147
	v_add_f32_e32 v138, v138, v143
	v_add_f32_e32 v122, v122, v140
	v_fmac_f32_e32 v148, v11, v157
	v_mul_f32_e32 v147, v7, v152
	v_fmac_f32_e32 v137, v5, v156
	v_add_f32_e32 v8, v138, v8
	v_add_f32_e32 v122, v122, v136
	v_fma_f32 v4, v4, v156, -v145
	v_mul_f32_e32 v9, v6, v152
	v_fma_f32 v6, v6, v155, -v147
	v_add_f32_e32 v5, v8, v10
	v_add_f32_e32 v8, v122, v148
	s_waitcnt lgkmcnt(3)
	v_mul_f32_e32 v10, v124, v153
	v_mul_f32_e32 v141, v123, v153
	v_fmac_f32_e32 v9, v7, v155
	v_add_f32_e32 v4, v5, v4
	v_add_f32_e32 v5, v8, v137
	s_waitcnt vmcnt(14)
	v_mul_f32_e32 v7, v126, v158
	v_fma_f32 v8, v123, v154, -v10
	v_mul_f32_e32 v142, v125, v158
	v_add_f32_e32 v4, v4, v6
	v_fmac_f32_e32 v141, v124, v154
	v_add_f32_e32 v5, v5, v9
	s_waitcnt vmcnt(13) lgkmcnt(2)
	v_mul_f32_e32 v144, v0, v159
	v_mul_f32_e32 v6, v1, v159
	s_waitcnt vmcnt(4)
	v_fma_f32 v7, v125, v169, -v7
	v_add_f32_e32 v4, v4, v8
	v_fmac_f32_e32 v142, v126, v169
	v_add_f32_e32 v5, v5, v141
	v_mul_f32_e32 v8, v3, v160
	v_fmac_f32_e32 v144, v1, v167
	v_fma_f32 v0, v0, v167, -v6
	v_add_f32_e32 v1, v4, v7
	v_mul_f32_e32 v11, v2, v160
	v_add_f32_e32 v4, v5, v142
	s_waitcnt lgkmcnt(1)
	v_mul_f32_e32 v5, v128, v161
	v_fma_f32 v2, v2, v165, -v8
	v_add_f32_e32 v0, v1, v0
	v_mul_f32_e32 v146, v127, v161
	v_fmac_f32_e32 v11, v3, v165
	v_add_f32_e32 v1, v4, v144
	v_mul_f32_e32 v3, v130, v162
	v_fma_f32 v4, v127, v164, -v5
	v_add_f32_e32 v0, v0, v2
	v_mul_f32_e32 v140, v129, v162
	v_fmac_f32_e32 v146, v128, v164
	v_add_f32_e32 v1, v1, v11
	s_waitcnt lgkmcnt(0)
	v_mul_f32_e32 v2, v132, v163
	s_waitcnt vmcnt(1)
	v_fma_f32 v3, v129, v171, -v3
	v_add_f32_e32 v0, v0, v4
	v_mul_f32_e32 v143, v131, v163
	v_fmac_f32_e32 v140, v130, v171
	v_add_f32_e32 v1, v1, v146
	v_mul_f32_e32 v4, v134, v166
	v_fma_f32 v2, v131, v170, -v2
	v_add_f32_e32 v0, v0, v3
	v_mul_f32_e32 v136, v133, v166
	v_fmac_f32_e32 v143, v132, v170
	v_add_f32_e32 v1, v1, v140
	v_fma_f32 v3, v133, v135, -v4
	v_add_f32_e32 v0, v0, v2
	v_fmac_f32_e32 v136, v134, v135
	v_add_f32_e32 v1, v1, v143
	v_add_f32_e32 v0, v0, v3
	;; [unrolled: 1-line block ×3, first 2 shown]
	s_waitcnt vmcnt(0)
	v_sub_f32_e32 v0, v139, v0
	v_sub_f32_e32 v1, v168, v1
	buffer_store_dword v0, off, s[0:3], 0
	buffer_store_dword v1, off, s[0:3], 0 offset:4
	s_cbranch_vccz .LBB118_452
; %bb.344:
	v_mov_b32_e32 v0, 0
	global_load_dword v1, v0, s[12:13] offset:212
	s_waitcnt vmcnt(0)
	v_add_nc_u32_e32 v1, -1, v1
	v_cmp_ne_u32_e32 vcc_lo, 53, v1
	s_cbranch_vccz .LBB118_346
; %bb.345:
	v_lshlrev_b32_e32 v1, 3, v1
	s_clause 0x3
	buffer_load_dword v2, v1, s[0:3], 0 offen
	buffer_load_dword v3, v1, s[0:3], 0 offen offset:4
	buffer_load_dword v4, off, s[0:3], 0 offset:424
	buffer_load_dword v5, off, s[0:3], 0 offset:428
	s_waitcnt vmcnt(3)
	buffer_store_dword v2, off, s[0:3], 0 offset:424
	s_waitcnt vmcnt(2)
	buffer_store_dword v3, off, s[0:3], 0 offset:428
	s_waitcnt vmcnt(1)
	buffer_store_dword v4, v1, s[0:3], 0 offen
	s_waitcnt vmcnt(0)
	buffer_store_dword v5, v1, s[0:3], 0 offen offset:4
.LBB118_346:
	global_load_dword v0, v0, s[12:13] offset:208
	s_waitcnt vmcnt(0)
	v_add_nc_u32_e32 v0, -1, v0
	v_cmp_eq_u32_e32 vcc_lo, 52, v0
	s_cbranch_vccnz .LBB118_348
; %bb.347:
	v_lshlrev_b32_e32 v0, 3, v0
	s_clause 0x3
	buffer_load_dword v1, v0, s[0:3], 0 offen
	buffer_load_dword v2, v0, s[0:3], 0 offen offset:4
	buffer_load_dword v3, off, s[0:3], 0 offset:420
	buffer_load_dword v4, off, s[0:3], 0 offset:416
	s_waitcnt vmcnt(3)
	buffer_store_dword v1, off, s[0:3], 0 offset:416
	s_waitcnt vmcnt(2)
	buffer_store_dword v2, off, s[0:3], 0 offset:420
	s_waitcnt vmcnt(1)
	buffer_store_dword v3, v0, s[0:3], 0 offen offset:4
	s_waitcnt vmcnt(0)
	buffer_store_dword v4, v0, s[0:3], 0 offen
.LBB118_348:
	v_mov_b32_e32 v0, 0
	global_load_dword v1, v0, s[12:13] offset:204
	s_waitcnt vmcnt(0)
	v_add_nc_u32_e32 v1, -1, v1
	v_cmp_eq_u32_e32 vcc_lo, 51, v1
	s_cbranch_vccnz .LBB118_350
; %bb.349:
	v_lshlrev_b32_e32 v1, 3, v1
	s_clause 0x3
	buffer_load_dword v2, v1, s[0:3], 0 offen
	buffer_load_dword v3, v1, s[0:3], 0 offen offset:4
	buffer_load_dword v4, off, s[0:3], 0 offset:408
	buffer_load_dword v5, off, s[0:3], 0 offset:412
	s_waitcnt vmcnt(3)
	buffer_store_dword v2, off, s[0:3], 0 offset:408
	s_waitcnt vmcnt(2)
	buffer_store_dword v3, off, s[0:3], 0 offset:412
	s_waitcnt vmcnt(1)
	buffer_store_dword v4, v1, s[0:3], 0 offen
	s_waitcnt vmcnt(0)
	buffer_store_dword v5, v1, s[0:3], 0 offen offset:4
.LBB118_350:
	global_load_dword v0, v0, s[12:13] offset:200
	s_waitcnt vmcnt(0)
	v_add_nc_u32_e32 v0, -1, v0
	v_cmp_eq_u32_e32 vcc_lo, 50, v0
	s_cbranch_vccnz .LBB118_352
; %bb.351:
	v_lshlrev_b32_e32 v0, 3, v0
	s_clause 0x3
	buffer_load_dword v1, v0, s[0:3], 0 offen
	buffer_load_dword v2, v0, s[0:3], 0 offen offset:4
	buffer_load_dword v3, off, s[0:3], 0 offset:404
	buffer_load_dword v4, off, s[0:3], 0 offset:400
	s_waitcnt vmcnt(3)
	buffer_store_dword v1, off, s[0:3], 0 offset:400
	s_waitcnt vmcnt(2)
	buffer_store_dword v2, off, s[0:3], 0 offset:404
	s_waitcnt vmcnt(1)
	buffer_store_dword v3, v0, s[0:3], 0 offen offset:4
	s_waitcnt vmcnt(0)
	buffer_store_dword v4, v0, s[0:3], 0 offen
.LBB118_352:
	v_mov_b32_e32 v0, 0
	global_load_dword v1, v0, s[12:13] offset:196
	s_waitcnt vmcnt(0)
	v_add_nc_u32_e32 v1, -1, v1
	v_cmp_eq_u32_e32 vcc_lo, 49, v1
	s_cbranch_vccnz .LBB118_354
; %bb.353:
	v_lshlrev_b32_e32 v1, 3, v1
	s_clause 0x3
	buffer_load_dword v2, v1, s[0:3], 0 offen
	buffer_load_dword v3, v1, s[0:3], 0 offen offset:4
	buffer_load_dword v4, off, s[0:3], 0 offset:392
	buffer_load_dword v5, off, s[0:3], 0 offset:396
	s_waitcnt vmcnt(3)
	buffer_store_dword v2, off, s[0:3], 0 offset:392
	s_waitcnt vmcnt(2)
	buffer_store_dword v3, off, s[0:3], 0 offset:396
	s_waitcnt vmcnt(1)
	buffer_store_dword v4, v1, s[0:3], 0 offen
	s_waitcnt vmcnt(0)
	buffer_store_dword v5, v1, s[0:3], 0 offen offset:4
.LBB118_354:
	;; [unrolled: 43-line block ×26, first 2 shown]
	global_load_dword v0, v0, s[12:13]
	s_waitcnt vmcnt(0)
	v_add_nc_u32_e32 v0, -1, v0
	v_cmp_eq_u32_e32 vcc_lo, 0, v0
	s_cbranch_vccnz .LBB118_452
; %bb.451:
	v_lshlrev_b32_e32 v0, 3, v0
	s_clause 0x3
	buffer_load_dword v1, v0, s[0:3], 0 offen
	buffer_load_dword v2, v0, s[0:3], 0 offen offset:4
	buffer_load_dword v3, off, s[0:3], 0 offset:4
	buffer_load_dword v4, off, s[0:3], 0
	s_waitcnt vmcnt(3)
	buffer_store_dword v1, off, s[0:3], 0
	s_waitcnt vmcnt(2)
	buffer_store_dword v2, off, s[0:3], 0 offset:4
	s_waitcnt vmcnt(1)
	buffer_store_dword v3, v0, s[0:3], 0 offen offset:4
	s_waitcnt vmcnt(0)
	buffer_store_dword v4, v0, s[0:3], 0 offen
.LBB118_452:
	s_clause 0x1
	buffer_load_dword v0, off, s[0:3], 0
	buffer_load_dword v1, off, s[0:3], 0 offset:4
	s_waitcnt vmcnt(0)
	flat_store_dwordx2 v[12:13], v[0:1]
	s_clause 0x1
	buffer_load_dword v0, off, s[0:3], 0 offset:8
	buffer_load_dword v1, off, s[0:3], 0 offset:12
	s_waitcnt vmcnt(0)
	flat_store_dwordx2 v[14:15], v[0:1]
	s_clause 0x1
	buffer_load_dword v0, off, s[0:3], 0 offset:16
	buffer_load_dword v1, off, s[0:3], 0 offset:20
	s_waitcnt vmcnt(0)
	flat_store_dwordx2 v[16:17], v[0:1]
	s_clause 0x1
	buffer_load_dword v0, off, s[0:3], 0 offset:24
	buffer_load_dword v1, off, s[0:3], 0 offset:28
	s_waitcnt vmcnt(0)
	flat_store_dwordx2 v[18:19], v[0:1]
	s_clause 0x1
	buffer_load_dword v0, off, s[0:3], 0 offset:32
	buffer_load_dword v1, off, s[0:3], 0 offset:36
	s_waitcnt vmcnt(0)
	flat_store_dwordx2 v[20:21], v[0:1]
	s_clause 0x1
	buffer_load_dword v0, off, s[0:3], 0 offset:40
	buffer_load_dword v1, off, s[0:3], 0 offset:44
	s_waitcnt vmcnt(0)
	flat_store_dwordx2 v[22:23], v[0:1]
	s_clause 0x1
	buffer_load_dword v0, off, s[0:3], 0 offset:48
	buffer_load_dword v1, off, s[0:3], 0 offset:52
	s_waitcnt vmcnt(0)
	flat_store_dwordx2 v[24:25], v[0:1]
	s_clause 0x1
	buffer_load_dword v0, off, s[0:3], 0 offset:56
	buffer_load_dword v1, off, s[0:3], 0 offset:60
	s_waitcnt vmcnt(0)
	flat_store_dwordx2 v[26:27], v[0:1]
	s_clause 0x1
	buffer_load_dword v0, off, s[0:3], 0 offset:64
	buffer_load_dword v1, off, s[0:3], 0 offset:68
	s_waitcnt vmcnt(0)
	flat_store_dwordx2 v[28:29], v[0:1]
	s_clause 0x1
	buffer_load_dword v0, off, s[0:3], 0 offset:72
	buffer_load_dword v1, off, s[0:3], 0 offset:76
	s_waitcnt vmcnt(0)
	flat_store_dwordx2 v[30:31], v[0:1]
	s_clause 0x1
	buffer_load_dword v0, off, s[0:3], 0 offset:80
	buffer_load_dword v1, off, s[0:3], 0 offset:84
	s_waitcnt vmcnt(0)
	flat_store_dwordx2 v[32:33], v[0:1]
	s_clause 0x1
	buffer_load_dword v0, off, s[0:3], 0 offset:88
	buffer_load_dword v1, off, s[0:3], 0 offset:92
	s_waitcnt vmcnt(0)
	flat_store_dwordx2 v[34:35], v[0:1]
	s_clause 0x1
	buffer_load_dword v0, off, s[0:3], 0 offset:96
	buffer_load_dword v1, off, s[0:3], 0 offset:100
	s_waitcnt vmcnt(0)
	flat_store_dwordx2 v[36:37], v[0:1]
	s_clause 0x1
	buffer_load_dword v0, off, s[0:3], 0 offset:104
	buffer_load_dword v1, off, s[0:3], 0 offset:108
	s_waitcnt vmcnt(0)
	flat_store_dwordx2 v[38:39], v[0:1]
	s_clause 0x1
	buffer_load_dword v0, off, s[0:3], 0 offset:112
	buffer_load_dword v1, off, s[0:3], 0 offset:116
	s_waitcnt vmcnt(0)
	flat_store_dwordx2 v[40:41], v[0:1]
	s_clause 0x1
	buffer_load_dword v0, off, s[0:3], 0 offset:120
	buffer_load_dword v1, off, s[0:3], 0 offset:124
	s_waitcnt vmcnt(0)
	flat_store_dwordx2 v[42:43], v[0:1]
	s_clause 0x1
	buffer_load_dword v0, off, s[0:3], 0 offset:128
	buffer_load_dword v1, off, s[0:3], 0 offset:132
	s_waitcnt vmcnt(0)
	flat_store_dwordx2 v[44:45], v[0:1]
	s_clause 0x1
	buffer_load_dword v0, off, s[0:3], 0 offset:136
	buffer_load_dword v1, off, s[0:3], 0 offset:140
	s_waitcnt vmcnt(0)
	flat_store_dwordx2 v[46:47], v[0:1]
	s_clause 0x1
	buffer_load_dword v0, off, s[0:3], 0 offset:144
	buffer_load_dword v1, off, s[0:3], 0 offset:148
	s_waitcnt vmcnt(0)
	flat_store_dwordx2 v[48:49], v[0:1]
	s_clause 0x1
	buffer_load_dword v0, off, s[0:3], 0 offset:152
	buffer_load_dword v1, off, s[0:3], 0 offset:156
	s_waitcnt vmcnt(0)
	flat_store_dwordx2 v[50:51], v[0:1]
	s_clause 0x1
	buffer_load_dword v0, off, s[0:3], 0 offset:160
	buffer_load_dword v1, off, s[0:3], 0 offset:164
	s_waitcnt vmcnt(0)
	flat_store_dwordx2 v[52:53], v[0:1]
	s_clause 0x1
	buffer_load_dword v0, off, s[0:3], 0 offset:168
	buffer_load_dword v1, off, s[0:3], 0 offset:172
	s_waitcnt vmcnt(0)
	flat_store_dwordx2 v[54:55], v[0:1]
	s_clause 0x1
	buffer_load_dword v0, off, s[0:3], 0 offset:176
	buffer_load_dword v1, off, s[0:3], 0 offset:180
	s_waitcnt vmcnt(0)
	flat_store_dwordx2 v[56:57], v[0:1]
	s_clause 0x1
	buffer_load_dword v0, off, s[0:3], 0 offset:184
	buffer_load_dword v1, off, s[0:3], 0 offset:188
	s_waitcnt vmcnt(0)
	flat_store_dwordx2 v[58:59], v[0:1]
	s_clause 0x1
	buffer_load_dword v0, off, s[0:3], 0 offset:192
	buffer_load_dword v1, off, s[0:3], 0 offset:196
	s_waitcnt vmcnt(0)
	flat_store_dwordx2 v[60:61], v[0:1]
	s_clause 0x1
	buffer_load_dword v0, off, s[0:3], 0 offset:200
	buffer_load_dword v1, off, s[0:3], 0 offset:204
	s_waitcnt vmcnt(0)
	flat_store_dwordx2 v[62:63], v[0:1]
	s_clause 0x1
	buffer_load_dword v0, off, s[0:3], 0 offset:208
	buffer_load_dword v1, off, s[0:3], 0 offset:212
	s_waitcnt vmcnt(0)
	flat_store_dwordx2 v[64:65], v[0:1]
	s_clause 0x1
	buffer_load_dword v0, off, s[0:3], 0 offset:216
	buffer_load_dword v1, off, s[0:3], 0 offset:220
	s_waitcnt vmcnt(0)
	flat_store_dwordx2 v[66:67], v[0:1]
	s_clause 0x1
	buffer_load_dword v0, off, s[0:3], 0 offset:224
	buffer_load_dword v1, off, s[0:3], 0 offset:228
	s_waitcnt vmcnt(0)
	flat_store_dwordx2 v[68:69], v[0:1]
	s_clause 0x1
	buffer_load_dword v0, off, s[0:3], 0 offset:232
	buffer_load_dword v1, off, s[0:3], 0 offset:236
	s_waitcnt vmcnt(0)
	flat_store_dwordx2 v[70:71], v[0:1]
	s_clause 0x1
	buffer_load_dword v0, off, s[0:3], 0 offset:240
	buffer_load_dword v1, off, s[0:3], 0 offset:244
	s_waitcnt vmcnt(0)
	flat_store_dwordx2 v[72:73], v[0:1]
	s_clause 0x1
	buffer_load_dword v0, off, s[0:3], 0 offset:248
	buffer_load_dword v1, off, s[0:3], 0 offset:252
	s_waitcnt vmcnt(0)
	flat_store_dwordx2 v[74:75], v[0:1]
	s_clause 0x1
	buffer_load_dword v0, off, s[0:3], 0 offset:256
	buffer_load_dword v1, off, s[0:3], 0 offset:260
	s_waitcnt vmcnt(0)
	flat_store_dwordx2 v[76:77], v[0:1]
	s_clause 0x1
	buffer_load_dword v0, off, s[0:3], 0 offset:264
	buffer_load_dword v1, off, s[0:3], 0 offset:268
	s_waitcnt vmcnt(0)
	flat_store_dwordx2 v[78:79], v[0:1]
	s_clause 0x1
	buffer_load_dword v0, off, s[0:3], 0 offset:272
	buffer_load_dword v1, off, s[0:3], 0 offset:276
	s_waitcnt vmcnt(0)
	flat_store_dwordx2 v[80:81], v[0:1]
	s_clause 0x1
	buffer_load_dword v0, off, s[0:3], 0 offset:280
	buffer_load_dword v1, off, s[0:3], 0 offset:284
	s_waitcnt vmcnt(0)
	flat_store_dwordx2 v[82:83], v[0:1]
	s_clause 0x1
	buffer_load_dword v0, off, s[0:3], 0 offset:288
	buffer_load_dword v1, off, s[0:3], 0 offset:292
	s_waitcnt vmcnt(0)
	flat_store_dwordx2 v[84:85], v[0:1]
	s_clause 0x1
	buffer_load_dword v0, off, s[0:3], 0 offset:296
	buffer_load_dword v1, off, s[0:3], 0 offset:300
	s_waitcnt vmcnt(0)
	flat_store_dwordx2 v[86:87], v[0:1]
	s_clause 0x1
	buffer_load_dword v0, off, s[0:3], 0 offset:304
	buffer_load_dword v1, off, s[0:3], 0 offset:308
	s_waitcnt vmcnt(0)
	flat_store_dwordx2 v[88:89], v[0:1]
	s_clause 0x1
	buffer_load_dword v0, off, s[0:3], 0 offset:312
	buffer_load_dword v1, off, s[0:3], 0 offset:316
	s_waitcnt vmcnt(0)
	flat_store_dwordx2 v[90:91], v[0:1]
	s_clause 0x1
	buffer_load_dword v0, off, s[0:3], 0 offset:320
	buffer_load_dword v1, off, s[0:3], 0 offset:324
	s_waitcnt vmcnt(0)
	flat_store_dwordx2 v[92:93], v[0:1]
	s_clause 0x1
	buffer_load_dword v0, off, s[0:3], 0 offset:328
	buffer_load_dword v1, off, s[0:3], 0 offset:332
	s_waitcnt vmcnt(0)
	flat_store_dwordx2 v[94:95], v[0:1]
	s_clause 0x1
	buffer_load_dword v0, off, s[0:3], 0 offset:336
	buffer_load_dword v1, off, s[0:3], 0 offset:340
	s_waitcnt vmcnt(0)
	flat_store_dwordx2 v[96:97], v[0:1]
	s_clause 0x1
	buffer_load_dword v0, off, s[0:3], 0 offset:344
	buffer_load_dword v1, off, s[0:3], 0 offset:348
	s_waitcnt vmcnt(0)
	flat_store_dwordx2 v[98:99], v[0:1]
	s_clause 0x1
	buffer_load_dword v0, off, s[0:3], 0 offset:352
	buffer_load_dword v1, off, s[0:3], 0 offset:356
	s_waitcnt vmcnt(0)
	flat_store_dwordx2 v[100:101], v[0:1]
	s_clause 0x1
	buffer_load_dword v0, off, s[0:3], 0 offset:360
	buffer_load_dword v1, off, s[0:3], 0 offset:364
	s_waitcnt vmcnt(0)
	flat_store_dwordx2 v[102:103], v[0:1]
	s_clause 0x1
	buffer_load_dword v0, off, s[0:3], 0 offset:368
	buffer_load_dword v1, off, s[0:3], 0 offset:372
	s_waitcnt vmcnt(0)
	flat_store_dwordx2 v[104:105], v[0:1]
	s_clause 0x1
	buffer_load_dword v0, off, s[0:3], 0 offset:376
	buffer_load_dword v1, off, s[0:3], 0 offset:380
	s_waitcnt vmcnt(0)
	flat_store_dwordx2 v[106:107], v[0:1]
	s_clause 0x1
	buffer_load_dword v0, off, s[0:3], 0 offset:384
	buffer_load_dword v1, off, s[0:3], 0 offset:388
	s_waitcnt vmcnt(0)
	flat_store_dwordx2 v[108:109], v[0:1]
	s_clause 0x1
	buffer_load_dword v0, off, s[0:3], 0 offset:392
	buffer_load_dword v1, off, s[0:3], 0 offset:396
	s_waitcnt vmcnt(0)
	flat_store_dwordx2 v[110:111], v[0:1]
	s_clause 0x1
	buffer_load_dword v0, off, s[0:3], 0 offset:400
	buffer_load_dword v1, off, s[0:3], 0 offset:404
	s_waitcnt vmcnt(0)
	flat_store_dwordx2 v[112:113], v[0:1]
	s_clause 0x1
	buffer_load_dword v0, off, s[0:3], 0 offset:408
	buffer_load_dword v1, off, s[0:3], 0 offset:412
	s_waitcnt vmcnt(0)
	flat_store_dwordx2 v[114:115], v[0:1]
	s_clause 0x1
	buffer_load_dword v0, off, s[0:3], 0 offset:416
	buffer_load_dword v1, off, s[0:3], 0 offset:420
	s_waitcnt vmcnt(0)
	flat_store_dwordx2 v[116:117], v[0:1]
	s_clause 0x1
	buffer_load_dword v0, off, s[0:3], 0 offset:424
	buffer_load_dword v1, off, s[0:3], 0 offset:428
	s_waitcnt vmcnt(0)
	flat_store_dwordx2 v[118:119], v[0:1]
	s_clause 0x1
	buffer_load_dword v0, off, s[0:3], 0 offset:432
	buffer_load_dword v1, off, s[0:3], 0 offset:436
	s_waitcnt vmcnt(0)
	flat_store_dwordx2 v[120:121], v[0:1]
	s_endpgm
	.section	.rodata,"a",@progbits
	.p2align	6, 0x0
	.amdhsa_kernel _ZN9rocsolver6v33100L18getri_kernel_smallILi55E19rocblas_complex_numIfEPKPS3_EEvT1_iilPiilS8_bb
		.amdhsa_group_segment_fixed_size 888
		.amdhsa_private_segment_fixed_size 448
		.amdhsa_kernarg_size 60
		.amdhsa_user_sgpr_count 6
		.amdhsa_user_sgpr_private_segment_buffer 1
		.amdhsa_user_sgpr_dispatch_ptr 0
		.amdhsa_user_sgpr_queue_ptr 0
		.amdhsa_user_sgpr_kernarg_segment_ptr 1
		.amdhsa_user_sgpr_dispatch_id 0
		.amdhsa_user_sgpr_flat_scratch_init 0
		.amdhsa_user_sgpr_private_segment_size 0
		.amdhsa_wavefront_size32 1
		.amdhsa_uses_dynamic_stack 0
		.amdhsa_system_sgpr_private_segment_wavefront_offset 1
		.amdhsa_system_sgpr_workgroup_id_x 1
		.amdhsa_system_sgpr_workgroup_id_y 0
		.amdhsa_system_sgpr_workgroup_id_z 0
		.amdhsa_system_sgpr_workgroup_info 0
		.amdhsa_system_vgpr_workitem_id 0
		.amdhsa_next_free_vgpr 254
		.amdhsa_next_free_sgpr 20
		.amdhsa_reserve_vcc 1
		.amdhsa_reserve_flat_scratch 0
		.amdhsa_float_round_mode_32 0
		.amdhsa_float_round_mode_16_64 0
		.amdhsa_float_denorm_mode_32 3
		.amdhsa_float_denorm_mode_16_64 3
		.amdhsa_dx10_clamp 1
		.amdhsa_ieee_mode 1
		.amdhsa_fp16_overflow 0
		.amdhsa_workgroup_processor_mode 1
		.amdhsa_memory_ordered 1
		.amdhsa_forward_progress 1
		.amdhsa_shared_vgpr_count 0
		.amdhsa_exception_fp_ieee_invalid_op 0
		.amdhsa_exception_fp_denorm_src 0
		.amdhsa_exception_fp_ieee_div_zero 0
		.amdhsa_exception_fp_ieee_overflow 0
		.amdhsa_exception_fp_ieee_underflow 0
		.amdhsa_exception_fp_ieee_inexact 0
		.amdhsa_exception_int_div_zero 0
	.end_amdhsa_kernel
	.section	.text._ZN9rocsolver6v33100L18getri_kernel_smallILi55E19rocblas_complex_numIfEPKPS3_EEvT1_iilPiilS8_bb,"axG",@progbits,_ZN9rocsolver6v33100L18getri_kernel_smallILi55E19rocblas_complex_numIfEPKPS3_EEvT1_iilPiilS8_bb,comdat
.Lfunc_end118:
	.size	_ZN9rocsolver6v33100L18getri_kernel_smallILi55E19rocblas_complex_numIfEPKPS3_EEvT1_iilPiilS8_bb, .Lfunc_end118-_ZN9rocsolver6v33100L18getri_kernel_smallILi55E19rocblas_complex_numIfEPKPS3_EEvT1_iilPiilS8_bb
                                        ; -- End function
	.set _ZN9rocsolver6v33100L18getri_kernel_smallILi55E19rocblas_complex_numIfEPKPS3_EEvT1_iilPiilS8_bb.num_vgpr, 254
	.set _ZN9rocsolver6v33100L18getri_kernel_smallILi55E19rocblas_complex_numIfEPKPS3_EEvT1_iilPiilS8_bb.num_agpr, 0
	.set _ZN9rocsolver6v33100L18getri_kernel_smallILi55E19rocblas_complex_numIfEPKPS3_EEvT1_iilPiilS8_bb.numbered_sgpr, 20
	.set _ZN9rocsolver6v33100L18getri_kernel_smallILi55E19rocblas_complex_numIfEPKPS3_EEvT1_iilPiilS8_bb.num_named_barrier, 0
	.set _ZN9rocsolver6v33100L18getri_kernel_smallILi55E19rocblas_complex_numIfEPKPS3_EEvT1_iilPiilS8_bb.private_seg_size, 448
	.set _ZN9rocsolver6v33100L18getri_kernel_smallILi55E19rocblas_complex_numIfEPKPS3_EEvT1_iilPiilS8_bb.uses_vcc, 1
	.set _ZN9rocsolver6v33100L18getri_kernel_smallILi55E19rocblas_complex_numIfEPKPS3_EEvT1_iilPiilS8_bb.uses_flat_scratch, 0
	.set _ZN9rocsolver6v33100L18getri_kernel_smallILi55E19rocblas_complex_numIfEPKPS3_EEvT1_iilPiilS8_bb.has_dyn_sized_stack, 0
	.set _ZN9rocsolver6v33100L18getri_kernel_smallILi55E19rocblas_complex_numIfEPKPS3_EEvT1_iilPiilS8_bb.has_recursion, 0
	.set _ZN9rocsolver6v33100L18getri_kernel_smallILi55E19rocblas_complex_numIfEPKPS3_EEvT1_iilPiilS8_bb.has_indirect_call, 0
	.section	.AMDGPU.csdata,"",@progbits
; Kernel info:
; codeLenInByte = 113932
; TotalNumSgprs: 22
; NumVgprs: 254
; ScratchSize: 448
; MemoryBound: 0
; FloatMode: 240
; IeeeMode: 1
; LDSByteSize: 888 bytes/workgroup (compile time only)
; SGPRBlocks: 0
; VGPRBlocks: 31
; NumSGPRsForWavesPerEU: 22
; NumVGPRsForWavesPerEU: 254
; Occupancy: 4
; WaveLimiterHint : 1
; COMPUTE_PGM_RSRC2:SCRATCH_EN: 1
; COMPUTE_PGM_RSRC2:USER_SGPR: 6
; COMPUTE_PGM_RSRC2:TRAP_HANDLER: 0
; COMPUTE_PGM_RSRC2:TGID_X_EN: 1
; COMPUTE_PGM_RSRC2:TGID_Y_EN: 0
; COMPUTE_PGM_RSRC2:TGID_Z_EN: 0
; COMPUTE_PGM_RSRC2:TIDIG_COMP_CNT: 0
	.section	.text._ZN9rocsolver6v33100L18getri_kernel_smallILi56E19rocblas_complex_numIfEPKPS3_EEvT1_iilPiilS8_bb,"axG",@progbits,_ZN9rocsolver6v33100L18getri_kernel_smallILi56E19rocblas_complex_numIfEPKPS3_EEvT1_iilPiilS8_bb,comdat
	.globl	_ZN9rocsolver6v33100L18getri_kernel_smallILi56E19rocblas_complex_numIfEPKPS3_EEvT1_iilPiilS8_bb ; -- Begin function _ZN9rocsolver6v33100L18getri_kernel_smallILi56E19rocblas_complex_numIfEPKPS3_EEvT1_iilPiilS8_bb
	.p2align	8
	.type	_ZN9rocsolver6v33100L18getri_kernel_smallILi56E19rocblas_complex_numIfEPKPS3_EEvT1_iilPiilS8_bb,@function
_ZN9rocsolver6v33100L18getri_kernel_smallILi56E19rocblas_complex_numIfEPKPS3_EEvT1_iilPiilS8_bb: ; @_ZN9rocsolver6v33100L18getri_kernel_smallILi56E19rocblas_complex_numIfEPKPS3_EEvT1_iilPiilS8_bb
; %bb.0:
	s_add_u32 s0, s0, s7
	s_addc_u32 s1, s1, 0
	s_mov_b32 s7, exec_lo
	v_cmpx_gt_u32_e32 56, v0
	s_cbranch_execz .LBB119_238
; %bb.1:
	s_clause 0x2
	s_load_dword s17, s[4:5], 0x38
	s_load_dwordx2 s[12:13], s[4:5], 0x0
	s_load_dwordx4 s[8:11], s[4:5], 0x28
	s_waitcnt lgkmcnt(0)
	s_bitcmp1_b32 s17, 8
	s_cselect_b32 s16, -1, 0
	s_ashr_i32 s7, s6, 31
	s_lshl_b64 s[14:15], s[6:7], 3
	s_add_u32 s12, s12, s14
	s_addc_u32 s13, s13, s15
	s_load_dwordx2 s[14:15], s[12:13], 0x0
	s_bfe_u32 s12, s17, 0x10008
	s_cmp_eq_u32 s12, 0
                                        ; implicit-def: $sgpr12_sgpr13
	s_cbranch_scc1 .LBB119_3
; %bb.2:
	s_clause 0x1
	s_load_dword s12, s[4:5], 0x20
	s_load_dwordx2 s[18:19], s[4:5], 0x18
	s_mul_i32 s13, s8, s7
	s_mul_hi_u32 s17, s8, s6
	s_mul_i32 s9, s9, s6
	s_add_i32 s13, s17, s13
	s_mul_i32 s8, s8, s6
	s_add_i32 s9, s13, s9
	s_lshl_b64 s[8:9], s[8:9], 2
	s_waitcnt lgkmcnt(0)
	s_ashr_i32 s13, s12, 31
	s_add_u32 s17, s18, s8
	s_addc_u32 s18, s19, s9
	s_lshl_b64 s[8:9], s[12:13], 2
	s_add_u32 s12, s17, s8
	s_addc_u32 s13, s18, s9
.LBB119_3:
	s_clause 0x1
	s_load_dwordx2 s[8:9], s[4:5], 0x8
	s_load_dword s17, s[4:5], 0x38
	v_lshlrev_b32_e32 v3, 3, v0
	s_waitcnt lgkmcnt(0)
	s_ashr_i32 s5, s8, 31
	s_mov_b32 s4, s8
	v_add3_u32 v4, s9, s9, v0
	s_lshl_b64 s[4:5], s[4:5], 3
	s_add_u32 s4, s14, s4
	s_addc_u32 s5, s15, s5
	v_add_co_u32 v13, s8, s4, v3
	v_add_co_ci_u32_e64 v14, null, s5, 0, s8
	s_mov_b32 s14, s9
	s_ashr_i32 s15, s9, 31
	v_ashrrev_i32_e32 v5, 31, v4
	flat_load_dwordx2 v[1:2], v[13:14]
	s_lshl_b64 s[14:15], s[14:15], 3
	s_bitcmp0_b32 s17, 0
	v_add_co_u32 v15, vcc_lo, v13, s14
	v_add_co_ci_u32_e64 v16, null, s15, v14, vcc_lo
	v_lshlrev_b64 v[5:6], 3, v[4:5]
	v_add_nc_u32_e32 v4, s9, v4
	s_waitcnt vmcnt(0) lgkmcnt(0)
	buffer_store_dword v2, off, s[0:3], 0 offset:4
	buffer_store_dword v1, off, s[0:3], 0
	flat_load_dwordx2 v[1:2], v[15:16]
	v_add_co_u32 v17, vcc_lo, s4, v5
	v_add_co_ci_u32_e64 v18, null, s5, v6, vcc_lo
	v_ashrrev_i32_e32 v5, 31, v4
	s_waitcnt vmcnt(0) lgkmcnt(0)
	buffer_store_dword v2, off, s[0:3], 0 offset:12
	buffer_store_dword v1, off, s[0:3], 0 offset:8
	flat_load_dwordx2 v[1:2], v[17:18]
	v_lshlrev_b64 v[5:6], 3, v[4:5]
	v_add_nc_u32_e32 v4, s9, v4
	s_waitcnt vmcnt(0) lgkmcnt(0)
	buffer_store_dword v2, off, s[0:3], 0 offset:20
	buffer_store_dword v1, off, s[0:3], 0 offset:16
	v_add_co_u32 v19, vcc_lo, s4, v5
	v_add_co_ci_u32_e64 v20, null, s5, v6, vcc_lo
	v_ashrrev_i32_e32 v5, 31, v4
	flat_load_dwordx2 v[1:2], v[19:20]
	s_waitcnt vmcnt(0) lgkmcnt(0)
	buffer_store_dword v2, off, s[0:3], 0 offset:28
	buffer_store_dword v1, off, s[0:3], 0 offset:24
	v_lshlrev_b64 v[5:6], 3, v[4:5]
	v_add_nc_u32_e32 v4, s9, v4
	v_add_co_u32 v21, vcc_lo, s4, v5
	v_add_co_ci_u32_e64 v22, null, s5, v6, vcc_lo
	v_ashrrev_i32_e32 v5, 31, v4
	flat_load_dwordx2 v[1:2], v[21:22]
	s_waitcnt vmcnt(0) lgkmcnt(0)
	buffer_store_dword v2, off, s[0:3], 0 offset:36
	buffer_store_dword v1, off, s[0:3], 0 offset:32
	v_lshlrev_b64 v[5:6], 3, v[4:5]
	v_add_nc_u32_e32 v4, s9, v4
	;; [unrolled: 9-line block ×51, first 2 shown]
	v_add_co_u32 v121, vcc_lo, s4, v5
	v_add_co_ci_u32_e64 v122, null, s5, v6, vcc_lo
	v_ashrrev_i32_e32 v5, 31, v4
	flat_load_dwordx2 v[1:2], v[121:122]
	s_waitcnt vmcnt(0) lgkmcnt(0)
	buffer_store_dword v2, off, s[0:3], 0 offset:436
	buffer_store_dword v1, off, s[0:3], 0 offset:432
	v_lshlrev_b64 v[4:5], 3, v[4:5]
	v_add_co_u32 v123, vcc_lo, s4, v4
	v_add_co_ci_u32_e64 v124, null, s5, v5, vcc_lo
	s_mov_b32 s5, -1
	flat_load_dwordx2 v[1:2], v[123:124]
	s_waitcnt vmcnt(0) lgkmcnt(0)
	buffer_store_dword v2, off, s[0:3], 0 offset:444
	buffer_store_dword v1, off, s[0:3], 0 offset:440
	s_cbranch_scc1 .LBB119_236
; %bb.4:
	v_cmp_eq_u32_e64 s4, 0, v0
	s_and_saveexec_b32 s5, s4
; %bb.5:
	v_mov_b32_e32 v1, 0
	ds_write_b32 v1, v1 offset:896
; %bb.6:
	s_or_b32 exec_lo, exec_lo, s5
	v_lshl_add_u32 v5, v0, 3, 0
	s_waitcnt lgkmcnt(0)
	s_waitcnt_vscnt null, 0x0
	s_barrier
	buffer_gl0_inv
	s_clause 0x1
	buffer_load_dword v1, v5, s[0:3], 0 offen
	buffer_load_dword v2, v5, s[0:3], 0 offen offset:4
	s_waitcnt vmcnt(1)
	v_cmp_eq_f32_e32 vcc_lo, 0, v1
	s_waitcnt vmcnt(0)
	v_cmp_eq_f32_e64 s5, 0, v2
	s_and_b32 s5, vcc_lo, s5
	s_and_saveexec_b32 s8, s5
	s_cbranch_execz .LBB119_10
; %bb.7:
	v_mov_b32_e32 v1, 0
	s_mov_b32 s9, 0
	ds_read_b32 v2, v1 offset:896
	s_waitcnt lgkmcnt(0)
	v_readfirstlane_b32 s5, v2
	v_add_nc_u32_e32 v2, 1, v0
	s_cmp_eq_u32 s5, 0
	v_cmp_gt_i32_e32 vcc_lo, s5, v2
	s_cselect_b32 s14, -1, 0
	s_or_b32 s14, s14, vcc_lo
	s_and_b32 exec_lo, exec_lo, s14
	s_cbranch_execz .LBB119_10
; %bb.8:
	v_mov_b32_e32 v4, s5
.LBB119_9:                              ; =>This Inner Loop Header: Depth=1
	ds_cmpst_rtn_b32 v4, v1, v4, v2 offset:896
	s_waitcnt lgkmcnt(0)
	v_cmp_ne_u32_e32 vcc_lo, 0, v4
	v_cmp_le_i32_e64 s5, v4, v2
	s_and_b32 s5, vcc_lo, s5
	s_and_b32 s5, exec_lo, s5
	s_or_b32 s9, s5, s9
	s_andn2_b32 exec_lo, exec_lo, s9
	s_cbranch_execnz .LBB119_9
.LBB119_10:
	s_or_b32 exec_lo, exec_lo, s8
	v_mov_b32_e32 v1, 0
	s_barrier
	buffer_gl0_inv
	ds_read_b32 v2, v1 offset:896
	s_and_saveexec_b32 s5, s4
	s_cbranch_execz .LBB119_12
; %bb.11:
	s_lshl_b64 s[8:9], s[6:7], 2
	s_add_u32 s8, s10, s8
	s_addc_u32 s9, s11, s9
	s_waitcnt lgkmcnt(0)
	global_store_dword v1, v2, s[8:9]
.LBB119_12:
	s_or_b32 exec_lo, exec_lo, s5
	s_waitcnt lgkmcnt(0)
	v_cmp_ne_u32_e32 vcc_lo, 0, v2
	s_mov_b32 s5, 0
	s_cbranch_vccnz .LBB119_236
; %bb.13:
	s_clause 0x1
	buffer_load_dword v2, v5, s[0:3], 0 offen
	buffer_load_dword v4, v5, s[0:3], 0 offen offset:4
                                        ; implicit-def: $vgpr7
                                        ; implicit-def: $vgpr6
                                        ; implicit-def: $vgpr1
	s_waitcnt vmcnt(0)
	v_cmp_ngt_f32_e64 s5, |v2|, |v4|
	s_and_saveexec_b32 s8, s5
	s_xor_b32 s5, exec_lo, s8
	s_cbranch_execz .LBB119_15
; %bb.14:
	v_div_scale_f32 v1, null, v4, v4, v2
	v_div_scale_f32 v8, vcc_lo, v2, v4, v2
	v_rcp_f32_e32 v6, v1
	v_fma_f32 v7, -v1, v6, 1.0
	v_fmac_f32_e32 v6, v7, v6
	v_mul_f32_e32 v7, v8, v6
	v_fma_f32 v9, -v1, v7, v8
	v_fmac_f32_e32 v7, v9, v6
	v_fma_f32 v1, -v1, v7, v8
	v_div_fmas_f32 v1, v1, v6, v7
	v_div_fixup_f32 v1, v1, v4, v2
	v_fmac_f32_e32 v4, v2, v1
	v_div_scale_f32 v2, null, v4, v4, 1.0
	v_rcp_f32_e32 v6, v2
	v_fma_f32 v7, -v2, v6, 1.0
	v_fmac_f32_e32 v6, v7, v6
	v_div_scale_f32 v7, vcc_lo, 1.0, v4, 1.0
	v_mul_f32_e32 v8, v7, v6
	v_fma_f32 v9, -v2, v8, v7
	v_fmac_f32_e32 v8, v9, v6
	v_fma_f32 v2, -v2, v8, v7
	v_div_fmas_f32 v2, v2, v6, v8
	v_div_fixup_f32 v2, v2, v4, 1.0
                                        ; implicit-def: $vgpr4
	v_mul_f32_e32 v7, v1, v2
	v_xor_b32_e32 v6, 0x80000000, v2
                                        ; implicit-def: $vgpr2
	v_xor_b32_e32 v1, 0x80000000, v7
.LBB119_15:
	s_andn2_saveexec_b32 s5, s5
	s_cbranch_execz .LBB119_17
; %bb.16:
	v_div_scale_f32 v1, null, v2, v2, v4
	v_div_scale_f32 v8, vcc_lo, v4, v2, v4
	v_rcp_f32_e32 v6, v1
	v_fma_f32 v7, -v1, v6, 1.0
	v_fmac_f32_e32 v6, v7, v6
	v_mul_f32_e32 v7, v8, v6
	v_fma_f32 v9, -v1, v7, v8
	v_fmac_f32_e32 v7, v9, v6
	v_fma_f32 v1, -v1, v7, v8
	v_div_fmas_f32 v1, v1, v6, v7
	v_div_fixup_f32 v6, v1, v2, v4
	v_fmac_f32_e32 v2, v4, v6
	v_div_scale_f32 v1, null, v2, v2, 1.0
	v_div_scale_f32 v8, vcc_lo, 1.0, v2, 1.0
	v_rcp_f32_e32 v4, v1
	v_fma_f32 v7, -v1, v4, 1.0
	v_fmac_f32_e32 v4, v7, v4
	v_mul_f32_e32 v7, v8, v4
	v_fma_f32 v9, -v1, v7, v8
	v_fmac_f32_e32 v7, v9, v4
	v_fma_f32 v1, -v1, v7, v8
	v_div_fmas_f32 v1, v1, v4, v7
	v_div_fixup_f32 v7, v1, v2, 1.0
	v_xor_b32_e32 v1, 0x80000000, v7
	v_mul_f32_e64 v6, v6, -v7
.LBB119_17:
	s_or_b32 exec_lo, exec_lo, s5
	buffer_store_dword v7, v5, s[0:3], 0 offen
	buffer_store_dword v6, v5, s[0:3], 0 offen offset:4
	s_clause 0x1
	buffer_load_dword v8, off, s[0:3], 0 offset:12
	buffer_load_dword v7, off, s[0:3], 0 offset:8
	v_xor_b32_e32 v2, 0x80000000, v6
	v_add_nc_u32_e32 v4, 0x1c0, v3
	s_waitcnt vmcnt(0)
	ds_write2_b64 v3, v[1:2], v[7:8] offset1:56
	s_waitcnt lgkmcnt(0)
	s_waitcnt_vscnt null, 0x0
	s_barrier
	buffer_gl0_inv
	s_and_saveexec_b32 s5, s4
	s_cbranch_execz .LBB119_19
; %bb.18:
	s_clause 0x1
	buffer_load_dword v8, v5, s[0:3], 0 offen offset:4
	buffer_load_dword v9, v5, s[0:3], 0 offen
	ds_read_b64 v[1:2], v4
	v_mov_b32_e32 v6, 0
	ds_read_b64 v[6:7], v6 offset:8
	s_waitcnt vmcnt(1) lgkmcnt(1)
	v_mul_f32_e32 v10, v1, v8
	v_mul_f32_e32 v8, v2, v8
	s_waitcnt vmcnt(0)
	v_fmac_f32_e32 v10, v2, v9
	v_fma_f32 v1, v1, v9, -v8
	v_add_f32_e32 v2, 0, v10
	v_add_f32_e32 v1, 0, v1
	s_waitcnt lgkmcnt(0)
	v_mul_f32_e32 v8, v2, v7
	v_mul_f32_e32 v7, v1, v7
	v_fma_f32 v1, v1, v6, -v8
	v_fmac_f32_e32 v7, v2, v6
	buffer_store_dword v1, off, s[0:3], 0 offset:8
	buffer_store_dword v7, off, s[0:3], 0 offset:12
.LBB119_19:
	s_or_b32 exec_lo, exec_lo, s5
	s_waitcnt_vscnt null, 0x0
	s_barrier
	buffer_gl0_inv
	s_clause 0x1
	buffer_load_dword v1, off, s[0:3], 0 offset:16
	buffer_load_dword v2, off, s[0:3], 0 offset:20
	s_mov_b32 s5, exec_lo
	s_waitcnt vmcnt(0)
	ds_write_b64 v4, v[1:2]
	s_waitcnt lgkmcnt(0)
	s_barrier
	buffer_gl0_inv
	v_cmpx_gt_u32_e32 2, v0
	s_cbranch_execz .LBB119_23
; %bb.20:
	s_clause 0x1
	buffer_load_dword v6, v5, s[0:3], 0 offen offset:4
	buffer_load_dword v5, v5, s[0:3], 0 offen
	ds_read_b64 v[1:2], v4
	s_waitcnt vmcnt(1) lgkmcnt(0)
	v_mul_f32_e32 v7, v2, v6
	v_mul_f32_e32 v6, v1, v6
	s_waitcnt vmcnt(0)
	v_fma_f32 v1, v1, v5, -v7
	v_fmac_f32_e32 v6, v2, v5
	v_add_f32_e32 v2, 0, v1
	v_add_f32_e32 v1, 0, v6
	s_and_saveexec_b32 s8, s4
	s_cbranch_execz .LBB119_22
; %bb.21:
	s_clause 0x1
	buffer_load_dword v7, off, s[0:3], 0 offset:12
	buffer_load_dword v8, off, s[0:3], 0 offset:8
	v_mov_b32_e32 v5, 0
	ds_read_b64 v[5:6], v5 offset:456
	s_waitcnt vmcnt(1) lgkmcnt(0)
	v_mul_f32_e32 v9, v5, v7
	v_mul_f32_e32 v7, v6, v7
	s_waitcnt vmcnt(0)
	v_fmac_f32_e32 v9, v6, v8
	v_fma_f32 v5, v5, v8, -v7
	v_add_f32_e32 v1, v1, v9
	v_add_f32_e32 v2, v2, v5
.LBB119_22:
	s_or_b32 exec_lo, exec_lo, s8
	v_mov_b32_e32 v5, 0
	ds_read_b64 v[5:6], v5 offset:16
	s_waitcnt lgkmcnt(0)
	v_mul_f32_e32 v7, v1, v6
	v_mul_f32_e32 v6, v2, v6
	v_fma_f32 v2, v2, v5, -v7
	v_fmac_f32_e32 v6, v1, v5
	buffer_store_dword v2, off, s[0:3], 0 offset:16
	buffer_store_dword v6, off, s[0:3], 0 offset:20
.LBB119_23:
	s_or_b32 exec_lo, exec_lo, s5
	s_waitcnt_vscnt null, 0x0
	s_barrier
	buffer_gl0_inv
	s_clause 0x1
	buffer_load_dword v5, off, s[0:3], 0 offset:24
	buffer_load_dword v6, off, s[0:3], 0 offset:28
	v_add_nc_u32_e32 v1, -1, v0
	s_mov_b32 s4, exec_lo
	s_waitcnt vmcnt(0)
	ds_write_b64 v4, v[5:6]
	s_waitcnt lgkmcnt(0)
	s_barrier
	buffer_gl0_inv
	v_cmpx_gt_u32_e32 3, v0
	s_cbranch_execz .LBB119_27
; %bb.24:
	v_add_nc_u32_e32 v5, -1, v0
	v_add_nc_u32_e32 v6, 0x1c0, v3
	v_mov_b32_e32 v7, v3
	v_mov_b32_e32 v2, 0
	;; [unrolled: 1-line block ×3, first 2 shown]
	s_mov_b32 s5, 0
	.p2align	6
.LBB119_25:                             ; =>This Inner Loop Header: Depth=1
	s_clause 0x1
	buffer_load_dword v11, v7, s[0:3], 0 offen offset:4
	buffer_load_dword v12, v7, s[0:3], 0 offen
	ds_read_b64 v[9:10], v6
	v_add_nc_u32_e32 v5, 1, v5
	v_add_nc_u32_e32 v6, 8, v6
	v_add_nc_u32_e32 v7, 8, v7
	v_cmp_lt_u32_e32 vcc_lo, 1, v5
	s_or_b32 s5, vcc_lo, s5
	s_waitcnt vmcnt(1) lgkmcnt(0)
	v_mul_f32_e32 v125, v10, v11
	v_mul_f32_e32 v11, v9, v11
	s_waitcnt vmcnt(0)
	v_fma_f32 v9, v9, v12, -v125
	v_fmac_f32_e32 v11, v10, v12
	v_add_f32_e32 v8, v8, v9
	v_add_f32_e32 v2, v2, v11
	s_andn2_b32 exec_lo, exec_lo, s5
	s_cbranch_execnz .LBB119_25
; %bb.26:
	s_or_b32 exec_lo, exec_lo, s5
	v_mov_b32_e32 v5, 0
	ds_read_b64 v[5:6], v5 offset:24
	s_waitcnt lgkmcnt(0)
	v_mul_f32_e32 v7, v2, v6
	v_mul_f32_e32 v6, v8, v6
	v_fma_f32 v7, v8, v5, -v7
	v_fmac_f32_e32 v6, v2, v5
	buffer_store_dword v7, off, s[0:3], 0 offset:24
	buffer_store_dword v6, off, s[0:3], 0 offset:28
.LBB119_27:
	s_or_b32 exec_lo, exec_lo, s4
	s_waitcnt_vscnt null, 0x0
	s_barrier
	buffer_gl0_inv
	s_clause 0x1
	buffer_load_dword v5, off, s[0:3], 0 offset:32
	buffer_load_dword v6, off, s[0:3], 0 offset:36
	s_mov_b32 s4, exec_lo
	s_waitcnt vmcnt(0)
	ds_write_b64 v4, v[5:6]
	s_waitcnt lgkmcnt(0)
	s_barrier
	buffer_gl0_inv
	v_cmpx_gt_u32_e32 4, v0
	s_cbranch_execz .LBB119_31
; %bb.28:
	v_add_nc_u32_e32 v5, -1, v0
	v_add_nc_u32_e32 v6, 0x1c0, v3
	v_mov_b32_e32 v7, v3
	v_mov_b32_e32 v2, 0
	;; [unrolled: 1-line block ×3, first 2 shown]
	s_mov_b32 s5, 0
	.p2align	6
.LBB119_29:                             ; =>This Inner Loop Header: Depth=1
	s_clause 0x1
	buffer_load_dword v11, v7, s[0:3], 0 offen offset:4
	buffer_load_dword v12, v7, s[0:3], 0 offen
	ds_read_b64 v[9:10], v6
	v_add_nc_u32_e32 v5, 1, v5
	v_add_nc_u32_e32 v6, 8, v6
	;; [unrolled: 1-line block ×3, first 2 shown]
	v_cmp_lt_u32_e32 vcc_lo, 2, v5
	s_or_b32 s5, vcc_lo, s5
	s_waitcnt vmcnt(1) lgkmcnt(0)
	v_mul_f32_e32 v125, v10, v11
	v_mul_f32_e32 v11, v9, v11
	s_waitcnt vmcnt(0)
	v_fma_f32 v9, v9, v12, -v125
	v_fmac_f32_e32 v11, v10, v12
	v_add_f32_e32 v8, v8, v9
	v_add_f32_e32 v2, v2, v11
	s_andn2_b32 exec_lo, exec_lo, s5
	s_cbranch_execnz .LBB119_29
; %bb.30:
	s_or_b32 exec_lo, exec_lo, s5
	v_mov_b32_e32 v5, 0
	ds_read_b64 v[5:6], v5 offset:32
	s_waitcnt lgkmcnt(0)
	v_mul_f32_e32 v7, v2, v6
	v_mul_f32_e32 v6, v8, v6
	v_fma_f32 v7, v8, v5, -v7
	v_fmac_f32_e32 v6, v2, v5
	buffer_store_dword v7, off, s[0:3], 0 offset:32
	buffer_store_dword v6, off, s[0:3], 0 offset:36
.LBB119_31:
	s_or_b32 exec_lo, exec_lo, s4
	s_waitcnt_vscnt null, 0x0
	s_barrier
	buffer_gl0_inv
	s_clause 0x1
	buffer_load_dword v5, off, s[0:3], 0 offset:40
	buffer_load_dword v6, off, s[0:3], 0 offset:44
	s_mov_b32 s4, exec_lo
	s_waitcnt vmcnt(0)
	ds_write_b64 v4, v[5:6]
	s_waitcnt lgkmcnt(0)
	s_barrier
	buffer_gl0_inv
	v_cmpx_gt_u32_e32 5, v0
	s_cbranch_execz .LBB119_35
; %bb.32:
	v_add_nc_u32_e32 v5, -1, v0
	v_add_nc_u32_e32 v6, 0x1c0, v3
	v_mov_b32_e32 v7, v3
	v_mov_b32_e32 v2, 0
	;; [unrolled: 1-line block ×3, first 2 shown]
	s_mov_b32 s5, 0
	.p2align	6
.LBB119_33:                             ; =>This Inner Loop Header: Depth=1
	s_clause 0x1
	buffer_load_dword v11, v7, s[0:3], 0 offen offset:4
	buffer_load_dword v12, v7, s[0:3], 0 offen
	ds_read_b64 v[9:10], v6
	v_add_nc_u32_e32 v5, 1, v5
	v_add_nc_u32_e32 v6, 8, v6
	;; [unrolled: 1-line block ×3, first 2 shown]
	v_cmp_lt_u32_e32 vcc_lo, 3, v5
	s_or_b32 s5, vcc_lo, s5
	s_waitcnt vmcnt(1) lgkmcnt(0)
	v_mul_f32_e32 v125, v10, v11
	v_mul_f32_e32 v11, v9, v11
	s_waitcnt vmcnt(0)
	v_fma_f32 v9, v9, v12, -v125
	v_fmac_f32_e32 v11, v10, v12
	v_add_f32_e32 v8, v8, v9
	v_add_f32_e32 v2, v2, v11
	s_andn2_b32 exec_lo, exec_lo, s5
	s_cbranch_execnz .LBB119_33
; %bb.34:
	s_or_b32 exec_lo, exec_lo, s5
	v_mov_b32_e32 v5, 0
	ds_read_b64 v[5:6], v5 offset:40
	s_waitcnt lgkmcnt(0)
	v_mul_f32_e32 v7, v2, v6
	v_mul_f32_e32 v6, v8, v6
	v_fma_f32 v7, v8, v5, -v7
	v_fmac_f32_e32 v6, v2, v5
	buffer_store_dword v7, off, s[0:3], 0 offset:40
	buffer_store_dword v6, off, s[0:3], 0 offset:44
.LBB119_35:
	s_or_b32 exec_lo, exec_lo, s4
	s_waitcnt_vscnt null, 0x0
	s_barrier
	buffer_gl0_inv
	s_clause 0x1
	buffer_load_dword v5, off, s[0:3], 0 offset:48
	buffer_load_dword v6, off, s[0:3], 0 offset:52
	s_mov_b32 s4, exec_lo
	s_waitcnt vmcnt(0)
	ds_write_b64 v4, v[5:6]
	s_waitcnt lgkmcnt(0)
	s_barrier
	buffer_gl0_inv
	v_cmpx_gt_u32_e32 6, v0
	s_cbranch_execz .LBB119_39
; %bb.36:
	v_add_nc_u32_e32 v5, -1, v0
	v_add_nc_u32_e32 v6, 0x1c0, v3
	v_mov_b32_e32 v7, v3
	v_mov_b32_e32 v2, 0
	;; [unrolled: 1-line block ×3, first 2 shown]
	s_mov_b32 s5, 0
	.p2align	6
.LBB119_37:                             ; =>This Inner Loop Header: Depth=1
	s_clause 0x1
	buffer_load_dword v11, v7, s[0:3], 0 offen offset:4
	buffer_load_dword v12, v7, s[0:3], 0 offen
	ds_read_b64 v[9:10], v6
	v_add_nc_u32_e32 v5, 1, v5
	v_add_nc_u32_e32 v6, 8, v6
	;; [unrolled: 1-line block ×3, first 2 shown]
	v_cmp_lt_u32_e32 vcc_lo, 4, v5
	s_or_b32 s5, vcc_lo, s5
	s_waitcnt vmcnt(1) lgkmcnt(0)
	v_mul_f32_e32 v125, v10, v11
	v_mul_f32_e32 v11, v9, v11
	s_waitcnt vmcnt(0)
	v_fma_f32 v9, v9, v12, -v125
	v_fmac_f32_e32 v11, v10, v12
	v_add_f32_e32 v8, v8, v9
	v_add_f32_e32 v2, v2, v11
	s_andn2_b32 exec_lo, exec_lo, s5
	s_cbranch_execnz .LBB119_37
; %bb.38:
	s_or_b32 exec_lo, exec_lo, s5
	v_mov_b32_e32 v5, 0
	ds_read_b64 v[5:6], v5 offset:48
	s_waitcnt lgkmcnt(0)
	v_mul_f32_e32 v7, v2, v6
	v_mul_f32_e32 v6, v8, v6
	v_fma_f32 v7, v8, v5, -v7
	v_fmac_f32_e32 v6, v2, v5
	buffer_store_dword v7, off, s[0:3], 0 offset:48
	buffer_store_dword v6, off, s[0:3], 0 offset:52
.LBB119_39:
	s_or_b32 exec_lo, exec_lo, s4
	s_waitcnt_vscnt null, 0x0
	s_barrier
	buffer_gl0_inv
	s_clause 0x1
	buffer_load_dword v5, off, s[0:3], 0 offset:56
	buffer_load_dword v6, off, s[0:3], 0 offset:60
	s_mov_b32 s4, exec_lo
	s_waitcnt vmcnt(0)
	ds_write_b64 v4, v[5:6]
	s_waitcnt lgkmcnt(0)
	s_barrier
	buffer_gl0_inv
	v_cmpx_gt_u32_e32 7, v0
	s_cbranch_execz .LBB119_43
; %bb.40:
	v_add_nc_u32_e32 v5, -1, v0
	v_add_nc_u32_e32 v6, 0x1c0, v3
	v_mov_b32_e32 v7, v3
	v_mov_b32_e32 v2, 0
	;; [unrolled: 1-line block ×3, first 2 shown]
	s_mov_b32 s5, 0
	.p2align	6
.LBB119_41:                             ; =>This Inner Loop Header: Depth=1
	s_clause 0x1
	buffer_load_dword v11, v7, s[0:3], 0 offen offset:4
	buffer_load_dword v12, v7, s[0:3], 0 offen
	ds_read_b64 v[9:10], v6
	v_add_nc_u32_e32 v5, 1, v5
	v_add_nc_u32_e32 v6, 8, v6
	;; [unrolled: 1-line block ×3, first 2 shown]
	v_cmp_lt_u32_e32 vcc_lo, 5, v5
	s_or_b32 s5, vcc_lo, s5
	s_waitcnt vmcnt(1) lgkmcnt(0)
	v_mul_f32_e32 v125, v10, v11
	v_mul_f32_e32 v11, v9, v11
	s_waitcnt vmcnt(0)
	v_fma_f32 v9, v9, v12, -v125
	v_fmac_f32_e32 v11, v10, v12
	v_add_f32_e32 v8, v8, v9
	v_add_f32_e32 v2, v2, v11
	s_andn2_b32 exec_lo, exec_lo, s5
	s_cbranch_execnz .LBB119_41
; %bb.42:
	s_or_b32 exec_lo, exec_lo, s5
	v_mov_b32_e32 v5, 0
	ds_read_b64 v[5:6], v5 offset:56
	s_waitcnt lgkmcnt(0)
	v_mul_f32_e32 v7, v2, v6
	v_mul_f32_e32 v6, v8, v6
	v_fma_f32 v7, v8, v5, -v7
	v_fmac_f32_e32 v6, v2, v5
	buffer_store_dword v7, off, s[0:3], 0 offset:56
	buffer_store_dword v6, off, s[0:3], 0 offset:60
.LBB119_43:
	s_or_b32 exec_lo, exec_lo, s4
	s_waitcnt_vscnt null, 0x0
	s_barrier
	buffer_gl0_inv
	s_clause 0x1
	buffer_load_dword v5, off, s[0:3], 0 offset:64
	buffer_load_dword v6, off, s[0:3], 0 offset:68
	s_mov_b32 s4, exec_lo
	s_waitcnt vmcnt(0)
	ds_write_b64 v4, v[5:6]
	s_waitcnt lgkmcnt(0)
	s_barrier
	buffer_gl0_inv
	v_cmpx_gt_u32_e32 8, v0
	s_cbranch_execz .LBB119_47
; %bb.44:
	v_add_nc_u32_e32 v5, -1, v0
	v_add_nc_u32_e32 v6, 0x1c0, v3
	v_mov_b32_e32 v7, v3
	v_mov_b32_e32 v2, 0
	;; [unrolled: 1-line block ×3, first 2 shown]
	s_mov_b32 s5, 0
	.p2align	6
.LBB119_45:                             ; =>This Inner Loop Header: Depth=1
	s_clause 0x1
	buffer_load_dword v11, v7, s[0:3], 0 offen offset:4
	buffer_load_dword v12, v7, s[0:3], 0 offen
	ds_read_b64 v[9:10], v6
	v_add_nc_u32_e32 v5, 1, v5
	v_add_nc_u32_e32 v6, 8, v6
	;; [unrolled: 1-line block ×3, first 2 shown]
	v_cmp_lt_u32_e32 vcc_lo, 6, v5
	s_or_b32 s5, vcc_lo, s5
	s_waitcnt vmcnt(1) lgkmcnt(0)
	v_mul_f32_e32 v125, v10, v11
	v_mul_f32_e32 v11, v9, v11
	s_waitcnt vmcnt(0)
	v_fma_f32 v9, v9, v12, -v125
	v_fmac_f32_e32 v11, v10, v12
	v_add_f32_e32 v8, v8, v9
	v_add_f32_e32 v2, v2, v11
	s_andn2_b32 exec_lo, exec_lo, s5
	s_cbranch_execnz .LBB119_45
; %bb.46:
	s_or_b32 exec_lo, exec_lo, s5
	v_mov_b32_e32 v5, 0
	ds_read_b64 v[5:6], v5 offset:64
	s_waitcnt lgkmcnt(0)
	v_mul_f32_e32 v7, v2, v6
	v_mul_f32_e32 v6, v8, v6
	v_fma_f32 v7, v8, v5, -v7
	v_fmac_f32_e32 v6, v2, v5
	buffer_store_dword v7, off, s[0:3], 0 offset:64
	buffer_store_dword v6, off, s[0:3], 0 offset:68
.LBB119_47:
	s_or_b32 exec_lo, exec_lo, s4
	s_waitcnt_vscnt null, 0x0
	s_barrier
	buffer_gl0_inv
	s_clause 0x1
	buffer_load_dword v5, off, s[0:3], 0 offset:72
	buffer_load_dword v6, off, s[0:3], 0 offset:76
	s_mov_b32 s4, exec_lo
	s_waitcnt vmcnt(0)
	ds_write_b64 v4, v[5:6]
	s_waitcnt lgkmcnt(0)
	s_barrier
	buffer_gl0_inv
	v_cmpx_gt_u32_e32 9, v0
	s_cbranch_execz .LBB119_51
; %bb.48:
	v_add_nc_u32_e32 v5, -1, v0
	v_add_nc_u32_e32 v6, 0x1c0, v3
	v_mov_b32_e32 v7, v3
	v_mov_b32_e32 v2, 0
	;; [unrolled: 1-line block ×3, first 2 shown]
	s_mov_b32 s5, 0
	.p2align	6
.LBB119_49:                             ; =>This Inner Loop Header: Depth=1
	s_clause 0x1
	buffer_load_dword v11, v7, s[0:3], 0 offen offset:4
	buffer_load_dword v12, v7, s[0:3], 0 offen
	ds_read_b64 v[9:10], v6
	v_add_nc_u32_e32 v5, 1, v5
	v_add_nc_u32_e32 v6, 8, v6
	;; [unrolled: 1-line block ×3, first 2 shown]
	v_cmp_lt_u32_e32 vcc_lo, 7, v5
	s_or_b32 s5, vcc_lo, s5
	s_waitcnt vmcnt(1) lgkmcnt(0)
	v_mul_f32_e32 v125, v10, v11
	v_mul_f32_e32 v11, v9, v11
	s_waitcnt vmcnt(0)
	v_fma_f32 v9, v9, v12, -v125
	v_fmac_f32_e32 v11, v10, v12
	v_add_f32_e32 v8, v8, v9
	v_add_f32_e32 v2, v2, v11
	s_andn2_b32 exec_lo, exec_lo, s5
	s_cbranch_execnz .LBB119_49
; %bb.50:
	s_or_b32 exec_lo, exec_lo, s5
	v_mov_b32_e32 v5, 0
	ds_read_b64 v[5:6], v5 offset:72
	s_waitcnt lgkmcnt(0)
	v_mul_f32_e32 v7, v2, v6
	v_mul_f32_e32 v6, v8, v6
	v_fma_f32 v7, v8, v5, -v7
	v_fmac_f32_e32 v6, v2, v5
	buffer_store_dword v7, off, s[0:3], 0 offset:72
	buffer_store_dword v6, off, s[0:3], 0 offset:76
.LBB119_51:
	s_or_b32 exec_lo, exec_lo, s4
	s_waitcnt_vscnt null, 0x0
	s_barrier
	buffer_gl0_inv
	s_clause 0x1
	buffer_load_dword v5, off, s[0:3], 0 offset:80
	buffer_load_dword v6, off, s[0:3], 0 offset:84
	s_mov_b32 s4, exec_lo
	s_waitcnt vmcnt(0)
	ds_write_b64 v4, v[5:6]
	s_waitcnt lgkmcnt(0)
	s_barrier
	buffer_gl0_inv
	v_cmpx_gt_u32_e32 10, v0
	s_cbranch_execz .LBB119_55
; %bb.52:
	v_add_nc_u32_e32 v5, -1, v0
	v_add_nc_u32_e32 v6, 0x1c0, v3
	v_mov_b32_e32 v7, v3
	v_mov_b32_e32 v2, 0
	;; [unrolled: 1-line block ×3, first 2 shown]
	s_mov_b32 s5, 0
	.p2align	6
.LBB119_53:                             ; =>This Inner Loop Header: Depth=1
	s_clause 0x1
	buffer_load_dword v11, v7, s[0:3], 0 offen offset:4
	buffer_load_dword v12, v7, s[0:3], 0 offen
	ds_read_b64 v[9:10], v6
	v_add_nc_u32_e32 v5, 1, v5
	v_add_nc_u32_e32 v6, 8, v6
	;; [unrolled: 1-line block ×3, first 2 shown]
	v_cmp_lt_u32_e32 vcc_lo, 8, v5
	s_or_b32 s5, vcc_lo, s5
	s_waitcnt vmcnt(1) lgkmcnt(0)
	v_mul_f32_e32 v125, v10, v11
	v_mul_f32_e32 v11, v9, v11
	s_waitcnt vmcnt(0)
	v_fma_f32 v9, v9, v12, -v125
	v_fmac_f32_e32 v11, v10, v12
	v_add_f32_e32 v8, v8, v9
	v_add_f32_e32 v2, v2, v11
	s_andn2_b32 exec_lo, exec_lo, s5
	s_cbranch_execnz .LBB119_53
; %bb.54:
	s_or_b32 exec_lo, exec_lo, s5
	v_mov_b32_e32 v5, 0
	ds_read_b64 v[5:6], v5 offset:80
	s_waitcnt lgkmcnt(0)
	v_mul_f32_e32 v7, v2, v6
	v_mul_f32_e32 v6, v8, v6
	v_fma_f32 v7, v8, v5, -v7
	v_fmac_f32_e32 v6, v2, v5
	buffer_store_dword v7, off, s[0:3], 0 offset:80
	buffer_store_dword v6, off, s[0:3], 0 offset:84
.LBB119_55:
	s_or_b32 exec_lo, exec_lo, s4
	s_waitcnt_vscnt null, 0x0
	s_barrier
	buffer_gl0_inv
	s_clause 0x1
	buffer_load_dword v5, off, s[0:3], 0 offset:88
	buffer_load_dword v6, off, s[0:3], 0 offset:92
	s_mov_b32 s4, exec_lo
	s_waitcnt vmcnt(0)
	ds_write_b64 v4, v[5:6]
	s_waitcnt lgkmcnt(0)
	s_barrier
	buffer_gl0_inv
	v_cmpx_gt_u32_e32 11, v0
	s_cbranch_execz .LBB119_59
; %bb.56:
	v_add_nc_u32_e32 v5, -1, v0
	v_add_nc_u32_e32 v6, 0x1c0, v3
	v_mov_b32_e32 v7, v3
	v_mov_b32_e32 v2, 0
	;; [unrolled: 1-line block ×3, first 2 shown]
	s_mov_b32 s5, 0
	.p2align	6
.LBB119_57:                             ; =>This Inner Loop Header: Depth=1
	s_clause 0x1
	buffer_load_dword v11, v7, s[0:3], 0 offen offset:4
	buffer_load_dword v12, v7, s[0:3], 0 offen
	ds_read_b64 v[9:10], v6
	v_add_nc_u32_e32 v5, 1, v5
	v_add_nc_u32_e32 v6, 8, v6
	;; [unrolled: 1-line block ×3, first 2 shown]
	v_cmp_lt_u32_e32 vcc_lo, 9, v5
	s_or_b32 s5, vcc_lo, s5
	s_waitcnt vmcnt(1) lgkmcnt(0)
	v_mul_f32_e32 v125, v10, v11
	v_mul_f32_e32 v11, v9, v11
	s_waitcnt vmcnt(0)
	v_fma_f32 v9, v9, v12, -v125
	v_fmac_f32_e32 v11, v10, v12
	v_add_f32_e32 v8, v8, v9
	v_add_f32_e32 v2, v2, v11
	s_andn2_b32 exec_lo, exec_lo, s5
	s_cbranch_execnz .LBB119_57
; %bb.58:
	s_or_b32 exec_lo, exec_lo, s5
	v_mov_b32_e32 v5, 0
	ds_read_b64 v[5:6], v5 offset:88
	s_waitcnt lgkmcnt(0)
	v_mul_f32_e32 v7, v2, v6
	v_mul_f32_e32 v6, v8, v6
	v_fma_f32 v7, v8, v5, -v7
	v_fmac_f32_e32 v6, v2, v5
	buffer_store_dword v7, off, s[0:3], 0 offset:88
	buffer_store_dword v6, off, s[0:3], 0 offset:92
.LBB119_59:
	s_or_b32 exec_lo, exec_lo, s4
	s_waitcnt_vscnt null, 0x0
	s_barrier
	buffer_gl0_inv
	s_clause 0x1
	buffer_load_dword v5, off, s[0:3], 0 offset:96
	buffer_load_dword v6, off, s[0:3], 0 offset:100
	s_mov_b32 s4, exec_lo
	s_waitcnt vmcnt(0)
	ds_write_b64 v4, v[5:6]
	s_waitcnt lgkmcnt(0)
	s_barrier
	buffer_gl0_inv
	v_cmpx_gt_u32_e32 12, v0
	s_cbranch_execz .LBB119_63
; %bb.60:
	v_add_nc_u32_e32 v5, -1, v0
	v_add_nc_u32_e32 v6, 0x1c0, v3
	v_mov_b32_e32 v7, v3
	v_mov_b32_e32 v2, 0
	;; [unrolled: 1-line block ×3, first 2 shown]
	s_mov_b32 s5, 0
	.p2align	6
.LBB119_61:                             ; =>This Inner Loop Header: Depth=1
	s_clause 0x1
	buffer_load_dword v11, v7, s[0:3], 0 offen offset:4
	buffer_load_dword v12, v7, s[0:3], 0 offen
	ds_read_b64 v[9:10], v6
	v_add_nc_u32_e32 v5, 1, v5
	v_add_nc_u32_e32 v6, 8, v6
	v_add_nc_u32_e32 v7, 8, v7
	v_cmp_lt_u32_e32 vcc_lo, 10, v5
	s_or_b32 s5, vcc_lo, s5
	s_waitcnt vmcnt(1) lgkmcnt(0)
	v_mul_f32_e32 v125, v10, v11
	v_mul_f32_e32 v11, v9, v11
	s_waitcnt vmcnt(0)
	v_fma_f32 v9, v9, v12, -v125
	v_fmac_f32_e32 v11, v10, v12
	v_add_f32_e32 v8, v8, v9
	v_add_f32_e32 v2, v2, v11
	s_andn2_b32 exec_lo, exec_lo, s5
	s_cbranch_execnz .LBB119_61
; %bb.62:
	s_or_b32 exec_lo, exec_lo, s5
	v_mov_b32_e32 v5, 0
	ds_read_b64 v[5:6], v5 offset:96
	s_waitcnt lgkmcnt(0)
	v_mul_f32_e32 v7, v2, v6
	v_mul_f32_e32 v6, v8, v6
	v_fma_f32 v7, v8, v5, -v7
	v_fmac_f32_e32 v6, v2, v5
	buffer_store_dword v7, off, s[0:3], 0 offset:96
	buffer_store_dword v6, off, s[0:3], 0 offset:100
.LBB119_63:
	s_or_b32 exec_lo, exec_lo, s4
	s_waitcnt_vscnt null, 0x0
	s_barrier
	buffer_gl0_inv
	s_clause 0x1
	buffer_load_dword v5, off, s[0:3], 0 offset:104
	buffer_load_dword v6, off, s[0:3], 0 offset:108
	s_mov_b32 s4, exec_lo
	s_waitcnt vmcnt(0)
	ds_write_b64 v4, v[5:6]
	s_waitcnt lgkmcnt(0)
	s_barrier
	buffer_gl0_inv
	v_cmpx_gt_u32_e32 13, v0
	s_cbranch_execz .LBB119_67
; %bb.64:
	v_add_nc_u32_e32 v5, -1, v0
	v_add_nc_u32_e32 v6, 0x1c0, v3
	v_mov_b32_e32 v7, v3
	v_mov_b32_e32 v2, 0
	;; [unrolled: 1-line block ×3, first 2 shown]
	s_mov_b32 s5, 0
	.p2align	6
.LBB119_65:                             ; =>This Inner Loop Header: Depth=1
	s_clause 0x1
	buffer_load_dword v11, v7, s[0:3], 0 offen offset:4
	buffer_load_dword v12, v7, s[0:3], 0 offen
	ds_read_b64 v[9:10], v6
	v_add_nc_u32_e32 v5, 1, v5
	v_add_nc_u32_e32 v6, 8, v6
	;; [unrolled: 1-line block ×3, first 2 shown]
	v_cmp_lt_u32_e32 vcc_lo, 11, v5
	s_or_b32 s5, vcc_lo, s5
	s_waitcnt vmcnt(1) lgkmcnt(0)
	v_mul_f32_e32 v125, v10, v11
	v_mul_f32_e32 v11, v9, v11
	s_waitcnt vmcnt(0)
	v_fma_f32 v9, v9, v12, -v125
	v_fmac_f32_e32 v11, v10, v12
	v_add_f32_e32 v8, v8, v9
	v_add_f32_e32 v2, v2, v11
	s_andn2_b32 exec_lo, exec_lo, s5
	s_cbranch_execnz .LBB119_65
; %bb.66:
	s_or_b32 exec_lo, exec_lo, s5
	v_mov_b32_e32 v5, 0
	ds_read_b64 v[5:6], v5 offset:104
	s_waitcnt lgkmcnt(0)
	v_mul_f32_e32 v7, v2, v6
	v_mul_f32_e32 v6, v8, v6
	v_fma_f32 v7, v8, v5, -v7
	v_fmac_f32_e32 v6, v2, v5
	buffer_store_dword v7, off, s[0:3], 0 offset:104
	buffer_store_dword v6, off, s[0:3], 0 offset:108
.LBB119_67:
	s_or_b32 exec_lo, exec_lo, s4
	s_waitcnt_vscnt null, 0x0
	s_barrier
	buffer_gl0_inv
	s_clause 0x1
	buffer_load_dword v5, off, s[0:3], 0 offset:112
	buffer_load_dword v6, off, s[0:3], 0 offset:116
	s_mov_b32 s4, exec_lo
	s_waitcnt vmcnt(0)
	ds_write_b64 v4, v[5:6]
	s_waitcnt lgkmcnt(0)
	s_barrier
	buffer_gl0_inv
	v_cmpx_gt_u32_e32 14, v0
	s_cbranch_execz .LBB119_71
; %bb.68:
	v_add_nc_u32_e32 v5, -1, v0
	v_add_nc_u32_e32 v6, 0x1c0, v3
	v_mov_b32_e32 v7, v3
	v_mov_b32_e32 v2, 0
	;; [unrolled: 1-line block ×3, first 2 shown]
	s_mov_b32 s5, 0
	.p2align	6
.LBB119_69:                             ; =>This Inner Loop Header: Depth=1
	s_clause 0x1
	buffer_load_dword v11, v7, s[0:3], 0 offen offset:4
	buffer_load_dword v12, v7, s[0:3], 0 offen
	ds_read_b64 v[9:10], v6
	v_add_nc_u32_e32 v5, 1, v5
	v_add_nc_u32_e32 v6, 8, v6
	;; [unrolled: 1-line block ×3, first 2 shown]
	v_cmp_lt_u32_e32 vcc_lo, 12, v5
	s_or_b32 s5, vcc_lo, s5
	s_waitcnt vmcnt(1) lgkmcnt(0)
	v_mul_f32_e32 v125, v10, v11
	v_mul_f32_e32 v11, v9, v11
	s_waitcnt vmcnt(0)
	v_fma_f32 v9, v9, v12, -v125
	v_fmac_f32_e32 v11, v10, v12
	v_add_f32_e32 v8, v8, v9
	v_add_f32_e32 v2, v2, v11
	s_andn2_b32 exec_lo, exec_lo, s5
	s_cbranch_execnz .LBB119_69
; %bb.70:
	s_or_b32 exec_lo, exec_lo, s5
	v_mov_b32_e32 v5, 0
	ds_read_b64 v[5:6], v5 offset:112
	s_waitcnt lgkmcnt(0)
	v_mul_f32_e32 v7, v2, v6
	v_mul_f32_e32 v6, v8, v6
	v_fma_f32 v7, v8, v5, -v7
	v_fmac_f32_e32 v6, v2, v5
	buffer_store_dword v7, off, s[0:3], 0 offset:112
	buffer_store_dword v6, off, s[0:3], 0 offset:116
.LBB119_71:
	s_or_b32 exec_lo, exec_lo, s4
	s_waitcnt_vscnt null, 0x0
	s_barrier
	buffer_gl0_inv
	s_clause 0x1
	buffer_load_dword v5, off, s[0:3], 0 offset:120
	buffer_load_dword v6, off, s[0:3], 0 offset:124
	s_mov_b32 s4, exec_lo
	s_waitcnt vmcnt(0)
	ds_write_b64 v4, v[5:6]
	s_waitcnt lgkmcnt(0)
	s_barrier
	buffer_gl0_inv
	v_cmpx_gt_u32_e32 15, v0
	s_cbranch_execz .LBB119_75
; %bb.72:
	v_add_nc_u32_e32 v5, -1, v0
	v_add_nc_u32_e32 v6, 0x1c0, v3
	v_mov_b32_e32 v7, v3
	v_mov_b32_e32 v2, 0
	;; [unrolled: 1-line block ×3, first 2 shown]
	s_mov_b32 s5, 0
	.p2align	6
.LBB119_73:                             ; =>This Inner Loop Header: Depth=1
	s_clause 0x1
	buffer_load_dword v11, v7, s[0:3], 0 offen offset:4
	buffer_load_dword v12, v7, s[0:3], 0 offen
	ds_read_b64 v[9:10], v6
	v_add_nc_u32_e32 v5, 1, v5
	v_add_nc_u32_e32 v6, 8, v6
	;; [unrolled: 1-line block ×3, first 2 shown]
	v_cmp_lt_u32_e32 vcc_lo, 13, v5
	s_or_b32 s5, vcc_lo, s5
	s_waitcnt vmcnt(1) lgkmcnt(0)
	v_mul_f32_e32 v125, v10, v11
	v_mul_f32_e32 v11, v9, v11
	s_waitcnt vmcnt(0)
	v_fma_f32 v9, v9, v12, -v125
	v_fmac_f32_e32 v11, v10, v12
	v_add_f32_e32 v8, v8, v9
	v_add_f32_e32 v2, v2, v11
	s_andn2_b32 exec_lo, exec_lo, s5
	s_cbranch_execnz .LBB119_73
; %bb.74:
	s_or_b32 exec_lo, exec_lo, s5
	v_mov_b32_e32 v5, 0
	ds_read_b64 v[5:6], v5 offset:120
	s_waitcnt lgkmcnt(0)
	v_mul_f32_e32 v7, v2, v6
	v_mul_f32_e32 v6, v8, v6
	v_fma_f32 v7, v8, v5, -v7
	v_fmac_f32_e32 v6, v2, v5
	buffer_store_dword v7, off, s[0:3], 0 offset:120
	buffer_store_dword v6, off, s[0:3], 0 offset:124
.LBB119_75:
	s_or_b32 exec_lo, exec_lo, s4
	s_waitcnt_vscnt null, 0x0
	s_barrier
	buffer_gl0_inv
	s_clause 0x1
	buffer_load_dword v5, off, s[0:3], 0 offset:128
	buffer_load_dword v6, off, s[0:3], 0 offset:132
	s_mov_b32 s4, exec_lo
	s_waitcnt vmcnt(0)
	ds_write_b64 v4, v[5:6]
	s_waitcnt lgkmcnt(0)
	s_barrier
	buffer_gl0_inv
	v_cmpx_gt_u32_e32 16, v0
	s_cbranch_execz .LBB119_79
; %bb.76:
	v_add_nc_u32_e32 v5, -1, v0
	v_add_nc_u32_e32 v6, 0x1c0, v3
	v_mov_b32_e32 v7, v3
	v_mov_b32_e32 v2, 0
	;; [unrolled: 1-line block ×3, first 2 shown]
	s_mov_b32 s5, 0
	.p2align	6
.LBB119_77:                             ; =>This Inner Loop Header: Depth=1
	s_clause 0x1
	buffer_load_dword v11, v7, s[0:3], 0 offen offset:4
	buffer_load_dword v12, v7, s[0:3], 0 offen
	ds_read_b64 v[9:10], v6
	v_add_nc_u32_e32 v5, 1, v5
	v_add_nc_u32_e32 v6, 8, v6
	;; [unrolled: 1-line block ×3, first 2 shown]
	v_cmp_lt_u32_e32 vcc_lo, 14, v5
	s_or_b32 s5, vcc_lo, s5
	s_waitcnt vmcnt(1) lgkmcnt(0)
	v_mul_f32_e32 v125, v10, v11
	v_mul_f32_e32 v11, v9, v11
	s_waitcnt vmcnt(0)
	v_fma_f32 v9, v9, v12, -v125
	v_fmac_f32_e32 v11, v10, v12
	v_add_f32_e32 v8, v8, v9
	v_add_f32_e32 v2, v2, v11
	s_andn2_b32 exec_lo, exec_lo, s5
	s_cbranch_execnz .LBB119_77
; %bb.78:
	s_or_b32 exec_lo, exec_lo, s5
	v_mov_b32_e32 v5, 0
	ds_read_b64 v[5:6], v5 offset:128
	s_waitcnt lgkmcnt(0)
	v_mul_f32_e32 v7, v2, v6
	v_mul_f32_e32 v6, v8, v6
	v_fma_f32 v7, v8, v5, -v7
	v_fmac_f32_e32 v6, v2, v5
	buffer_store_dword v7, off, s[0:3], 0 offset:128
	buffer_store_dword v6, off, s[0:3], 0 offset:132
.LBB119_79:
	s_or_b32 exec_lo, exec_lo, s4
	s_waitcnt_vscnt null, 0x0
	s_barrier
	buffer_gl0_inv
	s_clause 0x1
	buffer_load_dword v5, off, s[0:3], 0 offset:136
	buffer_load_dword v6, off, s[0:3], 0 offset:140
	s_mov_b32 s4, exec_lo
	s_waitcnt vmcnt(0)
	ds_write_b64 v4, v[5:6]
	s_waitcnt lgkmcnt(0)
	s_barrier
	buffer_gl0_inv
	v_cmpx_gt_u32_e32 17, v0
	s_cbranch_execz .LBB119_83
; %bb.80:
	v_add_nc_u32_e32 v5, -1, v0
	v_add_nc_u32_e32 v6, 0x1c0, v3
	v_mov_b32_e32 v7, v3
	v_mov_b32_e32 v2, 0
	;; [unrolled: 1-line block ×3, first 2 shown]
	s_mov_b32 s5, 0
	.p2align	6
.LBB119_81:                             ; =>This Inner Loop Header: Depth=1
	s_clause 0x1
	buffer_load_dword v11, v7, s[0:3], 0 offen offset:4
	buffer_load_dword v12, v7, s[0:3], 0 offen
	ds_read_b64 v[9:10], v6
	v_add_nc_u32_e32 v5, 1, v5
	v_add_nc_u32_e32 v6, 8, v6
	v_add_nc_u32_e32 v7, 8, v7
	v_cmp_lt_u32_e32 vcc_lo, 15, v5
	s_or_b32 s5, vcc_lo, s5
	s_waitcnt vmcnt(1) lgkmcnt(0)
	v_mul_f32_e32 v125, v10, v11
	v_mul_f32_e32 v11, v9, v11
	s_waitcnt vmcnt(0)
	v_fma_f32 v9, v9, v12, -v125
	v_fmac_f32_e32 v11, v10, v12
	v_add_f32_e32 v8, v8, v9
	v_add_f32_e32 v2, v2, v11
	s_andn2_b32 exec_lo, exec_lo, s5
	s_cbranch_execnz .LBB119_81
; %bb.82:
	s_or_b32 exec_lo, exec_lo, s5
	v_mov_b32_e32 v5, 0
	ds_read_b64 v[5:6], v5 offset:136
	s_waitcnt lgkmcnt(0)
	v_mul_f32_e32 v7, v2, v6
	v_mul_f32_e32 v6, v8, v6
	v_fma_f32 v7, v8, v5, -v7
	v_fmac_f32_e32 v6, v2, v5
	buffer_store_dword v7, off, s[0:3], 0 offset:136
	buffer_store_dword v6, off, s[0:3], 0 offset:140
.LBB119_83:
	s_or_b32 exec_lo, exec_lo, s4
	s_waitcnt_vscnt null, 0x0
	s_barrier
	buffer_gl0_inv
	s_clause 0x1
	buffer_load_dword v5, off, s[0:3], 0 offset:144
	buffer_load_dword v6, off, s[0:3], 0 offset:148
	s_mov_b32 s4, exec_lo
	s_waitcnt vmcnt(0)
	ds_write_b64 v4, v[5:6]
	s_waitcnt lgkmcnt(0)
	s_barrier
	buffer_gl0_inv
	v_cmpx_gt_u32_e32 18, v0
	s_cbranch_execz .LBB119_87
; %bb.84:
	v_add_nc_u32_e32 v5, -1, v0
	v_add_nc_u32_e32 v6, 0x1c0, v3
	v_mov_b32_e32 v7, v3
	v_mov_b32_e32 v2, 0
	;; [unrolled: 1-line block ×3, first 2 shown]
	s_mov_b32 s5, 0
	.p2align	6
.LBB119_85:                             ; =>This Inner Loop Header: Depth=1
	s_clause 0x1
	buffer_load_dword v11, v7, s[0:3], 0 offen offset:4
	buffer_load_dword v12, v7, s[0:3], 0 offen
	ds_read_b64 v[9:10], v6
	v_add_nc_u32_e32 v5, 1, v5
	v_add_nc_u32_e32 v6, 8, v6
	;; [unrolled: 1-line block ×3, first 2 shown]
	v_cmp_lt_u32_e32 vcc_lo, 16, v5
	s_or_b32 s5, vcc_lo, s5
	s_waitcnt vmcnt(1) lgkmcnt(0)
	v_mul_f32_e32 v125, v10, v11
	v_mul_f32_e32 v11, v9, v11
	s_waitcnt vmcnt(0)
	v_fma_f32 v9, v9, v12, -v125
	v_fmac_f32_e32 v11, v10, v12
	v_add_f32_e32 v8, v8, v9
	v_add_f32_e32 v2, v2, v11
	s_andn2_b32 exec_lo, exec_lo, s5
	s_cbranch_execnz .LBB119_85
; %bb.86:
	s_or_b32 exec_lo, exec_lo, s5
	v_mov_b32_e32 v5, 0
	ds_read_b64 v[5:6], v5 offset:144
	s_waitcnt lgkmcnt(0)
	v_mul_f32_e32 v7, v2, v6
	v_mul_f32_e32 v6, v8, v6
	v_fma_f32 v7, v8, v5, -v7
	v_fmac_f32_e32 v6, v2, v5
	buffer_store_dword v7, off, s[0:3], 0 offset:144
	buffer_store_dword v6, off, s[0:3], 0 offset:148
.LBB119_87:
	s_or_b32 exec_lo, exec_lo, s4
	s_waitcnt_vscnt null, 0x0
	s_barrier
	buffer_gl0_inv
	s_clause 0x1
	buffer_load_dword v5, off, s[0:3], 0 offset:152
	buffer_load_dword v6, off, s[0:3], 0 offset:156
	s_mov_b32 s4, exec_lo
	s_waitcnt vmcnt(0)
	ds_write_b64 v4, v[5:6]
	s_waitcnt lgkmcnt(0)
	s_barrier
	buffer_gl0_inv
	v_cmpx_gt_u32_e32 19, v0
	s_cbranch_execz .LBB119_91
; %bb.88:
	v_add_nc_u32_e32 v5, -1, v0
	v_add_nc_u32_e32 v6, 0x1c0, v3
	v_mov_b32_e32 v7, v3
	v_mov_b32_e32 v2, 0
	;; [unrolled: 1-line block ×3, first 2 shown]
	s_mov_b32 s5, 0
	.p2align	6
.LBB119_89:                             ; =>This Inner Loop Header: Depth=1
	s_clause 0x1
	buffer_load_dword v11, v7, s[0:3], 0 offen offset:4
	buffer_load_dword v12, v7, s[0:3], 0 offen
	ds_read_b64 v[9:10], v6
	v_add_nc_u32_e32 v5, 1, v5
	v_add_nc_u32_e32 v6, 8, v6
	;; [unrolled: 1-line block ×3, first 2 shown]
	v_cmp_lt_u32_e32 vcc_lo, 17, v5
	s_or_b32 s5, vcc_lo, s5
	s_waitcnt vmcnt(1) lgkmcnt(0)
	v_mul_f32_e32 v125, v10, v11
	v_mul_f32_e32 v11, v9, v11
	s_waitcnt vmcnt(0)
	v_fma_f32 v9, v9, v12, -v125
	v_fmac_f32_e32 v11, v10, v12
	v_add_f32_e32 v8, v8, v9
	v_add_f32_e32 v2, v2, v11
	s_andn2_b32 exec_lo, exec_lo, s5
	s_cbranch_execnz .LBB119_89
; %bb.90:
	s_or_b32 exec_lo, exec_lo, s5
	v_mov_b32_e32 v5, 0
	ds_read_b64 v[5:6], v5 offset:152
	s_waitcnt lgkmcnt(0)
	v_mul_f32_e32 v7, v2, v6
	v_mul_f32_e32 v6, v8, v6
	v_fma_f32 v7, v8, v5, -v7
	v_fmac_f32_e32 v6, v2, v5
	buffer_store_dword v7, off, s[0:3], 0 offset:152
	buffer_store_dword v6, off, s[0:3], 0 offset:156
.LBB119_91:
	s_or_b32 exec_lo, exec_lo, s4
	s_waitcnt_vscnt null, 0x0
	s_barrier
	buffer_gl0_inv
	s_clause 0x1
	buffer_load_dword v5, off, s[0:3], 0 offset:160
	buffer_load_dword v6, off, s[0:3], 0 offset:164
	s_mov_b32 s4, exec_lo
	s_waitcnt vmcnt(0)
	ds_write_b64 v4, v[5:6]
	s_waitcnt lgkmcnt(0)
	s_barrier
	buffer_gl0_inv
	v_cmpx_gt_u32_e32 20, v0
	s_cbranch_execz .LBB119_95
; %bb.92:
	v_add_nc_u32_e32 v5, -1, v0
	v_add_nc_u32_e32 v6, 0x1c0, v3
	v_mov_b32_e32 v7, v3
	v_mov_b32_e32 v2, 0
	v_mov_b32_e32 v8, 0
	s_mov_b32 s5, 0
	.p2align	6
.LBB119_93:                             ; =>This Inner Loop Header: Depth=1
	s_clause 0x1
	buffer_load_dword v11, v7, s[0:3], 0 offen offset:4
	buffer_load_dword v12, v7, s[0:3], 0 offen
	ds_read_b64 v[9:10], v6
	v_add_nc_u32_e32 v5, 1, v5
	v_add_nc_u32_e32 v6, 8, v6
	;; [unrolled: 1-line block ×3, first 2 shown]
	v_cmp_lt_u32_e32 vcc_lo, 18, v5
	s_or_b32 s5, vcc_lo, s5
	s_waitcnt vmcnt(1) lgkmcnt(0)
	v_mul_f32_e32 v125, v10, v11
	v_mul_f32_e32 v11, v9, v11
	s_waitcnt vmcnt(0)
	v_fma_f32 v9, v9, v12, -v125
	v_fmac_f32_e32 v11, v10, v12
	v_add_f32_e32 v8, v8, v9
	v_add_f32_e32 v2, v2, v11
	s_andn2_b32 exec_lo, exec_lo, s5
	s_cbranch_execnz .LBB119_93
; %bb.94:
	s_or_b32 exec_lo, exec_lo, s5
	v_mov_b32_e32 v5, 0
	ds_read_b64 v[5:6], v5 offset:160
	s_waitcnt lgkmcnt(0)
	v_mul_f32_e32 v7, v2, v6
	v_mul_f32_e32 v6, v8, v6
	v_fma_f32 v7, v8, v5, -v7
	v_fmac_f32_e32 v6, v2, v5
	buffer_store_dword v7, off, s[0:3], 0 offset:160
	buffer_store_dword v6, off, s[0:3], 0 offset:164
.LBB119_95:
	s_or_b32 exec_lo, exec_lo, s4
	s_waitcnt_vscnt null, 0x0
	s_barrier
	buffer_gl0_inv
	s_clause 0x1
	buffer_load_dword v5, off, s[0:3], 0 offset:168
	buffer_load_dword v6, off, s[0:3], 0 offset:172
	s_mov_b32 s4, exec_lo
	s_waitcnt vmcnt(0)
	ds_write_b64 v4, v[5:6]
	s_waitcnt lgkmcnt(0)
	s_barrier
	buffer_gl0_inv
	v_cmpx_gt_u32_e32 21, v0
	s_cbranch_execz .LBB119_99
; %bb.96:
	v_add_nc_u32_e32 v5, -1, v0
	v_add_nc_u32_e32 v6, 0x1c0, v3
	v_mov_b32_e32 v7, v3
	v_mov_b32_e32 v2, 0
	;; [unrolled: 1-line block ×3, first 2 shown]
	s_mov_b32 s5, 0
	.p2align	6
.LBB119_97:                             ; =>This Inner Loop Header: Depth=1
	s_clause 0x1
	buffer_load_dword v11, v7, s[0:3], 0 offen offset:4
	buffer_load_dword v12, v7, s[0:3], 0 offen
	ds_read_b64 v[9:10], v6
	v_add_nc_u32_e32 v5, 1, v5
	v_add_nc_u32_e32 v6, 8, v6
	;; [unrolled: 1-line block ×3, first 2 shown]
	v_cmp_lt_u32_e32 vcc_lo, 19, v5
	s_or_b32 s5, vcc_lo, s5
	s_waitcnt vmcnt(1) lgkmcnt(0)
	v_mul_f32_e32 v125, v10, v11
	v_mul_f32_e32 v11, v9, v11
	s_waitcnt vmcnt(0)
	v_fma_f32 v9, v9, v12, -v125
	v_fmac_f32_e32 v11, v10, v12
	v_add_f32_e32 v8, v8, v9
	v_add_f32_e32 v2, v2, v11
	s_andn2_b32 exec_lo, exec_lo, s5
	s_cbranch_execnz .LBB119_97
; %bb.98:
	s_or_b32 exec_lo, exec_lo, s5
	v_mov_b32_e32 v5, 0
	ds_read_b64 v[5:6], v5 offset:168
	s_waitcnt lgkmcnt(0)
	v_mul_f32_e32 v7, v2, v6
	v_mul_f32_e32 v6, v8, v6
	v_fma_f32 v7, v8, v5, -v7
	v_fmac_f32_e32 v6, v2, v5
	buffer_store_dword v7, off, s[0:3], 0 offset:168
	buffer_store_dword v6, off, s[0:3], 0 offset:172
.LBB119_99:
	s_or_b32 exec_lo, exec_lo, s4
	s_waitcnt_vscnt null, 0x0
	s_barrier
	buffer_gl0_inv
	s_clause 0x1
	buffer_load_dword v5, off, s[0:3], 0 offset:176
	buffer_load_dword v6, off, s[0:3], 0 offset:180
	s_mov_b32 s4, exec_lo
	s_waitcnt vmcnt(0)
	ds_write_b64 v4, v[5:6]
	s_waitcnt lgkmcnt(0)
	s_barrier
	buffer_gl0_inv
	v_cmpx_gt_u32_e32 22, v0
	s_cbranch_execz .LBB119_103
; %bb.100:
	v_add_nc_u32_e32 v5, -1, v0
	v_add_nc_u32_e32 v6, 0x1c0, v3
	v_mov_b32_e32 v7, v3
	v_mov_b32_e32 v2, 0
	;; [unrolled: 1-line block ×3, first 2 shown]
	s_mov_b32 s5, 0
	.p2align	6
.LBB119_101:                            ; =>This Inner Loop Header: Depth=1
	s_clause 0x1
	buffer_load_dword v11, v7, s[0:3], 0 offen offset:4
	buffer_load_dword v12, v7, s[0:3], 0 offen
	ds_read_b64 v[9:10], v6
	v_add_nc_u32_e32 v5, 1, v5
	v_add_nc_u32_e32 v6, 8, v6
	;; [unrolled: 1-line block ×3, first 2 shown]
	v_cmp_lt_u32_e32 vcc_lo, 20, v5
	s_or_b32 s5, vcc_lo, s5
	s_waitcnt vmcnt(1) lgkmcnt(0)
	v_mul_f32_e32 v125, v10, v11
	v_mul_f32_e32 v11, v9, v11
	s_waitcnt vmcnt(0)
	v_fma_f32 v9, v9, v12, -v125
	v_fmac_f32_e32 v11, v10, v12
	v_add_f32_e32 v8, v8, v9
	v_add_f32_e32 v2, v2, v11
	s_andn2_b32 exec_lo, exec_lo, s5
	s_cbranch_execnz .LBB119_101
; %bb.102:
	s_or_b32 exec_lo, exec_lo, s5
	v_mov_b32_e32 v5, 0
	ds_read_b64 v[5:6], v5 offset:176
	s_waitcnt lgkmcnt(0)
	v_mul_f32_e32 v7, v2, v6
	v_mul_f32_e32 v6, v8, v6
	v_fma_f32 v7, v8, v5, -v7
	v_fmac_f32_e32 v6, v2, v5
	buffer_store_dword v7, off, s[0:3], 0 offset:176
	buffer_store_dword v6, off, s[0:3], 0 offset:180
.LBB119_103:
	s_or_b32 exec_lo, exec_lo, s4
	s_waitcnt_vscnt null, 0x0
	s_barrier
	buffer_gl0_inv
	s_clause 0x1
	buffer_load_dword v5, off, s[0:3], 0 offset:184
	buffer_load_dword v6, off, s[0:3], 0 offset:188
	s_mov_b32 s4, exec_lo
	s_waitcnt vmcnt(0)
	ds_write_b64 v4, v[5:6]
	s_waitcnt lgkmcnt(0)
	s_barrier
	buffer_gl0_inv
	v_cmpx_gt_u32_e32 23, v0
	s_cbranch_execz .LBB119_107
; %bb.104:
	v_add_nc_u32_e32 v5, -1, v0
	v_add_nc_u32_e32 v6, 0x1c0, v3
	v_mov_b32_e32 v7, v3
	v_mov_b32_e32 v2, 0
	;; [unrolled: 1-line block ×3, first 2 shown]
	s_mov_b32 s5, 0
	.p2align	6
.LBB119_105:                            ; =>This Inner Loop Header: Depth=1
	s_clause 0x1
	buffer_load_dword v11, v7, s[0:3], 0 offen offset:4
	buffer_load_dword v12, v7, s[0:3], 0 offen
	ds_read_b64 v[9:10], v6
	v_add_nc_u32_e32 v5, 1, v5
	v_add_nc_u32_e32 v6, 8, v6
	;; [unrolled: 1-line block ×3, first 2 shown]
	v_cmp_lt_u32_e32 vcc_lo, 21, v5
	s_or_b32 s5, vcc_lo, s5
	s_waitcnt vmcnt(1) lgkmcnt(0)
	v_mul_f32_e32 v125, v10, v11
	v_mul_f32_e32 v11, v9, v11
	s_waitcnt vmcnt(0)
	v_fma_f32 v9, v9, v12, -v125
	v_fmac_f32_e32 v11, v10, v12
	v_add_f32_e32 v8, v8, v9
	v_add_f32_e32 v2, v2, v11
	s_andn2_b32 exec_lo, exec_lo, s5
	s_cbranch_execnz .LBB119_105
; %bb.106:
	s_or_b32 exec_lo, exec_lo, s5
	v_mov_b32_e32 v5, 0
	ds_read_b64 v[5:6], v5 offset:184
	s_waitcnt lgkmcnt(0)
	v_mul_f32_e32 v7, v2, v6
	v_mul_f32_e32 v6, v8, v6
	v_fma_f32 v7, v8, v5, -v7
	v_fmac_f32_e32 v6, v2, v5
	buffer_store_dword v7, off, s[0:3], 0 offset:184
	buffer_store_dword v6, off, s[0:3], 0 offset:188
.LBB119_107:
	s_or_b32 exec_lo, exec_lo, s4
	s_waitcnt_vscnt null, 0x0
	s_barrier
	buffer_gl0_inv
	s_clause 0x1
	buffer_load_dword v5, off, s[0:3], 0 offset:192
	buffer_load_dword v6, off, s[0:3], 0 offset:196
	s_mov_b32 s4, exec_lo
	s_waitcnt vmcnt(0)
	ds_write_b64 v4, v[5:6]
	s_waitcnt lgkmcnt(0)
	s_barrier
	buffer_gl0_inv
	v_cmpx_gt_u32_e32 24, v0
	s_cbranch_execz .LBB119_111
; %bb.108:
	v_add_nc_u32_e32 v5, -1, v0
	v_add_nc_u32_e32 v6, 0x1c0, v3
	v_mov_b32_e32 v7, v3
	v_mov_b32_e32 v2, 0
	;; [unrolled: 1-line block ×3, first 2 shown]
	s_mov_b32 s5, 0
	.p2align	6
.LBB119_109:                            ; =>This Inner Loop Header: Depth=1
	s_clause 0x1
	buffer_load_dword v11, v7, s[0:3], 0 offen offset:4
	buffer_load_dword v12, v7, s[0:3], 0 offen
	ds_read_b64 v[9:10], v6
	v_add_nc_u32_e32 v5, 1, v5
	v_add_nc_u32_e32 v6, 8, v6
	;; [unrolled: 1-line block ×3, first 2 shown]
	v_cmp_lt_u32_e32 vcc_lo, 22, v5
	s_or_b32 s5, vcc_lo, s5
	s_waitcnt vmcnt(1) lgkmcnt(0)
	v_mul_f32_e32 v125, v10, v11
	v_mul_f32_e32 v11, v9, v11
	s_waitcnt vmcnt(0)
	v_fma_f32 v9, v9, v12, -v125
	v_fmac_f32_e32 v11, v10, v12
	v_add_f32_e32 v8, v8, v9
	v_add_f32_e32 v2, v2, v11
	s_andn2_b32 exec_lo, exec_lo, s5
	s_cbranch_execnz .LBB119_109
; %bb.110:
	s_or_b32 exec_lo, exec_lo, s5
	v_mov_b32_e32 v5, 0
	ds_read_b64 v[5:6], v5 offset:192
	s_waitcnt lgkmcnt(0)
	v_mul_f32_e32 v7, v2, v6
	v_mul_f32_e32 v6, v8, v6
	v_fma_f32 v7, v8, v5, -v7
	v_fmac_f32_e32 v6, v2, v5
	buffer_store_dword v7, off, s[0:3], 0 offset:192
	buffer_store_dword v6, off, s[0:3], 0 offset:196
.LBB119_111:
	s_or_b32 exec_lo, exec_lo, s4
	s_waitcnt_vscnt null, 0x0
	s_barrier
	buffer_gl0_inv
	s_clause 0x1
	buffer_load_dword v5, off, s[0:3], 0 offset:200
	buffer_load_dword v6, off, s[0:3], 0 offset:204
	s_mov_b32 s4, exec_lo
	s_waitcnt vmcnt(0)
	ds_write_b64 v4, v[5:6]
	s_waitcnt lgkmcnt(0)
	s_barrier
	buffer_gl0_inv
	v_cmpx_gt_u32_e32 25, v0
	s_cbranch_execz .LBB119_115
; %bb.112:
	v_add_nc_u32_e32 v5, -1, v0
	v_add_nc_u32_e32 v6, 0x1c0, v3
	v_mov_b32_e32 v7, v3
	v_mov_b32_e32 v2, 0
	;; [unrolled: 1-line block ×3, first 2 shown]
	s_mov_b32 s5, 0
	.p2align	6
.LBB119_113:                            ; =>This Inner Loop Header: Depth=1
	s_clause 0x1
	buffer_load_dword v11, v7, s[0:3], 0 offen offset:4
	buffer_load_dword v12, v7, s[0:3], 0 offen
	ds_read_b64 v[9:10], v6
	v_add_nc_u32_e32 v5, 1, v5
	v_add_nc_u32_e32 v6, 8, v6
	;; [unrolled: 1-line block ×3, first 2 shown]
	v_cmp_lt_u32_e32 vcc_lo, 23, v5
	s_or_b32 s5, vcc_lo, s5
	s_waitcnt vmcnt(1) lgkmcnt(0)
	v_mul_f32_e32 v125, v10, v11
	v_mul_f32_e32 v11, v9, v11
	s_waitcnt vmcnt(0)
	v_fma_f32 v9, v9, v12, -v125
	v_fmac_f32_e32 v11, v10, v12
	v_add_f32_e32 v8, v8, v9
	v_add_f32_e32 v2, v2, v11
	s_andn2_b32 exec_lo, exec_lo, s5
	s_cbranch_execnz .LBB119_113
; %bb.114:
	s_or_b32 exec_lo, exec_lo, s5
	v_mov_b32_e32 v5, 0
	ds_read_b64 v[5:6], v5 offset:200
	s_waitcnt lgkmcnt(0)
	v_mul_f32_e32 v7, v2, v6
	v_mul_f32_e32 v6, v8, v6
	v_fma_f32 v7, v8, v5, -v7
	v_fmac_f32_e32 v6, v2, v5
	buffer_store_dword v7, off, s[0:3], 0 offset:200
	buffer_store_dword v6, off, s[0:3], 0 offset:204
.LBB119_115:
	s_or_b32 exec_lo, exec_lo, s4
	s_waitcnt_vscnt null, 0x0
	s_barrier
	buffer_gl0_inv
	s_clause 0x1
	buffer_load_dword v5, off, s[0:3], 0 offset:208
	buffer_load_dword v6, off, s[0:3], 0 offset:212
	s_mov_b32 s4, exec_lo
	s_waitcnt vmcnt(0)
	ds_write_b64 v4, v[5:6]
	s_waitcnt lgkmcnt(0)
	s_barrier
	buffer_gl0_inv
	v_cmpx_gt_u32_e32 26, v0
	s_cbranch_execz .LBB119_119
; %bb.116:
	v_add_nc_u32_e32 v5, -1, v0
	v_add_nc_u32_e32 v6, 0x1c0, v3
	v_mov_b32_e32 v7, v3
	v_mov_b32_e32 v2, 0
	;; [unrolled: 1-line block ×3, first 2 shown]
	s_mov_b32 s5, 0
	.p2align	6
.LBB119_117:                            ; =>This Inner Loop Header: Depth=1
	s_clause 0x1
	buffer_load_dword v11, v7, s[0:3], 0 offen offset:4
	buffer_load_dword v12, v7, s[0:3], 0 offen
	ds_read_b64 v[9:10], v6
	v_add_nc_u32_e32 v5, 1, v5
	v_add_nc_u32_e32 v6, 8, v6
	;; [unrolled: 1-line block ×3, first 2 shown]
	v_cmp_lt_u32_e32 vcc_lo, 24, v5
	s_or_b32 s5, vcc_lo, s5
	s_waitcnt vmcnt(1) lgkmcnt(0)
	v_mul_f32_e32 v125, v10, v11
	v_mul_f32_e32 v11, v9, v11
	s_waitcnt vmcnt(0)
	v_fma_f32 v9, v9, v12, -v125
	v_fmac_f32_e32 v11, v10, v12
	v_add_f32_e32 v8, v8, v9
	v_add_f32_e32 v2, v2, v11
	s_andn2_b32 exec_lo, exec_lo, s5
	s_cbranch_execnz .LBB119_117
; %bb.118:
	s_or_b32 exec_lo, exec_lo, s5
	v_mov_b32_e32 v5, 0
	ds_read_b64 v[5:6], v5 offset:208
	s_waitcnt lgkmcnt(0)
	v_mul_f32_e32 v7, v2, v6
	v_mul_f32_e32 v6, v8, v6
	v_fma_f32 v7, v8, v5, -v7
	v_fmac_f32_e32 v6, v2, v5
	buffer_store_dword v7, off, s[0:3], 0 offset:208
	buffer_store_dword v6, off, s[0:3], 0 offset:212
.LBB119_119:
	s_or_b32 exec_lo, exec_lo, s4
	s_waitcnt_vscnt null, 0x0
	s_barrier
	buffer_gl0_inv
	s_clause 0x1
	buffer_load_dword v5, off, s[0:3], 0 offset:216
	buffer_load_dword v6, off, s[0:3], 0 offset:220
	s_mov_b32 s4, exec_lo
	s_waitcnt vmcnt(0)
	ds_write_b64 v4, v[5:6]
	s_waitcnt lgkmcnt(0)
	s_barrier
	buffer_gl0_inv
	v_cmpx_gt_u32_e32 27, v0
	s_cbranch_execz .LBB119_123
; %bb.120:
	v_add_nc_u32_e32 v5, -1, v0
	v_add_nc_u32_e32 v6, 0x1c0, v3
	v_mov_b32_e32 v7, v3
	v_mov_b32_e32 v2, 0
	;; [unrolled: 1-line block ×3, first 2 shown]
	s_mov_b32 s5, 0
	.p2align	6
.LBB119_121:                            ; =>This Inner Loop Header: Depth=1
	s_clause 0x1
	buffer_load_dword v11, v7, s[0:3], 0 offen offset:4
	buffer_load_dword v12, v7, s[0:3], 0 offen
	ds_read_b64 v[9:10], v6
	v_add_nc_u32_e32 v5, 1, v5
	v_add_nc_u32_e32 v6, 8, v6
	;; [unrolled: 1-line block ×3, first 2 shown]
	v_cmp_lt_u32_e32 vcc_lo, 25, v5
	s_or_b32 s5, vcc_lo, s5
	s_waitcnt vmcnt(1) lgkmcnt(0)
	v_mul_f32_e32 v125, v10, v11
	v_mul_f32_e32 v11, v9, v11
	s_waitcnt vmcnt(0)
	v_fma_f32 v9, v9, v12, -v125
	v_fmac_f32_e32 v11, v10, v12
	v_add_f32_e32 v8, v8, v9
	v_add_f32_e32 v2, v2, v11
	s_andn2_b32 exec_lo, exec_lo, s5
	s_cbranch_execnz .LBB119_121
; %bb.122:
	s_or_b32 exec_lo, exec_lo, s5
	v_mov_b32_e32 v5, 0
	ds_read_b64 v[5:6], v5 offset:216
	s_waitcnt lgkmcnt(0)
	v_mul_f32_e32 v7, v2, v6
	v_mul_f32_e32 v6, v8, v6
	v_fma_f32 v7, v8, v5, -v7
	v_fmac_f32_e32 v6, v2, v5
	buffer_store_dword v7, off, s[0:3], 0 offset:216
	buffer_store_dword v6, off, s[0:3], 0 offset:220
.LBB119_123:
	s_or_b32 exec_lo, exec_lo, s4
	s_waitcnt_vscnt null, 0x0
	s_barrier
	buffer_gl0_inv
	s_clause 0x1
	buffer_load_dword v5, off, s[0:3], 0 offset:224
	buffer_load_dword v6, off, s[0:3], 0 offset:228
	s_mov_b32 s4, exec_lo
	s_waitcnt vmcnt(0)
	ds_write_b64 v4, v[5:6]
	s_waitcnt lgkmcnt(0)
	s_barrier
	buffer_gl0_inv
	v_cmpx_gt_u32_e32 28, v0
	s_cbranch_execz .LBB119_127
; %bb.124:
	v_add_nc_u32_e32 v5, -1, v0
	v_add_nc_u32_e32 v6, 0x1c0, v3
	v_mov_b32_e32 v7, v3
	v_mov_b32_e32 v2, 0
	;; [unrolled: 1-line block ×3, first 2 shown]
	s_mov_b32 s5, 0
	.p2align	6
.LBB119_125:                            ; =>This Inner Loop Header: Depth=1
	s_clause 0x1
	buffer_load_dword v11, v7, s[0:3], 0 offen offset:4
	buffer_load_dword v12, v7, s[0:3], 0 offen
	ds_read_b64 v[9:10], v6
	v_add_nc_u32_e32 v5, 1, v5
	v_add_nc_u32_e32 v6, 8, v6
	;; [unrolled: 1-line block ×3, first 2 shown]
	v_cmp_lt_u32_e32 vcc_lo, 26, v5
	s_or_b32 s5, vcc_lo, s5
	s_waitcnt vmcnt(1) lgkmcnt(0)
	v_mul_f32_e32 v125, v10, v11
	v_mul_f32_e32 v11, v9, v11
	s_waitcnt vmcnt(0)
	v_fma_f32 v9, v9, v12, -v125
	v_fmac_f32_e32 v11, v10, v12
	v_add_f32_e32 v8, v8, v9
	v_add_f32_e32 v2, v2, v11
	s_andn2_b32 exec_lo, exec_lo, s5
	s_cbranch_execnz .LBB119_125
; %bb.126:
	s_or_b32 exec_lo, exec_lo, s5
	v_mov_b32_e32 v5, 0
	ds_read_b64 v[5:6], v5 offset:224
	s_waitcnt lgkmcnt(0)
	v_mul_f32_e32 v7, v2, v6
	v_mul_f32_e32 v6, v8, v6
	v_fma_f32 v7, v8, v5, -v7
	v_fmac_f32_e32 v6, v2, v5
	buffer_store_dword v7, off, s[0:3], 0 offset:224
	buffer_store_dword v6, off, s[0:3], 0 offset:228
.LBB119_127:
	s_or_b32 exec_lo, exec_lo, s4
	s_waitcnt_vscnt null, 0x0
	s_barrier
	buffer_gl0_inv
	s_clause 0x1
	buffer_load_dword v5, off, s[0:3], 0 offset:232
	buffer_load_dword v6, off, s[0:3], 0 offset:236
	s_mov_b32 s4, exec_lo
	s_waitcnt vmcnt(0)
	ds_write_b64 v4, v[5:6]
	s_waitcnt lgkmcnt(0)
	s_barrier
	buffer_gl0_inv
	v_cmpx_gt_u32_e32 29, v0
	s_cbranch_execz .LBB119_131
; %bb.128:
	v_add_nc_u32_e32 v5, -1, v0
	v_add_nc_u32_e32 v6, 0x1c0, v3
	v_mov_b32_e32 v7, v3
	v_mov_b32_e32 v2, 0
	;; [unrolled: 1-line block ×3, first 2 shown]
	s_mov_b32 s5, 0
	.p2align	6
.LBB119_129:                            ; =>This Inner Loop Header: Depth=1
	s_clause 0x1
	buffer_load_dword v11, v7, s[0:3], 0 offen offset:4
	buffer_load_dword v12, v7, s[0:3], 0 offen
	ds_read_b64 v[9:10], v6
	v_add_nc_u32_e32 v5, 1, v5
	v_add_nc_u32_e32 v6, 8, v6
	;; [unrolled: 1-line block ×3, first 2 shown]
	v_cmp_lt_u32_e32 vcc_lo, 27, v5
	s_or_b32 s5, vcc_lo, s5
	s_waitcnt vmcnt(1) lgkmcnt(0)
	v_mul_f32_e32 v125, v10, v11
	v_mul_f32_e32 v11, v9, v11
	s_waitcnt vmcnt(0)
	v_fma_f32 v9, v9, v12, -v125
	v_fmac_f32_e32 v11, v10, v12
	v_add_f32_e32 v8, v8, v9
	v_add_f32_e32 v2, v2, v11
	s_andn2_b32 exec_lo, exec_lo, s5
	s_cbranch_execnz .LBB119_129
; %bb.130:
	s_or_b32 exec_lo, exec_lo, s5
	v_mov_b32_e32 v5, 0
	ds_read_b64 v[5:6], v5 offset:232
	s_waitcnt lgkmcnt(0)
	v_mul_f32_e32 v7, v2, v6
	v_mul_f32_e32 v6, v8, v6
	v_fma_f32 v7, v8, v5, -v7
	v_fmac_f32_e32 v6, v2, v5
	buffer_store_dword v7, off, s[0:3], 0 offset:232
	buffer_store_dword v6, off, s[0:3], 0 offset:236
.LBB119_131:
	s_or_b32 exec_lo, exec_lo, s4
	s_waitcnt_vscnt null, 0x0
	s_barrier
	buffer_gl0_inv
	s_clause 0x1
	buffer_load_dword v5, off, s[0:3], 0 offset:240
	buffer_load_dword v6, off, s[0:3], 0 offset:244
	s_mov_b32 s4, exec_lo
	s_waitcnt vmcnt(0)
	ds_write_b64 v4, v[5:6]
	s_waitcnt lgkmcnt(0)
	s_barrier
	buffer_gl0_inv
	v_cmpx_gt_u32_e32 30, v0
	s_cbranch_execz .LBB119_135
; %bb.132:
	v_add_nc_u32_e32 v5, -1, v0
	v_add_nc_u32_e32 v6, 0x1c0, v3
	v_mov_b32_e32 v7, v3
	v_mov_b32_e32 v2, 0
	;; [unrolled: 1-line block ×3, first 2 shown]
	s_mov_b32 s5, 0
	.p2align	6
.LBB119_133:                            ; =>This Inner Loop Header: Depth=1
	s_clause 0x1
	buffer_load_dword v11, v7, s[0:3], 0 offen offset:4
	buffer_load_dword v12, v7, s[0:3], 0 offen
	ds_read_b64 v[9:10], v6
	v_add_nc_u32_e32 v5, 1, v5
	v_add_nc_u32_e32 v6, 8, v6
	;; [unrolled: 1-line block ×3, first 2 shown]
	v_cmp_lt_u32_e32 vcc_lo, 28, v5
	s_or_b32 s5, vcc_lo, s5
	s_waitcnt vmcnt(1) lgkmcnt(0)
	v_mul_f32_e32 v125, v10, v11
	v_mul_f32_e32 v11, v9, v11
	s_waitcnt vmcnt(0)
	v_fma_f32 v9, v9, v12, -v125
	v_fmac_f32_e32 v11, v10, v12
	v_add_f32_e32 v8, v8, v9
	v_add_f32_e32 v2, v2, v11
	s_andn2_b32 exec_lo, exec_lo, s5
	s_cbranch_execnz .LBB119_133
; %bb.134:
	s_or_b32 exec_lo, exec_lo, s5
	v_mov_b32_e32 v5, 0
	ds_read_b64 v[5:6], v5 offset:240
	s_waitcnt lgkmcnt(0)
	v_mul_f32_e32 v7, v2, v6
	v_mul_f32_e32 v6, v8, v6
	v_fma_f32 v7, v8, v5, -v7
	v_fmac_f32_e32 v6, v2, v5
	buffer_store_dword v7, off, s[0:3], 0 offset:240
	buffer_store_dword v6, off, s[0:3], 0 offset:244
.LBB119_135:
	s_or_b32 exec_lo, exec_lo, s4
	s_waitcnt_vscnt null, 0x0
	s_barrier
	buffer_gl0_inv
	s_clause 0x1
	buffer_load_dword v5, off, s[0:3], 0 offset:248
	buffer_load_dword v6, off, s[0:3], 0 offset:252
	s_mov_b32 s4, exec_lo
	s_waitcnt vmcnt(0)
	ds_write_b64 v4, v[5:6]
	s_waitcnt lgkmcnt(0)
	s_barrier
	buffer_gl0_inv
	v_cmpx_gt_u32_e32 31, v0
	s_cbranch_execz .LBB119_139
; %bb.136:
	v_add_nc_u32_e32 v5, -1, v0
	v_add_nc_u32_e32 v6, 0x1c0, v3
	v_mov_b32_e32 v7, v3
	v_mov_b32_e32 v2, 0
	;; [unrolled: 1-line block ×3, first 2 shown]
	s_mov_b32 s5, 0
	.p2align	6
.LBB119_137:                            ; =>This Inner Loop Header: Depth=1
	s_clause 0x1
	buffer_load_dword v11, v7, s[0:3], 0 offen offset:4
	buffer_load_dword v12, v7, s[0:3], 0 offen
	ds_read_b64 v[9:10], v6
	v_add_nc_u32_e32 v5, 1, v5
	v_add_nc_u32_e32 v6, 8, v6
	;; [unrolled: 1-line block ×3, first 2 shown]
	v_cmp_lt_u32_e32 vcc_lo, 29, v5
	s_or_b32 s5, vcc_lo, s5
	s_waitcnt vmcnt(1) lgkmcnt(0)
	v_mul_f32_e32 v125, v10, v11
	v_mul_f32_e32 v11, v9, v11
	s_waitcnt vmcnt(0)
	v_fma_f32 v9, v9, v12, -v125
	v_fmac_f32_e32 v11, v10, v12
	v_add_f32_e32 v8, v8, v9
	v_add_f32_e32 v2, v2, v11
	s_andn2_b32 exec_lo, exec_lo, s5
	s_cbranch_execnz .LBB119_137
; %bb.138:
	s_or_b32 exec_lo, exec_lo, s5
	v_mov_b32_e32 v5, 0
	ds_read_b64 v[5:6], v5 offset:248
	s_waitcnt lgkmcnt(0)
	v_mul_f32_e32 v7, v2, v6
	v_mul_f32_e32 v6, v8, v6
	v_fma_f32 v7, v8, v5, -v7
	v_fmac_f32_e32 v6, v2, v5
	buffer_store_dword v7, off, s[0:3], 0 offset:248
	buffer_store_dword v6, off, s[0:3], 0 offset:252
.LBB119_139:
	s_or_b32 exec_lo, exec_lo, s4
	s_waitcnt_vscnt null, 0x0
	s_barrier
	buffer_gl0_inv
	s_clause 0x1
	buffer_load_dword v5, off, s[0:3], 0 offset:256
	buffer_load_dword v6, off, s[0:3], 0 offset:260
	s_mov_b32 s4, exec_lo
	s_waitcnt vmcnt(0)
	ds_write_b64 v4, v[5:6]
	s_waitcnt lgkmcnt(0)
	s_barrier
	buffer_gl0_inv
	v_cmpx_gt_u32_e32 32, v0
	s_cbranch_execz .LBB119_143
; %bb.140:
	v_add_nc_u32_e32 v5, -1, v0
	v_add_nc_u32_e32 v6, 0x1c0, v3
	v_mov_b32_e32 v7, v3
	v_mov_b32_e32 v2, 0
	;; [unrolled: 1-line block ×3, first 2 shown]
	s_mov_b32 s5, 0
	.p2align	6
.LBB119_141:                            ; =>This Inner Loop Header: Depth=1
	s_clause 0x1
	buffer_load_dword v11, v7, s[0:3], 0 offen offset:4
	buffer_load_dword v12, v7, s[0:3], 0 offen
	ds_read_b64 v[9:10], v6
	v_add_nc_u32_e32 v5, 1, v5
	v_add_nc_u32_e32 v6, 8, v6
	v_add_nc_u32_e32 v7, 8, v7
	v_cmp_lt_u32_e32 vcc_lo, 30, v5
	s_or_b32 s5, vcc_lo, s5
	s_waitcnt vmcnt(1) lgkmcnt(0)
	v_mul_f32_e32 v125, v10, v11
	v_mul_f32_e32 v11, v9, v11
	s_waitcnt vmcnt(0)
	v_fma_f32 v9, v9, v12, -v125
	v_fmac_f32_e32 v11, v10, v12
	v_add_f32_e32 v8, v8, v9
	v_add_f32_e32 v2, v2, v11
	s_andn2_b32 exec_lo, exec_lo, s5
	s_cbranch_execnz .LBB119_141
; %bb.142:
	s_or_b32 exec_lo, exec_lo, s5
	v_mov_b32_e32 v5, 0
	ds_read_b64 v[5:6], v5 offset:256
	s_waitcnt lgkmcnt(0)
	v_mul_f32_e32 v7, v2, v6
	v_mul_f32_e32 v6, v8, v6
	v_fma_f32 v7, v8, v5, -v7
	v_fmac_f32_e32 v6, v2, v5
	buffer_store_dword v7, off, s[0:3], 0 offset:256
	buffer_store_dword v6, off, s[0:3], 0 offset:260
.LBB119_143:
	s_or_b32 exec_lo, exec_lo, s4
	s_waitcnt_vscnt null, 0x0
	s_barrier
	buffer_gl0_inv
	s_clause 0x1
	buffer_load_dword v5, off, s[0:3], 0 offset:264
	buffer_load_dword v6, off, s[0:3], 0 offset:268
	s_mov_b32 s4, exec_lo
	s_waitcnt vmcnt(0)
	ds_write_b64 v4, v[5:6]
	s_waitcnt lgkmcnt(0)
	s_barrier
	buffer_gl0_inv
	v_cmpx_gt_u32_e32 33, v0
	s_cbranch_execz .LBB119_147
; %bb.144:
	v_add_nc_u32_e32 v5, -1, v0
	v_add_nc_u32_e32 v6, 0x1c0, v3
	v_mov_b32_e32 v7, v3
	v_mov_b32_e32 v2, 0
	v_mov_b32_e32 v8, 0
	s_mov_b32 s5, 0
	.p2align	6
.LBB119_145:                            ; =>This Inner Loop Header: Depth=1
	s_clause 0x1
	buffer_load_dword v11, v7, s[0:3], 0 offen offset:4
	buffer_load_dword v12, v7, s[0:3], 0 offen
	ds_read_b64 v[9:10], v6
	v_add_nc_u32_e32 v5, 1, v5
	v_add_nc_u32_e32 v6, 8, v6
	;; [unrolled: 1-line block ×3, first 2 shown]
	v_cmp_lt_u32_e32 vcc_lo, 31, v5
	s_or_b32 s5, vcc_lo, s5
	s_waitcnt vmcnt(1) lgkmcnt(0)
	v_mul_f32_e32 v125, v10, v11
	v_mul_f32_e32 v11, v9, v11
	s_waitcnt vmcnt(0)
	v_fma_f32 v9, v9, v12, -v125
	v_fmac_f32_e32 v11, v10, v12
	v_add_f32_e32 v8, v8, v9
	v_add_f32_e32 v2, v2, v11
	s_andn2_b32 exec_lo, exec_lo, s5
	s_cbranch_execnz .LBB119_145
; %bb.146:
	s_or_b32 exec_lo, exec_lo, s5
	v_mov_b32_e32 v5, 0
	ds_read_b64 v[5:6], v5 offset:264
	s_waitcnt lgkmcnt(0)
	v_mul_f32_e32 v7, v2, v6
	v_mul_f32_e32 v6, v8, v6
	v_fma_f32 v7, v8, v5, -v7
	v_fmac_f32_e32 v6, v2, v5
	buffer_store_dword v7, off, s[0:3], 0 offset:264
	buffer_store_dword v6, off, s[0:3], 0 offset:268
.LBB119_147:
	s_or_b32 exec_lo, exec_lo, s4
	s_waitcnt_vscnt null, 0x0
	s_barrier
	buffer_gl0_inv
	s_clause 0x1
	buffer_load_dword v5, off, s[0:3], 0 offset:272
	buffer_load_dword v6, off, s[0:3], 0 offset:276
	s_mov_b32 s4, exec_lo
	s_waitcnt vmcnt(0)
	ds_write_b64 v4, v[5:6]
	s_waitcnt lgkmcnt(0)
	s_barrier
	buffer_gl0_inv
	v_cmpx_gt_u32_e32 34, v0
	s_cbranch_execz .LBB119_151
; %bb.148:
	v_add_nc_u32_e32 v5, -1, v0
	v_add_nc_u32_e32 v6, 0x1c0, v3
	v_mov_b32_e32 v7, v3
	v_mov_b32_e32 v2, 0
	;; [unrolled: 1-line block ×3, first 2 shown]
	s_mov_b32 s5, 0
	.p2align	6
.LBB119_149:                            ; =>This Inner Loop Header: Depth=1
	s_clause 0x1
	buffer_load_dword v11, v7, s[0:3], 0 offen offset:4
	buffer_load_dword v12, v7, s[0:3], 0 offen
	ds_read_b64 v[9:10], v6
	v_add_nc_u32_e32 v5, 1, v5
	v_add_nc_u32_e32 v6, 8, v6
	;; [unrolled: 1-line block ×3, first 2 shown]
	v_cmp_lt_u32_e32 vcc_lo, 32, v5
	s_or_b32 s5, vcc_lo, s5
	s_waitcnt vmcnt(1) lgkmcnt(0)
	v_mul_f32_e32 v125, v10, v11
	v_mul_f32_e32 v11, v9, v11
	s_waitcnt vmcnt(0)
	v_fma_f32 v9, v9, v12, -v125
	v_fmac_f32_e32 v11, v10, v12
	v_add_f32_e32 v8, v8, v9
	v_add_f32_e32 v2, v2, v11
	s_andn2_b32 exec_lo, exec_lo, s5
	s_cbranch_execnz .LBB119_149
; %bb.150:
	s_or_b32 exec_lo, exec_lo, s5
	v_mov_b32_e32 v5, 0
	ds_read_b64 v[5:6], v5 offset:272
	s_waitcnt lgkmcnt(0)
	v_mul_f32_e32 v7, v2, v6
	v_mul_f32_e32 v6, v8, v6
	v_fma_f32 v7, v8, v5, -v7
	v_fmac_f32_e32 v6, v2, v5
	buffer_store_dword v7, off, s[0:3], 0 offset:272
	buffer_store_dword v6, off, s[0:3], 0 offset:276
.LBB119_151:
	s_or_b32 exec_lo, exec_lo, s4
	s_waitcnt_vscnt null, 0x0
	s_barrier
	buffer_gl0_inv
	s_clause 0x1
	buffer_load_dword v5, off, s[0:3], 0 offset:280
	buffer_load_dword v6, off, s[0:3], 0 offset:284
	s_mov_b32 s4, exec_lo
	s_waitcnt vmcnt(0)
	ds_write_b64 v4, v[5:6]
	s_waitcnt lgkmcnt(0)
	s_barrier
	buffer_gl0_inv
	v_cmpx_gt_u32_e32 35, v0
	s_cbranch_execz .LBB119_155
; %bb.152:
	v_add_nc_u32_e32 v5, -1, v0
	v_add_nc_u32_e32 v6, 0x1c0, v3
	v_mov_b32_e32 v7, v3
	v_mov_b32_e32 v2, 0
	;; [unrolled: 1-line block ×3, first 2 shown]
	s_mov_b32 s5, 0
	.p2align	6
.LBB119_153:                            ; =>This Inner Loop Header: Depth=1
	s_clause 0x1
	buffer_load_dword v11, v7, s[0:3], 0 offen offset:4
	buffer_load_dword v12, v7, s[0:3], 0 offen
	ds_read_b64 v[9:10], v6
	v_add_nc_u32_e32 v5, 1, v5
	v_add_nc_u32_e32 v6, 8, v6
	;; [unrolled: 1-line block ×3, first 2 shown]
	v_cmp_lt_u32_e32 vcc_lo, 33, v5
	s_or_b32 s5, vcc_lo, s5
	s_waitcnt vmcnt(1) lgkmcnt(0)
	v_mul_f32_e32 v125, v10, v11
	v_mul_f32_e32 v11, v9, v11
	s_waitcnt vmcnt(0)
	v_fma_f32 v9, v9, v12, -v125
	v_fmac_f32_e32 v11, v10, v12
	v_add_f32_e32 v8, v8, v9
	v_add_f32_e32 v2, v2, v11
	s_andn2_b32 exec_lo, exec_lo, s5
	s_cbranch_execnz .LBB119_153
; %bb.154:
	s_or_b32 exec_lo, exec_lo, s5
	v_mov_b32_e32 v5, 0
	ds_read_b64 v[5:6], v5 offset:280
	s_waitcnt lgkmcnt(0)
	v_mul_f32_e32 v7, v2, v6
	v_mul_f32_e32 v6, v8, v6
	v_fma_f32 v7, v8, v5, -v7
	v_fmac_f32_e32 v6, v2, v5
	buffer_store_dword v7, off, s[0:3], 0 offset:280
	buffer_store_dword v6, off, s[0:3], 0 offset:284
.LBB119_155:
	s_or_b32 exec_lo, exec_lo, s4
	s_waitcnt_vscnt null, 0x0
	s_barrier
	buffer_gl0_inv
	s_clause 0x1
	buffer_load_dword v5, off, s[0:3], 0 offset:288
	buffer_load_dword v6, off, s[0:3], 0 offset:292
	s_mov_b32 s4, exec_lo
	s_waitcnt vmcnt(0)
	ds_write_b64 v4, v[5:6]
	s_waitcnt lgkmcnt(0)
	s_barrier
	buffer_gl0_inv
	v_cmpx_gt_u32_e32 36, v0
	s_cbranch_execz .LBB119_159
; %bb.156:
	v_add_nc_u32_e32 v5, -1, v0
	v_add_nc_u32_e32 v6, 0x1c0, v3
	v_mov_b32_e32 v7, v3
	v_mov_b32_e32 v2, 0
	;; [unrolled: 1-line block ×3, first 2 shown]
	s_mov_b32 s5, 0
	.p2align	6
.LBB119_157:                            ; =>This Inner Loop Header: Depth=1
	s_clause 0x1
	buffer_load_dword v11, v7, s[0:3], 0 offen offset:4
	buffer_load_dword v12, v7, s[0:3], 0 offen
	ds_read_b64 v[9:10], v6
	v_add_nc_u32_e32 v5, 1, v5
	v_add_nc_u32_e32 v6, 8, v6
	;; [unrolled: 1-line block ×3, first 2 shown]
	v_cmp_lt_u32_e32 vcc_lo, 34, v5
	s_or_b32 s5, vcc_lo, s5
	s_waitcnt vmcnt(1) lgkmcnt(0)
	v_mul_f32_e32 v125, v10, v11
	v_mul_f32_e32 v11, v9, v11
	s_waitcnt vmcnt(0)
	v_fma_f32 v9, v9, v12, -v125
	v_fmac_f32_e32 v11, v10, v12
	v_add_f32_e32 v8, v8, v9
	v_add_f32_e32 v2, v2, v11
	s_andn2_b32 exec_lo, exec_lo, s5
	s_cbranch_execnz .LBB119_157
; %bb.158:
	s_or_b32 exec_lo, exec_lo, s5
	v_mov_b32_e32 v5, 0
	ds_read_b64 v[5:6], v5 offset:288
	s_waitcnt lgkmcnt(0)
	v_mul_f32_e32 v7, v2, v6
	v_mul_f32_e32 v6, v8, v6
	v_fma_f32 v7, v8, v5, -v7
	v_fmac_f32_e32 v6, v2, v5
	buffer_store_dword v7, off, s[0:3], 0 offset:288
	buffer_store_dword v6, off, s[0:3], 0 offset:292
.LBB119_159:
	s_or_b32 exec_lo, exec_lo, s4
	s_waitcnt_vscnt null, 0x0
	s_barrier
	buffer_gl0_inv
	s_clause 0x1
	buffer_load_dword v5, off, s[0:3], 0 offset:296
	buffer_load_dword v6, off, s[0:3], 0 offset:300
	s_mov_b32 s4, exec_lo
	s_waitcnt vmcnt(0)
	ds_write_b64 v4, v[5:6]
	s_waitcnt lgkmcnt(0)
	s_barrier
	buffer_gl0_inv
	v_cmpx_gt_u32_e32 37, v0
	s_cbranch_execz .LBB119_163
; %bb.160:
	v_add_nc_u32_e32 v5, -1, v0
	v_add_nc_u32_e32 v6, 0x1c0, v3
	v_mov_b32_e32 v7, v3
	v_mov_b32_e32 v2, 0
	;; [unrolled: 1-line block ×3, first 2 shown]
	s_mov_b32 s5, 0
	.p2align	6
.LBB119_161:                            ; =>This Inner Loop Header: Depth=1
	s_clause 0x1
	buffer_load_dword v11, v7, s[0:3], 0 offen offset:4
	buffer_load_dword v12, v7, s[0:3], 0 offen
	ds_read_b64 v[9:10], v6
	v_add_nc_u32_e32 v5, 1, v5
	v_add_nc_u32_e32 v6, 8, v6
	;; [unrolled: 1-line block ×3, first 2 shown]
	v_cmp_lt_u32_e32 vcc_lo, 35, v5
	s_or_b32 s5, vcc_lo, s5
	s_waitcnt vmcnt(1) lgkmcnt(0)
	v_mul_f32_e32 v125, v10, v11
	v_mul_f32_e32 v11, v9, v11
	s_waitcnt vmcnt(0)
	v_fma_f32 v9, v9, v12, -v125
	v_fmac_f32_e32 v11, v10, v12
	v_add_f32_e32 v8, v8, v9
	v_add_f32_e32 v2, v2, v11
	s_andn2_b32 exec_lo, exec_lo, s5
	s_cbranch_execnz .LBB119_161
; %bb.162:
	s_or_b32 exec_lo, exec_lo, s5
	v_mov_b32_e32 v5, 0
	ds_read_b64 v[5:6], v5 offset:296
	s_waitcnt lgkmcnt(0)
	v_mul_f32_e32 v7, v2, v6
	v_mul_f32_e32 v6, v8, v6
	v_fma_f32 v7, v8, v5, -v7
	v_fmac_f32_e32 v6, v2, v5
	buffer_store_dword v7, off, s[0:3], 0 offset:296
	buffer_store_dword v6, off, s[0:3], 0 offset:300
.LBB119_163:
	s_or_b32 exec_lo, exec_lo, s4
	s_waitcnt_vscnt null, 0x0
	s_barrier
	buffer_gl0_inv
	s_clause 0x1
	buffer_load_dword v5, off, s[0:3], 0 offset:304
	buffer_load_dword v6, off, s[0:3], 0 offset:308
	s_mov_b32 s4, exec_lo
	s_waitcnt vmcnt(0)
	ds_write_b64 v4, v[5:6]
	s_waitcnt lgkmcnt(0)
	s_barrier
	buffer_gl0_inv
	v_cmpx_gt_u32_e32 38, v0
	s_cbranch_execz .LBB119_167
; %bb.164:
	v_add_nc_u32_e32 v5, -1, v0
	v_add_nc_u32_e32 v6, 0x1c0, v3
	v_mov_b32_e32 v7, v3
	v_mov_b32_e32 v2, 0
	v_mov_b32_e32 v8, 0
	s_mov_b32 s5, 0
	.p2align	6
.LBB119_165:                            ; =>This Inner Loop Header: Depth=1
	s_clause 0x1
	buffer_load_dword v11, v7, s[0:3], 0 offen offset:4
	buffer_load_dword v12, v7, s[0:3], 0 offen
	ds_read_b64 v[9:10], v6
	v_add_nc_u32_e32 v5, 1, v5
	v_add_nc_u32_e32 v6, 8, v6
	;; [unrolled: 1-line block ×3, first 2 shown]
	v_cmp_lt_u32_e32 vcc_lo, 36, v5
	s_or_b32 s5, vcc_lo, s5
	s_waitcnt vmcnt(1) lgkmcnt(0)
	v_mul_f32_e32 v125, v10, v11
	v_mul_f32_e32 v11, v9, v11
	s_waitcnt vmcnt(0)
	v_fma_f32 v9, v9, v12, -v125
	v_fmac_f32_e32 v11, v10, v12
	v_add_f32_e32 v8, v8, v9
	v_add_f32_e32 v2, v2, v11
	s_andn2_b32 exec_lo, exec_lo, s5
	s_cbranch_execnz .LBB119_165
; %bb.166:
	s_or_b32 exec_lo, exec_lo, s5
	v_mov_b32_e32 v5, 0
	ds_read_b64 v[5:6], v5 offset:304
	s_waitcnt lgkmcnt(0)
	v_mul_f32_e32 v7, v2, v6
	v_mul_f32_e32 v6, v8, v6
	v_fma_f32 v7, v8, v5, -v7
	v_fmac_f32_e32 v6, v2, v5
	buffer_store_dword v7, off, s[0:3], 0 offset:304
	buffer_store_dword v6, off, s[0:3], 0 offset:308
.LBB119_167:
	s_or_b32 exec_lo, exec_lo, s4
	s_waitcnt_vscnt null, 0x0
	s_barrier
	buffer_gl0_inv
	s_clause 0x1
	buffer_load_dword v5, off, s[0:3], 0 offset:312
	buffer_load_dword v6, off, s[0:3], 0 offset:316
	s_mov_b32 s4, exec_lo
	s_waitcnt vmcnt(0)
	ds_write_b64 v4, v[5:6]
	s_waitcnt lgkmcnt(0)
	s_barrier
	buffer_gl0_inv
	v_cmpx_gt_u32_e32 39, v0
	s_cbranch_execz .LBB119_171
; %bb.168:
	v_add_nc_u32_e32 v5, -1, v0
	v_add_nc_u32_e32 v6, 0x1c0, v3
	v_mov_b32_e32 v7, v3
	v_mov_b32_e32 v2, 0
	;; [unrolled: 1-line block ×3, first 2 shown]
	s_mov_b32 s5, 0
	.p2align	6
.LBB119_169:                            ; =>This Inner Loop Header: Depth=1
	s_clause 0x1
	buffer_load_dword v11, v7, s[0:3], 0 offen offset:4
	buffer_load_dword v12, v7, s[0:3], 0 offen
	ds_read_b64 v[9:10], v6
	v_add_nc_u32_e32 v5, 1, v5
	v_add_nc_u32_e32 v6, 8, v6
	;; [unrolled: 1-line block ×3, first 2 shown]
	v_cmp_lt_u32_e32 vcc_lo, 37, v5
	s_or_b32 s5, vcc_lo, s5
	s_waitcnt vmcnt(1) lgkmcnt(0)
	v_mul_f32_e32 v125, v10, v11
	v_mul_f32_e32 v11, v9, v11
	s_waitcnt vmcnt(0)
	v_fma_f32 v9, v9, v12, -v125
	v_fmac_f32_e32 v11, v10, v12
	v_add_f32_e32 v8, v8, v9
	v_add_f32_e32 v2, v2, v11
	s_andn2_b32 exec_lo, exec_lo, s5
	s_cbranch_execnz .LBB119_169
; %bb.170:
	s_or_b32 exec_lo, exec_lo, s5
	v_mov_b32_e32 v5, 0
	ds_read_b64 v[5:6], v5 offset:312
	s_waitcnt lgkmcnt(0)
	v_mul_f32_e32 v7, v2, v6
	v_mul_f32_e32 v6, v8, v6
	v_fma_f32 v7, v8, v5, -v7
	v_fmac_f32_e32 v6, v2, v5
	buffer_store_dword v7, off, s[0:3], 0 offset:312
	buffer_store_dword v6, off, s[0:3], 0 offset:316
.LBB119_171:
	s_or_b32 exec_lo, exec_lo, s4
	s_waitcnt_vscnt null, 0x0
	s_barrier
	buffer_gl0_inv
	s_clause 0x1
	buffer_load_dword v5, off, s[0:3], 0 offset:320
	buffer_load_dword v6, off, s[0:3], 0 offset:324
	s_mov_b32 s4, exec_lo
	s_waitcnt vmcnt(0)
	ds_write_b64 v4, v[5:6]
	s_waitcnt lgkmcnt(0)
	s_barrier
	buffer_gl0_inv
	v_cmpx_gt_u32_e32 40, v0
	s_cbranch_execz .LBB119_175
; %bb.172:
	v_add_nc_u32_e32 v5, -1, v0
	v_add_nc_u32_e32 v6, 0x1c0, v3
	v_mov_b32_e32 v7, v3
	v_mov_b32_e32 v2, 0
	;; [unrolled: 1-line block ×3, first 2 shown]
	s_mov_b32 s5, 0
	.p2align	6
.LBB119_173:                            ; =>This Inner Loop Header: Depth=1
	s_clause 0x1
	buffer_load_dword v11, v7, s[0:3], 0 offen offset:4
	buffer_load_dword v12, v7, s[0:3], 0 offen
	ds_read_b64 v[9:10], v6
	v_add_nc_u32_e32 v5, 1, v5
	v_add_nc_u32_e32 v6, 8, v6
	;; [unrolled: 1-line block ×3, first 2 shown]
	v_cmp_lt_u32_e32 vcc_lo, 38, v5
	s_or_b32 s5, vcc_lo, s5
	s_waitcnt vmcnt(1) lgkmcnt(0)
	v_mul_f32_e32 v125, v10, v11
	v_mul_f32_e32 v11, v9, v11
	s_waitcnt vmcnt(0)
	v_fma_f32 v9, v9, v12, -v125
	v_fmac_f32_e32 v11, v10, v12
	v_add_f32_e32 v8, v8, v9
	v_add_f32_e32 v2, v2, v11
	s_andn2_b32 exec_lo, exec_lo, s5
	s_cbranch_execnz .LBB119_173
; %bb.174:
	s_or_b32 exec_lo, exec_lo, s5
	v_mov_b32_e32 v5, 0
	ds_read_b64 v[5:6], v5 offset:320
	s_waitcnt lgkmcnt(0)
	v_mul_f32_e32 v7, v2, v6
	v_mul_f32_e32 v6, v8, v6
	v_fma_f32 v7, v8, v5, -v7
	v_fmac_f32_e32 v6, v2, v5
	buffer_store_dword v7, off, s[0:3], 0 offset:320
	buffer_store_dword v6, off, s[0:3], 0 offset:324
.LBB119_175:
	s_or_b32 exec_lo, exec_lo, s4
	s_waitcnt_vscnt null, 0x0
	s_barrier
	buffer_gl0_inv
	s_clause 0x1
	buffer_load_dword v5, off, s[0:3], 0 offset:328
	buffer_load_dword v6, off, s[0:3], 0 offset:332
	s_mov_b32 s4, exec_lo
	s_waitcnt vmcnt(0)
	ds_write_b64 v4, v[5:6]
	s_waitcnt lgkmcnt(0)
	s_barrier
	buffer_gl0_inv
	v_cmpx_gt_u32_e32 41, v0
	s_cbranch_execz .LBB119_179
; %bb.176:
	v_add_nc_u32_e32 v5, -1, v0
	v_add_nc_u32_e32 v6, 0x1c0, v3
	v_mov_b32_e32 v7, v3
	v_mov_b32_e32 v2, 0
	;; [unrolled: 1-line block ×3, first 2 shown]
	s_mov_b32 s5, 0
	.p2align	6
.LBB119_177:                            ; =>This Inner Loop Header: Depth=1
	s_clause 0x1
	buffer_load_dword v11, v7, s[0:3], 0 offen offset:4
	buffer_load_dword v12, v7, s[0:3], 0 offen
	ds_read_b64 v[9:10], v6
	v_add_nc_u32_e32 v5, 1, v5
	v_add_nc_u32_e32 v6, 8, v6
	;; [unrolled: 1-line block ×3, first 2 shown]
	v_cmp_lt_u32_e32 vcc_lo, 39, v5
	s_or_b32 s5, vcc_lo, s5
	s_waitcnt vmcnt(1) lgkmcnt(0)
	v_mul_f32_e32 v125, v10, v11
	v_mul_f32_e32 v11, v9, v11
	s_waitcnt vmcnt(0)
	v_fma_f32 v9, v9, v12, -v125
	v_fmac_f32_e32 v11, v10, v12
	v_add_f32_e32 v8, v8, v9
	v_add_f32_e32 v2, v2, v11
	s_andn2_b32 exec_lo, exec_lo, s5
	s_cbranch_execnz .LBB119_177
; %bb.178:
	s_or_b32 exec_lo, exec_lo, s5
	v_mov_b32_e32 v5, 0
	ds_read_b64 v[5:6], v5 offset:328
	s_waitcnt lgkmcnt(0)
	v_mul_f32_e32 v7, v2, v6
	v_mul_f32_e32 v6, v8, v6
	v_fma_f32 v7, v8, v5, -v7
	v_fmac_f32_e32 v6, v2, v5
	buffer_store_dword v7, off, s[0:3], 0 offset:328
	buffer_store_dword v6, off, s[0:3], 0 offset:332
.LBB119_179:
	s_or_b32 exec_lo, exec_lo, s4
	s_waitcnt_vscnt null, 0x0
	s_barrier
	buffer_gl0_inv
	s_clause 0x1
	buffer_load_dword v5, off, s[0:3], 0 offset:336
	buffer_load_dword v6, off, s[0:3], 0 offset:340
	s_mov_b32 s4, exec_lo
	s_waitcnt vmcnt(0)
	ds_write_b64 v4, v[5:6]
	s_waitcnt lgkmcnt(0)
	s_barrier
	buffer_gl0_inv
	v_cmpx_gt_u32_e32 42, v0
	s_cbranch_execz .LBB119_183
; %bb.180:
	v_add_nc_u32_e32 v5, -1, v0
	v_add_nc_u32_e32 v6, 0x1c0, v3
	v_mov_b32_e32 v7, v3
	v_mov_b32_e32 v2, 0
	;; [unrolled: 1-line block ×3, first 2 shown]
	s_mov_b32 s5, 0
	.p2align	6
.LBB119_181:                            ; =>This Inner Loop Header: Depth=1
	s_clause 0x1
	buffer_load_dword v11, v7, s[0:3], 0 offen offset:4
	buffer_load_dword v12, v7, s[0:3], 0 offen
	ds_read_b64 v[9:10], v6
	v_add_nc_u32_e32 v5, 1, v5
	v_add_nc_u32_e32 v6, 8, v6
	v_add_nc_u32_e32 v7, 8, v7
	v_cmp_lt_u32_e32 vcc_lo, 40, v5
	s_or_b32 s5, vcc_lo, s5
	s_waitcnt vmcnt(1) lgkmcnt(0)
	v_mul_f32_e32 v125, v10, v11
	v_mul_f32_e32 v11, v9, v11
	s_waitcnt vmcnt(0)
	v_fma_f32 v9, v9, v12, -v125
	v_fmac_f32_e32 v11, v10, v12
	v_add_f32_e32 v8, v8, v9
	v_add_f32_e32 v2, v2, v11
	s_andn2_b32 exec_lo, exec_lo, s5
	s_cbranch_execnz .LBB119_181
; %bb.182:
	s_or_b32 exec_lo, exec_lo, s5
	v_mov_b32_e32 v5, 0
	ds_read_b64 v[5:6], v5 offset:336
	s_waitcnt lgkmcnt(0)
	v_mul_f32_e32 v7, v2, v6
	v_mul_f32_e32 v6, v8, v6
	v_fma_f32 v7, v8, v5, -v7
	v_fmac_f32_e32 v6, v2, v5
	buffer_store_dword v7, off, s[0:3], 0 offset:336
	buffer_store_dword v6, off, s[0:3], 0 offset:340
.LBB119_183:
	s_or_b32 exec_lo, exec_lo, s4
	s_waitcnt_vscnt null, 0x0
	s_barrier
	buffer_gl0_inv
	s_clause 0x1
	buffer_load_dword v5, off, s[0:3], 0 offset:344
	buffer_load_dword v6, off, s[0:3], 0 offset:348
	s_mov_b32 s4, exec_lo
	s_waitcnt vmcnt(0)
	ds_write_b64 v4, v[5:6]
	s_waitcnt lgkmcnt(0)
	s_barrier
	buffer_gl0_inv
	v_cmpx_gt_u32_e32 43, v0
	s_cbranch_execz .LBB119_187
; %bb.184:
	v_add_nc_u32_e32 v5, -1, v0
	v_add_nc_u32_e32 v6, 0x1c0, v3
	v_mov_b32_e32 v7, v3
	v_mov_b32_e32 v2, 0
	;; [unrolled: 1-line block ×3, first 2 shown]
	s_mov_b32 s5, 0
	.p2align	6
.LBB119_185:                            ; =>This Inner Loop Header: Depth=1
	s_clause 0x1
	buffer_load_dword v11, v7, s[0:3], 0 offen offset:4
	buffer_load_dword v12, v7, s[0:3], 0 offen
	ds_read_b64 v[9:10], v6
	v_add_nc_u32_e32 v5, 1, v5
	v_add_nc_u32_e32 v6, 8, v6
	;; [unrolled: 1-line block ×3, first 2 shown]
	v_cmp_lt_u32_e32 vcc_lo, 41, v5
	s_or_b32 s5, vcc_lo, s5
	s_waitcnt vmcnt(1) lgkmcnt(0)
	v_mul_f32_e32 v125, v10, v11
	v_mul_f32_e32 v11, v9, v11
	s_waitcnt vmcnt(0)
	v_fma_f32 v9, v9, v12, -v125
	v_fmac_f32_e32 v11, v10, v12
	v_add_f32_e32 v8, v8, v9
	v_add_f32_e32 v2, v2, v11
	s_andn2_b32 exec_lo, exec_lo, s5
	s_cbranch_execnz .LBB119_185
; %bb.186:
	s_or_b32 exec_lo, exec_lo, s5
	v_mov_b32_e32 v5, 0
	ds_read_b64 v[5:6], v5 offset:344
	s_waitcnt lgkmcnt(0)
	v_mul_f32_e32 v7, v2, v6
	v_mul_f32_e32 v6, v8, v6
	v_fma_f32 v7, v8, v5, -v7
	v_fmac_f32_e32 v6, v2, v5
	buffer_store_dword v7, off, s[0:3], 0 offset:344
	buffer_store_dword v6, off, s[0:3], 0 offset:348
.LBB119_187:
	s_or_b32 exec_lo, exec_lo, s4
	s_waitcnt_vscnt null, 0x0
	s_barrier
	buffer_gl0_inv
	s_clause 0x1
	buffer_load_dword v5, off, s[0:3], 0 offset:352
	buffer_load_dword v6, off, s[0:3], 0 offset:356
	s_mov_b32 s4, exec_lo
	s_waitcnt vmcnt(0)
	ds_write_b64 v4, v[5:6]
	s_waitcnt lgkmcnt(0)
	s_barrier
	buffer_gl0_inv
	v_cmpx_gt_u32_e32 44, v0
	s_cbranch_execz .LBB119_191
; %bb.188:
	v_add_nc_u32_e32 v5, -1, v0
	v_add_nc_u32_e32 v6, 0x1c0, v3
	v_mov_b32_e32 v7, v3
	v_mov_b32_e32 v2, 0
	;; [unrolled: 1-line block ×3, first 2 shown]
	s_mov_b32 s5, 0
	.p2align	6
.LBB119_189:                            ; =>This Inner Loop Header: Depth=1
	s_clause 0x1
	buffer_load_dword v11, v7, s[0:3], 0 offen offset:4
	buffer_load_dword v12, v7, s[0:3], 0 offen
	ds_read_b64 v[9:10], v6
	v_add_nc_u32_e32 v5, 1, v5
	v_add_nc_u32_e32 v6, 8, v6
	;; [unrolled: 1-line block ×3, first 2 shown]
	v_cmp_lt_u32_e32 vcc_lo, 42, v5
	s_or_b32 s5, vcc_lo, s5
	s_waitcnt vmcnt(1) lgkmcnt(0)
	v_mul_f32_e32 v125, v10, v11
	v_mul_f32_e32 v11, v9, v11
	s_waitcnt vmcnt(0)
	v_fma_f32 v9, v9, v12, -v125
	v_fmac_f32_e32 v11, v10, v12
	v_add_f32_e32 v8, v8, v9
	v_add_f32_e32 v2, v2, v11
	s_andn2_b32 exec_lo, exec_lo, s5
	s_cbranch_execnz .LBB119_189
; %bb.190:
	s_or_b32 exec_lo, exec_lo, s5
	v_mov_b32_e32 v5, 0
	ds_read_b64 v[5:6], v5 offset:352
	s_waitcnt lgkmcnt(0)
	v_mul_f32_e32 v7, v2, v6
	v_mul_f32_e32 v6, v8, v6
	v_fma_f32 v7, v8, v5, -v7
	v_fmac_f32_e32 v6, v2, v5
	buffer_store_dword v7, off, s[0:3], 0 offset:352
	buffer_store_dword v6, off, s[0:3], 0 offset:356
.LBB119_191:
	s_or_b32 exec_lo, exec_lo, s4
	s_waitcnt_vscnt null, 0x0
	s_barrier
	buffer_gl0_inv
	s_clause 0x1
	buffer_load_dword v5, off, s[0:3], 0 offset:360
	buffer_load_dword v6, off, s[0:3], 0 offset:364
	s_mov_b32 s4, exec_lo
	s_waitcnt vmcnt(0)
	ds_write_b64 v4, v[5:6]
	s_waitcnt lgkmcnt(0)
	s_barrier
	buffer_gl0_inv
	v_cmpx_gt_u32_e32 45, v0
	s_cbranch_execz .LBB119_195
; %bb.192:
	v_add_nc_u32_e32 v5, -1, v0
	v_add_nc_u32_e32 v6, 0x1c0, v3
	v_mov_b32_e32 v7, v3
	v_mov_b32_e32 v2, 0
	;; [unrolled: 1-line block ×3, first 2 shown]
	s_mov_b32 s5, 0
	.p2align	6
.LBB119_193:                            ; =>This Inner Loop Header: Depth=1
	s_clause 0x1
	buffer_load_dword v11, v7, s[0:3], 0 offen offset:4
	buffer_load_dword v12, v7, s[0:3], 0 offen
	ds_read_b64 v[9:10], v6
	v_add_nc_u32_e32 v5, 1, v5
	v_add_nc_u32_e32 v6, 8, v6
	;; [unrolled: 1-line block ×3, first 2 shown]
	v_cmp_lt_u32_e32 vcc_lo, 43, v5
	s_or_b32 s5, vcc_lo, s5
	s_waitcnt vmcnt(1) lgkmcnt(0)
	v_mul_f32_e32 v125, v10, v11
	v_mul_f32_e32 v11, v9, v11
	s_waitcnt vmcnt(0)
	v_fma_f32 v9, v9, v12, -v125
	v_fmac_f32_e32 v11, v10, v12
	v_add_f32_e32 v8, v8, v9
	v_add_f32_e32 v2, v2, v11
	s_andn2_b32 exec_lo, exec_lo, s5
	s_cbranch_execnz .LBB119_193
; %bb.194:
	s_or_b32 exec_lo, exec_lo, s5
	v_mov_b32_e32 v5, 0
	ds_read_b64 v[5:6], v5 offset:360
	s_waitcnt lgkmcnt(0)
	v_mul_f32_e32 v7, v2, v6
	v_mul_f32_e32 v6, v8, v6
	v_fma_f32 v7, v8, v5, -v7
	v_fmac_f32_e32 v6, v2, v5
	buffer_store_dword v7, off, s[0:3], 0 offset:360
	buffer_store_dword v6, off, s[0:3], 0 offset:364
.LBB119_195:
	s_or_b32 exec_lo, exec_lo, s4
	s_waitcnt_vscnt null, 0x0
	s_barrier
	buffer_gl0_inv
	s_clause 0x1
	buffer_load_dword v5, off, s[0:3], 0 offset:368
	buffer_load_dword v6, off, s[0:3], 0 offset:372
	s_mov_b32 s4, exec_lo
	s_waitcnt vmcnt(0)
	ds_write_b64 v4, v[5:6]
	s_waitcnt lgkmcnt(0)
	s_barrier
	buffer_gl0_inv
	v_cmpx_gt_u32_e32 46, v0
	s_cbranch_execz .LBB119_199
; %bb.196:
	v_add_nc_u32_e32 v5, -1, v0
	v_add_nc_u32_e32 v6, 0x1c0, v3
	v_mov_b32_e32 v7, v3
	v_mov_b32_e32 v2, 0
	;; [unrolled: 1-line block ×3, first 2 shown]
	s_mov_b32 s5, 0
	.p2align	6
.LBB119_197:                            ; =>This Inner Loop Header: Depth=1
	s_clause 0x1
	buffer_load_dword v11, v7, s[0:3], 0 offen offset:4
	buffer_load_dword v12, v7, s[0:3], 0 offen
	ds_read_b64 v[9:10], v6
	v_add_nc_u32_e32 v5, 1, v5
	v_add_nc_u32_e32 v6, 8, v6
	;; [unrolled: 1-line block ×3, first 2 shown]
	v_cmp_lt_u32_e32 vcc_lo, 44, v5
	s_or_b32 s5, vcc_lo, s5
	s_waitcnt vmcnt(1) lgkmcnt(0)
	v_mul_f32_e32 v125, v10, v11
	v_mul_f32_e32 v11, v9, v11
	s_waitcnt vmcnt(0)
	v_fma_f32 v9, v9, v12, -v125
	v_fmac_f32_e32 v11, v10, v12
	v_add_f32_e32 v8, v8, v9
	v_add_f32_e32 v2, v2, v11
	s_andn2_b32 exec_lo, exec_lo, s5
	s_cbranch_execnz .LBB119_197
; %bb.198:
	s_or_b32 exec_lo, exec_lo, s5
	v_mov_b32_e32 v5, 0
	ds_read_b64 v[5:6], v5 offset:368
	s_waitcnt lgkmcnt(0)
	v_mul_f32_e32 v7, v2, v6
	v_mul_f32_e32 v6, v8, v6
	v_fma_f32 v7, v8, v5, -v7
	v_fmac_f32_e32 v6, v2, v5
	buffer_store_dword v7, off, s[0:3], 0 offset:368
	buffer_store_dword v6, off, s[0:3], 0 offset:372
.LBB119_199:
	s_or_b32 exec_lo, exec_lo, s4
	s_waitcnt_vscnt null, 0x0
	s_barrier
	buffer_gl0_inv
	s_clause 0x1
	buffer_load_dword v5, off, s[0:3], 0 offset:376
	buffer_load_dword v6, off, s[0:3], 0 offset:380
	s_mov_b32 s4, exec_lo
	s_waitcnt vmcnt(0)
	ds_write_b64 v4, v[5:6]
	s_waitcnt lgkmcnt(0)
	s_barrier
	buffer_gl0_inv
	v_cmpx_gt_u32_e32 47, v0
	s_cbranch_execz .LBB119_203
; %bb.200:
	v_add_nc_u32_e32 v5, -1, v0
	v_add_nc_u32_e32 v6, 0x1c0, v3
	v_mov_b32_e32 v7, v3
	v_mov_b32_e32 v2, 0
	;; [unrolled: 1-line block ×3, first 2 shown]
	s_mov_b32 s5, 0
	.p2align	6
.LBB119_201:                            ; =>This Inner Loop Header: Depth=1
	s_clause 0x1
	buffer_load_dword v11, v7, s[0:3], 0 offen offset:4
	buffer_load_dword v12, v7, s[0:3], 0 offen
	ds_read_b64 v[9:10], v6
	v_add_nc_u32_e32 v5, 1, v5
	v_add_nc_u32_e32 v6, 8, v6
	;; [unrolled: 1-line block ×3, first 2 shown]
	v_cmp_lt_u32_e32 vcc_lo, 45, v5
	s_or_b32 s5, vcc_lo, s5
	s_waitcnt vmcnt(1) lgkmcnt(0)
	v_mul_f32_e32 v125, v10, v11
	v_mul_f32_e32 v11, v9, v11
	s_waitcnt vmcnt(0)
	v_fma_f32 v9, v9, v12, -v125
	v_fmac_f32_e32 v11, v10, v12
	v_add_f32_e32 v8, v8, v9
	v_add_f32_e32 v2, v2, v11
	s_andn2_b32 exec_lo, exec_lo, s5
	s_cbranch_execnz .LBB119_201
; %bb.202:
	s_or_b32 exec_lo, exec_lo, s5
	v_mov_b32_e32 v5, 0
	ds_read_b64 v[5:6], v5 offset:376
	s_waitcnt lgkmcnt(0)
	v_mul_f32_e32 v7, v2, v6
	v_mul_f32_e32 v6, v8, v6
	v_fma_f32 v7, v8, v5, -v7
	v_fmac_f32_e32 v6, v2, v5
	buffer_store_dword v7, off, s[0:3], 0 offset:376
	buffer_store_dword v6, off, s[0:3], 0 offset:380
.LBB119_203:
	s_or_b32 exec_lo, exec_lo, s4
	s_waitcnt_vscnt null, 0x0
	s_barrier
	buffer_gl0_inv
	s_clause 0x1
	buffer_load_dword v5, off, s[0:3], 0 offset:384
	buffer_load_dword v6, off, s[0:3], 0 offset:388
	s_mov_b32 s4, exec_lo
	s_waitcnt vmcnt(0)
	ds_write_b64 v4, v[5:6]
	s_waitcnt lgkmcnt(0)
	s_barrier
	buffer_gl0_inv
	v_cmpx_gt_u32_e32 48, v0
	s_cbranch_execz .LBB119_207
; %bb.204:
	v_add_nc_u32_e32 v5, -1, v0
	v_add_nc_u32_e32 v6, 0x1c0, v3
	v_mov_b32_e32 v7, v3
	v_mov_b32_e32 v2, 0
	v_mov_b32_e32 v8, 0
	s_mov_b32 s5, 0
	.p2align	6
.LBB119_205:                            ; =>This Inner Loop Header: Depth=1
	s_clause 0x1
	buffer_load_dword v11, v7, s[0:3], 0 offen offset:4
	buffer_load_dword v12, v7, s[0:3], 0 offen
	ds_read_b64 v[9:10], v6
	v_add_nc_u32_e32 v5, 1, v5
	v_add_nc_u32_e32 v6, 8, v6
	;; [unrolled: 1-line block ×3, first 2 shown]
	v_cmp_lt_u32_e32 vcc_lo, 46, v5
	s_or_b32 s5, vcc_lo, s5
	s_waitcnt vmcnt(1) lgkmcnt(0)
	v_mul_f32_e32 v125, v10, v11
	v_mul_f32_e32 v11, v9, v11
	s_waitcnt vmcnt(0)
	v_fma_f32 v9, v9, v12, -v125
	v_fmac_f32_e32 v11, v10, v12
	v_add_f32_e32 v8, v8, v9
	v_add_f32_e32 v2, v2, v11
	s_andn2_b32 exec_lo, exec_lo, s5
	s_cbranch_execnz .LBB119_205
; %bb.206:
	s_or_b32 exec_lo, exec_lo, s5
	v_mov_b32_e32 v5, 0
	ds_read_b64 v[5:6], v5 offset:384
	s_waitcnt lgkmcnt(0)
	v_mul_f32_e32 v7, v2, v6
	v_mul_f32_e32 v6, v8, v6
	v_fma_f32 v7, v8, v5, -v7
	v_fmac_f32_e32 v6, v2, v5
	buffer_store_dword v7, off, s[0:3], 0 offset:384
	buffer_store_dword v6, off, s[0:3], 0 offset:388
.LBB119_207:
	s_or_b32 exec_lo, exec_lo, s4
	s_waitcnt_vscnt null, 0x0
	s_barrier
	buffer_gl0_inv
	s_clause 0x1
	buffer_load_dword v5, off, s[0:3], 0 offset:392
	buffer_load_dword v6, off, s[0:3], 0 offset:396
	s_mov_b32 s4, exec_lo
	s_waitcnt vmcnt(0)
	ds_write_b64 v4, v[5:6]
	s_waitcnt lgkmcnt(0)
	s_barrier
	buffer_gl0_inv
	v_cmpx_gt_u32_e32 49, v0
	s_cbranch_execz .LBB119_211
; %bb.208:
	v_add_nc_u32_e32 v5, -1, v0
	v_add_nc_u32_e32 v6, 0x1c0, v3
	v_mov_b32_e32 v7, v3
	v_mov_b32_e32 v2, 0
	;; [unrolled: 1-line block ×3, first 2 shown]
	s_mov_b32 s5, 0
	.p2align	6
.LBB119_209:                            ; =>This Inner Loop Header: Depth=1
	s_clause 0x1
	buffer_load_dword v11, v7, s[0:3], 0 offen offset:4
	buffer_load_dword v12, v7, s[0:3], 0 offen
	ds_read_b64 v[9:10], v6
	v_add_nc_u32_e32 v5, 1, v5
	v_add_nc_u32_e32 v6, 8, v6
	;; [unrolled: 1-line block ×3, first 2 shown]
	v_cmp_lt_u32_e32 vcc_lo, 47, v5
	s_or_b32 s5, vcc_lo, s5
	s_waitcnt vmcnt(1) lgkmcnt(0)
	v_mul_f32_e32 v125, v10, v11
	v_mul_f32_e32 v11, v9, v11
	s_waitcnt vmcnt(0)
	v_fma_f32 v9, v9, v12, -v125
	v_fmac_f32_e32 v11, v10, v12
	v_add_f32_e32 v8, v8, v9
	v_add_f32_e32 v2, v2, v11
	s_andn2_b32 exec_lo, exec_lo, s5
	s_cbranch_execnz .LBB119_209
; %bb.210:
	s_or_b32 exec_lo, exec_lo, s5
	v_mov_b32_e32 v5, 0
	ds_read_b64 v[5:6], v5 offset:392
	s_waitcnt lgkmcnt(0)
	v_mul_f32_e32 v7, v2, v6
	v_mul_f32_e32 v6, v8, v6
	v_fma_f32 v7, v8, v5, -v7
	v_fmac_f32_e32 v6, v2, v5
	buffer_store_dword v7, off, s[0:3], 0 offset:392
	buffer_store_dword v6, off, s[0:3], 0 offset:396
.LBB119_211:
	s_or_b32 exec_lo, exec_lo, s4
	s_waitcnt_vscnt null, 0x0
	s_barrier
	buffer_gl0_inv
	s_clause 0x1
	buffer_load_dword v5, off, s[0:3], 0 offset:400
	buffer_load_dword v6, off, s[0:3], 0 offset:404
	s_mov_b32 s4, exec_lo
	s_waitcnt vmcnt(0)
	ds_write_b64 v4, v[5:6]
	s_waitcnt lgkmcnt(0)
	s_barrier
	buffer_gl0_inv
	v_cmpx_gt_u32_e32 50, v0
	s_cbranch_execz .LBB119_215
; %bb.212:
	v_add_nc_u32_e32 v5, -1, v0
	v_add_nc_u32_e32 v6, 0x1c0, v3
	v_mov_b32_e32 v7, v3
	v_mov_b32_e32 v2, 0
	;; [unrolled: 1-line block ×3, first 2 shown]
	s_mov_b32 s5, 0
	.p2align	6
.LBB119_213:                            ; =>This Inner Loop Header: Depth=1
	s_clause 0x1
	buffer_load_dword v11, v7, s[0:3], 0 offen offset:4
	buffer_load_dword v12, v7, s[0:3], 0 offen
	ds_read_b64 v[9:10], v6
	v_add_nc_u32_e32 v5, 1, v5
	v_add_nc_u32_e32 v6, 8, v6
	v_add_nc_u32_e32 v7, 8, v7
	v_cmp_lt_u32_e32 vcc_lo, 48, v5
	s_or_b32 s5, vcc_lo, s5
	s_waitcnt vmcnt(1) lgkmcnt(0)
	v_mul_f32_e32 v125, v10, v11
	v_mul_f32_e32 v11, v9, v11
	s_waitcnt vmcnt(0)
	v_fma_f32 v9, v9, v12, -v125
	v_fmac_f32_e32 v11, v10, v12
	v_add_f32_e32 v8, v8, v9
	v_add_f32_e32 v2, v2, v11
	s_andn2_b32 exec_lo, exec_lo, s5
	s_cbranch_execnz .LBB119_213
; %bb.214:
	s_or_b32 exec_lo, exec_lo, s5
	v_mov_b32_e32 v5, 0
	ds_read_b64 v[5:6], v5 offset:400
	s_waitcnt lgkmcnt(0)
	v_mul_f32_e32 v7, v2, v6
	v_mul_f32_e32 v6, v8, v6
	v_fma_f32 v7, v8, v5, -v7
	v_fmac_f32_e32 v6, v2, v5
	buffer_store_dword v7, off, s[0:3], 0 offset:400
	buffer_store_dword v6, off, s[0:3], 0 offset:404
.LBB119_215:
	s_or_b32 exec_lo, exec_lo, s4
	s_waitcnt_vscnt null, 0x0
	s_barrier
	buffer_gl0_inv
	s_clause 0x1
	buffer_load_dword v5, off, s[0:3], 0 offset:408
	buffer_load_dword v6, off, s[0:3], 0 offset:412
	s_mov_b32 s4, exec_lo
	s_waitcnt vmcnt(0)
	ds_write_b64 v4, v[5:6]
	s_waitcnt lgkmcnt(0)
	s_barrier
	buffer_gl0_inv
	v_cmpx_gt_u32_e32 51, v0
	s_cbranch_execz .LBB119_219
; %bb.216:
	v_add_nc_u32_e32 v5, -1, v0
	v_add_nc_u32_e32 v6, 0x1c0, v3
	v_mov_b32_e32 v7, v3
	v_mov_b32_e32 v2, 0
	;; [unrolled: 1-line block ×3, first 2 shown]
	s_mov_b32 s5, 0
	.p2align	6
.LBB119_217:                            ; =>This Inner Loop Header: Depth=1
	s_clause 0x1
	buffer_load_dword v11, v7, s[0:3], 0 offen offset:4
	buffer_load_dword v12, v7, s[0:3], 0 offen
	ds_read_b64 v[9:10], v6
	v_add_nc_u32_e32 v5, 1, v5
	v_add_nc_u32_e32 v6, 8, v6
	;; [unrolled: 1-line block ×3, first 2 shown]
	v_cmp_lt_u32_e32 vcc_lo, 49, v5
	s_or_b32 s5, vcc_lo, s5
	s_waitcnt vmcnt(1) lgkmcnt(0)
	v_mul_f32_e32 v125, v10, v11
	v_mul_f32_e32 v11, v9, v11
	s_waitcnt vmcnt(0)
	v_fma_f32 v9, v9, v12, -v125
	v_fmac_f32_e32 v11, v10, v12
	v_add_f32_e32 v8, v8, v9
	v_add_f32_e32 v2, v2, v11
	s_andn2_b32 exec_lo, exec_lo, s5
	s_cbranch_execnz .LBB119_217
; %bb.218:
	s_or_b32 exec_lo, exec_lo, s5
	v_mov_b32_e32 v5, 0
	ds_read_b64 v[5:6], v5 offset:408
	s_waitcnt lgkmcnt(0)
	v_mul_f32_e32 v7, v2, v6
	v_mul_f32_e32 v6, v8, v6
	v_fma_f32 v7, v8, v5, -v7
	v_fmac_f32_e32 v6, v2, v5
	buffer_store_dword v7, off, s[0:3], 0 offset:408
	buffer_store_dword v6, off, s[0:3], 0 offset:412
.LBB119_219:
	s_or_b32 exec_lo, exec_lo, s4
	s_waitcnt_vscnt null, 0x0
	s_barrier
	buffer_gl0_inv
	s_clause 0x1
	buffer_load_dword v5, off, s[0:3], 0 offset:416
	buffer_load_dword v6, off, s[0:3], 0 offset:420
	s_mov_b32 s4, exec_lo
	s_waitcnt vmcnt(0)
	ds_write_b64 v4, v[5:6]
	s_waitcnt lgkmcnt(0)
	s_barrier
	buffer_gl0_inv
	v_cmpx_gt_u32_e32 52, v0
	s_cbranch_execz .LBB119_223
; %bb.220:
	v_add_nc_u32_e32 v5, -1, v0
	v_add_nc_u32_e32 v6, 0x1c0, v3
	v_mov_b32_e32 v7, v3
	v_mov_b32_e32 v2, 0
	;; [unrolled: 1-line block ×3, first 2 shown]
	s_mov_b32 s5, 0
	.p2align	6
.LBB119_221:                            ; =>This Inner Loop Header: Depth=1
	s_clause 0x1
	buffer_load_dword v11, v7, s[0:3], 0 offen offset:4
	buffer_load_dword v12, v7, s[0:3], 0 offen
	ds_read_b64 v[9:10], v6
	v_add_nc_u32_e32 v5, 1, v5
	v_add_nc_u32_e32 v6, 8, v6
	;; [unrolled: 1-line block ×3, first 2 shown]
	v_cmp_lt_u32_e32 vcc_lo, 50, v5
	s_or_b32 s5, vcc_lo, s5
	s_waitcnt vmcnt(1) lgkmcnt(0)
	v_mul_f32_e32 v125, v10, v11
	v_mul_f32_e32 v11, v9, v11
	s_waitcnt vmcnt(0)
	v_fma_f32 v9, v9, v12, -v125
	v_fmac_f32_e32 v11, v10, v12
	v_add_f32_e32 v8, v8, v9
	v_add_f32_e32 v2, v2, v11
	s_andn2_b32 exec_lo, exec_lo, s5
	s_cbranch_execnz .LBB119_221
; %bb.222:
	s_or_b32 exec_lo, exec_lo, s5
	v_mov_b32_e32 v5, 0
	ds_read_b64 v[5:6], v5 offset:416
	s_waitcnt lgkmcnt(0)
	v_mul_f32_e32 v7, v2, v6
	v_mul_f32_e32 v6, v8, v6
	v_fma_f32 v7, v8, v5, -v7
	v_fmac_f32_e32 v6, v2, v5
	buffer_store_dword v7, off, s[0:3], 0 offset:416
	buffer_store_dword v6, off, s[0:3], 0 offset:420
.LBB119_223:
	s_or_b32 exec_lo, exec_lo, s4
	s_waitcnt_vscnt null, 0x0
	s_barrier
	buffer_gl0_inv
	s_clause 0x1
	buffer_load_dword v5, off, s[0:3], 0 offset:424
	buffer_load_dword v6, off, s[0:3], 0 offset:428
	s_mov_b32 s4, exec_lo
	s_waitcnt vmcnt(0)
	ds_write_b64 v4, v[5:6]
	s_waitcnt lgkmcnt(0)
	s_barrier
	buffer_gl0_inv
	v_cmpx_gt_u32_e32 53, v0
	s_cbranch_execz .LBB119_227
; %bb.224:
	v_add_nc_u32_e32 v5, -1, v0
	v_add_nc_u32_e32 v6, 0x1c0, v3
	v_mov_b32_e32 v7, v3
	v_mov_b32_e32 v2, 0
	v_mov_b32_e32 v8, 0
	s_mov_b32 s5, 0
	.p2align	6
.LBB119_225:                            ; =>This Inner Loop Header: Depth=1
	s_clause 0x1
	buffer_load_dword v11, v7, s[0:3], 0 offen offset:4
	buffer_load_dword v12, v7, s[0:3], 0 offen
	ds_read_b64 v[9:10], v6
	v_add_nc_u32_e32 v5, 1, v5
	v_add_nc_u32_e32 v6, 8, v6
	;; [unrolled: 1-line block ×3, first 2 shown]
	v_cmp_lt_u32_e32 vcc_lo, 51, v5
	s_or_b32 s5, vcc_lo, s5
	s_waitcnt vmcnt(1) lgkmcnt(0)
	v_mul_f32_e32 v125, v10, v11
	v_mul_f32_e32 v11, v9, v11
	s_waitcnt vmcnt(0)
	v_fma_f32 v9, v9, v12, -v125
	v_fmac_f32_e32 v11, v10, v12
	v_add_f32_e32 v8, v8, v9
	v_add_f32_e32 v2, v2, v11
	s_andn2_b32 exec_lo, exec_lo, s5
	s_cbranch_execnz .LBB119_225
; %bb.226:
	s_or_b32 exec_lo, exec_lo, s5
	v_mov_b32_e32 v5, 0
	ds_read_b64 v[5:6], v5 offset:424
	s_waitcnt lgkmcnt(0)
	v_mul_f32_e32 v7, v2, v6
	v_mul_f32_e32 v6, v8, v6
	v_fma_f32 v7, v8, v5, -v7
	v_fmac_f32_e32 v6, v2, v5
	buffer_store_dword v7, off, s[0:3], 0 offset:424
	buffer_store_dword v6, off, s[0:3], 0 offset:428
.LBB119_227:
	s_or_b32 exec_lo, exec_lo, s4
	s_waitcnt_vscnt null, 0x0
	s_barrier
	buffer_gl0_inv
	s_clause 0x1
	buffer_load_dword v5, off, s[0:3], 0 offset:432
	buffer_load_dword v6, off, s[0:3], 0 offset:436
	s_mov_b32 s4, exec_lo
	s_waitcnt vmcnt(0)
	ds_write_b64 v4, v[5:6]
	s_waitcnt lgkmcnt(0)
	s_barrier
	buffer_gl0_inv
	v_cmpx_gt_u32_e32 54, v0
	s_cbranch_execz .LBB119_231
; %bb.228:
	v_add_nc_u32_e32 v5, -1, v0
	v_add_nc_u32_e32 v6, 0x1c0, v3
	v_mov_b32_e32 v7, v3
	v_mov_b32_e32 v2, 0
	;; [unrolled: 1-line block ×3, first 2 shown]
	s_mov_b32 s5, 0
	.p2align	6
.LBB119_229:                            ; =>This Inner Loop Header: Depth=1
	s_clause 0x1
	buffer_load_dword v11, v7, s[0:3], 0 offen offset:4
	buffer_load_dword v12, v7, s[0:3], 0 offen
	ds_read_b64 v[9:10], v6
	v_add_nc_u32_e32 v5, 1, v5
	v_add_nc_u32_e32 v6, 8, v6
	;; [unrolled: 1-line block ×3, first 2 shown]
	v_cmp_lt_u32_e32 vcc_lo, 52, v5
	s_or_b32 s5, vcc_lo, s5
	s_waitcnt vmcnt(1) lgkmcnt(0)
	v_mul_f32_e32 v125, v10, v11
	v_mul_f32_e32 v11, v9, v11
	s_waitcnt vmcnt(0)
	v_fma_f32 v9, v9, v12, -v125
	v_fmac_f32_e32 v11, v10, v12
	v_add_f32_e32 v8, v8, v9
	v_add_f32_e32 v2, v2, v11
	s_andn2_b32 exec_lo, exec_lo, s5
	s_cbranch_execnz .LBB119_229
; %bb.230:
	s_or_b32 exec_lo, exec_lo, s5
	v_mov_b32_e32 v5, 0
	ds_read_b64 v[5:6], v5 offset:432
	s_waitcnt lgkmcnt(0)
	v_mul_f32_e32 v7, v2, v6
	v_mul_f32_e32 v6, v8, v6
	v_fma_f32 v7, v8, v5, -v7
	v_fmac_f32_e32 v6, v2, v5
	buffer_store_dword v7, off, s[0:3], 0 offset:432
	buffer_store_dword v6, off, s[0:3], 0 offset:436
.LBB119_231:
	s_or_b32 exec_lo, exec_lo, s4
	s_waitcnt_vscnt null, 0x0
	s_barrier
	buffer_gl0_inv
	s_clause 0x1
	buffer_load_dword v5, off, s[0:3], 0 offset:440
	buffer_load_dword v6, off, s[0:3], 0 offset:444
	s_mov_b32 s4, exec_lo
	s_waitcnt vmcnt(0)
	ds_write_b64 v4, v[5:6]
	s_waitcnt lgkmcnt(0)
	s_barrier
	buffer_gl0_inv
	v_cmpx_ne_u32_e32 55, v0
	s_cbranch_execz .LBB119_235
; %bb.232:
	v_mov_b32_e32 v2, 0
	v_mov_b32_e32 v5, 0
	s_mov_b32 s5, 0
	.p2align	6
.LBB119_233:                            ; =>This Inner Loop Header: Depth=1
	s_clause 0x1
	buffer_load_dword v8, v3, s[0:3], 0 offen offset:4
	buffer_load_dword v9, v3, s[0:3], 0 offen
	ds_read_b64 v[6:7], v4
	v_add_nc_u32_e32 v1, 1, v1
	v_add_nc_u32_e32 v4, 8, v4
	;; [unrolled: 1-line block ×3, first 2 shown]
	v_cmp_lt_u32_e32 vcc_lo, 53, v1
	s_or_b32 s5, vcc_lo, s5
	s_waitcnt vmcnt(1) lgkmcnt(0)
	v_mul_f32_e32 v10, v7, v8
	v_mul_f32_e32 v8, v6, v8
	s_waitcnt vmcnt(0)
	v_fma_f32 v6, v6, v9, -v10
	v_fmac_f32_e32 v8, v7, v9
	v_add_f32_e32 v5, v5, v6
	v_add_f32_e32 v2, v2, v8
	s_andn2_b32 exec_lo, exec_lo, s5
	s_cbranch_execnz .LBB119_233
; %bb.234:
	s_or_b32 exec_lo, exec_lo, s5
	v_mov_b32_e32 v1, 0
	ds_read_b64 v[3:4], v1 offset:440
	s_waitcnt lgkmcnt(0)
	v_mul_f32_e32 v1, v2, v4
	v_mul_f32_e32 v4, v5, v4
	v_fma_f32 v1, v5, v3, -v1
	v_fmac_f32_e32 v4, v2, v3
	buffer_store_dword v1, off, s[0:3], 0 offset:440
	buffer_store_dword v4, off, s[0:3], 0 offset:444
.LBB119_235:
	s_or_b32 exec_lo, exec_lo, s4
	s_mov_b32 s5, -1
	s_waitcnt_vscnt null, 0x0
	s_barrier
	buffer_gl0_inv
.LBB119_236:
	s_and_b32 vcc_lo, exec_lo, s5
	s_cbranch_vccz .LBB119_238
; %bb.237:
	s_lshl_b64 s[4:5], s[6:7], 2
	v_mov_b32_e32 v1, 0
	s_add_u32 s4, s10, s4
	s_addc_u32 s5, s11, s5
	global_load_dword v1, v1, s[4:5]
	s_waitcnt vmcnt(0)
	v_cmp_ne_u32_e32 vcc_lo, 0, v1
	s_cbranch_vccz .LBB119_239
.LBB119_238:
	s_endpgm
.LBB119_239:
	v_lshl_add_u32 v125, v0, 3, 0x1c0
	s_mov_b32 s4, exec_lo
	v_cmpx_eq_u32_e32 55, v0
	s_cbranch_execz .LBB119_241
; %bb.240:
	s_clause 0x1
	buffer_load_dword v1, off, s[0:3], 0 offset:432
	buffer_load_dword v2, off, s[0:3], 0 offset:436
	v_mov_b32_e32 v3, 0
	buffer_store_dword v3, off, s[0:3], 0 offset:432
	buffer_store_dword v3, off, s[0:3], 0 offset:436
	s_waitcnt vmcnt(0)
	ds_write_b64 v125, v[1:2]
.LBB119_241:
	s_or_b32 exec_lo, exec_lo, s4
	s_waitcnt lgkmcnt(0)
	s_waitcnt_vscnt null, 0x0
	s_barrier
	buffer_gl0_inv
	s_clause 0x3
	buffer_load_dword v4, off, s[0:3], 0 offset:444
	buffer_load_dword v5, off, s[0:3], 0 offset:440
	;; [unrolled: 1-line block ×4, first 2 shown]
	v_mov_b32_e32 v1, 0
	s_mov_b32 s4, exec_lo
	ds_read_b64 v[2:3], v1 offset:888
	s_waitcnt vmcnt(3) lgkmcnt(0)
	v_mul_f32_e32 v8, v3, v4
	v_mul_f32_e32 v4, v2, v4
	s_waitcnt vmcnt(2)
	v_fma_f32 v2, v2, v5, -v8
	v_fmac_f32_e32 v4, v3, v5
	v_add_f32_e32 v2, 0, v2
	v_add_f32_e32 v3, 0, v4
	s_waitcnt vmcnt(1)
	v_sub_f32_e32 v2, v6, v2
	s_waitcnt vmcnt(0)
	v_sub_f32_e32 v3, v7, v3
	buffer_store_dword v2, off, s[0:3], 0 offset:432
	buffer_store_dword v3, off, s[0:3], 0 offset:436
	v_cmpx_lt_u32_e32 53, v0
	s_cbranch_execz .LBB119_243
; %bb.242:
	s_clause 0x1
	buffer_load_dword v2, off, s[0:3], 0 offset:424
	buffer_load_dword v3, off, s[0:3], 0 offset:428
	buffer_store_dword v1, off, s[0:3], 0 offset:424
	buffer_store_dword v1, off, s[0:3], 0 offset:428
	s_waitcnt vmcnt(0)
	ds_write_b64 v125, v[2:3]
.LBB119_243:
	s_or_b32 exec_lo, exec_lo, s4
	s_waitcnt lgkmcnt(0)
	s_waitcnt_vscnt null, 0x0
	s_barrier
	buffer_gl0_inv
	s_clause 0x5
	buffer_load_dword v5, off, s[0:3], 0 offset:436
	buffer_load_dword v6, off, s[0:3], 0 offset:444
	;; [unrolled: 1-line block ×6, first 2 shown]
	ds_read_b128 v[1:4], v1 offset:880
	s_mov_b32 s4, exec_lo
	s_waitcnt vmcnt(5) lgkmcnt(0)
	v_mul_f32_e32 v11, v2, v5
	v_mul_f32_e32 v5, v1, v5
	s_waitcnt vmcnt(4)
	v_mul_f32_e32 v12, v3, v6
	v_mul_f32_e32 v6, v4, v6
	s_waitcnt vmcnt(3)
	v_fma_f32 v1, v1, v7, -v11
	v_fmac_f32_e32 v5, v2, v7
	s_waitcnt vmcnt(2)
	v_fmac_f32_e32 v12, v4, v8
	v_fma_f32 v2, v3, v8, -v6
	v_add_f32_e32 v1, 0, v1
	v_add_f32_e32 v3, 0, v5
	;; [unrolled: 1-line block ×4, first 2 shown]
	s_waitcnt vmcnt(1)
	v_sub_f32_e32 v1, v9, v1
	s_waitcnt vmcnt(0)
	v_sub_f32_e32 v2, v10, v2
	buffer_store_dword v1, off, s[0:3], 0 offset:424
	buffer_store_dword v2, off, s[0:3], 0 offset:428
	v_cmpx_lt_u32_e32 52, v0
	s_cbranch_execz .LBB119_245
; %bb.244:
	s_clause 0x1
	buffer_load_dword v1, off, s[0:3], 0 offset:416
	buffer_load_dword v2, off, s[0:3], 0 offset:420
	v_mov_b32_e32 v3, 0
	buffer_store_dword v3, off, s[0:3], 0 offset:416
	buffer_store_dword v3, off, s[0:3], 0 offset:420
	s_waitcnt vmcnt(0)
	ds_write_b64 v125, v[1:2]
.LBB119_245:
	s_or_b32 exec_lo, exec_lo, s4
	s_waitcnt lgkmcnt(0)
	s_waitcnt_vscnt null, 0x0
	s_barrier
	buffer_gl0_inv
	s_clause 0x7
	buffer_load_dword v8, off, s[0:3], 0 offset:428
	buffer_load_dword v9, off, s[0:3], 0 offset:436
	buffer_load_dword v10, off, s[0:3], 0 offset:444
	buffer_load_dword v11, off, s[0:3], 0 offset:424
	buffer_load_dword v12, off, s[0:3], 0 offset:432
	buffer_load_dword v126, off, s[0:3], 0 offset:440
	buffer_load_dword v127, off, s[0:3], 0 offset:416
	buffer_load_dword v128, off, s[0:3], 0 offset:420
	v_mov_b32_e32 v1, 0
	ds_read2_b64 v[2:5], v1 offset0:109 offset1:110
	ds_read_b64 v[6:7], v1 offset:888
	s_mov_b32 s4, exec_lo
	s_waitcnt vmcnt(7) lgkmcnt(1)
	v_mul_f32_e32 v129, v3, v8
	v_mul_f32_e32 v8, v2, v8
	s_waitcnt vmcnt(6)
	v_mul_f32_e32 v130, v4, v9
	v_mul_f32_e32 v9, v5, v9
	s_waitcnt vmcnt(5) lgkmcnt(0)
	v_mul_f32_e32 v131, v6, v10
	s_waitcnt vmcnt(4)
	v_fma_f32 v2, v2, v11, -v129
	v_fmac_f32_e32 v8, v3, v11
	v_mul_f32_e32 v3, v7, v10
	s_waitcnt vmcnt(3)
	v_fma_f32 v4, v4, v12, -v9
	v_fmac_f32_e32 v130, v5, v12
	v_add_f32_e32 v2, 0, v2
	v_add_f32_e32 v5, 0, v8
	s_waitcnt vmcnt(2)
	v_fma_f32 v3, v6, v126, -v3
	v_fmac_f32_e32 v131, v7, v126
	v_add_f32_e32 v2, v2, v4
	v_add_f32_e32 v4, v5, v130
	;; [unrolled: 1-line block ×4, first 2 shown]
	s_waitcnt vmcnt(1)
	v_sub_f32_e32 v2, v127, v2
	s_waitcnt vmcnt(0)
	v_sub_f32_e32 v3, v128, v3
	buffer_store_dword v2, off, s[0:3], 0 offset:416
	buffer_store_dword v3, off, s[0:3], 0 offset:420
	v_cmpx_lt_u32_e32 51, v0
	s_cbranch_execz .LBB119_247
; %bb.246:
	s_clause 0x1
	buffer_load_dword v2, off, s[0:3], 0 offset:408
	buffer_load_dword v3, off, s[0:3], 0 offset:412
	buffer_store_dword v1, off, s[0:3], 0 offset:408
	buffer_store_dword v1, off, s[0:3], 0 offset:412
	s_waitcnt vmcnt(0)
	ds_write_b64 v125, v[2:3]
.LBB119_247:
	s_or_b32 exec_lo, exec_lo, s4
	s_waitcnt lgkmcnt(0)
	s_waitcnt_vscnt null, 0x0
	s_barrier
	buffer_gl0_inv
	s_clause 0x9
	buffer_load_dword v10, off, s[0:3], 0 offset:420
	buffer_load_dword v11, off, s[0:3], 0 offset:428
	;; [unrolled: 1-line block ×10, first 2 shown]
	ds_read_b128 v[2:5], v1 offset:864
	ds_read_b128 v[6:9], v1 offset:880
	s_mov_b32 s4, exec_lo
	s_waitcnt vmcnt(9) lgkmcnt(1)
	v_mul_f32_e32 v1, v2, v10
	v_mul_f32_e32 v10, v3, v10
	s_waitcnt vmcnt(8)
	v_mul_f32_e32 v133, v4, v11
	v_mul_f32_e32 v11, v5, v11
	s_waitcnt vmcnt(7) lgkmcnt(0)
	v_mul_f32_e32 v134, v6, v12
	s_waitcnt vmcnt(5)
	v_fmac_f32_e32 v1, v3, v127
	v_fma_f32 v2, v2, v127, -v10
	v_mul_f32_e32 v3, v7, v12
	s_waitcnt vmcnt(4)
	v_fma_f32 v4, v4, v128, -v11
	v_fmac_f32_e32 v133, v5, v128
	v_add_f32_e32 v1, 0, v1
	v_add_f32_e32 v2, 0, v2
	v_mul_f32_e32 v5, v9, v126
	s_waitcnt vmcnt(3)
	v_fma_f32 v3, v6, v129, -v3
	v_mul_f32_e32 v135, v8, v126
	v_fmac_f32_e32 v134, v7, v129
	v_add_f32_e32 v2, v2, v4
	v_add_f32_e32 v1, v1, v133
	s_waitcnt vmcnt(2)
	v_fma_f32 v4, v8, v130, -v5
	v_fmac_f32_e32 v135, v9, v130
	v_add_f32_e32 v2, v2, v3
	v_add_f32_e32 v1, v1, v134
	;; [unrolled: 1-line block ×4, first 2 shown]
	s_waitcnt vmcnt(1)
	v_sub_f32_e32 v2, v131, v2
	s_waitcnt vmcnt(0)
	v_sub_f32_e32 v1, v132, v1
	buffer_store_dword v2, off, s[0:3], 0 offset:408
	buffer_store_dword v1, off, s[0:3], 0 offset:412
	v_cmpx_lt_u32_e32 50, v0
	s_cbranch_execz .LBB119_249
; %bb.248:
	s_clause 0x1
	buffer_load_dword v1, off, s[0:3], 0 offset:400
	buffer_load_dword v2, off, s[0:3], 0 offset:404
	v_mov_b32_e32 v3, 0
	buffer_store_dword v3, off, s[0:3], 0 offset:400
	buffer_store_dword v3, off, s[0:3], 0 offset:404
	s_waitcnt vmcnt(0)
	ds_write_b64 v125, v[1:2]
.LBB119_249:
	s_or_b32 exec_lo, exec_lo, s4
	s_waitcnt lgkmcnt(0)
	s_waitcnt_vscnt null, 0x0
	s_barrier
	buffer_gl0_inv
	s_clause 0xb
	buffer_load_dword v12, off, s[0:3], 0 offset:412
	buffer_load_dword v126, off, s[0:3], 0 offset:420
	;; [unrolled: 1-line block ×12, first 2 shown]
	v_mov_b32_e32 v1, 0
	ds_read2_b64 v[2:5], v1 offset0:107 offset1:108
	ds_read2_b64 v[6:9], v1 offset0:109 offset1:110
	ds_read_b64 v[10:11], v1 offset:888
	s_mov_b32 s4, exec_lo
	s_waitcnt vmcnt(11) lgkmcnt(2)
	v_mul_f32_e32 v137, v2, v12
	v_mul_f32_e32 v12, v3, v12
	s_waitcnt vmcnt(10)
	v_mul_f32_e32 v138, v4, v126
	v_mul_f32_e32 v126, v5, v126
	s_waitcnt vmcnt(9) lgkmcnt(1)
	v_mul_f32_e32 v139, v6, v127
	s_waitcnt vmcnt(6)
	v_fmac_f32_e32 v137, v3, v130
	v_fma_f32 v2, v2, v130, -v12
	v_mul_f32_e32 v3, v7, v127
	s_waitcnt vmcnt(5)
	v_fma_f32 v4, v4, v131, -v126
	v_fmac_f32_e32 v138, v5, v131
	v_add_f32_e32 v5, 0, v137
	v_add_f32_e32 v2, 0, v2
	v_mul_f32_e32 v12, v9, v128
	s_waitcnt vmcnt(4)
	v_fma_f32 v3, v6, v132, -v3
	v_mul_f32_e32 v140, v8, v128
	v_fmac_f32_e32 v139, v7, v132
	v_add_f32_e32 v2, v2, v4
	v_add_f32_e32 v4, v5, v138
	s_waitcnt lgkmcnt(0)
	v_mul_f32_e32 v5, v11, v129
	s_waitcnt vmcnt(3)
	v_fma_f32 v6, v8, v133, -v12
	v_mul_f32_e32 v141, v10, v129
	v_add_f32_e32 v2, v2, v3
	v_fmac_f32_e32 v140, v9, v133
	v_add_f32_e32 v3, v4, v139
	s_waitcnt vmcnt(2)
	v_fma_f32 v4, v10, v134, -v5
	v_fmac_f32_e32 v141, v11, v134
	v_add_f32_e32 v2, v2, v6
	v_add_f32_e32 v3, v3, v140
	;; [unrolled: 1-line block ×4, first 2 shown]
	s_waitcnt vmcnt(1)
	v_sub_f32_e32 v2, v135, v2
	s_waitcnt vmcnt(0)
	v_sub_f32_e32 v3, v136, v3
	buffer_store_dword v2, off, s[0:3], 0 offset:400
	buffer_store_dword v3, off, s[0:3], 0 offset:404
	v_cmpx_lt_u32_e32 49, v0
	s_cbranch_execz .LBB119_251
; %bb.250:
	s_clause 0x1
	buffer_load_dword v2, off, s[0:3], 0 offset:392
	buffer_load_dword v3, off, s[0:3], 0 offset:396
	buffer_store_dword v1, off, s[0:3], 0 offset:392
	buffer_store_dword v1, off, s[0:3], 0 offset:396
	s_waitcnt vmcnt(0)
	ds_write_b64 v125, v[2:3]
.LBB119_251:
	s_or_b32 exec_lo, exec_lo, s4
	s_waitcnt lgkmcnt(0)
	s_waitcnt_vscnt null, 0x0
	s_barrier
	buffer_gl0_inv
	s_clause 0xd
	buffer_load_dword v10, off, s[0:3], 0 offset:404
	buffer_load_dword v11, off, s[0:3], 0 offset:412
	;; [unrolled: 1-line block ×14, first 2 shown]
	ds_read_b128 v[2:5], v1 offset:848
	ds_read_b128 v[6:9], v1 offset:864
	;; [unrolled: 1-line block ×3, first 2 shown]
	s_mov_b32 s4, exec_lo
	s_waitcnt vmcnt(13) lgkmcnt(2)
	v_mul_f32_e32 v1, v2, v10
	v_mul_f32_e32 v10, v3, v10
	s_waitcnt vmcnt(12)
	v_mul_f32_e32 v141, v4, v11
	v_mul_f32_e32 v11, v5, v11
	s_waitcnt vmcnt(11) lgkmcnt(1)
	v_mul_f32_e32 v142, v6, v12
	s_waitcnt vmcnt(10)
	v_mul_f32_e32 v143, v8, v130
	s_waitcnt vmcnt(7)
	v_fma_f32 v2, v2, v133, -v10
	v_fmac_f32_e32 v1, v3, v133
	v_mul_f32_e32 v3, v7, v12
	s_waitcnt vmcnt(6)
	v_fma_f32 v4, v4, v134, -v11
	v_fmac_f32_e32 v141, v5, v134
	v_add_f32_e32 v2, 0, v2
	v_add_f32_e32 v1, 0, v1
	v_mul_f32_e32 v5, v9, v130
	s_waitcnt vmcnt(5)
	v_fma_f32 v3, v6, v135, -v3
	v_fmac_f32_e32 v142, v7, v135
	v_add_f32_e32 v2, v2, v4
	v_add_f32_e32 v1, v1, v141
	s_waitcnt lgkmcnt(0)
	v_mul_f32_e32 v4, v127, v131
	s_waitcnt vmcnt(4)
	v_fma_f32 v5, v8, v136, -v5
	v_mul_f32_e32 v144, v126, v131
	v_add_f32_e32 v2, v2, v3
	v_fmac_f32_e32 v143, v9, v136
	v_add_f32_e32 v1, v1, v142
	v_mul_f32_e32 v3, v129, v132
	s_waitcnt vmcnt(3)
	v_fma_f32 v4, v126, v137, -v4
	v_add_f32_e32 v2, v2, v5
	v_mul_f32_e32 v145, v128, v132
	v_fmac_f32_e32 v144, v127, v137
	v_add_f32_e32 v1, v1, v143
	s_waitcnt vmcnt(2)
	v_fma_f32 v3, v128, v138, -v3
	v_add_f32_e32 v2, v2, v4
	v_fmac_f32_e32 v145, v129, v138
	v_add_f32_e32 v1, v1, v144
	v_add_f32_e32 v2, v2, v3
	;; [unrolled: 1-line block ×3, first 2 shown]
	s_waitcnt vmcnt(1)
	v_sub_f32_e32 v2, v139, v2
	s_waitcnt vmcnt(0)
	v_sub_f32_e32 v1, v140, v1
	buffer_store_dword v2, off, s[0:3], 0 offset:392
	buffer_store_dword v1, off, s[0:3], 0 offset:396
	v_cmpx_lt_u32_e32 48, v0
	s_cbranch_execz .LBB119_253
; %bb.252:
	s_clause 0x1
	buffer_load_dword v1, off, s[0:3], 0 offset:384
	buffer_load_dword v2, off, s[0:3], 0 offset:388
	v_mov_b32_e32 v3, 0
	buffer_store_dword v3, off, s[0:3], 0 offset:384
	buffer_store_dword v3, off, s[0:3], 0 offset:388
	s_waitcnt vmcnt(0)
	ds_write_b64 v125, v[1:2]
.LBB119_253:
	s_or_b32 exec_lo, exec_lo, s4
	s_waitcnt lgkmcnt(0)
	s_waitcnt_vscnt null, 0x0
	s_barrier
	buffer_gl0_inv
	s_clause 0xf
	buffer_load_dword v12, off, s[0:3], 0 offset:396
	buffer_load_dword v130, off, s[0:3], 0 offset:404
	;; [unrolled: 1-line block ×16, first 2 shown]
	v_mov_b32_e32 v1, 0
	ds_read2_b64 v[2:5], v1 offset0:105 offset1:106
	ds_read2_b64 v[6:9], v1 offset0:107 offset1:108
	;; [unrolled: 1-line block ×3, first 2 shown]
	ds_read_b64 v[10:11], v1 offset:888
	s_mov_b32 s4, exec_lo
	s_waitcnt vmcnt(15) lgkmcnt(3)
	v_mul_f32_e32 v145, v2, v12
	v_mul_f32_e32 v12, v3, v12
	s_waitcnt vmcnt(14)
	v_mul_f32_e32 v146, v4, v130
	v_mul_f32_e32 v130, v5, v130
	s_waitcnt vmcnt(13) lgkmcnt(2)
	v_mul_f32_e32 v147, v6, v131
	s_waitcnt vmcnt(12)
	v_mul_f32_e32 v148, v8, v132
	s_waitcnt vmcnt(11) lgkmcnt(1)
	v_mul_f32_e32 v149, v126, v133
	s_waitcnt vmcnt(8)
	v_fma_f32 v2, v2, v136, -v12
	v_fmac_f32_e32 v145, v3, v136
	v_mul_f32_e32 v3, v7, v131
	s_waitcnt vmcnt(7)
	v_fma_f32 v4, v4, v137, -v130
	v_fmac_f32_e32 v146, v5, v137
	v_add_f32_e32 v2, 0, v2
	v_add_f32_e32 v5, 0, v145
	v_mul_f32_e32 v12, v9, v132
	s_waitcnt vmcnt(6)
	v_fma_f32 v3, v6, v138, -v3
	v_fmac_f32_e32 v147, v7, v138
	v_add_f32_e32 v2, v2, v4
	v_add_f32_e32 v4, v5, v146
	;; [unrolled: 6-line block ×3, first 2 shown]
	v_mul_f32_e32 v4, v129, v134
	s_waitcnt vmcnt(4)
	v_fma_f32 v5, v126, v140, -v5
	v_mul_f32_e32 v150, v128, v134
	v_add_f32_e32 v2, v2, v6
	v_fmac_f32_e32 v149, v127, v140
	v_add_f32_e32 v3, v3, v148
	s_waitcnt lgkmcnt(0)
	v_mul_f32_e32 v6, v11, v135
	s_waitcnt vmcnt(3)
	v_fma_f32 v4, v128, v141, -v4
	v_add_f32_e32 v2, v2, v5
	v_mul_f32_e32 v151, v10, v135
	v_fmac_f32_e32 v150, v129, v141
	v_add_f32_e32 v3, v3, v149
	s_waitcnt vmcnt(2)
	v_fma_f32 v5, v10, v142, -v6
	v_add_f32_e32 v2, v2, v4
	v_fmac_f32_e32 v151, v11, v142
	v_add_f32_e32 v3, v3, v150
	v_add_f32_e32 v2, v2, v5
	;; [unrolled: 1-line block ×3, first 2 shown]
	s_waitcnt vmcnt(1)
	v_sub_f32_e32 v2, v143, v2
	s_waitcnt vmcnt(0)
	v_sub_f32_e32 v3, v144, v3
	buffer_store_dword v2, off, s[0:3], 0 offset:384
	buffer_store_dword v3, off, s[0:3], 0 offset:388
	v_cmpx_lt_u32_e32 47, v0
	s_cbranch_execz .LBB119_255
; %bb.254:
	s_clause 0x1
	buffer_load_dword v2, off, s[0:3], 0 offset:376
	buffer_load_dword v3, off, s[0:3], 0 offset:380
	buffer_store_dword v1, off, s[0:3], 0 offset:376
	buffer_store_dword v1, off, s[0:3], 0 offset:380
	s_waitcnt vmcnt(0)
	ds_write_b64 v125, v[2:3]
.LBB119_255:
	s_or_b32 exec_lo, exec_lo, s4
	s_waitcnt lgkmcnt(0)
	s_waitcnt_vscnt null, 0x0
	s_barrier
	buffer_gl0_inv
	s_clause 0x11
	buffer_load_dword v10, off, s[0:3], 0 offset:388
	buffer_load_dword v11, off, s[0:3], 0 offset:396
	;; [unrolled: 1-line block ×18, first 2 shown]
	ds_read_b128 v[2:5], v1 offset:832
	ds_read_b128 v[6:9], v1 offset:848
	ds_read_b128 v[126:129], v1 offset:864
	ds_read_b128 v[130:133], v1 offset:880
	s_mov_b32 s4, exec_lo
	s_waitcnt vmcnt(17) lgkmcnt(3)
	v_mul_f32_e32 v1, v2, v10
	v_mul_f32_e32 v10, v3, v10
	s_waitcnt vmcnt(16)
	v_mul_f32_e32 v149, v4, v11
	v_mul_f32_e32 v11, v5, v11
	s_waitcnt vmcnt(15) lgkmcnt(2)
	v_mul_f32_e32 v150, v6, v12
	s_waitcnt vmcnt(14)
	v_mul_f32_e32 v151, v8, v134
	s_waitcnt vmcnt(13) lgkmcnt(1)
	v_mul_f32_e32 v152, v126, v135
	s_waitcnt vmcnt(12)
	v_mul_f32_e32 v153, v128, v136
	s_waitcnt vmcnt(9)
	v_fma_f32 v2, v2, v139, -v10
	v_fmac_f32_e32 v1, v3, v139
	v_mul_f32_e32 v3, v7, v12
	s_waitcnt vmcnt(8)
	v_fma_f32 v4, v4, v140, -v11
	v_fmac_f32_e32 v149, v5, v140
	v_add_f32_e32 v2, 0, v2
	v_add_f32_e32 v1, 0, v1
	v_mul_f32_e32 v5, v9, v134
	s_waitcnt vmcnt(7)
	v_fma_f32 v3, v6, v141, -v3
	v_fmac_f32_e32 v150, v7, v141
	v_add_f32_e32 v2, v2, v4
	v_add_f32_e32 v1, v1, v149
	;; [unrolled: 6-line block ×4, first 2 shown]
	s_waitcnt lgkmcnt(0)
	v_mul_f32_e32 v5, v131, v137
	s_waitcnt vmcnt(4)
	v_fma_f32 v3, v128, v144, -v3
	v_mul_f32_e32 v154, v130, v137
	v_add_f32_e32 v2, v2, v4
	v_fmac_f32_e32 v153, v129, v144
	v_add_f32_e32 v1, v1, v152
	v_mul_f32_e32 v4, v133, v138
	s_waitcnt vmcnt(3)
	v_fma_f32 v5, v130, v145, -v5
	v_add_f32_e32 v2, v2, v3
	v_mul_f32_e32 v155, v132, v138
	v_fmac_f32_e32 v154, v131, v145
	v_add_f32_e32 v1, v1, v153
	s_waitcnt vmcnt(2)
	v_fma_f32 v3, v132, v146, -v4
	v_add_f32_e32 v2, v2, v5
	v_fmac_f32_e32 v155, v133, v146
	v_add_f32_e32 v1, v1, v154
	v_add_f32_e32 v2, v2, v3
	;; [unrolled: 1-line block ×3, first 2 shown]
	s_waitcnt vmcnt(1)
	v_sub_f32_e32 v2, v147, v2
	s_waitcnt vmcnt(0)
	v_sub_f32_e32 v1, v148, v1
	buffer_store_dword v2, off, s[0:3], 0 offset:376
	buffer_store_dword v1, off, s[0:3], 0 offset:380
	v_cmpx_lt_u32_e32 46, v0
	s_cbranch_execz .LBB119_257
; %bb.256:
	s_clause 0x1
	buffer_load_dword v1, off, s[0:3], 0 offset:368
	buffer_load_dword v2, off, s[0:3], 0 offset:372
	v_mov_b32_e32 v3, 0
	buffer_store_dword v3, off, s[0:3], 0 offset:368
	buffer_store_dword v3, off, s[0:3], 0 offset:372
	s_waitcnt vmcnt(0)
	ds_write_b64 v125, v[1:2]
.LBB119_257:
	s_or_b32 exec_lo, exec_lo, s4
	s_waitcnt lgkmcnt(0)
	s_waitcnt_vscnt null, 0x0
	s_barrier
	buffer_gl0_inv
	s_clause 0x13
	buffer_load_dword v12, off, s[0:3], 0 offset:380
	buffer_load_dword v134, off, s[0:3], 0 offset:388
	;; [unrolled: 1-line block ×20, first 2 shown]
	v_mov_b32_e32 v1, 0
	ds_read2_b64 v[2:5], v1 offset0:103 offset1:104
	ds_read2_b64 v[6:9], v1 offset0:105 offset1:106
	;; [unrolled: 1-line block ×4, first 2 shown]
	ds_read_b64 v[10:11], v1 offset:888
	s_mov_b32 s4, exec_lo
	s_waitcnt vmcnt(19) lgkmcnt(4)
	v_mul_f32_e32 v153, v2, v12
	v_mul_f32_e32 v12, v3, v12
	s_waitcnt vmcnt(18)
	v_mul_f32_e32 v154, v4, v134
	v_mul_f32_e32 v134, v5, v134
	s_waitcnt vmcnt(17) lgkmcnt(3)
	v_mul_f32_e32 v155, v6, v135
	s_waitcnt vmcnt(16)
	v_mul_f32_e32 v156, v8, v136
	s_waitcnt vmcnt(15) lgkmcnt(2)
	v_mul_f32_e32 v157, v126, v137
	s_waitcnt vmcnt(14)
	;; [unrolled: 4-line block ×3, first 2 shown]
	v_fma_f32 v2, v2, v142, -v12
	v_fmac_f32_e32 v153, v3, v142
	v_mul_f32_e32 v3, v7, v135
	s_waitcnt vmcnt(9)
	v_fma_f32 v4, v4, v143, -v134
	v_fmac_f32_e32 v154, v5, v143
	v_add_f32_e32 v2, 0, v2
	v_add_f32_e32 v5, 0, v153
	v_mul_f32_e32 v12, v9, v136
	s_waitcnt vmcnt(8)
	v_fma_f32 v3, v6, v144, -v3
	v_fmac_f32_e32 v155, v7, v144
	v_add_f32_e32 v2, v2, v4
	v_add_f32_e32 v4, v5, v154
	;; [unrolled: 6-line block ×5, first 2 shown]
	v_mul_f32_e32 v5, v133, v140
	s_waitcnt vmcnt(4)
	v_fma_f32 v6, v130, v148, -v6
	v_mul_f32_e32 v160, v132, v140
	v_add_f32_e32 v2, v2, v4
	v_fmac_f32_e32 v159, v131, v148
	v_add_f32_e32 v3, v3, v158
	s_waitcnt lgkmcnt(0)
	v_mul_f32_e32 v4, v11, v141
	s_waitcnt vmcnt(3)
	v_fma_f32 v5, v132, v149, -v5
	v_add_f32_e32 v2, v2, v6
	v_mul_f32_e32 v161, v10, v141
	v_fmac_f32_e32 v160, v133, v149
	v_add_f32_e32 v3, v3, v159
	s_waitcnt vmcnt(2)
	v_fma_f32 v4, v10, v150, -v4
	v_add_f32_e32 v2, v2, v5
	v_fmac_f32_e32 v161, v11, v150
	v_add_f32_e32 v3, v3, v160
	v_add_f32_e32 v2, v2, v4
	;; [unrolled: 1-line block ×3, first 2 shown]
	s_waitcnt vmcnt(1)
	v_sub_f32_e32 v2, v151, v2
	s_waitcnt vmcnt(0)
	v_sub_f32_e32 v3, v152, v3
	buffer_store_dword v2, off, s[0:3], 0 offset:368
	buffer_store_dword v3, off, s[0:3], 0 offset:372
	v_cmpx_lt_u32_e32 45, v0
	s_cbranch_execz .LBB119_259
; %bb.258:
	s_clause 0x1
	buffer_load_dword v2, off, s[0:3], 0 offset:360
	buffer_load_dword v3, off, s[0:3], 0 offset:364
	buffer_store_dword v1, off, s[0:3], 0 offset:360
	buffer_store_dword v1, off, s[0:3], 0 offset:364
	s_waitcnt vmcnt(0)
	ds_write_b64 v125, v[2:3]
.LBB119_259:
	s_or_b32 exec_lo, exec_lo, s4
	s_waitcnt lgkmcnt(0)
	s_waitcnt_vscnt null, 0x0
	s_barrier
	buffer_gl0_inv
	s_clause 0x15
	buffer_load_dword v10, off, s[0:3], 0 offset:372
	buffer_load_dword v11, off, s[0:3], 0 offset:380
	;; [unrolled: 1-line block ×22, first 2 shown]
	ds_read_b128 v[2:5], v1 offset:816
	ds_read_b128 v[6:9], v1 offset:832
	;; [unrolled: 1-line block ×5, first 2 shown]
	s_mov_b32 s4, exec_lo
	s_waitcnt vmcnt(21) lgkmcnt(4)
	v_mul_f32_e32 v1, v2, v10
	v_mul_f32_e32 v10, v3, v10
	s_waitcnt vmcnt(20)
	v_mul_f32_e32 v157, v4, v11
	v_mul_f32_e32 v11, v5, v11
	s_waitcnt vmcnt(19) lgkmcnt(3)
	v_mul_f32_e32 v158, v6, v12
	s_waitcnt vmcnt(18)
	v_mul_f32_e32 v159, v8, v138
	s_waitcnt vmcnt(17) lgkmcnt(2)
	v_mul_f32_e32 v160, v126, v139
	s_waitcnt vmcnt(16)
	;; [unrolled: 4-line block ×3, first 2 shown]
	v_mul_f32_e32 v163, v132, v142
	s_waitcnt vmcnt(11)
	v_fma_f32 v2, v2, v145, -v10
	v_fmac_f32_e32 v1, v3, v145
	v_mul_f32_e32 v3, v7, v12
	s_waitcnt vmcnt(10)
	v_fma_f32 v4, v4, v146, -v11
	v_fmac_f32_e32 v157, v5, v146
	v_add_f32_e32 v2, 0, v2
	v_add_f32_e32 v1, 0, v1
	v_mul_f32_e32 v5, v9, v138
	s_waitcnt vmcnt(9)
	v_fma_f32 v3, v6, v147, -v3
	v_fmac_f32_e32 v158, v7, v147
	v_add_f32_e32 v2, v2, v4
	v_add_f32_e32 v1, v1, v157
	;; [unrolled: 6-line block ×6, first 2 shown]
	s_waitcnt lgkmcnt(0)
	v_mul_f32_e32 v3, v135, v143
	s_waitcnt vmcnt(4)
	v_fma_f32 v4, v132, v152, -v4
	v_mul_f32_e32 v164, v134, v143
	v_add_f32_e32 v2, v2, v5
	v_fmac_f32_e32 v163, v133, v152
	v_add_f32_e32 v1, v1, v162
	v_mul_f32_e32 v5, v137, v144
	s_waitcnt vmcnt(3)
	v_fma_f32 v3, v134, v153, -v3
	v_add_f32_e32 v2, v2, v4
	v_mul_f32_e32 v165, v136, v144
	v_fmac_f32_e32 v164, v135, v153
	v_add_f32_e32 v1, v1, v163
	s_waitcnt vmcnt(2)
	v_fma_f32 v4, v136, v154, -v5
	v_add_f32_e32 v2, v2, v3
	v_fmac_f32_e32 v165, v137, v154
	v_add_f32_e32 v1, v1, v164
	v_add_f32_e32 v2, v2, v4
	;; [unrolled: 1-line block ×3, first 2 shown]
	s_waitcnt vmcnt(1)
	v_sub_f32_e32 v2, v155, v2
	s_waitcnt vmcnt(0)
	v_sub_f32_e32 v1, v156, v1
	buffer_store_dword v2, off, s[0:3], 0 offset:360
	buffer_store_dword v1, off, s[0:3], 0 offset:364
	v_cmpx_lt_u32_e32 44, v0
	s_cbranch_execz .LBB119_261
; %bb.260:
	s_clause 0x1
	buffer_load_dword v1, off, s[0:3], 0 offset:352
	buffer_load_dword v2, off, s[0:3], 0 offset:356
	v_mov_b32_e32 v3, 0
	buffer_store_dword v3, off, s[0:3], 0 offset:352
	buffer_store_dword v3, off, s[0:3], 0 offset:356
	s_waitcnt vmcnt(0)
	ds_write_b64 v125, v[1:2]
.LBB119_261:
	s_or_b32 exec_lo, exec_lo, s4
	s_waitcnt lgkmcnt(0)
	s_waitcnt_vscnt null, 0x0
	s_barrier
	buffer_gl0_inv
	s_clause 0x17
	buffer_load_dword v12, off, s[0:3], 0 offset:364
	buffer_load_dword v138, off, s[0:3], 0 offset:372
	;; [unrolled: 1-line block ×24, first 2 shown]
	v_mov_b32_e32 v1, 0
	ds_read2_b64 v[2:5], v1 offset0:101 offset1:102
	ds_read2_b64 v[6:9], v1 offset0:103 offset1:104
	;; [unrolled: 1-line block ×5, first 2 shown]
	ds_read_b64 v[10:11], v1 offset:888
	s_mov_b32 s4, exec_lo
	s_waitcnt vmcnt(23) lgkmcnt(5)
	v_mul_f32_e32 v161, v2, v12
	v_mul_f32_e32 v12, v3, v12
	s_waitcnt vmcnt(22)
	v_mul_f32_e32 v162, v4, v138
	v_mul_f32_e32 v138, v5, v138
	s_waitcnt vmcnt(21) lgkmcnt(4)
	v_mul_f32_e32 v163, v6, v139
	s_waitcnt vmcnt(20)
	v_mul_f32_e32 v164, v8, v140
	s_waitcnt vmcnt(19) lgkmcnt(3)
	v_mul_f32_e32 v165, v126, v141
	s_waitcnt vmcnt(18)
	;; [unrolled: 4-line block ×4, first 2 shown]
	v_fma_f32 v2, v2, v148, -v12
	v_fmac_f32_e32 v161, v3, v148
	v_mul_f32_e32 v3, v7, v139
	s_waitcnt vmcnt(11)
	v_fma_f32 v4, v4, v149, -v138
	v_fmac_f32_e32 v162, v5, v149
	v_add_f32_e32 v2, 0, v2
	v_add_f32_e32 v5, 0, v161
	v_mul_f32_e32 v12, v9, v140
	s_waitcnt vmcnt(10)
	v_fma_f32 v3, v6, v150, -v3
	v_fmac_f32_e32 v163, v7, v150
	v_add_f32_e32 v2, v2, v4
	v_add_f32_e32 v4, v5, v162
	;; [unrolled: 6-line block ×7, first 2 shown]
	v_mul_f32_e32 v6, v137, v146
	s_waitcnt vmcnt(4)
	v_fma_f32 v4, v134, v156, -v4
	v_mul_f32_e32 v170, v136, v146
	v_add_f32_e32 v2, v2, v5
	v_fmac_f32_e32 v169, v135, v156
	v_add_f32_e32 v3, v3, v168
	s_waitcnt lgkmcnt(0)
	v_mul_f32_e32 v5, v11, v147
	s_waitcnt vmcnt(3)
	v_fma_f32 v6, v136, v157, -v6
	v_add_f32_e32 v2, v2, v4
	v_mul_f32_e32 v171, v10, v147
	v_fmac_f32_e32 v170, v137, v157
	v_add_f32_e32 v3, v3, v169
	s_waitcnt vmcnt(2)
	v_fma_f32 v4, v10, v158, -v5
	v_add_f32_e32 v2, v2, v6
	v_fmac_f32_e32 v171, v11, v158
	v_add_f32_e32 v3, v3, v170
	v_add_f32_e32 v2, v2, v4
	;; [unrolled: 1-line block ×3, first 2 shown]
	s_waitcnt vmcnt(1)
	v_sub_f32_e32 v2, v159, v2
	s_waitcnt vmcnt(0)
	v_sub_f32_e32 v3, v160, v3
	buffer_store_dword v2, off, s[0:3], 0 offset:352
	buffer_store_dword v3, off, s[0:3], 0 offset:356
	v_cmpx_lt_u32_e32 43, v0
	s_cbranch_execz .LBB119_263
; %bb.262:
	s_clause 0x1
	buffer_load_dword v2, off, s[0:3], 0 offset:344
	buffer_load_dword v3, off, s[0:3], 0 offset:348
	buffer_store_dword v1, off, s[0:3], 0 offset:344
	buffer_store_dword v1, off, s[0:3], 0 offset:348
	s_waitcnt vmcnt(0)
	ds_write_b64 v125, v[2:3]
.LBB119_263:
	s_or_b32 exec_lo, exec_lo, s4
	s_waitcnt lgkmcnt(0)
	s_waitcnt_vscnt null, 0x0
	s_barrier
	buffer_gl0_inv
	s_clause 0x19
	buffer_load_dword v10, off, s[0:3], 0 offset:356
	buffer_load_dword v11, off, s[0:3], 0 offset:364
	;; [unrolled: 1-line block ×26, first 2 shown]
	ds_read_b128 v[2:5], v1 offset:800
	ds_read_b128 v[6:9], v1 offset:816
	;; [unrolled: 1-line block ×6, first 2 shown]
	s_mov_b32 s4, exec_lo
	s_waitcnt vmcnt(25) lgkmcnt(5)
	v_mul_f32_e32 v1, v2, v10
	v_mul_f32_e32 v10, v3, v10
	s_waitcnt vmcnt(24)
	v_mul_f32_e32 v165, v4, v11
	v_mul_f32_e32 v11, v5, v11
	s_waitcnt vmcnt(23) lgkmcnt(4)
	v_mul_f32_e32 v166, v6, v12
	s_waitcnt vmcnt(22)
	v_mul_f32_e32 v167, v8, v142
	s_waitcnt vmcnt(21) lgkmcnt(3)
	v_mul_f32_e32 v168, v126, v143
	s_waitcnt vmcnt(20)
	;; [unrolled: 4-line block ×4, first 2 shown]
	v_mul_f32_e32 v173, v136, v148
	s_waitcnt vmcnt(13)
	v_fma_f32 v2, v2, v151, -v10
	v_fmac_f32_e32 v1, v3, v151
	v_mul_f32_e32 v3, v7, v12
	s_waitcnt vmcnt(12)
	v_fma_f32 v4, v4, v152, -v11
	v_fmac_f32_e32 v165, v5, v152
	v_add_f32_e32 v2, 0, v2
	v_add_f32_e32 v1, 0, v1
	v_mul_f32_e32 v5, v9, v142
	s_waitcnt vmcnt(11)
	v_fma_f32 v3, v6, v153, -v3
	v_fmac_f32_e32 v166, v7, v153
	v_add_f32_e32 v2, v2, v4
	v_add_f32_e32 v1, v1, v165
	;; [unrolled: 6-line block ×8, first 2 shown]
	s_waitcnt lgkmcnt(0)
	v_mul_f32_e32 v4, v139, v149
	s_waitcnt vmcnt(4)
	v_fma_f32 v5, v136, v160, -v5
	v_mul_f32_e32 v174, v138, v149
	v_add_f32_e32 v2, v2, v3
	v_fmac_f32_e32 v173, v137, v160
	v_add_f32_e32 v1, v1, v172
	v_mul_f32_e32 v3, v141, v150
	s_waitcnt vmcnt(3)
	v_fma_f32 v4, v138, v161, -v4
	v_add_f32_e32 v2, v2, v5
	v_mul_f32_e32 v175, v140, v150
	v_fmac_f32_e32 v174, v139, v161
	v_add_f32_e32 v1, v1, v173
	s_waitcnt vmcnt(2)
	v_fma_f32 v3, v140, v162, -v3
	v_add_f32_e32 v2, v2, v4
	v_fmac_f32_e32 v175, v141, v162
	v_add_f32_e32 v1, v1, v174
	v_add_f32_e32 v2, v2, v3
	;; [unrolled: 1-line block ×3, first 2 shown]
	s_waitcnt vmcnt(1)
	v_sub_f32_e32 v2, v163, v2
	s_waitcnt vmcnt(0)
	v_sub_f32_e32 v1, v164, v1
	buffer_store_dword v2, off, s[0:3], 0 offset:344
	buffer_store_dword v1, off, s[0:3], 0 offset:348
	v_cmpx_lt_u32_e32 42, v0
	s_cbranch_execz .LBB119_265
; %bb.264:
	s_clause 0x1
	buffer_load_dword v1, off, s[0:3], 0 offset:336
	buffer_load_dword v2, off, s[0:3], 0 offset:340
	v_mov_b32_e32 v3, 0
	buffer_store_dword v3, off, s[0:3], 0 offset:336
	buffer_store_dword v3, off, s[0:3], 0 offset:340
	s_waitcnt vmcnt(0)
	ds_write_b64 v125, v[1:2]
.LBB119_265:
	s_or_b32 exec_lo, exec_lo, s4
	s_waitcnt lgkmcnt(0)
	s_waitcnt_vscnt null, 0x0
	s_barrier
	buffer_gl0_inv
	s_clause 0x1b
	buffer_load_dword v12, off, s[0:3], 0 offset:348
	buffer_load_dword v142, off, s[0:3], 0 offset:356
	;; [unrolled: 1-line block ×28, first 2 shown]
	v_mov_b32_e32 v1, 0
	ds_read2_b64 v[2:5], v1 offset0:99 offset1:100
	ds_read2_b64 v[6:9], v1 offset0:101 offset1:102
	;; [unrolled: 1-line block ×6, first 2 shown]
	ds_read_b64 v[10:11], v1 offset:888
	s_mov_b32 s4, exec_lo
	s_waitcnt vmcnt(27) lgkmcnt(6)
	v_mul_f32_e32 v169, v2, v12
	v_mul_f32_e32 v12, v3, v12
	s_waitcnt vmcnt(26)
	v_mul_f32_e32 v170, v4, v142
	v_mul_f32_e32 v142, v5, v142
	s_waitcnt vmcnt(25) lgkmcnt(5)
	v_mul_f32_e32 v171, v6, v143
	s_waitcnt vmcnt(24)
	v_mul_f32_e32 v172, v8, v144
	s_waitcnt vmcnt(23) lgkmcnt(4)
	v_mul_f32_e32 v173, v126, v145
	s_waitcnt vmcnt(22)
	;; [unrolled: 4-line block ×5, first 2 shown]
	v_fma_f32 v2, v2, v154, -v12
	v_fmac_f32_e32 v169, v3, v154
	v_mul_f32_e32 v3, v7, v143
	s_waitcnt vmcnt(13)
	v_fma_f32 v4, v4, v155, -v142
	v_fmac_f32_e32 v170, v5, v155
	v_add_f32_e32 v2, 0, v2
	v_add_f32_e32 v5, 0, v169
	v_mul_f32_e32 v12, v9, v144
	s_waitcnt vmcnt(12)
	v_fma_f32 v3, v6, v156, -v3
	v_fmac_f32_e32 v171, v7, v156
	v_add_f32_e32 v2, v2, v4
	v_add_f32_e32 v4, v5, v170
	;; [unrolled: 6-line block ×9, first 2 shown]
	v_mul_f32_e32 v4, v141, v152
	s_waitcnt vmcnt(4)
	v_fma_f32 v5, v138, v164, -v5
	v_mul_f32_e32 v180, v140, v152
	v_add_f32_e32 v2, v2, v6
	v_fmac_f32_e32 v179, v139, v164
	v_add_f32_e32 v3, v3, v178
	s_waitcnt lgkmcnt(0)
	v_mul_f32_e32 v6, v11, v153
	s_waitcnt vmcnt(3)
	v_fma_f32 v4, v140, v165, -v4
	v_add_f32_e32 v2, v2, v5
	v_mul_f32_e32 v181, v10, v153
	v_fmac_f32_e32 v180, v141, v165
	v_add_f32_e32 v3, v3, v179
	s_waitcnt vmcnt(2)
	v_fma_f32 v5, v10, v166, -v6
	v_add_f32_e32 v2, v2, v4
	v_fmac_f32_e32 v181, v11, v166
	v_add_f32_e32 v3, v3, v180
	v_add_f32_e32 v2, v2, v5
	v_add_f32_e32 v3, v3, v181
	s_waitcnt vmcnt(1)
	v_sub_f32_e32 v2, v167, v2
	s_waitcnt vmcnt(0)
	v_sub_f32_e32 v3, v168, v3
	buffer_store_dword v2, off, s[0:3], 0 offset:336
	buffer_store_dword v3, off, s[0:3], 0 offset:340
	v_cmpx_lt_u32_e32 41, v0
	s_cbranch_execz .LBB119_267
; %bb.266:
	s_clause 0x1
	buffer_load_dword v2, off, s[0:3], 0 offset:328
	buffer_load_dword v3, off, s[0:3], 0 offset:332
	buffer_store_dword v1, off, s[0:3], 0 offset:328
	buffer_store_dword v1, off, s[0:3], 0 offset:332
	s_waitcnt vmcnt(0)
	ds_write_b64 v125, v[2:3]
.LBB119_267:
	s_or_b32 exec_lo, exec_lo, s4
	s_waitcnt lgkmcnt(0)
	s_waitcnt_vscnt null, 0x0
	s_barrier
	buffer_gl0_inv
	s_clause 0x1d
	buffer_load_dword v10, off, s[0:3], 0 offset:340
	buffer_load_dword v11, off, s[0:3], 0 offset:348
	;; [unrolled: 1-line block ×30, first 2 shown]
	ds_read_b128 v[2:5], v1 offset:784
	ds_read_b128 v[6:9], v1 offset:800
	;; [unrolled: 1-line block ×7, first 2 shown]
	s_mov_b32 s4, exec_lo
	s_waitcnt vmcnt(29) lgkmcnt(6)
	v_mul_f32_e32 v1, v2, v10
	v_mul_f32_e32 v10, v3, v10
	s_waitcnt vmcnt(28)
	v_mul_f32_e32 v173, v4, v11
	v_mul_f32_e32 v11, v5, v11
	s_waitcnt vmcnt(27) lgkmcnt(5)
	v_mul_f32_e32 v174, v6, v12
	s_waitcnt vmcnt(26)
	v_mul_f32_e32 v175, v8, v146
	s_waitcnt vmcnt(25) lgkmcnt(4)
	v_mul_f32_e32 v176, v126, v147
	s_waitcnt vmcnt(24)
	v_mul_f32_e32 v177, v128, v148
	s_waitcnt vmcnt(23) lgkmcnt(3)
	v_mul_f32_e32 v178, v130, v149
	s_waitcnt vmcnt(22)
	v_mul_f32_e32 v179, v132, v150
	s_waitcnt vmcnt(21) lgkmcnt(2)
	v_mul_f32_e32 v180, v134, v151
	s_waitcnt vmcnt(20)
	v_mul_f32_e32 v181, v136, v152
	s_waitcnt vmcnt(19) lgkmcnt(1)
	v_mul_f32_e32 v182, v138, v153
	s_waitcnt vmcnt(18)
	v_mul_f32_e32 v183, v140, v154
	s_waitcnt vmcnt(15)
	v_fma_f32 v2, v2, v157, -v10
	v_fmac_f32_e32 v1, v3, v157
	v_mul_f32_e32 v3, v7, v12
	s_waitcnt vmcnt(14)
	v_fma_f32 v4, v4, v158, -v11
	v_fmac_f32_e32 v173, v5, v158
	v_add_f32_e32 v2, 0, v2
	v_add_f32_e32 v1, 0, v1
	v_mul_f32_e32 v5, v9, v146
	s_waitcnt vmcnt(13)
	v_fma_f32 v3, v6, v159, -v3
	v_fmac_f32_e32 v174, v7, v159
	v_add_f32_e32 v2, v2, v4
	v_add_f32_e32 v1, v1, v173
	;; [unrolled: 6-line block ×10, first 2 shown]
	s_waitcnt lgkmcnt(0)
	v_mul_f32_e32 v5, v143, v155
	s_waitcnt vmcnt(4)
	v_fma_f32 v3, v140, v168, -v3
	v_mul_f32_e32 v184, v142, v155
	v_add_f32_e32 v2, v2, v4
	v_fmac_f32_e32 v183, v141, v168
	v_add_f32_e32 v1, v1, v182
	v_mul_f32_e32 v4, v145, v156
	s_waitcnt vmcnt(3)
	v_fma_f32 v5, v142, v169, -v5
	v_add_f32_e32 v2, v2, v3
	v_mul_f32_e32 v185, v144, v156
	v_fmac_f32_e32 v184, v143, v169
	v_add_f32_e32 v1, v1, v183
	s_waitcnt vmcnt(2)
	v_fma_f32 v3, v144, v170, -v4
	v_add_f32_e32 v2, v2, v5
	v_fmac_f32_e32 v185, v145, v170
	v_add_f32_e32 v1, v1, v184
	v_add_f32_e32 v2, v2, v3
	;; [unrolled: 1-line block ×3, first 2 shown]
	s_waitcnt vmcnt(1)
	v_sub_f32_e32 v2, v171, v2
	s_waitcnt vmcnt(0)
	v_sub_f32_e32 v1, v172, v1
	buffer_store_dword v2, off, s[0:3], 0 offset:328
	buffer_store_dword v1, off, s[0:3], 0 offset:332
	v_cmpx_lt_u32_e32 40, v0
	s_cbranch_execz .LBB119_269
; %bb.268:
	s_clause 0x1
	buffer_load_dword v1, off, s[0:3], 0 offset:320
	buffer_load_dword v2, off, s[0:3], 0 offset:324
	v_mov_b32_e32 v3, 0
	buffer_store_dword v3, off, s[0:3], 0 offset:320
	buffer_store_dword v3, off, s[0:3], 0 offset:324
	s_waitcnt vmcnt(0)
	ds_write_b64 v125, v[1:2]
.LBB119_269:
	s_or_b32 exec_lo, exec_lo, s4
	s_waitcnt lgkmcnt(0)
	s_waitcnt_vscnt null, 0x0
	s_barrier
	buffer_gl0_inv
	s_clause 0x1f
	buffer_load_dword v12, off, s[0:3], 0 offset:332
	buffer_load_dword v146, off, s[0:3], 0 offset:340
	;; [unrolled: 1-line block ×32, first 2 shown]
	v_mov_b32_e32 v1, 0
	ds_read2_b64 v[2:5], v1 offset0:97 offset1:98
	ds_read2_b64 v[6:9], v1 offset0:99 offset1:100
	;; [unrolled: 1-line block ×7, first 2 shown]
	ds_read_b64 v[10:11], v1 offset:888
	s_mov_b32 s4, exec_lo
	s_waitcnt vmcnt(31) lgkmcnt(7)
	v_mul_f32_e32 v177, v2, v12
	v_mul_f32_e32 v12, v3, v12
	s_waitcnt vmcnt(30)
	v_mul_f32_e32 v178, v4, v146
	v_mul_f32_e32 v146, v5, v146
	s_waitcnt vmcnt(29) lgkmcnt(6)
	v_mul_f32_e32 v179, v6, v147
	s_waitcnt vmcnt(28)
	v_mul_f32_e32 v180, v8, v148
	s_waitcnt vmcnt(27) lgkmcnt(5)
	v_mul_f32_e32 v181, v126, v149
	s_waitcnt vmcnt(26)
	;; [unrolled: 4-line block ×6, first 2 shown]
	v_fma_f32 v2, v2, v160, -v12
	v_fmac_f32_e32 v177, v3, v160
	v_mul_f32_e32 v3, v7, v147
	s_waitcnt vmcnt(15)
	v_fma_f32 v4, v4, v161, -v146
	v_fmac_f32_e32 v178, v5, v161
	v_add_f32_e32 v2, 0, v2
	v_add_f32_e32 v5, 0, v177
	v_mul_f32_e32 v12, v9, v148
	s_waitcnt vmcnt(14)
	v_fma_f32 v3, v6, v162, -v3
	v_fmac_f32_e32 v179, v7, v162
	v_add_f32_e32 v2, v2, v4
	v_add_f32_e32 v4, v5, v178
	;; [unrolled: 6-line block ×11, first 2 shown]
	v_mul_f32_e32 v5, v145, v158
	s_waitcnt vmcnt(4)
	v_fma_f32 v6, v142, v172, -v6
	v_mul_f32_e32 v190, v144, v158
	v_add_f32_e32 v2, v2, v4
	v_fmac_f32_e32 v189, v143, v172
	v_add_f32_e32 v3, v3, v188
	s_waitcnt lgkmcnt(0)
	v_mul_f32_e32 v4, v11, v159
	s_waitcnt vmcnt(3)
	v_fma_f32 v5, v144, v173, -v5
	v_add_f32_e32 v2, v2, v6
	v_mul_f32_e32 v191, v10, v159
	v_fmac_f32_e32 v190, v145, v173
	v_add_f32_e32 v3, v3, v189
	s_waitcnt vmcnt(2)
	v_fma_f32 v4, v10, v174, -v4
	v_add_f32_e32 v2, v2, v5
	v_fmac_f32_e32 v191, v11, v174
	v_add_f32_e32 v3, v3, v190
	v_add_f32_e32 v2, v2, v4
	;; [unrolled: 1-line block ×3, first 2 shown]
	s_waitcnt vmcnt(1)
	v_sub_f32_e32 v2, v175, v2
	s_waitcnt vmcnt(0)
	v_sub_f32_e32 v3, v176, v3
	buffer_store_dword v2, off, s[0:3], 0 offset:320
	buffer_store_dword v3, off, s[0:3], 0 offset:324
	v_cmpx_lt_u32_e32 39, v0
	s_cbranch_execz .LBB119_271
; %bb.270:
	s_clause 0x1
	buffer_load_dword v2, off, s[0:3], 0 offset:312
	buffer_load_dword v3, off, s[0:3], 0 offset:316
	buffer_store_dword v1, off, s[0:3], 0 offset:312
	buffer_store_dword v1, off, s[0:3], 0 offset:316
	s_waitcnt vmcnt(0)
	ds_write_b64 v125, v[2:3]
.LBB119_271:
	s_or_b32 exec_lo, exec_lo, s4
	s_waitcnt lgkmcnt(0)
	s_waitcnt_vscnt null, 0x0
	s_barrier
	buffer_gl0_inv
	s_clause 0x21
	buffer_load_dword v10, off, s[0:3], 0 offset:324
	buffer_load_dword v11, off, s[0:3], 0 offset:332
	buffer_load_dword v12, off, s[0:3], 0 offset:340
	buffer_load_dword v150, off, s[0:3], 0 offset:348
	buffer_load_dword v151, off, s[0:3], 0 offset:356
	buffer_load_dword v152, off, s[0:3], 0 offset:364
	buffer_load_dword v153, off, s[0:3], 0 offset:372
	buffer_load_dword v154, off, s[0:3], 0 offset:380
	buffer_load_dword v155, off, s[0:3], 0 offset:388
	buffer_load_dword v156, off, s[0:3], 0 offset:396
	buffer_load_dword v157, off, s[0:3], 0 offset:404
	buffer_load_dword v158, off, s[0:3], 0 offset:412
	buffer_load_dword v159, off, s[0:3], 0 offset:420
	buffer_load_dword v160, off, s[0:3], 0 offset:428
	buffer_load_dword v161, off, s[0:3], 0 offset:436
	buffer_load_dword v162, off, s[0:3], 0 offset:444
	buffer_load_dword v163, off, s[0:3], 0 offset:320
	buffer_load_dword v164, off, s[0:3], 0 offset:328
	buffer_load_dword v165, off, s[0:3], 0 offset:336
	buffer_load_dword v166, off, s[0:3], 0 offset:344
	buffer_load_dword v167, off, s[0:3], 0 offset:352
	buffer_load_dword v168, off, s[0:3], 0 offset:360
	buffer_load_dword v169, off, s[0:3], 0 offset:368
	buffer_load_dword v170, off, s[0:3], 0 offset:376
	buffer_load_dword v171, off, s[0:3], 0 offset:384
	buffer_load_dword v172, off, s[0:3], 0 offset:392
	buffer_load_dword v173, off, s[0:3], 0 offset:400
	buffer_load_dword v174, off, s[0:3], 0 offset:408
	buffer_load_dword v175, off, s[0:3], 0 offset:416
	buffer_load_dword v176, off, s[0:3], 0 offset:424
	buffer_load_dword v177, off, s[0:3], 0 offset:432
	buffer_load_dword v178, off, s[0:3], 0 offset:440
	buffer_load_dword v179, off, s[0:3], 0 offset:312
	buffer_load_dword v180, off, s[0:3], 0 offset:316
	ds_read_b128 v[2:5], v1 offset:768
	ds_read_b128 v[6:9], v1 offset:784
	;; [unrolled: 1-line block ×8, first 2 shown]
	s_mov_b32 s4, exec_lo
	s_waitcnt vmcnt(33) lgkmcnt(7)
	v_mul_f32_e32 v1, v2, v10
	v_mul_f32_e32 v10, v3, v10
	s_waitcnt vmcnt(32)
	v_mul_f32_e32 v181, v4, v11
	v_mul_f32_e32 v11, v5, v11
	s_waitcnt vmcnt(31) lgkmcnt(6)
	v_mul_f32_e32 v182, v6, v12
	s_waitcnt vmcnt(30)
	v_mul_f32_e32 v183, v8, v150
	s_waitcnt vmcnt(29) lgkmcnt(5)
	v_mul_f32_e32 v184, v126, v151
	s_waitcnt vmcnt(28)
	;; [unrolled: 4-line block ×6, first 2 shown]
	v_mul_f32_e32 v193, v144, v160
	s_waitcnt vmcnt(17)
	v_fma_f32 v2, v2, v163, -v10
	v_fmac_f32_e32 v1, v3, v163
	v_mul_f32_e32 v3, v7, v12
	s_waitcnt vmcnt(16)
	v_fma_f32 v4, v4, v164, -v11
	v_fmac_f32_e32 v181, v5, v164
	v_add_f32_e32 v2, 0, v2
	v_add_f32_e32 v1, 0, v1
	v_mul_f32_e32 v5, v9, v150
	s_waitcnt vmcnt(15)
	v_fma_f32 v3, v6, v165, -v3
	v_fmac_f32_e32 v182, v7, v165
	v_add_f32_e32 v2, v2, v4
	v_add_f32_e32 v1, v1, v181
	;; [unrolled: 6-line block ×12, first 2 shown]
	s_waitcnt lgkmcnt(0)
	v_mul_f32_e32 v3, v147, v161
	s_waitcnt vmcnt(4)
	v_fma_f32 v4, v144, v176, -v4
	v_mul_f32_e32 v194, v146, v161
	v_add_f32_e32 v2, v2, v5
	v_fmac_f32_e32 v193, v145, v176
	v_add_f32_e32 v1, v1, v192
	v_mul_f32_e32 v5, v149, v162
	s_waitcnt vmcnt(3)
	v_fma_f32 v3, v146, v177, -v3
	v_add_f32_e32 v2, v2, v4
	v_mul_f32_e32 v195, v148, v162
	v_fmac_f32_e32 v194, v147, v177
	v_add_f32_e32 v1, v1, v193
	s_waitcnt vmcnt(2)
	v_fma_f32 v4, v148, v178, -v5
	v_add_f32_e32 v2, v2, v3
	v_fmac_f32_e32 v195, v149, v178
	v_add_f32_e32 v1, v1, v194
	v_add_f32_e32 v2, v2, v4
	;; [unrolled: 1-line block ×3, first 2 shown]
	s_waitcnt vmcnt(1)
	v_sub_f32_e32 v2, v179, v2
	s_waitcnt vmcnt(0)
	v_sub_f32_e32 v1, v180, v1
	buffer_store_dword v2, off, s[0:3], 0 offset:312
	buffer_store_dword v1, off, s[0:3], 0 offset:316
	v_cmpx_lt_u32_e32 38, v0
	s_cbranch_execz .LBB119_273
; %bb.272:
	s_clause 0x1
	buffer_load_dword v1, off, s[0:3], 0 offset:304
	buffer_load_dword v2, off, s[0:3], 0 offset:308
	v_mov_b32_e32 v3, 0
	buffer_store_dword v3, off, s[0:3], 0 offset:304
	buffer_store_dword v3, off, s[0:3], 0 offset:308
	s_waitcnt vmcnt(0)
	ds_write_b64 v125, v[1:2]
.LBB119_273:
	s_or_b32 exec_lo, exec_lo, s4
	s_waitcnt lgkmcnt(0)
	s_waitcnt_vscnt null, 0x0
	s_barrier
	buffer_gl0_inv
	s_clause 0x23
	buffer_load_dword v12, off, s[0:3], 0 offset:316
	buffer_load_dword v150, off, s[0:3], 0 offset:324
	;; [unrolled: 1-line block ×36, first 2 shown]
	v_mov_b32_e32 v1, 0
	ds_read2_b64 v[2:5], v1 offset0:95 offset1:96
	ds_read2_b64 v[6:9], v1 offset0:97 offset1:98
	;; [unrolled: 1-line block ×8, first 2 shown]
	ds_read_b64 v[10:11], v1 offset:888
	s_mov_b32 s4, exec_lo
	s_waitcnt vmcnt(35) lgkmcnt(8)
	v_mul_f32_e32 v185, v2, v12
	v_mul_f32_e32 v12, v3, v12
	s_waitcnt vmcnt(34)
	v_mul_f32_e32 v186, v4, v150
	v_mul_f32_e32 v150, v5, v150
	s_waitcnt vmcnt(33) lgkmcnt(7)
	v_mul_f32_e32 v187, v6, v151
	s_waitcnt vmcnt(32)
	v_mul_f32_e32 v188, v8, v152
	s_waitcnt vmcnt(31) lgkmcnt(6)
	v_mul_f32_e32 v189, v126, v153
	s_waitcnt vmcnt(30)
	;; [unrolled: 4-line block ×7, first 2 shown]
	v_fma_f32 v2, v2, v166, -v12
	v_fmac_f32_e32 v185, v3, v166
	v_mul_f32_e32 v3, v7, v151
	s_waitcnt vmcnt(17)
	v_fma_f32 v4, v4, v167, -v150
	v_fmac_f32_e32 v186, v5, v167
	v_add_f32_e32 v2, 0, v2
	v_add_f32_e32 v5, 0, v185
	v_mul_f32_e32 v12, v9, v152
	s_waitcnt vmcnt(16)
	v_fma_f32 v3, v6, v168, -v3
	v_fmac_f32_e32 v187, v7, v168
	v_add_f32_e32 v2, v2, v4
	v_add_f32_e32 v4, v5, v186
	;; [unrolled: 6-line block ×13, first 2 shown]
	v_mul_f32_e32 v6, v149, v164
	s_waitcnt vmcnt(4)
	v_fma_f32 v4, v146, v180, -v4
	v_mul_f32_e32 v200, v148, v164
	v_add_f32_e32 v2, v2, v5
	v_fmac_f32_e32 v199, v147, v180
	v_add_f32_e32 v3, v3, v198
	s_waitcnt lgkmcnt(0)
	v_mul_f32_e32 v5, v11, v165
	s_waitcnt vmcnt(3)
	v_fma_f32 v6, v148, v181, -v6
	v_add_f32_e32 v2, v2, v4
	v_mul_f32_e32 v201, v10, v165
	v_fmac_f32_e32 v200, v149, v181
	v_add_f32_e32 v3, v3, v199
	s_waitcnt vmcnt(2)
	v_fma_f32 v4, v10, v182, -v5
	v_add_f32_e32 v2, v2, v6
	v_fmac_f32_e32 v201, v11, v182
	v_add_f32_e32 v3, v3, v200
	v_add_f32_e32 v2, v2, v4
	;; [unrolled: 1-line block ×3, first 2 shown]
	s_waitcnt vmcnt(1)
	v_sub_f32_e32 v2, v183, v2
	s_waitcnt vmcnt(0)
	v_sub_f32_e32 v3, v184, v3
	buffer_store_dword v2, off, s[0:3], 0 offset:304
	buffer_store_dword v3, off, s[0:3], 0 offset:308
	v_cmpx_lt_u32_e32 37, v0
	s_cbranch_execz .LBB119_275
; %bb.274:
	s_clause 0x1
	buffer_load_dword v2, off, s[0:3], 0 offset:296
	buffer_load_dword v3, off, s[0:3], 0 offset:300
	buffer_store_dword v1, off, s[0:3], 0 offset:296
	buffer_store_dword v1, off, s[0:3], 0 offset:300
	s_waitcnt vmcnt(0)
	ds_write_b64 v125, v[2:3]
.LBB119_275:
	s_or_b32 exec_lo, exec_lo, s4
	s_waitcnt lgkmcnt(0)
	s_waitcnt_vscnt null, 0x0
	s_barrier
	buffer_gl0_inv
	s_clause 0x25
	buffer_load_dword v10, off, s[0:3], 0 offset:308
	buffer_load_dword v11, off, s[0:3], 0 offset:316
	;; [unrolled: 1-line block ×38, first 2 shown]
	ds_read_b128 v[2:5], v1 offset:752
	ds_read_b128 v[6:9], v1 offset:768
	;; [unrolled: 1-line block ×9, first 2 shown]
	s_mov_b32 s4, exec_lo
	s_waitcnt vmcnt(37) lgkmcnt(8)
	v_mul_f32_e32 v1, v2, v10
	v_mul_f32_e32 v10, v3, v10
	s_waitcnt vmcnt(36)
	v_mul_f32_e32 v189, v4, v11
	v_mul_f32_e32 v11, v5, v11
	s_waitcnt vmcnt(35) lgkmcnt(7)
	v_mul_f32_e32 v190, v6, v12
	s_waitcnt vmcnt(34)
	v_mul_f32_e32 v191, v8, v154
	s_waitcnt vmcnt(33) lgkmcnt(6)
	v_mul_f32_e32 v192, v126, v155
	s_waitcnt vmcnt(32)
	v_mul_f32_e32 v193, v128, v156
	s_waitcnt vmcnt(31) lgkmcnt(5)
	v_mul_f32_e32 v194, v130, v157
	s_waitcnt vmcnt(30)
	v_mul_f32_e32 v195, v132, v158
	s_waitcnt vmcnt(29) lgkmcnt(4)
	v_mul_f32_e32 v196, v134, v159
	s_waitcnt vmcnt(28)
	v_mul_f32_e32 v197, v136, v160
	s_waitcnt vmcnt(27) lgkmcnt(3)
	v_mul_f32_e32 v198, v138, v161
	s_waitcnt vmcnt(26)
	v_mul_f32_e32 v199, v140, v162
	s_waitcnt vmcnt(25) lgkmcnt(2)
	v_mul_f32_e32 v200, v142, v163
	s_waitcnt vmcnt(24)
	v_mul_f32_e32 v201, v144, v164
	s_waitcnt vmcnt(23) lgkmcnt(1)
	v_mul_f32_e32 v202, v146, v165
	s_waitcnt vmcnt(22)
	v_mul_f32_e32 v203, v148, v166
	s_waitcnt vmcnt(19)
	v_fma_f32 v2, v2, v169, -v10
	v_fmac_f32_e32 v1, v3, v169
	v_mul_f32_e32 v3, v7, v12
	s_waitcnt vmcnt(18)
	v_fma_f32 v4, v4, v170, -v11
	v_fmac_f32_e32 v189, v5, v170
	v_add_f32_e32 v2, 0, v2
	v_add_f32_e32 v1, 0, v1
	v_mul_f32_e32 v5, v9, v154
	s_waitcnt vmcnt(17)
	v_fma_f32 v3, v6, v171, -v3
	v_fmac_f32_e32 v190, v7, v171
	v_add_f32_e32 v2, v2, v4
	v_add_f32_e32 v1, v1, v189
	;; [unrolled: 6-line block ×14, first 2 shown]
	s_waitcnt lgkmcnt(0)
	v_mul_f32_e32 v4, v151, v167
	s_waitcnt vmcnt(4)
	v_fma_f32 v5, v148, v184, -v5
	v_mul_f32_e32 v204, v150, v167
	v_add_f32_e32 v2, v2, v3
	v_fmac_f32_e32 v203, v149, v184
	v_add_f32_e32 v1, v1, v202
	v_mul_f32_e32 v3, v153, v168
	s_waitcnt vmcnt(3)
	v_fma_f32 v4, v150, v185, -v4
	v_add_f32_e32 v2, v2, v5
	v_mul_f32_e32 v205, v152, v168
	v_fmac_f32_e32 v204, v151, v185
	v_add_f32_e32 v1, v1, v203
	s_waitcnt vmcnt(2)
	v_fma_f32 v3, v152, v186, -v3
	v_add_f32_e32 v2, v2, v4
	v_fmac_f32_e32 v205, v153, v186
	v_add_f32_e32 v1, v1, v204
	v_add_f32_e32 v2, v2, v3
	;; [unrolled: 1-line block ×3, first 2 shown]
	s_waitcnt vmcnt(1)
	v_sub_f32_e32 v2, v187, v2
	s_waitcnt vmcnt(0)
	v_sub_f32_e32 v1, v188, v1
	buffer_store_dword v2, off, s[0:3], 0 offset:296
	buffer_store_dword v1, off, s[0:3], 0 offset:300
	v_cmpx_lt_u32_e32 36, v0
	s_cbranch_execz .LBB119_277
; %bb.276:
	s_clause 0x1
	buffer_load_dword v1, off, s[0:3], 0 offset:288
	buffer_load_dword v2, off, s[0:3], 0 offset:292
	v_mov_b32_e32 v3, 0
	buffer_store_dword v3, off, s[0:3], 0 offset:288
	buffer_store_dword v3, off, s[0:3], 0 offset:292
	s_waitcnt vmcnt(0)
	ds_write_b64 v125, v[1:2]
.LBB119_277:
	s_or_b32 exec_lo, exec_lo, s4
	s_waitcnt lgkmcnt(0)
	s_waitcnt_vscnt null, 0x0
	s_barrier
	buffer_gl0_inv
	s_clause 0x27
	buffer_load_dword v12, off, s[0:3], 0 offset:300
	buffer_load_dword v154, off, s[0:3], 0 offset:308
	;; [unrolled: 1-line block ×40, first 2 shown]
	v_mov_b32_e32 v1, 0
	ds_read2_b64 v[2:5], v1 offset0:93 offset1:94
	ds_read2_b64 v[6:9], v1 offset0:95 offset1:96
	;; [unrolled: 1-line block ×9, first 2 shown]
	ds_read_b64 v[10:11], v1 offset:888
	s_mov_b32 s4, exec_lo
	s_waitcnt vmcnt(39) lgkmcnt(9)
	v_mul_f32_e32 v193, v2, v12
	v_mul_f32_e32 v12, v3, v12
	s_waitcnt vmcnt(38)
	v_mul_f32_e32 v194, v4, v154
	v_mul_f32_e32 v154, v5, v154
	s_waitcnt vmcnt(37) lgkmcnt(8)
	v_mul_f32_e32 v195, v6, v155
	s_waitcnt vmcnt(36)
	v_mul_f32_e32 v196, v8, v156
	s_waitcnt vmcnt(35) lgkmcnt(7)
	v_mul_f32_e32 v197, v126, v157
	s_waitcnt vmcnt(34)
	;; [unrolled: 4-line block ×8, first 2 shown]
	v_fma_f32 v2, v2, v172, -v12
	v_fmac_f32_e32 v193, v3, v172
	v_mul_f32_e32 v3, v7, v155
	s_waitcnt vmcnt(19)
	v_fma_f32 v4, v4, v173, -v154
	v_fmac_f32_e32 v194, v5, v173
	v_add_f32_e32 v2, 0, v2
	v_add_f32_e32 v5, 0, v193
	v_mul_f32_e32 v12, v9, v156
	s_waitcnt vmcnt(18)
	v_fma_f32 v3, v6, v174, -v3
	v_fmac_f32_e32 v195, v7, v174
	v_add_f32_e32 v2, v2, v4
	v_add_f32_e32 v4, v5, v194
	;; [unrolled: 6-line block ×15, first 2 shown]
	v_mul_f32_e32 v4, v153, v170
	s_waitcnt vmcnt(4)
	v_fma_f32 v5, v150, v188, -v5
	v_mul_f32_e32 v210, v152, v170
	v_add_f32_e32 v2, v2, v6
	v_fmac_f32_e32 v209, v151, v188
	v_add_f32_e32 v3, v3, v208
	s_waitcnt lgkmcnt(0)
	v_mul_f32_e32 v6, v11, v171
	s_waitcnt vmcnt(3)
	v_fma_f32 v4, v152, v189, -v4
	v_add_f32_e32 v2, v2, v5
	v_mul_f32_e32 v211, v10, v171
	v_fmac_f32_e32 v210, v153, v189
	v_add_f32_e32 v3, v3, v209
	s_waitcnt vmcnt(2)
	v_fma_f32 v5, v10, v190, -v6
	v_add_f32_e32 v2, v2, v4
	v_fmac_f32_e32 v211, v11, v190
	v_add_f32_e32 v3, v3, v210
	v_add_f32_e32 v2, v2, v5
	;; [unrolled: 1-line block ×3, first 2 shown]
	s_waitcnt vmcnt(1)
	v_sub_f32_e32 v2, v191, v2
	s_waitcnt vmcnt(0)
	v_sub_f32_e32 v3, v192, v3
	buffer_store_dword v2, off, s[0:3], 0 offset:288
	buffer_store_dword v3, off, s[0:3], 0 offset:292
	v_cmpx_lt_u32_e32 35, v0
	s_cbranch_execz .LBB119_279
; %bb.278:
	s_clause 0x1
	buffer_load_dword v2, off, s[0:3], 0 offset:280
	buffer_load_dword v3, off, s[0:3], 0 offset:284
	buffer_store_dword v1, off, s[0:3], 0 offset:280
	buffer_store_dword v1, off, s[0:3], 0 offset:284
	s_waitcnt vmcnt(0)
	ds_write_b64 v125, v[2:3]
.LBB119_279:
	s_or_b32 exec_lo, exec_lo, s4
	s_waitcnt lgkmcnt(0)
	s_waitcnt_vscnt null, 0x0
	s_barrier
	buffer_gl0_inv
	s_clause 0x29
	buffer_load_dword v10, off, s[0:3], 0 offset:292
	buffer_load_dword v11, off, s[0:3], 0 offset:300
	;; [unrolled: 1-line block ×42, first 2 shown]
	ds_read_b128 v[2:5], v1 offset:736
	ds_read_b128 v[6:9], v1 offset:752
	;; [unrolled: 1-line block ×10, first 2 shown]
	s_mov_b32 s4, exec_lo
	s_waitcnt vmcnt(41) lgkmcnt(9)
	v_mul_f32_e32 v1, v2, v10
	v_mul_f32_e32 v10, v3, v10
	s_waitcnt vmcnt(40)
	v_mul_f32_e32 v197, v4, v11
	v_mul_f32_e32 v11, v5, v11
	s_waitcnt vmcnt(39) lgkmcnt(8)
	v_mul_f32_e32 v198, v6, v12
	s_waitcnt vmcnt(38)
	v_mul_f32_e32 v199, v8, v158
	s_waitcnt vmcnt(37) lgkmcnt(7)
	v_mul_f32_e32 v200, v126, v159
	s_waitcnt vmcnt(36)
	;; [unrolled: 4-line block ×8, first 2 shown]
	v_mul_f32_e32 v213, v152, v172
	s_waitcnt vmcnt(21)
	v_fma_f32 v2, v2, v175, -v10
	v_fmac_f32_e32 v1, v3, v175
	v_mul_f32_e32 v3, v7, v12
	s_waitcnt vmcnt(20)
	v_fma_f32 v4, v4, v176, -v11
	v_fmac_f32_e32 v197, v5, v176
	v_add_f32_e32 v2, 0, v2
	v_add_f32_e32 v1, 0, v1
	v_mul_f32_e32 v5, v9, v158
	s_waitcnt vmcnt(19)
	v_fma_f32 v3, v6, v177, -v3
	v_fmac_f32_e32 v198, v7, v177
	v_add_f32_e32 v2, v2, v4
	v_add_f32_e32 v1, v1, v197
	;; [unrolled: 6-line block ×16, first 2 shown]
	s_waitcnt lgkmcnt(0)
	v_mul_f32_e32 v5, v155, v173
	s_waitcnt vmcnt(4)
	v_fma_f32 v3, v152, v192, -v3
	v_mul_f32_e32 v214, v154, v173
	v_add_f32_e32 v2, v2, v4
	v_fmac_f32_e32 v213, v153, v192
	v_add_f32_e32 v1, v1, v212
	v_mul_f32_e32 v4, v157, v174
	s_waitcnt vmcnt(3)
	v_fma_f32 v5, v154, v193, -v5
	v_add_f32_e32 v2, v2, v3
	v_mul_f32_e32 v215, v156, v174
	v_fmac_f32_e32 v214, v155, v193
	v_add_f32_e32 v1, v1, v213
	s_waitcnt vmcnt(2)
	v_fma_f32 v3, v156, v194, -v4
	v_add_f32_e32 v2, v2, v5
	v_fmac_f32_e32 v215, v157, v194
	v_add_f32_e32 v1, v1, v214
	v_add_f32_e32 v2, v2, v3
	;; [unrolled: 1-line block ×3, first 2 shown]
	s_waitcnt vmcnt(1)
	v_sub_f32_e32 v2, v195, v2
	s_waitcnt vmcnt(0)
	v_sub_f32_e32 v1, v196, v1
	buffer_store_dword v2, off, s[0:3], 0 offset:280
	buffer_store_dword v1, off, s[0:3], 0 offset:284
	v_cmpx_lt_u32_e32 34, v0
	s_cbranch_execz .LBB119_281
; %bb.280:
	s_clause 0x1
	buffer_load_dword v1, off, s[0:3], 0 offset:272
	buffer_load_dword v2, off, s[0:3], 0 offset:276
	v_mov_b32_e32 v3, 0
	buffer_store_dword v3, off, s[0:3], 0 offset:272
	buffer_store_dword v3, off, s[0:3], 0 offset:276
	s_waitcnt vmcnt(0)
	ds_write_b64 v125, v[1:2]
.LBB119_281:
	s_or_b32 exec_lo, exec_lo, s4
	s_waitcnt lgkmcnt(0)
	s_waitcnt_vscnt null, 0x0
	s_barrier
	buffer_gl0_inv
	s_clause 0x2b
	buffer_load_dword v12, off, s[0:3], 0 offset:284
	buffer_load_dword v158, off, s[0:3], 0 offset:292
	buffer_load_dword v159, off, s[0:3], 0 offset:300
	buffer_load_dword v160, off, s[0:3], 0 offset:308
	buffer_load_dword v161, off, s[0:3], 0 offset:316
	buffer_load_dword v162, off, s[0:3], 0 offset:324
	buffer_load_dword v163, off, s[0:3], 0 offset:332
	buffer_load_dword v164, off, s[0:3], 0 offset:340
	buffer_load_dword v165, off, s[0:3], 0 offset:348
	buffer_load_dword v166, off, s[0:3], 0 offset:356
	buffer_load_dword v167, off, s[0:3], 0 offset:364
	buffer_load_dword v168, off, s[0:3], 0 offset:372
	buffer_load_dword v169, off, s[0:3], 0 offset:380
	buffer_load_dword v170, off, s[0:3], 0 offset:388
	buffer_load_dword v171, off, s[0:3], 0 offset:396
	buffer_load_dword v172, off, s[0:3], 0 offset:404
	buffer_load_dword v173, off, s[0:3], 0 offset:412
	buffer_load_dword v174, off, s[0:3], 0 offset:420
	buffer_load_dword v175, off, s[0:3], 0 offset:428
	buffer_load_dword v176, off, s[0:3], 0 offset:436
	buffer_load_dword v177, off, s[0:3], 0 offset:444
	buffer_load_dword v178, off, s[0:3], 0 offset:280
	buffer_load_dword v179, off, s[0:3], 0 offset:288
	buffer_load_dword v180, off, s[0:3], 0 offset:296
	buffer_load_dword v181, off, s[0:3], 0 offset:304
	buffer_load_dword v182, off, s[0:3], 0 offset:312
	buffer_load_dword v183, off, s[0:3], 0 offset:320
	buffer_load_dword v184, off, s[0:3], 0 offset:328
	buffer_load_dword v185, off, s[0:3], 0 offset:336
	buffer_load_dword v186, off, s[0:3], 0 offset:344
	buffer_load_dword v187, off, s[0:3], 0 offset:352
	buffer_load_dword v188, off, s[0:3], 0 offset:360
	buffer_load_dword v189, off, s[0:3], 0 offset:368
	buffer_load_dword v190, off, s[0:3], 0 offset:376
	buffer_load_dword v191, off, s[0:3], 0 offset:384
	buffer_load_dword v192, off, s[0:3], 0 offset:392
	buffer_load_dword v193, off, s[0:3], 0 offset:400
	buffer_load_dword v194, off, s[0:3], 0 offset:408
	buffer_load_dword v195, off, s[0:3], 0 offset:416
	buffer_load_dword v196, off, s[0:3], 0 offset:424
	buffer_load_dword v197, off, s[0:3], 0 offset:432
	buffer_load_dword v198, off, s[0:3], 0 offset:440
	buffer_load_dword v199, off, s[0:3], 0 offset:272
	buffer_load_dword v200, off, s[0:3], 0 offset:276
	v_mov_b32_e32 v1, 0
	ds_read2_b64 v[2:5], v1 offset0:91 offset1:92
	ds_read2_b64 v[6:9], v1 offset0:93 offset1:94
	;; [unrolled: 1-line block ×10, first 2 shown]
	ds_read_b64 v[10:11], v1 offset:888
	s_mov_b32 s4, exec_lo
	s_waitcnt vmcnt(43) lgkmcnt(10)
	v_mul_f32_e32 v201, v2, v12
	v_mul_f32_e32 v12, v3, v12
	s_waitcnt vmcnt(42)
	v_mul_f32_e32 v202, v4, v158
	v_mul_f32_e32 v158, v5, v158
	s_waitcnt vmcnt(41) lgkmcnt(9)
	v_mul_f32_e32 v203, v6, v159
	s_waitcnt vmcnt(40)
	v_mul_f32_e32 v204, v8, v160
	s_waitcnt vmcnt(39) lgkmcnt(8)
	v_mul_f32_e32 v205, v126, v161
	s_waitcnt vmcnt(38)
	;; [unrolled: 4-line block ×9, first 2 shown]
	v_fma_f32 v2, v2, v178, -v12
	v_fmac_f32_e32 v201, v3, v178
	v_mul_f32_e32 v3, v7, v159
	s_waitcnt vmcnt(21)
	v_fma_f32 v4, v4, v179, -v158
	v_fmac_f32_e32 v202, v5, v179
	v_add_f32_e32 v2, 0, v2
	v_add_f32_e32 v5, 0, v201
	v_mul_f32_e32 v12, v9, v160
	s_waitcnt vmcnt(20)
	v_fma_f32 v3, v6, v180, -v3
	v_fmac_f32_e32 v203, v7, v180
	v_add_f32_e32 v2, v2, v4
	v_add_f32_e32 v4, v5, v202
	;; [unrolled: 6-line block ×17, first 2 shown]
	v_mul_f32_e32 v5, v157, v176
	s_waitcnt vmcnt(4)
	v_fma_f32 v6, v154, v196, -v6
	v_mul_f32_e32 v220, v156, v176
	v_add_f32_e32 v2, v2, v4
	v_fmac_f32_e32 v219, v155, v196
	v_add_f32_e32 v3, v3, v218
	s_waitcnt lgkmcnt(0)
	v_mul_f32_e32 v4, v11, v177
	s_waitcnt vmcnt(3)
	v_fma_f32 v5, v156, v197, -v5
	v_add_f32_e32 v2, v2, v6
	v_mul_f32_e32 v221, v10, v177
	v_fmac_f32_e32 v220, v157, v197
	v_add_f32_e32 v3, v3, v219
	s_waitcnt vmcnt(2)
	v_fma_f32 v4, v10, v198, -v4
	v_add_f32_e32 v2, v2, v5
	v_fmac_f32_e32 v221, v11, v198
	v_add_f32_e32 v3, v3, v220
	v_add_f32_e32 v2, v2, v4
	;; [unrolled: 1-line block ×3, first 2 shown]
	s_waitcnt vmcnt(1)
	v_sub_f32_e32 v2, v199, v2
	s_waitcnt vmcnt(0)
	v_sub_f32_e32 v3, v200, v3
	buffer_store_dword v2, off, s[0:3], 0 offset:272
	buffer_store_dword v3, off, s[0:3], 0 offset:276
	v_cmpx_lt_u32_e32 33, v0
	s_cbranch_execz .LBB119_283
; %bb.282:
	s_clause 0x1
	buffer_load_dword v2, off, s[0:3], 0 offset:264
	buffer_load_dword v3, off, s[0:3], 0 offset:268
	buffer_store_dword v1, off, s[0:3], 0 offset:264
	buffer_store_dword v1, off, s[0:3], 0 offset:268
	s_waitcnt vmcnt(0)
	ds_write_b64 v125, v[2:3]
.LBB119_283:
	s_or_b32 exec_lo, exec_lo, s4
	s_waitcnt lgkmcnt(0)
	s_waitcnt_vscnt null, 0x0
	s_barrier
	buffer_gl0_inv
	s_clause 0x2d
	buffer_load_dword v10, off, s[0:3], 0 offset:276
	buffer_load_dword v11, off, s[0:3], 0 offset:284
	;; [unrolled: 1-line block ×46, first 2 shown]
	ds_read_b128 v[2:5], v1 offset:720
	ds_read_b128 v[6:9], v1 offset:736
	;; [unrolled: 1-line block ×11, first 2 shown]
	s_mov_b32 s4, exec_lo
	s_waitcnt vmcnt(45) lgkmcnt(10)
	v_mul_f32_e32 v1, v2, v10
	v_mul_f32_e32 v10, v3, v10
	s_waitcnt vmcnt(44)
	v_mul_f32_e32 v205, v4, v11
	v_mul_f32_e32 v11, v5, v11
	s_waitcnt vmcnt(43) lgkmcnt(9)
	v_mul_f32_e32 v206, v6, v12
	s_waitcnt vmcnt(42)
	v_mul_f32_e32 v207, v8, v162
	s_waitcnt vmcnt(41) lgkmcnt(8)
	v_mul_f32_e32 v208, v126, v163
	s_waitcnt vmcnt(40)
	;; [unrolled: 4-line block ×9, first 2 shown]
	v_mul_f32_e32 v223, v156, v178
	s_waitcnt vmcnt(23)
	v_fma_f32 v2, v2, v181, -v10
	v_fmac_f32_e32 v1, v3, v181
	v_mul_f32_e32 v3, v7, v12
	s_waitcnt vmcnt(22)
	v_fma_f32 v4, v4, v182, -v11
	v_fmac_f32_e32 v205, v5, v182
	v_add_f32_e32 v2, 0, v2
	v_add_f32_e32 v1, 0, v1
	v_mul_f32_e32 v5, v9, v162
	s_waitcnt vmcnt(21)
	v_fma_f32 v3, v6, v183, -v3
	v_fmac_f32_e32 v206, v7, v183
	v_add_f32_e32 v2, v2, v4
	v_add_f32_e32 v1, v1, v205
	;; [unrolled: 6-line block ×18, first 2 shown]
	s_waitcnt lgkmcnt(0)
	v_mul_f32_e32 v3, v159, v179
	s_waitcnt vmcnt(4)
	v_fma_f32 v4, v156, v200, -v4
	v_mul_f32_e32 v224, v158, v179
	v_add_f32_e32 v2, v2, v5
	v_fmac_f32_e32 v223, v157, v200
	v_add_f32_e32 v1, v1, v222
	v_mul_f32_e32 v5, v161, v180
	s_waitcnt vmcnt(3)
	v_fma_f32 v3, v158, v201, -v3
	v_add_f32_e32 v2, v2, v4
	v_mul_f32_e32 v225, v160, v180
	v_fmac_f32_e32 v224, v159, v201
	v_add_f32_e32 v1, v1, v223
	s_waitcnt vmcnt(2)
	v_fma_f32 v4, v160, v202, -v5
	v_add_f32_e32 v2, v2, v3
	v_fmac_f32_e32 v225, v161, v202
	v_add_f32_e32 v1, v1, v224
	v_add_f32_e32 v2, v2, v4
	;; [unrolled: 1-line block ×3, first 2 shown]
	s_waitcnt vmcnt(1)
	v_sub_f32_e32 v2, v203, v2
	s_waitcnt vmcnt(0)
	v_sub_f32_e32 v1, v204, v1
	buffer_store_dword v2, off, s[0:3], 0 offset:264
	buffer_store_dword v1, off, s[0:3], 0 offset:268
	v_cmpx_lt_u32_e32 32, v0
	s_cbranch_execz .LBB119_285
; %bb.284:
	s_clause 0x1
	buffer_load_dword v1, off, s[0:3], 0 offset:256
	buffer_load_dword v2, off, s[0:3], 0 offset:260
	v_mov_b32_e32 v3, 0
	buffer_store_dword v3, off, s[0:3], 0 offset:256
	buffer_store_dword v3, off, s[0:3], 0 offset:260
	s_waitcnt vmcnt(0)
	ds_write_b64 v125, v[1:2]
.LBB119_285:
	s_or_b32 exec_lo, exec_lo, s4
	s_waitcnt lgkmcnt(0)
	s_waitcnt_vscnt null, 0x0
	s_barrier
	buffer_gl0_inv
	s_clause 0x2f
	buffer_load_dword v12, off, s[0:3], 0 offset:268
	buffer_load_dword v162, off, s[0:3], 0 offset:276
	;; [unrolled: 1-line block ×48, first 2 shown]
	v_mov_b32_e32 v1, 0
	ds_read2_b64 v[2:5], v1 offset0:89 offset1:90
	ds_read2_b64 v[6:9], v1 offset0:91 offset1:92
	;; [unrolled: 1-line block ×11, first 2 shown]
	ds_read_b64 v[10:11], v1 offset:888
	s_mov_b32 s4, exec_lo
	s_waitcnt vmcnt(47) lgkmcnt(11)
	v_mul_f32_e32 v209, v2, v12
	v_mul_f32_e32 v12, v3, v12
	s_waitcnt vmcnt(46)
	v_mul_f32_e32 v210, v4, v162
	v_mul_f32_e32 v162, v5, v162
	s_waitcnt vmcnt(45) lgkmcnt(10)
	v_mul_f32_e32 v211, v6, v163
	s_waitcnt vmcnt(44)
	v_mul_f32_e32 v212, v8, v164
	s_waitcnt vmcnt(43) lgkmcnt(9)
	v_mul_f32_e32 v213, v126, v165
	s_waitcnt vmcnt(42)
	;; [unrolled: 4-line block ×10, first 2 shown]
	v_fma_f32 v2, v2, v184, -v12
	v_fmac_f32_e32 v209, v3, v184
	v_mul_f32_e32 v3, v7, v163
	s_waitcnt vmcnt(23)
	v_fma_f32 v4, v4, v185, -v162
	v_fmac_f32_e32 v210, v5, v185
	v_add_f32_e32 v2, 0, v2
	v_add_f32_e32 v5, 0, v209
	v_mul_f32_e32 v12, v9, v164
	s_waitcnt vmcnt(22)
	v_fma_f32 v3, v6, v186, -v3
	v_fmac_f32_e32 v211, v7, v186
	v_add_f32_e32 v2, v2, v4
	v_add_f32_e32 v4, v5, v210
	;; [unrolled: 6-line block ×19, first 2 shown]
	v_mul_f32_e32 v6, v161, v182
	s_waitcnt vmcnt(4)
	v_fma_f32 v4, v158, v204, -v4
	v_mul_f32_e32 v230, v160, v182
	v_add_f32_e32 v2, v2, v5
	v_fmac_f32_e32 v229, v159, v204
	v_add_f32_e32 v3, v3, v228
	s_waitcnt lgkmcnt(0)
	v_mul_f32_e32 v5, v11, v183
	s_waitcnt vmcnt(3)
	v_fma_f32 v6, v160, v205, -v6
	v_add_f32_e32 v2, v2, v4
	v_mul_f32_e32 v231, v10, v183
	v_fmac_f32_e32 v230, v161, v205
	v_add_f32_e32 v3, v3, v229
	s_waitcnt vmcnt(2)
	v_fma_f32 v4, v10, v206, -v5
	v_add_f32_e32 v2, v2, v6
	v_fmac_f32_e32 v231, v11, v206
	v_add_f32_e32 v3, v3, v230
	v_add_f32_e32 v2, v2, v4
	v_add_f32_e32 v3, v3, v231
	s_waitcnt vmcnt(1)
	v_sub_f32_e32 v2, v207, v2
	s_waitcnt vmcnt(0)
	v_sub_f32_e32 v3, v208, v3
	buffer_store_dword v2, off, s[0:3], 0 offset:256
	buffer_store_dword v3, off, s[0:3], 0 offset:260
	v_cmpx_lt_u32_e32 31, v0
	s_cbranch_execz .LBB119_287
; %bb.286:
	s_clause 0x1
	buffer_load_dword v2, off, s[0:3], 0 offset:248
	buffer_load_dword v3, off, s[0:3], 0 offset:252
	buffer_store_dword v1, off, s[0:3], 0 offset:248
	buffer_store_dword v1, off, s[0:3], 0 offset:252
	s_waitcnt vmcnt(0)
	ds_write_b64 v125, v[2:3]
.LBB119_287:
	s_or_b32 exec_lo, exec_lo, s4
	s_waitcnt lgkmcnt(0)
	s_waitcnt_vscnt null, 0x0
	s_barrier
	buffer_gl0_inv
	s_clause 0x31
	buffer_load_dword v10, off, s[0:3], 0 offset:260
	buffer_load_dword v11, off, s[0:3], 0 offset:268
	;; [unrolled: 1-line block ×50, first 2 shown]
	ds_read_b128 v[2:5], v1 offset:704
	ds_read_b128 v[6:9], v1 offset:720
	;; [unrolled: 1-line block ×12, first 2 shown]
	s_mov_b32 s4, exec_lo
	s_waitcnt vmcnt(49) lgkmcnt(11)
	v_mul_f32_e32 v1, v2, v10
	v_mul_f32_e32 v10, v3, v10
	s_waitcnt vmcnt(48)
	v_mul_f32_e32 v213, v4, v11
	v_mul_f32_e32 v11, v5, v11
	s_waitcnt vmcnt(47) lgkmcnt(10)
	v_mul_f32_e32 v214, v6, v12
	s_waitcnt vmcnt(46)
	v_mul_f32_e32 v215, v8, v166
	s_waitcnt vmcnt(45) lgkmcnt(9)
	v_mul_f32_e32 v216, v126, v167
	s_waitcnt vmcnt(44)
	;; [unrolled: 4-line block ×10, first 2 shown]
	v_mul_f32_e32 v233, v160, v184
	s_waitcnt vmcnt(25)
	v_fma_f32 v2, v2, v187, -v10
	v_fmac_f32_e32 v1, v3, v187
	v_mul_f32_e32 v3, v7, v12
	s_waitcnt vmcnt(24)
	v_fma_f32 v4, v4, v188, -v11
	v_fmac_f32_e32 v213, v5, v188
	v_add_f32_e32 v2, 0, v2
	v_add_f32_e32 v1, 0, v1
	v_mul_f32_e32 v5, v9, v166
	s_waitcnt vmcnt(23)
	v_fma_f32 v3, v6, v189, -v3
	v_fmac_f32_e32 v214, v7, v189
	v_add_f32_e32 v2, v2, v4
	v_add_f32_e32 v1, v1, v213
	;; [unrolled: 6-line block ×20, first 2 shown]
	s_waitcnt lgkmcnt(0)
	v_mul_f32_e32 v4, v163, v185
	s_waitcnt vmcnt(4)
	v_fma_f32 v5, v160, v208, -v5
	v_mul_f32_e32 v234, v162, v185
	v_add_f32_e32 v2, v2, v3
	v_fmac_f32_e32 v233, v161, v208
	v_add_f32_e32 v1, v1, v232
	v_mul_f32_e32 v3, v165, v186
	s_waitcnt vmcnt(3)
	v_fma_f32 v4, v162, v209, -v4
	v_add_f32_e32 v2, v2, v5
	v_mul_f32_e32 v235, v164, v186
	v_fmac_f32_e32 v234, v163, v209
	v_add_f32_e32 v1, v1, v233
	s_waitcnt vmcnt(2)
	v_fma_f32 v3, v164, v210, -v3
	v_add_f32_e32 v2, v2, v4
	v_fmac_f32_e32 v235, v165, v210
	v_add_f32_e32 v1, v1, v234
	v_add_f32_e32 v2, v2, v3
	;; [unrolled: 1-line block ×3, first 2 shown]
	s_waitcnt vmcnt(1)
	v_sub_f32_e32 v2, v211, v2
	s_waitcnt vmcnt(0)
	v_sub_f32_e32 v1, v212, v1
	buffer_store_dword v2, off, s[0:3], 0 offset:248
	buffer_store_dword v1, off, s[0:3], 0 offset:252
	v_cmpx_lt_u32_e32 30, v0
	s_cbranch_execz .LBB119_289
; %bb.288:
	s_clause 0x1
	buffer_load_dword v1, off, s[0:3], 0 offset:240
	buffer_load_dword v2, off, s[0:3], 0 offset:244
	v_mov_b32_e32 v3, 0
	buffer_store_dword v3, off, s[0:3], 0 offset:240
	buffer_store_dword v3, off, s[0:3], 0 offset:244
	s_waitcnt vmcnt(0)
	ds_write_b64 v125, v[1:2]
.LBB119_289:
	s_or_b32 exec_lo, exec_lo, s4
	s_waitcnt lgkmcnt(0)
	s_waitcnt_vscnt null, 0x0
	s_barrier
	buffer_gl0_inv
	s_clause 0x33
	buffer_load_dword v12, off, s[0:3], 0 offset:252
	buffer_load_dword v166, off, s[0:3], 0 offset:260
	;; [unrolled: 1-line block ×52, first 2 shown]
	v_mov_b32_e32 v1, 0
	ds_read2_b64 v[2:5], v1 offset0:87 offset1:88
	ds_read2_b64 v[6:9], v1 offset0:89 offset1:90
	;; [unrolled: 1-line block ×12, first 2 shown]
	ds_read_b64 v[10:11], v1 offset:888
	s_mov_b32 s4, exec_lo
	s_waitcnt vmcnt(51) lgkmcnt(12)
	v_mul_f32_e32 v217, v2, v12
	v_mul_f32_e32 v12, v3, v12
	s_waitcnt vmcnt(50)
	v_mul_f32_e32 v218, v4, v166
	v_mul_f32_e32 v166, v5, v166
	s_waitcnt vmcnt(49) lgkmcnt(11)
	v_mul_f32_e32 v219, v6, v167
	s_waitcnt vmcnt(48)
	v_mul_f32_e32 v220, v8, v168
	s_waitcnt vmcnt(47) lgkmcnt(10)
	v_mul_f32_e32 v221, v126, v169
	s_waitcnt vmcnt(46)
	;; [unrolled: 4-line block ×11, first 2 shown]
	v_fma_f32 v2, v2, v190, -v12
	v_fmac_f32_e32 v217, v3, v190
	v_mul_f32_e32 v3, v7, v167
	s_waitcnt vmcnt(25)
	v_fma_f32 v4, v4, v191, -v166
	v_fmac_f32_e32 v218, v5, v191
	v_add_f32_e32 v2, 0, v2
	v_add_f32_e32 v5, 0, v217
	v_mul_f32_e32 v12, v9, v168
	s_waitcnt vmcnt(24)
	v_fma_f32 v3, v6, v192, -v3
	v_fmac_f32_e32 v219, v7, v192
	v_add_f32_e32 v2, v2, v4
	v_add_f32_e32 v4, v5, v218
	;; [unrolled: 6-line block ×21, first 2 shown]
	v_mul_f32_e32 v4, v165, v188
	s_waitcnt vmcnt(4)
	v_fma_f32 v5, v162, v212, -v5
	v_mul_f32_e32 v240, v164, v188
	v_add_f32_e32 v2, v2, v6
	v_fmac_f32_e32 v239, v163, v212
	v_add_f32_e32 v3, v3, v238
	s_waitcnt lgkmcnt(0)
	v_mul_f32_e32 v6, v11, v189
	s_waitcnt vmcnt(3)
	v_fma_f32 v4, v164, v213, -v4
	v_add_f32_e32 v2, v2, v5
	v_mul_f32_e32 v241, v10, v189
	v_fmac_f32_e32 v240, v165, v213
	v_add_f32_e32 v3, v3, v239
	s_waitcnt vmcnt(2)
	v_fma_f32 v5, v10, v214, -v6
	v_add_f32_e32 v2, v2, v4
	v_fmac_f32_e32 v241, v11, v214
	v_add_f32_e32 v3, v3, v240
	v_add_f32_e32 v2, v2, v5
	;; [unrolled: 1-line block ×3, first 2 shown]
	s_waitcnt vmcnt(1)
	v_sub_f32_e32 v2, v215, v2
	s_waitcnt vmcnt(0)
	v_sub_f32_e32 v3, v216, v3
	buffer_store_dword v2, off, s[0:3], 0 offset:240
	buffer_store_dword v3, off, s[0:3], 0 offset:244
	v_cmpx_lt_u32_e32 29, v0
	s_cbranch_execz .LBB119_291
; %bb.290:
	s_clause 0x1
	buffer_load_dword v2, off, s[0:3], 0 offset:232
	buffer_load_dword v3, off, s[0:3], 0 offset:236
	buffer_store_dword v1, off, s[0:3], 0 offset:232
	buffer_store_dword v1, off, s[0:3], 0 offset:236
	s_waitcnt vmcnt(0)
	ds_write_b64 v125, v[2:3]
.LBB119_291:
	s_or_b32 exec_lo, exec_lo, s4
	s_waitcnt lgkmcnt(0)
	s_waitcnt_vscnt null, 0x0
	s_barrier
	buffer_gl0_inv
	s_clause 0x35
	buffer_load_dword v10, off, s[0:3], 0 offset:244
	buffer_load_dword v11, off, s[0:3], 0 offset:252
	;; [unrolled: 1-line block ×54, first 2 shown]
	ds_read_b128 v[2:5], v1 offset:688
	ds_read_b128 v[6:9], v1 offset:704
	;; [unrolled: 1-line block ×13, first 2 shown]
	s_mov_b32 s4, exec_lo
	s_waitcnt vmcnt(53) lgkmcnt(12)
	v_mul_f32_e32 v1, v2, v10
	v_mul_f32_e32 v10, v3, v10
	s_waitcnt vmcnt(52)
	v_mul_f32_e32 v221, v4, v11
	v_mul_f32_e32 v11, v5, v11
	s_waitcnt vmcnt(51) lgkmcnt(11)
	v_mul_f32_e32 v222, v6, v12
	s_waitcnt vmcnt(50)
	v_mul_f32_e32 v223, v8, v170
	s_waitcnt vmcnt(49) lgkmcnt(10)
	v_mul_f32_e32 v224, v126, v171
	s_waitcnt vmcnt(48)
	;; [unrolled: 4-line block ×11, first 2 shown]
	v_mul_f32_e32 v243, v164, v190
	s_waitcnt vmcnt(27)
	v_fma_f32 v2, v2, v193, -v10
	v_fmac_f32_e32 v1, v3, v193
	v_mul_f32_e32 v3, v7, v12
	s_waitcnt vmcnt(26)
	v_fma_f32 v4, v4, v194, -v11
	v_fmac_f32_e32 v221, v5, v194
	v_add_f32_e32 v2, 0, v2
	v_add_f32_e32 v1, 0, v1
	v_mul_f32_e32 v5, v9, v170
	s_waitcnt vmcnt(25)
	v_fma_f32 v3, v6, v195, -v3
	v_fmac_f32_e32 v222, v7, v195
	v_add_f32_e32 v2, v2, v4
	v_add_f32_e32 v1, v1, v221
	;; [unrolled: 6-line block ×22, first 2 shown]
	s_waitcnt lgkmcnt(0)
	v_mul_f32_e32 v5, v167, v191
	s_waitcnt vmcnt(4)
	v_fma_f32 v3, v164, v216, -v3
	v_mul_f32_e32 v244, v166, v191
	v_add_f32_e32 v2, v2, v4
	v_fmac_f32_e32 v243, v165, v216
	v_add_f32_e32 v1, v1, v242
	v_mul_f32_e32 v4, v169, v192
	s_waitcnt vmcnt(3)
	v_fma_f32 v5, v166, v217, -v5
	v_add_f32_e32 v2, v2, v3
	v_mul_f32_e32 v245, v168, v192
	v_fmac_f32_e32 v244, v167, v217
	v_add_f32_e32 v1, v1, v243
	s_waitcnt vmcnt(2)
	v_fma_f32 v3, v168, v218, -v4
	v_add_f32_e32 v2, v2, v5
	v_fmac_f32_e32 v245, v169, v218
	v_add_f32_e32 v1, v1, v244
	v_add_f32_e32 v2, v2, v3
	;; [unrolled: 1-line block ×3, first 2 shown]
	s_waitcnt vmcnt(1)
	v_sub_f32_e32 v2, v219, v2
	s_waitcnt vmcnt(0)
	v_sub_f32_e32 v1, v220, v1
	buffer_store_dword v2, off, s[0:3], 0 offset:232
	buffer_store_dword v1, off, s[0:3], 0 offset:236
	v_cmpx_lt_u32_e32 28, v0
	s_cbranch_execz .LBB119_293
; %bb.292:
	s_clause 0x1
	buffer_load_dword v1, off, s[0:3], 0 offset:224
	buffer_load_dword v2, off, s[0:3], 0 offset:228
	v_mov_b32_e32 v3, 0
	buffer_store_dword v3, off, s[0:3], 0 offset:224
	buffer_store_dword v3, off, s[0:3], 0 offset:228
	s_waitcnt vmcnt(0)
	ds_write_b64 v125, v[1:2]
.LBB119_293:
	s_or_b32 exec_lo, exec_lo, s4
	s_waitcnt lgkmcnt(0)
	s_waitcnt_vscnt null, 0x0
	s_barrier
	buffer_gl0_inv
	s_clause 0x37
	buffer_load_dword v12, off, s[0:3], 0 offset:236
	buffer_load_dword v170, off, s[0:3], 0 offset:244
	;; [unrolled: 1-line block ×56, first 2 shown]
	v_mov_b32_e32 v1, 0
	ds_read2_b64 v[2:5], v1 offset0:85 offset1:86
	ds_read2_b64 v[6:9], v1 offset0:87 offset1:88
	;; [unrolled: 1-line block ×13, first 2 shown]
	ds_read_b64 v[10:11], v1 offset:888
	s_mov_b32 s4, exec_lo
	s_waitcnt vmcnt(55) lgkmcnt(13)
	v_mul_f32_e32 v225, v2, v12
	v_mul_f32_e32 v12, v3, v12
	s_waitcnt vmcnt(54)
	v_mul_f32_e32 v226, v4, v170
	v_mul_f32_e32 v170, v5, v170
	s_waitcnt vmcnt(53) lgkmcnt(12)
	v_mul_f32_e32 v227, v6, v171
	s_waitcnt vmcnt(52)
	v_mul_f32_e32 v228, v8, v172
	s_waitcnt vmcnt(51) lgkmcnt(11)
	v_mul_f32_e32 v229, v126, v173
	s_waitcnt vmcnt(50)
	;; [unrolled: 4-line block ×12, first 2 shown]
	v_fma_f32 v2, v2, v196, -v12
	v_fmac_f32_e32 v225, v3, v196
	v_mul_f32_e32 v3, v7, v171
	s_waitcnt vmcnt(27)
	v_fma_f32 v4, v4, v197, -v170
	v_fmac_f32_e32 v226, v5, v197
	v_add_f32_e32 v2, 0, v2
	v_add_f32_e32 v5, 0, v225
	v_mul_f32_e32 v12, v9, v172
	s_waitcnt vmcnt(26)
	v_fma_f32 v3, v6, v198, -v3
	v_fmac_f32_e32 v227, v7, v198
	v_add_f32_e32 v2, v2, v4
	v_add_f32_e32 v4, v5, v226
	;; [unrolled: 6-line block ×23, first 2 shown]
	v_mul_f32_e32 v5, v169, v194
	s_waitcnt vmcnt(4)
	v_fma_f32 v6, v166, v220, -v6
	v_mul_f32_e32 v250, v168, v194
	v_add_f32_e32 v2, v2, v4
	v_fmac_f32_e32 v249, v167, v220
	v_add_f32_e32 v3, v3, v248
	s_waitcnt lgkmcnt(0)
	v_mul_f32_e32 v4, v11, v195
	s_waitcnt vmcnt(3)
	v_fma_f32 v5, v168, v221, -v5
	v_add_f32_e32 v2, v2, v6
	v_mul_f32_e32 v251, v10, v195
	v_fmac_f32_e32 v250, v169, v221
	v_add_f32_e32 v3, v3, v249
	s_waitcnt vmcnt(2)
	v_fma_f32 v4, v10, v222, -v4
	v_add_f32_e32 v2, v2, v5
	v_fmac_f32_e32 v251, v11, v222
	v_add_f32_e32 v3, v3, v250
	v_add_f32_e32 v2, v2, v4
	;; [unrolled: 1-line block ×3, first 2 shown]
	s_waitcnt vmcnt(1)
	v_sub_f32_e32 v2, v223, v2
	s_waitcnt vmcnt(0)
	v_sub_f32_e32 v3, v224, v3
	buffer_store_dword v2, off, s[0:3], 0 offset:224
	buffer_store_dword v3, off, s[0:3], 0 offset:228
	v_cmpx_lt_u32_e32 27, v0
	s_cbranch_execz .LBB119_295
; %bb.294:
	s_clause 0x1
	buffer_load_dword v2, off, s[0:3], 0 offset:216
	buffer_load_dword v3, off, s[0:3], 0 offset:220
	buffer_store_dword v1, off, s[0:3], 0 offset:216
	buffer_store_dword v1, off, s[0:3], 0 offset:220
	s_waitcnt vmcnt(0)
	ds_write_b64 v125, v[2:3]
.LBB119_295:
	s_or_b32 exec_lo, exec_lo, s4
	s_waitcnt lgkmcnt(0)
	s_waitcnt_vscnt null, 0x0
	s_barrier
	buffer_gl0_inv
	s_clause 0x39
	buffer_load_dword v145, off, s[0:3], 0 offset:228
	buffer_load_dword v146, off, s[0:3], 0 offset:236
	;; [unrolled: 1-line block ×58, first 2 shown]
	ds_read_b128 v[133:136], v1 offset:672
	ds_read_b128 v[137:140], v1 offset:688
	;; [unrolled: 1-line block ×3, first 2 shown]
	s_mov_b32 s4, exec_lo
	s_waitcnt vmcnt(57) lgkmcnt(2)
	v_mul_f32_e32 v185, v133, v145
	v_mul_f32_e32 v145, v134, v145
	s_waitcnt vmcnt(56)
	v_mul_f32_e32 v186, v135, v146
	v_mul_f32_e32 v146, v136, v146
	s_waitcnt vmcnt(53)
	v_fmac_f32_e32 v185, v134, v149
	v_fma_f32 v145, v133, v149, -v145
	v_fmac_f32_e32 v186, v136, v148
	v_fma_f32 v149, v135, v148, -v146
	ds_read_b128 v[133:136], v1 offset:720
	s_waitcnt vmcnt(52) lgkmcnt(2)
	v_mul_f32_e32 v187, v137, v150
	v_mul_f32_e32 v146, v138, v150
	s_waitcnt vmcnt(51)
	v_mul_f32_e32 v150, v139, v151
	v_mul_f32_e32 v148, v140, v151
	s_waitcnt vmcnt(50) lgkmcnt(1)
	v_mul_f32_e32 v188, v141, v152
	v_mul_f32_e32 v151, v142, v152
	s_waitcnt vmcnt(49)
	v_mul_f32_e32 v189, v143, v153
	v_mul_f32_e32 v152, v144, v153
	v_fmac_f32_e32 v187, v138, v147
	v_fma_f32 v153, v137, v147, -v146
	s_waitcnt vmcnt(45)
	v_fmac_f32_e32 v150, v140, v157
	v_fma_f32 v157, v139, v157, -v148
	ds_read_b128 v[137:140], v1 offset:736
	v_fmac_f32_e32 v188, v142, v156
	v_fma_f32 v156, v141, v156, -v151
	v_fmac_f32_e32 v189, v144, v155
	v_fma_f32 v190, v143, v155, -v152
	ds_read_b128 v[141:144], v1 offset:752
	v_add_f32_e32 v151, 0, v145
	s_waitcnt vmcnt(44) lgkmcnt(2)
	v_mul_f32_e32 v191, v133, v158
	v_mul_f32_e32 v146, v134, v158
	s_waitcnt vmcnt(43)
	v_mul_f32_e32 v158, v135, v159
	v_mul_f32_e32 v147, v136, v159
	v_add_f32_e32 v152, 0, v185
	v_add_f32_e32 v149, v151, v149
	v_fmac_f32_e32 v191, v134, v154
	v_fma_f32 v159, v133, v154, -v146
	s_waitcnt vmcnt(39)
	v_fmac_f32_e32 v158, v136, v163
	v_fma_f32 v163, v135, v163, -v147
	ds_read_b128 v[133:136], v1 offset:768
	ds_read_b128 v[145:148], v1 offset:784
	v_add_f32_e32 v152, v152, v186
	v_add_f32_e32 v149, v149, v153
	s_waitcnt vmcnt(38) lgkmcnt(3)
	v_mul_f32_e32 v185, v137, v164
	v_mul_f32_e32 v151, v138, v164
	s_waitcnt vmcnt(37)
	v_mul_f32_e32 v164, v139, v165
	v_mul_f32_e32 v154, v140, v165
	v_add_f32_e32 v152, v152, v187
	s_waitcnt vmcnt(36) lgkmcnt(2)
	v_mul_f32_e32 v165, v141, v166
	v_mul_f32_e32 v153, v142, v166
	v_fmac_f32_e32 v164, v140, v161
	v_fma_f32 v161, v139, v161, -v154
	v_add_f32_e32 v154, v149, v157
	v_add_f32_e32 v155, v152, v150
	s_waitcnt vmcnt(35)
	v_mul_f32_e32 v157, v144, v167
	v_mul_f32_e32 v186, v143, v167
	v_fmac_f32_e32 v165, v142, v160
	v_fma_f32 v166, v141, v160, -v153
	v_add_f32_e32 v160, v154, v156
	s_waitcnt vmcnt(31)
	v_fma_f32 v167, v143, v170, -v157
	v_add_f32_e32 v157, v155, v188
	v_fmac_f32_e32 v186, v144, v170
	s_waitcnt vmcnt(30) lgkmcnt(1)
	v_mul_f32_e32 v170, v133, v171
	v_add_f32_e32 v160, v160, v190
	v_mul_f32_e32 v171, v134, v171
	v_add_f32_e32 v157, v157, v189
	v_fmac_f32_e32 v185, v138, v162
	v_fmac_f32_e32 v170, v134, v169
	v_add_f32_e32 v134, v160, v159
	v_fma_f32 v162, v137, v162, -v151
	v_add_f32_e32 v157, v157, v191
	v_fma_f32 v169, v133, v169, -v171
	ds_read_b128 v[137:140], v1 offset:800
	ds_read_b128 v[149:152], v1 offset:816
	v_add_f32_e32 v163, v134, v163
	s_waitcnt vmcnt(29)
	v_mul_f32_e32 v187, v135, v172
	v_add_f32_e32 v171, v157, v158
	v_mul_f32_e32 v172, v136, v172
	ds_read_b128 v[141:144], v1 offset:832
	ds_read_b128 v[153:156], v1 offset:848
	v_add_f32_e32 v162, v163, v162
	v_fmac_f32_e32 v187, v136, v168
	v_add_f32_e32 v171, v171, v185
	v_fma_f32 v168, v135, v168, -v172
	ds_read_b128 v[133:136], v1 offset:864
	ds_read_b128 v[157:160], v1 offset:880
	v_add_f32_e32 v161, v162, v161
	s_waitcnt vmcnt(28) lgkmcnt(6)
	v_mul_f32_e32 v1, v145, v173
	v_add_f32_e32 v164, v171, v164
	v_mul_f32_e32 v163, v146, v173
	s_waitcnt vmcnt(27)
	v_mul_f32_e32 v173, v148, v174
	v_add_f32_e32 v161, v161, v166
	v_fmac_f32_e32 v1, v146, v12
	v_add_f32_e32 v164, v164, v165
	v_fma_f32 v12, v145, v12, -v163
	v_mul_f32_e32 v172, v147, v174
	v_add_f32_e32 v161, v161, v167
	s_waitcnt vmcnt(26) lgkmcnt(5)
	v_mul_f32_e32 v162, v137, v131
	v_add_f32_e32 v164, v164, v186
	v_mul_f32_e32 v131, v138, v131
	s_waitcnt vmcnt(11)
	v_fma_f32 v147, v147, v178, -v173
	v_add_f32_e32 v161, v161, v169
	v_fmac_f32_e32 v172, v148, v178
	v_add_f32_e32 v164, v164, v170
	v_mul_f32_e32 v171, v139, v130
	v_mul_f32_e32 v130, v140, v130
	v_add_f32_e32 v146, v161, v168
	v_fma_f32 v131, v137, v177, -v131
	v_add_f32_e32 v161, v164, v187
	v_fmac_f32_e32 v162, v138, v177
	s_waitcnt lgkmcnt(4)
	v_mul_f32_e32 v174, v149, v129
	v_add_f32_e32 v12, v146, v12
	v_mul_f32_e32 v129, v150, v129
	v_add_f32_e32 v1, v161, v1
	v_fma_f32 v130, v139, v176, -v130
	v_fmac_f32_e32 v171, v140, v176
	v_add_f32_e32 v12, v12, v147
	v_mul_f32_e32 v166, v151, v128
	v_add_f32_e32 v1, v1, v172
	v_mul_f32_e32 v128, v152, v128
	v_fma_f32 v129, v149, v175, -v129
	v_add_f32_e32 v12, v12, v131
	v_fmac_f32_e32 v174, v150, v175
	v_add_f32_e32 v1, v1, v162
	s_waitcnt lgkmcnt(3)
	v_mul_f32_e32 v165, v141, v126
	v_mul_f32_e32 v126, v142, v126
	v_add_f32_e32 v12, v12, v130
	s_waitcnt vmcnt(7)
	v_fma_f32 v128, v151, v182, -v128
	v_add_f32_e32 v1, v1, v171
	v_fmac_f32_e32 v166, v152, v182
	v_mul_f32_e32 v185, v143, v11
	v_add_f32_e32 v12, v12, v129
	v_mul_f32_e32 v11, v144, v11
	v_add_f32_e32 v1, v1, v174
	v_fma_f32 v126, v141, v181, -v126
	v_fmac_f32_e32 v165, v142, v181
	v_add_f32_e32 v12, v12, v128
	s_waitcnt lgkmcnt(2)
	v_mul_f32_e32 v167, v153, v10
	v_add_f32_e32 v1, v1, v166
	v_mul_f32_e32 v10, v154, v10
	v_fma_f32 v11, v143, v180, -v11
	v_add_f32_e32 v12, v12, v126
	v_fmac_f32_e32 v185, v144, v180
	v_add_f32_e32 v1, v1, v165
	v_mul_f32_e32 v186, v155, v8
	v_mul_f32_e32 v8, v156, v8
	v_fma_f32 v10, v153, v179, -v10
	v_add_f32_e32 v11, v12, v11
	v_fmac_f32_e32 v167, v154, v179
	v_add_f32_e32 v1, v1, v185
	s_waitcnt lgkmcnt(1)
	v_mul_f32_e32 v188, v133, v7
	v_mul_f32_e32 v7, v134, v7
	s_waitcnt vmcnt(3)
	v_fma_f32 v8, v155, v184, -v8
	v_add_f32_e32 v10, v11, v10
	v_fmac_f32_e32 v186, v156, v184
	v_add_f32_e32 v1, v1, v167
	v_mul_f32_e32 v169, v135, v6
	v_mul_f32_e32 v6, v136, v6
	v_fma_f32 v7, v133, v183, -v7
	v_add_f32_e32 v8, v10, v8
	v_fmac_f32_e32 v188, v134, v183
	v_add_f32_e32 v1, v1, v186
	s_waitcnt lgkmcnt(0)
	v_mul_f32_e32 v170, v157, v5
	v_mul_f32_e32 v5, v158, v5
	v_fma_f32 v6, v135, v132, -v6
	v_add_f32_e32 v7, v8, v7
	v_fmac_f32_e32 v169, v136, v132
	v_add_f32_e32 v1, v1, v188
	v_mul_f32_e32 v145, v159, v2
	v_mul_f32_e32 v2, v160, v2
	v_fma_f32 v5, v157, v127, -v5
	v_add_f32_e32 v6, v7, v6
	v_fmac_f32_e32 v170, v158, v127
	v_add_f32_e32 v1, v1, v169
	s_waitcnt vmcnt(2)
	v_fma_f32 v2, v159, v9, -v2
	v_fmac_f32_e32 v145, v160, v9
	v_add_f32_e32 v5, v6, v5
	v_add_f32_e32 v1, v1, v170
	;; [unrolled: 1-line block ×4, first 2 shown]
	s_waitcnt vmcnt(1)
	v_sub_f32_e32 v2, v3, v2
	s_waitcnt vmcnt(0)
	v_sub_f32_e32 v1, v4, v1
	buffer_store_dword v2, off, s[0:3], 0 offset:216
	buffer_store_dword v1, off, s[0:3], 0 offset:220
	v_cmpx_lt_u32_e32 26, v0
	s_cbranch_execz .LBB119_297
; %bb.296:
	s_clause 0x1
	buffer_load_dword v1, off, s[0:3], 0 offset:208
	buffer_load_dword v2, off, s[0:3], 0 offset:212
	v_mov_b32_e32 v3, 0
	buffer_store_dword v3, off, s[0:3], 0 offset:208
	buffer_store_dword v3, off, s[0:3], 0 offset:212
	s_waitcnt vmcnt(0)
	ds_write_b64 v125, v[1:2]
.LBB119_297:
	s_or_b32 exec_lo, exec_lo, s4
	s_waitcnt lgkmcnt(0)
	s_waitcnt_vscnt null, 0x0
	s_barrier
	buffer_gl0_inv
	s_clause 0x3b
	buffer_load_dword v157, off, s[0:3], 0 offset:220
	buffer_load_dword v158, off, s[0:3], 0 offset:228
	;; [unrolled: 1-line block ×60, first 2 shown]
	v_mov_b32_e32 v1, 0
	ds_read2_b64 v[145:148], v1 offset0:83 offset1:84
	ds_read2_b64 v[149:152], v1 offset0:85 offset1:86
	;; [unrolled: 1-line block ×3, first 2 shown]
	s_mov_b32 s4, exec_lo
	s_waitcnt vmcnt(59) lgkmcnt(2)
	v_mul_f32_e32 v187, v145, v157
	s_waitcnt vmcnt(58)
	v_mul_f32_e32 v188, v147, v158
	v_mul_f32_e32 v157, v146, v157
	;; [unrolled: 1-line block ×3, first 2 shown]
	s_waitcnt vmcnt(55)
	v_fmac_f32_e32 v187, v146, v160
	v_fmac_f32_e32 v188, v148, v159
	v_fma_f32 v157, v145, v160, -v157
	v_fma_f32 v158, v147, v159, -v158
	ds_read2_b64 v[145:148], v1 offset0:89 offset1:90
	s_waitcnt vmcnt(54) lgkmcnt(2)
	v_mul_f32_e32 v189, v149, v141
	v_mul_f32_e32 v141, v150, v141
	s_waitcnt vmcnt(53)
	v_mul_f32_e32 v190, v151, v140
	v_mul_f32_e32 v140, v152, v140
	s_waitcnt vmcnt(47) lgkmcnt(1)
	v_mul_f32_e32 v159, v156, v164
	v_fmac_f32_e32 v189, v150, v136
	v_fma_f32 v136, v149, v136, -v141
	v_fmac_f32_e32 v190, v152, v163
	v_fma_f32 v140, v151, v163, -v140
	ds_read2_b64 v[149:152], v1 offset0:91 offset1:92
	v_mul_f32_e32 v191, v155, v164
	v_mul_f32_e32 v141, v153, v138
	;; [unrolled: 1-line block ×3, first 2 shown]
	v_fma_f32 v192, v155, v161, -v159
	v_fmac_f32_e32 v191, v156, v161
	v_add_f32_e32 v161, 0, v187
	v_fmac_f32_e32 v141, v154, v162
	v_fma_f32 v138, v153, v162, -v138
	s_waitcnt vmcnt(46) lgkmcnt(1)
	v_mul_f32_e32 v193, v145, v165
	v_mul_f32_e32 v159, v146, v165
	ds_read2_b64 v[153:156], v1 offset0:93 offset1:94
	v_add_f32_e32 v161, v161, v188
	s_waitcnt vmcnt(45)
	v_mul_f32_e32 v194, v147, v166
	v_fmac_f32_e32 v193, v146, v143
	v_add_f32_e32 v146, 0, v157
	v_mul_f32_e32 v160, v148, v166
	v_add_f32_e32 v161, v161, v189
	s_waitcnt vmcnt(41)
	v_fmac_f32_e32 v194, v148, v169
	v_fma_f32 v143, v145, v143, -v159
	v_add_f32_e32 v162, v146, v158
	v_fma_f32 v169, v147, v169, -v160
	v_add_f32_e32 v161, v161, v190
	ds_read2_b64 v[145:148], v1 offset0:95 offset1:96
	ds_read2_b64 v[157:160], v1 offset0:97 offset1:98
	s_waitcnt vmcnt(40) lgkmcnt(3)
	v_mul_f32_e32 v187, v149, v170
	v_add_f32_e32 v136, v162, v136
	v_mul_f32_e32 v162, v150, v170
	v_add_f32_e32 v141, v161, v141
	s_waitcnt vmcnt(39)
	v_mul_f32_e32 v163, v152, v171
	v_mul_f32_e32 v188, v151, v171
	v_add_f32_e32 v136, v136, v140
	s_waitcnt vmcnt(37) lgkmcnt(2)
	v_mul_f32_e32 v140, v155, v137
	v_mul_f32_e32 v137, v156, v137
	v_fma_f32 v170, v149, v168, -v162
	v_fmac_f32_e32 v187, v150, v168
	v_add_f32_e32 v136, v136, v138
	v_add_f32_e32 v138, v141, v191
	s_waitcnt vmcnt(33)
	v_fma_f32 v141, v155, v175, -v137
	v_mul_f32_e32 v189, v153, v172
	v_mul_f32_e32 v165, v154, v172
	v_add_f32_e32 v136, v136, v192
	v_add_f32_e32 v137, v138, v193
	v_fma_f32 v190, v151, v167, -v163
	s_waitcnt vmcnt(32) lgkmcnt(1)
	v_mul_f32_e32 v138, v145, v176
	v_mul_f32_e32 v171, v146, v176
	v_add_f32_e32 v136, v136, v143
	v_add_f32_e32 v137, v137, v194
	v_fmac_f32_e32 v188, v152, v167
	v_fmac_f32_e32 v140, v156, v175
	;; [unrolled: 1-line block ×3, first 2 shown]
	v_add_f32_e32 v136, v136, v169
	v_add_f32_e32 v175, v137, v187
	v_fma_f32 v133, v153, v133, -v165
	ds_read2_b64 v[149:152], v1 offset0:99 offset1:100
	ds_read2_b64 v[161:164], v1 offset0:101 offset1:102
	s_waitcnt vmcnt(31)
	v_mul_f32_e32 v143, v147, v177
	v_add_f32_e32 v176, v136, v170
	v_add_f32_e32 v175, v175, v188
	v_mul_f32_e32 v172, v148, v177
	v_fmac_f32_e32 v138, v146, v174
	v_fma_f32 v174, v145, v174, -v171
	v_add_f32_e32 v176, v176, v190
	v_add_f32_e32 v175, v175, v189
	v_fmac_f32_e32 v143, v148, v173
	v_fma_f32 v173, v147, v173, -v172
	s_waitcnt vmcnt(30) lgkmcnt(2)
	v_mul_f32_e32 v177, v157, v131
	v_add_f32_e32 v133, v176, v133
	v_add_f32_e32 v140, v175, v140
	v_mul_f32_e32 v131, v158, v131
	s_waitcnt vmcnt(29)
	v_mul_f32_e32 v187, v159, v132
	v_mul_f32_e32 v132, v160, v132
	v_add_f32_e32 v133, v133, v141
	v_add_f32_e32 v138, v140, v138
	v_fmac_f32_e32 v177, v158, v127
	v_fma_f32 v127, v157, v127, -v131
	s_waitcnt vmcnt(28) lgkmcnt(1)
	v_mul_f32_e32 v188, v149, v128
	v_add_f32_e32 v133, v133, v174
	v_add_f32_e32 v138, v138, v143
	v_mul_f32_e32 v128, v150, v128
	s_waitcnt vmcnt(20)
	v_fma_f32 v132, v159, v181, -v132
	ds_read2_b64 v[153:156], v1 offset0:103 offset1:104
	ds_read2_b64 v[165:168], v1 offset0:105 offset1:106
	v_add_f32_e32 v133, v133, v173
	v_fmac_f32_e32 v187, v160, v181
	v_mul_f32_e32 v176, v151, v10
	v_mul_f32_e32 v10, v152, v10
	v_fma_f32 v128, v149, v180, -v128
	v_add_f32_e32 v127, v133, v127
	v_add_f32_e32 v133, v138, v177
	v_fmac_f32_e32 v188, v150, v180
	s_waitcnt lgkmcnt(2)
	v_mul_f32_e32 v131, v161, v8
	v_mul_f32_e32 v8, v162, v8
	v_add_f32_e32 v127, v127, v132
	v_add_f32_e32 v132, v133, v187
	v_fma_f32 v10, v151, v179, -v10
	v_fmac_f32_e32 v176, v152, v179
	v_mul_f32_e32 v157, v163, v6
	v_add_f32_e32 v127, v127, v128
	v_add_f32_e32 v128, v132, v188
	v_mul_f32_e32 v6, v164, v6
	v_fma_f32 v8, v161, v178, -v8
	v_fmac_f32_e32 v131, v162, v178
	v_add_f32_e32 v10, v127, v10
	v_add_f32_e32 v127, v128, v176
	s_waitcnt lgkmcnt(1)
	v_mul_f32_e32 v141, v153, v5
	v_mul_f32_e32 v5, v154, v5
	s_waitcnt vmcnt(8)
	v_fma_f32 v6, v163, v186, -v6
	v_add_f32_e32 v8, v10, v8
	v_fmac_f32_e32 v157, v164, v186
	v_add_f32_e32 v10, v127, v131
	ds_read2_b64 v[145:148], v1 offset0:107 offset1:108
	ds_read2_b64 v[169:172], v1 offset0:109 offset1:110
	ds_read_b64 v[136:137], v1 offset:888
	v_mul_f32_e32 v127, v156, v182
	v_fma_f32 v5, v153, v185, -v5
	v_add_f32_e32 v6, v8, v6
	v_mul_f32_e32 v158, v155, v182
	v_fmac_f32_e32 v141, v154, v185
	v_add_f32_e32 v8, v10, v157
	s_waitcnt lgkmcnt(3)
	v_mul_f32_e32 v10, v166, v183
	v_fma_f32 v127, v155, v184, -v127
	v_add_f32_e32 v5, v6, v5
	v_mul_f32_e32 v159, v165, v183
	v_fmac_f32_e32 v158, v156, v184
	v_add_f32_e32 v6, v8, v141
	v_mul_f32_e32 v8, v168, v139
	v_fma_f32 v10, v165, v144, -v10
	v_add_f32_e32 v5, v5, v127
	v_mul_f32_e32 v140, v167, v139
	v_fmac_f32_e32 v159, v166, v144
	v_add_f32_e32 v6, v6, v158
	s_waitcnt lgkmcnt(2)
	v_mul_f32_e32 v127, v146, v134
	s_waitcnt vmcnt(4)
	v_fma_f32 v8, v167, v142, -v8
	v_add_f32_e32 v5, v5, v10
	v_mul_f32_e32 v160, v145, v134
	v_fmac_f32_e32 v140, v168, v142
	v_add_f32_e32 v6, v6, v159
	v_mul_f32_e32 v10, v148, v130
	v_fma_f32 v127, v145, v135, -v127
	v_add_f32_e32 v5, v5, v8
	v_mul_f32_e32 v174, v147, v130
	v_fmac_f32_e32 v160, v146, v135
	v_add_f32_e32 v6, v6, v140
	s_waitcnt lgkmcnt(1)
	v_mul_f32_e32 v8, v170, v126
	v_fma_f32 v10, v147, v129, -v10
	v_add_f32_e32 v5, v5, v127
	v_mul_f32_e32 v143, v169, v126
	v_fmac_f32_e32 v174, v148, v129
	v_add_f32_e32 v6, v6, v160
	v_mul_f32_e32 v173, v171, v9
	v_mul_f32_e32 v9, v172, v9
	v_fma_f32 v8, v169, v12, -v8
	v_add_f32_e32 v5, v5, v10
	v_fmac_f32_e32 v143, v170, v12
	v_add_f32_e32 v6, v6, v174
	s_waitcnt lgkmcnt(0)
	v_mul_f32_e32 v138, v136, v4
	v_mul_f32_e32 v4, v137, v4
	s_waitcnt vmcnt(2)
	v_fma_f32 v9, v171, v11, -v9
	v_add_f32_e32 v5, v5, v8
	v_fmac_f32_e32 v173, v172, v11
	v_add_f32_e32 v6, v6, v143
	v_fma_f32 v4, v136, v7, -v4
	v_fmac_f32_e32 v138, v137, v7
	v_add_f32_e32 v5, v5, v9
	v_add_f32_e32 v6, v6, v173
	;; [unrolled: 1-line block ×4, first 2 shown]
	s_waitcnt vmcnt(1)
	v_sub_f32_e32 v2, v2, v4
	s_waitcnt vmcnt(0)
	v_sub_f32_e32 v3, v3, v5
	buffer_store_dword v2, off, s[0:3], 0 offset:208
	buffer_store_dword v3, off, s[0:3], 0 offset:212
	v_cmpx_lt_u32_e32 25, v0
	s_cbranch_execz .LBB119_299
; %bb.298:
	s_clause 0x1
	buffer_load_dword v2, off, s[0:3], 0 offset:200
	buffer_load_dword v3, off, s[0:3], 0 offset:204
	buffer_store_dword v1, off, s[0:3], 0 offset:200
	buffer_store_dword v1, off, s[0:3], 0 offset:204
	s_waitcnt vmcnt(0)
	ds_write_b64 v125, v[2:3]
.LBB119_299:
	s_or_b32 exec_lo, exec_lo, s4
	s_waitcnt lgkmcnt(0)
	s_waitcnt_vscnt null, 0x0
	s_barrier
	buffer_gl0_inv
	s_clause 0x3d
	buffer_load_dword v155, off, s[0:3], 0 offset:212
	buffer_load_dword v156, off, s[0:3], 0 offset:220
	buffer_load_dword v144, off, s[0:3], 0 offset:224
	buffer_load_dword v157, off, s[0:3], 0 offset:216
	buffer_load_dword v158, off, s[0:3], 0 offset:208
	buffer_load_dword v159, off, s[0:3], 0 offset:228
	buffer_load_dword v160, off, s[0:3], 0 offset:236
	buffer_load_dword v7, off, s[0:3], 0 offset:256
	buffer_load_dword v134, off, s[0:3], 0 offset:248
	buffer_load_dword v135, off, s[0:3], 0 offset:240
	buffer_load_dword v161, off, s[0:3], 0 offset:232
	buffer_load_dword v140, off, s[0:3], 0 offset:244
	buffer_load_dword v139, off, s[0:3], 0 offset:252
	buffer_load_dword v11, off, s[0:3], 0 offset:260
	buffer_load_dword v162, off, s[0:3], 0 offset:268
	buffer_load_dword v8, off, s[0:3], 0 offset:288
	buffer_load_dword v9, off, s[0:3], 0 offset:280
	buffer_load_dword v141, off, s[0:3], 0 offset:272
	buffer_load_dword v163, off, s[0:3], 0 offset:264
	buffer_load_dword v146, off, s[0:3], 0 offset:276
	buffer_load_dword v138, off, s[0:3], 0 offset:284
	buffer_load_dword v136, off, s[0:3], 0 offset:292
	buffer_load_dword v142, off, s[0:3], 0 offset:300
	buffer_load_dword v130, off, s[0:3], 0 offset:308
	buffer_load_dword v10, off, s[0:3], 0 offset:320
	buffer_load_dword v12, off, s[0:3], 0 offset:312
	buffer_load_dword v164, off, s[0:3], 0 offset:304
	buffer_load_dword v165, off, s[0:3], 0 offset:296
	buffer_load_dword v131, off, s[0:3], 0 offset:316
	buffer_load_dword v128, off, s[0:3], 0 offset:324
	buffer_load_dword v129, off, s[0:3], 0 offset:332
	buffer_load_dword v167, off, s[0:3], 0 offset:352
	buffer_load_dword v168, off, s[0:3], 0 offset:344
	buffer_load_dword v169, off, s[0:3], 0 offset:336
	buffer_load_dword v170, off, s[0:3], 0 offset:328
	buffer_load_dword v171, off, s[0:3], 0 offset:340
	buffer_load_dword v172, off, s[0:3], 0 offset:348
	buffer_load_dword v173, off, s[0:3], 0 offset:356
	buffer_load_dword v174, off, s[0:3], 0 offset:364
	buffer_load_dword v175, off, s[0:3], 0 offset:372
	buffer_load_dword v176, off, s[0:3], 0 offset:380
	buffer_load_dword v177, off, s[0:3], 0 offset:388
	buffer_load_dword v137, off, s[0:3], 0 offset:396
	buffer_load_dword v132, off, s[0:3], 0 offset:404
	buffer_load_dword v126, off, s[0:3], 0 offset:412
	buffer_load_dword v6, off, s[0:3], 0 offset:420
	buffer_load_dword v4, off, s[0:3], 0 offset:428
	buffer_load_dword v3, off, s[0:3], 0 offset:436
	buffer_load_dword v2, off, s[0:3], 0 offset:444
	buffer_load_dword v145, off, s[0:3], 0 offset:384
	buffer_load_dword v178, off, s[0:3], 0 offset:376
	buffer_load_dword v179, off, s[0:3], 0 offset:368
	buffer_load_dword v180, off, s[0:3], 0 offset:360
	buffer_load_dword v5, off, s[0:3], 0 offset:416
	buffer_load_dword v127, off, s[0:3], 0 offset:408
	buffer_load_dword v133, off, s[0:3], 0 offset:400
	buffer_load_dword v143, off, s[0:3], 0 offset:392
	buffer_load_dword v181, off, s[0:3], 0 offset:440
	buffer_load_dword v182, off, s[0:3], 0 offset:432
	buffer_load_dword v183, off, s[0:3], 0 offset:424
	buffer_load_dword v184, off, s[0:3], 0 offset:200
	buffer_load_dword v185, off, s[0:3], 0 offset:204
	ds_read_b128 v[147:150], v1 offset:656
	ds_read_b128 v[151:154], v1 offset:672
	s_mov_b32 s4, exec_lo
	s_waitcnt vmcnt(61) lgkmcnt(1)
	v_mul_f32_e32 v166, v147, v155
	s_waitcnt vmcnt(60)
	v_mul_f32_e32 v186, v149, v156
	v_mul_f32_e32 v155, v148, v155
	;; [unrolled: 1-line block ×3, first 2 shown]
	s_waitcnt vmcnt(57)
	v_fmac_f32_e32 v166, v148, v158
	v_fmac_f32_e32 v186, v150, v157
	v_fma_f32 v155, v147, v158, -v155
	v_fma_f32 v187, v149, v157, -v156
	ds_read_b128 v[147:150], v1 offset:688
	s_waitcnt vmcnt(56) lgkmcnt(1)
	v_mul_f32_e32 v188, v151, v159
	v_mul_f32_e32 v156, v152, v159
	s_waitcnt vmcnt(55)
	v_mul_f32_e32 v189, v153, v160
	v_mul_f32_e32 v157, v154, v160
	v_fmac_f32_e32 v188, v152, v144
	v_fma_f32 v144, v151, v144, -v156
	s_waitcnt vmcnt(51)
	v_fmac_f32_e32 v189, v154, v161
	v_fma_f32 v190, v153, v161, -v157
	ds_read_b128 v[151:154], v1 offset:704
	s_waitcnt vmcnt(49) lgkmcnt(1)
	v_mul_f32_e32 v192, v149, v139
	v_mul_f32_e32 v139, v150, v139
	;; [unrolled: 1-line block ×4, first 2 shown]
	v_fmac_f32_e32 v192, v150, v134
	v_fma_f32 v134, v149, v134, -v139
	v_fmac_f32_e32 v191, v148, v135
	v_fma_f32 v135, v147, v135, -v140
	ds_read_b128 v[147:150], v1 offset:720
	s_waitcnt vmcnt(48) lgkmcnt(1)
	v_mul_f32_e32 v193, v151, v11
	v_mul_f32_e32 v11, v152, v11
	s_waitcnt vmcnt(47)
	v_mul_f32_e32 v194, v153, v162
	v_mul_f32_e32 v139, v154, v162
	v_add_f32_e32 v140, 0, v166
	v_fmac_f32_e32 v193, v152, v7
	v_fma_f32 v7, v151, v7, -v11
	s_waitcnt vmcnt(43)
	v_fmac_f32_e32 v194, v154, v163
	v_fma_f32 v11, v153, v163, -v139
	ds_read_b128 v[151:154], v1 offset:736
	v_add_f32_e32 v139, 0, v155
	v_add_f32_e32 v140, v140, v186
	ds_read_b128 v[155:158], v1 offset:752
	ds_read_b128 v[159:162], v1 offset:768
	v_add_f32_e32 v139, v139, v187
	v_add_f32_e32 v140, v140, v188
	s_waitcnt vmcnt(42) lgkmcnt(3)
	v_mul_f32_e32 v187, v147, v146
	v_add_f32_e32 v139, v139, v144
	v_add_f32_e32 v140, v140, v189
	v_mul_f32_e32 v146, v148, v146
	s_waitcnt vmcnt(41)
	v_mul_f32_e32 v186, v149, v138
	v_mul_f32_e32 v138, v150, v138
	v_add_f32_e32 v139, v139, v190
	v_fmac_f32_e32 v187, v148, v141
	v_fma_f32 v144, v147, v141, -v146
	v_fmac_f32_e32 v186, v150, v9
	s_waitcnt vmcnt(40) lgkmcnt(2)
	v_mul_f32_e32 v188, v151, v136
	v_mul_f32_e32 v136, v152, v136
	v_add_f32_e32 v135, v139, v135
	v_add_f32_e32 v139, v140, v191
	s_waitcnt vmcnt(39)
	v_mul_f32_e32 v189, v153, v142
	v_fmac_f32_e32 v188, v152, v8
	v_fma_f32 v136, v151, v8, -v136
	v_add_f32_e32 v8, v135, v134
	v_add_f32_e32 v134, v139, v192
	v_mul_f32_e32 v142, v154, v142
	s_waitcnt vmcnt(38) lgkmcnt(1)
	v_mul_f32_e32 v190, v155, v130
	v_mul_f32_e32 v130, v156, v130
	v_add_f32_e32 v7, v8, v7
	v_add_f32_e32 v8, v134, v193
	v_fma_f32 v9, v149, v9, -v138
	s_waitcnt vmcnt(32) lgkmcnt(0)
	v_mul_f32_e32 v134, v159, v128
	v_mul_f32_e32 v128, v160, v128
	v_add_f32_e32 v7, v7, v11
	v_add_f32_e32 v8, v8, v194
	v_mul_f32_e32 v11, v157, v131
	v_fmac_f32_e32 v189, v154, v165
	v_fma_f32 v135, v153, v165, -v142
	v_add_f32_e32 v7, v7, v144
	v_fma_f32 v142, v155, v164, -v130
	s_waitcnt vmcnt(31)
	v_mul_f32_e32 v154, v162, v129
	v_add_f32_e32 v155, v8, v187
	v_mul_f32_e32 v130, v158, v131
	v_fmac_f32_e32 v11, v158, v12
	v_fma_f32 v158, v159, v10, -v128
	v_add_f32_e32 v159, v7, v9
	v_mul_f32_e32 v144, v161, v129
	v_fmac_f32_e32 v134, v160, v10
	s_waitcnt vmcnt(27)
	v_fma_f32 v160, v161, v170, -v154
	v_add_f32_e32 v161, v155, v186
	v_add_f32_e32 v136, v159, v136
	ds_read_b128 v[138:141], v1 offset:784
	ds_read_b128 v[146:149], v1 offset:800
	v_fmac_f32_e32 v190, v156, v164
	v_fma_f32 v12, v157, v12, -v130
	v_add_f32_e32 v161, v161, v188
	v_add_f32_e32 v135, v136, v135
	ds_read_b128 v[150:153], v1 offset:816
	ds_read_b128 v[163:166], v1 offset:832
	;; [unrolled: 1-line block ×4, first 2 shown]
	v_fmac_f32_e32 v144, v162, v170
	v_add_f32_e32 v161, v161, v189
	v_add_f32_e32 v135, v135, v142
	ds_read_b128 v[154:157], v1 offset:880
	v_add_f32_e32 v161, v161, v190
	v_add_f32_e32 v12, v135, v12
	;; [unrolled: 1-line block ×3, first 2 shown]
	s_waitcnt vmcnt(26) lgkmcnt(6)
	v_mul_f32_e32 v159, v139, v171
	v_add_f32_e32 v12, v12, v158
	v_mul_f32_e32 v1, v138, v171
	s_waitcnt vmcnt(25)
	v_mul_f32_e32 v170, v141, v172
	v_add_f32_e32 v11, v11, v134
	v_fma_f32 v138, v138, v169, -v159
	v_add_f32_e32 v12, v12, v160
	v_mul_f32_e32 v162, v140, v172
	v_fmac_f32_e32 v1, v139, v169
	v_add_f32_e32 v11, v11, v144
	s_waitcnt vmcnt(24) lgkmcnt(5)
	v_mul_f32_e32 v144, v147, v173
	v_fma_f32 v140, v140, v168, -v170
	v_add_f32_e32 v12, v12, v138
	v_mul_f32_e32 v136, v146, v173
	v_fmac_f32_e32 v162, v141, v168
	v_add_f32_e32 v1, v11, v1
	s_waitcnt vmcnt(23)
	v_mul_f32_e32 v11, v149, v174
	v_fma_f32 v138, v146, v167, -v144
	v_add_f32_e32 v12, v12, v140
	v_mul_f32_e32 v171, v148, v174
	v_fmac_f32_e32 v136, v147, v167
	v_add_f32_e32 v1, v1, v162
	s_waitcnt vmcnt(22) lgkmcnt(4)
	v_mul_f32_e32 v140, v151, v175
	s_waitcnt vmcnt(9)
	v_fma_f32 v11, v148, v180, -v11
	v_add_f32_e32 v12, v12, v138
	v_mul_f32_e32 v172, v150, v175
	v_fmac_f32_e32 v171, v149, v180
	v_add_f32_e32 v1, v1, v136
	v_mul_f32_e32 v136, v153, v176
	v_fma_f32 v138, v150, v179, -v140
	v_add_f32_e32 v11, v12, v11
	v_mul_f32_e32 v142, v152, v176
	v_fmac_f32_e32 v172, v151, v179
	v_add_f32_e32 v1, v1, v171
	s_waitcnt lgkmcnt(3)
	v_mul_f32_e32 v12, v164, v177
	v_fma_f32 v136, v152, v178, -v136
	v_add_f32_e32 v11, v11, v138
	v_mul_f32_e32 v186, v163, v177
	v_fmac_f32_e32 v142, v153, v178
	v_add_f32_e32 v1, v1, v172
	v_mul_f32_e32 v187, v165, v137
	v_mul_f32_e32 v137, v166, v137
	v_fma_f32 v12, v163, v145, -v12
	v_add_f32_e32 v11, v11, v136
	v_fmac_f32_e32 v186, v164, v145
	v_add_f32_e32 v1, v1, v142
	s_waitcnt lgkmcnt(2)
	v_mul_f32_e32 v135, v7, v132
	v_mul_f32_e32 v132, v8, v132
	s_waitcnt vmcnt(5)
	v_fma_f32 v136, v165, v143, -v137
	v_add_f32_e32 v11, v11, v12
	v_fmac_f32_e32 v187, v166, v143
	v_add_f32_e32 v1, v1, v186
	v_mul_f32_e32 v12, v10, v126
	v_fmac_f32_e32 v135, v8, v133
	v_fma_f32 v7, v7, v133, -v132
	v_add_f32_e32 v8, v11, v136
	v_mul_f32_e32 v161, v9, v126
	v_add_f32_e32 v1, v1, v187
	s_waitcnt lgkmcnt(1)
	v_mul_f32_e32 v188, v128, v6
	v_mul_f32_e32 v6, v129, v6
	v_fma_f32 v9, v9, v127, -v12
	v_add_f32_e32 v7, v8, v7
	v_fmac_f32_e32 v161, v10, v127
	v_add_f32_e32 v1, v1, v135
	v_mul_f32_e32 v158, v130, v4
	v_mul_f32_e32 v4, v131, v4
	v_fmac_f32_e32 v188, v129, v5
	v_fma_f32 v5, v128, v5, -v6
	v_add_f32_e32 v6, v7, v9
	v_add_f32_e32 v1, v1, v161
	s_waitcnt lgkmcnt(0)
	v_mul_f32_e32 v134, v154, v3
	v_mul_f32_e32 v3, v155, v3
	s_waitcnt vmcnt(2)
	v_fma_f32 v4, v130, v183, -v4
	v_add_f32_e32 v5, v6, v5
	v_fmac_f32_e32 v158, v131, v183
	v_add_f32_e32 v1, v1, v188
	v_mul_f32_e32 v139, v156, v2
	v_mul_f32_e32 v2, v157, v2
	v_fma_f32 v3, v154, v182, -v3
	v_add_f32_e32 v4, v5, v4
	v_fmac_f32_e32 v134, v155, v182
	v_add_f32_e32 v1, v1, v158
	v_fma_f32 v2, v156, v181, -v2
	v_fmac_f32_e32 v139, v157, v181
	v_add_f32_e32 v3, v4, v3
	v_add_f32_e32 v1, v1, v134
	;; [unrolled: 1-line block ×4, first 2 shown]
	s_waitcnt vmcnt(1)
	v_sub_f32_e32 v2, v184, v2
	s_waitcnt vmcnt(0)
	v_sub_f32_e32 v1, v185, v1
	buffer_store_dword v2, off, s[0:3], 0 offset:200
	buffer_store_dword v1, off, s[0:3], 0 offset:204
	v_cmpx_lt_u32_e32 24, v0
	s_cbranch_execz .LBB119_301
; %bb.300:
	s_clause 0x1
	buffer_load_dword v1, off, s[0:3], 0 offset:192
	buffer_load_dword v2, off, s[0:3], 0 offset:196
	v_mov_b32_e32 v3, 0
	buffer_store_dword v3, off, s[0:3], 0 offset:192
	buffer_store_dword v3, off, s[0:3], 0 offset:196
	s_waitcnt vmcnt(0)
	ds_write_b64 v125, v[1:2]
.LBB119_301:
	s_or_b32 exec_lo, exec_lo, s4
	s_waitcnt lgkmcnt(0)
	s_waitcnt_vscnt null, 0x0
	s_barrier
	buffer_gl0_inv
	s_clause 0x3e
	buffer_load_dword v7, off, s[0:3], 0 offset:204
	buffer_load_dword v8, off, s[0:3], 0 offset:212
	;; [unrolled: 1-line block ×64, first 2 shown]
	v_mov_b32_e32 v1, 0
	ds_read2_b64 v[165:168], v1 offset0:81 offset1:82
	ds_read2_b64 v[169:172], v1 offset0:83 offset1:84
	s_mov_b32 s4, exec_lo
	ds_read2_b64 v[177:180], v1 offset0:95 offset1:96
	s_waitcnt vmcnt(62) lgkmcnt(2)
	v_mul_f32_e32 v173, v165, v7
	v_mul_f32_e32 v174, v167, v8
	v_mul_f32_e32 v7, v166, v7
	v_mul_f32_e32 v8, v168, v8
	s_waitcnt vmcnt(59)
	v_fmac_f32_e32 v173, v166, v129
	v_fmac_f32_e32 v174, v168, v128
	v_fma_f32 v7, v165, v129, -v7
	v_fma_f32 v8, v167, v128, -v8
	ds_read2_b64 v[165:168], v1 offset0:85 offset1:86
	s_waitcnt vmcnt(58) lgkmcnt(2)
	v_mul_f32_e32 v128, v169, v11
	s_waitcnt vmcnt(57)
	v_mul_f32_e32 v129, v171, v12
	v_mul_f32_e32 v11, v170, v11
	;; [unrolled: 1-line block ×3, first 2 shown]
	v_add_f32_e32 v7, 0, v7
	v_fmac_f32_e32 v128, v170, v5
	s_waitcnt vmcnt(53)
	v_fmac_f32_e32 v129, v172, v155
	v_fma_f32 v5, v169, v5, -v11
	v_fma_f32 v11, v171, v155, -v12
	ds_read2_b64 v[169:172], v1 offset0:87 offset1:88
	v_add_f32_e32 v7, v7, v8
	v_add_f32_e32 v5, v7, v5
	s_waitcnt vmcnt(51) lgkmcnt(1)
	v_mul_f32_e32 v155, v167, v153
	v_mul_f32_e32 v153, v168, v153
	;; [unrolled: 1-line block ×4, first 2 shown]
	v_add_f32_e32 v5, v5, v11
	v_fmac_f32_e32 v155, v168, v146
	v_fma_f32 v146, v167, v146, -v153
	v_fmac_f32_e32 v12, v166, v150
	v_fma_f32 v150, v165, v150, -v154
	ds_read2_b64 v[165:168], v1 offset0:89 offset1:90
	s_waitcnt vmcnt(50) lgkmcnt(1)
	v_mul_f32_e32 v153, v169, v149
	v_mul_f32_e32 v149, v170, v149
	s_waitcnt vmcnt(49)
	v_mul_f32_e32 v195, v171, v147
	v_mul_f32_e32 v147, v172, v147
	v_add_f32_e32 v5, v5, v150
	v_fmac_f32_e32 v153, v170, v140
	v_fma_f32 v140, v169, v140, -v149
	v_add_f32_e32 v149, 0, v173
	s_waitcnt vmcnt(45)
	v_fmac_f32_e32 v195, v172, v163
	v_fma_f32 v147, v171, v163, -v147
	ds_read2_b64 v[169:172], v1 offset0:91 offset1:92
	v_add_f32_e32 v5, v5, v146
	v_add_f32_e32 v149, v149, v174
	ds_read2_b64 v[173:176], v1 offset0:93 offset1:94
	v_add_f32_e32 v5, v5, v140
	v_add_f32_e32 v8, v149, v128
	s_waitcnt vmcnt(44) lgkmcnt(2)
	v_mul_f32_e32 v149, v166, v161
	v_mul_f32_e32 v128, v165, v161
	v_add_f32_e32 v5, v5, v147
	v_add_f32_e32 v7, v8, v129
	s_waitcnt vmcnt(43)
	v_mul_f32_e32 v11, v167, v157
	v_fma_f32 v8, v165, v158, -v149
	v_fmac_f32_e32 v128, v166, v158
	v_add_f32_e32 v7, v7, v12
	v_mul_f32_e32 v12, v168, v157
	v_add_f32_e32 v5, v5, v8
	s_waitcnt vmcnt(42) lgkmcnt(1)
	v_mul_f32_e32 v129, v169, v156
	v_mul_f32_e32 v149, v170, v156
	v_add_f32_e32 v7, v7, v155
	v_fma_f32 v12, v167, v138, -v12
	v_fmac_f32_e32 v11, v168, v138
	s_waitcnt vmcnt(41)
	v_mul_f32_e32 v157, v172, v159
	v_fmac_f32_e32 v129, v170, v136
	v_add_f32_e32 v7, v7, v153
	v_fma_f32 v136, v169, v136, -v149
	v_add_f32_e32 v5, v5, v12
	v_mul_f32_e32 v150, v171, v159
	s_waitcnt vmcnt(40) lgkmcnt(0)
	v_mul_f32_e32 v138, v174, v148
	v_add_f32_e32 v7, v7, v195
	s_waitcnt vmcnt(36)
	v_fma_f32 v157, v171, v164, -v157
	v_add_f32_e32 v5, v5, v136
	v_mul_f32_e32 v158, v173, v148
	ds_read2_b64 v[153:156], v1 offset0:97 offset1:98
	ds_read2_b64 v[165:168], v1 offset0:99 offset1:100
	v_add_f32_e32 v7, v7, v128
	v_fmac_f32_e32 v150, v172, v164
	v_fma_f32 v159, v173, v162, -v138
	s_waitcnt vmcnt(35)
	v_mul_f32_e32 v138, v176, v151
	v_add_f32_e32 v5, v5, v157
	v_add_f32_e32 v7, v7, v11
	v_fmac_f32_e32 v158, v174, v162
	v_mul_f32_e32 v128, v175, v151
	s_waitcnt vmcnt(34)
	v_mul_f32_e32 v151, v177, v144
	s_waitcnt vmcnt(33)
	v_mul_f32_e32 v11, v179, v145
	v_add_f32_e32 v12, v7, v129
	v_mul_f32_e32 v8, v178, v144
	v_mul_f32_e32 v144, v180, v145
	v_fma_f32 v145, v175, v141, -v138
	v_add_f32_e32 v5, v5, v159
	v_add_f32_e32 v12, v12, v150
	v_fmac_f32_e32 v128, v176, v141
	v_fma_f32 v177, v177, v139, -v8
	v_fmac_f32_e32 v151, v178, v139
	v_add_f32_e32 v5, v5, v145
	v_add_f32_e32 v12, v12, v158
	s_waitcnt vmcnt(28)
	v_fma_f32 v129, v179, v152, -v144
	s_waitcnt vmcnt(27) lgkmcnt(1)
	v_mul_f32_e32 v136, v153, v142
	v_mul_f32_e32 v142, v154, v142
	v_add_f32_e32 v5, v5, v177
	v_add_f32_e32 v12, v12, v128
	ds_read2_b64 v[146:149], v1 offset0:101 offset1:102
	ds_read2_b64 v[161:164], v1 offset0:103 offset1:104
	v_fmac_f32_e32 v11, v180, v152
	s_waitcnt vmcnt(26)
	v_mul_f32_e32 v144, v155, v143
	v_mul_f32_e32 v143, v156, v143
	v_add_f32_e32 v12, v12, v151
	v_fmac_f32_e32 v136, v154, v137
	v_fma_f32 v137, v153, v137, -v142
	v_add_f32_e32 v5, v5, v129
	s_waitcnt lgkmcnt(2)
	v_mul_f32_e32 v150, v165, v135
	v_add_f32_e32 v11, v12, v11
	v_mul_f32_e32 v135, v166, v135
	v_fmac_f32_e32 v144, v156, v134
	v_fma_f32 v134, v155, v134, -v143
	v_add_f32_e32 v5, v5, v137
	v_add_f32_e32 v11, v11, v136
	s_waitcnt vmcnt(25)
	v_mul_f32_e32 v12, v168, v133
	v_fmac_f32_e32 v150, v166, v2
	v_fma_f32 v2, v165, v2, -v135
	v_add_f32_e32 v5, v5, v134
	v_mul_f32_e32 v152, v167, v133
	v_add_f32_e32 v11, v11, v144
	s_waitcnt vmcnt(24) lgkmcnt(1)
	v_mul_f32_e32 v142, v146, v132
	v_mul_f32_e32 v132, v147, v132
	s_waitcnt vmcnt(13)
	v_fma_f32 v12, v167, v181, -v12
	v_add_f32_e32 v2, v5, v2
	ds_read2_b64 v[138:141], v1 offset0:105 offset1:106
	ds_read2_b64 v[169:172], v1 offset0:107 offset1:108
	v_fmac_f32_e32 v152, v168, v181
	v_add_f32_e32 v5, v11, v150
	v_mul_f32_e32 v128, v148, v130
	v_mul_f32_e32 v11, v149, v130
	s_waitcnt vmcnt(10)
	v_fma_f32 v130, v146, v184, -v132
	v_add_f32_e32 v2, v2, v12
	v_fmac_f32_e32 v142, v147, v184
	v_add_f32_e32 v5, v5, v152
	s_waitcnt lgkmcnt(2)
	v_mul_f32_e32 v12, v162, v131
	v_fma_f32 v11, v148, v183, -v11
	v_add_f32_e32 v2, v2, v130
	v_mul_f32_e32 v145, v161, v131
	v_fmac_f32_e32 v128, v149, v183
	v_add_f32_e32 v5, v5, v142
	v_mul_f32_e32 v143, v163, v127
	v_mul_f32_e32 v127, v164, v127
	v_fma_f32 v12, v161, v182, -v12
	v_add_f32_e32 v2, v2, v11
	v_fmac_f32_e32 v145, v162, v182
	v_add_f32_e32 v5, v5, v128
	s_waitcnt lgkmcnt(1)
	v_mul_f32_e32 v153, v138, v126
	v_mul_f32_e32 v11, v139, v126
	s_waitcnt vmcnt(6)
	v_fma_f32 v126, v163, v188, -v127
	v_add_f32_e32 v2, v2, v12
	ds_read2_b64 v[173:176], v1 offset0:109 offset1:110
	ds_read_b64 v[7:8], v1 offset:888
	v_fmac_f32_e32 v143, v164, v188
	v_add_f32_e32 v5, v5, v145
	v_mul_f32_e32 v151, v140, v10
	v_mul_f32_e32 v10, v141, v10
	v_fma_f32 v11, v138, v187, -v11
	v_add_f32_e32 v2, v2, v126
	v_fmac_f32_e32 v153, v139, v187
	v_add_f32_e32 v5, v5, v143
	s_waitcnt lgkmcnt(2)
	v_mul_f32_e32 v154, v169, v9
	v_mul_f32_e32 v9, v170, v9
	v_fma_f32 v10, v140, v186, -v10
	v_add_f32_e32 v2, v2, v11
	v_fmac_f32_e32 v151, v141, v186
	v_add_f32_e32 v5, v5, v153
	v_mul_f32_e32 v155, v171, v6
	v_mul_f32_e32 v6, v172, v6
	v_fma_f32 v9, v169, v185, -v9
	v_add_f32_e32 v2, v2, v10
	v_fmac_f32_e32 v154, v170, v185
	v_add_f32_e32 v5, v5, v151
	s_waitcnt lgkmcnt(1)
	v_mul_f32_e32 v129, v173, v4
	v_mul_f32_e32 v4, v174, v4
	s_waitcnt vmcnt(2)
	v_fma_f32 v6, v171, v192, -v6
	v_add_f32_e32 v2, v2, v9
	v_fmac_f32_e32 v155, v172, v192
	v_add_f32_e32 v5, v5, v154
	v_mul_f32_e32 v133, v175, v3
	v_mul_f32_e32 v3, v176, v3
	v_fma_f32 v4, v173, v191, -v4
	v_add_f32_e32 v2, v2, v6
	v_fmac_f32_e32 v129, v174, v191
	v_add_f32_e32 v5, v5, v155
	s_waitcnt lgkmcnt(0)
	v_mul_f32_e32 v6, v8, v160
	v_fma_f32 v3, v175, v190, -v3
	v_add_f32_e32 v2, v2, v4
	v_mul_f32_e32 v136, v7, v160
	v_fmac_f32_e32 v133, v176, v190
	v_add_f32_e32 v4, v5, v129
	v_fma_f32 v5, v7, v189, -v6
	v_add_f32_e32 v2, v2, v3
	v_fmac_f32_e32 v136, v8, v189
	v_add_f32_e32 v3, v4, v133
	v_add_f32_e32 v2, v2, v5
	;; [unrolled: 1-line block ×3, first 2 shown]
	s_waitcnt vmcnt(1)
	v_sub_f32_e32 v2, v193, v2
	s_waitcnt vmcnt(0)
	v_sub_f32_e32 v3, v194, v3
	buffer_store_dword v2, off, s[0:3], 0 offset:192
	buffer_store_dword v3, off, s[0:3], 0 offset:196
	v_cmpx_lt_u32_e32 23, v0
	s_cbranch_execz .LBB119_303
; %bb.302:
	s_clause 0x1
	buffer_load_dword v2, off, s[0:3], 0 offset:184
	buffer_load_dword v3, off, s[0:3], 0 offset:188
	buffer_store_dword v1, off, s[0:3], 0 offset:184
	buffer_store_dword v1, off, s[0:3], 0 offset:188
	s_waitcnt vmcnt(0)
	ds_write_b64 v125, v[2:3]
.LBB119_303:
	s_or_b32 exec_lo, exec_lo, s4
	s_waitcnt lgkmcnt(0)
	s_waitcnt_vscnt null, 0x0
	s_barrier
	buffer_gl0_inv
	s_clause 0x31
	buffer_load_dword v127, off, s[0:3], 0 offset:196
	buffer_load_dword v4, off, s[0:3], 0 offset:204
	;; [unrolled: 1-line block ×50, first 2 shown]
	ds_read_b128 v[159:162], v1 offset:640
	s_clause 0x1
	buffer_load_dword v177, off, s[0:3], 0 offset:444
	buffer_load_dword v178, off, s[0:3], 0 offset:344
	ds_read_b128 v[163:166], v1 offset:656
	s_clause 0x2
	buffer_load_dword v179, off, s[0:3], 0 offset:368
	buffer_load_dword v180, off, s[0:3], 0 offset:360
	;; [unrolled: 1-line block ×3, first 2 shown]
	ds_read_b128 v[167:170], v1 offset:672
	s_clause 0x4
	buffer_load_dword v182, off, s[0:3], 0 offset:400
	buffer_load_dword v183, off, s[0:3], 0 offset:392
	buffer_load_dword v184, off, s[0:3], 0 offset:384
	buffer_load_dword v185, off, s[0:3], 0 offset:376
	buffer_load_dword v187, off, s[0:3], 0 offset:188
	s_mov_b32 s4, exec_lo
	s_waitcnt vmcnt(59) lgkmcnt(2)
	v_mul_f32_e32 v186, v159, v127
	v_mul_f32_e32 v127, v160, v127
	s_waitcnt vmcnt(58)
	v_mul_f32_e32 v188, v161, v4
	v_mul_f32_e32 v4, v162, v4
	s_waitcnt vmcnt(55)
	v_fmac_f32_e32 v186, v160, v9
	v_fma_f32 v9, v159, v9, -v127
	v_fmac_f32_e32 v188, v162, v6
	v_fma_f32 v189, v161, v6, -v4
	ds_read_b128 v[159:162], v1 offset:688
	s_clause 0x3
	buffer_load_dword v192, off, s[0:3], 0 offset:432
	buffer_load_dword v193, off, s[0:3], 0 offset:424
	;; [unrolled: 1-line block ×4, first 2 shown]
	s_waitcnt vmcnt(57) lgkmcnt(2)
	v_mul_f32_e32 v190, v165, v7
	v_mul_f32_e32 v4, v166, v7
	s_waitcnt vmcnt(51) lgkmcnt(1)
	v_mul_f32_e32 v191, v169, v137
	buffer_load_dword v197, off, s[0:3], 0 offset:184
	v_mul_f32_e32 v127, v163, v8
	v_fmac_f32_e32 v190, v166, v138
	v_fma_f32 v138, v165, v138, -v4
	v_mul_f32_e32 v4, v170, v137
	v_fmac_f32_e32 v191, v170, v132
	buffer_load_dword v170, off, s[0:3], 0 offset:440
	v_mul_f32_e32 v8, v164, v8
	v_fmac_f32_e32 v127, v164, v3
	v_fma_f32 v7, v163, v3, -v8
	v_mul_f32_e32 v3, v168, v5
	v_mul_f32_e32 v8, v167, v5
	v_fma_f32 v137, v167, v135, -v3
	v_fma_f32 v167, v169, v132, -v4
	ds_read_b128 v[3:6], v1 offset:704
	v_fmac_f32_e32 v8, v168, v135
	s_waitcnt vmcnt(52) lgkmcnt(1)
	v_mul_f32_e32 v168, v159, v134
	v_mul_f32_e32 v132, v160, v134
	s_waitcnt vmcnt(51)
	v_mul_f32_e32 v169, v161, v133
	v_mul_f32_e32 v133, v162, v133
	v_fmac_f32_e32 v168, v160, v129
	v_fma_f32 v129, v159, v129, -v132
	s_waitcnt vmcnt(47)
	v_fmac_f32_e32 v169, v162, v155
	v_fma_f32 v155, v161, v155, -v133
	ds_read_b128 v[132:135], v1 offset:720
	ds_read_b128 v[159:162], v1 offset:752
	s_waitcnt vmcnt(46) lgkmcnt(2)
	v_mul_f32_e32 v196, v3, v154
	v_mul_f32_e32 v154, v4, v154
	v_fmac_f32_e32 v196, v4, v152
	v_fma_f32 v152, v3, v152, -v154
	v_add_f32_e32 v3, 0, v9
	v_add_f32_e32 v4, 0, v186
	s_waitcnt vmcnt(45)
	v_mul_f32_e32 v9, v5, v150
	v_mul_f32_e32 v150, v6, v150
	v_add_f32_e32 v3, v3, v189
	v_add_f32_e32 v154, v4, v188
	v_fmac_f32_e32 v9, v6, v148
	v_fma_f32 v186, v5, v148, -v150
	s_waitcnt vmcnt(44) lgkmcnt(1)
	v_mul_f32_e32 v188, v132, v144
	v_add_f32_e32 v7, v3, v7
	v_add_f32_e32 v127, v154, v127
	ds_read_b128 v[3:6], v1 offset:736
	v_fmac_f32_e32 v188, v133, v139
	v_add_f32_e32 v7, v7, v138
	v_add_f32_e32 v127, v127, v190
	v_mul_f32_e32 v138, v133, v144
	s_waitcnt vmcnt(43)
	v_mul_f32_e32 v144, v134, v142
	v_mul_f32_e32 v142, v135, v142
	v_add_f32_e32 v7, v7, v137
	v_add_f32_e32 v8, v127, v8
	v_fma_f32 v189, v132, v139, -v138
	s_waitcnt vmcnt(39)
	v_fmac_f32_e32 v144, v135, v157
	v_fma_f32 v142, v134, v157, -v142
	v_add_f32_e32 v7, v7, v167
	v_add_f32_e32 v8, v8, v191
	ds_read_b128 v[132:135], v1 offset:768
	ds_read_b128 v[163:166], v1 offset:784
	s_waitcnt vmcnt(36) lgkmcnt(3)
	v_mul_f32_e32 v139, v160, v149
	s_waitcnt vmcnt(35)
	v_mul_f32_e32 v167, v161, v136
	v_add_f32_e32 v7, v7, v129
	v_add_f32_e32 v8, v8, v168
	s_waitcnt lgkmcnt(2)
	v_mul_f32_e32 v137, v4, v153
	v_mul_f32_e32 v127, v3, v153
	;; [unrolled: 1-line block ×3, first 2 shown]
	v_add_f32_e32 v7, v7, v155
	v_add_f32_e32 v8, v8, v169
	v_fma_f32 v168, v3, v147, -v137
	v_mul_f32_e32 v157, v5, v151
	v_fmac_f32_e32 v127, v4, v147
	v_add_f32_e32 v7, v7, v152
	v_add_f32_e32 v8, v8, v196
	v_fma_f32 v190, v5, v143, -v138
	v_mul_f32_e32 v129, v159, v149
	v_fmac_f32_e32 v157, v6, v143
	v_add_f32_e32 v7, v7, v186
	v_add_f32_e32 v8, v8, v9
	v_mul_f32_e32 v136, v162, v136
	v_fma_f32 v155, v159, v131, -v139
	v_fmac_f32_e32 v129, v160, v131
	v_add_f32_e32 v7, v7, v189
	v_add_f32_e32 v8, v8, v188
	s_waitcnt vmcnt(30)
	v_fmac_f32_e32 v167, v162, v156
	v_fma_f32 v156, v161, v156, -v136
	s_waitcnt vmcnt(28) lgkmcnt(1)
	v_mul_f32_e32 v9, v134, v146
	v_add_f32_e32 v7, v7, v142
	v_add_f32_e32 v8, v8, v144
	v_mul_f32_e32 v131, v133, v145
	ds_read_b128 v[3:6], v1 offset:800
	ds_read_b128 v[147:150], v1 offset:816
	v_mul_f32_e32 v159, v132, v145
	v_add_f32_e32 v7, v7, v168
	v_add_f32_e32 v8, v8, v127
	v_mul_f32_e32 v143, v135, v146
	v_fmac_f32_e32 v9, v135, v140
	v_fma_f32 v135, v132, v141, -v131
	v_add_f32_e32 v7, v7, v190
	v_add_f32_e32 v8, v8, v157
	v_fmac_f32_e32 v159, v133, v141
	ds_read_b128 v[136:139], v1 offset:832
	ds_read_b128 v[151:154], v1 offset:848
	v_fma_f32 v145, v134, v140, -v143
	v_add_f32_e32 v7, v7, v155
	v_add_f32_e32 v8, v8, v129
	ds_read_b128 v[131:134], v1 offset:864
	ds_read_b128 v[140:143], v1 offset:880
	s_waitcnt lgkmcnt(6)
	v_mul_f32_e32 v1, v163, v128
	v_mul_f32_e32 v128, v164, v128
	v_add_f32_e32 v7, v7, v156
	v_add_f32_e32 v8, v8, v167
	s_waitcnt vmcnt(27)
	v_mul_f32_e32 v127, v165, v130
	v_mul_f32_e32 v130, v166, v130
	v_fmac_f32_e32 v1, v164, v2
	v_add_f32_e32 v7, v7, v135
	v_add_f32_e32 v8, v8, v159
	v_fma_f32 v2, v163, v2, -v128
	s_waitcnt vmcnt(26) lgkmcnt(5)
	v_mul_f32_e32 v144, v3, v126
	s_waitcnt vmcnt(14)
	v_fmac_f32_e32 v127, v166, v178
	v_add_f32_e32 v7, v7, v145
	v_add_f32_e32 v8, v8, v9
	v_mul_f32_e32 v9, v4, v126
	v_fma_f32 v126, v165, v178, -v130
	v_mul_f32_e32 v146, v5, v12
	v_add_f32_e32 v2, v7, v2
	v_add_f32_e32 v1, v8, v1
	v_mul_f32_e32 v7, v6, v12
	s_waitcnt vmcnt(11)
	v_fma_f32 v3, v3, v181, -v9
	v_fmac_f32_e32 v144, v4, v181
	v_add_f32_e32 v2, v2, v126
	v_add_f32_e32 v1, v1, v127
	s_waitcnt lgkmcnt(4)
	v_mul_f32_e32 v4, v148, v11
	v_fma_f32 v5, v5, v180, -v7
	v_mul_f32_e32 v157, v147, v11
	v_add_f32_e32 v2, v2, v3
	v_fmac_f32_e32 v146, v6, v180
	v_add_f32_e32 v1, v1, v144
	v_mul_f32_e32 v3, v150, v10
	v_fma_f32 v4, v147, v179, -v4
	v_add_f32_e32 v2, v2, v5
	v_mul_f32_e32 v155, v149, v10
	v_fmac_f32_e32 v157, v148, v179
	v_add_f32_e32 v1, v1, v146
	s_waitcnt lgkmcnt(3)
	v_mul_f32_e32 v5, v137, v171
	s_waitcnt vmcnt(7)
	v_fma_f32 v3, v149, v185, -v3
	v_add_f32_e32 v2, v2, v4
	v_mul_f32_e32 v129, v136, v171
	v_fmac_f32_e32 v155, v150, v185
	v_add_f32_e32 v1, v1, v157
	v_mul_f32_e32 v4, v139, v172
	v_fma_f32 v5, v136, v184, -v5
	v_add_f32_e32 v2, v2, v3
	v_mul_f32_e32 v160, v138, v172
	v_fmac_f32_e32 v129, v137, v184
	v_add_f32_e32 v1, v1, v155
	s_waitcnt lgkmcnt(2)
	v_mul_f32_e32 v3, v152, v173
	v_fma_f32 v4, v138, v183, -v4
	v_add_f32_e32 v2, v2, v5
	v_mul_f32_e32 v156, v151, v173
	v_fmac_f32_e32 v160, v139, v183
	v_add_f32_e32 v1, v1, v129
	v_mul_f32_e32 v5, v154, v174
	v_fma_f32 v3, v151, v182, -v3
	v_add_f32_e32 v2, v2, v4
	v_mul_f32_e32 v161, v153, v174
	v_fmac_f32_e32 v156, v152, v182
	v_add_f32_e32 v1, v1, v160
	s_waitcnt lgkmcnt(1)
	v_mul_f32_e32 v4, v132, v175
	v_add_f32_e32 v2, v2, v3
	v_mul_f32_e32 v162, v131, v175
	v_mul_f32_e32 v3, v134, v176
	v_add_f32_e32 v1, v1, v156
	v_mul_f32_e32 v135, v133, v176
	s_waitcnt lgkmcnt(0)
	v_mul_f32_e32 v159, v140, v158
	v_mul_f32_e32 v128, v142, v177
	s_waitcnt vmcnt(5)
	v_fmac_f32_e32 v159, v141, v192
	s_waitcnt vmcnt(4)
	v_fma_f32 v3, v133, v193, -v3
	s_waitcnt vmcnt(3)
	v_fma_f32 v4, v131, v194, -v4
	;; [unrolled: 2-line block ×3, first 2 shown]
	v_fmac_f32_e32 v161, v154, v195
	v_fmac_f32_e32 v162, v132, v194
	;; [unrolled: 1-line block ×3, first 2 shown]
	v_add_f32_e32 v2, v2, v5
	v_add_f32_e32 v1, v1, v161
	v_mul_f32_e32 v5, v141, v158
	v_add_f32_e32 v2, v2, v4
	v_add_f32_e32 v1, v1, v162
	v_mul_f32_e32 v4, v143, v177
	v_fma_f32 v5, v140, v192, -v5
	s_waitcnt vmcnt(0)
	v_fmac_f32_e32 v128, v143, v170
	v_add_f32_e32 v2, v2, v3
	v_add_f32_e32 v1, v1, v135
	v_fma_f32 v3, v142, v170, -v4
	v_add_f32_e32 v2, v2, v5
	v_add_f32_e32 v1, v1, v159
	;; [unrolled: 1-line block ×4, first 2 shown]
	v_sub_f32_e32 v2, v197, v2
	v_sub_f32_e32 v1, v187, v1
	buffer_store_dword v2, off, s[0:3], 0 offset:184
	buffer_store_dword v1, off, s[0:3], 0 offset:188
	v_cmpx_lt_u32_e32 22, v0
	s_cbranch_execz .LBB119_305
; %bb.304:
	s_clause 0x1
	buffer_load_dword v1, off, s[0:3], 0 offset:176
	buffer_load_dword v2, off, s[0:3], 0 offset:180
	v_mov_b32_e32 v3, 0
	buffer_store_dword v3, off, s[0:3], 0 offset:176
	buffer_store_dword v3, off, s[0:3], 0 offset:180
	s_waitcnt vmcnt(0)
	ds_write_b64 v125, v[1:2]
.LBB119_305:
	s_or_b32 exec_lo, exec_lo, s4
	s_waitcnt lgkmcnt(0)
	s_waitcnt_vscnt null, 0x0
	s_barrier
	buffer_gl0_inv
	s_clause 0x26
	buffer_load_dword v3, off, s[0:3], 0 offset:188
	buffer_load_dword v4, off, s[0:3], 0 offset:196
	;; [unrolled: 1-line block ×39, first 2 shown]
	v_mov_b32_e32 v1, 0
	s_clause 0x2
	buffer_load_dword v130, off, s[0:3], 0 offset:348
	buffer_load_dword v128, off, s[0:3], 0 offset:356
	;; [unrolled: 1-line block ×3, first 2 shown]
	s_mov_b32 s4, exec_lo
	ds_read2_b64 v[163:166], v1 offset0:79 offset1:80
	s_clause 0x1
	buffer_load_dword v11, off, s[0:3], 0 offset:372
	buffer_load_dword v10, off, s[0:3], 0 offset:380
	ds_read2_b64 v[167:170], v1 offset0:81 offset1:82
	s_clause 0xc
	buffer_load_dword v147, off, s[0:3], 0 offset:336
	buffer_load_dword v8, off, s[0:3], 0 offset:388
	;; [unrolled: 1-line block ×13, first 2 shown]
	ds_read2_b64 v[171:174], v1 offset0:83 offset1:84
	s_waitcnt vmcnt(56) lgkmcnt(2)
	v_mul_f32_e32 v184, v163, v3
	v_mul_f32_e32 v3, v164, v3
	s_waitcnt vmcnt(55)
	v_mul_f32_e32 v185, v165, v4
	v_mul_f32_e32 v4, v166, v4
	s_waitcnt vmcnt(54) lgkmcnt(1)
	v_mul_f32_e32 v186, v167, v6
	v_mul_f32_e32 v6, v168, v6
	s_waitcnt vmcnt(51)
	v_fmac_f32_e32 v184, v164, v12
	v_fma_f32 v3, v163, v12, -v3
	v_fmac_f32_e32 v185, v166, v9
	v_fma_f32 v4, v165, v9, -v4
	ds_read2_b64 v[163:166], v1 offset0:85 offset1:86
	v_fmac_f32_e32 v186, v168, v2
	v_fma_f32 v2, v167, v2, -v6
	s_clause 0x3
	buffer_load_dword v6, off, s[0:3], 0 offset:392
	buffer_load_dword v12, off, s[0:3], 0 offset:384
	;; [unrolled: 1-line block ×4, first 2 shown]
	s_waitcnt vmcnt(54)
	v_mul_f32_e32 v9, v169, v7
	v_mul_f32_e32 v7, v170, v7
	s_waitcnt vmcnt(48) lgkmcnt(1)
	v_mul_f32_e32 v189, v173, v142
	v_mul_f32_e32 v142, v174, v142
	v_add_f32_e32 v3, 0, v3
	v_fmac_f32_e32 v9, v170, v144
	v_fma_f32 v7, v169, v144, -v7
	v_mul_f32_e32 v144, v171, v143
	ds_read2_b64 v[167:170], v1 offset0:87 offset1:88
	v_mul_f32_e32 v143, v172, v143
	v_fmac_f32_e32 v189, v174, v137
	v_fma_f32 v142, v173, v137, -v142
	v_fmac_f32_e32 v144, v172, v139
	s_clause 0x3
	buffer_load_dword v172, off, s[0:3], 0 offset:424
	buffer_load_dword v173, off, s[0:3], 0 offset:416
	;; [unrolled: 1-line block ×4, first 2 shown]
	v_fma_f32 v143, v171, v139, -v143
	v_add_f32_e32 v3, v3, v4
	s_waitcnt vmcnt(51) lgkmcnt(1)
	v_mul_f32_e32 v171, v163, v138
	v_mul_f32_e32 v137, v164, v138
	s_waitcnt vmcnt(50)
	v_mul_f32_e32 v191, v165, v136
	v_mul_f32_e32 v136, v166, v136
	v_add_f32_e32 v2, v3, v2
	v_fmac_f32_e32 v171, v164, v133
	v_fma_f32 v133, v163, v133, -v137
	v_add_f32_e32 v163, 0, v184
	s_waitcnt vmcnt(46)
	v_fmac_f32_e32 v191, v166, v160
	v_fma_f32 v160, v165, v160, -v136
	ds_read2_b64 v[136:139], v1 offset0:89 offset1:90
	v_add_f32_e32 v2, v2, v7
	s_waitcnt vmcnt(45) lgkmcnt(1)
	v_mul_f32_e32 v192, v167, v159
	v_mul_f32_e32 v159, v168, v159
	v_add_f32_e32 v2, v2, v143
	v_fmac_f32_e32 v192, v168, v157
	v_fma_f32 v157, v167, v157, -v159
	v_add_f32_e32 v159, v163, v185
	s_clause 0x2
	buffer_load_dword v184, off, s[0:3], 0 offset:440
	buffer_load_dword v185, off, s[0:3], 0 offset:432
	;; [unrolled: 1-line block ×3, first 2 shown]
	v_add_f32_e32 v2, v2, v142
	ds_read2_b64 v[163:166], v1 offset0:91 offset1:92
	v_add_f32_e32 v159, v159, v186
	s_waitcnt vmcnt(47)
	v_mul_f32_e32 v186, v169, v154
	v_mul_f32_e32 v154, v170, v154
	v_add_f32_e32 v2, v2, v133
	v_add_f32_e32 v9, v159, v9
	v_fmac_f32_e32 v186, v170, v151
	v_fma_f32 v3, v169, v151, -v154
	ds_read2_b64 v[167:170], v1 offset0:93 offset1:94
	v_add_f32_e32 v2, v2, v160
	v_add_f32_e32 v7, v9, v144
	s_waitcnt vmcnt(46) lgkmcnt(2)
	v_mul_f32_e32 v9, v136, v149
	v_mul_f32_e32 v144, v137, v149
	s_waitcnt vmcnt(45)
	v_mul_f32_e32 v193, v138, v148
	v_mul_f32_e32 v143, v139, v148
	v_add_f32_e32 v7, v7, v189
	v_add_f32_e32 v2, v2, v157
	v_fmac_f32_e32 v9, v137, v145
	v_fma_f32 v194, v136, v145, -v144
	s_waitcnt vmcnt(41)
	v_fmac_f32_e32 v193, v139, v161
	v_add_f32_e32 v7, v7, v171
	v_fma_f32 v161, v138, v161, -v143
	ds_read2_b64 v[136:139], v1 offset0:95 offset1:96
	ds_read2_b64 v[142:145], v1 offset0:97 offset1:98
	v_add_f32_e32 v2, v2, v3
	s_waitcnt vmcnt(40) lgkmcnt(3)
	v_mul_f32_e32 v171, v163, v156
	v_add_f32_e32 v7, v7, v191
	v_mul_f32_e32 v148, v164, v156
	s_waitcnt vmcnt(39)
	v_mul_f32_e32 v133, v166, v155
	v_add_f32_e32 v2, v2, v194
	v_mul_f32_e32 v189, v165, v155
	v_add_f32_e32 v7, v7, v192
	s_waitcnt vmcnt(38) lgkmcnt(2)
	v_mul_f32_e32 v191, v167, v153
	v_fmac_f32_e32 v171, v164, v152
	v_fma_f32 v195, v163, v152, -v148
	v_fma_f32 v196, v165, v150, -v133
	v_add_f32_e32 v7, v7, v186
	s_waitcnt vmcnt(37)
	v_mul_f32_e32 v133, v170, v140
	v_add_f32_e32 v2, v2, v161
	v_mul_f32_e32 v156, v168, v153
	v_fmac_f32_e32 v189, v166, v150
	v_add_f32_e32 v3, v7, v9
	v_fmac_f32_e32 v191, v168, v135
	s_waitcnt vmcnt(31)
	v_fma_f32 v168, v169, v158, -v133
	s_waitcnt lgkmcnt(1)
	v_mul_f32_e32 v7, v136, v134
	s_waitcnt vmcnt(30)
	v_mul_f32_e32 v9, v138, v146
	v_add_f32_e32 v3, v3, v193
	v_mul_f32_e32 v133, v137, v134
	v_mul_f32_e32 v134, v139, v146
	v_add_f32_e32 v161, v2, v195
	v_mul_f32_e32 v160, v169, v140
	v_add_f32_e32 v146, v3, v171
	v_fma_f32 v167, v167, v135, -v156
	s_waitcnt lgkmcnt(0)
	v_mul_f32_e32 v169, v142, v129
	v_add_f32_e32 v161, v161, v196
	v_fmac_f32_e32 v160, v170, v158
	v_add_f32_e32 v146, v146, v189
	v_mul_f32_e32 v129, v143, v129
	ds_read2_b64 v[148:151], v1 offset0:99 offset1:100
	ds_read2_b64 v[152:155], v1 offset0:101 offset1:102
	v_add_f32_e32 v161, v161, v167
	v_fmac_f32_e32 v7, v137, v131
	v_add_f32_e32 v146, v146, v191
	v_fma_f32 v131, v136, v131, -v133
	v_fmac_f32_e32 v169, v143, v127
	v_fma_f32 v127, v142, v127, -v129
	v_fmac_f32_e32 v9, v139, v141
	v_add_f32_e32 v142, v146, v160
	v_add_f32_e32 v146, v161, v168
	v_fma_f32 v141, v138, v141, -v134
	s_waitcnt vmcnt(29)
	v_mul_f32_e32 v170, v144, v132
	v_mul_f32_e32 v132, v145, v132
	v_add_f32_e32 v7, v142, v7
	v_add_f32_e32 v131, v146, v131
	ds_read2_b64 v[156:159], v1 offset0:103 offset1:104
	ds_read2_b64 v[163:166], v1 offset0:105 offset1:106
	s_waitcnt vmcnt(23)
	v_fmac_f32_e32 v170, v145, v147
	v_fma_f32 v132, v144, v147, -v132
	v_add_f32_e32 v7, v7, v9
	v_add_f32_e32 v131, v131, v141
	s_waitcnt lgkmcnt(3)
	v_mul_f32_e32 v171, v148, v130
	v_mul_f32_e32 v130, v149, v130
	;; [unrolled: 1-line block ×3, first 2 shown]
	v_add_f32_e32 v7, v7, v169
	v_add_f32_e32 v127, v131, v127
	v_mul_f32_e32 v167, v150, v128
	s_waitcnt vmcnt(14)
	v_fma_f32 v130, v148, v180, -v130
	v_fmac_f32_e32 v171, v149, v180
	v_add_f32_e32 v7, v7, v170
	v_add_f32_e32 v127, v127, v132
	s_waitcnt lgkmcnt(2)
	v_mul_f32_e32 v129, v152, v126
	v_mul_f32_e32 v126, v153, v126
	s_waitcnt vmcnt(13)
	v_fma_f32 v9, v150, v181, -v9
	v_fmac_f32_e32 v167, v151, v181
	v_add_f32_e32 v127, v127, v130
	v_add_f32_e32 v7, v7, v171
	v_mul_f32_e32 v143, v154, v11
	v_mul_f32_e32 v11, v155, v11
	s_waitcnt vmcnt(12)
	v_fma_f32 v126, v152, v182, -v126
	v_add_f32_e32 v9, v127, v9
	v_fmac_f32_e32 v129, v153, v182
	v_add_f32_e32 v7, v7, v167
	s_waitcnt lgkmcnt(1)
	v_mul_f32_e32 v160, v156, v10
	v_mul_f32_e32 v10, v157, v10
	v_add_f32_e32 v9, v9, v126
	ds_read2_b64 v[133:136], v1 offset0:107 offset1:108
	ds_read2_b64 v[137:140], v1 offset0:109 offset1:110
	ds_read_b64 v[2:3], v1 offset:888
	v_add_f32_e32 v7, v7, v129
	v_mul_f32_e32 v144, v158, v8
	v_mul_f32_e32 v8, v159, v8
	s_waitcnt lgkmcnt(3)
	v_mul_f32_e32 v145, v163, v5
	v_mul_f32_e32 v5, v164, v5
	;; [unrolled: 1-line block ×3, first 2 shown]
	s_waitcnt lgkmcnt(2)
	v_mul_f32_e32 v146, v133, v175
	v_mul_f32_e32 v147, v135, v176
	s_waitcnt lgkmcnt(1)
	v_mul_f32_e32 v128, v137, v177
	v_mul_f32_e32 v141, v139, v178
	s_waitcnt lgkmcnt(0)
	v_mul_f32_e32 v131, v2, v179
	s_waitcnt vmcnt(10)
	v_fmac_f32_e32 v145, v164, v6
	s_waitcnt vmcnt(9)
	v_fma_f32 v8, v158, v12, -v8
	s_waitcnt vmcnt(8)
	v_fma_f32 v10, v156, v187, -v10
	;; [unrolled: 2-line block ×3, first 2 shown]
	v_fmac_f32_e32 v143, v155, v188
	v_fmac_f32_e32 v160, v157, v187
	;; [unrolled: 1-line block ×3, first 2 shown]
	v_fma_f32 v5, v163, v6, -v5
	v_add_f32_e32 v9, v9, v11
	v_add_f32_e32 v7, v7, v143
	;; [unrolled: 1-line block ×4, first 2 shown]
	v_mul_f32_e32 v10, v166, v162
	s_waitcnt vmcnt(4)
	v_fmac_f32_e32 v146, v134, v174
	s_waitcnt vmcnt(3)
	v_fmac_f32_e32 v142, v166, v190
	v_add_f32_e32 v6, v9, v8
	v_add_f32_e32 v7, v7, v144
	v_mul_f32_e32 v8, v134, v175
	v_fma_f32 v9, v165, v190, -v10
	v_fmac_f32_e32 v147, v136, v173
	v_add_f32_e32 v5, v6, v5
	v_add_f32_e32 v6, v7, v145
	v_mul_f32_e32 v7, v136, v176
	v_fma_f32 v8, v133, v174, -v8
	;; [unrolled: 5-line block ×3, first 2 shown]
	v_add_f32_e32 v5, v5, v8
	v_add_f32_e32 v6, v6, v146
	v_mul_f32_e32 v8, v140, v178
	v_fma_f32 v9, v137, v172, -v9
	v_add_f32_e32 v5, v5, v7
	v_add_f32_e32 v6, v6, v147
	v_mul_f32_e32 v7, v3, v179
	s_waitcnt vmcnt(1)
	v_fma_f32 v8, v139, v185, -v8
	v_fmac_f32_e32 v141, v140, v185
	v_add_f32_e32 v5, v5, v9
	v_add_f32_e32 v6, v6, v128
	v_fmac_f32_e32 v131, v3, v184
	v_fma_f32 v2, v2, v184, -v7
	v_add_f32_e32 v3, v5, v8
	v_add_f32_e32 v5, v6, v141
	;; [unrolled: 1-line block ×4, first 2 shown]
	s_waitcnt vmcnt(0)
	v_sub_f32_e32 v2, v4, v2
	v_sub_f32_e32 v3, v183, v3
	buffer_store_dword v2, off, s[0:3], 0 offset:176
	buffer_store_dword v3, off, s[0:3], 0 offset:180
	v_cmpx_lt_u32_e32 21, v0
	s_cbranch_execz .LBB119_307
; %bb.306:
	s_clause 0x1
	buffer_load_dword v2, off, s[0:3], 0 offset:168
	buffer_load_dword v3, off, s[0:3], 0 offset:172
	buffer_store_dword v1, off, s[0:3], 0 offset:168
	buffer_store_dword v1, off, s[0:3], 0 offset:172
	s_waitcnt vmcnt(0)
	ds_write_b64 v125, v[2:3]
.LBB119_307:
	s_or_b32 exec_lo, exec_lo, s4
	s_waitcnt lgkmcnt(0)
	s_waitcnt_vscnt null, 0x0
	s_barrier
	buffer_gl0_inv
	s_clause 0x25
	buffer_load_dword v149, off, s[0:3], 0 offset:180
	buffer_load_dword v5, off, s[0:3], 0 offset:188
	;; [unrolled: 1-line block ×38, first 2 shown]
	ds_read_b128 v[150:153], v1 offset:624
	buffer_load_dword v173, off, s[0:3], 0 offset:332
	ds_read_b128 v[154:157], v1 offset:640
	ds_read_b128 v[158:161], v1 offset:656
	ds_read_b128 v[162:165], v1 offset:672
	ds_read_b128 v[166:169], v1 offset:688
	s_clause 0x9
	buffer_load_dword v174, off, s[0:3], 0 offset:328
	buffer_load_dword v175, off, s[0:3], 0 offset:336
	buffer_load_dword v176, off, s[0:3], 0 offset:340
	buffer_load_dword v177, off, s[0:3], 0 offset:348
	buffer_load_dword v178, off, s[0:3], 0 offset:356
	buffer_load_dword v179, off, s[0:3], 0 offset:364
	buffer_load_dword v180, off, s[0:3], 0 offset:372
	buffer_load_dword v181, off, s[0:3], 0 offset:380
	buffer_load_dword v182, off, s[0:3], 0 offset:388
	buffer_load_dword v184, off, s[0:3], 0 offset:172
	s_mov_b32 s4, exec_lo
	s_waitcnt vmcnt(48) lgkmcnt(4)
	v_mul_f32_e32 v183, v150, v149
	v_mul_f32_e32 v149, v151, v149
	s_waitcnt vmcnt(47)
	v_mul_f32_e32 v185, v152, v5
	v_mul_f32_e32 v5, v153, v5
	s_waitcnt vmcnt(44)
	v_fmac_f32_e32 v183, v151, v8
	s_waitcnt vmcnt(42) lgkmcnt(3)
	v_mul_f32_e32 v189, v156, v3
	v_mul_f32_e32 v3, v157, v3
	v_fma_f32 v8, v150, v8, -v149
	v_fmac_f32_e32 v185, v153, v6
	v_fma_f32 v6, v152, v6, -v5
	v_mul_f32_e32 v149, v154, v7
	v_mul_f32_e32 v5, v155, v7
	s_clause 0x6
	buffer_load_dword v150, off, s[0:3], 0 offset:396
	buffer_load_dword v151, off, s[0:3], 0 offset:404
	;; [unrolled: 1-line block ×7, first 2 shown]
	s_waitcnt vmcnt(44)
	v_fmac_f32_e32 v189, v157, v130
	v_fma_f32 v130, v156, v130, -v3
	s_clause 0x1
	buffer_load_dword v156, off, s[0:3], 0 offset:344
	buffer_load_dword v157, off, s[0:3], 0 offset:352
	v_fmac_f32_e32 v149, v155, v2
	v_fma_f32 v7, v154, v2, -v5
	s_waitcnt lgkmcnt(2)
	v_mul_f32_e32 v154, v158, v4
	v_mul_f32_e32 v2, v159, v4
	s_waitcnt vmcnt(45)
	v_mul_f32_e32 v155, v160, v129
	v_mul_f32_e32 v3, v161, v129
	s_waitcnt vmcnt(44) lgkmcnt(1)
	v_mul_f32_e32 v129, v162, v12
	v_fmac_f32_e32 v154, v159, v127
	v_fma_f32 v127, v158, v127, -v2
	v_fmac_f32_e32 v155, v161, v126
	v_fma_f32 v126, v160, v126, -v3
	s_clause 0x3
	buffer_load_dword v158, off, s[0:3], 0 offset:384
	buffer_load_dword v159, off, s[0:3], 0 offset:376
	;; [unrolled: 1-line block ×4, first 2 shown]
	v_mul_f32_e32 v2, v163, v12
	s_waitcnt vmcnt(47)
	v_mul_f32_e32 v12, v164, v11
	v_mul_f32_e32 v3, v165, v11
	v_fmac_f32_e32 v129, v163, v9
	s_waitcnt vmcnt(41) lgkmcnt(0)
	v_mul_f32_e32 v163, v168, v140
	v_fma_f32 v11, v162, v9, -v2
	v_mul_f32_e32 v162, v166, v141
	v_mul_f32_e32 v9, v167, v141
	;; [unrolled: 1-line block ×3, first 2 shown]
	v_fmac_f32_e32 v12, v165, v142
	v_fma_f32 v142, v164, v142, -v3
	ds_read_b128 v[2:5], v1 offset:704
	v_fmac_f32_e32 v162, v167, v139
	v_fma_f32 v164, v166, v139, -v9
	v_fmac_f32_e32 v163, v169, v138
	v_fma_f32 v165, v168, v138, -v140
	s_clause 0x7
	buffer_load_dword v166, off, s[0:3], 0 offset:416
	buffer_load_dword v167, off, s[0:3], 0 offset:408
	;; [unrolled: 1-line block ×8, first 2 shown]
	v_add_f32_e32 v8, 0, v8
	v_add_f32_e32 v9, 0, v183
	ds_read_b128 v[138:141], v1 offset:752
	v_add_f32_e32 v6, v8, v6
	v_add_f32_e32 v9, v9, v185
	s_waitcnt vmcnt(48) lgkmcnt(1)
	v_mul_f32_e32 v183, v2, v135
	v_mul_f32_e32 v8, v3, v135
	s_waitcnt vmcnt(47)
	v_mul_f32_e32 v185, v4, v134
	v_fmac_f32_e32 v183, v3, v132
	v_fma_f32 v135, v2, v132, -v8
	v_add_f32_e32 v2, v6, v7
	v_add_f32_e32 v3, v9, v149
	ds_read_b128 v[6:9], v1 offset:720
	s_waitcnt vmcnt(43)
	v_fmac_f32_e32 v185, v5, v148
	v_add_f32_e32 v130, v2, v130
	v_mul_f32_e32 v2, v5, v134
	v_add_f32_e32 v132, v3, v189
	v_add_f32_e32 v127, v130, v127
	v_fma_f32 v194, v4, v148, -v2
	ds_read_b128 v[2:5], v1 offset:736
	v_add_f32_e32 v130, v132, v154
	v_add_f32_e32 v126, v127, v126
	;; [unrolled: 1-line block ×4, first 2 shown]
	s_waitcnt vmcnt(42) lgkmcnt(1)
	v_mul_f32_e32 v132, v7, v147
	v_mul_f32_e32 v127, v6, v147
	v_fma_f32 v126, v6, v146, -v132
	v_add_f32_e32 v6, v130, v129
	v_fmac_f32_e32 v127, v7, v146
	v_add_f32_e32 v7, v11, v142
	s_waitcnt vmcnt(41)
	v_mul_f32_e32 v11, v8, v145
	s_waitcnt vmcnt(40) lgkmcnt(0)
	v_mul_f32_e32 v130, v3, v144
	v_add_f32_e32 v6, v6, v12
	v_mul_f32_e32 v129, v9, v145
	v_add_f32_e32 v7, v7, v164
	v_mul_f32_e32 v12, v2, v144
	ds_read_b128 v[146:149], v1 offset:768
	v_add_f32_e32 v6, v6, v162
	v_fma_f32 v162, v2, v131, -v130
	v_add_f32_e32 v2, v7, v165
	v_fmac_f32_e32 v11, v9, v133
	v_fma_f32 v142, v8, v133, -v129
	v_fmac_f32_e32 v12, v3, v131
	v_add_f32_e32 v3, v6, v163
	s_waitcnt vmcnt(38)
	v_mul_f32_e32 v133, v139, v137
	v_mul_f32_e32 v155, v138, v137
	v_add_f32_e32 v137, v2, v135
	v_mul_f32_e32 v134, v5, v143
	v_mul_f32_e32 v154, v4, v143
	s_waitcnt vmcnt(37)
	v_fma_f32 v164, v138, v136, -v133
	v_add_f32_e32 v138, v3, v183
	v_add_f32_e32 v137, v137, v194
	s_waitcnt vmcnt(32)
	v_fma_f32 v163, v4, v172, -v134
	ds_read_b128 v[6:9], v1 offset:784
	ds_read_b128 v[129:132], v1 offset:800
	v_fmac_f32_e32 v154, v5, v172
	v_add_f32_e32 v138, v138, v185
	v_add_f32_e32 v126, v137, v126
	v_mul_f32_e32 v165, v140, v128
	v_mul_f32_e32 v128, v141, v128
	v_fmac_f32_e32 v155, v139, v136
	v_add_f32_e32 v127, v138, v127
	v_add_f32_e32 v126, v126, v142
	s_waitcnt lgkmcnt(2)
	v_mul_f32_e32 v137, v147, v171
	v_fmac_f32_e32 v165, v141, v10
	v_fma_f32 v10, v140, v10, -v128
	v_add_f32_e32 v11, v127, v11
	v_add_f32_e32 v126, v126, v162
	v_mul_f32_e32 v172, v146, v171
	s_waitcnt vmcnt(31)
	v_mul_f32_e32 v183, v148, v173
	v_mul_f32_e32 v145, v149, v173
	v_add_f32_e32 v11, v11, v12
	v_add_f32_e32 v126, v126, v163
	v_fma_f32 v128, v146, v170, -v137
	v_fmac_f32_e32 v172, v147, v170
	s_waitcnt vmcnt(30)
	v_fmac_f32_e32 v183, v149, v174
	v_add_f32_e32 v11, v11, v154
	v_add_f32_e32 v126, v126, v164
	v_fma_f32 v149, v148, v174, -v145
	s_waitcnt vmcnt(28) lgkmcnt(1)
	v_mul_f32_e32 v127, v7, v176
	ds_read_b128 v[2:5], v1 offset:816
	ds_read_b128 v[133:136], v1 offset:832
	v_add_f32_e32 v11, v11, v155
	v_add_f32_e32 v10, v126, v10
	ds_read_b128 v[137:140], v1 offset:848
	ds_read_b128 v[141:144], v1 offset:864
	;; [unrolled: 1-line block ×3, first 2 shown]
	v_mul_f32_e32 v1, v6, v176
	v_add_f32_e32 v11, v11, v165
	v_add_f32_e32 v10, v10, v128
	s_waitcnt vmcnt(27)
	v_mul_f32_e32 v162, v9, v177
	v_fma_f32 v6, v6, v175, -v127
	v_mul_f32_e32 v12, v8, v177
	v_add_f32_e32 v11, v11, v172
	v_add_f32_e32 v10, v10, v149
	v_fmac_f32_e32 v1, v7, v175
	s_waitcnt vmcnt(26) lgkmcnt(5)
	v_mul_f32_e32 v127, v130, v178
	v_mul_f32_e32 v163, v129, v178
	v_add_f32_e32 v11, v11, v183
	v_add_f32_e32 v6, v10, v6
	s_waitcnt vmcnt(25)
	v_mul_f32_e32 v154, v131, v179
	s_waitcnt vmcnt(24) lgkmcnt(4)
	v_mul_f32_e32 v170, v2, v180
	s_waitcnt vmcnt(23)
	v_mul_f32_e32 v164, v4, v181
	v_add_f32_e32 v1, v11, v1
	s_waitcnt vmcnt(22) lgkmcnt(3)
	v_mul_f32_e32 v155, v133, v182
	s_waitcnt vmcnt(20)
	v_mul_f32_e32 v171, v135, v150
	s_waitcnt vmcnt(19) lgkmcnt(2)
	v_mul_f32_e32 v126, v137, v151
	s_waitcnt vmcnt(18)
	v_mul_f32_e32 v165, v139, v186
	;; [unrolled: 4-line block ×3, first 2 shown]
	s_waitcnt vmcnt(15) lgkmcnt(0)
	v_mul_f32_e32 v172, v145, v153
	s_waitcnt vmcnt(13)
	v_fma_f32 v8, v8, v156, -v162
	v_fmac_f32_e32 v12, v9, v156
	v_mul_f32_e32 v9, v132, v179
	s_waitcnt vmcnt(12)
	v_fma_f32 v10, v129, v157, -v127
	v_fmac_f32_e32 v163, v130, v157
	v_add_f32_e32 v6, v6, v8
	v_add_f32_e32 v1, v1, v12
	v_mul_f32_e32 v8, v3, v180
	v_mul_f32_e32 v7, v147, v188
	v_add_f32_e32 v6, v6, v10
	v_add_f32_e32 v1, v1, v163
	v_mul_f32_e32 v10, v5, v181
	s_waitcnt vmcnt(8)
	v_fma_f32 v9, v131, v161, -v9
	v_fmac_f32_e32 v154, v132, v161
	v_fmac_f32_e32 v170, v3, v160
	v_fma_f32 v2, v2, v160, -v8
	v_fma_f32 v4, v4, v159, -v10
	v_add_f32_e32 v3, v6, v9
	v_add_f32_e32 v1, v1, v154
	v_mul_f32_e32 v6, v134, v182
	v_fmac_f32_e32 v164, v5, v159
	v_fmac_f32_e32 v155, v134, v158
	v_add_f32_e32 v2, v3, v2
	v_add_f32_e32 v1, v1, v170
	v_mul_f32_e32 v3, v136, v150
	v_fma_f32 v5, v133, v158, -v6
	s_waitcnt vmcnt(4)
	v_fmac_f32_e32 v171, v136, v169
	v_add_f32_e32 v2, v2, v4
	v_add_f32_e32 v1, v1, v164
	v_mul_f32_e32 v4, v138, v151
	v_fma_f32 v3, v135, v169, -v3
	v_fmac_f32_e32 v126, v138, v168
	v_add_f32_e32 v2, v2, v5
	v_add_f32_e32 v1, v1, v155
	v_mul_f32_e32 v5, v140, v186
	v_fma_f32 v4, v137, v168, -v4
	;; [unrolled: 5-line block ×4, first 2 shown]
	s_waitcnt vmcnt(1)
	v_fmac_f32_e32 v128, v144, v192
	v_add_f32_e32 v2, v2, v5
	v_add_f32_e32 v1, v1, v165
	v_mul_f32_e32 v5, v146, v153
	v_fma_f32 v4, v143, v192, -v4
	v_fmac_f32_e32 v172, v146, v191
	v_add_f32_e32 v2, v2, v3
	v_add_f32_e32 v1, v1, v173
	v_mul_f32_e32 v3, v148, v188
	v_fma_f32 v5, v145, v191, -v5
	v_fmac_f32_e32 v7, v148, v190
	v_add_f32_e32 v2, v2, v4
	v_add_f32_e32 v1, v1, v128
	v_fma_f32 v3, v147, v190, -v3
	v_add_f32_e32 v2, v2, v5
	v_add_f32_e32 v1, v1, v172
	;; [unrolled: 1-line block ×4, first 2 shown]
	s_waitcnt vmcnt(0)
	v_sub_f32_e32 v2, v193, v2
	v_sub_f32_e32 v1, v184, v1
	buffer_store_dword v2, off, s[0:3], 0 offset:168
	buffer_store_dword v1, off, s[0:3], 0 offset:172
	v_cmpx_lt_u32_e32 20, v0
	s_cbranch_execz .LBB119_309
; %bb.308:
	s_clause 0x1
	buffer_load_dword v1, off, s[0:3], 0 offset:160
	buffer_load_dword v2, off, s[0:3], 0 offset:164
	v_mov_b32_e32 v3, 0
	buffer_store_dword v3, off, s[0:3], 0 offset:160
	buffer_store_dword v3, off, s[0:3], 0 offset:164
	s_waitcnt vmcnt(0)
	ds_write_b64 v125, v[1:2]
.LBB119_309:
	s_or_b32 exec_lo, exec_lo, s4
	s_waitcnt lgkmcnt(0)
	s_waitcnt_vscnt null, 0x0
	s_barrier
	buffer_gl0_inv
	s_clause 0x23
	buffer_load_dword v2, off, s[0:3], 0 offset:172
	buffer_load_dword v3, off, s[0:3], 0 offset:180
	;; [unrolled: 1-line block ×36, first 2 shown]
	v_mov_b32_e32 v1, 0
	s_clause 0x1
	buffer_load_dword v167, off, s[0:3], 0 offset:308
	buffer_load_dword v168, off, s[0:3], 0 offset:316
	s_mov_b32 s4, exec_lo
	ds_read2_b64 v[4:7], v1 offset0:77 offset1:78
	s_clause 0x7
	buffer_load_dword v169, off, s[0:3], 0 offset:324
	buffer_load_dword v170, off, s[0:3], 0 offset:332
	;; [unrolled: 1-line block ×8, first 2 shown]
	ds_read2_b64 v[8:11], v1 offset0:79 offset1:80
	s_clause 0x3
	buffer_load_dword v177, off, s[0:3], 0 offset:356
	buffer_load_dword v178, off, s[0:3], 0 offset:364
	;; [unrolled: 1-line block ×4, first 2 shown]
	ds_read2_b64 v[126:129], v1 offset0:81 offset1:82
	s_clause 0x4
	buffer_load_dword v181, off, s[0:3], 0 offset:388
	buffer_load_dword v182, off, s[0:3], 0 offset:396
	;; [unrolled: 1-line block ×5, first 2 shown]
	ds_read2_b64 v[130:133], v1 offset0:83 offset1:84
	s_waitcnt vmcnt(54) lgkmcnt(3)
	v_mul_f32_e32 v186, v5, v2
	v_mul_f32_e32 v187, v4, v2
	s_waitcnt vmcnt(53)
	v_mul_f32_e32 v188, v6, v3
	v_mul_f32_e32 v2, v7, v3
	s_waitcnt vmcnt(50)
	v_fma_f32 v186, v4, v135, -v186
	v_fmac_f32_e32 v187, v5, v135
	v_fmac_f32_e32 v188, v7, v134
	v_fma_f32 v134, v6, v134, -v2
	ds_read2_b64 v[2:5], v1 offset0:85 offset1:86
	s_waitcnt vmcnt(49) lgkmcnt(3)
	v_mul_f32_e32 v135, v8, v136
	v_mul_f32_e32 v6, v9, v136
	s_clause 0x7
	buffer_load_dword v190, off, s[0:3], 0 offset:420
	buffer_load_dword v191, off, s[0:3], 0 offset:428
	;; [unrolled: 1-line block ×8, first 2 shown]
	s_waitcnt vmcnt(56)
	v_mul_f32_e32 v136, v10, v137
	v_mul_f32_e32 v7, v11, v137
	s_waitcnt vmcnt(55) lgkmcnt(2)
	v_mul_f32_e32 v137, v126, v138
	v_mul_f32_e32 v138, v127, v138
	v_fmac_f32_e32 v135, v9, v12
	v_fma_f32 v12, v8, v12, -v6
	s_waitcnt vmcnt(54)
	v_mul_f32_e32 v6, v129, v139
	v_mul_f32_e32 v189, v128, v139
	s_waitcnt vmcnt(50)
	v_fmac_f32_e32 v136, v11, v143
	v_fma_f32 v11, v126, v142, -v138
	s_waitcnt vmcnt(49) lgkmcnt(1)
	v_mul_f32_e32 v138, v130, v144
	v_fma_f32 v126, v128, v141, -v6
	v_mul_f32_e32 v6, v131, v144
	v_fma_f32 v10, v10, v143, -v7
	v_fmac_f32_e32 v137, v127, v142
	v_fmac_f32_e32 v189, v129, v141
	s_waitcnt vmcnt(48)
	v_mul_f32_e32 v139, v132, v145
	v_mul_f32_e32 v7, v133, v145
	v_fmac_f32_e32 v138, v131, v140
	v_fma_f32 v130, v130, v140, -v6
	s_waitcnt vmcnt(43) lgkmcnt(0)
	v_mul_f32_e32 v140, v2, v150
	v_mul_f32_e32 v127, v3, v150
	s_waitcnt vmcnt(42)
	v_mul_f32_e32 v141, v4, v151
	v_mul_f32_e32 v128, v5, v151
	v_fmac_f32_e32 v139, v133, v149
	v_fma_f32 v131, v132, v149, -v7
	ds_read2_b64 v[6:9], v1 offset0:87 offset1:88
	v_fmac_f32_e32 v140, v3, v148
	v_fma_f32 v142, v2, v148, -v127
	v_fmac_f32_e32 v141, v5, v147
	v_fma_f32 v143, v4, v147, -v128
	s_clause 0x3
	buffer_load_dword v147, off, s[0:3], 0 offset:408
	buffer_load_dword v148, off, s[0:3], 0 offset:400
	;; [unrolled: 1-line block ×4, first 2 shown]
	v_add_f32_e32 v2, 0, v186
	s_clause 0x3
	buffer_load_dword v151, off, s[0:3], 0 offset:440
	buffer_load_dword v186, off, s[0:3], 0 offset:432
	;; [unrolled: 1-line block ×4, first 2 shown]
	v_add_f32_e32 v3, 0, v187
	buffer_load_dword v187, off, s[0:3], 0 offset:160
	v_add_f32_e32 v2, v2, v134
	v_add_f32_e32 v3, v3, v188
	;; [unrolled: 1-line block ×4, first 2 shown]
	s_waitcnt vmcnt(50) lgkmcnt(0)
	v_mul_f32_e32 v12, v6, v152
	v_mul_f32_e32 v4, v7, v152
	v_fmac_f32_e32 v12, v7, v146
	v_fma_f32 v134, v6, v146, -v4
	v_add_f32_e32 v6, v2, v10
	v_add_f32_e32 v7, v3, v136
	ds_read2_b64 v[2:5], v1 offset0:89 offset1:90
	v_add_f32_e32 v10, v6, v11
	s_waitcnt vmcnt(49)
	v_mul_f32_e32 v11, v8, v153
	v_mul_f32_e32 v6, v9, v153
	v_add_f32_e32 v127, v7, v137
	v_add_f32_e32 v10, v10, v126
	s_waitcnt vmcnt(45)
	v_fmac_f32_e32 v11, v9, v157
	v_fma_f32 v144, v8, v157, -v6
	ds_read2_b64 v[6:9], v1 offset0:91 offset1:92
	v_add_f32_e32 v132, v127, v189
	ds_read2_b64 v[126:129], v1 offset0:93 offset1:94
	v_add_f32_e32 v10, v10, v130
	v_add_f32_e32 v132, v132, v138
	;; [unrolled: 1-line block ×3, first 2 shown]
	s_waitcnt vmcnt(44) lgkmcnt(2)
	v_mul_f32_e32 v130, v3, v158
	v_mul_f32_e32 v145, v2, v158
	s_waitcnt vmcnt(43)
	v_mul_f32_e32 v135, v5, v159
	v_fma_f32 v146, v2, v156, -v130
	v_add_f32_e32 v2, v132, v139
	v_fmac_f32_e32 v145, v3, v156
	v_add_f32_e32 v3, v10, v142
	ds_read2_b64 v[130:133], v1 offset0:95 offset1:96
	v_mul_f32_e32 v10, v4, v159
	v_add_f32_e32 v2, v2, v140
	s_waitcnt vmcnt(42) lgkmcnt(2)
	v_mul_f32_e32 v136, v7, v160
	v_add_f32_e32 v3, v3, v143
	v_mul_f32_e32 v152, v6, v160
	s_waitcnt vmcnt(40) lgkmcnt(1)
	v_mul_f32_e32 v156, v126, v162
	v_add_f32_e32 v2, v2, v141
	v_fma_f32 v143, v6, v154, -v136
	v_add_f32_e32 v6, v3, v134
	v_fmac_f32_e32 v152, v7, v154
	s_waitcnt vmcnt(37)
	v_fmac_f32_e32 v156, v127, v165
	v_add_f32_e32 v7, v2, v12
	v_mul_f32_e32 v12, v127, v162
	v_add_f32_e32 v127, v6, v144
	v_fma_f32 v142, v4, v155, -v135
	v_fmac_f32_e32 v10, v5, v155
	v_add_f32_e32 v11, v7, v11
	v_fma_f32 v12, v126, v165, -v12
	v_add_f32_e32 v126, v127, v146
	v_mul_f32_e32 v138, v9, v161
	v_mul_f32_e32 v153, v8, v161
	v_add_f32_e32 v11, v11, v145
	ds_read2_b64 v[2:5], v1 offset0:97 offset1:98
	ds_read2_b64 v[134:137], v1 offset0:99 offset1:100
	v_add_f32_e32 v126, v126, v142
	s_waitcnt vmcnt(36)
	v_fma_f32 v154, v8, v166, -v138
	v_fmac_f32_e32 v153, v9, v166
	v_add_f32_e32 v10, v11, v10
	s_waitcnt vmcnt(35)
	v_mul_f32_e32 v127, v129, v167
	v_add_f32_e32 v161, v126, v143
	v_mul_f32_e32 v146, v128, v167
	s_waitcnt vmcnt(34) lgkmcnt(2)
	v_mul_f32_e32 v142, v131, v168
	v_add_f32_e32 v152, v10, v152
	v_fma_f32 v159, v128, v164, -v127
	v_add_f32_e32 v154, v161, v154
	v_mul_f32_e32 v155, v130, v168
	v_fmac_f32_e32 v146, v129, v164
	v_add_f32_e32 v152, v152, v153
	s_waitcnt vmcnt(33)
	v_mul_f32_e32 v158, v133, v169
	v_add_f32_e32 v12, v154, v12
	v_fma_f32 v160, v130, v163, -v142
	v_mul_f32_e32 v157, v132, v169
	v_add_f32_e32 v152, v152, v156
	v_fmac_f32_e32 v155, v131, v163
	v_add_f32_e32 v12, v12, v159
	s_waitcnt vmcnt(26)
	v_fma_f32 v158, v132, v176, -v158
	s_waitcnt lgkmcnt(1)
	v_mul_f32_e32 v162, v3, v170
	v_add_f32_e32 v146, v152, v146
	ds_read2_b64 v[6:9], v1 offset0:101 offset1:102
	ds_read2_b64 v[138:141], v1 offset0:103 offset1:104
	v_add_f32_e32 v12, v12, v160
	v_fmac_f32_e32 v157, v133, v176
	v_mul_f32_e32 v161, v2, v170
	v_add_f32_e32 v146, v146, v155
	v_mul_f32_e32 v163, v5, v171
	v_fma_f32 v2, v2, v175, -v162
	v_add_f32_e32 v12, v12, v158
	v_mul_f32_e32 v153, v4, v171
	v_fmac_f32_e32 v161, v3, v175
	v_add_f32_e32 v146, v146, v157
	s_waitcnt lgkmcnt(2)
	v_mul_f32_e32 v162, v135, v172
	v_fma_f32 v4, v4, v174, -v163
	v_add_f32_e32 v2, v12, v2
	v_mul_f32_e32 v154, v134, v172
	v_fmac_f32_e32 v153, v5, v174
	v_add_f32_e32 v12, v146, v161
	s_waitcnt vmcnt(25)
	v_mul_f32_e32 v157, v137, v177
	v_fma_f32 v134, v134, v173, -v162
	v_add_f32_e32 v2, v2, v4
	v_mul_f32_e32 v156, v136, v177
	v_fmac_f32_e32 v154, v135, v173
	v_add_f32_e32 v4, v12, v153
	s_waitcnt vmcnt(24) lgkmcnt(1)
	v_mul_f32_e32 v12, v7, v178
	v_add_f32_e32 v2, v2, v134
	ds_read2_b64 v[126:129], v1 offset0:105 offset1:106
	ds_read2_b64 v[142:145], v1 offset0:107 offset1:108
	v_mul_f32_e32 v3, v6, v178
	v_add_f32_e32 v4, v4, v154
	s_waitcnt vmcnt(23)
	v_mul_f32_e32 v134, v9, v179
	v_mul_f32_e32 v159, v8, v179
	s_waitcnt vmcnt(22) lgkmcnt(2)
	v_mul_f32_e32 v152, v138, v180
	s_waitcnt vmcnt(21)
	v_mul_f32_e32 v5, v140, v181
	ds_read2_b64 v[130:133], v1 offset0:109 offset1:110
	ds_read_b64 v[10:11], v1 offset:888
	s_waitcnt vmcnt(20) lgkmcnt(3)
	v_mul_f32_e32 v163, v126, v182
	s_waitcnt vmcnt(19)
	v_mul_f32_e32 v155, v128, v183
	s_waitcnt vmcnt(18) lgkmcnt(2)
	v_mul_f32_e32 v160, v142, v184
	s_waitcnt vmcnt(16)
	v_mul_f32_e32 v164, v144, v190
	s_waitcnt vmcnt(12)
	v_fmac_f32_e32 v152, v139, v194
	s_waitcnt vmcnt(11)
	v_fma_f32 v8, v8, v195, -v134
	s_waitcnt vmcnt(10)
	v_fma_f32 v6, v6, v196, -v12
	;; [unrolled: 2-line block ×3, first 2 shown]
	v_fmac_f32_e32 v156, v137, v197
	v_fmac_f32_e32 v3, v7, v196
	v_mul_f32_e32 v7, v139, v180
	v_fmac_f32_e32 v159, v9, v195
	v_add_f32_e32 v2, v2, v135
	v_add_f32_e32 v4, v4, v156
	s_waitcnt lgkmcnt(1)
	v_mul_f32_e32 v158, v130, v191
	v_mul_f32_e32 v165, v132, v192
	s_waitcnt lgkmcnt(0)
	v_mul_f32_e32 v146, v10, v193
	v_add_f32_e32 v2, v2, v6
	v_add_f32_e32 v3, v4, v3
	v_mul_f32_e32 v4, v141, v181
	v_fma_f32 v6, v138, v194, -v7
	v_mul_f32_e32 v7, v127, v182
	v_add_f32_e32 v2, v2, v8
	v_add_f32_e32 v3, v3, v159
	;; [unrolled: 1-line block ×4, first 2 shown]
	v_mul_f32_e32 v6, v129, v183
	s_waitcnt vmcnt(8)
	v_fmac_f32_e32 v160, v143, v147
	s_waitcnt vmcnt(7)
	v_fmac_f32_e32 v155, v129, v148
	s_waitcnt vmcnt(6)
	v_fma_f32 v7, v126, v149, -v7
	s_waitcnt vmcnt(5)
	v_fma_f32 v4, v140, v150, -v4
	v_fmac_f32_e32 v5, v141, v150
	v_fmac_f32_e32 v163, v127, v149
	s_waitcnt vmcnt(1)
	v_fmac_f32_e32 v164, v145, v199
	v_fmac_f32_e32 v158, v131, v198
	v_add_f32_e32 v2, v2, v4
	v_add_f32_e32 v3, v3, v5
	v_mul_f32_e32 v4, v143, v184
	v_fma_f32 v5, v128, v148, -v6
	v_mul_f32_e32 v6, v145, v190
	v_add_f32_e32 v2, v2, v7
	v_add_f32_e32 v3, v3, v163
	v_fma_f32 v4, v142, v147, -v4
	v_fmac_f32_e32 v165, v133, v186
	v_fma_f32 v6, v144, v199, -v6
	v_add_f32_e32 v2, v2, v5
	v_add_f32_e32 v3, v3, v155
	v_mul_f32_e32 v5, v131, v191
	v_fmac_f32_e32 v146, v11, v151
	v_add_f32_e32 v2, v2, v4
	v_add_f32_e32 v3, v3, v160
	v_mul_f32_e32 v4, v133, v192
	v_fma_f32 v5, v130, v198, -v5
	v_add_f32_e32 v2, v2, v6
	v_add_f32_e32 v3, v3, v164
	v_mul_f32_e32 v6, v11, v193
	v_fma_f32 v4, v132, v186, -v4
	v_add_f32_e32 v2, v2, v5
	v_add_f32_e32 v3, v3, v158
	v_fma_f32 v5, v10, v151, -v6
	v_add_f32_e32 v2, v2, v4
	v_add_f32_e32 v3, v3, v165
	;; [unrolled: 1-line block ×4, first 2 shown]
	s_waitcnt vmcnt(0)
	v_sub_f32_e32 v2, v187, v2
	v_sub_f32_e32 v3, v185, v3
	buffer_store_dword v2, off, s[0:3], 0 offset:160
	buffer_store_dword v3, off, s[0:3], 0 offset:164
	v_cmpx_lt_u32_e32 19, v0
	s_cbranch_execz .LBB119_311
; %bb.310:
	s_clause 0x1
	buffer_load_dword v2, off, s[0:3], 0 offset:152
	buffer_load_dword v3, off, s[0:3], 0 offset:156
	buffer_store_dword v1, off, s[0:3], 0 offset:152
	buffer_store_dword v1, off, s[0:3], 0 offset:156
	s_waitcnt vmcnt(0)
	ds_write_b64 v125, v[2:3]
.LBB119_311:
	s_or_b32 exec_lo, exec_lo, s4
	s_waitcnt lgkmcnt(0)
	s_waitcnt_vscnt null, 0x0
	s_barrier
	buffer_gl0_inv
	s_clause 0x23
	buffer_load_dword v134, off, s[0:3], 0 offset:164
	buffer_load_dword v135, off, s[0:3], 0 offset:172
	;; [unrolled: 1-line block ×36, first 2 shown]
	ds_read_b128 v[5:8], v1 offset:608
	s_clause 0x2
	buffer_load_dword v170, off, s[0:3], 0 offset:300
	buffer_load_dword v171, off, s[0:3], 0 offset:308
	;; [unrolled: 1-line block ×3, first 2 shown]
	ds_read_b128 v[9:12], v1 offset:624
	s_clause 0x3
	buffer_load_dword v173, off, s[0:3], 0 offset:348
	buffer_load_dword v4, off, s[0:3], 0 offset:356
	;; [unrolled: 1-line block ×4, first 2 shown]
	ds_read_b128 v[126:129], v1 offset:640
	s_clause 0x6
	buffer_load_dword v174, off, s[0:3], 0 offset:324
	buffer_load_dword v175, off, s[0:3], 0 offset:332
	;; [unrolled: 1-line block ×7, first 2 shown]
	ds_read_b128 v[130:133], v1 offset:656
	buffer_load_dword v184, off, s[0:3], 0 offset:156
	s_mov_b32 s4, exec_lo
	s_waitcnt vmcnt(50) lgkmcnt(3)
	v_mul_f32_e32 v181, v6, v134
	v_mul_f32_e32 v182, v5, v134
	s_waitcnt vmcnt(49)
	v_mul_f32_e32 v183, v7, v135
	v_mul_f32_e32 v134, v8, v135
	s_waitcnt vmcnt(46)
	v_fma_f32 v181, v5, v137, -v181
	v_fmac_f32_e32 v182, v6, v137
	v_fmac_f32_e32 v183, v8, v136
	v_fma_f32 v185, v7, v136, -v134
	ds_read_b128 v[5:8], v1 offset:672
	ds_read_b128 v[134:137], v1 offset:688
	s_waitcnt vmcnt(45) lgkmcnt(4)
	v_mul_f32_e32 v186, v9, v139
	v_mul_f32_e32 v139, v10, v139
	s_waitcnt vmcnt(43) lgkmcnt(3)
	v_mul_f32_e32 v188, v126, v141
	v_mul_f32_e32 v141, v127, v141
	;; [unrolled: 1-line block ×3, first 2 shown]
	v_fmac_f32_e32 v186, v10, v138
	v_fma_f32 v138, v9, v138, -v139
	s_waitcnt vmcnt(42)
	v_mul_f32_e32 v9, v129, v142
	v_mul_f32_e32 v140, v12, v140
	;; [unrolled: 1-line block ×3, first 2 shown]
	s_waitcnt vmcnt(39)
	v_fmac_f32_e32 v188, v127, v145
	v_fma_f32 v126, v126, v145, -v141
	v_fma_f32 v127, v128, v144, -v9
	s_waitcnt vmcnt(37) lgkmcnt(2)
	v_mul_f32_e32 v128, v130, v147
	v_mul_f32_e32 v9, v131, v147
	s_waitcnt vmcnt(36)
	v_mul_f32_e32 v141, v132, v148
	v_mul_f32_e32 v10, v133, v148
	v_fmac_f32_e32 v187, v12, v146
	v_fma_f32 v140, v11, v146, -v140
	s_clause 0x3
	buffer_load_dword v146, off, s[0:3], 0 offset:380
	buffer_load_dword v189, off, s[0:3], 0 offset:388
	;; [unrolled: 1-line block ×4, first 2 shown]
	v_fmac_f32_e32 v139, v129, v144
	s_clause 0x4
	buffer_load_dword v192, off, s[0:3], 0 offset:412
	buffer_load_dword v193, off, s[0:3], 0 offset:420
	;; [unrolled: 1-line block ×5, first 2 shown]
	v_fmac_f32_e32 v128, v131, v143
	v_fma_f32 v129, v130, v143, -v9
	s_waitcnt vmcnt(44) lgkmcnt(1)
	v_mul_f32_e32 v130, v5, v149
	v_mul_f32_e32 v9, v6, v149
	s_waitcnt vmcnt(40)
	v_fmac_f32_e32 v141, v133, v153
	v_fma_f32 v131, v132, v153, -v10
	s_waitcnt vmcnt(39)
	v_mul_f32_e32 v142, v7, v154
	v_mul_f32_e32 v10, v8, v154
	s_clause 0x3
	buffer_load_dword v148, off, s[0:3], 0 offset:368
	buffer_load_dword v149, off, s[0:3], 0 offset:360
	;; [unrolled: 1-line block ×4, first 2 shown]
	v_fmac_f32_e32 v130, v6, v152
	v_fma_f32 v132, v5, v152, -v9
	v_fmac_f32_e32 v142, v8, v151
	v_fma_f32 v143, v7, v151, -v10
	ds_read_b128 v[5:8], v1 offset:704
	s_waitcnt vmcnt(42) lgkmcnt(1)
	v_mul_f32_e32 v144, v134, v155
	v_mul_f32_e32 v9, v135, v155
	s_waitcnt vmcnt(41)
	v_mul_f32_e32 v145, v136, v156
	v_mul_f32_e32 v10, v137, v156
	v_fmac_f32_e32 v144, v135, v150
	v_fma_f32 v134, v134, v150, -v9
	s_clause 0x3
	buffer_load_dword v150, off, s[0:3], 0 offset:400
	buffer_load_dword v151, off, s[0:3], 0 offset:392
	;; [unrolled: 1-line block ×4, first 2 shown]
	v_add_f32_e32 v9, 0, v181
	s_waitcnt vmcnt(41)
	v_fmac_f32_e32 v145, v137, v160
	v_fma_f32 v135, v136, v160, -v10
	v_add_f32_e32 v10, 0, v182
	v_add_f32_e32 v133, v9, v185
	;; [unrolled: 1-line block ×3, first 2 shown]
	ds_read_b128 v[9:12], v1 offset:720
	v_add_f32_e32 v133, v133, v138
	s_waitcnt vmcnt(40) lgkmcnt(1)
	v_mul_f32_e32 v138, v5, v161
	v_mul_f32_e32 v137, v6, v161
	v_add_f32_e32 v136, v136, v186
	s_waitcnt vmcnt(39)
	v_mul_f32_e32 v185, v7, v162
	v_fmac_f32_e32 v138, v6, v159
	v_fma_f32 v156, v5, v159, -v137
	s_clause 0x5
	buffer_load_dword v159, off, s[0:3], 0 offset:432
	buffer_load_dword v160, off, s[0:3], 0 offset:424
	;; [unrolled: 1-line block ×6, first 2 shown]
	v_add_f32_e32 v5, v133, v140
	v_add_f32_e32 v6, v136, v187
	v_fmac_f32_e32 v185, v8, v158
	v_add_f32_e32 v5, v5, v126
	v_add_f32_e32 v6, v6, v188
	v_mul_f32_e32 v126, v8, v162
	s_waitcnt vmcnt(43) lgkmcnt(0)
	v_mul_f32_e32 v137, v12, v164
	v_mul_f32_e32 v162, v9, v163
	v_add_f32_e32 v5, v5, v127
	v_add_f32_e32 v127, v6, v139
	v_fma_f32 v158, v7, v158, -v126
	v_fmac_f32_e32 v162, v10, v157
	v_add_f32_e32 v133, v5, v129
	ds_read_b128 v[5:8], v1 offset:736
	v_add_f32_e32 v136, v127, v128
	ds_read_b128 v[126:129], v1 offset:752
	v_add_f32_e32 v131, v133, v131
	v_mul_f32_e32 v133, v10, v163
	v_add_f32_e32 v136, v136, v141
	v_mul_f32_e32 v163, v11, v164
	s_waitcnt vmcnt(39)
	v_fma_f32 v164, v11, v168, -v137
	v_add_f32_e32 v139, v131, v132
	v_fma_f32 v157, v9, v157, -v133
	v_add_f32_e32 v136, v136, v130
	v_fmac_f32_e32 v163, v12, v168
	ds_read_b128 v[9:12], v1 offset:768
	ds_read_b128 v[130:133], v1 offset:784
	v_add_f32_e32 v137, v139, v143
	v_add_f32_e32 v136, v136, v142
	;; [unrolled: 1-line block ×3, first 2 shown]
	s_waitcnt vmcnt(38) lgkmcnt(3)
	v_mul_f32_e32 v168, v5, v169
	v_mul_f32_e32 v139, v6, v169
	s_waitcnt vmcnt(37)
	v_mul_f32_e32 v169, v7, v170
	v_mul_f32_e32 v140, v8, v170
	v_add_f32_e32 v136, v136, v144
	v_fmac_f32_e32 v168, v6, v167
	v_fma_f32 v167, v5, v167, -v139
	v_add_f32_e32 v139, v134, v135
	v_fmac_f32_e32 v169, v8, v166
	v_fma_f32 v166, v7, v166, -v140
	v_add_f32_e32 v140, v136, v145
	s_waitcnt vmcnt(35) lgkmcnt(2)
	v_mul_f32_e32 v142, v129, v172
	v_add_f32_e32 v143, v139, v156
	s_waitcnt vmcnt(30) lgkmcnt(1)
	v_mul_f32_e32 v144, v10, v174
	v_mul_f32_e32 v170, v126, v171
	;; [unrolled: 1-line block ×3, first 2 shown]
	s_waitcnt vmcnt(24)
	v_fma_f32 v156, v128, v180, -v142
	v_add_f32_e32 v142, v140, v138
	v_add_f32_e32 v143, v143, v158
	v_mul_f32_e32 v158, v9, v174
	v_fmac_f32_e32 v170, v127, v165
	v_fma_f32 v165, v126, v165, -v141
	v_add_f32_e32 v142, v142, v185
	v_mul_f32_e32 v171, v128, v172
	v_fmac_f32_e32 v158, v10, v179
	v_add_f32_e32 v10, v143, v157
	ds_read_b128 v[5:8], v1 offset:800
	ds_read_b128 v[134:137], v1 offset:816
	v_add_f32_e32 v142, v142, v162
	v_fmac_f32_e32 v171, v129, v180
	v_mul_f32_e32 v145, v12, v175
	v_add_f32_e32 v164, v10, v164
	v_fma_f32 v157, v9, v179, -v144
	v_add_f32_e32 v163, v142, v163
	v_mul_f32_e32 v172, v11, v175
	v_fma_f32 v162, v11, v178, -v145
	v_add_f32_e32 v164, v164, v167
	s_waitcnt lgkmcnt(2)
	v_mul_f32_e32 v167, v131, v176
	v_add_f32_e32 v163, v163, v168
	ds_read_b128 v[126:129], v1 offset:832
	ds_read_b128 v[138:141], v1 offset:848
	v_fmac_f32_e32 v172, v12, v178
	v_add_f32_e32 v164, v164, v166
	ds_read_b128 v[9:12], v1 offset:864
	ds_read_b128 v[142:145], v1 offset:880
	v_add_f32_e32 v163, v163, v169
	v_mul_f32_e32 v1, v130, v176
	v_mul_f32_e32 v168, v132, v173
	v_add_f32_e32 v164, v164, v165
	v_mul_f32_e32 v173, v133, v173
	v_add_f32_e32 v163, v163, v170
	v_fma_f32 v130, v130, v177, -v167
	v_fmac_f32_e32 v1, v131, v177
	v_add_f32_e32 v156, v164, v156
	s_waitcnt lgkmcnt(5)
	v_mul_f32_e32 v166, v5, v4
	v_add_f32_e32 v163, v163, v171
	v_mul_f32_e32 v4, v6, v4
	v_mul_f32_e32 v169, v7, v3
	v_add_f32_e32 v156, v156, v157
	v_mul_f32_e32 v3, v8, v3
	v_add_f32_e32 v158, v163, v158
	s_waitcnt lgkmcnt(4)
	v_mul_f32_e32 v174, v134, v2
	v_mul_f32_e32 v2, v135, v2
	v_add_f32_e32 v156, v156, v162
	v_add_f32_e32 v158, v158, v172
	;; [unrolled: 1-line block ×4, first 2 shown]
	s_waitcnt vmcnt(22)
	v_mul_f32_e32 v165, v136, v146
	s_waitcnt vmcnt(21) lgkmcnt(3)
	v_mul_f32_e32 v170, v126, v189
	s_waitcnt vmcnt(20)
	v_mul_f32_e32 v175, v128, v190
	s_waitcnt vmcnt(19) lgkmcnt(2)
	v_mul_f32_e32 v164, v138, v191
	;; [unrolled: 4-line block ×4, first 2 shown]
	s_waitcnt vmcnt(14)
	v_mul_f32_e32 v131, v144, v147
	s_waitcnt vmcnt(13)
	v_fma_f32 v2, v134, v148, -v2
	s_waitcnt vmcnt(12)
	v_fma_f32 v3, v7, v149, -v3
	;; [unrolled: 2-line block ×4, first 2 shown]
	v_fmac_f32_e32 v168, v133, v154
	v_fmac_f32_e32 v166, v6, v153
	;; [unrolled: 1-line block ×4, first 2 shown]
	v_add_f32_e32 v5, v130, v132
	v_add_f32_e32 v1, v1, v168
	;; [unrolled: 1-line block ×4, first 2 shown]
	v_mul_f32_e32 v5, v137, v146
	s_waitcnt vmcnt(6)
	v_fmac_f32_e32 v165, v137, v155
	v_fmac_f32_e32 v170, v127, v152
	v_add_f32_e32 v3, v4, v3
	v_add_f32_e32 v1, v1, v169
	v_mul_f32_e32 v4, v127, v189
	v_fma_f32 v5, v136, v155, -v5
	v_fmac_f32_e32 v175, v129, v151
	v_add_f32_e32 v2, v3, v2
	v_add_f32_e32 v1, v1, v174
	v_mul_f32_e32 v3, v129, v190
	v_fma_f32 v4, v126, v152, -v4
	;; [unrolled: 5-line block ×3, first 2 shown]
	s_waitcnt vmcnt(5)
	v_fmac_f32_e32 v163, v143, v159
	v_add_f32_e32 v2, v2, v4
	v_add_f32_e32 v1, v1, v170
	v_mul_f32_e32 v4, v141, v192
	v_fma_f32 v5, v138, v150, -v5
	s_waitcnt vmcnt(2)
	v_fmac_f32_e32 v171, v141, v181
	v_add_f32_e32 v2, v2, v3
	v_add_f32_e32 v1, v1, v175
	v_mul_f32_e32 v3, v10, v193
	v_fma_f32 v4, v140, v181, -v4
	v_fmac_f32_e32 v176, v10, v161
	v_add_f32_e32 v2, v2, v5
	v_add_f32_e32 v1, v1, v164
	v_mul_f32_e32 v5, v12, v194
	v_fma_f32 v3, v9, v161, -v3
	;; [unrolled: 5-line block ×3, first 2 shown]
	s_waitcnt vmcnt(1)
	v_fmac_f32_e32 v131, v145, v182
	v_add_f32_e32 v2, v2, v3
	v_add_f32_e32 v1, v1, v176
	v_mul_f32_e32 v3, v145, v147
	v_fma_f32 v4, v142, v159, -v4
	v_add_f32_e32 v2, v2, v5
	v_add_f32_e32 v1, v1, v157
	v_fma_f32 v3, v144, v182, -v3
	v_add_f32_e32 v2, v2, v4
	v_add_f32_e32 v1, v1, v163
	v_add_f32_e32 v2, v2, v3
	v_add_f32_e32 v1, v1, v131
	s_waitcnt vmcnt(0)
	v_sub_f32_e32 v2, v183, v2
	v_sub_f32_e32 v1, v184, v1
	buffer_store_dword v2, off, s[0:3], 0 offset:152
	buffer_store_dword v1, off, s[0:3], 0 offset:156
	v_cmpx_lt_u32_e32 18, v0
	s_cbranch_execz .LBB119_313
; %bb.312:
	s_clause 0x1
	buffer_load_dword v1, off, s[0:3], 0 offset:144
	buffer_load_dword v2, off, s[0:3], 0 offset:148
	v_mov_b32_e32 v3, 0
	buffer_store_dword v3, off, s[0:3], 0 offset:144
	buffer_store_dword v3, off, s[0:3], 0 offset:148
	s_waitcnt vmcnt(0)
	ds_write_b64 v125, v[1:2]
.LBB119_313:
	s_or_b32 exec_lo, exec_lo, s4
	s_waitcnt lgkmcnt(0)
	s_waitcnt_vscnt null, 0x0
	s_barrier
	buffer_gl0_inv
	s_clause 0x25
	buffer_load_dword v2, off, s[0:3], 0 offset:156
	buffer_load_dword v3, off, s[0:3], 0 offset:164
	;; [unrolled: 1-line block ×38, first 2 shown]
	v_mov_b32_e32 v1, 0
	ds_read2_b64 v[4:7], v1 offset0:75 offset1:76
	ds_read2_b64 v[8:11], v1 offset0:77 offset1:78
	s_clause 0x10
	buffer_load_dword v169, off, s[0:3], 0 offset:308
	buffer_load_dword v170, off, s[0:3], 0 offset:316
	;; [unrolled: 1-line block ×17, first 2 shown]
	ds_read2_b64 v[126:129], v1 offset0:79 offset1:80
	ds_read2_b64 v[130:133], v1 offset0:81 offset1:82
	s_mov_b32 s4, exec_lo
	s_waitcnt vmcnt(54) lgkmcnt(3)
	v_mul_f32_e32 v186, v5, v2
	v_mul_f32_e32 v187, v4, v2
	s_waitcnt vmcnt(53)
	v_mul_f32_e32 v188, v6, v3
	v_mul_f32_e32 v2, v7, v3
	s_waitcnt vmcnt(52) lgkmcnt(2)
	v_mul_f32_e32 v189, v8, v12
	v_mul_f32_e32 v3, v9, v12
	s_waitcnt vmcnt(49)
	v_fma_f32 v12, v4, v136, -v186
	s_waitcnt vmcnt(48)
	v_mul_f32_e32 v4, v11, v137
	v_fmac_f32_e32 v187, v5, v136
	v_mul_f32_e32 v136, v10, v137
	v_fmac_f32_e32 v188, v7, v135
	v_fma_f32 v135, v6, v135, -v2
	v_fmac_f32_e32 v189, v9, v134
	v_fma_f32 v134, v8, v134, -v3
	s_waitcnt vmcnt(44)
	v_fma_f32 v10, v10, v141, -v4
	ds_read2_b64 v[2:5], v1 offset0:83 offset1:84
	ds_read2_b64 v[6:9], v1 offset0:85 offset1:86
	v_fmac_f32_e32 v136, v11, v141
	s_waitcnt vmcnt(43) lgkmcnt(3)
	v_mul_f32_e32 v11, v126, v142
	v_mul_f32_e32 v137, v127, v142
	s_waitcnt vmcnt(42)
	v_mul_f32_e32 v141, v128, v143
	v_mul_f32_e32 v142, v129, v143
	s_waitcnt vmcnt(41) lgkmcnt(2)
	v_mul_f32_e32 v143, v130, v144
	v_mul_f32_e32 v144, v131, v144
	v_fmac_f32_e32 v11, v127, v140
	v_fma_f32 v126, v126, v140, -v137
	s_waitcnt vmcnt(40)
	v_mul_f32_e32 v127, v132, v145
	v_mul_f32_e32 v137, v133, v145
	v_fmac_f32_e32 v141, v129, v139
	v_fma_f32 v128, v128, v139, -v142
	v_fmac_f32_e32 v143, v131, v138
	v_fma_f32 v129, v130, v138, -v144
	s_waitcnt vmcnt(36)
	v_fmac_f32_e32 v127, v133, v149
	v_fma_f32 v130, v132, v149, -v137
	s_clause 0x3
	buffer_load_dword v186, off, s[0:3], 0 offset:372
	buffer_load_dword v190, off, s[0:3], 0 offset:380
	;; [unrolled: 1-line block ×4, first 2 shown]
	s_waitcnt vmcnt(39) lgkmcnt(1)
	v_mul_f32_e32 v131, v2, v150
	v_mul_f32_e32 v132, v3, v150
	s_waitcnt vmcnt(38)
	v_mul_f32_e32 v133, v4, v151
	v_mul_f32_e32 v137, v5, v151
	s_waitcnt vmcnt(37) lgkmcnt(0)
	v_mul_f32_e32 v139, v7, v152
	s_clause 0x3
	buffer_load_dword v149, off, s[0:3], 0 offset:404
	buffer_load_dword v193, off, s[0:3], 0 offset:412
	;; [unrolled: 1-line block ×4, first 2 shown]
	v_fmac_f32_e32 v131, v3, v148
	v_fma_f32 v132, v2, v148, -v132
	v_mul_f32_e32 v138, v6, v152
	v_fmac_f32_e32 v133, v5, v147
	v_fma_f32 v137, v4, v147, -v137
	ds_read2_b64 v[2:5], v1 offset0:87 offset1:88
	v_fma_f32 v139, v6, v146, -v139
	s_waitcnt vmcnt(40)
	v_mul_f32_e32 v6, v9, v153
	s_clause 0x1
	buffer_load_dword v150, off, s[0:3], 0 offset:436
	buffer_load_dword v147, off, s[0:3], 0 offset:444
	v_fmac_f32_e32 v138, v7, v146
	v_mul_f32_e32 v140, v8, v153
	s_waitcnt vmcnt(38)
	v_fma_f32 v142, v8, v157, -v6
	v_add_f32_e32 v6, 0, v12
	s_clause 0x3
	buffer_load_dword v12, off, s[0:3], 0 offset:392
	buffer_load_dword v146, off, s[0:3], 0 offset:384
	;; [unrolled: 1-line block ×4, first 2 shown]
	v_add_f32_e32 v7, 0, v187
	v_fmac_f32_e32 v140, v9, v157
	v_add_f32_e32 v6, v6, v135
	v_add_f32_e32 v135, v7, v188
	;; [unrolled: 1-line block ×3, first 2 shown]
	ds_read2_b64 v[6:9], v1 offset0:89 offset1:90
	s_waitcnt vmcnt(41) lgkmcnt(1)
	v_mul_f32_e32 v144, v2, v158
	v_mul_f32_e32 v145, v3, v158
	v_add_f32_e32 v135, v135, v189
	v_add_f32_e32 v10, v134, v10
	v_fmac_f32_e32 v144, v3, v156
	v_fma_f32 v134, v2, v156, -v145
	s_clause 0x6
	buffer_load_dword v152, off, s[0:3], 0 offset:424
	buffer_load_dword v153, off, s[0:3], 0 offset:416
	buffer_load_dword v156, off, s[0:3], 0 offset:408
	buffer_load_dword v157, off, s[0:3], 0 offset:400
	buffer_load_dword v158, off, s[0:3], 0 offset:440
	buffer_load_dword v187, off, s[0:3], 0 offset:432
	buffer_load_dword v188, off, s[0:3], 0 offset:144
	v_add_f32_e32 v2, v135, v136
	v_add_f32_e32 v3, v10, v126
	s_waitcnt vmcnt(47)
	v_mul_f32_e32 v10, v4, v159
	v_add_f32_e32 v2, v2, v11
	v_add_f32_e32 v3, v3, v128
	v_mul_f32_e32 v11, v5, v159
	v_fmac_f32_e32 v10, v5, v155
	s_waitcnt vmcnt(45) lgkmcnt(0)
	v_mul_f32_e32 v145, v8, v161
	v_add_f32_e32 v2, v2, v141
	v_add_f32_e32 v3, v3, v129
	v_fma_f32 v11, v4, v155, -v11
	s_waitcnt vmcnt(41)
	v_fmac_f32_e32 v145, v9, v165
	v_add_f32_e32 v126, v2, v143
	v_add_f32_e32 v130, v3, v130
	ds_read2_b64 v[2:5], v1 offset0:91 offset1:92
	v_mul_f32_e32 v143, v6, v160
	v_add_f32_e32 v135, v126, v127
	v_add_f32_e32 v130, v130, v132
	v_mul_f32_e32 v132, v7, v160
	ds_read2_b64 v[126:129], v1 offset0:93 offset1:94
	v_fmac_f32_e32 v143, v7, v154
	v_add_f32_e32 v131, v135, v131
	v_mul_f32_e32 v135, v9, v161
	v_add_f32_e32 v136, v130, v137
	v_fma_f32 v154, v6, v154, -v132
	v_fma_f32 v155, v8, v165, -v135
	v_add_f32_e32 v135, v131, v133
	v_add_f32_e32 v136, v136, v139
	ds_read2_b64 v[6:9], v1 offset0:95 offset1:96
	ds_read2_b64 v[130:133], v1 offset0:97 offset1:98
	v_add_f32_e32 v135, v135, v138
	s_waitcnt vmcnt(39) lgkmcnt(3)
	v_mul_f32_e32 v160, v4, v167
	v_mul_f32_e32 v138, v5, v167
	v_add_f32_e32 v136, v136, v142
	v_mul_f32_e32 v137, v3, v166
	v_add_f32_e32 v135, v135, v140
	v_fmac_f32_e32 v160, v5, v163
	v_fma_f32 v163, v4, v163, -v138
	v_add_f32_e32 v138, v136, v134
	v_mul_f32_e32 v159, v2, v166
	v_add_f32_e32 v140, v135, v144
	v_fma_f32 v142, v2, v164, -v137
	s_waitcnt vmcnt(38) lgkmcnt(2)
	v_mul_f32_e32 v161, v126, v168
	v_add_f32_e32 v11, v138, v11
	v_fmac_f32_e32 v159, v3, v164
	v_add_f32_e32 v10, v140, v10
	v_mul_f32_e32 v139, v127, v168
	s_waitcnt vmcnt(37)
	v_mul_f32_e32 v141, v129, v169
	v_add_f32_e32 v11, v11, v154
	s_waitcnt vmcnt(36) lgkmcnt(1)
	v_mul_f32_e32 v154, v6, v170
	v_add_f32_e32 v10, v10, v143
	v_mul_f32_e32 v143, v7, v170
	v_fmac_f32_e32 v161, v127, v162
	v_fma_f32 v162, v126, v162, -v139
	s_waitcnt vmcnt(31)
	v_fmac_f32_e32 v154, v7, v175
	v_add_f32_e32 v7, v11, v155
	v_add_f32_e32 v10, v10, v145
	v_mul_f32_e32 v165, v128, v169
	s_waitcnt vmcnt(30)
	v_fma_f32 v164, v128, v176, -v141
	ds_read2_b64 v[2:5], v1 offset0:99 offset1:100
	ds_read2_b64 v[134:137], v1 offset0:101 offset1:102
	v_add_f32_e32 v168, v7, v142
	v_add_f32_e32 v159, v10, v159
	v_fmac_f32_e32 v165, v129, v176
	v_mul_f32_e32 v144, v9, v171
	v_fma_f32 v155, v6, v175, -v143
	v_add_f32_e32 v163, v168, v163
	v_add_f32_e32 v159, v159, v160
	v_mul_f32_e32 v166, v8, v171
	v_fma_f32 v167, v8, v174, -v144
	s_waitcnt lgkmcnt(2)
	v_mul_f32_e32 v169, v131, v172
	v_add_f32_e32 v162, v163, v162
	v_add_f32_e32 v159, v159, v161
	v_fmac_f32_e32 v166, v9, v174
	v_mul_f32_e32 v168, v130, v172
	s_waitcnt vmcnt(29)
	v_mul_f32_e32 v170, v133, v177
	v_add_f32_e32 v162, v162, v164
	v_add_f32_e32 v159, v159, v165
	v_fma_f32 v130, v130, v173, -v169
	v_mul_f32_e32 v160, v132, v177
	v_fmac_f32_e32 v168, v131, v173
	v_add_f32_e32 v155, v162, v155
	v_add_f32_e32 v154, v159, v154
	s_waitcnt vmcnt(28) lgkmcnt(1)
	v_mul_f32_e32 v163, v2, v178
	v_mul_f32_e32 v169, v3, v178
	s_waitcnt vmcnt(22)
	v_fma_f32 v132, v132, v184, -v170
	v_add_f32_e32 v155, v155, v167
	v_add_f32_e32 v154, v154, v166
	ds_read2_b64 v[126:129], v1 offset0:103 offset1:104
	ds_read2_b64 v[138:141], v1 offset0:105 offset1:106
	v_fmac_f32_e32 v160, v133, v184
	v_mul_f32_e32 v166, v5, v179
	v_add_f32_e32 v130, v155, v130
	v_add_f32_e32 v154, v154, v168
	v_fmac_f32_e32 v163, v3, v183
	v_fma_f32 v2, v2, v183, -v169
	v_mul_f32_e32 v161, v4, v179
	v_add_f32_e32 v3, v130, v132
	v_add_f32_e32 v130, v154, v160
	s_waitcnt lgkmcnt(2)
	v_mul_f32_e32 v132, v135, v180
	v_fma_f32 v4, v4, v182, -v166
	v_mul_f32_e32 v131, v134, v180
	v_add_f32_e32 v2, v3, v2
	v_fmac_f32_e32 v161, v5, v182
	v_add_f32_e32 v3, v130, v163
	v_fma_f32 v130, v134, v181, -v132
	v_fmac_f32_e32 v131, v135, v181
	v_add_f32_e32 v2, v2, v4
	ds_read2_b64 v[6:9], v1 offset0:107 offset1:108
	ds_read2_b64 v[142:145], v1 offset0:109 offset1:110
	ds_read_b64 v[10:11], v1 offset:888
	v_add_f32_e32 v3, v3, v161
	v_add_f32_e32 v2, v2, v130
	;; [unrolled: 1-line block ×3, first 2 shown]
	s_waitcnt vmcnt(20)
	v_mul_f32_e32 v5, v137, v186
	v_mul_f32_e32 v164, v136, v186
	s_waitcnt vmcnt(19) lgkmcnt(4)
	v_mul_f32_e32 v4, v127, v190
	v_mul_f32_e32 v165, v126, v190
	s_waitcnt vmcnt(18)
	v_mul_f32_e32 v130, v129, v191
	v_mul_f32_e32 v133, v128, v191
	s_waitcnt vmcnt(17) lgkmcnt(3)
	v_mul_f32_e32 v170, v138, v192
	s_waitcnt vmcnt(16)
	v_mul_f32_e32 v159, v140, v149
	s_waitcnt vmcnt(15) lgkmcnt(2)
	v_mul_f32_e32 v162, v6, v193
	s_waitcnt vmcnt(14)
	;; [unrolled: 4-line block ×4, first 2 shown]
	v_fmac_f32_e32 v170, v139, v12
	s_waitcnt vmcnt(9)
	v_fmac_f32_e32 v133, v129, v146
	s_waitcnt vmcnt(8)
	v_fma_f32 v4, v126, v148, -v4
	s_waitcnt vmcnt(7)
	v_fma_f32 v5, v136, v151, -v5
	v_fmac_f32_e32 v164, v137, v151
	v_fmac_f32_e32 v165, v127, v148
	v_fma_f32 v126, v128, v146, -v130
	v_add_f32_e32 v2, v2, v5
	v_add_f32_e32 v3, v3, v164
	v_mul_f32_e32 v5, v139, v192
	v_add_f32_e32 v2, v2, v4
	v_add_f32_e32 v3, v3, v165
	v_mul_f32_e32 v4, v141, v149
	v_fma_f32 v5, v138, v12, -v5
	v_mul_f32_e32 v12, v7, v193
	v_add_f32_e32 v2, v2, v126
	v_add_f32_e32 v3, v3, v133
	s_waitcnt vmcnt(4)
	v_fmac_f32_e32 v162, v7, v156
	s_waitcnt vmcnt(3)
	v_fma_f32 v4, v140, v157, -v4
	v_fmac_f32_e32 v159, v141, v157
	v_add_f32_e32 v2, v2, v5
	v_add_f32_e32 v3, v3, v170
	v_mul_f32_e32 v5, v9, v194
	v_fma_f32 v6, v6, v156, -v12
	v_fmac_f32_e32 v171, v9, v153
	v_add_f32_e32 v2, v2, v4
	v_add_f32_e32 v3, v3, v159
	v_mul_f32_e32 v4, v143, v195
	;; [unrolled: 5-line block ×3, first 2 shown]
	v_fma_f32 v4, v142, v152, -v4
	s_waitcnt vmcnt(1)
	v_fmac_f32_e32 v172, v145, v187
	v_add_f32_e32 v2, v2, v5
	v_add_f32_e32 v3, v3, v171
	v_mul_f32_e32 v5, v11, v147
	v_fma_f32 v6, v144, v187, -v6
	v_fmac_f32_e32 v155, v11, v158
	v_add_f32_e32 v2, v2, v4
	v_add_f32_e32 v3, v3, v167
	v_fma_f32 v4, v10, v158, -v5
	v_add_f32_e32 v2, v2, v6
	v_add_f32_e32 v3, v3, v172
	;; [unrolled: 1-line block ×4, first 2 shown]
	s_waitcnt vmcnt(0)
	v_sub_f32_e32 v2, v188, v2
	v_sub_f32_e32 v3, v185, v3
	buffer_store_dword v2, off, s[0:3], 0 offset:144
	buffer_store_dword v3, off, s[0:3], 0 offset:148
	v_cmpx_lt_u32_e32 17, v0
	s_cbranch_execz .LBB119_315
; %bb.314:
	s_clause 0x1
	buffer_load_dword v2, off, s[0:3], 0 offset:136
	buffer_load_dword v3, off, s[0:3], 0 offset:140
	buffer_store_dword v1, off, s[0:3], 0 offset:136
	buffer_store_dword v1, off, s[0:3], 0 offset:140
	s_waitcnt vmcnt(0)
	ds_write_b64 v125, v[2:3]
.LBB119_315:
	s_or_b32 exec_lo, exec_lo, s4
	s_waitcnt lgkmcnt(0)
	s_waitcnt_vscnt null, 0x0
	s_barrier
	buffer_gl0_inv
	s_clause 0x1e
	buffer_load_dword v2, off, s[0:3], 0 offset:148
	buffer_load_dword v3, off, s[0:3], 0 offset:156
	;; [unrolled: 1-line block ×31, first 2 shown]
	ds_read_b128 v[4:7], v1 offset:592
	s_clause 0x3
	buffer_load_dword v170, off, s[0:3], 0 offset:288
	buffer_load_dword v171, off, s[0:3], 0 offset:280
	;; [unrolled: 1-line block ×4, first 2 shown]
	ds_read_b128 v[8:11], v1 offset:608
	s_clause 0xa
	buffer_load_dword v174, off, s[0:3], 0 offset:276
	buffer_load_dword v175, off, s[0:3], 0 offset:284
	;; [unrolled: 1-line block ×11, first 2 shown]
	ds_read_b128 v[126:129], v1 offset:624
	ds_read_b128 v[130:133], v1 offset:640
	;; [unrolled: 1-line block ×4, first 2 shown]
	buffer_load_dword v185, off, s[0:3], 0 offset:140
	s_mov_b32 s4, exec_lo
	s_waitcnt vmcnt(46) lgkmcnt(5)
	v_mul_f32_e32 v186, v5, v2
	v_mul_f32_e32 v187, v4, v2
	s_waitcnt vmcnt(45)
	v_mul_f32_e32 v188, v6, v3
	v_mul_f32_e32 v2, v7, v3
	s_waitcnt vmcnt(44) lgkmcnt(4)
	v_mul_f32_e32 v189, v8, v12
	v_mul_f32_e32 v3, v9, v12
	s_waitcnt vmcnt(41)
	v_fma_f32 v12, v4, v144, -v186
	v_fmac_f32_e32 v187, v5, v144
	s_waitcnt vmcnt(40)
	v_mul_f32_e32 v144, v10, v145
	v_mul_f32_e32 v4, v11, v145
	v_fmac_f32_e32 v188, v7, v143
	s_waitcnt vmcnt(35) lgkmcnt(3)
	v_mul_f32_e32 v145, v127, v150
	v_fma_f32 v143, v6, v143, -v2
	v_fmac_f32_e32 v144, v11, v149
	v_mul_f32_e32 v11, v126, v150
	v_fma_f32 v10, v10, v149, -v4
	s_waitcnt vmcnt(34)
	v_mul_f32_e32 v149, v128, v151
	v_mul_f32_e32 v150, v129, v151
	s_waitcnt vmcnt(33) lgkmcnt(2)
	v_mul_f32_e32 v151, v130, v152
	v_mul_f32_e32 v152, v131, v152
	v_fmac_f32_e32 v11, v127, v148
	v_fma_f32 v126, v126, v148, -v145
	s_waitcnt vmcnt(32)
	v_mul_f32_e32 v127, v132, v153
	v_mul_f32_e32 v145, v133, v153
	v_fmac_f32_e32 v189, v9, v142
	v_fma_f32 v142, v8, v142, -v3
	ds_read_b128 v[2:5], v1 offset:688
	ds_read_b128 v[6:9], v1 offset:704
	v_fmac_f32_e32 v149, v129, v147
	v_fma_f32 v128, v128, v147, -v150
	v_fmac_f32_e32 v151, v131, v146
	v_fma_f32 v129, v130, v146, -v152
	s_waitcnt vmcnt(28)
	v_fmac_f32_e32 v127, v133, v157
	v_fma_f32 v130, v132, v157, -v145
	s_clause 0x7
	buffer_load_dword v145, off, s[0:3], 0 offset:332
	buffer_load_dword v146, off, s[0:3], 0 offset:340
	;; [unrolled: 1-line block ×8, first 2 shown]
	s_waitcnt vmcnt(35) lgkmcnt(3)
	v_mul_f32_e32 v131, v134, v158
	v_mul_f32_e32 v132, v135, v158
	s_waitcnt vmcnt(34)
	v_mul_f32_e32 v133, v136, v159
	v_mul_f32_e32 v158, v137, v159
	s_waitcnt vmcnt(33) lgkmcnt(2)
	v_mul_f32_e32 v159, v138, v160
	v_mul_f32_e32 v160, v139, v160
	v_fmac_f32_e32 v131, v135, v156
	v_fma_f32 v132, v134, v156, -v132
	s_waitcnt vmcnt(32)
	v_mul_f32_e32 v134, v140, v161
	v_mul_f32_e32 v135, v141, v161
	v_fmac_f32_e32 v133, v137, v155
	v_fmac_f32_e32 v159, v139, v154
	v_fma_f32 v137, v138, v154, -v160
	s_waitcnt vmcnt(28)
	v_fmac_f32_e32 v134, v141, v165
	v_fma_f32 v135, v140, v165, -v135
	s_waitcnt vmcnt(27) lgkmcnt(1)
	v_mul_f32_e32 v138, v2, v166
	v_mul_f32_e32 v139, v3, v166
	s_waitcnt vmcnt(26)
	v_mul_f32_e32 v140, v4, v167
	v_mul_f32_e32 v141, v5, v167
	v_fma_f32 v136, v136, v155, -v158
	s_clause 0x8
	buffer_load_dword v155, off, s[0:3], 0 offset:364
	buffer_load_dword v156, off, s[0:3], 0 offset:372
	;; [unrolled: 1-line block ×9, first 2 shown]
	v_fmac_f32_e32 v138, v3, v164
	v_fma_f32 v139, v2, v164, -v139
	buffer_load_dword v164, off, s[0:3], 0 offset:436
	v_fmac_f32_e32 v140, v5, v163
	v_fma_f32 v141, v4, v163, -v141
	s_clause 0x4
	buffer_load_dword v163, off, s[0:3], 0 offset:444
	buffer_load_dword v167, off, s[0:3], 0 offset:384
	;; [unrolled: 1-line block ×5, first 2 shown]
	v_add_f32_e32 v3, 0, v187
	v_add_f32_e32 v2, 0, v12
	s_waitcnt vmcnt(40) lgkmcnt(0)
	v_mul_f32_e32 v4, v7, v168
	v_add_f32_e32 v3, v3, v188
	v_add_f32_e32 v2, v2, v143
	v_fma_f32 v143, v6, v162, -v4
	v_add_f32_e32 v3, v3, v189
	s_clause 0x3
	buffer_load_dword v12, off, s[0:3], 0 offset:416
	buffer_load_dword v187, off, s[0:3], 0 offset:408
	;; [unrolled: 1-line block ×4, first 2 shown]
	v_add_f32_e32 v2, v2, v142
	v_mul_f32_e32 v142, v6, v168
	v_add_f32_e32 v3, v3, v144
	s_waitcnt vmcnt(43)
	v_mul_f32_e32 v144, v8, v169
	v_add_f32_e32 v2, v2, v10
	s_clause 0x2
	buffer_load_dword v10, off, s[0:3], 0 offset:440
	buffer_load_dword v193, off, s[0:3], 0 offset:432
	;; [unrolled: 1-line block ×3, first 2 shown]
	v_fmac_f32_e32 v142, v7, v162
	v_add_f32_e32 v3, v3, v11
	buffer_load_dword v11, off, s[0:3], 0 offset:136
	v_add_f32_e32 v2, v2, v126
	s_waitcnt vmcnt(43)
	v_fmac_f32_e32 v144, v9, v173
	v_add_f32_e32 v3, v3, v149
	v_add_f32_e32 v2, v2, v128
	;; [unrolled: 1-line block ×4, first 2 shown]
	ds_read_b128 v[2:5], v1 offset:720
	v_add_f32_e32 v127, v7, v127
	v_add_f32_e32 v126, v6, v130
	v_mul_f32_e32 v6, v9, v169
	v_add_f32_e32 v131, v127, v131
	v_add_f32_e32 v130, v126, v132
	v_fma_f32 v149, v8, v173, -v6
	ds_read_b128 v[6:9], v1 offset:736
	ds_read_b128 v[126:129], v1 offset:752
	v_add_f32_e32 v131, v131, v133
	v_add_f32_e32 v130, v130, v136
	;; [unrolled: 1-line block ×3, first 2 shown]
	s_waitcnt vmcnt(42) lgkmcnt(2)
	v_mul_f32_e32 v132, v3, v174
	v_mul_f32_e32 v151, v2, v174
	v_fma_f32 v162, v2, v172, -v132
	v_add_f32_e32 v2, v131, v159
	v_fmac_f32_e32 v151, v3, v172
	v_add_f32_e32 v3, v136, v135
	ds_read_b128 v[130:133], v1 offset:768
	s_waitcnt vmcnt(41)
	v_mul_f32_e32 v159, v4, v175
	v_add_f32_e32 v2, v2, v134
	s_waitcnt vmcnt(40) lgkmcnt(2)
	v_mul_f32_e32 v168, v6, v176
	v_mul_f32_e32 v134, v7, v176
	v_add_f32_e32 v3, v3, v139
	s_waitcnt vmcnt(38) lgkmcnt(1)
	v_mul_f32_e32 v172, v126, v178
	v_add_f32_e32 v2, v2, v138
	v_fmac_f32_e32 v168, v7, v170
	v_fma_f32 v170, v6, v170, -v134
	v_add_f32_e32 v6, v3, v141
	v_mul_f32_e32 v138, v127, v178
	v_add_f32_e32 v7, v2, v140
	s_waitcnt vmcnt(33)
	v_fmac_f32_e32 v172, v127, v183
	v_mul_f32_e32 v135, v5, v175
	v_add_f32_e32 v127, v6, v143
	v_fma_f32 v174, v126, v183, -v138
	v_add_f32_e32 v126, v7, v142
	v_fmac_f32_e32 v159, v5, v171
	v_fma_f32 v171, v4, v171, -v135
	v_add_f32_e32 v127, v127, v149
	s_waitcnt lgkmcnt(0)
	v_mul_f32_e32 v143, v131, v180
	v_add_f32_e32 v126, v126, v144
	v_mul_f32_e32 v175, v130, v180
	v_mul_f32_e32 v139, v9, v177
	v_add_f32_e32 v127, v127, v162
	v_fma_f32 v178, v130, v181, -v143
	v_add_f32_e32 v130, v126, v151
	v_mul_f32_e32 v169, v8, v177
	s_waitcnt vmcnt(32)
	v_fma_f32 v173, v8, v184, -v139
	v_add_f32_e32 v151, v127, v171
	ds_read_b128 v[2:5], v1 offset:784
	ds_read_b128 v[134:137], v1 offset:800
	v_add_f32_e32 v159, v130, v159
	v_fmac_f32_e32 v169, v9, v184
	v_mul_f32_e32 v142, v129, v179
	v_add_f32_e32 v151, v151, v170
	v_mul_f32_e32 v149, v128, v179
	v_add_f32_e32 v159, v159, v168
	v_fmac_f32_e32 v175, v131, v181
	v_fma_f32 v177, v128, v182, -v142
	v_add_f32_e32 v151, v151, v173
	v_fmac_f32_e32 v149, v129, v182
	v_add_f32_e32 v159, v159, v169
	ds_read_b128 v[6:9], v1 offset:816
	ds_read_b128 v[138:141], v1 offset:832
	v_add_f32_e32 v151, v151, v174
	v_add_f32_e32 v159, v159, v172
	;; [unrolled: 1-line block ×6, first 2 shown]
	s_waitcnt vmcnt(30)
	v_mul_f32_e32 v162, v132, v145
	v_mul_f32_e32 v176, v133, v145
	ds_read_b128 v[126:129], v1 offset:848
	ds_read_b128 v[142:145], v1 offset:864
	s_waitcnt vmcnt(28) lgkmcnt(5)
	v_mul_f32_e32 v168, v4, v147
	v_mul_f32_e32 v147, v5, v147
	s_waitcnt vmcnt(27) lgkmcnt(4)
	v_mul_f32_e32 v170, v134, v148
	v_mul_f32_e32 v148, v135, v148
	s_waitcnt vmcnt(23)
	v_fmac_f32_e32 v162, v133, v157
	v_fma_f32 v157, v132, v157, -v176
	ds_read_b128 v[130:133], v1 offset:880
	v_mul_f32_e32 v1, v2, v146
	v_mul_f32_e32 v146, v3, v146
	v_add_f32_e32 v149, v149, v162
	v_fma_f32 v4, v4, v152, -v147
	v_fmac_f32_e32 v168, v5, v152
	v_fmac_f32_e32 v1, v3, v153
	v_fma_f32 v2, v2, v153, -v146
	v_add_f32_e32 v146, v151, v157
	v_fma_f32 v134, v134, v150, -v148
	v_fmac_f32_e32 v170, v135, v150
	v_add_f32_e32 v1, v149, v1
	v_add_f32_e32 v2, v146, v2
	s_waitcnt vmcnt(22)
	v_mul_f32_e32 v5, v137, v155
	v_mul_f32_e32 v169, v136, v155
	v_add_f32_e32 v2, v2, v4
	v_add_f32_e32 v1, v1, v168
	s_waitcnt vmcnt(21) lgkmcnt(4)
	v_mul_f32_e32 v4, v7, v156
	v_mul_f32_e32 v171, v6, v156
	s_waitcnt vmcnt(20)
	v_mul_f32_e32 v173, v8, v158
	v_add_f32_e32 v2, v2, v134
	v_add_f32_e32 v1, v1, v170
	v_mul_f32_e32 v134, v9, v158
	s_waitcnt vmcnt(9)
	v_fma_f32 v4, v6, v191, -v4
	s_waitcnt vmcnt(8)
	v_fma_f32 v5, v136, v192, -v5
	v_fmac_f32_e32 v169, v137, v192
	v_fmac_f32_e32 v171, v7, v191
	v_fma_f32 v6, v8, v190, -v134
	s_waitcnt lgkmcnt(3)
	v_mul_f32_e32 v172, v138, v161
	v_add_f32_e32 v2, v2, v5
	v_add_f32_e32 v1, v1, v169
	v_mul_f32_e32 v5, v139, v161
	v_fmac_f32_e32 v173, v9, v190
	v_mul_f32_e32 v174, v140, v154
	v_add_f32_e32 v2, v2, v4
	v_add_f32_e32 v1, v1, v171
	v_mul_f32_e32 v4, v141, v154
	v_fma_f32 v5, v138, v167, -v5
	v_fmac_f32_e32 v172, v139, v167
	v_add_f32_e32 v2, v2, v6
	v_add_f32_e32 v1, v1, v173
	s_waitcnt lgkmcnt(2)
	v_mul_f32_e32 v6, v127, v160
	s_waitcnt vmcnt(4)
	v_fma_f32 v4, v140, v189, -v4
	v_mul_f32_e32 v176, v126, v160
	v_add_f32_e32 v2, v2, v5
	v_fmac_f32_e32 v174, v141, v189
	v_add_f32_e32 v1, v1, v172
	v_mul_f32_e32 v5, v129, v165
	v_fma_f32 v6, v126, v188, -v6
	v_add_f32_e32 v2, v2, v4
	v_mul_f32_e32 v159, v128, v165
	v_fmac_f32_e32 v176, v127, v188
	v_add_f32_e32 v1, v1, v174
	s_waitcnt lgkmcnt(1)
	v_mul_f32_e32 v4, v143, v186
	v_fma_f32 v5, v128, v187, -v5
	v_add_f32_e32 v2, v2, v6
	v_mul_f32_e32 v177, v142, v186
	v_fmac_f32_e32 v159, v129, v187
	v_add_f32_e32 v1, v1, v176
	v_mul_f32_e32 v6, v145, v166
	v_fma_f32 v4, v142, v12, -v4
	v_add_f32_e32 v2, v2, v5
	v_mul_f32_e32 v178, v144, v166
	v_fmac_f32_e32 v177, v143, v12
	v_add_f32_e32 v1, v1, v159
	s_waitcnt lgkmcnt(0)
	v_mul_f32_e32 v5, v131, v164
	s_waitcnt vmcnt(1)
	v_fma_f32 v6, v144, v194, -v6
	v_add_f32_e32 v2, v2, v4
	v_mul_f32_e32 v175, v130, v164
	v_fmac_f32_e32 v178, v145, v194
	v_add_f32_e32 v1, v1, v177
	v_mul_f32_e32 v4, v133, v163
	v_fma_f32 v5, v130, v193, -v5
	v_add_f32_e32 v2, v2, v6
	v_mul_f32_e32 v3, v132, v163
	v_fmac_f32_e32 v175, v131, v193
	v_add_f32_e32 v1, v1, v178
	v_fma_f32 v4, v132, v10, -v4
	v_add_f32_e32 v2, v2, v5
	v_fmac_f32_e32 v3, v133, v10
	v_add_f32_e32 v1, v1, v175
	v_add_f32_e32 v2, v2, v4
	;; [unrolled: 1-line block ×3, first 2 shown]
	s_waitcnt vmcnt(0)
	v_sub_f32_e32 v2, v11, v2
	v_sub_f32_e32 v1, v185, v1
	buffer_store_dword v2, off, s[0:3], 0 offset:136
	buffer_store_dword v1, off, s[0:3], 0 offset:140
	v_cmpx_lt_u32_e32 16, v0
	s_cbranch_execz .LBB119_317
; %bb.316:
	s_clause 0x1
	buffer_load_dword v1, off, s[0:3], 0 offset:128
	buffer_load_dword v2, off, s[0:3], 0 offset:132
	v_mov_b32_e32 v3, 0
	buffer_store_dword v3, off, s[0:3], 0 offset:128
	buffer_store_dword v3, off, s[0:3], 0 offset:132
	s_waitcnt vmcnt(0)
	ds_write_b64 v125, v[1:2]
.LBB119_317:
	s_or_b32 exec_lo, exec_lo, s4
	s_waitcnt lgkmcnt(0)
	s_waitcnt_vscnt null, 0x0
	s_barrier
	buffer_gl0_inv
	s_clause 0x25
	buffer_load_dword v2, off, s[0:3], 0 offset:140
	buffer_load_dword v3, off, s[0:3], 0 offset:148
	;; [unrolled: 1-line block ×38, first 2 shown]
	v_mov_b32_e32 v1, 0
	ds_read2_b64 v[4:7], v1 offset0:73 offset1:74
	ds_read2_b64 v[8:11], v1 offset0:75 offset1:76
	s_clause 0x10
	buffer_load_dword v169, off, s[0:3], 0 offset:292
	buffer_load_dword v170, off, s[0:3], 0 offset:300
	;; [unrolled: 1-line block ×17, first 2 shown]
	ds_read2_b64 v[126:129], v1 offset0:77 offset1:78
	ds_read2_b64 v[130:133], v1 offset0:79 offset1:80
	s_mov_b32 s4, exec_lo
	s_waitcnt vmcnt(54) lgkmcnt(3)
	v_mul_f32_e32 v186, v5, v2
	v_mul_f32_e32 v187, v4, v2
	s_waitcnt vmcnt(53)
	v_mul_f32_e32 v188, v6, v3
	v_mul_f32_e32 v2, v7, v3
	s_waitcnt vmcnt(52) lgkmcnt(2)
	v_mul_f32_e32 v189, v8, v12
	v_mul_f32_e32 v3, v9, v12
	s_waitcnt vmcnt(49)
	v_fma_f32 v12, v4, v136, -v186
	v_fmac_f32_e32 v187, v5, v136
	s_waitcnt vmcnt(48)
	v_mul_f32_e32 v136, v10, v137
	v_mul_f32_e32 v4, v11, v137
	v_fmac_f32_e32 v188, v7, v135
	s_waitcnt vmcnt(43) lgkmcnt(1)
	v_mul_f32_e32 v137, v127, v142
	v_fma_f32 v135, v6, v135, -v2
	v_fmac_f32_e32 v189, v9, v134
	v_fma_f32 v134, v8, v134, -v3
	v_fmac_f32_e32 v136, v11, v141
	v_fma_f32 v10, v10, v141, -v4
	ds_read2_b64 v[2:5], v1 offset0:81 offset1:82
	ds_read2_b64 v[6:9], v1 offset0:83 offset1:84
	v_mul_f32_e32 v11, v126, v142
	s_waitcnt vmcnt(42)
	v_mul_f32_e32 v141, v128, v143
	v_mul_f32_e32 v142, v129, v143
	s_waitcnt vmcnt(41) lgkmcnt(2)
	v_mul_f32_e32 v143, v130, v144
	v_fma_f32 v137, v126, v140, -v137
	s_waitcnt vmcnt(40)
	v_mul_f32_e32 v126, v133, v145
	v_mul_f32_e32 v144, v131, v144
	v_fmac_f32_e32 v11, v127, v140
	v_fmac_f32_e32 v141, v129, v139
	v_fma_f32 v139, v128, v139, -v142
	s_clause 0x3
	buffer_load_dword v186, off, s[0:3], 0 offset:356
	buffer_load_dword v190, off, s[0:3], 0 offset:364
	;; [unrolled: 1-line block ×4, first 2 shown]
	v_fmac_f32_e32 v143, v131, v138
	s_waitcnt vmcnt(40)
	v_fma_f32 v131, v132, v149, -v126
	ds_read2_b64 v[126:129], v1 offset0:85 offset1:86
	v_mul_f32_e32 v140, v132, v145
	v_fma_f32 v130, v130, v138, -v144
	s_waitcnt vmcnt(39) lgkmcnt(2)
	v_mul_f32_e32 v132, v2, v150
	v_fmac_f32_e32 v140, v133, v149
	v_mul_f32_e32 v133, v3, v150
	s_waitcnt vmcnt(37) lgkmcnt(1)
	v_mul_f32_e32 v145, v7, v152
	v_mul_f32_e32 v138, v4, v151
	;; [unrolled: 1-line block ×4, first 2 shown]
	v_fmac_f32_e32 v132, v3, v148
	v_fma_f32 v133, v2, v148, -v133
	s_waitcnt vmcnt(36)
	v_mul_f32_e32 v148, v8, v153
	v_mul_f32_e32 v2, v9, v153
	v_fma_f32 v145, v6, v146, -v145
	v_fmac_f32_e32 v138, v5, v147
	v_fma_f32 v142, v4, v147, -v142
	s_clause 0x3
	buffer_load_dword v147, off, s[0:3], 0 offset:388
	buffer_load_dword v149, off, s[0:3], 0 offset:396
	;; [unrolled: 1-line block ×4, first 2 shown]
	s_waitcnt vmcnt(35) lgkmcnt(0)
	v_mul_f32_e32 v152, v126, v158
	v_mul_f32_e32 v6, v127, v158
	v_fmac_f32_e32 v144, v7, v146
	v_fmac_f32_e32 v148, v9, v157
	v_fma_f32 v146, v8, v157, -v2
	ds_read2_b64 v[2:5], v1 offset0:87 offset1:88
	s_waitcnt vmcnt(34)
	v_mul_f32_e32 v153, v128, v159
	v_mul_f32_e32 v7, v129, v159
	buffer_load_dword v157, off, s[0:3], 0 offset:420
	v_fmac_f32_e32 v152, v127, v156
	v_fma_f32 v156, v126, v156, -v6
	v_add_f32_e32 v6, 0, v12
	s_clause 0x6
	buffer_load_dword v12, off, s[0:3], 0 offset:428
	buffer_load_dword v158, off, s[0:3], 0 offset:436
	buffer_load_dword v159, off, s[0:3], 0 offset:444
	buffer_load_dword v193, off, s[0:3], 0 offset:376
	buffer_load_dword v194, off, s[0:3], 0 offset:368
	buffer_load_dword v195, off, s[0:3], 0 offset:360
	buffer_load_dword v196, off, s[0:3], 0 offset:352
	v_fmac_f32_e32 v153, v129, v155
	v_fma_f32 v155, v128, v155, -v7
	v_add_f32_e32 v7, 0, v187
	v_add_f32_e32 v6, v6, v135
	;; [unrolled: 1-line block ×4, first 2 shown]
	s_waitcnt vmcnt(41) lgkmcnt(0)
	v_mul_f32_e32 v8, v3, v160
	v_add_f32_e32 v7, v7, v189
	s_clause 0x8
	buffer_load_dword v187, off, s[0:3], 0 offset:408
	buffer_load_dword v188, off, s[0:3], 0 offset:400
	;; [unrolled: 1-line block ×9, first 2 shown]
	v_add_f32_e32 v6, v6, v10
	v_add_f32_e32 v7, v7, v136
	v_mul_f32_e32 v10, v2, v160
	v_add_f32_e32 v6, v6, v137
	v_add_f32_e32 v7, v7, v11
	v_fmac_f32_e32 v10, v3, v154
	v_fma_f32 v11, v2, v154, -v8
	v_add_f32_e32 v6, v6, v139
	v_add_f32_e32 v7, v7, v141
	s_waitcnt vmcnt(49)
	v_mul_f32_e32 v139, v4, v161
	v_add_f32_e32 v6, v6, v130
	v_add_f32_e32 v7, v7, v143
	s_waitcnt vmcnt(45)
	v_fmac_f32_e32 v139, v5, v165
	v_add_f32_e32 v2, v6, v131
	v_add_f32_e32 v3, v7, v140
	ds_read2_b64 v[6:9], v1 offset0:89 offset1:90
	v_add_f32_e32 v126, v2, v133
	v_mul_f32_e32 v2, v5, v161
	v_add_f32_e32 v127, v3, v132
	v_add_f32_e32 v130, v126, v142
	v_fma_f32 v140, v4, v165, -v2
	ds_read2_b64 v[2:5], v1 offset0:91 offset1:92
	v_add_f32_e32 v131, v127, v138
	ds_read2_b64 v[126:129], v1 offset0:93 offset1:94
	v_add_f32_e32 v130, v130, v145
	v_add_f32_e32 v131, v131, v144
	;; [unrolled: 1-line block ×3, first 2 shown]
	s_waitcnt vmcnt(44) lgkmcnt(2)
	v_mul_f32_e32 v132, v7, v166
	v_mul_f32_e32 v142, v6, v166
	s_waitcnt vmcnt(43)
	v_mul_f32_e32 v144, v8, v167
	v_fma_f32 v143, v6, v164, -v132
	v_add_f32_e32 v6, v131, v148
	v_fmac_f32_e32 v142, v7, v164
	v_add_f32_e32 v7, v134, v156
	ds_read2_b64 v[130:133], v1 offset0:95 offset1:96
	s_waitcnt vmcnt(42) lgkmcnt(2)
	v_mul_f32_e32 v135, v3, v168
	v_add_f32_e32 v6, v6, v152
	v_mul_f32_e32 v146, v2, v168
	v_add_f32_e32 v7, v7, v155
	v_mul_f32_e32 v134, v9, v167
	v_fmac_f32_e32 v144, v9, v163
	v_add_f32_e32 v6, v6, v153
	v_fma_f32 v153, v2, v162, -v135
	v_add_f32_e32 v2, v7, v11
	v_fmac_f32_e32 v146, v3, v162
	v_fma_f32 v145, v8, v163, -v134
	v_add_f32_e32 v3, v6, v10
	s_waitcnt vmcnt(40) lgkmcnt(1)
	v_mul_f32_e32 v10, v127, v170
	v_add_f32_e32 v11, v2, v140
	v_mul_f32_e32 v138, v5, v169
	v_mul_f32_e32 v148, v4, v169
	;; [unrolled: 1-line block ×3, first 2 shown]
	s_waitcnt vmcnt(35)
	v_fma_f32 v155, v126, v175, -v10
	v_add_f32_e32 v10, v3, v139
	v_add_f32_e32 v11, v11, v143
	s_waitcnt vmcnt(34)
	v_fma_f32 v154, v4, v176, -v138
	ds_read2_b64 v[6:9], v1 offset0:97 offset1:98
	ds_read2_b64 v[134:137], v1 offset0:99 offset1:100
	v_fmac_f32_e32 v148, v5, v176
	v_add_f32_e32 v10, v10, v142
	v_add_f32_e32 v11, v11, v145
	v_mul_f32_e32 v126, v129, v171
	v_fmac_f32_e32 v152, v127, v175
	v_mul_f32_e32 v156, v128, v171
	v_add_f32_e32 v10, v10, v144
	v_add_f32_e32 v153, v11, v153
	s_waitcnt lgkmcnt(2)
	v_mul_f32_e32 v127, v131, v172
	v_fma_f32 v163, v128, v174, -v126
	v_mul_f32_e32 v160, v130, v172
	v_add_f32_e32 v146, v10, v146
	v_add_f32_e32 v153, v153, v154
	v_fmac_f32_e32 v156, v129, v174
	s_waitcnt vmcnt(33)
	v_mul_f32_e32 v162, v133, v177
	v_fma_f32 v164, v130, v173, -v127
	v_add_f32_e32 v146, v146, v148
	v_add_f32_e32 v153, v153, v155
	v_mul_f32_e32 v161, v132, v177
	v_fmac_f32_e32 v160, v131, v173
	s_waitcnt vmcnt(26)
	v_fma_f32 v162, v132, v184, -v162
	v_add_f32_e32 v146, v146, v152
	v_add_f32_e32 v153, v153, v163
	s_waitcnt lgkmcnt(1)
	v_mul_f32_e32 v165, v7, v178
	ds_read2_b64 v[2:5], v1 offset0:101 offset1:102
	ds_read2_b64 v[138:141], v1 offset0:103 offset1:104
	v_fmac_f32_e32 v161, v133, v184
	v_add_f32_e32 v146, v146, v156
	v_add_f32_e32 v153, v153, v164
	v_mul_f32_e32 v154, v6, v178
	v_mul_f32_e32 v166, v9, v179
	v_fma_f32 v6, v6, v183, -v165
	v_add_f32_e32 v146, v146, v160
	v_add_f32_e32 v153, v153, v162
	v_mul_f32_e32 v148, v8, v179
	v_fmac_f32_e32 v154, v7, v183
	s_waitcnt lgkmcnt(2)
	v_mul_f32_e32 v165, v135, v180
	v_add_f32_e32 v146, v146, v161
	v_fma_f32 v8, v8, v182, -v166
	v_add_f32_e32 v6, v153, v6
	v_mul_f32_e32 v155, v134, v180
	v_fmac_f32_e32 v148, v9, v182
	v_add_f32_e32 v146, v146, v154
	v_fma_f32 v134, v134, v181, -v165
	v_add_f32_e32 v6, v6, v8
	v_fmac_f32_e32 v155, v135, v181
	ds_read2_b64 v[126:129], v1 offset0:105 offset1:106
	ds_read2_b64 v[142:145], v1 offset0:107 offset1:108
	v_add_f32_e32 v8, v146, v148
	ds_read2_b64 v[130:133], v1 offset0:109 offset1:110
	ds_read_b64 v[10:11], v1 offset:888
	v_add_f32_e32 v6, v6, v134
	v_add_f32_e32 v8, v8, v155
	s_waitcnt vmcnt(24)
	v_mul_f32_e32 v161, v137, v186
	v_mul_f32_e32 v152, v136, v186
	s_waitcnt vmcnt(23) lgkmcnt(5)
	v_mul_f32_e32 v7, v2, v190
	v_mul_f32_e32 v135, v3, v190
	s_waitcnt vmcnt(22)
	v_mul_f32_e32 v134, v5, v191
	v_mul_f32_e32 v163, v4, v191
	s_waitcnt vmcnt(21) lgkmcnt(4)
	v_mul_f32_e32 v156, v138, v192
	s_waitcnt vmcnt(20)
	v_mul_f32_e32 v9, v140, v147
	s_waitcnt vmcnt(19) lgkmcnt(3)
	v_mul_f32_e32 v166, v126, v149
	s_waitcnt vmcnt(18)
	;; [unrolled: 4-line block ×3, first 2 shown]
	v_mul_f32_e32 v167, v144, v157
	s_waitcnt vmcnt(12)
	v_fmac_f32_e32 v156, v139, v193
	s_waitcnt vmcnt(11)
	v_fma_f32 v4, v4, v194, -v134
	s_waitcnt vmcnt(10)
	v_fmac_f32_e32 v7, v3, v195
	s_waitcnt vmcnt(9)
	v_fma_f32 v136, v136, v196, -v161
	v_fmac_f32_e32 v152, v137, v196
	v_fma_f32 v2, v2, v195, -v135
	v_fmac_f32_e32 v163, v5, v194
	v_mul_f32_e32 v5, v141, v147
	v_add_f32_e32 v3, v6, v136
	v_add_f32_e32 v6, v8, v152
	v_mul_f32_e32 v8, v139, v192
	s_waitcnt lgkmcnt(1)
	v_mul_f32_e32 v162, v130, v12
	v_mul_f32_e32 v168, v132, v158
	v_add_f32_e32 v2, v3, v2
	v_add_f32_e32 v3, v6, v7
	v_fma_f32 v6, v138, v193, -v8
	s_waitcnt vmcnt(6)
	v_fmac_f32_e32 v166, v127, v189
	s_waitcnt vmcnt(5)
	v_fma_f32 v5, v140, v197, -v5
	v_add_f32_e32 v2, v2, v4
	v_add_f32_e32 v3, v3, v163
	v_mul_f32_e32 v4, v127, v149
	v_fmac_f32_e32 v9, v141, v197
	v_fmac_f32_e32 v160, v129, v188
	v_add_f32_e32 v2, v2, v6
	v_add_f32_e32 v3, v3, v156
	v_mul_f32_e32 v6, v129, v150
	v_fma_f32 v4, v126, v189, -v4
	v_fmac_f32_e32 v164, v143, v187
	v_add_f32_e32 v2, v2, v5
	v_add_f32_e32 v3, v3, v9
	v_mul_f32_e32 v5, v143, v151
	v_fma_f32 v6, v128, v188, -v6
	s_waitcnt vmcnt(1)
	v_fmac_f32_e32 v167, v145, v201
	v_add_f32_e32 v2, v2, v4
	v_add_f32_e32 v3, v3, v166
	v_mul_f32_e32 v4, v145, v157
	v_fma_f32 v5, v142, v187, -v5
	v_fmac_f32_e32 v162, v131, v200
	v_add_f32_e32 v2, v2, v6
	v_add_f32_e32 v3, v3, v160
	v_mul_f32_e32 v6, v131, v12
	v_fma_f32 v4, v144, v201, -v4
	s_waitcnt lgkmcnt(0)
	v_mul_f32_e32 v153, v10, v159
	v_add_f32_e32 v2, v2, v5
	v_add_f32_e32 v3, v3, v164
	v_mul_f32_e32 v5, v133, v158
	v_fma_f32 v6, v130, v200, -v6
	v_fmac_f32_e32 v168, v133, v199
	v_add_f32_e32 v2, v2, v4
	v_add_f32_e32 v3, v3, v167
	v_mul_f32_e32 v4, v11, v159
	v_fma_f32 v5, v132, v199, -v5
	v_fmac_f32_e32 v153, v11, v198
	v_add_f32_e32 v2, v2, v6
	v_add_f32_e32 v3, v3, v162
	v_fma_f32 v4, v10, v198, -v4
	v_add_f32_e32 v2, v2, v5
	v_add_f32_e32 v3, v3, v168
	;; [unrolled: 1-line block ×4, first 2 shown]
	s_waitcnt vmcnt(0)
	v_sub_f32_e32 v2, v202, v2
	v_sub_f32_e32 v3, v185, v3
	buffer_store_dword v2, off, s[0:3], 0 offset:128
	buffer_store_dword v3, off, s[0:3], 0 offset:132
	v_cmpx_lt_u32_e32 15, v0
	s_cbranch_execz .LBB119_319
; %bb.318:
	s_clause 0x1
	buffer_load_dword v2, off, s[0:3], 0 offset:120
	buffer_load_dword v3, off, s[0:3], 0 offset:124
	buffer_store_dword v1, off, s[0:3], 0 offset:120
	buffer_store_dword v1, off, s[0:3], 0 offset:124
	s_waitcnt vmcnt(0)
	ds_write_b64 v125, v[2:3]
.LBB119_319:
	s_or_b32 exec_lo, exec_lo, s4
	s_waitcnt lgkmcnt(0)
	s_waitcnt_vscnt null, 0x0
	s_barrier
	buffer_gl0_inv
	s_clause 0x23
	buffer_load_dword v10, off, s[0:3], 0 offset:132
	buffer_load_dword v11, off, s[0:3], 0 offset:140
	;; [unrolled: 1-line block ×36, first 2 shown]
	ds_read_b128 v[2:5], v1 offset:576
	s_clause 0x1
	buffer_load_dword v175, off, s[0:3], 0 offset:268
	buffer_load_dword v176, off, s[0:3], 0 offset:276
	ds_read_b128 v[6:9], v1 offset:592
	ds_read_b128 v[126:129], v1 offset:608
	s_clause 0x7
	buffer_load_dword v177, off, s[0:3], 0 offset:284
	buffer_load_dword v178, off, s[0:3], 0 offset:292
	;; [unrolled: 1-line block ×8, first 2 shown]
	ds_read_b128 v[130:133], v1 offset:624
	ds_read_b128 v[134:137], v1 offset:640
	;; [unrolled: 1-line block ×3, first 2 shown]
	buffer_load_dword v187, off, s[0:3], 0 offset:124
	s_mov_b32 s4, exec_lo
	s_waitcnt vmcnt(46) lgkmcnt(5)
	v_mul_f32_e32 v185, v3, v10
	v_mul_f32_e32 v10, v2, v10
	s_waitcnt vmcnt(45)
	v_mul_f32_e32 v186, v4, v11
	v_mul_f32_e32 v11, v5, v11
	s_waitcnt vmcnt(42)
	v_fma_f32 v185, v2, v143, -v185
	v_fmac_f32_e32 v10, v3, v143
	v_fmac_f32_e32 v186, v5, v142
	v_fma_f32 v11, v4, v142, -v11
	s_waitcnt vmcnt(41) lgkmcnt(4)
	v_mul_f32_e32 v142, v6, v144
	v_mul_f32_e32 v143, v7, v144
	s_waitcnt vmcnt(40)
	v_mul_f32_e32 v144, v8, v145
	v_mul_f32_e32 v145, v9, v145
	s_waitcnt vmcnt(39) lgkmcnt(3)
	v_mul_f32_e32 v188, v126, v146
	v_mul_f32_e32 v146, v127, v146
	v_fmac_f32_e32 v142, v7, v12
	v_fma_f32 v12, v6, v12, -v143
	s_waitcnt vmcnt(38)
	v_mul_f32_e32 v143, v128, v147
	v_mul_f32_e32 v6, v129, v147
	ds_read_b128 v[2:5], v1 offset:672
	s_waitcnt vmcnt(34)
	v_fmac_f32_e32 v144, v9, v151
	v_fma_f32 v145, v8, v151, -v145
	v_fmac_f32_e32 v188, v127, v150
	v_fma_f32 v126, v126, v150, -v146
	;; [unrolled: 2-line block ×3, first 2 shown]
	s_clause 0x7
	buffer_load_dword v146, off, s[0:3], 0 offset:316
	buffer_load_dword v147, off, s[0:3], 0 offset:324
	;; [unrolled: 1-line block ×8, first 2 shown]
	s_waitcnt vmcnt(41) lgkmcnt(3)
	v_mul_f32_e32 v6, v131, v152
	s_waitcnt vmcnt(40)
	v_mul_f32_e32 v7, v133, v153
	v_mul_f32_e32 v128, v130, v152
	;; [unrolled: 1-line block ×3, first 2 shown]
	s_waitcnt vmcnt(39) lgkmcnt(2)
	v_mul_f32_e32 v152, v134, v154
	v_fma_f32 v130, v130, v148, -v6
	s_waitcnt vmcnt(34)
	v_fma_f32 v132, v132, v159, -v7
	ds_read_b128 v[6:9], v1 offset:688
	v_mul_f32_e32 v153, v135, v154
	v_fmac_f32_e32 v128, v131, v148
	v_mul_f32_e32 v131, v136, v155
	v_mul_f32_e32 v148, v137, v155
	v_fmac_f32_e32 v129, v133, v159
	v_fmac_f32_e32 v152, v135, v158
	v_fma_f32 v133, v134, v158, -v153
	v_fmac_f32_e32 v131, v137, v157
	v_fma_f32 v134, v136, v157, -v148
	s_waitcnt vmcnt(33) lgkmcnt(2)
	v_mul_f32_e32 v135, v138, v160
	v_mul_f32_e32 v136, v139, v160
	s_waitcnt vmcnt(32)
	v_mul_f32_e32 v137, v140, v161
	s_waitcnt vmcnt(31) lgkmcnt(1)
	v_mul_f32_e32 v158, v2, v162
	v_mul_f32_e32 v159, v3, v162
	;; [unrolled: 1-line block ×3, first 2 shown]
	v_fmac_f32_e32 v135, v139, v156
	v_fma_f32 v136, v138, v156, -v136
	s_waitcnt vmcnt(30)
	v_mul_f32_e32 v138, v4, v163
	v_mul_f32_e32 v139, v5, v163
	s_waitcnt vmcnt(26)
	v_fmac_f32_e32 v137, v141, v167
	v_fmac_f32_e32 v158, v3, v166
	v_fma_f32 v141, v2, v166, -v159
	s_waitcnt vmcnt(25) lgkmcnt(0)
	v_mul_f32_e32 v166, v6, v168
	v_mul_f32_e32 v2, v7, v168
	v_add_f32_e32 v3, 0, v185
	s_clause 0x3
	buffer_load_dword v148, off, s[0:3], 0 offset:348
	buffer_load_dword v153, off, s[0:3], 0 offset:356
	;; [unrolled: 1-line block ×4, first 2 shown]
	v_fma_f32 v140, v140, v167, -v157
	s_clause 0x3
	buffer_load_dword v156, off, s[0:3], 0 offset:380
	buffer_load_dword v157, off, s[0:3], 0 offset:388
	;; [unrolled: 1-line block ×4, first 2 shown]
	v_fmac_f32_e32 v138, v5, v165
	v_fma_f32 v139, v4, v165, -v139
	s_clause 0x3
	buffer_load_dword v159, off, s[0:3], 0 offset:412
	buffer_load_dword v162, off, s[0:3], 0 offset:420
	;; [unrolled: 1-line block ×4, first 2 shown]
	v_add_f32_e32 v4, 0, v10
	buffer_load_dword v10, off, s[0:3], 0 offset:444
	v_fmac_f32_e32 v166, v7, v164
	v_fma_f32 v164, v6, v164, -v2
	v_add_f32_e32 v2, v3, v11
	s_clause 0x3
	buffer_load_dword v11, off, s[0:3], 0 offset:368
	buffer_load_dword v167, off, s[0:3], 0 offset:360
	;; [unrolled: 1-line block ×4, first 2 shown]
	v_add_f32_e32 v6, v4, v186
	v_add_f32_e32 v7, v2, v12
	s_waitcnt vmcnt(41)
	v_mul_f32_e32 v2, v9, v169
	v_mul_f32_e32 v12, v8, v169
	v_add_f32_e32 v6, v6, v142
	v_add_f32_e32 v7, v7, v145
	s_waitcnt vmcnt(37)
	v_fma_f32 v169, v8, v173, -v2
	ds_read_b128 v[2:5], v1 offset:704
	v_fmac_f32_e32 v12, v9, v173
	s_clause 0x3
	buffer_load_dword v173, off, s[0:3], 0 offset:400
	buffer_load_dword v186, off, s[0:3], 0 offset:392
	;; [unrolled: 1-line block ×4, first 2 shown]
	v_add_f32_e32 v7, v7, v126
	v_add_f32_e32 v6, v6, v144
	v_add_f32_e32 v126, v7, v127
	v_add_f32_e32 v6, v6, v188
	v_add_f32_e32 v126, v126, v130
	v_add_f32_e32 v127, v6, v143
	ds_read_b128 v[6:9], v1 offset:720
	v_add_f32_e32 v127, v127, v128
	s_waitcnt vmcnt(40) lgkmcnt(1)
	v_mul_f32_e32 v142, v2, v174
	v_mul_f32_e32 v130, v3, v174
	s_waitcnt vmcnt(39)
	v_mul_f32_e32 v144, v4, v175
	v_fmac_f32_e32 v142, v3, v172
	v_fma_f32 v143, v2, v172, -v130
	s_clause 0x4
	buffer_load_dword v172, off, s[0:3], 0 offset:432
	buffer_load_dword v174, off, s[0:3], 0 offset:424
	;; [unrolled: 1-line block ×5, first 2 shown]
	v_add_f32_e32 v3, v127, v129
	v_add_f32_e32 v2, v126, v132
	v_mul_f32_e32 v126, v5, v175
	v_fmac_f32_e32 v144, v5, v171
	v_add_f32_e32 v3, v3, v152
	buffer_load_dword v152, off, s[0:3], 0 offset:120
	v_add_f32_e32 v2, v2, v133
	v_fma_f32 v145, v4, v171, -v126
	s_waitcnt vmcnt(44) lgkmcnt(0)
	v_mul_f32_e32 v171, v6, v176
	v_add_f32_e32 v127, v3, v131
	v_mul_f32_e32 v132, v7, v176
	v_add_f32_e32 v2, v2, v134
	s_waitcnt vmcnt(43)
	v_mul_f32_e32 v175, v8, v177
	v_mul_f32_e32 v133, v9, v177
	v_add_f32_e32 v131, v127, v135
	ds_read_b128 v[126:129], v1 offset:752
	v_add_f32_e32 v130, v2, v136
	ds_read_b128 v[2:5], v1 offset:736
	v_fmac_f32_e32 v171, v7, v170
	v_add_f32_e32 v131, v131, v137
	v_fma_f32 v170, v6, v170, -v132
	v_add_f32_e32 v130, v130, v140
	s_waitcnt vmcnt(36)
	v_fmac_f32_e32 v175, v9, v184
	v_fma_f32 v176, v8, v184, -v133
	v_add_f32_e32 v135, v131, v158
	v_add_f32_e32 v134, v130, v141
	ds_read_b128 v[6:9], v1 offset:768
	ds_read_b128 v[130:133], v1 offset:784
	v_add_f32_e32 v135, v135, v138
	v_add_f32_e32 v134, v134, v139
	;; [unrolled: 1-line block ×3, first 2 shown]
	s_waitcnt lgkmcnt(3)
	v_mul_f32_e32 v138, v127, v180
	v_add_f32_e32 v134, v134, v164
	v_mul_f32_e32 v164, v126, v180
	s_waitcnt lgkmcnt(2)
	v_mul_f32_e32 v136, v3, v178
	v_add_f32_e32 v12, v135, v12
	v_mul_f32_e32 v158, v2, v178
	v_add_f32_e32 v139, v134, v169
	v_mul_f32_e32 v137, v5, v179
	v_fma_f32 v178, v2, v183, -v136
	v_add_f32_e32 v12, v12, v142
	v_mul_f32_e32 v177, v4, v179
	v_add_f32_e32 v143, v139, v143
	v_fmac_f32_e32 v158, v3, v183
	v_fma_f32 v179, v4, v182, -v137
	v_add_f32_e32 v12, v12, v144
	v_fmac_f32_e32 v177, v5, v182
	v_add_f32_e32 v142, v143, v145
	v_fmac_f32_e32 v164, v127, v181
	ds_read_b128 v[2:5], v1 offset:800
	ds_read_b128 v[134:137], v1 offset:816
	v_add_f32_e32 v12, v12, v171
	v_add_f32_e32 v12, v12, v175
	;; [unrolled: 1-line block ×5, first 2 shown]
	s_waitcnt vmcnt(34)
	v_mul_f32_e32 v166, v128, v146
	s_waitcnt vmcnt(33) lgkmcnt(3)
	v_mul_f32_e32 v180, v6, v147
	v_mul_f32_e32 v143, v7, v147
	;; [unrolled: 1-line block ×3, first 2 shown]
	v_fma_f32 v146, v126, v181, -v138
	s_waitcnt vmcnt(32)
	v_mul_f32_e32 v181, v8, v149
	s_waitcnt vmcnt(28)
	v_fmac_f32_e32 v180, v7, v190
	v_add_f32_e32 v7, v142, v170
	s_waitcnt vmcnt(27)
	v_fma_f32 v169, v128, v191, -v140
	v_fmac_f32_e32 v166, v129, v191
	v_mul_f32_e32 v144, v9, v149
	v_fma_f32 v147, v6, v190, -v143
	v_add_f32_e32 v170, v7, v176
	ds_read_b128 v[126:129], v1 offset:832
	ds_read_b128 v[138:141], v1 offset:848
	v_add_f32_e32 v12, v12, v166
	v_fmac_f32_e32 v181, v9, v189
	v_fma_f32 v149, v8, v189, -v144
	v_add_f32_e32 v170, v170, v178
	ds_read_b128 v[6:9], v1 offset:864
	ds_read_b128 v[142:145], v1 offset:880
	s_waitcnt lgkmcnt(6)
	v_mul_f32_e32 v1, v130, v150
	v_mul_f32_e32 v150, v131, v150
	v_add_f32_e32 v12, v12, v180
	v_add_f32_e32 v170, v170, v179
	v_fmac_f32_e32 v1, v131, v151
	v_fma_f32 v130, v130, v151, -v150
	v_add_f32_e32 v12, v12, v181
	v_add_f32_e32 v146, v170, v146
	v_add_f32_e32 v1, v12, v1
	v_add_f32_e32 v146, v146, v169
	v_add_f32_e32 v146, v146, v147
	s_waitcnt vmcnt(26)
	v_mul_f32_e32 v158, v132, v148
	v_mul_f32_e32 v148, v133, v148
	s_waitcnt vmcnt(25) lgkmcnt(5)
	v_mul_f32_e32 v171, v2, v153
	s_waitcnt vmcnt(24)
	v_mul_f32_e32 v12, v5, v154
	v_add_f32_e32 v146, v146, v149
	v_mul_f32_e32 v149, v3, v153
	v_mul_f32_e32 v175, v4, v154
	s_waitcnt vmcnt(23) lgkmcnt(4)
	v_mul_f32_e32 v176, v134, v155
	s_waitcnt vmcnt(22)
	v_mul_f32_e32 v170, v136, v156
	v_add_f32_e32 v130, v146, v130
	s_waitcnt vmcnt(21) lgkmcnt(3)
	v_mul_f32_e32 v164, v126, v157
	s_waitcnt vmcnt(20)
	v_mul_f32_e32 v177, v128, v160
	s_waitcnt vmcnt(12)
	v_fma_f32 v4, v4, v167, -v12
	s_waitcnt vmcnt(11)
	v_fmac_f32_e32 v171, v3, v168
	s_waitcnt vmcnt(10)
	v_fma_f32 v132, v132, v185, -v148
	v_fmac_f32_e32 v158, v133, v185
	v_fma_f32 v2, v2, v168, -v149
	v_fmac_f32_e32 v175, v5, v167
	v_fmac_f32_e32 v176, v135, v11
	v_add_f32_e32 v3, v130, v132
	v_add_f32_e32 v1, v1, v158
	v_mul_f32_e32 v130, v135, v155
	s_waitcnt lgkmcnt(2)
	v_mul_f32_e32 v169, v138, v161
	v_mul_f32_e32 v166, v140, v159
	v_add_f32_e32 v2, v3, v2
	v_add_f32_e32 v1, v1, v171
	v_mul_f32_e32 v3, v137, v156
	v_fma_f32 v5, v134, v11, -v130
	s_waitcnt vmcnt(6)
	v_fmac_f32_e32 v170, v137, v193
	v_add_f32_e32 v2, v2, v4
	v_add_f32_e32 v1, v1, v175
	v_mul_f32_e32 v4, v127, v157
	v_fma_f32 v3, v136, v193, -v3
	v_fmac_f32_e32 v164, v127, v192
	v_add_f32_e32 v2, v2, v5
	v_add_f32_e32 v1, v1, v176
	v_mul_f32_e32 v5, v129, v160
	v_fma_f32 v4, v126, v192, -v4
	;; [unrolled: 5-line block ×4, first 2 shown]
	s_waitcnt lgkmcnt(1)
	v_mul_f32_e32 v178, v6, v162
	v_add_f32_e32 v2, v2, v5
	v_add_f32_e32 v1, v1, v177
	v_mul_f32_e32 v5, v7, v162
	s_waitcnt vmcnt(2)
	v_fma_f32 v4, v140, v194, -v4
	v_fmac_f32_e32 v166, v141, v194
	v_add_f32_e32 v2, v2, v3
	v_add_f32_e32 v1, v1, v169
	v_mul_f32_e32 v3, v9, v163
	v_fma_f32 v5, v6, v188, -v5
	v_mul_f32_e32 v147, v8, v163
	v_add_f32_e32 v2, v2, v4
	v_fmac_f32_e32 v178, v7, v188
	v_add_f32_e32 v1, v1, v166
	s_waitcnt lgkmcnt(0)
	v_mul_f32_e32 v4, v143, v165
	v_fma_f32 v3, v8, v174, -v3
	v_add_f32_e32 v2, v2, v5
	v_mul_f32_e32 v179, v142, v165
	v_fmac_f32_e32 v147, v9, v174
	v_add_f32_e32 v1, v1, v178
	v_mul_f32_e32 v5, v145, v10
	v_fma_f32 v4, v142, v172, -v4
	v_add_f32_e32 v2, v2, v3
	v_mul_f32_e32 v131, v144, v10
	v_fmac_f32_e32 v179, v143, v172
	v_add_f32_e32 v1, v1, v147
	s_waitcnt vmcnt(1)
	v_fma_f32 v3, v144, v195, -v5
	v_add_f32_e32 v2, v2, v4
	v_fmac_f32_e32 v131, v145, v195
	v_add_f32_e32 v1, v1, v179
	v_add_f32_e32 v2, v2, v3
	;; [unrolled: 1-line block ×3, first 2 shown]
	s_waitcnt vmcnt(0)
	v_sub_f32_e32 v2, v152, v2
	v_sub_f32_e32 v1, v187, v1
	buffer_store_dword v2, off, s[0:3], 0 offset:120
	buffer_store_dword v1, off, s[0:3], 0 offset:124
	v_cmpx_lt_u32_e32 14, v0
	s_cbranch_execz .LBB119_321
; %bb.320:
	s_clause 0x1
	buffer_load_dword v1, off, s[0:3], 0 offset:112
	buffer_load_dword v2, off, s[0:3], 0 offset:116
	v_mov_b32_e32 v3, 0
	buffer_store_dword v3, off, s[0:3], 0 offset:112
	buffer_store_dword v3, off, s[0:3], 0 offset:116
	s_waitcnt vmcnt(0)
	ds_write_b64 v125, v[1:2]
.LBB119_321:
	s_or_b32 exec_lo, exec_lo, s4
	s_waitcnt lgkmcnt(0)
	s_waitcnt_vscnt null, 0x0
	s_barrier
	buffer_gl0_inv
	s_clause 0x23
	buffer_load_dword v3, off, s[0:3], 0 offset:124
	buffer_load_dword v2, off, s[0:3], 0 offset:132
	buffer_load_dword v12, off, s[0:3], 0 offset:136
	buffer_load_dword v142, off, s[0:3], 0 offset:128
	buffer_load_dword v143, off, s[0:3], 0 offset:120
	buffer_load_dword v144, off, s[0:3], 0 offset:140
	buffer_load_dword v145, off, s[0:3], 0 offset:148
	buffer_load_dword v146, off, s[0:3], 0 offset:156
	buffer_load_dword v147, off, s[0:3], 0 offset:168
	buffer_load_dword v148, off, s[0:3], 0 offset:160
	buffer_load_dword v149, off, s[0:3], 0 offset:152
	buffer_load_dword v150, off, s[0:3], 0 offset:144
	buffer_load_dword v151, off, s[0:3], 0 offset:164
	buffer_load_dword v152, off, s[0:3], 0 offset:172
	buffer_load_dword v153, off, s[0:3], 0 offset:180
	buffer_load_dword v154, off, s[0:3], 0 offset:200
	buffer_load_dword v155, off, s[0:3], 0 offset:192
	buffer_load_dword v156, off, s[0:3], 0 offset:184
	buffer_load_dword v157, off, s[0:3], 0 offset:176
	buffer_load_dword v158, off, s[0:3], 0 offset:188
	buffer_load_dword v159, off, s[0:3], 0 offset:196
	buffer_load_dword v160, off, s[0:3], 0 offset:204
	buffer_load_dword v161, off, s[0:3], 0 offset:212
	buffer_load_dword v162, off, s[0:3], 0 offset:220
	buffer_load_dword v163, off, s[0:3], 0 offset:232
	buffer_load_dword v164, off, s[0:3], 0 offset:224
	buffer_load_dword v165, off, s[0:3], 0 offset:216
	buffer_load_dword v166, off, s[0:3], 0 offset:208
	buffer_load_dword v167, off, s[0:3], 0 offset:228
	buffer_load_dword v168, off, s[0:3], 0 offset:236
	buffer_load_dword v169, off, s[0:3], 0 offset:244
	buffer_load_dword v170, off, s[0:3], 0 offset:264
	buffer_load_dword v171, off, s[0:3], 0 offset:256
	buffer_load_dword v172, off, s[0:3], 0 offset:248
	buffer_load_dword v173, off, s[0:3], 0 offset:240
	buffer_load_dword v174, off, s[0:3], 0 offset:252
	v_mov_b32_e32 v1, 0
	s_mov_b32 s4, exec_lo
	ds_read2_b64 v[4:7], v1 offset0:71 offset1:72
	s_clause 0x1
	buffer_load_dword v175, off, s[0:3], 0 offset:260
	buffer_load_dword v176, off, s[0:3], 0 offset:268
	ds_read2_b64 v[8:11], v1 offset0:73 offset1:74
	s_clause 0x8
	buffer_load_dword v177, off, s[0:3], 0 offset:276
	buffer_load_dword v178, off, s[0:3], 0 offset:284
	;; [unrolled: 1-line block ×9, first 2 shown]
	ds_read2_b64 v[126:129], v1 offset0:75 offset1:76
	ds_read2_b64 v[130:133], v1 offset0:77 offset1:78
	buffer_load_dword v186, off, s[0:3], 0 offset:116
	ds_read2_b64 v[134:137], v1 offset0:79 offset1:80
	ds_read2_b64 v[138:141], v1 offset0:81 offset1:82
	s_waitcnt vmcnt(47) lgkmcnt(5)
	v_mul_f32_e32 v187, v5, v3
	v_mul_f32_e32 v188, v4, v3
	s_waitcnt vmcnt(46)
	v_mul_f32_e32 v189, v6, v2
	v_mul_f32_e32 v2, v7, v2
	s_waitcnt vmcnt(43)
	v_fma_f32 v187, v4, v143, -v187
	v_fmac_f32_e32 v188, v5, v143
	s_waitcnt vmcnt(42) lgkmcnt(4)
	v_mul_f32_e32 v143, v8, v144
	v_mul_f32_e32 v144, v9, v144
	v_fmac_f32_e32 v189, v7, v142
	v_fma_f32 v142, v6, v142, -v2
	s_waitcnt vmcnt(41)
	v_mul_f32_e32 v190, v10, v145
	v_mul_f32_e32 v6, v11, v145
	v_fmac_f32_e32 v143, v9, v12
	v_fma_f32 v12, v8, v12, -v144
	s_waitcnt vmcnt(40) lgkmcnt(3)
	v_mul_f32_e32 v144, v126, v146
	v_mul_f32_e32 v7, v127, v146
	s_waitcnt vmcnt(36)
	v_fmac_f32_e32 v190, v11, v150
	v_fma_f32 v10, v10, v150, -v6
	s_waitcnt vmcnt(35)
	v_mul_f32_e32 v11, v128, v151
	v_mul_f32_e32 v6, v129, v151
	ds_read2_b64 v[2:5], v1 offset0:83 offset1:84
	s_waitcnt vmcnt(34) lgkmcnt(3)
	v_mul_f32_e32 v145, v130, v152
	v_mul_f32_e32 v8, v131, v152
	s_waitcnt vmcnt(33)
	v_mul_f32_e32 v146, v132, v153
	v_mul_f32_e32 v9, v133, v153
	v_fmac_f32_e32 v144, v127, v149
	v_fma_f32 v126, v126, v149, -v7
	v_fmac_f32_e32 v11, v129, v148
	v_fma_f32 v127, v128, v148, -v6
	s_clause 0x6
	buffer_load_dword v148, off, s[0:3], 0 offset:316
	buffer_load_dword v149, off, s[0:3], 0 offset:324
	;; [unrolled: 1-line block ×7, first 2 shown]
	v_fma_f32 v128, v130, v147, -v8
	s_waitcnt vmcnt(36)
	v_fma_f32 v129, v132, v157, -v9
	ds_read2_b64 v[6:9], v1 offset0:85 offset1:86
	v_fmac_f32_e32 v145, v131, v147
	v_fmac_f32_e32 v146, v133, v157
	s_waitcnt vmcnt(35) lgkmcnt(3)
	v_mul_f32_e32 v131, v135, v158
	s_waitcnt vmcnt(34)
	v_mul_f32_e32 v132, v136, v159
	v_mul_f32_e32 v133, v137, v159
	;; [unrolled: 1-line block ×3, first 2 shown]
	s_waitcnt vmcnt(33) lgkmcnt(2)
	v_mul_f32_e32 v147, v138, v160
	v_mul_f32_e32 v157, v139, v160
	v_fma_f32 v131, v134, v156, -v131
	s_waitcnt vmcnt(32)
	v_mul_f32_e32 v134, v140, v161
	v_fmac_f32_e32 v132, v137, v155
	v_fma_f32 v133, v136, v155, -v133
	s_waitcnt vmcnt(31) lgkmcnt(1)
	v_mul_f32_e32 v136, v2, v162
	v_mul_f32_e32 v137, v3, v162
	v_fmac_f32_e32 v130, v135, v156
	v_mul_f32_e32 v135, v141, v161
	v_fmac_f32_e32 v147, v139, v154
	v_fma_f32 v138, v138, v154, -v157
	s_waitcnt vmcnt(27)
	v_fmac_f32_e32 v134, v141, v166
	s_clause 0x7
	buffer_load_dword v154, off, s[0:3], 0 offset:340
	buffer_load_dword v155, off, s[0:3], 0 offset:348
	;; [unrolled: 1-line block ×8, first 2 shown]
	v_fmac_f32_e32 v136, v3, v165
	v_fma_f32 v137, v2, v165, -v137
	s_waitcnt vmcnt(33) lgkmcnt(0)
	v_mul_f32_e32 v141, v6, v168
	v_mul_f32_e32 v2, v7, v168
	v_add_f32_e32 v3, 0, v187
	v_fma_f32 v135, v140, v166, -v135
	v_mul_f32_e32 v139, v4, v167
	v_fmac_f32_e32 v141, v7, v163
	v_fma_f32 v163, v6, v163, -v2
	v_add_f32_e32 v2, 0, v188
	v_add_f32_e32 v3, v3, v142
	v_mul_f32_e32 v140, v5, v167
	s_clause 0x1
	buffer_load_dword v162, off, s[0:3], 0 offset:372
	buffer_load_dword v165, off, s[0:3], 0 offset:380
	v_fmac_f32_e32 v139, v5, v164
	v_add_f32_e32 v2, v2, v189
	v_add_f32_e32 v6, v3, v12
	s_waitcnt vmcnt(34)
	v_mul_f32_e32 v3, v9, v169
	v_fma_f32 v140, v4, v164, -v140
	s_clause 0x5
	buffer_load_dword v164, off, s[0:3], 0 offset:388
	buffer_load_dword v166, off, s[0:3], 0 offset:396
	;; [unrolled: 1-line block ×6, first 2 shown]
	v_mul_f32_e32 v12, v8, v169
	v_add_f32_e32 v7, v2, v143
	s_waitcnt vmcnt(36)
	v_fma_f32 v142, v8, v173, -v3
	ds_read2_b64 v[2:5], v1 offset0:87 offset1:88
	s_clause 0x1
	buffer_load_dword v189, off, s[0:3], 0 offset:436
	buffer_load_dword v169, off, s[0:3], 0 offset:444
	v_fmac_f32_e32 v12, v9, v173
	v_add_f32_e32 v7, v7, v190
	s_clause 0x3
	buffer_load_dword v173, off, s[0:3], 0 offset:392
	buffer_load_dword v190, off, s[0:3], 0 offset:384
	;; [unrolled: 1-line block ×4, first 2 shown]
	v_add_f32_e32 v6, v6, v10
	v_add_f32_e32 v7, v7, v144
	;; [unrolled: 1-line block ×6, first 2 shown]
	s_waitcnt vmcnt(41) lgkmcnt(0)
	v_mul_f32_e32 v143, v2, v174
	v_mul_f32_e32 v126, v3, v174
	v_add_f32_e32 v11, v6, v128
	ds_read2_b64 v[6:9], v1 offset0:89 offset1:90
	v_fmac_f32_e32 v143, v3, v172
	v_fma_f32 v144, v2, v172, -v126
	v_add_f32_e32 v2, v10, v146
	s_clause 0x6
	buffer_load_dword v146, off, s[0:3], 0 offset:424
	buffer_load_dword v172, off, s[0:3], 0 offset:416
	buffer_load_dword v174, off, s[0:3], 0 offset:408
	buffer_load_dword v194, off, s[0:3], 0 offset:400
	buffer_load_dword v195, off, s[0:3], 0 offset:440
	buffer_load_dword v196, off, s[0:3], 0 offset:432
	buffer_load_dword v197, off, s[0:3], 0 offset:112
	v_add_f32_e32 v11, v11, v129
	v_add_f32_e32 v2, v2, v130
	s_waitcnt vmcnt(47)
	v_mul_f32_e32 v10, v4, v175
	v_add_f32_e32 v3, v11, v131
	v_add_f32_e32 v2, v2, v132
	v_mul_f32_e32 v11, v5, v175
	v_fmac_f32_e32 v10, v5, v171
	v_add_f32_e32 v3, v3, v133
	v_add_f32_e32 v126, v2, v147
	s_waitcnt vmcnt(46) lgkmcnt(0)
	v_mul_f32_e32 v145, v6, v176
	v_mul_f32_e32 v132, v7, v176
	s_waitcnt vmcnt(45)
	v_mul_f32_e32 v147, v8, v177
	v_add_f32_e32 v3, v3, v138
	v_add_f32_e32 v131, v126, v134
	v_mul_f32_e32 v133, v9, v177
	v_fma_f32 v11, v4, v171, -v11
	ds_read2_b64 v[126:129], v1 offset0:93 offset1:94
	v_add_f32_e32 v130, v3, v135
	v_add_f32_e32 v131, v131, v136
	ds_read2_b64 v[2:5], v1 offset0:91 offset1:92
	v_fmac_f32_e32 v145, v7, v170
	v_fma_f32 v170, v6, v170, -v132
	v_add_f32_e32 v130, v130, v137
	v_add_f32_e32 v135, v131, v139
	s_waitcnt vmcnt(38)
	v_fmac_f32_e32 v147, v9, v184
	v_fma_f32 v171, v8, v184, -v133
	v_add_f32_e32 v134, v130, v140
	ds_read2_b64 v[6:9], v1 offset0:95 offset1:96
	ds_read2_b64 v[130:133], v1 offset0:97 offset1:98
	v_add_f32_e32 v135, v135, v141
	v_add_f32_e32 v134, v134, v163
	;; [unrolled: 1-line block ×3, first 2 shown]
	s_waitcnt lgkmcnt(3)
	v_mul_f32_e32 v138, v127, v180
	v_add_f32_e32 v134, v134, v142
	v_mul_f32_e32 v176, v126, v180
	v_add_f32_e32 v12, v12, v143
	s_waitcnt lgkmcnt(2)
	v_mul_f32_e32 v136, v3, v178
	v_mul_f32_e32 v163, v2, v178
	v_add_f32_e32 v139, v134, v144
	v_mul_f32_e32 v137, v5, v179
	v_add_f32_e32 v10, v12, v10
	v_fma_f32 v142, v2, v183, -v136
	v_mul_f32_e32 v175, v4, v179
	v_add_f32_e32 v11, v139, v11
	v_fmac_f32_e32 v163, v3, v183
	v_add_f32_e32 v10, v10, v145
	v_fma_f32 v178, v4, v182, -v137
	v_fmac_f32_e32 v175, v5, v182
	v_add_f32_e32 v11, v11, v170
	s_waitcnt vmcnt(37)
	v_mul_f32_e32 v140, v129, v185
	v_add_f32_e32 v10, v10, v147
	v_fma_f32 v179, v126, v181, -v138
	v_mul_f32_e32 v177, v128, v185
	v_fmac_f32_e32 v176, v127, v181
	ds_read2_b64 v[2:5], v1 offset0:99 offset1:100
	ds_read2_b64 v[134:137], v1 offset0:101 offset1:102
	s_waitcnt vmcnt(35) lgkmcnt(3)
	v_mul_f32_e32 v12, v6, v148
	v_mul_f32_e32 v143, v7, v148
	s_waitcnt vmcnt(34)
	v_mul_f32_e32 v170, v8, v149
	v_mul_f32_e32 v144, v9, v149
	s_waitcnt vmcnt(30)
	v_fmac_f32_e32 v12, v7, v153
	v_add_f32_e32 v7, v11, v171
	v_fmac_f32_e32 v170, v9, v152
	v_fma_f32 v148, v8, v152, -v144
	v_add_f32_e32 v152, v10, v163
	s_waitcnt vmcnt(29)
	v_fma_f32 v180, v128, v191, -v140
	v_add_f32_e32 v149, v7, v142
	v_fmac_f32_e32 v177, v129, v191
	v_fma_f32 v147, v6, v153, -v143
	v_add_f32_e32 v152, v152, v175
	s_waitcnt lgkmcnt(2)
	v_mul_f32_e32 v153, v130, v150
	v_add_f32_e32 v149, v149, v178
	v_mul_f32_e32 v150, v131, v150
	ds_read2_b64 v[126:129], v1 offset0:103 offset1:104
	ds_read2_b64 v[138:141], v1 offset0:105 offset1:106
	v_add_f32_e32 v152, v152, v176
	v_fmac_f32_e32 v153, v131, v151
	v_add_f32_e32 v149, v149, v179
	v_fma_f32 v130, v130, v151, -v150
	s_waitcnt vmcnt(28)
	v_mul_f32_e32 v163, v132, v154
	v_add_f32_e32 v151, v152, v177
	v_mul_f32_e32 v154, v133, v154
	v_add_f32_e32 v149, v149, v180
	s_waitcnt vmcnt(27) lgkmcnt(3)
	v_mul_f32_e32 v171, v2, v155
	v_mul_f32_e32 v155, v3, v155
	v_add_f32_e32 v12, v151, v12
	s_waitcnt vmcnt(21)
	v_fma_f32 v132, v132, v161, -v154
	v_add_f32_e32 v147, v149, v147
	v_fmac_f32_e32 v163, v133, v161
	v_fmac_f32_e32 v171, v3, v160
	v_add_f32_e32 v12, v12, v170
	v_fma_f32 v2, v2, v160, -v155
	v_add_f32_e32 v147, v147, v148
	v_mul_f32_e32 v148, v5, v156
	v_mul_f32_e32 v175, v4, v156
	v_add_f32_e32 v12, v12, v153
	s_waitcnt lgkmcnt(2)
	v_mul_f32_e32 v131, v134, v157
	v_add_f32_e32 v130, v147, v130
	v_fma_f32 v4, v4, v159, -v148
	v_fmac_f32_e32 v175, v5, v159
	v_add_f32_e32 v12, v12, v163
	s_waitcnt vmcnt(20)
	v_mul_f32_e32 v5, v137, v162
	v_add_f32_e32 v3, v130, v132
	v_mul_f32_e32 v130, v135, v157
	v_mul_f32_e32 v150, v136, v162
	v_fmac_f32_e32 v131, v135, v158
	s_waitcnt vmcnt(19) lgkmcnt(1)
	v_mul_f32_e32 v152, v126, v165
	v_add_f32_e32 v2, v3, v2
	v_add_f32_e32 v3, v12, v171
	v_fma_f32 v12, v134, v158, -v130
	ds_read2_b64 v[6:9], v1 offset0:107 offset1:108
	ds_read2_b64 v[142:145], v1 offset0:109 offset1:110
	ds_read_b64 v[10:11], v1 offset:888
	s_waitcnt vmcnt(18)
	v_mul_f32_e32 v133, v128, v164
	v_add_f32_e32 v2, v2, v4
	v_add_f32_e32 v3, v3, v175
	v_mul_f32_e32 v4, v127, v165
	s_waitcnt vmcnt(7)
	v_fma_f32 v5, v136, v193, -v5
	v_fmac_f32_e32 v150, v137, v193
	v_add_f32_e32 v2, v2, v12
	v_add_f32_e32 v3, v3, v131
	v_mul_f32_e32 v12, v129, v164
	v_fma_f32 v4, v126, v192, -v4
	v_fmac_f32_e32 v152, v127, v192
	v_add_f32_e32 v2, v2, v5
	v_add_f32_e32 v3, v3, v150
	s_waitcnt lgkmcnt(3)
	v_mul_f32_e32 v5, v139, v166
	v_fma_f32 v12, v128, v190, -v12
	v_mul_f32_e32 v154, v138, v166
	v_add_f32_e32 v2, v2, v4
	v_fmac_f32_e32 v133, v129, v190
	v_add_f32_e32 v3, v3, v152
	v_mul_f32_e32 v4, v141, v167
	v_fma_f32 v5, v138, v173, -v5
	v_add_f32_e32 v2, v2, v12
	v_mul_f32_e32 v149, v140, v167
	v_fmac_f32_e32 v154, v139, v173
	v_add_f32_e32 v3, v3, v133
	s_waitcnt lgkmcnt(2)
	v_mul_f32_e32 v12, v7, v168
	s_waitcnt vmcnt(3)
	v_fma_f32 v4, v140, v194, -v4
	v_add_f32_e32 v2, v2, v5
	v_mul_f32_e32 v151, v6, v168
	v_fmac_f32_e32 v149, v141, v194
	v_add_f32_e32 v3, v3, v154
	v_mul_f32_e32 v5, v9, v187
	v_fma_f32 v6, v6, v174, -v12
	v_add_f32_e32 v2, v2, v4
	v_mul_f32_e32 v161, v8, v187
	v_fmac_f32_e32 v151, v7, v174
	v_add_f32_e32 v3, v3, v149
	s_waitcnt lgkmcnt(1)
	v_mul_f32_e32 v4, v143, v188
	v_fma_f32 v5, v8, v172, -v5
	v_add_f32_e32 v2, v2, v6
	v_mul_f32_e32 v156, v142, v188
	v_fmac_f32_e32 v161, v9, v172
	v_add_f32_e32 v3, v3, v151
	v_mul_f32_e32 v6, v145, v189
	v_fma_f32 v4, v142, v146, -v4
	v_add_f32_e32 v2, v2, v5
	v_mul_f32_e32 v170, v144, v189
	v_fmac_f32_e32 v156, v143, v146
	v_add_f32_e32 v3, v3, v161
	s_waitcnt lgkmcnt(0)
	v_mul_f32_e32 v5, v11, v169
	s_waitcnt vmcnt(1)
	v_fma_f32 v6, v144, v196, -v6
	v_add_f32_e32 v2, v2, v4
	v_mul_f32_e32 v147, v10, v169
	v_fmac_f32_e32 v170, v145, v196
	v_add_f32_e32 v3, v3, v156
	v_fma_f32 v4, v10, v195, -v5
	v_add_f32_e32 v2, v2, v6
	v_fmac_f32_e32 v147, v11, v195
	v_add_f32_e32 v3, v3, v170
	v_add_f32_e32 v2, v2, v4
	;; [unrolled: 1-line block ×3, first 2 shown]
	s_waitcnt vmcnt(0)
	v_sub_f32_e32 v2, v197, v2
	v_sub_f32_e32 v3, v186, v3
	buffer_store_dword v2, off, s[0:3], 0 offset:112
	buffer_store_dword v3, off, s[0:3], 0 offset:116
	v_cmpx_lt_u32_e32 13, v0
	s_cbranch_execz .LBB119_323
; %bb.322:
	s_clause 0x1
	buffer_load_dword v2, off, s[0:3], 0 offset:104
	buffer_load_dword v3, off, s[0:3], 0 offset:108
	buffer_store_dword v1, off, s[0:3], 0 offset:104
	buffer_store_dword v1, off, s[0:3], 0 offset:108
	s_waitcnt vmcnt(0)
	ds_write_b64 v125, v[2:3]
.LBB119_323:
	s_or_b32 exec_lo, exec_lo, s4
	s_waitcnt lgkmcnt(0)
	s_waitcnt_vscnt null, 0x0
	s_barrier
	buffer_gl0_inv
	s_clause 0x24
	buffer_load_dword v2, off, s[0:3], 0 offset:116
	buffer_load_dword v3, off, s[0:3], 0 offset:124
	;; [unrolled: 1-line block ×37, first 2 shown]
	ds_read_b128 v[6:9], v1 offset:560
	ds_read_b128 v[126:129], v1 offset:576
	s_clause 0x8
	buffer_load_dword v178, off, s[0:3], 0 offset:260
	buffer_load_dword v179, off, s[0:3], 0 offset:268
	;; [unrolled: 1-line block ×9, first 2 shown]
	ds_read_b128 v[130:133], v1 offset:592
	ds_read_b128 v[134:137], v1 offset:608
	;; [unrolled: 1-line block ×4, first 2 shown]
	buffer_load_dword v185, off, s[0:3], 0 offset:108
	s_mov_b32 s4, exec_lo
	s_waitcnt vmcnt(46) lgkmcnt(5)
	v_mul_f32_e32 v186, v7, v2
	v_mul_f32_e32 v2, v6, v2
	s_waitcnt vmcnt(45)
	v_mul_f32_e32 v187, v8, v3
	v_mul_f32_e32 v3, v9, v3
	s_waitcnt vmcnt(44) lgkmcnt(4)
	v_mul_f32_e32 v188, v126, v10
	v_mul_f32_e32 v10, v127, v10
	s_waitcnt vmcnt(41)
	v_fma_f32 v186, v6, v146, -v186
	v_fmac_f32_e32 v2, v7, v146
	s_waitcnt vmcnt(40)
	v_mul_f32_e32 v146, v128, v147
	v_mul_f32_e32 v6, v129, v147
	v_fmac_f32_e32 v187, v9, v12
	v_fma_f32 v3, v8, v12, -v3
	s_waitcnt vmcnt(35) lgkmcnt(3)
	v_mul_f32_e32 v12, v130, v152
	v_mul_f32_e32 v147, v131, v152
	v_fmac_f32_e32 v188, v127, v11
	v_fma_f32 v10, v126, v11, -v10
	v_fmac_f32_e32 v146, v129, v151
	v_fma_f32 v11, v128, v151, -v6
	s_waitcnt vmcnt(34)
	v_mul_f32_e32 v151, v132, v153
	v_mul_f32_e32 v152, v133, v153
	s_waitcnt vmcnt(33) lgkmcnt(2)
	v_mul_f32_e32 v153, v134, v154
	v_mul_f32_e32 v154, v135, v154
	v_fmac_f32_e32 v12, v131, v150
	v_fma_f32 v147, v130, v150, -v147
	s_waitcnt vmcnt(32)
	v_mul_f32_e32 v150, v136, v155
	v_mul_f32_e32 v130, v137, v155
	ds_read_b128 v[6:9], v1 offset:656
	ds_read_b128 v[126:129], v1 offset:672
	v_fmac_f32_e32 v151, v133, v149
	v_fma_f32 v149, v132, v149, -v152
	s_waitcnt vmcnt(31) lgkmcnt(3)
	v_mul_f32_e32 v152, v138, v156
	v_mul_f32_e32 v131, v139, v156
	s_waitcnt vmcnt(30)
	v_mul_f32_e32 v155, v140, v157
	v_mul_f32_e32 v132, v141, v157
	v_fmac_f32_e32 v153, v135, v148
	v_fma_f32 v134, v134, v148, -v154
	s_waitcnt vmcnt(26)
	v_fmac_f32_e32 v150, v137, v161
	v_fma_f32 v135, v136, v161, -v130
	s_clause 0x7
	buffer_load_dword v148, off, s[0:3], 0 offset:300
	buffer_load_dword v154, off, s[0:3], 0 offset:308
	buffer_load_dword v156, off, s[0:3], 0 offset:316
	buffer_load_dword v157, off, s[0:3], 0 offset:324
	buffer_load_dword v161, off, s[0:3], 0 offset:320
	buffer_load_dword v189, off, s[0:3], 0 offset:312
	buffer_load_dword v190, off, s[0:3], 0 offset:304
	buffer_load_dword v191, off, s[0:3], 0 offset:296
	v_fmac_f32_e32 v152, v139, v160
	v_fma_f32 v136, v138, v160, -v131
	v_fmac_f32_e32 v155, v141, v159
	v_fma_f32 v137, v140, v159, -v132
	s_waitcnt vmcnt(33) lgkmcnt(2)
	v_mul_f32_e32 v138, v142, v162
	v_mul_f32_e32 v139, v143, v162
	s_waitcnt vmcnt(32)
	v_mul_f32_e32 v140, v144, v163
	v_mul_f32_e32 v141, v145, v163
	ds_read_b128 v[130:133], v1 offset:688
	buffer_load_dword v159, off, s[0:3], 0 offset:332
	v_fmac_f32_e32 v138, v143, v158
	v_fma_f32 v139, v142, v158, -v139
	s_waitcnt vmcnt(32) lgkmcnt(2)
	v_mul_f32_e32 v142, v6, v164
	v_mul_f32_e32 v143, v7, v164
	s_waitcnt vmcnt(28)
	v_fmac_f32_e32 v140, v145, v168
	v_fma_f32 v141, v144, v168, -v141
	s_waitcnt vmcnt(27)
	v_mul_f32_e32 v144, v8, v169
	v_mul_f32_e32 v145, v9, v169
	v_fmac_f32_e32 v142, v7, v167
	v_fma_f32 v143, v6, v167, -v143
	s_waitcnt vmcnt(26) lgkmcnt(1)
	v_mul_f32_e32 v158, v126, v170
	v_fmac_f32_e32 v144, v9, v166
	v_fma_f32 v145, v8, v166, -v145
	s_clause 0x4
	buffer_load_dword v162, off, s[0:3], 0 offset:340
	buffer_load_dword v163, off, s[0:3], 0 offset:352
	;; [unrolled: 1-line block ×5, first 2 shown]
	v_mul_f32_e32 v160, v127, v170
	s_waitcnt vmcnt(30)
	v_mul_f32_e32 v169, v129, v171
	v_fmac_f32_e32 v158, v127, v165
	v_add_f32_e32 v2, 0, v2
	v_mul_f32_e32 v168, v128, v171
	v_fma_f32 v160, v126, v165, -v160
	s_waitcnt vmcnt(26)
	v_fma_f32 v165, v128, v175, -v169
	s_waitcnt vmcnt(25) lgkmcnt(0)
	v_mul_f32_e32 v169, v130, v176
	v_mul_f32_e32 v126, v131, v176
	v_add_f32_e32 v2, v2, v187
	ds_read_b128 v[6:9], v1 offset:704
	s_clause 0x1
	buffer_load_dword v170, off, s[0:3], 0 offset:348
	buffer_load_dword v171, off, s[0:3], 0 offset:356
	v_fmac_f32_e32 v169, v131, v174
	v_fma_f32 v174, v130, v174, -v126
	v_add_f32_e32 v126, 0, v186
	v_add_f32_e32 v2, v2, v188
	v_fmac_f32_e32 v168, v129, v175
	s_waitcnt vmcnt(26)
	v_mul_f32_e32 v175, v132, v177
	v_mul_f32_e32 v127, v133, v177
	v_add_f32_e32 v3, v126, v3
	v_add_f32_e32 v2, v2, v146
	s_clause 0x4
	buffer_load_dword v176, off, s[0:3], 0 offset:364
	buffer_load_dword v177, off, s[0:3], 0 offset:372
	;; [unrolled: 1-line block ×5, first 2 shown]
	v_add_f32_e32 v3, v3, v10
	s_clause 0x5
	buffer_load_dword v194, off, s[0:3], 0 offset:404
	buffer_load_dword v195, off, s[0:3], 0 offset:412
	;; [unrolled: 1-line block ×6, first 2 shown]
	v_add_f32_e32 v3, v3, v11
	v_add_f32_e32 v2, v2, v12
	s_waitcnt vmcnt(36) lgkmcnt(0)
	v_mul_f32_e32 v200, v6, v178
	v_mul_f32_e32 v126, v7, v178
	v_fmac_f32_e32 v175, v133, v173
	v_add_f32_e32 v3, v3, v147
	s_clause 0x3
	buffer_load_dword v11, off, s[0:3], 0 offset:384
	buffer_load_dword v12, off, s[0:3], 0 offset:376
	;; [unrolled: 1-line block ×4, first 2 shown]
	v_add_f32_e32 v2, v2, v151
	v_fma_f32 v173, v132, v173, -v127
	v_fmac_f32_e32 v200, v7, v172
	v_add_f32_e32 v3, v3, v149
	v_add_f32_e32 v2, v2, v153
	s_clause 0x3
	buffer_load_dword v149, off, s[0:3], 0 offset:416
	buffer_load_dword v151, off, s[0:3], 0 offset:408
	;; [unrolled: 1-line block ×4, first 2 shown]
	v_add_f32_e32 v3, v3, v134
	v_add_f32_e32 v2, v2, v150
	s_clause 0x2
	buffer_load_dword v150, off, s[0:3], 0 offset:440
	buffer_load_dword v198, off, s[0:3], 0 offset:432
	;; [unrolled: 1-line block ×3, first 2 shown]
	ds_read_b128 v[130:133], v1 offset:752
	v_add_f32_e32 v3, v3, v135
	v_add_f32_e32 v2, v2, v152
	buffer_load_dword v152, off, s[0:3], 0 offset:104
	v_add_f32_e32 v3, v3, v136
	v_add_f32_e32 v2, v2, v155
	v_fma_f32 v155, v6, v172, -v126
	ds_read_b128 v[126:129], v1 offset:720
	v_add_f32_e32 v3, v3, v137
	s_waitcnt vmcnt(47)
	v_mul_f32_e32 v172, v8, v179
	v_add_f32_e32 v2, v2, v138
	v_mul_f32_e32 v6, v9, v179
	v_add_f32_e32 v3, v3, v139
	s_waitcnt vmcnt(40)
	v_fmac_f32_e32 v172, v9, v184
	v_add_f32_e32 v2, v2, v140
	v_fma_f32 v178, v8, v184, -v6
	ds_read_b128 v[6:9], v1 offset:736
	v_add_f32_e32 v3, v3, v141
	v_add_f32_e32 v2, v2, v142
	;; [unrolled: 1-line block ×4, first 2 shown]
	s_waitcnt lgkmcnt(1)
	v_mul_f32_e32 v142, v126, v180
	v_add_f32_e32 v3, v3, v145
	v_mul_f32_e32 v134, v127, v180
	v_add_f32_e32 v2, v2, v158
	v_mul_f32_e32 v158, v128, v181
	v_fmac_f32_e32 v142, v127, v183
	v_add_f32_e32 v3, v3, v160
	v_fma_f32 v143, v126, v183, -v134
	ds_read_b128 v[134:137], v1 offset:768
	v_add_f32_e32 v2, v2, v168
	s_waitcnt lgkmcnt(1)
	v_mul_f32_e32 v127, v7, v182
	v_add_f32_e32 v3, v3, v165
	v_mul_f32_e32 v160, v6, v182
	v_mul_f32_e32 v126, v129, v181
	v_add_f32_e32 v2, v2, v169
	v_fma_f32 v168, v6, v4, -v127
	v_add_f32_e32 v3, v3, v174
	v_fmac_f32_e32 v160, v7, v4
	v_fma_f32 v144, v128, v5, -v126
	v_add_f32_e32 v7, v2, v175
	v_fmac_f32_e32 v158, v129, v5
	v_add_f32_e32 v6, v3, v173
	ds_read_b128 v[2:5], v1 offset:784
	ds_read_b128 v[126:129], v1 offset:800
	s_waitcnt vmcnt(38)
	v_mul_f32_e32 v165, v8, v148
	v_mul_f32_e32 v138, v9, v148
	s_waitcnt vmcnt(37)
	v_mul_f32_e32 v148, v130, v154
	v_mul_f32_e32 v139, v131, v154
	s_waitcnt vmcnt(36)
	v_mul_f32_e32 v169, v132, v156
	v_mul_f32_e32 v145, v133, v156
	s_waitcnt vmcnt(35) lgkmcnt(2)
	v_mul_f32_e32 v156, v134, v157
	s_waitcnt vmcnt(32)
	v_fmac_f32_e32 v148, v131, v190
	v_add_f32_e32 v131, v6, v155
	v_fma_f32 v155, v130, v190, -v139
	v_add_f32_e32 v130, v7, v200
	v_fmac_f32_e32 v156, v135, v161
	s_waitcnt vmcnt(31)
	v_fma_f32 v154, v8, v191, -v138
	v_add_f32_e32 v131, v131, v178
	v_fmac_f32_e32 v165, v9, v191
	v_add_f32_e32 v130, v130, v172
	v_fmac_f32_e32 v169, v133, v189
	s_waitcnt vmcnt(30)
	v_mul_f32_e32 v172, v136, v159
	v_add_f32_e32 v131, v131, v143
	v_mul_f32_e32 v143, v135, v157
	v_mul_f32_e32 v157, v137, v159
	v_fma_f32 v159, v132, v189, -v145
	ds_read_b128 v[6:9], v1 offset:816
	ds_read_b128 v[138:141], v1 offset:832
	v_add_f32_e32 v173, v131, v144
	v_fma_f32 v161, v134, v161, -v143
	v_add_f32_e32 v134, v130, v142
	ds_read_b128 v[130:133], v1 offset:848
	ds_read_b128 v[142:145], v1 offset:864
	v_add_f32_e32 v158, v134, v158
	s_waitcnt vmcnt(25)
	v_fmac_f32_e32 v172, v137, v167
	v_fma_f32 v157, v136, v167, -v157
	v_add_f32_e32 v167, v173, v168
	ds_read_b128 v[134:137], v1 offset:880
	v_add_f32_e32 v158, v158, v160
	s_waitcnt lgkmcnt(6)
	v_mul_f32_e32 v1, v2, v162
	v_mul_f32_e32 v162, v3, v162
	v_add_f32_e32 v154, v167, v154
	v_add_f32_e32 v158, v158, v165
	v_fmac_f32_e32 v1, v3, v166
	s_waitcnt vmcnt(24)
	v_mul_f32_e32 v168, v5, v170
	v_add_f32_e32 v154, v154, v155
	v_fma_f32 v2, v2, v166, -v162
	v_add_f32_e32 v148, v158, v148
	v_mul_f32_e32 v160, v4, v170
	v_fma_f32 v4, v4, v164, -v168
	v_add_f32_e32 v154, v154, v159
	s_waitcnt vmcnt(23) lgkmcnt(5)
	v_mul_f32_e32 v167, v126, v171
	v_add_f32_e32 v148, v148, v169
	v_fmac_f32_e32 v160, v5, v164
	s_waitcnt vmcnt(22)
	v_mul_f32_e32 v5, v129, v176
	v_add_f32_e32 v154, v154, v161
	v_mul_f32_e32 v165, v128, v176
	v_add_f32_e32 v148, v148, v156
	v_fmac_f32_e32 v167, v127, v163
	s_waitcnt vmcnt(21) lgkmcnt(4)
	v_mul_f32_e32 v170, v6, v177
	v_add_f32_e32 v154, v154, v157
	v_mul_f32_e32 v157, v127, v171
	v_add_f32_e32 v148, v148, v172
	s_waitcnt vmcnt(20)
	v_mul_f32_e32 v155, v8, v192
	s_waitcnt vmcnt(19) lgkmcnt(3)
	v_mul_f32_e32 v158, v138, v186
	v_add_f32_e32 v2, v154, v2
	v_fma_f32 v126, v126, v163, -v157
	v_add_f32_e32 v1, v148, v1
	s_waitcnt vmcnt(10)
	v_fmac_f32_e32 v155, v9, v12
	s_waitcnt vmcnt(9)
	v_fmac_f32_e32 v170, v7, v146
	v_add_f32_e32 v2, v2, v4
	v_mul_f32_e32 v4, v7, v177
	v_add_f32_e32 v1, v1, v160
	s_waitcnt vmcnt(8)
	v_fma_f32 v5, v128, v147, -v5
	v_fmac_f32_e32 v165, v129, v147
	v_add_f32_e32 v2, v2, v126
	v_mul_f32_e32 v126, v9, v192
	v_add_f32_e32 v1, v1, v167
	v_fma_f32 v4, v6, v146, -v4
	v_mul_f32_e32 v173, v140, v193
	v_add_f32_e32 v2, v2, v5
	v_mul_f32_e32 v5, v139, v186
	v_add_f32_e32 v1, v1, v165
	v_fma_f32 v6, v8, v12, -v126
	v_fmac_f32_e32 v158, v139, v11
	v_add_f32_e32 v2, v2, v4
	v_mul_f32_e32 v4, v141, v193
	v_add_f32_e32 v1, v1, v170
	v_fma_f32 v5, v138, v11, -v5
	s_waitcnt lgkmcnt(2)
	v_mul_f32_e32 v159, v130, v194
	v_add_f32_e32 v2, v2, v6
	v_mul_f32_e32 v6, v131, v194
	v_add_f32_e32 v1, v1, v155
	s_waitcnt vmcnt(4)
	v_fma_f32 v4, v140, v197, -v4
	v_fmac_f32_e32 v173, v141, v197
	v_add_f32_e32 v2, v2, v5
	v_mul_f32_e32 v5, v133, v195
	v_add_f32_e32 v1, v1, v158
	v_fma_f32 v6, v130, v153, -v6
	v_mul_f32_e32 v169, v132, v195
	v_add_f32_e32 v2, v2, v4
	v_fmac_f32_e32 v159, v131, v153
	v_add_f32_e32 v1, v1, v173
	s_waitcnt lgkmcnt(1)
	v_mul_f32_e32 v4, v143, v196
	v_fma_f32 v5, v132, v151, -v5
	v_add_f32_e32 v2, v2, v6
	v_mul_f32_e32 v174, v142, v196
	v_fmac_f32_e32 v169, v133, v151
	v_add_f32_e32 v1, v1, v159
	v_mul_f32_e32 v6, v145, v187
	v_fma_f32 v4, v142, v149, -v4
	v_add_f32_e32 v2, v2, v5
	v_mul_f32_e32 v161, v144, v187
	v_fmac_f32_e32 v174, v143, v149
	v_add_f32_e32 v1, v1, v169
	s_waitcnt lgkmcnt(0)
	v_mul_f32_e32 v5, v135, v10
	s_waitcnt vmcnt(1)
	v_fma_f32 v6, v144, v199, -v6
	v_add_f32_e32 v2, v2, v4
	v_mul_f32_e32 v156, v134, v10
	v_fmac_f32_e32 v161, v145, v199
	v_add_f32_e32 v1, v1, v174
	v_mul_f32_e32 v4, v137, v188
	v_fma_f32 v5, v134, v198, -v5
	v_add_f32_e32 v2, v2, v6
	v_mul_f32_e32 v3, v136, v188
	v_fmac_f32_e32 v156, v135, v198
	v_add_f32_e32 v1, v1, v161
	v_fma_f32 v4, v136, v150, -v4
	v_add_f32_e32 v2, v2, v5
	v_fmac_f32_e32 v3, v137, v150
	v_add_f32_e32 v1, v1, v156
	v_add_f32_e32 v2, v2, v4
	;; [unrolled: 1-line block ×3, first 2 shown]
	s_waitcnt vmcnt(0)
	v_sub_f32_e32 v2, v152, v2
	v_sub_f32_e32 v1, v185, v1
	buffer_store_dword v2, off, s[0:3], 0 offset:104
	buffer_store_dword v1, off, s[0:3], 0 offset:108
	v_cmpx_lt_u32_e32 12, v0
	s_cbranch_execz .LBB119_325
; %bb.324:
	s_clause 0x1
	buffer_load_dword v1, off, s[0:3], 0 offset:96
	buffer_load_dword v2, off, s[0:3], 0 offset:100
	v_mov_b32_e32 v3, 0
	buffer_store_dword v3, off, s[0:3], 0 offset:96
	buffer_store_dword v3, off, s[0:3], 0 offset:100
	s_waitcnt vmcnt(0)
	ds_write_b64 v125, v[1:2]
.LBB119_325:
	s_or_b32 exec_lo, exec_lo, s4
	s_waitcnt lgkmcnt(0)
	s_waitcnt_vscnt null, 0x0
	s_barrier
	buffer_gl0_inv
	s_clause 0x25
	buffer_load_dword v2, off, s[0:3], 0 offset:108
	buffer_load_dword v1, off, s[0:3], 0 offset:116
	;; [unrolled: 1-line block ×38, first 2 shown]
	v_mov_b32_e32 v126, 0
	ds_read2_b64 v[8:11], v126 offset0:69 offset1:70
	ds_read2_b64 v[127:130], v126 offset0:71 offset1:72
	s_clause 0x7
	buffer_load_dword v173, off, s[0:3], 0 offset:260
	buffer_load_dword v174, off, s[0:3], 0 offset:268
	;; [unrolled: 1-line block ×8, first 2 shown]
	ds_read2_b64 v[131:134], v126 offset0:73 offset1:74
	s_clause 0x9
	buffer_load_dword v7, off, s[0:3], 0 offset:292
	buffer_load_dword v3, off, s[0:3], 0 offset:300
	;; [unrolled: 1-line block ×10, first 2 shown]
	ds_read2_b64 v[135:138], v126 offset0:75 offset1:76
	s_mov_b32 s4, exec_lo
	s_waitcnt vmcnt(55) lgkmcnt(3)
	v_mul_f32_e32 v187, v9, v2
	v_mul_f32_e32 v2, v8, v2
	s_waitcnt vmcnt(54)
	v_mul_f32_e32 v188, v10, v1
	v_mul_f32_e32 v1, v11, v1
	s_waitcnt vmcnt(51)
	v_fma_f32 v187, v8, v140, -v187
	v_fmac_f32_e32 v2, v9, v140
	v_fmac_f32_e32 v188, v11, v139
	v_fma_f32 v1, v10, v139, -v1
	ds_read2_b64 v[8:11], v126 offset0:77 offset1:78
	s_waitcnt vmcnt(50) lgkmcnt(3)
	v_mul_f32_e32 v140, v127, v141
	v_mul_f32_e32 v141, v128, v141
	s_waitcnt vmcnt(49)
	v_mul_f32_e32 v139, v129, v142
	v_mul_f32_e32 v142, v130, v142
	v_add_f32_e32 v2, 0, v2
	v_fmac_f32_e32 v140, v128, v12
	v_fma_f32 v12, v127, v12, -v141
	s_waitcnt vmcnt(48) lgkmcnt(2)
	v_mul_f32_e32 v141, v131, v143
	v_mul_f32_e32 v143, v132, v143
	s_waitcnt vmcnt(44)
	v_fmac_f32_e32 v139, v130, v147
	v_fma_f32 v142, v129, v147, -v142
	ds_read2_b64 v[127:130], v126 offset0:79 offset1:80
	s_waitcnt vmcnt(43)
	v_mul_f32_e32 v147, v133, v148
	v_mul_f32_e32 v148, v134, v148
	v_fmac_f32_e32 v141, v132, v146
	v_fma_f32 v143, v131, v146, -v143
	s_waitcnt vmcnt(42) lgkmcnt(2)
	v_mul_f32_e32 v146, v135, v149
	v_mul_f32_e32 v149, v136, v149
	v_fmac_f32_e32 v147, v134, v145
	v_fma_f32 v145, v133, v145, -v148
	ds_read2_b64 v[131:134], v126 offset0:81 offset1:82
	s_waitcnt vmcnt(41)
	v_mul_f32_e32 v148, v137, v150
	v_mul_f32_e32 v150, v138, v150
	v_fmac_f32_e32 v146, v136, v144
	v_fma_f32 v144, v135, v144, -v149
	s_waitcnt vmcnt(40) lgkmcnt(2)
	v_mul_f32_e32 v149, v8, v151
	s_waitcnt vmcnt(36)
	v_fmac_f32_e32 v148, v138, v155
	v_fma_f32 v150, v137, v155, -v150
	ds_read2_b64 v[135:138], v126 offset0:83 offset1:84
	v_mul_f32_e32 v151, v9, v151
	s_waitcnt vmcnt(35)
	v_mul_f32_e32 v155, v10, v156
	v_mul_f32_e32 v156, v11, v156
	v_fmac_f32_e32 v149, v9, v154
	v_add_f32_e32 v2, v2, v188
	v_fma_f32 v151, v8, v154, -v151
	v_fmac_f32_e32 v155, v11, v153
	v_fma_f32 v153, v10, v153, -v156
	ds_read2_b64 v[8:11], v126 offset0:85 offset1:86
	s_waitcnt vmcnt(34) lgkmcnt(3)
	v_mul_f32_e32 v154, v127, v157
	v_mul_f32_e32 v157, v128, v157
	s_waitcnt vmcnt(33)
	v_mul_f32_e32 v156, v129, v158
	v_mul_f32_e32 v158, v130, v158
	v_add_f32_e32 v2, v2, v140
	v_fmac_f32_e32 v154, v128, v152
	v_fma_f32 v152, v127, v152, -v157
	s_waitcnt vmcnt(32) lgkmcnt(2)
	v_mul_f32_e32 v157, v131, v159
	v_mul_f32_e32 v127, v132, v159
	s_waitcnt vmcnt(27)
	v_mul_f32_e32 v159, v133, v164
	v_mul_f32_e32 v128, v134, v164
	v_fmac_f32_e32 v156, v130, v163
	v_fma_f32 v158, v129, v163, -v158
	s_waitcnt vmcnt(26) lgkmcnt(1)
	v_mul_f32_e32 v163, v135, v165
	v_mul_f32_e32 v129, v136, v165
	s_waitcnt vmcnt(25)
	v_mul_f32_e32 v164, v137, v166
	v_mul_f32_e32 v130, v138, v166
	v_fmac_f32_e32 v157, v132, v162
	v_fma_f32 v131, v131, v162, -v127
	v_fmac_f32_e32 v159, v134, v161
	v_fma_f32 v132, v133, v161, -v128
	s_clause 0x6
	buffer_load_dword v161, off, s[0:3], 0 offset:332
	buffer_load_dword v162, off, s[0:3], 0 offset:344
	;; [unrolled: 1-line block ×7, first 2 shown]
	v_add_f32_e32 v134, 0, v187
	v_fmac_f32_e32 v163, v136, v160
	v_fma_f32 v135, v135, v160, -v129
	s_waitcnt vmcnt(27) lgkmcnt(0)
	v_mul_f32_e32 v160, v8, v170
	v_mul_f32_e32 v133, v9, v170
	v_add_f32_e32 v1, v134, v1
	v_fmac_f32_e32 v164, v138, v169
	v_fma_f32 v136, v137, v169, -v130
	buffer_load_dword v169, off, s[0:3], 0 offset:356
	s_waitcnt vmcnt(27)
	v_mul_f32_e32 v170, v10, v171
	v_fmac_f32_e32 v160, v9, v168
	v_fma_f32 v168, v8, v168, -v133
	v_mul_f32_e32 v8, v11, v171
	v_add_f32_e32 v1, v1, v12
	ds_read2_b64 v[127:130], v126 offset0:87 offset1:88
	s_clause 0x2
	buffer_load_dword v187, off, s[0:3], 0 offset:364
	buffer_load_dword v192, off, s[0:3], 0 offset:372
	;; [unrolled: 1-line block ×3, first 2 shown]
	v_fmac_f32_e32 v170, v11, v167
	v_fma_f32 v12, v10, v167, -v8
	s_clause 0x1
	buffer_load_dword v167, off, s[0:3], 0 offset:388
	buffer_load_dword v188, off, s[0:3], 0 offset:396
	v_add_f32_e32 v1, v1, v142
	s_clause 0x9
	buffer_load_dword v193, off, s[0:3], 0 offset:404
	buffer_load_dword v194, off, s[0:3], 0 offset:412
	;; [unrolled: 1-line block ×10, first 2 shown]
	v_add_f32_e32 v2, v2, v139
	v_add_f32_e32 v1, v1, v143
	;; [unrolled: 1-line block ×6, first 2 shown]
	s_waitcnt vmcnt(41) lgkmcnt(0)
	v_mul_f32_e32 v139, v127, v172
	v_mul_f32_e32 v8, v128, v172
	s_waitcnt vmcnt(40)
	v_mul_f32_e32 v140, v129, v173
	v_add_f32_e32 v2, v2, v146
	v_add_f32_e32 v1, v1, v150
	s_clause 0x3
	buffer_load_dword v147, off, s[0:3], 0 offset:408
	buffer_load_dword v150, off, s[0:3], 0 offset:400
	;; [unrolled: 1-line block ×4, first 2 shown]
	v_fmac_f32_e32 v139, v128, v6
	v_fma_f32 v6, v127, v6, -v8
	v_add_f32_e32 v2, v2, v148
	v_add_f32_e32 v1, v1, v151
	v_mul_f32_e32 v127, v130, v173
	s_waitcnt vmcnt(37)
	v_fmac_f32_e32 v140, v130, v178
	v_add_f32_e32 v2, v2, v149
	v_add_f32_e32 v1, v1, v153
	s_clause 0x3
	buffer_load_dword v148, off, s[0:3], 0 offset:440
	buffer_load_dword v149, off, s[0:3], 0 offset:432
	;; [unrolled: 1-line block ×4, first 2 shown]
	ds_read2_b64 v[8:11], v126 offset0:89 offset1:90
	v_fma_f32 v141, v129, v178, -v127
	v_add_f32_e32 v2, v2, v155
	buffer_load_dword v155, off, s[0:3], 0 offset:96
	v_add_f32_e32 v1, v1, v152
	ds_read2_b64 v[127:130], v126 offset0:91 offset1:92
	v_add_f32_e32 v2, v2, v154
	v_add_f32_e32 v1, v1, v158
	;; [unrolled: 1-line block ×6, first 2 shown]
	ds_read2_b64 v[131:134], v126 offset0:93 offset1:94
	s_waitcnt lgkmcnt(2)
	v_mul_f32_e32 v143, v8, v174
	v_add_f32_e32 v2, v2, v159
	v_mul_f32_e32 v145, v10, v175
	v_add_f32_e32 v1, v1, v135
	v_mul_f32_e32 v135, v9, v174
	v_fmac_f32_e32 v143, v9, v177
	v_add_f32_e32 v2, v2, v163
	s_waitcnt lgkmcnt(1)
	v_mul_f32_e32 v9, v128, v176
	v_add_f32_e32 v1, v1, v136
	v_fma_f32 v144, v8, v177, -v135
	v_mul_f32_e32 v8, v11, v175
	v_add_f32_e32 v2, v2, v164
	ds_read2_b64 v[135:138], v126 offset0:95 offset1:96
	v_add_f32_e32 v1, v1, v168
	v_mul_f32_e32 v152, v127, v176
	v_fma_f32 v146, v10, v5, -v8
	v_add_f32_e32 v2, v2, v160
	v_fmac_f32_e32 v145, v11, v5
	v_add_f32_e32 v1, v1, v12
	s_waitcnt vmcnt(41)
	v_mul_f32_e32 v142, v130, v7
	v_fma_f32 v156, v127, v4, -v9
	v_add_f32_e32 v2, v2, v170
	v_mul_f32_e32 v12, v129, v7
	v_add_f32_e32 v1, v1, v6
	v_fmac_f32_e32 v152, v128, v4
	s_waitcnt vmcnt(40) lgkmcnt(1)
	v_mul_f32_e32 v154, v131, v3
	v_add_f32_e32 v2, v2, v139
	v_mul_f32_e32 v3, v132, v3
	v_add_f32_e32 v1, v1, v141
	s_waitcnt vmcnt(34)
	v_fma_f32 v157, v129, v184, -v142
	ds_read2_b64 v[4:7], v126 offset0:97 offset1:98
	ds_read2_b64 v[8:11], v126 offset0:99 offset1:100
	v_add_f32_e32 v2, v2, v140
	v_fmac_f32_e32 v12, v130, v184
	v_add_f32_e32 v1, v1, v144
	v_fma_f32 v3, v131, v183, -v3
	v_mul_f32_e32 v131, v134, v179
	v_add_f32_e32 v2, v2, v143
	v_fmac_f32_e32 v154, v132, v183
	v_add_f32_e32 v1, v1, v146
	v_mul_f32_e32 v158, v133, v179
	s_waitcnt lgkmcnt(2)
	v_mul_f32_e32 v132, v136, v180
	v_add_f32_e32 v2, v2, v145
	v_fma_f32 v164, v133, v182, -v131
	v_add_f32_e32 v156, v1, v156
	v_mul_f32_e32 v159, v135, v180
	v_fmac_f32_e32 v158, v134, v182
	v_add_f32_e32 v152, v2, v152
	s_waitcnt vmcnt(33)
	v_mul_f32_e32 v163, v138, v185
	v_add_f32_e32 v156, v156, v157
	v_fma_f32 v168, v135, v181, -v132
	v_mul_f32_e32 v160, v137, v185
	v_add_f32_e32 v12, v152, v12
	v_fmac_f32_e32 v159, v136, v181
	v_add_f32_e32 v3, v156, v3
	ds_read2_b64 v[127:130], v126 offset0:101 offset1:102
	ds_read2_b64 v[139:142], v126 offset0:103 offset1:104
	;; [unrolled: 1-line block ×4, first 2 shown]
	v_add_f32_e32 v12, v12, v154
	v_add_f32_e32 v3, v3, v164
	;; [unrolled: 1-line block ×5, first 2 shown]
	s_waitcnt vmcnt(31) lgkmcnt(5)
	v_mul_f32_e32 v157, v4, v161
	v_mul_f32_e32 v161, v5, v161
	s_waitcnt vmcnt(27)
	v_fma_f32 v163, v137, v189, -v163
	v_fmac_f32_e32 v160, v138, v189
	s_waitcnt vmcnt(26)
	v_mul_f32_e32 v170, v7, v190
	v_fma_f32 v4, v4, v166, -v161
	v_mul_f32_e32 v152, v6, v190
	v_add_f32_e32 v3, v3, v163
	v_fmac_f32_e32 v157, v5, v166
	v_add_f32_e32 v12, v12, v160
	s_waitcnt vmcnt(25) lgkmcnt(4)
	v_mul_f32_e32 v164, v9, v191
	v_fma_f32 v6, v6, v165, -v170
	v_add_f32_e32 v3, v3, v4
	v_mul_f32_e32 v156, v8, v191
	v_fmac_f32_e32 v152, v7, v165
	v_add_f32_e32 v4, v12, v157
	s_waitcnt vmcnt(24)
	v_mul_f32_e32 v160, v11, v169
	v_fma_f32 v8, v8, v162, -v164
	v_add_f32_e32 v3, v3, v6
	v_mul_f32_e32 v154, v10, v169
	v_fmac_f32_e32 v156, v9, v162
	v_add_f32_e32 v4, v4, v152
	s_waitcnt vmcnt(23) lgkmcnt(3)
	v_mul_f32_e32 v6, v128, v187
	v_add_f32_e32 v3, v3, v8
	v_mul_f32_e32 v5, v127, v187
	s_waitcnt vmcnt(22)
	v_mul_f32_e32 v8, v130, v192
	v_add_f32_e32 v4, v4, v156
	s_waitcnt vmcnt(10)
	v_fma_f32 v6, v127, v201, -v6
	s_waitcnt vmcnt(9)
	v_fma_f32 v9, v10, v202, -v160
	v_fmac_f32_e32 v154, v11, v202
	v_mul_f32_e32 v161, v129, v192
	v_fmac_f32_e32 v5, v128, v201
	v_fma_f32 v8, v129, v200, -v8
	v_add_f32_e32 v3, v3, v9
	v_add_f32_e32 v4, v4, v154
	s_waitcnt lgkmcnt(2)
	v_mul_f32_e32 v9, v140, v171
	v_mul_f32_e32 v158, v139, v171
	v_fmac_f32_e32 v161, v130, v200
	v_add_f32_e32 v3, v3, v6
	v_add_f32_e32 v4, v4, v5
	v_mul_f32_e32 v5, v142, v167
	v_fma_f32 v6, v139, v199, -v9
	v_mul_f32_e32 v7, v141, v167
	v_add_f32_e32 v3, v3, v8
	v_fmac_f32_e32 v158, v140, v199
	v_add_f32_e32 v4, v4, v161
	s_waitcnt lgkmcnt(1)
	v_mul_f32_e32 v8, v132, v188
	s_waitcnt vmcnt(5)
	v_fma_f32 v5, v141, v204, -v5
	v_add_f32_e32 v3, v3, v6
	ds_read2_b64 v[135:138], v126 offset0:109 offset1:110
	ds_read_b64 v[1:2], v126 offset:888
	v_mul_f32_e32 v165, v131, v188
	v_fmac_f32_e32 v7, v142, v204
	v_add_f32_e32 v4, v4, v158
	v_mul_f32_e32 v6, v134, v193
	v_fma_f32 v8, v131, v203, -v8
	v_add_f32_e32 v3, v3, v5
	v_mul_f32_e32 v159, v133, v193
	v_fmac_f32_e32 v165, v132, v203
	v_add_f32_e32 v4, v4, v7
	s_waitcnt lgkmcnt(2)
	v_mul_f32_e32 v5, v144, v194
	v_fma_f32 v6, v133, v150, -v6
	v_add_f32_e32 v3, v3, v8
	v_mul_f32_e32 v166, v143, v194
	v_fmac_f32_e32 v159, v134, v150
	v_add_f32_e32 v4, v4, v165
	v_mul_f32_e32 v7, v146, v195
	v_fma_f32 v5, v143, v147, -v5
	v_add_f32_e32 v3, v3, v6
	v_mul_f32_e32 v168, v145, v195
	v_fmac_f32_e32 v166, v144, v147
	v_add_f32_e32 v4, v4, v159
	s_waitcnt lgkmcnt(1)
	v_mul_f32_e32 v6, v136, v196
	s_waitcnt vmcnt(1)
	v_fma_f32 v7, v145, v153, -v7
	v_add_f32_e32 v3, v3, v5
	v_mul_f32_e32 v163, v135, v196
	v_fmac_f32_e32 v168, v146, v153
	v_add_f32_e32 v4, v4, v166
	v_mul_f32_e32 v5, v138, v197
	v_fma_f32 v6, v135, v151, -v6
	v_add_f32_e32 v3, v3, v7
	v_mul_f32_e32 v169, v137, v197
	v_fmac_f32_e32 v163, v136, v151
	v_add_f32_e32 v4, v4, v168
	s_waitcnt lgkmcnt(0)
	v_mul_f32_e32 v12, v1, v198
	v_mul_f32_e32 v7, v2, v198
	v_fma_f32 v5, v137, v149, -v5
	v_add_f32_e32 v3, v3, v6
	v_fmac_f32_e32 v169, v138, v149
	v_add_f32_e32 v4, v4, v163
	v_fmac_f32_e32 v12, v2, v148
	v_fma_f32 v1, v1, v148, -v7
	v_add_f32_e32 v2, v3, v5
	v_add_f32_e32 v3, v4, v169
	;; [unrolled: 1-line block ×4, first 2 shown]
	s_waitcnt vmcnt(0)
	v_sub_f32_e32 v1, v155, v1
	v_sub_f32_e32 v2, v186, v2
	buffer_store_dword v1, off, s[0:3], 0 offset:96
	buffer_store_dword v2, off, s[0:3], 0 offset:100
	v_cmpx_lt_u32_e32 11, v0
	s_cbranch_execz .LBB119_327
; %bb.326:
	s_clause 0x1
	buffer_load_dword v1, off, s[0:3], 0 offset:88
	buffer_load_dword v2, off, s[0:3], 0 offset:92
	buffer_store_dword v126, off, s[0:3], 0 offset:88
	buffer_store_dword v126, off, s[0:3], 0 offset:92
	s_waitcnt vmcnt(0)
	ds_write_b64 v125, v[1:2]
.LBB119_327:
	s_or_b32 exec_lo, exec_lo, s4
	s_waitcnt lgkmcnt(0)
	s_waitcnt_vscnt null, 0x0
	s_barrier
	buffer_gl0_inv
	s_clause 0x2b
	buffer_load_dword v149, off, s[0:3], 0 offset:100
	buffer_load_dword v150, off, s[0:3], 0 offset:108
	;; [unrolled: 1-line block ×44, first 2 shown]
	ds_read_b128 v[9:12], v126 offset:544
	s_clause 0x1
	buffer_load_dword v175, off, s[0:3], 0 offset:268
	buffer_load_dword v169, off, s[0:3], 0 offset:276
	ds_read_b128 v[5:8], v126 offset:560
	ds_read_b128 v[1:4], v126 offset:576
	s_clause 0x7
	buffer_load_dword v170, off, s[0:3], 0 offset:284
	buffer_load_dword v159, off, s[0:3], 0 offset:292
	;; [unrolled: 1-line block ×8, first 2 shown]
	ds_read_b128 v[176:179], v126 offset:592
	buffer_load_dword v187, off, s[0:3], 0 offset:92
	s_mov_b32 s4, exec_lo
	s_waitcnt vmcnt(54) lgkmcnt(3)
	v_mul_f32_e32 v185, v9, v149
	s_waitcnt vmcnt(53)
	v_mul_f32_e32 v186, v11, v150
	v_mul_f32_e32 v149, v10, v149
	;; [unrolled: 1-line block ×3, first 2 shown]
	s_waitcnt vmcnt(50)
	v_fmac_f32_e32 v185, v10, v133
	v_fmac_f32_e32 v186, v12, v132
	v_fma_f32 v133, v9, v133, -v149
	v_fma_f32 v132, v11, v132, -v150
	ds_read_b128 v[9:12], v126 offset:608
	s_waitcnt vmcnt(49) lgkmcnt(3)
	v_mul_f32_e32 v149, v5, v130
	v_mul_f32_e32 v130, v6, v130
	s_waitcnt vmcnt(48)
	v_mul_f32_e32 v150, v7, v129
	v_mul_f32_e32 v129, v8, v129
	s_waitcnt vmcnt(47) lgkmcnt(2)
	v_mul_f32_e32 v188, v1, v128
	v_fmac_f32_e32 v149, v6, v127
	v_fma_f32 v189, v5, v127, -v130
	s_waitcnt vmcnt(46)
	v_mul_f32_e32 v190, v3, v131
	v_mul_f32_e32 v127, v2, v128
	;; [unrolled: 1-line block ×3, first 2 shown]
	s_waitcnt vmcnt(42)
	v_fmac_f32_e32 v150, v8, v139
	v_fma_f32 v131, v7, v139, -v129
	ds_read_b128 v[5:8], v126 offset:624
	v_fmac_f32_e32 v188, v2, v138
	v_fmac_f32_e32 v190, v4, v136
	v_fma_f32 v138, v1, v138, -v127
	v_fma_f32 v136, v3, v136, -v128
	ds_read_b128 v[1:4], v126 offset:640
	s_waitcnt vmcnt(41) lgkmcnt(3)
	v_mul_f32_e32 v139, v176, v137
	v_mul_f32_e32 v127, v177, v137
	s_waitcnt vmcnt(40)
	v_mul_f32_e32 v137, v178, v135
	v_mul_f32_e32 v128, v179, v135
	s_waitcnt vmcnt(39) lgkmcnt(2)
	v_mul_f32_e32 v135, v9, v140
	v_fmac_f32_e32 v139, v177, v134
	v_fma_f32 v134, v176, v134, -v127
	s_waitcnt vmcnt(34)
	v_fmac_f32_e32 v137, v179, v147
	v_fma_f32 v147, v178, v147, -v128
	ds_read_b128 v[127:130], v126 offset:656
	v_mul_f32_e32 v176, v11, v141
	v_mul_f32_e32 v141, v12, v141
	;; [unrolled: 1-line block ×3, first 2 shown]
	v_fmac_f32_e32 v135, v10, v146
	s_waitcnt vmcnt(32) lgkmcnt(2)
	v_mul_f32_e32 v177, v7, v143
	v_fmac_f32_e32 v176, v12, v144
	v_fma_f32 v141, v11, v144, -v141
	v_mul_f32_e32 v144, v5, v145
	v_mul_f32_e32 v145, v6, v145
	;; [unrolled: 1-line block ×3, first 2 shown]
	v_fma_f32 v140, v9, v146, -v140
	ds_read_b128 v[9:12], v126 offset:672
	v_fmac_f32_e32 v144, v6, v142
	v_fma_f32 v142, v5, v142, -v145
	s_waitcnt vmcnt(31) lgkmcnt(2)
	v_mul_f32_e32 v145, v1, v148
	v_mul_f32_e32 v5, v2, v148
	buffer_load_dword v146, off, s[0:3], 0 offset:316
	s_waitcnt vmcnt(28)
	v_fmac_f32_e32 v177, v8, v163
	v_fma_f32 v143, v7, v163, -v143
	s_clause 0x3
	buffer_load_dword v148, off, s[0:3], 0 offset:336
	buffer_load_dword v163, off, s[0:3], 0 offset:328
	;; [unrolled: 1-line block ×4, first 2 shown]
	s_waitcnt vmcnt(31)
	v_mul_f32_e32 v191, v3, v162
	v_mul_f32_e32 v6, v4, v162
	v_fmac_f32_e32 v145, v2, v157
	v_fma_f32 v157, v1, v157, -v5
	s_waitcnt vmcnt(30) lgkmcnt(1)
	v_mul_f32_e32 v162, v127, v154
	s_waitcnt vmcnt(29)
	v_mul_f32_e32 v192, v129, v155
	v_mul_f32_e32 v1, v128, v154
	;; [unrolled: 1-line block ×3, first 2 shown]
	s_clause 0x2
	buffer_load_dword v154, off, s[0:3], 0 offset:324
	buffer_load_dword v155, off, s[0:3], 0 offset:332
	;; [unrolled: 1-line block ×3, first 2 shown]
	v_fmac_f32_e32 v191, v4, v153
	v_fma_f32 v153, v3, v153, -v6
	v_fmac_f32_e32 v162, v128, v151
	v_fma_f32 v127, v127, v151, -v1
	s_waitcnt vmcnt(28)
	v_fma_f32 v128, v129, v174, -v2
	ds_read_b128 v[1:4], v126 offset:688
	s_waitcnt vmcnt(27) lgkmcnt(1)
	v_mul_f32_e32 v5, v10, v172
	v_add_f32_e32 v6, 0, v185
	v_fmac_f32_e32 v192, v130, v174
	v_add_f32_e32 v7, 0, v133
	v_mul_f32_e32 v129, v9, v172
	v_fma_f32 v130, v9, v168, -v5
	v_add_f32_e32 v5, v6, v186
	s_waitcnt vmcnt(26)
	v_mul_f32_e32 v151, v11, v171
	v_add_f32_e32 v6, v7, v132
	v_mul_f32_e32 v8, v12, v171
	v_fmac_f32_e32 v129, v10, v168
	v_add_f32_e32 v5, v5, v149
	s_clause 0x3
	buffer_load_dword v168, off, s[0:3], 0 offset:348
	buffer_load_dword v171, off, s[0:3], 0 offset:356
	;; [unrolled: 1-line block ×4, first 2 shown]
	v_add_f32_e32 v6, v6, v189
	v_fmac_f32_e32 v151, v12, v166
	v_fma_f32 v132, v11, v166, -v8
	v_add_f32_e32 v5, v5, v150
	s_clause 0x3
	buffer_load_dword v149, off, s[0:3], 0 offset:380
	buffer_load_dword v166, off, s[0:3], 0 offset:388
	;; [unrolled: 1-line block ×4, first 2 shown]
	v_add_f32_e32 v6, v6, v131
	s_waitcnt vmcnt(33) lgkmcnt(0)
	v_mul_f32_e32 v131, v1, v164
	v_mul_f32_e32 v7, v2, v164
	v_add_f32_e32 v5, v5, v188
	s_clause 0x3
	buffer_load_dword v150, off, s[0:3], 0 offset:412
	buffer_load_dword v189, off, s[0:3], 0 offset:420
	;; [unrolled: 1-line block ×4, first 2 shown]
	v_add_f32_e32 v6, v6, v138
	buffer_load_dword v164, off, s[0:3], 0 offset:444
	v_fmac_f32_e32 v131, v2, v160
	v_fma_f32 v133, v1, v160, -v7
	v_add_f32_e32 v5, v5, v190
	s_clause 0x3
	buffer_load_dword v160, off, s[0:3], 0 offset:368
	buffer_load_dword v188, off, s[0:3], 0 offset:360
	;; [unrolled: 1-line block ×4, first 2 shown]
	v_add_f32_e32 v1, v6, v136
	v_add_f32_e32 v5, v5, v139
	;; [unrolled: 1-line block ×3, first 2 shown]
	s_waitcnt vmcnt(41)
	v_mul_f32_e32 v134, v3, v158
	v_mul_f32_e32 v1, v4, v158
	v_add_f32_e32 v5, v5, v137
	v_add_f32_e32 v6, v6, v147
	s_waitcnt vmcnt(37)
	v_fmac_f32_e32 v134, v4, v173
	v_fma_f32 v136, v3, v173, -v1
	ds_read_b128 v[1:4], v126 offset:704
	s_clause 0x3
	buffer_load_dword v147, off, s[0:3], 0 offset:400
	buffer_load_dword v158, off, s[0:3], 0 offset:392
	;; [unrolled: 1-line block ×4, first 2 shown]
	v_add_f32_e32 v6, v6, v140
	v_add_f32_e32 v5, v5, v135
	;; [unrolled: 1-line block ×4, first 2 shown]
	ds_read_b128 v[5:8], v126 offset:720
	v_add_f32_e32 v9, v9, v142
	v_add_f32_e32 v10, v10, v144
	s_waitcnt vmcnt(40) lgkmcnt(1)
	v_mul_f32_e32 v135, v1, v167
	v_mul_f32_e32 v11, v2, v167
	s_waitcnt vmcnt(39)
	v_mul_f32_e32 v139, v3, v175
	v_fmac_f32_e32 v135, v2, v165
	v_fma_f32 v137, v1, v165, -v11
	v_add_f32_e32 v1, v9, v143
	s_clause 0x3
	buffer_load_dword v143, off, s[0:3], 0 offset:432
	buffer_load_dword v144, off, s[0:3], 0 offset:424
	;; [unrolled: 1-line block ×4, first 2 shown]
	v_add_f32_e32 v2, v10, v177
	v_mul_f32_e32 v9, v4, v175
	v_fmac_f32_e32 v139, v4, v161
	v_add_f32_e32 v1, v1, v157
	buffer_load_dword v157, off, s[0:3], 0 offset:440
	v_add_f32_e32 v2, v2, v145
	buffer_load_dword v145, off, s[0:3], 0 offset:88
	v_fma_f32 v140, v3, v161, -v9
	v_add_f32_e32 v1, v1, v153
	s_waitcnt vmcnt(44) lgkmcnt(0)
	v_mul_f32_e32 v141, v5, v169
	v_add_f32_e32 v10, v2, v191
	s_waitcnt vmcnt(43)
	v_mul_f32_e32 v142, v7, v170
	v_mul_f32_e32 v153, v8, v170
	v_add_f32_e32 v127, v1, v127
	ds_read_b128 v[1:4], v126 offset:736
	v_add_f32_e32 v138, v10, v162
	ds_read_b128 v[9:12], v126 offset:752
	v_fmac_f32_e32 v141, v6, v152
	v_add_f32_e32 v127, v127, v128
	v_mul_f32_e32 v128, v6, v169
	v_add_f32_e32 v138, v138, v192
	s_waitcnt vmcnt(36)
	v_fmac_f32_e32 v142, v8, v184
	v_fma_f32 v153, v7, v184, -v153
	v_add_f32_e32 v161, v127, v130
	v_fma_f32 v152, v5, v152, -v128
	v_add_f32_e32 v138, v138, v129
	ds_read_b128 v[5:8], v126 offset:768
	ds_read_b128 v[127:130], v126 offset:784
	v_add_f32_e32 v132, v161, v132
	v_add_f32_e32 v138, v138, v151
	;; [unrolled: 1-line block ×3, first 2 shown]
	s_waitcnt lgkmcnt(3)
	v_mul_f32_e32 v161, v1, v159
	v_add_f32_e32 v131, v138, v131
	v_mul_f32_e32 v159, v2, v159
	v_mul_f32_e32 v151, v3, v156
	v_add_f32_e32 v136, v132, v136
	v_mul_f32_e32 v156, v4, v156
	v_add_f32_e32 v170, v131, v134
	v_fma_f32 v159, v1, v183, -v159
	v_fmac_f32_e32 v161, v2, v183
	v_add_f32_e32 v176, v136, v137
	s_waitcnt lgkmcnt(2)
	v_mul_f32_e32 v138, v10, v180
	v_add_f32_e32 v170, v170, v135
	v_fma_f32 v156, v3, v182, -v156
	v_mul_f32_e32 v162, v9, v180
	v_add_f32_e32 v140, v176, v140
	v_fmac_f32_e32 v151, v4, v182
	v_add_f32_e32 v139, v170, v139
	v_fma_f32 v175, v9, v181, -v138
	v_fmac_f32_e32 v162, v10, v181
	ds_read_b128 v[1:4], v126 offset:800
	ds_read_b128 v[131:134], v126 offset:816
	v_add_f32_e32 v139, v139, v141
	s_waitcnt vmcnt(34)
	v_mul_f32_e32 v169, v11, v146
	v_mul_f32_e32 v146, v12, v146
	s_waitcnt vmcnt(30)
	v_fmac_f32_e32 v169, v12, v179
	v_fma_f32 v146, v11, v179, -v146
	ds_read_b128 v[9:12], v126 offset:832
	ds_read_b128 v[135:138], v126 offset:848
	s_waitcnt vmcnt(29) lgkmcnt(5)
	v_mul_f32_e32 v176, v5, v154
	v_mul_f32_e32 v154, v6, v154
	s_waitcnt vmcnt(28)
	v_mul_f32_e32 v170, v7, v155
	v_mul_f32_e32 v155, v8, v155
	v_fmac_f32_e32 v176, v6, v178
	v_add_f32_e32 v6, v140, v152
	v_fma_f32 v152, v5, v178, -v154
	v_fma_f32 v154, v7, v163, -v155
	v_add_f32_e32 v155, v139, v142
	v_fmac_f32_e32 v170, v8, v163
	v_add_f32_e32 v153, v6, v153
	ds_read_b128 v[5:8], v126 offset:864
	ds_read_b128 v[139:142], v126 offset:880
	s_waitcnt vmcnt(27) lgkmcnt(6)
	v_mul_f32_e32 v126, v127, v193
	v_add_f32_e32 v155, v155, v161
	v_add_f32_e32 v153, v153, v159
	v_mul_f32_e32 v159, v128, v193
	s_waitcnt vmcnt(26)
	v_mul_f32_e32 v163, v130, v168
	v_add_f32_e32 v151, v155, v151
	v_mul_f32_e32 v161, v129, v168
	v_add_f32_e32 v153, v153, v156
	v_fma_f32 v127, v127, v148, -v159
	v_fmac_f32_e32 v126, v128, v148
	v_add_f32_e32 v151, v151, v162
	s_waitcnt vmcnt(25) lgkmcnt(5)
	v_mul_f32_e32 v156, v1, v171
	v_add_f32_e32 v153, v153, v175
	s_waitcnt vmcnt(24)
	v_mul_f32_e32 v155, v3, v172
	s_waitcnt vmcnt(23) lgkmcnt(4)
	v_mul_f32_e32 v168, v131, v174
	v_add_f32_e32 v151, v151, v169
	s_waitcnt vmcnt(22)
	v_mul_f32_e32 v175, v133, v149
	v_add_f32_e32 v146, v153, v146
	s_waitcnt vmcnt(21) lgkmcnt(3)
	v_mul_f32_e32 v162, v9, v166
	s_waitcnt vmcnt(20)
	v_mul_f32_e32 v177, v11, v185
	v_add_f32_e32 v151, v151, v176
	s_waitcnt vmcnt(12)
	v_fmac_f32_e32 v155, v4, v188
	v_add_f32_e32 v146, v146, v152
	s_waitcnt vmcnt(10)
	v_fma_f32 v129, v129, v196, -v163
	v_fmac_f32_e32 v161, v130, v196
	v_add_f32_e32 v148, v151, v170
	v_mul_f32_e32 v151, v2, v171
	v_add_f32_e32 v146, v146, v154
	v_mul_f32_e32 v130, v4, v172
	v_fmac_f32_e32 v156, v2, v190
	v_add_f32_e32 v126, v148, v126
	v_fma_f32 v1, v1, v190, -v151
	v_add_f32_e32 v127, v146, v127
	v_fma_f32 v3, v3, v188, -v130
	v_mul_f32_e32 v4, v134, v149
	v_add_f32_e32 v126, v126, v161
	v_fmac_f32_e32 v168, v132, v160
	v_add_f32_e32 v2, v127, v129
	v_mul_f32_e32 v127, v132, v174
	s_waitcnt vmcnt(6)
	v_fma_f32 v4, v133, v197, -v4
	v_fmac_f32_e32 v175, v134, v197
	v_fmac_f32_e32 v162, v10, v173
	v_add_f32_e32 v1, v2, v1
	v_add_f32_e32 v2, v126, v156
	v_fma_f32 v126, v131, v160, -v127
	s_waitcnt lgkmcnt(2)
	v_mul_f32_e32 v153, v135, v186
	v_fmac_f32_e32 v177, v12, v158
	v_add_f32_e32 v1, v1, v3
	v_add_f32_e32 v2, v2, v155
	v_mul_f32_e32 v3, v10, v166
	v_mul_f32_e32 v169, v137, v150
	v_fmac_f32_e32 v153, v136, v147
	v_add_f32_e32 v1, v1, v126
	v_add_f32_e32 v2, v2, v168
	v_mul_f32_e32 v126, v12, v185
	v_fma_f32 v3, v9, v173, -v3
	s_waitcnt lgkmcnt(1)
	v_mul_f32_e32 v178, v5, v189
	v_add_f32_e32 v1, v1, v4
	v_add_f32_e32 v2, v2, v175
	v_mul_f32_e32 v4, v136, v186
	v_fma_f32 v9, v11, v158, -v126
	v_mul_f32_e32 v152, v7, v194
	v_add_f32_e32 v1, v1, v3
	v_add_f32_e32 v2, v2, v162
	v_mul_f32_e32 v3, v138, v150
	v_fma_f32 v4, v135, v147, -v4
	s_waitcnt vmcnt(2)
	v_fmac_f32_e32 v169, v138, v167
	v_add_f32_e32 v1, v1, v9
	v_add_f32_e32 v2, v2, v177
	v_mul_f32_e32 v9, v6, v189
	v_fma_f32 v3, v137, v167, -v3
	v_fmac_f32_e32 v178, v6, v165
	v_add_f32_e32 v1, v1, v4
	v_add_f32_e32 v2, v2, v153
	v_mul_f32_e32 v4, v8, v194
	v_fma_f32 v5, v5, v165, -v9
	s_waitcnt lgkmcnt(0)
	v_mul_f32_e32 v176, v139, v195
	v_add_f32_e32 v1, v1, v3
	v_add_f32_e32 v2, v2, v169
	v_mul_f32_e32 v3, v140, v195
	v_fma_f32 v4, v7, v144, -v4
	v_fmac_f32_e32 v152, v8, v144
	v_add_f32_e32 v1, v1, v5
	v_add_f32_e32 v2, v2, v178
	v_mul_f32_e32 v5, v142, v164
	v_fma_f32 v3, v139, v143, -v3
	v_mul_f32_e32 v128, v141, v164
	v_add_f32_e32 v1, v1, v4
	v_fmac_f32_e32 v176, v140, v143
	v_add_f32_e32 v2, v2, v152
	s_waitcnt vmcnt(1)
	v_fma_f32 v4, v141, v157, -v5
	v_fmac_f32_e32 v128, v142, v157
	v_add_f32_e32 v1, v1, v3
	v_add_f32_e32 v2, v2, v176
	;; [unrolled: 1-line block ×4, first 2 shown]
	s_waitcnt vmcnt(0)
	v_sub_f32_e32 v1, v145, v1
	v_sub_f32_e32 v2, v187, v2
	buffer_store_dword v1, off, s[0:3], 0 offset:88
	buffer_store_dword v2, off, s[0:3], 0 offset:92
	v_cmpx_lt_u32_e32 10, v0
	s_cbranch_execz .LBB119_329
; %bb.328:
	s_clause 0x1
	buffer_load_dword v1, off, s[0:3], 0 offset:80
	buffer_load_dword v2, off, s[0:3], 0 offset:84
	v_mov_b32_e32 v3, 0
	buffer_store_dword v3, off, s[0:3], 0 offset:80
	buffer_store_dword v3, off, s[0:3], 0 offset:84
	s_waitcnt vmcnt(0)
	ds_write_b64 v125, v[1:2]
.LBB119_329:
	s_or_b32 exec_lo, exec_lo, s4
	s_waitcnt lgkmcnt(0)
	s_waitcnt_vscnt null, 0x0
	s_barrier
	buffer_gl0_inv
	s_clause 0x2b
	buffer_load_dword v128, off, s[0:3], 0 offset:92
	buffer_load_dword v129, off, s[0:3], 0 offset:100
	;; [unrolled: 1-line block ×44, first 2 shown]
	v_mov_b32_e32 v126, 0
	ds_read2_b64 v[9:12], v126 offset0:67 offset1:68
	ds_read2_b64 v[5:8], v126 offset0:69 offset1:70
	s_clause 0x1
	buffer_load_dword v175, off, s[0:3], 0 offset:260
	buffer_load_dword v170, off, s[0:3], 0 offset:268
	ds_read2_b64 v[1:4], v126 offset0:71 offset1:72
	s_clause 0x9
	buffer_load_dword v169, off, s[0:3], 0 offset:276
	buffer_load_dword v157, off, s[0:3], 0 offset:284
	buffer_load_dword v154, off, s[0:3], 0 offset:292
	buffer_load_dword v181, off, s[0:3], 0 offset:296
	buffer_load_dword v182, off, s[0:3], 0 offset:300
	buffer_load_dword v183, off, s[0:3], 0 offset:288
	buffer_load_dword v184, off, s[0:3], 0 offset:280
	buffer_load_dword v185, off, s[0:3], 0 offset:272
	buffer_load_dword v186, off, s[0:3], 0 offset:308
	buffer_load_dword v176, off, s[0:3], 0 offset:84
	ds_read2_b64 v[177:180], v126 offset0:73 offset1:74
	s_mov_b32 s4, exec_lo
	s_waitcnt vmcnt(55) lgkmcnt(3)
	v_mul_f32_e32 v187, v9, v128
	v_mul_f32_e32 v128, v10, v128
	s_waitcnt vmcnt(54)
	v_mul_f32_e32 v188, v11, v129
	v_mul_f32_e32 v129, v12, v129
	s_waitcnt vmcnt(51)
	v_fmac_f32_e32 v187, v10, v134
	v_fma_f32 v134, v9, v134, -v128
	s_waitcnt vmcnt(50) lgkmcnt(2)
	v_mul_f32_e32 v189, v5, v133
	v_mul_f32_e32 v128, v6, v133
	v_fmac_f32_e32 v188, v12, v130
	v_fma_f32 v133, v11, v130, -v129
	ds_read2_b64 v[9:12], v126 offset0:75 offset1:76
	s_waitcnt vmcnt(49)
	v_mul_f32_e32 v190, v7, v131
	v_mul_f32_e32 v129, v8, v131
	v_fmac_f32_e32 v189, v6, v127
	v_fma_f32 v131, v5, v127, -v128
	s_waitcnt vmcnt(48) lgkmcnt(2)
	v_mul_f32_e32 v191, v1, v132
	v_mul_f32_e32 v127, v2, v132
	s_waitcnt vmcnt(44)
	v_fmac_f32_e32 v190, v8, v141
	v_fma_f32 v132, v7, v141, -v129
	ds_read2_b64 v[5:8], v126 offset0:77 offset1:78
	s_waitcnt vmcnt(43)
	v_mul_f32_e32 v141, v3, v140
	v_mul_f32_e32 v128, v4, v140
	v_fmac_f32_e32 v191, v2, v138
	v_fma_f32 v138, v1, v138, -v127
	s_waitcnt vmcnt(42) lgkmcnt(2)
	v_mul_f32_e32 v140, v177, v139
	v_mul_f32_e32 v127, v178, v139
	v_fmac_f32_e32 v141, v4, v136
	v_fma_f32 v136, v3, v136, -v128
	ds_read2_b64 v[1:4], v126 offset0:79 offset1:80
	s_waitcnt vmcnt(41)
	v_mul_f32_e32 v139, v179, v137
	v_mul_f32_e32 v128, v180, v137
	v_fmac_f32_e32 v140, v178, v135
	v_fma_f32 v135, v177, v135, -v127
	s_waitcnt vmcnt(40) lgkmcnt(2)
	v_mul_f32_e32 v137, v9, v142
	s_waitcnt vmcnt(36)
	v_fmac_f32_e32 v139, v180, v149
	v_fma_f32 v149, v179, v149, -v128
	ds_read2_b64 v[127:130], v126 offset0:81 offset1:82
	v_mul_f32_e32 v142, v10, v142
	s_waitcnt vmcnt(35)
	v_mul_f32_e32 v177, v11, v148
	v_mul_f32_e32 v148, v12, v148
	v_fmac_f32_e32 v137, v10, v146
	v_fma_f32 v142, v9, v146, -v142
	s_waitcnt vmcnt(34) lgkmcnt(2)
	v_mul_f32_e32 v146, v5, v147
	v_mul_f32_e32 v147, v6, v147
	v_fmac_f32_e32 v177, v12, v144
	v_fma_f32 v144, v11, v144, -v148
	s_waitcnt vmcnt(33)
	v_mul_f32_e32 v148, v7, v145
	v_mul_f32_e32 v145, v8, v145
	v_fmac_f32_e32 v146, v6, v143
	v_fma_f32 v143, v5, v143, -v147
	s_waitcnt vmcnt(32) lgkmcnt(1)
	v_mul_f32_e32 v147, v1, v150
	v_mul_f32_e32 v5, v2, v150
	ds_read2_b64 v[9:12], v126 offset0:83 offset1:84
	s_waitcnt vmcnt(28)
	v_fmac_f32_e32 v148, v8, v163
	v_fma_f32 v145, v7, v163, -v145
	s_clause 0x3
	buffer_load_dword v150, off, s[0:3], 0 offset:328
	buffer_load_dword v163, off, s[0:3], 0 offset:320
	;; [unrolled: 1-line block ×4, first 2 shown]
	s_waitcnt vmcnt(31)
	v_mul_f32_e32 v180, v3, v161
	v_mul_f32_e32 v6, v4, v161
	v_fmac_f32_e32 v147, v2, v159
	v_fma_f32 v159, v1, v159, -v5
	s_waitcnt vmcnt(30) lgkmcnt(1)
	v_mul_f32_e32 v161, v127, v155
	s_waitcnt vmcnt(29)
	v_mul_f32_e32 v192, v129, v156
	v_mul_f32_e32 v1, v128, v155
	;; [unrolled: 1-line block ×3, first 2 shown]
	s_clause 0x2
	buffer_load_dword v155, off, s[0:3], 0 offset:316
	buffer_load_dword v156, off, s[0:3], 0 offset:324
	buffer_load_dword v193, off, s[0:3], 0 offset:332
	v_fmac_f32_e32 v180, v4, v153
	v_fma_f32 v153, v3, v153, -v6
	v_fmac_f32_e32 v161, v128, v152
	v_fma_f32 v127, v127, v152, -v1
	s_waitcnt vmcnt(28)
	v_fma_f32 v128, v129, v174, -v2
	ds_read2_b64 v[1:4], v126 offset0:85 offset1:86
	v_add_f32_e32 v5, 0, v187
	s_waitcnt vmcnt(27) lgkmcnt(1)
	v_mul_f32_e32 v6, v10, v171
	v_add_f32_e32 v8, 0, v134
	v_fmac_f32_e32 v192, v130, v174
	v_mul_f32_e32 v129, v9, v171
	v_add_f32_e32 v5, v5, v188
	v_fma_f32 v134, v9, v168, -v6
	v_add_f32_e32 v6, v8, v133
	s_waitcnt vmcnt(26)
	v_mul_f32_e32 v130, v11, v172
	v_mul_f32_e32 v7, v12, v172
	v_add_f32_e32 v5, v5, v189
	v_fmac_f32_e32 v129, v10, v168
	v_add_f32_e32 v6, v6, v131
	v_fmac_f32_e32 v130, v12, v167
	v_fma_f32 v152, v11, v167, -v7
	v_add_f32_e32 v5, v5, v190
	s_clause 0x7
	buffer_load_dword v167, off, s[0:3], 0 offset:340
	buffer_load_dword v168, off, s[0:3], 0 offset:348
	;; [unrolled: 1-line block ×8, first 2 shown]
	v_add_f32_e32 v6, v6, v132
	s_clause 0x1
	buffer_load_dword v190, off, s[0:3], 0 offset:372
	buffer_load_dword v194, off, s[0:3], 0 offset:380
	s_waitcnt vmcnt(35) lgkmcnt(0)
	v_mul_f32_e32 v131, v1, v164
	v_mul_f32_e32 v7, v2, v164
	v_add_f32_e32 v5, v5, v191
	s_waitcnt vmcnt(34)
	v_mul_f32_e32 v133, v3, v160
	s_clause 0x1
	buffer_load_dword v164, off, s[0:3], 0 offset:388
	buffer_load_dword v191, off, s[0:3], 0 offset:396
	v_fmac_f32_e32 v131, v2, v162
	v_fma_f32 v132, v1, v162, -v7
	v_add_f32_e32 v1, v6, v138
	v_add_f32_e32 v2, v5, v141
	s_clause 0x3
	buffer_load_dword v162, off, s[0:3], 0 offset:404
	buffer_load_dword v195, off, s[0:3], 0 offset:412
	;; [unrolled: 1-line block ×4, first 2 shown]
	s_waitcnt vmcnt(36)
	v_fmac_f32_e32 v133, v4, v173
	buffer_load_dword v198, off, s[0:3], 0 offset:436
	v_add_f32_e32 v1, v1, v136
	v_add_f32_e32 v5, v2, v140
	v_mul_f32_e32 v2, v4, v160
	buffer_load_dword v160, off, s[0:3], 0 offset:444
	v_add_f32_e32 v6, v1, v135
	v_add_f32_e32 v5, v5, v139
	v_fma_f32 v135, v3, v173, -v2
	ds_read2_b64 v[1:4], v126 offset0:87 offset1:88
	v_add_f32_e32 v6, v6, v149
	v_add_f32_e32 v5, v5, v137
	s_clause 0x3
	buffer_load_dword v149, off, s[0:3], 0 offset:392
	buffer_load_dword v173, off, s[0:3], 0 offset:384
	;; [unrolled: 1-line block ×4, first 2 shown]
	v_add_f32_e32 v6, v6, v142
	v_add_f32_e32 v5, v5, v177
	;; [unrolled: 1-line block ×4, first 2 shown]
	ds_read2_b64 v[5:8], v126 offset0:89 offset1:90
	v_add_f32_e32 v9, v9, v143
	v_add_f32_e32 v10, v10, v148
	s_waitcnt vmcnt(41) lgkmcnt(1)
	v_mul_f32_e32 v136, v1, v166
	v_mul_f32_e32 v11, v2, v166
	s_waitcnt vmcnt(40)
	v_mul_f32_e32 v138, v3, v175
	v_fmac_f32_e32 v136, v2, v165
	v_fma_f32 v137, v1, v165, -v11
	v_add_f32_e32 v1, v9, v145
	v_add_f32_e32 v2, v10, v147
	s_clause 0x3
	buffer_load_dword v145, off, s[0:3], 0 offset:424
	buffer_load_dword v146, off, s[0:3], 0 offset:416
	;; [unrolled: 1-line block ×4, first 2 shown]
	v_mul_f32_e32 v9, v4, v175
	v_fmac_f32_e32 v138, v4, v158
	v_add_f32_e32 v1, v1, v159
	s_clause 0x1
	buffer_load_dword v159, off, s[0:3], 0 offset:440
	buffer_load_dword v165, off, s[0:3], 0 offset:432
	v_add_f32_e32 v2, v2, v180
	s_waitcnt vmcnt(45) lgkmcnt(0)
	v_mul_f32_e32 v140, v5, v170
	s_waitcnt vmcnt(44)
	v_mul_f32_e32 v141, v7, v169
	v_add_f32_e32 v1, v1, v153
	buffer_load_dword v153, off, s[0:3], 0 offset:80
	v_add_f32_e32 v2, v2, v161
	v_fma_f32 v139, v3, v158, -v9
	v_fmac_f32_e32 v140, v6, v151
	v_add_f32_e32 v10, v1, v127
	s_waitcnt vmcnt(38)
	v_fmac_f32_e32 v141, v8, v185
	v_add_f32_e32 v127, v2, v192
	ds_read2_b64 v[1:4], v126 offset0:91 offset1:92
	v_add_f32_e32 v128, v10, v128
	ds_read2_b64 v[9:12], v126 offset0:93 offset1:94
	v_add_f32_e32 v127, v127, v129
	v_mul_f32_e32 v129, v6, v170
	v_add_f32_e32 v128, v128, v134
	v_mul_f32_e32 v134, v8, v169
	v_add_f32_e32 v143, v127, v130
	v_fma_f32 v142, v5, v151, -v129
	v_fma_f32 v144, v7, v185, -v134
	v_add_f32_e32 v134, v128, v152
	v_add_f32_e32 v131, v143, v131
	ds_read2_b64 v[5:8], v126 offset0:95 offset1:96
	ds_read2_b64 v[127:130], v126 offset0:97 offset1:98
	v_add_f32_e32 v132, v134, v132
	v_add_f32_e32 v131, v131, v133
	s_waitcnt lgkmcnt(3)
	v_mul_f32_e32 v151, v2, v157
	v_mul_f32_e32 v143, v1, v157
	;; [unrolled: 1-line block ×3, first 2 shown]
	v_add_f32_e32 v132, v132, v135
	v_add_f32_e32 v136, v131, v136
	v_fma_f32 v151, v1, v184, -v151
	v_mul_f32_e32 v152, v3, v154
	v_fmac_f32_e32 v143, v2, v184
	v_add_f32_e32 v137, v132, v137
	v_add_f32_e32 v169, v136, v138
	s_waitcnt lgkmcnt(2)
	v_mul_f32_e32 v135, v10, v182
	v_fma_f32 v158, v3, v183, -v134
	v_mul_f32_e32 v154, v9, v182
	v_add_f32_e32 v139, v137, v139
	v_add_f32_e32 v140, v169, v140
	v_fmac_f32_e32 v152, v4, v183
	s_waitcnt vmcnt(37)
	v_mul_f32_e32 v161, v12, v186
	v_fma_f32 v166, v9, v181, -v135
	v_add_f32_e32 v139, v139, v142
	v_mul_f32_e32 v157, v11, v186
	v_fmac_f32_e32 v154, v10, v181
	ds_read2_b64 v[1:4], v126 offset0:99 offset1:100
	ds_read2_b64 v[131:134], v126 offset0:101 offset1:102
	v_add_f32_e32 v139, v139, v144
	v_add_f32_e32 v151, v139, v151
	;; [unrolled: 1-line block ×4, first 2 shown]
	s_waitcnt vmcnt(32)
	v_fma_f32 v161, v11, v179, -v161
	v_fmac_f32_e32 v157, v12, v179
	ds_read2_b64 v[9:12], v126 offset0:103 offset1:104
	ds_read2_b64 v[135:138], v126 offset0:105 offset1:106
	v_add_f32_e32 v151, v151, v161
	s_waitcnt vmcnt(31) lgkmcnt(5)
	v_mul_f32_e32 v169, v5, v155
	s_waitcnt vmcnt(30)
	v_mul_f32_e32 v170, v7, v156
	v_mul_f32_e32 v142, v6, v155
	;; [unrolled: 1-line block ×3, first 2 shown]
	s_waitcnt vmcnt(29) lgkmcnt(4)
	v_mul_f32_e32 v175, v128, v193
	v_fmac_f32_e32 v169, v6, v178
	v_add_f32_e32 v6, v140, v141
	v_fmac_f32_e32 v170, v8, v163
	v_fma_f32 v155, v7, v163, -v155
	v_fma_f32 v156, v5, v178, -v142
	v_add_f32_e32 v163, v6, v143
	ds_read2_b64 v[5:8], v126 offset0:107 offset1:108
	ds_read2_b64 v[139:142], v126 offset0:109 offset1:110
	ds_read_b64 v[143:144], v126 offset:888
	v_add_f32_e32 v151, v151, v156
	v_add_f32_e32 v152, v163, v152
	v_mul_f32_e32 v163, v127, v193
	v_fma_f32 v127, v127, v150, -v175
	s_waitcnt vmcnt(28)
	v_mul_f32_e32 v158, v129, v167
	v_mul_f32_e32 v167, v130, v167
	v_add_f32_e32 v152, v152, v154
	v_fmac_f32_e32 v163, v128, v150
	v_add_f32_e32 v151, v151, v155
	s_waitcnt vmcnt(27) lgkmcnt(6)
	v_mul_f32_e32 v154, v1, v168
	v_mul_f32_e32 v161, v2, v168
	v_add_f32_e32 v150, v152, v157
	s_waitcnt vmcnt(21)
	v_fma_f32 v129, v129, v189, -v167
	v_add_f32_e32 v127, v151, v127
	v_fmac_f32_e32 v158, v130, v189
	v_mul_f32_e32 v155, v4, v171
	v_add_f32_e32 v150, v150, v169
	v_fmac_f32_e32 v154, v2, v188
	v_fma_f32 v1, v1, v188, -v161
	v_add_f32_e32 v2, v127, v129
	v_mul_f32_e32 v166, v3, v171
	v_add_f32_e32 v150, v150, v170
	s_waitcnt lgkmcnt(5)
	v_mul_f32_e32 v129, v132, v172
	v_fma_f32 v3, v3, v187, -v155
	v_add_f32_e32 v1, v2, v1
	v_mul_f32_e32 v128, v131, v172
	v_add_f32_e32 v150, v150, v163
	v_fmac_f32_e32 v166, v4, v187
	s_waitcnt vmcnt(20)
	v_mul_f32_e32 v4, v134, v190
	v_add_f32_e32 v1, v1, v3
	v_mul_f32_e32 v152, v133, v190
	v_add_f32_e32 v127, v150, v158
	v_fmac_f32_e32 v128, v132, v174
	s_waitcnt vmcnt(19) lgkmcnt(4)
	v_mul_f32_e32 v3, v10, v194
	v_mul_f32_e32 v157, v9, v194
	s_waitcnt vmcnt(18)
	v_mul_f32_e32 v130, v11, v164
	v_add_f32_e32 v2, v127, v154
	v_fma_f32 v127, v131, v174, -v129
	s_waitcnt vmcnt(7)
	v_fma_f32 v4, v133, v200, -v4
	v_fmac_f32_e32 v152, v134, v200
	v_fma_f32 v3, v9, v199, -v3
	v_add_f32_e32 v2, v2, v166
	v_add_f32_e32 v1, v1, v127
	v_mul_f32_e32 v127, v12, v164
	v_fmac_f32_e32 v157, v10, v199
	s_waitcnt lgkmcnt(3)
	v_mul_f32_e32 v167, v135, v191
	v_add_f32_e32 v2, v2, v128
	v_add_f32_e32 v1, v1, v4
	v_mul_f32_e32 v4, v136, v191
	v_fma_f32 v9, v11, v173, -v127
	v_fmac_f32_e32 v130, v12, v173
	v_add_f32_e32 v2, v2, v152
	v_add_f32_e32 v1, v1, v3
	v_mul_f32_e32 v3, v138, v162
	v_fma_f32 v4, v135, v149, -v4
	v_mul_f32_e32 v156, v137, v162
	v_add_f32_e32 v2, v2, v157
	v_add_f32_e32 v1, v1, v9
	v_fmac_f32_e32 v167, v136, v149
	s_waitcnt lgkmcnt(2)
	v_mul_f32_e32 v9, v6, v195
	v_mul_f32_e32 v168, v5, v195
	v_add_f32_e32 v2, v2, v130
	s_waitcnt vmcnt(3)
	v_fma_f32 v3, v137, v148, -v3
	v_add_f32_e32 v1, v1, v4
	v_fmac_f32_e32 v156, v138, v148
	v_mul_f32_e32 v4, v8, v196
	v_add_f32_e32 v2, v2, v167
	v_fma_f32 v5, v5, v147, -v9
	v_add_f32_e32 v1, v1, v3
	v_mul_f32_e32 v169, v7, v196
	v_fmac_f32_e32 v168, v6, v147
	v_add_f32_e32 v2, v2, v156
	s_waitcnt lgkmcnt(1)
	v_mul_f32_e32 v3, v140, v197
	v_fma_f32 v4, v7, v146, -v4
	v_add_f32_e32 v1, v1, v5
	v_mul_f32_e32 v170, v139, v197
	v_fmac_f32_e32 v169, v8, v146
	v_add_f32_e32 v2, v2, v168
	v_mul_f32_e32 v5, v142, v198
	v_fma_f32 v3, v139, v145, -v3
	v_add_f32_e32 v1, v1, v4
	v_mul_f32_e32 v171, v141, v198
	v_fmac_f32_e32 v170, v140, v145
	v_add_f32_e32 v2, v2, v169
	s_waitcnt lgkmcnt(0)
	v_mul_f32_e32 v4, v144, v160
	s_waitcnt vmcnt(1)
	v_fma_f32 v5, v141, v165, -v5
	v_add_f32_e32 v1, v1, v3
	v_mul_f32_e32 v151, v143, v160
	v_fmac_f32_e32 v171, v142, v165
	v_add_f32_e32 v2, v2, v170
	v_fma_f32 v3, v143, v159, -v4
	v_add_f32_e32 v1, v1, v5
	v_fmac_f32_e32 v151, v144, v159
	v_add_f32_e32 v2, v2, v171
	v_add_f32_e32 v1, v1, v3
	;; [unrolled: 1-line block ×3, first 2 shown]
	s_waitcnt vmcnt(0)
	v_sub_f32_e32 v1, v153, v1
	v_sub_f32_e32 v2, v176, v2
	buffer_store_dword v1, off, s[0:3], 0 offset:80
	buffer_store_dword v2, off, s[0:3], 0 offset:84
	v_cmpx_lt_u32_e32 9, v0
	s_cbranch_execz .LBB119_331
; %bb.330:
	s_clause 0x1
	buffer_load_dword v1, off, s[0:3], 0 offset:72
	buffer_load_dword v2, off, s[0:3], 0 offset:76
	buffer_store_dword v126, off, s[0:3], 0 offset:72
	buffer_store_dword v126, off, s[0:3], 0 offset:76
	s_waitcnt vmcnt(0)
	ds_write_b64 v125, v[1:2]
.LBB119_331:
	s_or_b32 exec_lo, exec_lo, s4
	s_waitcnt lgkmcnt(0)
	s_waitcnt_vscnt null, 0x0
	s_barrier
	buffer_gl0_inv
	s_clause 0x2c
	buffer_load_dword v167, off, s[0:3], 0 offset:84
	buffer_load_dword v168, off, s[0:3], 0 offset:92
	;; [unrolled: 1-line block ×45, first 2 shown]
	ds_read_b128 v[5:8], v126 offset:528
	buffer_load_dword v161, off, s[0:3], 0 offset:260
	ds_read_b128 v[1:4], v126 offset:544
	ds_read_b128 v[177:180], v126 offset:560
	s_clause 0x7
	buffer_load_dword v175, off, s[0:3], 0 offset:268
	buffer_load_dword v173, off, s[0:3], 0 offset:276
	buffer_load_dword v172, off, s[0:3], 0 offset:284
	buffer_load_dword v171, off, s[0:3], 0 offset:292
	buffer_load_dword v169, off, s[0:3], 0 offset:288
	buffer_load_dword v170, off, s[0:3], 0 offset:280
	buffer_load_dword v174, off, s[0:3], 0 offset:272
	buffer_load_dword v176, off, s[0:3], 0 offset:264
	ds_read_b128 v[181:184], v126 offset:576
	s_mov_b32 s4, exec_lo
	s_waitcnt vmcnt(53) lgkmcnt(3)
	v_mul_f32_e32 v185, v5, v167
	s_waitcnt vmcnt(52)
	v_mul_f32_e32 v186, v7, v168
	v_mul_f32_e32 v187, v6, v167
	;; [unrolled: 1-line block ×3, first 2 shown]
	buffer_load_dword v167, off, s[0:3], 0 offset:76
	s_waitcnt vmcnt(50)
	v_fmac_f32_e32 v185, v6, v129
	v_fmac_f32_e32 v186, v8, v128
	v_fma_f32 v187, v5, v129, -v187
	v_fma_f32 v168, v7, v128, -v168
	ds_read_b128 v[5:8], v126 offset:592
	s_waitcnt vmcnt(49) lgkmcnt(3)
	v_mul_f32_e32 v188, v1, v12
	v_mul_f32_e32 v12, v2, v12
	s_waitcnt vmcnt(48)
	v_mul_f32_e32 v189, v3, v11
	v_mul_f32_e32 v11, v4, v11
	s_waitcnt vmcnt(47) lgkmcnt(2)
	v_mul_f32_e32 v190, v177, v10
	v_fmac_f32_e32 v188, v2, v9
	v_fma_f32 v191, v1, v9, -v12
	s_waitcnt vmcnt(46)
	v_mul_f32_e32 v192, v179, v127
	v_mul_f32_e32 v9, v178, v10
	;; [unrolled: 1-line block ×3, first 2 shown]
	s_waitcnt vmcnt(42)
	v_fmac_f32_e32 v189, v4, v135
	v_fma_f32 v135, v3, v135, -v11
	ds_read_b128 v[1:4], v126 offset:608
	v_fmac_f32_e32 v190, v178, v134
	v_fmac_f32_e32 v192, v180, v132
	v_fma_f32 v134, v177, v134, -v9
	v_fma_f32 v132, v179, v132, -v10
	ds_read_b128 v[9:12], v126 offset:624
	s_waitcnt vmcnt(41) lgkmcnt(3)
	v_mul_f32_e32 v177, v181, v133
	v_mul_f32_e32 v127, v182, v133
	s_waitcnt vmcnt(40)
	v_mul_f32_e32 v133, v183, v131
	v_mul_f32_e32 v128, v184, v131
	s_waitcnt vmcnt(39) lgkmcnt(2)
	v_mul_f32_e32 v131, v5, v136
	v_fmac_f32_e32 v177, v182, v130
	v_fma_f32 v178, v181, v130, -v127
	s_waitcnt vmcnt(34)
	v_fmac_f32_e32 v133, v184, v143
	v_fma_f32 v143, v183, v143, -v128
	ds_read_b128 v[127:130], v126 offset:640
	v_mul_f32_e32 v179, v7, v137
	v_mul_f32_e32 v136, v6, v136
	v_mul_f32_e32 v137, v8, v137
	v_fmac_f32_e32 v131, v6, v142
	v_fmac_f32_e32 v179, v8, v140
	v_fma_f32 v136, v5, v142, -v136
	v_fma_f32 v137, v7, v140, -v137
	ds_read_b128 v[5:8], v126 offset:656
	s_waitcnt vmcnt(33) lgkmcnt(3)
	v_mul_f32_e32 v140, v1, v141
	v_mul_f32_e32 v141, v2, v141
	s_waitcnt vmcnt(32)
	v_mul_f32_e32 v142, v3, v139
	v_mul_f32_e32 v139, v4, v139
	s_waitcnt vmcnt(31) lgkmcnt(2)
	v_mul_f32_e32 v180, v9, v144
	v_fmac_f32_e32 v140, v2, v138
	v_fma_f32 v138, v1, v138, -v141
	s_waitcnt vmcnt(30)
	v_mul_f32_e32 v141, v11, v145
	v_mul_f32_e32 v145, v12, v145
	s_waitcnt vmcnt(26)
	v_fmac_f32_e32 v142, v4, v152
	v_fma_f32 v139, v3, v152, -v139
	ds_read_b128 v[1:4], v126 offset:672
	v_mul_f32_e32 v144, v10, v144
	v_fmac_f32_e32 v141, v12, v149
	v_fma_f32 v145, v11, v149, -v145
	s_waitcnt vmcnt(25) lgkmcnt(2)
	v_mul_f32_e32 v149, v127, v147
	v_mul_f32_e32 v147, v128, v147
	v_fmac_f32_e32 v180, v10, v151
	v_fma_f32 v144, v9, v151, -v144
	ds_read_b128 v[9:12], v126 offset:688
	v_fmac_f32_e32 v149, v128, v146
	v_fma_f32 v127, v127, v146, -v147
	s_clause 0x1
	buffer_load_dword v146, off, s[0:3], 0 offset:300
	buffer_load_dword v147, off, s[0:3], 0 offset:308
	s_waitcnt vmcnt(26)
	v_mul_f32_e32 v151, v129, v148
	v_mul_f32_e32 v148, v130, v148
	s_waitcnt vmcnt(25) lgkmcnt(2)
	v_mul_f32_e32 v152, v5, v153
	v_mul_f32_e32 v153, v6, v153
	s_waitcnt vmcnt(21)
	v_fmac_f32_e32 v151, v130, v160
	v_fma_f32 v128, v129, v160, -v148
	s_waitcnt vmcnt(20)
	v_mul_f32_e32 v129, v7, v159
	v_mul_f32_e32 v130, v8, v159
	v_fmac_f32_e32 v152, v6, v158
	v_fma_f32 v148, v5, v158, -v153
	s_clause 0x3
	buffer_load_dword v153, off, s[0:3], 0 offset:320
	buffer_load_dword v158, off, s[0:3], 0 offset:312
	;; [unrolled: 1-line block ×4, first 2 shown]
	v_fmac_f32_e32 v129, v8, v155
	v_fma_f32 v130, v7, v155, -v130
	s_waitcnt vmcnt(23) lgkmcnt(1)
	v_mul_f32_e32 v155, v1, v156
	s_waitcnt vmcnt(22)
	v_mul_f32_e32 v181, v3, v157
	v_mul_f32_e32 v5, v2, v156
	;; [unrolled: 1-line block ×3, first 2 shown]
	s_clause 0x1
	buffer_load_dword v156, off, s[0:3], 0 offset:316
	buffer_load_dword v157, off, s[0:3], 0 offset:324
	s_waitcnt vmcnt(18) lgkmcnt(0)
	v_mul_f32_e32 v184, v11, v165
	v_fmac_f32_e32 v181, v4, v166
	v_fmac_f32_e32 v155, v2, v154
	v_fma_f32 v166, v3, v166, -v6
	v_mul_f32_e32 v6, v12, v165
	v_fma_f32 v154, v1, v154, -v5
	v_mul_f32_e32 v183, v9, v164
	v_mul_f32_e32 v5, v10, v164
	v_fmac_f32_e32 v184, v12, v162
	v_fma_f32 v162, v11, v162, -v6
	v_add_f32_e32 v6, 0, v187
	v_fmac_f32_e32 v183, v10, v163
	v_fma_f32 v163, v9, v163, -v5
	v_add_f32_e32 v5, 0, v185
	buffer_load_dword v182, off, s[0:3], 0 offset:332
	v_add_f32_e32 v6, v6, v168
	ds_read_b128 v[1:4], v126 offset:704
	s_clause 0x3
	buffer_load_dword v164, off, s[0:3], 0 offset:352
	buffer_load_dword v165, off, s[0:3], 0 offset:344
	;; [unrolled: 1-line block ×4, first 2 shown]
	v_add_f32_e32 v5, v5, v186
	s_clause 0x2
	buffer_load_dword v186, off, s[0:3], 0 offset:340
	buffer_load_dword v168, off, s[0:3], 0 offset:348
	;; [unrolled: 1-line block ×3, first 2 shown]
	v_add_f32_e32 v6, v6, v191
	v_add_f32_e32 v5, v5, v188
	v_add_f32_e32 v6, v6, v135
	v_add_f32_e32 v5, v5, v189
	s_clause 0x2
	buffer_load_dword v188, off, s[0:3], 0 offset:364
	buffer_load_dword v189, off, s[0:3], 0 offset:372
	;; [unrolled: 1-line block ×3, first 2 shown]
	v_add_f32_e32 v6, v6, v134
	v_add_f32_e32 v5, v5, v190
	s_clause 0x2
	buffer_load_dword v190, off, s[0:3], 0 offset:388
	buffer_load_dword v194, off, s[0:3], 0 offset:396
	;; [unrolled: 1-line block ×3, first 2 shown]
	s_waitcnt vmcnt(31) lgkmcnt(0)
	v_mul_f32_e32 v135, v1, v161
	v_add_f32_e32 v6, v6, v132
	v_add_f32_e32 v5, v5, v192
	s_clause 0x2
	buffer_load_dword v192, off, s[0:3], 0 offset:412
	buffer_load_dword v196, off, s[0:3], 0 offset:420
	;; [unrolled: 1-line block ×3, first 2 shown]
	v_mul_f32_e32 v7, v2, v161
	v_add_f32_e32 v6, v6, v178
	v_add_f32_e32 v5, v5, v177
	s_clause 0x1
	buffer_load_dword v177, off, s[0:3], 0 offset:436
	buffer_load_dword v178, off, s[0:3], 0 offset:444
	v_fmac_f32_e32 v135, v2, v150
	v_add_f32_e32 v6, v6, v143
	s_clause 0x3
	buffer_load_dword v143, off, s[0:3], 0 offset:384
	buffer_load_dword v198, off, s[0:3], 0 offset:376
	;; [unrolled: 1-line block ×4, first 2 shown]
	v_add_f32_e32 v5, v5, v133
	v_add_f32_e32 v6, v6, v136
	v_fma_f32 v136, v1, v150, -v7
	v_add_f32_e32 v5, v5, v131
	v_add_f32_e32 v6, v6, v137
	;; [unrolled: 1-line block ×3, first 2 shown]
	s_clause 0x3
	buffer_load_dword v179, off, s[0:3], 0 offset:416
	buffer_load_dword v201, off, s[0:3], 0 offset:408
	;; [unrolled: 1-line block ×4, first 2 shown]
	v_add_f32_e32 v6, v6, v138
	v_add_f32_e32 v5, v5, v140
	;; [unrolled: 1-line block ×3, first 2 shown]
	s_waitcnt vmcnt(43)
	v_mul_f32_e32 v139, v3, v175
	v_add_f32_e32 v5, v5, v142
	v_add_f32_e32 v6, v6, v144
	s_waitcnt vmcnt(36)
	v_fmac_f32_e32 v139, v4, v176
	v_add_f32_e32 v5, v5, v180
	s_clause 0x3
	buffer_load_dword v180, off, s[0:3], 0 offset:440
	buffer_load_dword v204, off, s[0:3], 0 offset:432
	;; [unrolled: 1-line block ×4, first 2 shown]
	v_add_f32_e32 v6, v6, v145
	v_add_f32_e32 v5, v5, v141
	;; [unrolled: 1-line block ×4, first 2 shown]
	ds_read_b128 v[5:8], v126 offset:720
	v_add_f32_e32 v9, v1, v128
	v_mul_f32_e32 v1, v4, v175
	v_add_f32_e32 v10, v2, v151
	v_add_f32_e32 v127, v9, v148
	v_fma_f32 v140, v3, v176, -v1
	ds_read_b128 v[1:4], v126 offset:736
	v_add_f32_e32 v128, v10, v152
	ds_read_b128 v[9:12], v126 offset:752
	v_add_f32_e32 v127, v127, v130
	v_add_f32_e32 v128, v128, v129
	;; [unrolled: 1-line block ×3, first 2 shown]
	s_waitcnt lgkmcnt(2)
	v_mul_f32_e32 v130, v6, v173
	v_mul_f32_e32 v141, v5, v173
	;; [unrolled: 1-line block ×3, first 2 shown]
	v_fma_f32 v142, v5, v174, -v130
	v_add_f32_e32 v5, v128, v155
	v_fmac_f32_e32 v141, v6, v174
	v_add_f32_e32 v6, v131, v166
	ds_read_b128 v[127:130], v126 offset:768
	s_waitcnt lgkmcnt(2)
	v_mul_f32_e32 v132, v2, v171
	v_add_f32_e32 v5, v5, v181
	v_mul_f32_e32 v148, v1, v171
	v_add_f32_e32 v6, v6, v163
	v_mul_f32_e32 v131, v8, v172
	v_fma_f32 v151, v1, v169, -v132
	v_add_f32_e32 v5, v5, v183
	v_fmac_f32_e32 v148, v2, v169
	v_add_f32_e32 v1, v6, v162
	v_fma_f32 v150, v7, v170, -v131
	v_fmac_f32_e32 v145, v8, v170
	v_add_f32_e32 v2, v5, v184
	ds_read_b128 v[5:8], v126 offset:784
	ds_read_b128 v[131:134], v126 offset:800
	s_waitcnt vmcnt(38)
	v_mul_f32_e32 v149, v3, v146
	v_mul_f32_e32 v137, v4, v146
	s_waitcnt vmcnt(37) lgkmcnt(3)
	v_mul_f32_e32 v146, v9, v147
	v_mul_f32_e32 v138, v10, v147
	s_waitcnt vmcnt(34)
	v_fmac_f32_e32 v146, v10, v159
	v_add_f32_e32 v10, v1, v136
	v_fma_f32 v152, v9, v159, -v138
	v_add_f32_e32 v9, v2, v135
	s_waitcnt vmcnt(33)
	v_fma_f32 v147, v3, v160, -v137
	v_fmac_f32_e32 v149, v4, v160
	v_add_f32_e32 v10, v10, v140
	s_waitcnt vmcnt(32)
	v_mul_f32_e32 v154, v11, v156
	v_add_f32_e32 v9, v9, v139
	s_waitcnt vmcnt(31) lgkmcnt(2)
	v_mul_f32_e32 v155, v127, v157
	v_mul_f32_e32 v139, v128, v157
	v_add_f32_e32 v10, v10, v142
	v_mul_f32_e32 v140, v12, v156
	v_fmac_f32_e32 v154, v12, v158
	v_fmac_f32_e32 v155, v128, v153
	v_fma_f32 v153, v127, v153, -v139
	v_add_f32_e32 v127, v9, v141
	v_add_f32_e32 v150, v10, v150
	v_fma_f32 v158, v11, v158, -v140
	ds_read_b128 v[1:4], v126 offset:816
	ds_read_b128 v[135:138], v126 offset:832
	;; [unrolled: 1-line block ×4, first 2 shown]
	v_add_f32_e32 v145, v127, v145
	v_add_f32_e32 v150, v150, v151
	s_waitcnt vmcnt(30)
	v_mul_f32_e32 v156, v129, v182
	v_mul_f32_e32 v157, v130, v182
	v_add_f32_e32 v145, v145, v148
	v_add_f32_e32 v147, v150, v147
	s_waitcnt vmcnt(26)
	v_fmac_f32_e32 v156, v130, v193
	v_fma_f32 v130, v129, v193, -v157
	s_waitcnt vmcnt(25) lgkmcnt(5)
	v_mul_f32_e32 v151, v6, v186
	v_add_f32_e32 v145, v145, v149
	v_add_f32_e32 v147, v147, v152
	v_mul_f32_e32 v157, v5, v186
	s_waitcnt vmcnt(24)
	v_mul_f32_e32 v159, v8, v168
	v_fma_f32 v5, v5, v185, -v151
	v_add_f32_e32 v145, v145, v146
	v_add_f32_e32 v147, v147, v158
	v_mul_f32_e32 v148, v7, v168
	v_fmac_f32_e32 v157, v6, v185
	v_fma_f32 v7, v7, v165, -v159
	v_add_f32_e32 v145, v145, v154
	v_add_f32_e32 v147, v147, v153
	s_waitcnt vmcnt(23) lgkmcnt(4)
	v_mul_f32_e32 v150, v131, v187
	v_fmac_f32_e32 v148, v8, v165
	s_waitcnt vmcnt(22)
	v_mul_f32_e32 v149, v133, v188
	v_add_f32_e32 v145, v145, v155
	v_add_f32_e32 v130, v147, v130
	v_mul_f32_e32 v147, v132, v187
	v_fmac_f32_e32 v150, v132, v164
	s_waitcnt vmcnt(21) lgkmcnt(3)
	v_mul_f32_e32 v160, v1, v189
	v_add_f32_e32 v145, v145, v156
	v_add_f32_e32 v5, v130, v5
	v_mul_f32_e32 v130, v134, v188
	v_fma_f32 v131, v131, v164, -v147
	s_waitcnt vmcnt(20)
	v_mul_f32_e32 v152, v3, v191
	v_add_f32_e32 v8, v145, v157
	v_add_f32_e32 v5, v5, v7
	s_waitcnt vmcnt(8)
	v_fma_f32 v130, v133, v200, -v130
	v_fmac_f32_e32 v149, v134, v200
	v_fmac_f32_e32 v160, v2, v199
	v_add_f32_e32 v7, v8, v148
	v_mul_f32_e32 v8, v2, v189
	v_add_f32_e32 v5, v5, v131
	v_mul_f32_e32 v131, v4, v191
	s_waitcnt lgkmcnt(2)
	v_mul_f32_e32 v146, v135, v190
	v_add_f32_e32 v7, v7, v150
	v_fma_f32 v1, v1, v199, -v8
	v_add_f32_e32 v2, v5, v130
	v_fma_f32 v3, v3, v198, -v131
	v_fmac_f32_e32 v152, v4, v198
	v_add_f32_e32 v5, v7, v149
	v_mul_f32_e32 v7, v136, v190
	v_add_f32_e32 v1, v2, v1
	v_mul_f32_e32 v4, v138, v194
	v_mul_f32_e32 v161, v137, v194
	v_add_f32_e32 v2, v5, v160
	v_fma_f32 v5, v135, v143, -v7
	v_add_f32_e32 v1, v1, v3
	v_fmac_f32_e32 v146, v136, v143
	ds_read_b128 v[126:129], v126 offset:880
	v_add_f32_e32 v2, v2, v152
	s_waitcnt lgkmcnt(2)
	v_mul_f32_e32 v3, v10, v195
	s_waitcnt vmcnt(4)
	v_fma_f32 v4, v137, v203, -v4
	v_add_f32_e32 v1, v1, v5
	v_mul_f32_e32 v158, v9, v195
	v_fmac_f32_e32 v161, v138, v203
	v_add_f32_e32 v2, v2, v146
	v_mul_f32_e32 v5, v12, v192
	v_fma_f32 v3, v9, v202, -v3
	v_add_f32_e32 v1, v1, v4
	v_mul_f32_e32 v154, v11, v192
	v_fmac_f32_e32 v158, v10, v202
	v_add_f32_e32 v2, v2, v161
	s_waitcnt lgkmcnt(1)
	v_mul_f32_e32 v4, v140, v196
	v_fma_f32 v5, v11, v201, -v5
	v_add_f32_e32 v1, v1, v3
	v_mul_f32_e32 v162, v139, v196
	v_fmac_f32_e32 v154, v12, v201
	v_add_f32_e32 v2, v2, v158
	v_mul_f32_e32 v3, v142, v197
	v_fma_f32 v4, v139, v179, -v4
	v_add_f32_e32 v1, v1, v5
	v_mul_f32_e32 v153, v141, v197
	v_fmac_f32_e32 v162, v140, v179
	v_add_f32_e32 v2, v2, v154
	s_waitcnt lgkmcnt(0)
	v_mul_f32_e32 v5, v127, v177
	s_waitcnt vmcnt(1)
	v_fma_f32 v3, v141, v205, -v3
	v_add_f32_e32 v1, v1, v4
	v_mul_f32_e32 v155, v126, v177
	v_fmac_f32_e32 v153, v142, v205
	v_add_f32_e32 v2, v2, v162
	v_mul_f32_e32 v4, v129, v178
	v_fma_f32 v5, v126, v204, -v5
	v_add_f32_e32 v1, v1, v3
	v_mul_f32_e32 v6, v128, v178
	v_fmac_f32_e32 v155, v127, v204
	v_add_f32_e32 v2, v2, v153
	v_fma_f32 v3, v128, v180, -v4
	v_add_f32_e32 v1, v1, v5
	v_fmac_f32_e32 v6, v129, v180
	v_add_f32_e32 v2, v2, v155
	v_add_f32_e32 v1, v1, v3
	;; [unrolled: 1-line block ×3, first 2 shown]
	s_waitcnt vmcnt(0)
	v_sub_f32_e32 v1, v144, v1
	v_sub_f32_e32 v2, v167, v2
	buffer_store_dword v1, off, s[0:3], 0 offset:72
	buffer_store_dword v2, off, s[0:3], 0 offset:76
	v_cmpx_lt_u32_e32 8, v0
	s_cbranch_execz .LBB119_333
; %bb.332:
	s_clause 0x1
	buffer_load_dword v1, off, s[0:3], 0 offset:64
	buffer_load_dword v2, off, s[0:3], 0 offset:68
	v_mov_b32_e32 v3, 0
	buffer_store_dword v3, off, s[0:3], 0 offset:64
	buffer_store_dword v3, off, s[0:3], 0 offset:68
	s_waitcnt vmcnt(0)
	ds_write_b64 v125, v[1:2]
.LBB119_333:
	s_or_b32 exec_lo, exec_lo, s4
	s_waitcnt lgkmcnt(0)
	s_waitcnt_vscnt null, 0x0
	s_barrier
	buffer_gl0_inv
	s_clause 0x2c
	buffer_load_dword v11, off, s[0:3], 0 offset:76
	buffer_load_dword v12, off, s[0:3], 0 offset:84
	;; [unrolled: 1-line block ×45, first 2 shown]
	v_mov_b32_e32 v9, 0
	ds_read2_b64 v[5:8], v9 offset0:65 offset1:66
	ds_read2_b64 v[1:4], v9 offset0:67 offset1:68
	s_clause 0x9
	buffer_load_dword v174, off, s[0:3], 0 offset:252
	buffer_load_dword v171, off, s[0:3], 0 offset:260
	;; [unrolled: 1-line block ×10, first 2 shown]
	ds_read2_b64 v[178:181], v9 offset0:69 offset1:70
	ds_read2_b64 v[182:185], v9 offset0:71 offset1:72
	s_mov_b32 s4, exec_lo
	s_waitcnt vmcnt(54) lgkmcnt(3)
	v_mul_f32_e32 v186, v5, v11
	v_mul_f32_e32 v11, v6, v11
	s_waitcnt vmcnt(53)
	v_mul_f32_e32 v187, v7, v12
	v_mul_f32_e32 v12, v8, v12
	s_waitcnt vmcnt(52) lgkmcnt(2)
	v_mul_f32_e32 v188, v1, v126
	s_waitcnt vmcnt(49)
	v_fmac_f32_e32 v186, v6, v129
	v_fma_f32 v11, v5, v129, -v11
	s_waitcnt vmcnt(48)
	v_mul_f32_e32 v189, v3, v128
	v_mul_f32_e32 v5, v2, v126
	v_mul_f32_e32 v6, v4, v128
	v_fmac_f32_e32 v187, v8, v127
	s_waitcnt vmcnt(43) lgkmcnt(1)
	v_mul_f32_e32 v190, v178, v136
	v_mul_f32_e32 v126, v179, v136
	v_fma_f32 v12, v7, v127, -v12
	v_fmac_f32_e32 v188, v2, v10
	v_fmac_f32_e32 v189, v4, v137
	v_fma_f32 v10, v1, v10, -v5
	v_fma_f32 v137, v3, v137, -v6
	ds_read2_b64 v[1:4], v9 offset0:73 offset1:74
	ds_read2_b64 v[5:8], v9 offset0:75 offset1:76
	s_waitcnt vmcnt(42)
	v_mul_f32_e32 v136, v180, v135
	v_mul_f32_e32 v127, v181, v135
	s_waitcnt vmcnt(41) lgkmcnt(2)
	v_mul_f32_e32 v135, v182, v133
	v_fmac_f32_e32 v190, v179, v132
	v_fma_f32 v178, v178, v132, -v126
	s_waitcnt vmcnt(40)
	v_mul_f32_e32 v179, v184, v134
	v_mul_f32_e32 v126, v183, v133
	;; [unrolled: 1-line block ×3, first 2 shown]
	v_fmac_f32_e32 v136, v181, v131
	v_fma_f32 v134, v180, v131, -v127
	v_fmac_f32_e32 v135, v183, v130
	s_waitcnt vmcnt(36)
	v_fmac_f32_e32 v179, v185, v145
	v_fma_f32 v180, v182, v130, -v126
	v_fma_f32 v145, v184, v145, -v128
	ds_read2_b64 v[126:129], v9 offset0:77 offset1:78
	ds_read2_b64 v[130:133], v9 offset0:79 offset1:80
	s_waitcnt vmcnt(35) lgkmcnt(3)
	v_mul_f32_e32 v181, v1, v143
	s_waitcnt vmcnt(34)
	v_mul_f32_e32 v182, v3, v144
	v_mul_f32_e32 v143, v2, v143
	;; [unrolled: 1-line block ×3, first 2 shown]
	s_waitcnt vmcnt(33) lgkmcnt(2)
	v_mul_f32_e32 v183, v5, v142
	v_mul_f32_e32 v142, v6, v142
	v_fmac_f32_e32 v181, v2, v140
	v_fmac_f32_e32 v182, v4, v139
	v_fma_f32 v140, v1, v140, -v143
	v_fma_f32 v139, v3, v139, -v144
	s_clause 0x1
	buffer_load_dword v143, off, s[0:3], 0 offset:292
	buffer_load_dword v144, off, s[0:3], 0 offset:300
	s_waitcnt vmcnt(34)
	v_mul_f32_e32 v184, v7, v141
	v_mul_f32_e32 v141, v8, v141
	v_fmac_f32_e32 v183, v6, v138
	v_fma_f32 v138, v5, v138, -v142
	ds_read2_b64 v[1:4], v9 offset0:81 offset1:82
	s_waitcnt vmcnt(29) lgkmcnt(2)
	v_mul_f32_e32 v142, v126, v153
	v_mul_f32_e32 v5, v127, v153
	s_waitcnt vmcnt(28)
	v_mul_f32_e32 v6, v129, v154
	v_fmac_f32_e32 v184, v8, v156
	v_fma_f32 v141, v7, v156, -v141
	v_fmac_f32_e32 v142, v127, v148
	v_fma_f32 v126, v126, v148, -v5
	v_fma_f32 v127, v128, v147, -v6
	ds_read2_b64 v[5:8], v9 offset0:83 offset1:84
	v_mul_f32_e32 v156, v128, v154
	s_waitcnt vmcnt(27) lgkmcnt(2)
	v_mul_f32_e32 v153, v130, v150
	s_waitcnt vmcnt(26)
	v_mul_f32_e32 v154, v132, v151
	v_mul_f32_e32 v150, v131, v150
	v_mul_f32_e32 v151, v133, v151
	v_fmac_f32_e32 v156, v129, v147
	v_fmac_f32_e32 v153, v131, v146
	s_waitcnt vmcnt(22)
	v_fmac_f32_e32 v154, v133, v169
	v_fma_f32 v128, v130, v146, -v150
	v_fma_f32 v129, v132, v169, -v151
	s_clause 0x5
	buffer_load_dword v146, off, s[0:3], 0 offset:308
	buffer_load_dword v147, off, s[0:3], 0 offset:316
	;; [unrolled: 1-line block ×6, first 2 shown]
	s_waitcnt vmcnt(27) lgkmcnt(1)
	v_mul_f32_e32 v130, v1, v164
	s_waitcnt vmcnt(26)
	v_mul_f32_e32 v131, v3, v165
	v_mul_f32_e32 v132, v2, v164
	v_mul_f32_e32 v133, v4, v165
	v_add_f32_e32 v165, 0, v186
	v_fmac_f32_e32 v130, v2, v162
	v_fmac_f32_e32 v131, v4, v158
	v_fma_f32 v132, v1, v162, -v132
	v_fma_f32 v133, v3, v158, -v133
	ds_read2_b64 v[1:4], v9 offset0:85 offset1:86
	s_waitcnt vmcnt(25) lgkmcnt(1)
	v_mul_f32_e32 v158, v5, v159
	v_mul_f32_e32 v159, v6, v159
	buffer_load_dword v164, off, s[0:3], 0 offset:324
	s_waitcnt vmcnt(25)
	v_mul_f32_e32 v162, v7, v160
	v_mul_f32_e32 v160, v8, v160
	v_fmac_f32_e32 v158, v6, v157
	v_add_f32_e32 v6, 0, v11
	v_add_f32_e32 v11, v165, v187
	v_fma_f32 v157, v5, v157, -v159
	s_waitcnt vmcnt(21)
	v_fmac_f32_e32 v162, v8, v176
	v_fma_f32 v159, v7, v176, -v160
	v_add_f32_e32 v5, v6, v12
	v_add_f32_e32 v11, v11, v188
	s_clause 0x4
	buffer_load_dword v12, off, s[0:3], 0 offset:344
	buffer_load_dword v160, off, s[0:3], 0 offset:336
	;; [unrolled: 1-line block ×5, first 2 shown]
	v_add_f32_e32 v10, v5, v10
	v_add_f32_e32 v11, v11, v189
	ds_read2_b64 v[5:8], v9 offset0:87 offset1:88
	s_waitcnt vmcnt(25) lgkmcnt(1)
	v_mul_f32_e32 v186, v1, v175
	v_mul_f32_e32 v175, v2, v175
	v_add_f32_e32 v10, v10, v137
	v_add_f32_e32 v11, v11, v190
	s_clause 0x1
	buffer_load_dword v187, off, s[0:3], 0 offset:340
	buffer_load_dword v188, off, s[0:3], 0 offset:348
	v_fmac_f32_e32 v186, v2, v172
	v_fma_f32 v137, v1, v172, -v175
	v_add_f32_e32 v1, v10, v178
	v_add_f32_e32 v2, v11, v136
	buffer_load_dword v189, off, s[0:3], 0 offset:356
	s_waitcnt vmcnt(27)
	v_mul_f32_e32 v172, v3, v170
	v_mul_f32_e32 v10, v4, v170
	v_add_f32_e32 v1, v1, v134
	v_add_f32_e32 v2, v2, v135
	s_clause 0x2
	buffer_load_dword v175, off, s[0:3], 0 offset:364
	buffer_load_dword v178, off, s[0:3], 0 offset:372
	;; [unrolled: 1-line block ×3, first 2 shown]
	v_fmac_f32_e32 v172, v4, v166
	v_fma_f32 v10, v3, v166, -v10
	v_add_f32_e32 v2, v2, v179
	s_clause 0x1
	buffer_load_dword v166, off, s[0:3], 0 offset:388
	buffer_load_dword v190, off, s[0:3], 0 offset:396
	v_add_f32_e32 v1, v1, v180
	s_clause 0x2
	buffer_load_dword v179, off, s[0:3], 0 offset:404
	buffer_load_dword v180, off, s[0:3], 0 offset:412
	;; [unrolled: 1-line block ×3, first 2 shown]
	s_waitcnt vmcnt(34) lgkmcnt(0)
	v_mul_f32_e32 v11, v5, v174
	v_add_f32_e32 v2, v2, v181
	s_clause 0x2
	buffer_load_dword v181, off, s[0:3], 0 offset:428
	buffer_load_dword v192, off, s[0:3], 0 offset:436
	;; [unrolled: 1-line block ×3, first 2 shown]
	v_add_f32_e32 v1, v1, v145
	v_mul_f32_e32 v3, v6, v174
	v_fmac_f32_e32 v11, v6, v149
	v_add_f32_e32 v2, v2, v182
	s_clause 0x3
	buffer_load_dword v182, off, s[0:3], 0 offset:376
	buffer_load_dword v194, off, s[0:3], 0 offset:368
	;; [unrolled: 1-line block ×4, first 2 shown]
	v_add_f32_e32 v1, v1, v140
	v_fma_f32 v134, v5, v149, -v3
	v_add_f32_e32 v2, v2, v183
	v_add_f32_e32 v1, v1, v139
	;; [unrolled: 1-line block ×3, first 2 shown]
	s_clause 0x3
	buffer_load_dword v183, off, s[0:3], 0 offset:408
	buffer_load_dword v184, off, s[0:3], 0 offset:400
	;; [unrolled: 1-line block ×4, first 2 shown]
	v_add_f32_e32 v1, v1, v138
	s_waitcnt vmcnt(44)
	v_mul_f32_e32 v138, v7, v171
	v_add_f32_e32 v2, v2, v142
	v_add_f32_e32 v1, v1, v141
	s_waitcnt vmcnt(37)
	v_fmac_f32_e32 v138, v8, v173
	v_add_f32_e32 v2, v2, v156
	s_clause 0x4
	buffer_load_dword v156, off, s[0:3], 0 offset:440
	buffer_load_dword v199, off, s[0:3], 0 offset:432
	;; [unrolled: 1-line block ×5, first 2 shown]
	v_add_f32_e32 v1, v1, v126
	v_add_f32_e32 v2, v2, v153
	v_add_f32_e32 v1, v1, v127
	v_add_f32_e32 v5, v2, v154
	v_add_f32_e32 v1, v1, v128
	v_add_f32_e32 v126, v5, v130
	v_mul_f32_e32 v5, v8, v171
	v_add_f32_e32 v6, v1, v129
	ds_read2_b64 v[1:4], v9 offset0:89 offset1:90
	v_add_f32_e32 v130, v126, v131
	v_fma_f32 v139, v7, v173, -v5
	v_add_f32_e32 v127, v6, v132
	ds_read2_b64 v[5:8], v9 offset0:91 offset1:92
	v_add_f32_e32 v130, v130, v158
	v_add_f32_e32 v131, v127, v133
	ds_read2_b64 v[126:129], v9 offset0:93 offset1:94
	v_add_f32_e32 v135, v130, v162
	v_add_f32_e32 v131, v131, v157
	s_waitcnt lgkmcnt(2)
	v_mul_f32_e32 v132, v2, v167
	v_mul_f32_e32 v142, v1, v167
	;; [unrolled: 1-line block ×3, first 2 shown]
	v_fma_f32 v145, v1, v168, -v132
	v_add_f32_e32 v1, v131, v159
	v_fmac_f32_e32 v142, v2, v168
	v_add_f32_e32 v2, v135, v186
	s_waitcnt lgkmcnt(1)
	v_mul_f32_e32 v153, v5, v161
	v_mul_f32_e32 v136, v6, v161
	v_add_f32_e32 v1, v1, v137
	ds_read2_b64 v[130:133], v9 offset0:95 offset1:96
	v_add_f32_e32 v2, v2, v172
	v_fmac_f32_e32 v153, v6, v152
	v_fma_f32 v152, v5, v152, -v136
	v_add_f32_e32 v1, v1, v10
	v_mul_f32_e32 v135, v4, v163
	v_add_f32_e32 v5, v2, v11
	v_fmac_f32_e32 v149, v4, v155
	v_add_f32_e32 v6, v1, v134
	v_fma_f32 v10, v3, v155, -v135
	ds_read2_b64 v[1:4], v9 offset0:97 offset1:98
	ds_read2_b64 v[134:137], v9 offset0:99 offset1:100
	s_waitcnt vmcnt(40)
	v_mul_f32_e32 v140, v8, v143
	s_waitcnt vmcnt(39) lgkmcnt(3)
	v_mul_f32_e32 v157, v126, v144
	v_mul_f32_e32 v11, v127, v144
	;; [unrolled: 1-line block ×3, first 2 shown]
	s_waitcnt vmcnt(38)
	v_mul_f32_e32 v158, v128, v146
	s_waitcnt vmcnt(34)
	v_fmac_f32_e32 v157, v127, v151
	v_fma_f32 v151, v126, v151, -v11
	v_add_f32_e32 v11, v6, v139
	v_add_f32_e32 v127, v5, v138
	s_waitcnt vmcnt(33)
	v_fma_f32 v155, v7, v169, -v140
	v_fmac_f32_e32 v154, v8, v169
	v_fmac_f32_e32 v158, v129, v150
	v_add_f32_e32 v11, v11, v145
	v_add_f32_e32 v126, v127, v142
	v_mul_f32_e32 v127, v129, v146
	s_waitcnt lgkmcnt(2)
	v_mul_f32_e32 v146, v130, v147
	v_mul_f32_e32 v142, v131, v147
	v_add_f32_e32 v10, v11, v10
	v_add_f32_e32 v126, v126, v149
	v_fma_f32 v150, v128, v150, -v127
	s_waitcnt vmcnt(32)
	v_mul_f32_e32 v147, v133, v164
	v_fmac_f32_e32 v146, v131, v148
	v_add_f32_e32 v152, v10, v152
	v_add_f32_e32 v153, v126, v153
	v_fma_f32 v148, v130, v148, -v142
	v_mul_f32_e32 v149, v132, v164
	ds_read2_b64 v[5:8], v9 offset0:101 offset1:102
	ds_read2_b64 v[138:141], v9 offset0:103 offset1:104
	v_add_f32_e32 v152, v152, v155
	v_add_f32_e32 v153, v153, v154
	s_waitcnt vmcnt(28)
	v_fma_f32 v147, v132, v176, -v147
	s_waitcnt vmcnt(27) lgkmcnt(3)
	v_mul_f32_e32 v159, v2, v185
	v_fmac_f32_e32 v149, v133, v176
	v_add_f32_e32 v151, v152, v151
	v_add_f32_e32 v153, v153, v157
	v_mul_f32_e32 v154, v1, v185
	v_fma_f32 v1, v1, v165, -v159
	ds_read2_b64 v[126:129], v9 offset0:105 offset1:106
	ds_read2_b64 v[142:145], v9 offset0:107 offset1:108
	v_add_f32_e32 v150, v151, v150
	v_add_f32_e32 v153, v153, v158
	s_waitcnt vmcnt(26)
	v_mul_f32_e32 v161, v4, v187
	v_mul_f32_e32 v155, v3, v187
	v_fmac_f32_e32 v154, v2, v165
	v_add_f32_e32 v148, v150, v148
	v_add_f32_e32 v146, v153, v146
	s_waitcnt vmcnt(25) lgkmcnt(4)
	v_mul_f32_e32 v157, v134, v188
	v_mul_f32_e32 v159, v135, v188
	v_fma_f32 v3, v3, v160, -v161
	v_add_f32_e32 v147, v148, v147
	v_add_f32_e32 v146, v146, v149
	v_fmac_f32_e32 v155, v4, v160
	s_waitcnt vmcnt(24)
	v_mul_f32_e32 v148, v137, v189
	v_fmac_f32_e32 v157, v135, v12
	v_add_f32_e32 v1, v147, v1
	v_add_f32_e32 v146, v146, v154
	v_fma_f32 v12, v134, v12, -v159
	v_mul_f32_e32 v152, v136, v189
	s_waitcnt vmcnt(23) lgkmcnt(3)
	v_mul_f32_e32 v134, v6, v175
	v_add_f32_e32 v1, v1, v3
	v_add_f32_e32 v3, v146, v155
	v_mul_f32_e32 v2, v5, v175
	s_waitcnt vmcnt(22)
	v_mul_f32_e32 v158, v7, v178
	s_waitcnt vmcnt(21) lgkmcnt(2)
	v_mul_f32_e32 v151, v138, v170
	v_add_f32_e32 v1, v1, v12
	v_add_f32_e32 v3, v3, v157
	v_mul_f32_e32 v12, v8, v178
	s_waitcnt vmcnt(9)
	v_fma_f32 v135, v136, v196, -v148
	v_fmac_f32_e32 v152, v137, v196
	v_fma_f32 v5, v5, v195, -v134
	v_fmac_f32_e32 v2, v6, v195
	v_mul_f32_e32 v6, v139, v170
	v_add_f32_e32 v1, v1, v135
	v_add_f32_e32 v3, v3, v152
	v_fma_f32 v7, v7, v194, -v12
	v_fmac_f32_e32 v158, v8, v194
	v_mul_f32_e32 v4, v140, v166
	v_add_f32_e32 v1, v1, v5
	v_add_f32_e32 v2, v3, v2
	v_mul_f32_e32 v3, v141, v166
	v_fma_f32 v5, v138, v182, -v6
	v_fmac_f32_e32 v151, v139, v182
	v_add_f32_e32 v1, v1, v7
	v_add_f32_e32 v2, v2, v158
	s_waitcnt lgkmcnt(1)
	v_mul_f32_e32 v6, v127, v190
	s_waitcnt vmcnt(5)
	v_fma_f32 v3, v140, v198, -v3
	ds_read2_b64 v[130:133], v9 offset0:109 offset1:110
	ds_read_b64 v[10:11], v9 offset:888
	v_add_f32_e32 v1, v1, v5
	v_mul_f32_e32 v160, v126, v190
	v_fmac_f32_e32 v4, v141, v198
	v_add_f32_e32 v2, v2, v151
	v_mul_f32_e32 v5, v129, v179
	v_fma_f32 v6, v126, v197, -v6
	v_add_f32_e32 v1, v1, v3
	v_mul_f32_e32 v150, v128, v179
	v_fmac_f32_e32 v160, v127, v197
	v_add_f32_e32 v2, v2, v4
	s_waitcnt lgkmcnt(2)
	v_mul_f32_e32 v3, v143, v180
	v_fma_f32 v4, v128, v184, -v5
	v_add_f32_e32 v1, v1, v6
	v_mul_f32_e32 v153, v142, v180
	v_fmac_f32_e32 v150, v129, v184
	v_add_f32_e32 v2, v2, v160
	v_mul_f32_e32 v5, v145, v191
	v_fma_f32 v3, v142, v183, -v3
	v_add_f32_e32 v1, v1, v4
	v_mul_f32_e32 v161, v144, v191
	v_fmac_f32_e32 v153, v143, v183
	v_add_f32_e32 v2, v2, v150
	s_waitcnt lgkmcnt(1)
	v_mul_f32_e32 v4, v131, v181
	s_waitcnt vmcnt(1)
	v_fma_f32 v5, v144, v201, -v5
	v_add_f32_e32 v1, v1, v3
	v_mul_f32_e32 v149, v130, v181
	v_fmac_f32_e32 v161, v145, v201
	v_add_f32_e32 v2, v2, v153
	v_mul_f32_e32 v3, v133, v192
	v_fma_f32 v4, v130, v200, -v4
	v_add_f32_e32 v1, v1, v5
	v_mul_f32_e32 v162, v132, v192
	v_fmac_f32_e32 v149, v131, v200
	v_add_f32_e32 v2, v2, v161
	s_waitcnt lgkmcnt(0)
	v_mul_f32_e32 v5, v11, v193
	v_fma_f32 v3, v132, v199, -v3
	v_add_f32_e32 v1, v1, v4
	v_mul_f32_e32 v147, v10, v193
	v_fmac_f32_e32 v162, v133, v199
	v_add_f32_e32 v2, v2, v149
	v_fma_f32 v4, v10, v156, -v5
	v_add_f32_e32 v1, v1, v3
	v_fmac_f32_e32 v147, v11, v156
	v_add_f32_e32 v2, v2, v162
	v_add_f32_e32 v1, v1, v4
	;; [unrolled: 1-line block ×3, first 2 shown]
	s_waitcnt vmcnt(0)
	v_sub_f32_e32 v1, v202, v1
	v_sub_f32_e32 v2, v177, v2
	buffer_store_dword v1, off, s[0:3], 0 offset:64
	buffer_store_dword v2, off, s[0:3], 0 offset:68
	v_cmpx_lt_u32_e32 7, v0
	s_cbranch_execz .LBB119_335
; %bb.334:
	s_clause 0x1
	buffer_load_dword v1, off, s[0:3], 0 offset:56
	buffer_load_dword v2, off, s[0:3], 0 offset:60
	buffer_store_dword v9, off, s[0:3], 0 offset:56
	buffer_store_dword v9, off, s[0:3], 0 offset:60
	s_waitcnt vmcnt(0)
	ds_write_b64 v125, v[1:2]
.LBB119_335:
	s_or_b32 exec_lo, exec_lo, s4
	s_waitcnt lgkmcnt(0)
	s_waitcnt_vscnt null, 0x0
	s_barrier
	buffer_gl0_inv
	s_clause 0x33
	buffer_load_dword v160, off, s[0:3], 0 offset:68
	buffer_load_dword v161, off, s[0:3], 0 offset:76
	;; [unrolled: 1-line block ×52, first 2 shown]
	ds_read_b128 v[169:172], v9 offset:512
	ds_read_b128 v[173:176], v9 offset:528
	;; [unrolled: 1-line block ×3, first 2 shown]
	s_clause 0x1
	buffer_load_dword v166, off, s[0:3], 0 offset:260
	buffer_load_dword v167, off, s[0:3], 0 offset:268
	ds_read_b128 v[181:184], v9 offset:560
	s_mov_b32 s4, exec_lo
	s_waitcnt vmcnt(53) lgkmcnt(3)
	v_mul_f32_e32 v185, v169, v160
	v_mul_f32_e32 v186, v170, v160
	s_waitcnt vmcnt(52)
	v_mul_f32_e32 v187, v171, v161
	v_mul_f32_e32 v161, v172, v161
	buffer_load_dword v160, off, s[0:3], 0 offset:60
	s_waitcnt vmcnt(50)
	v_fmac_f32_e32 v185, v170, v7
	v_fma_f32 v186, v169, v7, -v186
	v_fmac_f32_e32 v187, v172, v5
	v_fma_f32 v161, v171, v5, -v161
	ds_read_b128 v[169:172], v9 offset:576
	s_waitcnt vmcnt(49) lgkmcnt(3)
	v_mul_f32_e32 v188, v173, v2
	s_waitcnt vmcnt(48)
	v_mul_f32_e32 v189, v175, v3
	v_mul_f32_e32 v2, v174, v2
	;; [unrolled: 1-line block ×3, first 2 shown]
	s_waitcnt vmcnt(47) lgkmcnt(2)
	v_mul_f32_e32 v190, v177, v6
	v_mul_f32_e32 v5, v178, v6
	v_fmac_f32_e32 v188, v174, v1
	v_fma_f32 v191, v173, v1, -v2
	s_waitcnt vmcnt(46)
	v_mul_f32_e32 v192, v179, v4
	v_mul_f32_e32 v6, v180, v4
	s_waitcnt vmcnt(42)
	v_fma_f32 v193, v175, v127, -v3
	ds_read_b128 v[1:4], v9 offset:592
	v_fmac_f32_e32 v189, v176, v127
	v_fmac_f32_e32 v190, v178, v126
	v_fma_f32 v177, v177, v126, -v5
	v_fmac_f32_e32 v192, v180, v11
	v_fma_f32 v11, v179, v11, -v6
	ds_read_b128 v[173:176], v9 offset:608
	s_waitcnt vmcnt(41) lgkmcnt(3)
	v_mul_f32_e32 v178, v181, v12
	v_mul_f32_e32 v5, v182, v12
	s_waitcnt vmcnt(40)
	v_mul_f32_e32 v12, v183, v10
	v_mul_f32_e32 v6, v184, v10
	s_waitcnt vmcnt(39) lgkmcnt(2)
	v_mul_f32_e32 v10, v169, v128
	v_fmac_f32_e32 v178, v182, v8
	v_fma_f32 v179, v181, v8, -v5
	v_mul_f32_e32 v126, v170, v128
	s_waitcnt vmcnt(38)
	v_mul_f32_e32 v127, v172, v129
	s_waitcnt vmcnt(34)
	v_fmac_f32_e32 v12, v184, v135
	v_fma_f32 v135, v183, v135, -v6
	ds_read_b128 v[5:8], v9 offset:624
	v_mul_f32_e32 v180, v171, v129
	v_fmac_f32_e32 v10, v170, v134
	v_fma_f32 v134, v169, v134, -v126
	v_fma_f32 v169, v171, v132, -v127
	ds_read_b128 v[126:129], v9 offset:640
	v_fmac_f32_e32 v180, v172, v132
	s_waitcnt vmcnt(33) lgkmcnt(3)
	v_mul_f32_e32 v170, v1, v133
	v_mul_f32_e32 v132, v2, v133
	s_waitcnt vmcnt(32)
	v_mul_f32_e32 v171, v3, v131
	v_mul_f32_e32 v131, v4, v131
	s_waitcnt vmcnt(31) lgkmcnt(2)
	v_mul_f32_e32 v172, v173, v136
	v_fmac_f32_e32 v170, v2, v130
	v_fma_f32 v181, v1, v130, -v132
	v_mul_f32_e32 v130, v174, v136
	s_waitcnt vmcnt(30)
	v_mul_f32_e32 v182, v175, v137
	v_mul_f32_e32 v132, v176, v137
	s_waitcnt vmcnt(26)
	v_fmac_f32_e32 v171, v4, v143
	v_fma_f32 v136, v3, v143, -v131
	ds_read_b128 v[1:4], v9 offset:656
	v_fmac_f32_e32 v172, v174, v142
	v_fma_f32 v137, v173, v142, -v130
	s_waitcnt vmcnt(25) lgkmcnt(2)
	v_mul_f32_e32 v142, v5, v141
	v_fmac_f32_e32 v182, v176, v140
	v_fma_f32 v140, v175, v140, -v132
	ds_read_b128 v[130:133], v9 offset:672
	v_mul_f32_e32 v141, v6, v141
	s_waitcnt vmcnt(24)
	v_mul_f32_e32 v143, v7, v139
	v_mul_f32_e32 v139, v8, v139
	s_waitcnt vmcnt(23) lgkmcnt(2)
	v_mul_f32_e32 v173, v126, v144
	v_fmac_f32_e32 v142, v6, v138
	v_mul_f32_e32 v6, v127, v144
	v_fma_f32 v5, v5, v138, -v141
	s_waitcnt vmcnt(22)
	v_mul_f32_e32 v138, v128, v145
	v_mul_f32_e32 v141, v129, v145
	s_waitcnt vmcnt(18)
	v_fmac_f32_e32 v143, v8, v152
	v_fma_f32 v7, v7, v152, -v139
	v_fmac_f32_e32 v173, v127, v151
	v_fma_f32 v6, v126, v151, -v6
	s_clause 0x5
	buffer_load_dword v139, off, s[0:3], 0 offset:284
	buffer_load_dword v144, off, s[0:3], 0 offset:288
	;; [unrolled: 1-line block ×6, first 2 shown]
	v_fma_f32 v126, v128, v147, -v141
	s_waitcnt vmcnt(23) lgkmcnt(1)
	v_mul_f32_e32 v127, v1, v148
	s_waitcnt vmcnt(22)
	v_mul_f32_e32 v141, v3, v149
	v_mul_f32_e32 v8, v2, v148
	;; [unrolled: 1-line block ×3, first 2 shown]
	v_fmac_f32_e32 v138, v129, v147
	v_fmac_f32_e32 v127, v2, v146
	s_waitcnt vmcnt(18)
	v_fmac_f32_e32 v141, v4, v159
	v_fma_f32 v129, v1, v146, -v8
	v_fma_f32 v146, v3, v159, -v128
	s_waitcnt vmcnt(17) lgkmcnt(0)
	v_mul_f32_e32 v159, v130, v157
	v_mul_f32_e32 v8, v131, v157
	s_clause 0x1
	buffer_load_dword v147, off, s[0:3], 0 offset:300
	buffer_load_dword v148, off, s[0:3], 0 offset:308
	ds_read_b128 v[1:4], v9 offset:688
	buffer_load_dword v149, off, s[0:3], 0 offset:316
	s_waitcnt vmcnt(19)
	v_mul_f32_e32 v175, v132, v158
	v_mul_f32_e32 v128, v133, v158
	v_fmac_f32_e32 v159, v131, v156
	v_fma_f32 v130, v130, v156, -v8
	s_clause 0x5
	buffer_load_dword v156, off, s[0:3], 0 offset:336
	buffer_load_dword v157, off, s[0:3], 0 offset:328
	;; [unrolled: 1-line block ×6, first 2 shown]
	v_fmac_f32_e32 v175, v133, v155
	v_fma_f32 v155, v132, v155, -v128
	v_add_f32_e32 v8, 0, v185
	v_add_f32_e32 v128, 0, v186
	;; [unrolled: 1-line block ×4, first 2 shown]
	buffer_load_dword v161, off, s[0:3], 0 offset:340
	s_waitcnt vmcnt(25) lgkmcnt(0)
	v_mul_f32_e32 v131, v2, v154
	v_add_f32_e32 v8, v8, v188
	v_add_f32_e32 v128, v128, v191
	s_waitcnt vmcnt(24)
	v_mul_f32_e32 v132, v4, v153
	s_clause 0x3
	buffer_load_dword v185, off, s[0:3], 0 offset:348
	buffer_load_dword v186, off, s[0:3], 0 offset:356
	;; [unrolled: 1-line block ×4, first 2 shown]
	v_add_f32_e32 v8, v8, v189
	v_add_f32_e32 v128, v128, v193
	v_mul_f32_e32 v189, v1, v154
	v_mul_f32_e32 v154, v3, v153
	v_add_f32_e32 v8, v8, v190
	v_add_f32_e32 v128, v128, v177
	v_fmac_f32_e32 v189, v2, v150
	v_fma_f32 v150, v1, v150, -v131
	s_clause 0x3
	buffer_load_dword v153, off, s[0:3], 0 offset:380
	buffer_load_dword v177, off, s[0:3], 0 offset:388
	;; [unrolled: 1-line block ×4, first 2 shown]
	v_add_f32_e32 v1, v8, v192
	v_add_f32_e32 v2, v128, v11
	s_waitcnt vmcnt(27)
	v_fmac_f32_e32 v154, v4, v168
	v_fma_f32 v11, v3, v168, -v132
	s_clause 0x1
	buffer_load_dword v168, off, s[0:3], 0 offset:412
	buffer_load_dword v192, off, s[0:3], 0 offset:420
	v_add_f32_e32 v1, v1, v178
	v_add_f32_e32 v2, v2, v179
	s_clause 0x6
	buffer_load_dword v178, off, s[0:3], 0 offset:428
	buffer_load_dword v179, off, s[0:3], 0 offset:436
	;; [unrolled: 1-line block ×7, first 2 shown]
	v_add_f32_e32 v1, v1, v12
	v_add_f32_e32 v2, v2, v135
	;; [unrolled: 1-line block ×6, first 2 shown]
	s_clause 0x3
	buffer_load_dword v169, off, s[0:3], 0 offset:400
	buffer_load_dword v180, off, s[0:3], 0 offset:392
	;; [unrolled: 1-line block ×4, first 2 shown]
	v_add_f32_e32 v1, v1, v170
	v_add_f32_e32 v2, v2, v181
	;; [unrolled: 1-line block ×3, first 2 shown]
	s_clause 0x4
	buffer_load_dword v170, off, s[0:3], 0 offset:432
	buffer_load_dword v171, off, s[0:3], 0 offset:424
	;; [unrolled: 1-line block ×5, first 2 shown]
	v_add_f32_e32 v2, v2, v136
	v_add_f32_e32 v1, v1, v172
	buffer_load_dword v172, off, s[0:3], 0 offset:440
	v_add_f32_e32 v2, v2, v137
	v_add_f32_e32 v1, v1, v182
	;; [unrolled: 1-line block ×5, first 2 shown]
	ds_read_b128 v[1:4], v9 offset:704
	v_add_f32_e32 v5, v5, v7
	v_add_f32_e32 v7, v8, v143
	;; [unrolled: 1-line block ×4, first 2 shown]
	ds_read_b128 v[5:8], v9 offset:720
	v_add_f32_e32 v10, v10, v126
	v_add_f32_e32 v12, v12, v138
	;; [unrolled: 1-line block ×4, first 2 shown]
	s_waitcnt vmcnt(44) lgkmcnt(1)
	v_mul_f32_e32 v142, v3, v167
	v_mul_f32_e32 v128, v4, v167
	;; [unrolled: 1-line block ×3, first 2 shown]
	v_add_f32_e32 v10, v10, v146
	v_add_f32_e32 v12, v12, v141
	v_mul_f32_e32 v126, v2, v166
	v_fmac_f32_e32 v142, v4, v164
	v_fma_f32 v143, v3, v164, -v128
	v_add_f32_e32 v10, v10, v130
	v_add_f32_e32 v12, v12, v159
	s_waitcnt lgkmcnt(0)
	v_mul_f32_e32 v146, v5, v163
	v_mul_f32_e32 v131, v6, v163
	v_fmac_f32_e32 v140, v2, v165
	v_fma_f32 v138, v1, v165, -v126
	ds_read_b128 v[1:4], v9 offset:736
	ds_read_b128 v[126:129], v9 offset:752
	v_add_f32_e32 v10, v10, v155
	v_fmac_f32_e32 v146, v6, v162
	v_fma_f32 v162, v5, v162, -v131
	v_add_f32_e32 v12, v12, v175
	v_add_f32_e32 v10, v10, v150
	;; [unrolled: 1-line block ×9, first 2 shown]
	s_waitcnt vmcnt(42)
	v_mul_f32_e32 v164, v7, v139
	v_mul_f32_e32 v132, v8, v139
	s_waitcnt vmcnt(40) lgkmcnt(1)
	v_mul_f32_e32 v155, v1, v145
	v_mul_f32_e32 v134, v2, v145
	s_waitcnt vmcnt(37)
	v_fmac_f32_e32 v164, v8, v174
	v_fma_f32 v163, v7, v174, -v132
	ds_read_b128 v[5:8], v9 offset:768
	ds_read_b128 v[130:133], v9 offset:784
	v_fmac_f32_e32 v155, v2, v144
	v_fma_f32 v144, v1, v144, -v134
	s_waitcnt vmcnt(36)
	v_mul_f32_e32 v145, v3, v147
	v_mul_f32_e32 v135, v4, v147
	s_waitcnt vmcnt(35) lgkmcnt(2)
	v_mul_f32_e32 v147, v126, v148
	v_mul_f32_e32 v139, v127, v148
	s_waitcnt vmcnt(34)
	v_mul_f32_e32 v12, v129, v149
	v_mul_f32_e32 v150, v128, v149
	v_fmac_f32_e32 v145, v4, v152
	v_fmac_f32_e32 v147, v127, v151
	v_fma_f32 v149, v126, v151, -v139
	s_waitcnt vmcnt(29) lgkmcnt(1)
	v_mul_f32_e32 v143, v5, v183
	v_fma_f32 v151, v128, v176, -v12
	v_mul_f32_e32 v12, v6, v183
	v_fma_f32 v148, v3, v152, -v135
	s_waitcnt vmcnt(28)
	v_mul_f32_e32 v142, v7, v184
	v_fmac_f32_e32 v143, v6, v158
	v_add_f32_e32 v6, v10, v162
	v_mul_f32_e32 v152, v8, v184
	v_add_f32_e32 v10, v11, v146
	v_fmac_f32_e32 v142, v8, v157
	ds_read_b128 v[1:4], v9 offset:800
	ds_read_b128 v[134:137], v9 offset:816
	v_add_f32_e32 v154, v6, v163
	v_fma_f32 v152, v7, v157, -v152
	v_add_f32_e32 v157, v10, v164
	v_fmac_f32_e32 v150, v129, v176
	v_fma_f32 v146, v5, v158, -v12
	v_add_f32_e32 v144, v154, v144
	s_waitcnt vmcnt(27) lgkmcnt(2)
	v_mul_f32_e32 v154, v131, v161
	v_add_f32_e32 v155, v157, v155
	v_mul_f32_e32 v158, v130, v161
	s_waitcnt vmcnt(26)
	v_mul_f32_e32 v159, v133, v185
	v_add_f32_e32 v144, v144, v148
	v_fma_f32 v130, v130, v156, -v154
	v_add_f32_e32 v145, v155, v145
	v_mul_f32_e32 v157, v132, v185
	v_fmac_f32_e32 v158, v131, v156
	v_add_f32_e32 v144, v144, v149
	ds_read_b128 v[126:129], v9 offset:832
	ds_read_b128 v[138:141], v9 offset:848
	v_add_f32_e32 v145, v145, v147
	s_waitcnt vmcnt(25) lgkmcnt(3)
	v_mul_f32_e32 v148, v1, v186
	s_waitcnt vmcnt(24)
	v_mul_f32_e32 v155, v3, v187
	v_add_f32_e32 v144, v144, v151
	s_waitcnt vmcnt(23) lgkmcnt(2)
	v_mul_f32_e32 v161, v134, v188
	v_add_f32_e32 v145, v145, v150
	s_waitcnt vmcnt(22)
	v_mul_f32_e32 v149, v136, v153
	s_waitcnt vmcnt(12)
	v_fmac_f32_e32 v155, v4, v195
	v_add_f32_e32 v144, v144, v146
	s_waitcnt vmcnt(10)
	v_fma_f32 v132, v132, v197, -v159
	v_add_f32_e32 v143, v145, v143
	v_fmac_f32_e32 v157, v133, v197
	v_fmac_f32_e32 v148, v2, v196
	v_add_f32_e32 v144, v144, v152
	v_fmac_f32_e32 v161, v135, v194
	v_add_f32_e32 v142, v143, v142
	v_mul_f32_e32 v143, v2, v186
	ds_read_b128 v[5:8], v9 offset:864
	ds_read_b128 v[9:12], v9 offset:880
	v_add_f32_e32 v130, v144, v130
	s_waitcnt lgkmcnt(3)
	v_mul_f32_e32 v147, v126, v177
	v_add_f32_e32 v133, v142, v158
	v_mul_f32_e32 v142, v4, v187
	v_fma_f32 v1, v1, v196, -v143
	v_add_f32_e32 v2, v130, v132
	v_mul_f32_e32 v132, v135, v188
	v_add_f32_e32 v130, v133, v157
	v_fma_f32 v3, v3, v195, -v142
	v_mul_f32_e32 v4, v137, v153
	v_add_f32_e32 v1, v2, v1
	s_waitcnt vmcnt(6)
	v_fmac_f32_e32 v149, v137, v199
	v_add_f32_e32 v2, v130, v148
	v_fma_f32 v130, v134, v194, -v132
	v_fma_f32 v4, v136, v199, -v4
	v_add_f32_e32 v1, v1, v3
	v_mul_f32_e32 v3, v127, v177
	v_add_f32_e32 v2, v2, v155
	v_mul_f32_e32 v162, v128, v190
	v_fmac_f32_e32 v147, v127, v198
	v_add_f32_e32 v1, v1, v130
	v_mul_f32_e32 v130, v129, v190
	v_add_f32_e32 v2, v2, v161
	v_fma_f32 v3, v126, v198, -v3
	s_waitcnt lgkmcnt(2)
	v_mul_f32_e32 v151, v138, v191
	v_add_f32_e32 v1, v1, v4
	v_mul_f32_e32 v4, v139, v191
	v_add_f32_e32 v2, v2, v149
	v_fma_f32 v126, v128, v180, -v130
	v_fmac_f32_e32 v162, v129, v180
	v_add_f32_e32 v1, v1, v3
	v_mul_f32_e32 v3, v141, v168
	v_add_f32_e32 v2, v2, v147
	v_fma_f32 v4, v138, v169, -v4
	v_mul_f32_e32 v150, v140, v168
	v_add_f32_e32 v1, v1, v126
	v_fmac_f32_e32 v151, v139, v169
	v_add_f32_e32 v2, v2, v162
	s_waitcnt lgkmcnt(1)
	v_mul_f32_e32 v126, v6, v192
	s_waitcnt vmcnt(2)
	v_fma_f32 v3, v140, v200, -v3
	v_add_f32_e32 v1, v1, v4
	v_mul_f32_e32 v163, v5, v192
	v_fmac_f32_e32 v150, v141, v200
	v_add_f32_e32 v2, v2, v151
	v_mul_f32_e32 v4, v8, v178
	v_fma_f32 v5, v5, v181, -v126
	v_add_f32_e32 v1, v1, v3
	v_mul_f32_e32 v146, v7, v178
	v_fmac_f32_e32 v163, v6, v181
	v_add_f32_e32 v2, v2, v150
	s_waitcnt lgkmcnt(0)
	v_mul_f32_e32 v3, v10, v179
	v_fma_f32 v4, v7, v171, -v4
	v_add_f32_e32 v1, v1, v5
	v_mul_f32_e32 v145, v9, v179
	v_fmac_f32_e32 v146, v8, v171
	v_add_f32_e32 v2, v2, v163
	v_mul_f32_e32 v5, v12, v193
	v_fma_f32 v3, v9, v170, -v3
	v_add_f32_e32 v1, v1, v4
	v_mul_f32_e32 v131, v11, v193
	v_fmac_f32_e32 v145, v10, v170
	v_add_f32_e32 v2, v2, v146
	s_waitcnt vmcnt(0)
	v_fma_f32 v4, v11, v172, -v5
	v_add_f32_e32 v1, v1, v3
	v_fmac_f32_e32 v131, v12, v172
	v_add_f32_e32 v2, v2, v145
	v_add_f32_e32 v1, v1, v4
	;; [unrolled: 1-line block ×3, first 2 shown]
	v_sub_f32_e32 v1, v201, v1
	v_sub_f32_e32 v2, v160, v2
	buffer_store_dword v1, off, s[0:3], 0 offset:56
	buffer_store_dword v2, off, s[0:3], 0 offset:60
	v_cmpx_lt_u32_e32 6, v0
	s_cbranch_execz .LBB119_337
; %bb.336:
	s_clause 0x1
	buffer_load_dword v1, off, s[0:3], 0 offset:48
	buffer_load_dword v2, off, s[0:3], 0 offset:52
	v_mov_b32_e32 v3, 0
	buffer_store_dword v3, off, s[0:3], 0 offset:48
	buffer_store_dword v3, off, s[0:3], 0 offset:52
	s_waitcnt vmcnt(0)
	ds_write_b64 v125, v[1:2]
.LBB119_337:
	s_or_b32 exec_lo, exec_lo, s4
	s_waitcnt lgkmcnt(0)
	s_waitcnt_vscnt null, 0x0
	s_barrier
	buffer_gl0_inv
	s_clause 0x33
	buffer_load_dword v11, off, s[0:3], 0 offset:60
	buffer_load_dword v12, off, s[0:3], 0 offset:68
	buffer_load_dword v10, off, s[0:3], 0 offset:72
	buffer_load_dword v129, off, s[0:3], 0 offset:64
	buffer_load_dword v131, off, s[0:3], 0 offset:56
	buffer_load_dword v126, off, s[0:3], 0 offset:76
	buffer_load_dword v127, off, s[0:3], 0 offset:84
	buffer_load_dword v130, off, s[0:3], 0 offset:92
	buffer_load_dword v128, off, s[0:3], 0 offset:100
	buffer_load_dword v132, off, s[0:3], 0 offset:104
	buffer_load_dword v134, off, s[0:3], 0 offset:96
	buffer_load_dword v136, off, s[0:3], 0 offset:88
	buffer_load_dword v137, off, s[0:3], 0 offset:80
	buffer_load_dword v135, off, s[0:3], 0 offset:108
	buffer_load_dword v133, off, s[0:3], 0 offset:116
	buffer_load_dword v138, off, s[0:3], 0 offset:124
	buffer_load_dword v139, off, s[0:3], 0 offset:132
	buffer_load_dword v140, off, s[0:3], 0 offset:136
	buffer_load_dword v142, off, s[0:3], 0 offset:128
	buffer_load_dword v144, off, s[0:3], 0 offset:120
	buffer_load_dword v145, off, s[0:3], 0 offset:112
	buffer_load_dword v143, off, s[0:3], 0 offset:140
	buffer_load_dword v141, off, s[0:3], 0 offset:148
	buffer_load_dword v146, off, s[0:3], 0 offset:156
	buffer_load_dword v147, off, s[0:3], 0 offset:164
	buffer_load_dword v148, off, s[0:3], 0 offset:168
	buffer_load_dword v151, off, s[0:3], 0 offset:160
	buffer_load_dword v153, off, s[0:3], 0 offset:152
	buffer_load_dword v154, off, s[0:3], 0 offset:144
	buffer_load_dword v152, off, s[0:3], 0 offset:172
	buffer_load_dword v150, off, s[0:3], 0 offset:180
	buffer_load_dword v155, off, s[0:3], 0 offset:188
	buffer_load_dword v157, off, s[0:3], 0 offset:196
	buffer_load_dword v159, off, s[0:3], 0 offset:200
	buffer_load_dword v163, off, s[0:3], 0 offset:192
	buffer_load_dword v164, off, s[0:3], 0 offset:184
	buffer_load_dword v165, off, s[0:3], 0 offset:176
	buffer_load_dword v161, off, s[0:3], 0 offset:204
	buffer_load_dword v162, off, s[0:3], 0 offset:212
	buffer_load_dword v166, off, s[0:3], 0 offset:232
	buffer_load_dword v169, off, s[0:3], 0 offset:224
	buffer_load_dword v170, off, s[0:3], 0 offset:216
	buffer_load_dword v173, off, s[0:3], 0 offset:208
	buffer_load_dword v171, off, s[0:3], 0 offset:220
	buffer_load_dword v172, off, s[0:3], 0 offset:228
	buffer_load_dword v168, off, s[0:3], 0 offset:236
	buffer_load_dword v167, off, s[0:3], 0 offset:244
	buffer_load_dword v149, off, s[0:3], 0 offset:264
	buffer_load_dword v156, off, s[0:3], 0 offset:268
	buffer_load_dword v158, off, s[0:3], 0 offset:256
	buffer_load_dword v160, off, s[0:3], 0 offset:248
	buffer_load_dword v174, off, s[0:3], 0 offset:240
	v_mov_b32_e32 v9, 0
	ds_read2_b64 v[5:8], v9 offset0:63 offset1:64
	ds_read2_b64 v[1:4], v9 offset0:65 offset1:66
	;; [unrolled: 1-line block ×3, first 2 shown]
	s_clause 0x2
	buffer_load_dword v175, off, s[0:3], 0 offset:252
	buffer_load_dword v176, off, s[0:3], 0 offset:260
	;; [unrolled: 1-line block ×3, first 2 shown]
	ds_read2_b64 v[182:185], v9 offset0:69 offset1:70
	s_mov_b32 s4, exec_lo
	s_waitcnt vmcnt(54) lgkmcnt(3)
	v_mul_f32_e32 v186, v5, v11
	s_waitcnt vmcnt(53)
	v_mul_f32_e32 v187, v7, v12
	v_mul_f32_e32 v11, v6, v11
	;; [unrolled: 1-line block ×3, first 2 shown]
	s_waitcnt vmcnt(50)
	v_fmac_f32_e32 v186, v6, v131
	v_fmac_f32_e32 v187, v8, v129
	v_fma_f32 v11, v5, v131, -v11
	v_fma_f32 v12, v7, v129, -v12
	ds_read2_b64 v[5:8], v9 offset0:71 offset1:72
	s_waitcnt vmcnt(49) lgkmcnt(3)
	v_mul_f32_e32 v188, v1, v126
	s_waitcnt vmcnt(48)
	v_mul_f32_e32 v189, v3, v127
	v_mul_f32_e32 v126, v2, v126
	;; [unrolled: 1-line block ×3, first 2 shown]
	s_waitcnt vmcnt(47) lgkmcnt(2)
	v_mul_f32_e32 v190, v178, v130
	v_mul_f32_e32 v129, v179, v130
	v_fmac_f32_e32 v188, v2, v10
	v_fma_f32 v10, v1, v10, -v126
	s_waitcnt vmcnt(46)
	v_mul_f32_e32 v191, v180, v128
	v_mul_f32_e32 v126, v181, v128
	s_waitcnt vmcnt(42)
	v_fmac_f32_e32 v189, v4, v137
	v_fma_f32 v137, v3, v137, -v127
	ds_read2_b64 v[1:4], v9 offset0:73 offset1:74
	v_fmac_f32_e32 v190, v179, v136
	v_fma_f32 v136, v178, v136, -v129
	v_fmac_f32_e32 v191, v181, v134
	v_fma_f32 v134, v180, v134, -v126
	ds_read2_b64 v[126:129], v9 offset0:75 offset1:76
	s_waitcnt vmcnt(41) lgkmcnt(3)
	v_mul_f32_e32 v178, v182, v135
	v_mul_f32_e32 v130, v183, v135
	s_waitcnt vmcnt(40)
	v_mul_f32_e32 v135, v184, v133
	v_mul_f32_e32 v131, v185, v133
	s_waitcnt vmcnt(39) lgkmcnt(2)
	v_mul_f32_e32 v179, v5, v138
	v_fmac_f32_e32 v178, v183, v132
	v_fma_f32 v180, v182, v132, -v130
	s_waitcnt vmcnt(38)
	v_mul_f32_e32 v181, v7, v139
	v_mul_f32_e32 v138, v6, v138
	;; [unrolled: 1-line block ×3, first 2 shown]
	s_waitcnt vmcnt(34)
	v_fmac_f32_e32 v135, v185, v145
	v_fma_f32 v145, v184, v145, -v131
	ds_read2_b64 v[130:133], v9 offset0:77 offset1:78
	v_fmac_f32_e32 v179, v6, v144
	v_fmac_f32_e32 v181, v8, v142
	v_fma_f32 v138, v5, v144, -v138
	v_fma_f32 v139, v7, v142, -v139
	ds_read2_b64 v[5:8], v9 offset0:79 offset1:80
	s_waitcnt vmcnt(33) lgkmcnt(3)
	v_mul_f32_e32 v142, v1, v143
	v_mul_f32_e32 v143, v2, v143
	s_waitcnt vmcnt(32)
	v_mul_f32_e32 v144, v3, v141
	v_mul_f32_e32 v141, v4, v141
	s_waitcnt vmcnt(31) lgkmcnt(2)
	v_mul_f32_e32 v182, v126, v146
	v_fmac_f32_e32 v142, v2, v140
	v_fma_f32 v140, v1, v140, -v143
	s_waitcnt vmcnt(30)
	v_mul_f32_e32 v143, v128, v147
	v_mul_f32_e32 v147, v129, v147
	;; [unrolled: 1-line block ×3, first 2 shown]
	s_waitcnt vmcnt(26)
	v_fmac_f32_e32 v144, v4, v154
	v_fma_f32 v141, v3, v154, -v141
	v_fmac_f32_e32 v143, v129, v151
	v_fma_f32 v147, v128, v151, -v147
	s_waitcnt vmcnt(25) lgkmcnt(1)
	v_mul_f32_e32 v151, v130, v152
	v_mul_f32_e32 v152, v131, v152
	ds_read2_b64 v[1:4], v9 offset0:81 offset1:82
	v_fmac_f32_e32 v182, v127, v153
	v_fma_f32 v146, v126, v153, -v146
	s_waitcnt vmcnt(24)
	v_mul_f32_e32 v153, v132, v150
	v_mul_f32_e32 v150, v133, v150
	s_waitcnt vmcnt(23) lgkmcnt(1)
	v_mul_f32_e32 v154, v5, v155
	v_fmac_f32_e32 v151, v131, v148
	v_fma_f32 v130, v130, v148, -v152
	v_mul_f32_e32 v148, v6, v155
	ds_read2_b64 v[126:129], v9 offset0:83 offset1:84
	s_waitcnt vmcnt(22)
	v_mul_f32_e32 v131, v7, v157
	v_mul_f32_e32 v152, v8, v157
	s_waitcnt vmcnt(18)
	v_fmac_f32_e32 v153, v133, v165
	v_fma_f32 v132, v132, v165, -v150
	v_fmac_f32_e32 v154, v6, v164
	v_fma_f32 v5, v5, v164, -v148
	s_clause 0x5
	buffer_load_dword v133, off, s[0:3], 0 offset:276
	buffer_load_dword v148, off, s[0:3], 0 offset:280
	;; [unrolled: 1-line block ×6, first 2 shown]
	v_fmac_f32_e32 v131, v8, v163
	v_fma_f32 v6, v7, v163, -v152
	s_clause 0x1
	buffer_load_dword v152, off, s[0:3], 0 offset:292
	buffer_load_dword v163, off, s[0:3], 0 offset:300
	s_waitcnt vmcnt(25) lgkmcnt(1)
	v_mul_f32_e32 v165, v1, v161
	s_waitcnt vmcnt(24)
	v_mul_f32_e32 v183, v3, v162
	v_mul_f32_e32 v7, v2, v161
	v_mul_f32_e32 v8, v4, v162
	buffer_load_dword v161, off, s[0:3], 0 offset:308
	v_fmac_f32_e32 v165, v2, v159
	s_waitcnt vmcnt(21)
	v_fmac_f32_e32 v183, v4, v173
	v_fma_f32 v159, v1, v159, -v7
	v_fma_f32 v162, v3, v173, -v8
	ds_read2_b64 v[1:4], v9 offset0:85 offset1:86
	s_waitcnt vmcnt(20) lgkmcnt(1)
	v_mul_f32_e32 v173, v126, v171
	s_waitcnt vmcnt(19)
	v_mul_f32_e32 v184, v128, v172
	v_mul_f32_e32 v7, v127, v171
	;; [unrolled: 1-line block ×3, first 2 shown]
	s_clause 0x4
	buffer_load_dword v171, off, s[0:3], 0 offset:328
	buffer_load_dword v172, off, s[0:3], 0 offset:320
	;; [unrolled: 1-line block ×5, first 2 shown]
	v_fmac_f32_e32 v173, v127, v170
	v_fmac_f32_e32 v184, v129, v169
	v_fma_f32 v170, v126, v170, -v7
	v_add_f32_e32 v7, 0, v186
	v_fma_f32 v169, v128, v169, -v8
	buffer_load_dword v186, off, s[0:3], 0 offset:324
	v_add_f32_e32 v8, 0, v11
	v_add_f32_e32 v7, v7, v187
	buffer_load_dword v187, off, s[0:3], 0 offset:332
	v_add_f32_e32 v8, v8, v12
	v_add_f32_e32 v7, v7, v188
	s_waitcnt vmcnt(25) lgkmcnt(0)
	v_mul_f32_e32 v11, v1, v168
	v_mul_f32_e32 v12, v2, v168
	s_waitcnt vmcnt(24)
	v_mul_f32_e32 v168, v3, v167
	v_mul_f32_e32 v126, v4, v167
	v_fmac_f32_e32 v11, v2, v166
	v_add_f32_e32 v2, v7, v189
	v_fma_f32 v12, v1, v166, -v12
	s_clause 0x2
	buffer_load_dword v166, off, s[0:3], 0 offset:340
	buffer_load_dword v167, off, s[0:3], 0 offset:348
	;; [unrolled: 1-line block ×3, first 2 shown]
	v_add_f32_e32 v1, v8, v10
	buffer_load_dword v189, off, s[0:3], 0 offset:372
	v_add_f32_e32 v2, v2, v190
	s_waitcnt vmcnt(23)
	v_fmac_f32_e32 v168, v4, v174
	v_fma_f32 v10, v3, v174, -v126
	s_clause 0x5
	buffer_load_dword v174, off, s[0:3], 0 offset:364
	buffer_load_dword v190, off, s[0:3], 0 offset:360
	;; [unrolled: 1-line block ×6, first 2 shown]
	v_add_f32_e32 v1, v1, v137
	v_add_f32_e32 v2, v2, v191
	s_clause 0x1
	buffer_load_dword v191, off, s[0:3], 0 offset:388
	buffer_load_dword v198, off, s[0:3], 0 offset:396
	v_add_f32_e32 v1, v1, v136
	v_add_f32_e32 v2, v2, v178
	;; [unrolled: 1-line block ×6, first 2 shown]
	s_clause 0x5
	buffer_load_dword v178, off, s[0:3], 0 offset:404
	buffer_load_dword v180, off, s[0:3], 0 offset:412
	;; [unrolled: 1-line block ×6, first 2 shown]
	v_add_f32_e32 v2, v2, v181
	s_clause 0x3
	buffer_load_dword v181, off, s[0:3], 0 offset:392
	buffer_load_dword v202, off, s[0:3], 0 offset:384
	;; [unrolled: 1-line block ×4, first 2 shown]
	v_add_f32_e32 v1, v1, v145
	v_add_f32_e32 v2, v2, v142
	;; [unrolled: 1-line block ×6, first 2 shown]
	s_clause 0x3
	buffer_load_dword v182, off, s[0:3], 0 offset:424
	buffer_load_dword v205, off, s[0:3], 0 offset:416
	;; [unrolled: 1-line block ×4, first 2 shown]
	v_add_f32_e32 v1, v1, v140
	v_add_f32_e32 v2, v2, v143
	;; [unrolled: 1-line block ×5, first 2 shown]
	s_clause 0x1
	buffer_load_dword v146, off, s[0:3], 0 offset:440
	buffer_load_dword v208, off, s[0:3], 0 offset:432
	v_add_f32_e32 v7, v2, v153
	v_add_f32_e32 v1, v1, v147
	buffer_load_dword v147, off, s[0:3], 0 offset:48
	v_add_f32_e32 v7, v7, v154
	v_add_f32_e32 v1, v1, v130
	;; [unrolled: 1-line block ×4, first 2 shown]
	ds_read2_b64 v[1:4], v9 offset0:87 offset1:88
	v_add_f32_e32 v126, v126, v165
	v_add_f32_e32 v5, v8, v5
	;; [unrolled: 1-line block ×4, first 2 shown]
	ds_read2_b64 v[5:8], v9 offset0:89 offset1:90
	v_add_f32_e32 v130, v130, v173
	v_add_f32_e32 v127, v127, v159
	;; [unrolled: 1-line block ×4, first 2 shown]
	s_waitcnt vmcnt(47) lgkmcnt(1)
	v_mul_f32_e32 v134, v1, v175
	s_waitcnt vmcnt(46)
	v_mul_f32_e32 v138, v3, v176
	v_mul_f32_e32 v128, v2, v175
	;; [unrolled: 1-line block ×3, first 2 shown]
	v_add_f32_e32 v131, v131, v170
	v_fmac_f32_e32 v134, v2, v160
	v_fmac_f32_e32 v138, v4, v158
	v_fma_f32 v135, v1, v160, -v128
	v_fma_f32 v139, v3, v158, -v129
	v_add_f32_e32 v137, v131, v169
	ds_read2_b64 v[1:4], v9 offset0:91 offset1:92
	ds_read2_b64 v[126:129], v9 offset0:93 offset1:94
	s_waitcnt lgkmcnt(2)
	v_mul_f32_e32 v142, v5, v156
	v_mul_f32_e32 v132, v6, v156
	v_add_f32_e32 v12, v137, v12
	v_add_f32_e32 v11, v136, v11
	v_fmac_f32_e32 v142, v6, v149
	v_fma_f32 v144, v5, v149, -v132
	v_add_f32_e32 v10, v12, v10
	v_add_f32_e32 v11, v11, v168
	v_add_f32_e32 v10, v10, v135
	v_add_f32_e32 v11, v11, v134
	v_add_f32_e32 v10, v10, v139
	v_add_f32_e32 v11, v11, v138
	v_add_f32_e32 v10, v10, v144
	v_add_f32_e32 v11, v11, v142
	s_waitcnt vmcnt(44)
	v_mul_f32_e32 v143, v7, v133
	v_mul_f32_e32 v133, v8, v133
	s_waitcnt vmcnt(42) lgkmcnt(1)
	v_mul_f32_e32 v149, v1, v150
	v_mul_f32_e32 v136, v2, v150
	s_waitcnt vmcnt(39)
	v_fmac_f32_e32 v143, v8, v164
	v_fma_f32 v145, v7, v164, -v133
	ds_read2_b64 v[5:8], v9 offset0:95 offset1:96
	ds_read2_b64 v[130:133], v9 offset0:97 offset1:98
	s_waitcnt vmcnt(37) lgkmcnt(2)
	v_mul_f32_e32 v151, v126, v163
	v_mul_f32_e32 v140, v127, v163
	;; [unrolled: 1-line block ×3, first 2 shown]
	v_fmac_f32_e32 v149, v2, v148
	v_fma_f32 v148, v1, v148, -v136
	v_fmac_f32_e32 v151, v127, v155
	v_fma_f32 v153, v126, v155, -v140
	v_add_f32_e32 v10, v10, v145
	v_mul_f32_e32 v150, v3, v152
	v_fma_f32 v152, v3, v157, -v137
	s_waitcnt vmcnt(36)
	v_mul_f32_e32 v141, v129, v161
	v_mul_f32_e32 v12, v128, v161
	v_add_f32_e32 v148, v10, v148
	v_fmac_f32_e32 v150, v4, v157
	ds_read2_b64 v[1:4], v9 offset0:99 offset1:100
	ds_read2_b64 v[134:137], v9 offset0:101 offset1:102
	s_waitcnt vmcnt(32)
	v_fma_f32 v154, v128, v192, -v141
	v_fmac_f32_e32 v12, v129, v192
	v_add_f32_e32 v148, v148, v152
	s_waitcnt vmcnt(31) lgkmcnt(3)
	v_mul_f32_e32 v155, v5, v193
	v_mul_f32_e32 v142, v6, v193
	ds_read2_b64 v[126:129], v9 offset0:103 offset1:104
	ds_read2_b64 v[138:141], v9 offset0:105 offset1:106
	s_waitcnt vmcnt(30)
	v_mul_f32_e32 v144, v8, v186
	v_add_f32_e32 v148, v148, v153
	v_fmac_f32_e32 v155, v6, v185
	v_add_f32_e32 v6, v11, v143
	v_fma_f32 v157, v5, v185, -v142
	v_mul_f32_e32 v156, v7, v186
	v_add_f32_e32 v148, v148, v154
	v_fma_f32 v158, v7, v172, -v144
	v_add_f32_e32 v149, v6, v149
	s_waitcnt vmcnt(29) lgkmcnt(4)
	v_mul_f32_e32 v159, v131, v187
	v_fmac_f32_e32 v156, v8, v172
	v_add_f32_e32 v148, v148, v157
	ds_read2_b64 v[5:8], v9 offset0:107 offset1:108
	ds_read2_b64 v[142:145], v9 offset0:109 offset1:110
	ds_read_b64 v[10:11], v9 offset:888
	v_add_f32_e32 v149, v149, v150
	v_mul_f32_e32 v150, v130, v187
	s_waitcnt vmcnt(28)
	v_mul_f32_e32 v160, v133, v166
	v_fma_f32 v130, v130, v171, -v159
	v_add_f32_e32 v148, v148, v158
	v_add_f32_e32 v149, v149, v151
	v_mul_f32_e32 v152, v132, v166
	v_fmac_f32_e32 v150, v131, v171
	s_waitcnt vmcnt(27) lgkmcnt(6)
	v_mul_f32_e32 v151, v1, v167
	v_mul_f32_e32 v159, v2, v167
	v_add_f32_e32 v12, v149, v12
	s_waitcnt vmcnt(20)
	v_fma_f32 v132, v132, v196, -v160
	v_add_f32_e32 v130, v148, v130
	v_fmac_f32_e32 v152, v133, v196
	v_fmac_f32_e32 v151, v2, v195
	v_add_f32_e32 v12, v12, v155
	v_fma_f32 v1, v1, v195, -v159
	v_add_f32_e32 v2, v130, v132
	v_mul_f32_e32 v153, v3, v188
	s_waitcnt lgkmcnt(5)
	v_mul_f32_e32 v130, v135, v174
	v_add_f32_e32 v12, v12, v156
	v_mul_f32_e32 v156, v4, v188
	v_add_f32_e32 v1, v2, v1
	v_mul_f32_e32 v131, v134, v174
	v_fmac_f32_e32 v153, v4, v194
	v_add_f32_e32 v12, v12, v150
	v_fma_f32 v3, v3, v194, -v156
	v_mul_f32_e32 v4, v137, v189
	v_mul_f32_e32 v149, v136, v189
	v_fmac_f32_e32 v131, v135, v190
	v_add_f32_e32 v12, v12, v152
	v_add_f32_e32 v1, v1, v3
	s_waitcnt vmcnt(19) lgkmcnt(4)
	v_mul_f32_e32 v3, v127, v197
	s_waitcnt vmcnt(7)
	v_fma_f32 v4, v136, v204, -v4
	v_mul_f32_e32 v154, v126, v197
	v_add_f32_e32 v2, v12, v151
	v_fma_f32 v12, v134, v190, -v130
	v_fmac_f32_e32 v149, v137, v204
	v_fma_f32 v3, v126, v203, -v3
	v_mul_f32_e32 v133, v128, v191
	v_add_f32_e32 v2, v2, v153
	v_add_f32_e32 v1, v1, v12
	v_mul_f32_e32 v12, v129, v191
	v_fmac_f32_e32 v154, v127, v203
	s_waitcnt lgkmcnt(3)
	v_mul_f32_e32 v160, v138, v198
	v_add_f32_e32 v2, v2, v131
	v_add_f32_e32 v1, v1, v4
	v_mul_f32_e32 v4, v139, v198
	v_fma_f32 v12, v128, v202, -v12
	v_fmac_f32_e32 v133, v129, v202
	v_add_f32_e32 v2, v2, v149
	v_add_f32_e32 v1, v1, v3
	v_mul_f32_e32 v3, v141, v178
	v_fma_f32 v4, v138, v181, -v4
	v_mul_f32_e32 v155, v140, v178
	v_add_f32_e32 v2, v2, v154
	v_add_f32_e32 v1, v1, v12
	v_fmac_f32_e32 v160, v139, v181
	s_waitcnt lgkmcnt(2)
	v_mul_f32_e32 v12, v6, v180
	s_waitcnt vmcnt(3)
	v_fma_f32 v3, v140, v207, -v3
	v_add_f32_e32 v2, v2, v133
	v_add_f32_e32 v1, v1, v4
	v_mul_f32_e32 v157, v5, v180
	v_fmac_f32_e32 v155, v141, v207
	v_mul_f32_e32 v4, v8, v199
	v_add_f32_e32 v2, v2, v160
	v_fma_f32 v5, v5, v206, -v12
	v_add_f32_e32 v1, v1, v3
	v_mul_f32_e32 v161, v7, v199
	v_fmac_f32_e32 v157, v6, v206
	v_add_f32_e32 v2, v2, v155
	s_waitcnt lgkmcnt(1)
	v_mul_f32_e32 v3, v143, v200
	v_fma_f32 v4, v7, v205, -v4
	v_add_f32_e32 v1, v1, v5
	v_mul_f32_e32 v158, v142, v200
	v_fmac_f32_e32 v161, v8, v205
	v_add_f32_e32 v2, v2, v157
	v_mul_f32_e32 v5, v145, v201
	v_fma_f32 v3, v142, v182, -v3
	v_add_f32_e32 v1, v1, v4
	v_mul_f32_e32 v162, v144, v201
	v_fmac_f32_e32 v158, v143, v182
	v_add_f32_e32 v2, v2, v161
	s_waitcnt lgkmcnt(0)
	v_mul_f32_e32 v4, v11, v179
	s_waitcnt vmcnt(1)
	v_fma_f32 v5, v144, v208, -v5
	v_add_f32_e32 v1, v1, v3
	v_mul_f32_e32 v148, v10, v179
	v_fmac_f32_e32 v162, v145, v208
	v_add_f32_e32 v2, v2, v158
	v_fma_f32 v3, v10, v146, -v4
	v_add_f32_e32 v1, v1, v5
	v_fmac_f32_e32 v148, v11, v146
	v_add_f32_e32 v2, v2, v162
	v_add_f32_e32 v1, v1, v3
	;; [unrolled: 1-line block ×3, first 2 shown]
	s_waitcnt vmcnt(0)
	v_sub_f32_e32 v1, v147, v1
	v_sub_f32_e32 v2, v177, v2
	buffer_store_dword v1, off, s[0:3], 0 offset:48
	buffer_store_dword v2, off, s[0:3], 0 offset:52
	v_cmpx_lt_u32_e32 5, v0
	s_cbranch_execz .LBB119_339
; %bb.338:
	s_clause 0x1
	buffer_load_dword v1, off, s[0:3], 0 offset:40
	buffer_load_dword v2, off, s[0:3], 0 offset:44
	buffer_store_dword v9, off, s[0:3], 0 offset:40
	buffer_store_dword v9, off, s[0:3], 0 offset:44
	s_waitcnt vmcnt(0)
	ds_write_b64 v125, v[1:2]
.LBB119_339:
	s_or_b32 exec_lo, exec_lo, s4
	s_waitcnt lgkmcnt(0)
	s_waitcnt_vscnt null, 0x0
	s_barrier
	buffer_gl0_inv
	s_clause 0x35
	buffer_load_dword v1, off, s[0:3], 0 offset:52
	buffer_load_dword v3, off, s[0:3], 0 offset:60
	;; [unrolled: 1-line block ×54, first 2 shown]
	ds_read_b128 v[170:173], v9 offset:496
	ds_read_b128 v[174:177], v9 offset:512
	;; [unrolled: 1-line block ×4, first 2 shown]
	buffer_load_dword v164, off, s[0:3], 0 offset:44
	s_mov_b32 s4, exec_lo
	s_waitcnt vmcnt(54) lgkmcnt(3)
	v_mul_f32_e32 v186, v170, v1
	v_mul_f32_e32 v1, v171, v1
	s_waitcnt vmcnt(53)
	v_mul_f32_e32 v187, v172, v3
	v_mul_f32_e32 v3, v173, v3
	s_waitcnt vmcnt(52) lgkmcnt(2)
	v_mul_f32_e32 v188, v174, v5
	v_mul_f32_e32 v5, v175, v5
	s_waitcnt vmcnt(49)
	v_fma_f32 v189, v170, v7, -v1
	s_waitcnt vmcnt(48)
	v_mul_f32_e32 v1, v177, v6
	v_fmac_f32_e32 v186, v171, v7
	v_fmac_f32_e32 v187, v173, v4
	v_fma_f32 v191, v172, v4, -v3
	v_fmac_f32_e32 v188, v175, v2
	v_fma_f32 v174, v174, v2, -v5
	s_waitcnt vmcnt(44)
	v_fma_f32 v175, v176, v129, -v1
	ds_read_b128 v[1:4], v9 offset:560
	ds_read_b128 v[170:173], v9 offset:576
	v_mul_f32_e32 v190, v176, v6
	s_waitcnt vmcnt(43) lgkmcnt(3)
	v_mul_f32_e32 v176, v178, v128
	v_mul_f32_e32 v5, v179, v128
	s_waitcnt vmcnt(42)
	v_mul_f32_e32 v6, v181, v127
	s_waitcnt vmcnt(41) lgkmcnt(2)
	v_mul_f32_e32 v192, v182, v12
	v_fmac_f32_e32 v190, v177, v129
	v_mul_f32_e32 v177, v180, v127
	v_fmac_f32_e32 v176, v179, v11
	v_fma_f32 v11, v178, v11, -v5
	s_waitcnt vmcnt(40)
	v_mul_f32_e32 v178, v184, v126
	v_mul_f32_e32 v5, v183, v12
	;; [unrolled: 1-line block ×3, first 2 shown]
	v_fmac_f32_e32 v177, v181, v10
	v_fma_f32 v10, v180, v10, -v6
	v_fmac_f32_e32 v192, v183, v8
	s_waitcnt vmcnt(36)
	v_fmac_f32_e32 v178, v185, v137
	v_fma_f32 v12, v182, v8, -v5
	v_fma_f32 v137, v184, v137, -v7
	ds_read_b128 v[5:8], v9 offset:592
	ds_read_b128 v[126:129], v9 offset:608
	s_waitcnt vmcnt(35) lgkmcnt(3)
	v_mul_f32_e32 v179, v1, v136
	v_mul_f32_e32 v136, v2, v136
	s_waitcnt vmcnt(34)
	v_mul_f32_e32 v180, v3, v135
	v_mul_f32_e32 v135, v4, v135
	s_waitcnt vmcnt(33) lgkmcnt(2)
	v_mul_f32_e32 v181, v170, v133
	v_fmac_f32_e32 v179, v2, v132
	v_fma_f32 v136, v1, v132, -v136
	s_waitcnt vmcnt(32)
	v_mul_f32_e32 v182, v172, v134
	v_mul_f32_e32 v1, v171, v133
	v_mul_f32_e32 v2, v173, v134
	v_fmac_f32_e32 v180, v4, v131
	v_fma_f32 v134, v3, v131, -v135
	v_fmac_f32_e32 v181, v171, v130
	s_waitcnt vmcnt(28)
	v_fmac_f32_e32 v182, v173, v144
	v_fma_f32 v135, v170, v130, -v1
	v_fma_f32 v144, v172, v144, -v2
	ds_read_b128 v[1:4], v9 offset:624
	ds_read_b128 v[130:133], v9 offset:640
	s_waitcnt vmcnt(27) lgkmcnt(3)
	v_mul_f32_e32 v170, v5, v143
	v_mul_f32_e32 v143, v6, v143
	s_waitcnt vmcnt(26)
	v_mul_f32_e32 v171, v7, v142
	v_mul_f32_e32 v142, v8, v142
	s_waitcnt vmcnt(25) lgkmcnt(2)
	v_mul_f32_e32 v172, v126, v141
	v_mul_f32_e32 v141, v127, v141
	v_fmac_f32_e32 v170, v6, v140
	v_fma_f32 v140, v5, v140, -v143
	s_waitcnt vmcnt(24)
	v_mul_f32_e32 v143, v128, v145
	v_mul_f32_e32 v5, v129, v145
	v_fmac_f32_e32 v171, v8, v139
	v_fma_f32 v139, v7, v139, -v142
	v_fmac_f32_e32 v172, v127, v138
	v_fma_f32 v138, v126, v138, -v141
	s_waitcnt vmcnt(20)
	v_fmac_f32_e32 v143, v129, v152
	v_fma_f32 v141, v128, v152, -v5
	ds_read_b128 v[5:8], v9 offset:656
	ds_read_b128 v[126:129], v9 offset:672
	s_waitcnt vmcnt(19) lgkmcnt(3)
	v_mul_f32_e32 v145, v2, v151
	v_mul_f32_e32 v142, v1, v151
	s_waitcnt vmcnt(18)
	v_mul_f32_e32 v151, v3, v150
	v_mul_f32_e32 v150, v4, v150
	s_waitcnt vmcnt(17) lgkmcnt(2)
	v_mul_f32_e32 v152, v130, v149
	v_fma_f32 v145, v1, v148, -v145
	s_waitcnt vmcnt(16)
	v_mul_f32_e32 v1, v133, v153
	v_mul_f32_e32 v149, v131, v149
	v_fmac_f32_e32 v142, v2, v148
	v_mul_f32_e32 v148, v132, v153
	v_fmac_f32_e32 v151, v4, v147
	v_fma_f32 v147, v3, v147, -v150
	s_clause 0x4
	buffer_load_dword v150, off, s[0:3], 0 offset:268
	buffer_load_dword v153, off, s[0:3], 0 offset:288
	;; [unrolled: 1-line block ×5, first 2 shown]
	v_fmac_f32_e32 v152, v131, v146
	s_waitcnt vmcnt(17)
	v_fma_f32 v131, v132, v161, -v1
	ds_read_b128 v[1:4], v9 offset:688
	v_fmac_f32_e32 v148, v133, v161
	v_fma_f32 v130, v130, v146, -v149
	s_waitcnt vmcnt(16) lgkmcnt(2)
	v_mul_f32_e32 v132, v5, v159
	v_mul_f32_e32 v133, v6, v159
	s_waitcnt vmcnt(15)
	v_mul_f32_e32 v146, v7, v158
	v_mul_f32_e32 v149, v8, v158
	buffer_load_dword v158, off, s[0:3], 0 offset:284
	v_fmac_f32_e32 v132, v6, v157
	v_fma_f32 v133, v5, v157, -v133
	buffer_load_dword v157, off, s[0:3], 0 offset:276
	v_fmac_f32_e32 v146, v8, v155
	v_fma_f32 v149, v7, v155, -v149
	s_waitcnt vmcnt(16) lgkmcnt(1)
	v_mul_f32_e32 v155, v126, v156
	v_mul_f32_e32 v5, v127, v156
	s_waitcnt vmcnt(15)
	v_mul_f32_e32 v6, v129, v160
	v_mul_f32_e32 v156, v128, v160
	v_fmac_f32_e32 v155, v127, v154
	v_fma_f32 v154, v126, v154, -v5
	s_waitcnt vmcnt(10)
	v_fma_f32 v159, v128, v169, -v6
	ds_read_b128 v[5:8], v9 offset:704
	s_waitcnt vmcnt(9) lgkmcnt(1)
	v_mul_f32_e32 v160, v1, v168
	v_mul_f32_e32 v126, v2, v168
	s_waitcnt vmcnt(8)
	v_mul_f32_e32 v185, v3, v167
	v_fmac_f32_e32 v156, v129, v169
	s_clause 0x2
	buffer_load_dword v161, off, s[0:3], 0 offset:292
	buffer_load_dword v168, off, s[0:3], 0 offset:300
	;; [unrolled: 1-line block ×3, first 2 shown]
	v_fmac_f32_e32 v160, v2, v166
	v_fma_f32 v166, v1, v166, -v126
	v_mul_f32_e32 v1, v4, v167
	v_fmac_f32_e32 v185, v4, v165
	v_add_f32_e32 v2, 0, v189
	s_clause 0x3
	buffer_load_dword v167, off, s[0:3], 0 offset:320
	buffer_load_dword v193, off, s[0:3], 0 offset:312
	;; [unrolled: 1-line block ×4, first 2 shown]
	v_fma_f32 v165, v3, v165, -v1
	v_add_f32_e32 v1, 0, v186
	v_add_f32_e32 v2, v2, v191
	buffer_load_dword v186, off, s[0:3], 0 offset:316
	v_add_f32_e32 v1, v1, v187
	v_add_f32_e32 v2, v2, v174
	s_waitcnt lgkmcnt(0)
	v_mul_f32_e32 v3, v6, v163
	v_add_f32_e32 v1, v1, v188
	s_clause 0x1
	buffer_load_dword v187, off, s[0:3], 0 offset:324
	buffer_load_dword v188, off, s[0:3], 0 offset:332
	v_add_f32_e32 v2, v2, v175
	v_add_f32_e32 v1, v1, v190
	;; [unrolled: 1-line block ×3, first 2 shown]
	v_fma_f32 v11, v5, v162, -v3
	v_add_f32_e32 v1, v1, v176
	s_clause 0x5
	buffer_load_dword v174, off, s[0:3], 0 offset:352
	buffer_load_dword v175, off, s[0:3], 0 offset:344
	buffer_load_dword v176, off, s[0:3], 0 offset:336
	buffer_load_dword v189, off, s[0:3], 0 offset:328
	buffer_load_dword v190, off, s[0:3], 0 offset:348
	buffer_load_dword v191, off, s[0:3], 0 offset:356
	v_add_f32_e32 v2, v2, v10
	v_add_f32_e32 v1, v1, v177
	buffer_load_dword v177, off, s[0:3], 0 offset:340
	v_mul_f32_e32 v10, v5, v163
	v_add_f32_e32 v2, v2, v12
	v_add_f32_e32 v1, v1, v192
	v_fmac_f32_e32 v10, v6, v162
	v_add_f32_e32 v2, v2, v137
	v_add_f32_e32 v1, v1, v178
	s_clause 0x2
	buffer_load_dword v178, off, s[0:3], 0 offset:364
	buffer_load_dword v192, off, s[0:3], 0 offset:372
	buffer_load_dword v196, off, s[0:3], 0 offset:380
	v_add_f32_e32 v2, v2, v136
	v_add_f32_e32 v1, v1, v179
	s_clause 0x2
	buffer_load_dword v179, off, s[0:3], 0 offset:388
	buffer_load_dword v197, off, s[0:3], 0 offset:396
	buffer_load_dword v198, off, s[0:3], 0 offset:404
	;; [unrolled: 6-line block ×3, first 2 shown]
	buffer_load_dword v201, off, s[0:3], 0 offset:444
	v_add_f32_e32 v2, v2, v135
	v_add_f32_e32 v1, v1, v181
	buffer_load_dword v181, off, s[0:3], 0 offset:436
	v_add_f32_e32 v2, v2, v144
	v_add_f32_e32 v1, v1, v182
	;; [unrolled: 1-line block ×4, first 2 shown]
	s_clause 0x3
	buffer_load_dword v170, off, s[0:3], 0 offset:384
	buffer_load_dword v182, off, s[0:3], 0 offset:376
	;; [unrolled: 1-line block ×4, first 2 shown]
	v_add_f32_e32 v2, v2, v139
	v_add_f32_e32 v1, v1, v171
	;; [unrolled: 1-line block ×4, first 2 shown]
	s_clause 0x7
	buffer_load_dword v171, off, s[0:3], 0 offset:416
	buffer_load_dword v172, off, s[0:3], 0 offset:408
	;; [unrolled: 1-line block ×8, first 2 shown]
	v_add_f32_e32 v2, v2, v141
	v_add_f32_e32 v1, v1, v143
	;; [unrolled: 1-line block ×8, first 2 shown]
	ds_read_b128 v[1:4], v9 offset:720
	v_add_f32_e32 v12, v5, v131
	v_add_f32_e32 v126, v6, v148
	v_add_f32_e32 v12, v12, v133
	v_add_f32_e32 v130, v126, v132
	ds_read_b128 v[126:129], v9 offset:752
	v_add_f32_e32 v12, v12, v149
	v_add_f32_e32 v130, v130, v146
	;; [unrolled: 1-line block ×3, first 2 shown]
	s_waitcnt vmcnt(46)
	v_mul_f32_e32 v142, v7, v150
	v_mul_f32_e32 v5, v8, v150
	s_waitcnt vmcnt(42)
	v_fmac_f32_e32 v142, v8, v184
	v_fma_f32 v143, v7, v184, -v5
	ds_read_b128 v[5:8], v9 offset:736
	s_waitcnt vmcnt(41) lgkmcnt(2)
	v_mul_f32_e32 v134, v4, v158
	s_waitcnt vmcnt(40)
	v_mul_f32_e32 v131, v2, v157
	v_mul_f32_e32 v144, v1, v157
	v_fma_f32 v149, v3, v173, -v134
	v_fma_f32 v145, v1, v183, -v131
	v_add_f32_e32 v1, v130, v155
	v_fmac_f32_e32 v144, v2, v183
	v_add_f32_e32 v2, v12, v159
	ds_read_b128 v[130:133], v9 offset:768
	v_mul_f32_e32 v12, v3, v158
	v_add_f32_e32 v1, v1, v156
	v_add_f32_e32 v2, v2, v166
	s_waitcnt vmcnt(39) lgkmcnt(1)
	v_mul_f32_e32 v135, v6, v161
	v_mul_f32_e32 v146, v5, v161
	v_add_f32_e32 v1, v1, v160
	s_waitcnt vmcnt(37)
	v_mul_f32_e32 v148, v126, v169
	v_fmac_f32_e32 v12, v4, v173
	v_fma_f32 v150, v5, v153, -v135
	v_add_f32_e32 v5, v2, v165
	v_fmac_f32_e32 v146, v6, v153
	v_add_f32_e32 v6, v1, v185
	v_mul_f32_e32 v138, v8, v168
	v_mul_f32_e32 v139, v127, v169
	v_add_f32_e32 v11, v5, v11
	s_waitcnt vmcnt(34)
	v_fmac_f32_e32 v148, v127, v194
	v_add_f32_e32 v10, v6, v10
	v_mul_f32_e32 v147, v7, v168
	s_waitcnt vmcnt(33)
	v_fma_f32 v151, v7, v195, -v138
	v_add_f32_e32 v11, v11, v143
	ds_read_b128 v[1:4], v9 offset:784
	ds_read_b128 v[134:137], v9 offset:800
	v_add_f32_e32 v10, v10, v142
	v_fmac_f32_e32 v147, v8, v195
	v_fma_f32 v152, v126, v194, -v139
	s_waitcnt vmcnt(31) lgkmcnt(2)
	v_mul_f32_e32 v154, v130, v187
	v_add_f32_e32 v11, v11, v145
	s_waitcnt vmcnt(30)
	v_mul_f32_e32 v155, v132, v188
	v_add_f32_e32 v10, v10, v144
	v_mul_f32_e32 v127, v131, v187
	v_fmac_f32_e32 v154, v131, v167
	v_add_f32_e32 v131, v11, v149
	v_mul_f32_e32 v156, v133, v188
	v_mul_f32_e32 v126, v129, v186
	;; [unrolled: 1-line block ×3, first 2 shown]
	v_fma_f32 v130, v130, v167, -v127
	s_waitcnt vmcnt(26)
	v_fmac_f32_e32 v155, v133, v189
	v_add_f32_e32 v133, v10, v12
	v_add_f32_e32 v131, v131, v150
	v_fma_f32 v157, v128, v193, -v126
	v_fmac_f32_e32 v153, v129, v193
	v_fma_f32 v132, v132, v189, -v156
	v_add_f32_e32 v133, v133, v146
	v_add_f32_e32 v131, v131, v151
	s_waitcnt vmcnt(23) lgkmcnt(1)
	v_mul_f32_e32 v150, v2, v177
	ds_read_b128 v[5:8], v9 offset:816
	ds_read_b128 v[138:141], v9 offset:832
	v_mul_f32_e32 v149, v1, v177
	v_add_f32_e32 v133, v133, v147
	v_add_f32_e32 v131, v131, v152
	v_mul_f32_e32 v156, v4, v190
	v_fma_f32 v1, v1, v176, -v150
	v_mul_f32_e32 v146, v3, v190
	v_add_f32_e32 v133, v133, v148
	v_add_f32_e32 v131, v131, v157
	v_fmac_f32_e32 v149, v2, v176
	v_fma_f32 v3, v3, v175, -v156
	s_waitcnt lgkmcnt(2)
	v_mul_f32_e32 v151, v134, v191
	v_add_f32_e32 v133, v133, v153
	v_add_f32_e32 v130, v131, v130
	v_fmac_f32_e32 v146, v4, v175
	s_waitcnt vmcnt(22)
	v_mul_f32_e32 v147, v136, v178
	v_fmac_f32_e32 v151, v135, v174
	v_add_f32_e32 v133, v133, v154
	v_add_f32_e32 v130, v130, v132
	ds_read_b128 v[126:129], v9 offset:848
	ds_read_b128 v[142:145], v9 offset:864
	s_waitcnt vmcnt(21) lgkmcnt(3)
	v_mul_f32_e32 v158, v5, v192
	s_waitcnt vmcnt(20)
	v_mul_f32_e32 v152, v7, v196
	v_add_f32_e32 v132, v133, v155
	v_mul_f32_e32 v133, v135, v191
	v_add_f32_e32 v1, v130, v1
	v_mul_f32_e32 v130, v137, v178
	s_waitcnt vmcnt(19) lgkmcnt(2)
	v_mul_f32_e32 v148, v138, v179
	v_add_f32_e32 v4, v132, v149
	v_fma_f32 v132, v134, v174, -v133
	v_add_f32_e32 v1, v1, v3
	s_waitcnt vmcnt(9)
	v_fmac_f32_e32 v158, v6, v202
	s_waitcnt vmcnt(8)
	v_fma_f32 v130, v136, v203, -v130
	v_add_f32_e32 v3, v4, v146
	v_mul_f32_e32 v4, v6, v192
	v_add_f32_e32 v1, v1, v132
	v_fmac_f32_e32 v147, v137, v203
	v_mul_f32_e32 v132, v8, v196
	v_add_f32_e32 v3, v3, v151
	v_fma_f32 v4, v5, v202, -v4
	v_add_f32_e32 v1, v1, v130
	v_mul_f32_e32 v5, v139, v179
	v_fma_f32 v6, v7, v182, -v132
	v_add_f32_e32 v3, v3, v147
	v_fmac_f32_e32 v152, v8, v182
	v_add_f32_e32 v1, v1, v4
	v_mul_f32_e32 v4, v141, v197
	v_fma_f32 v5, v138, v170, -v5
	v_add_f32_e32 v3, v3, v158
	v_mul_f32_e32 v159, v140, v197
	v_add_f32_e32 v1, v1, v6
	v_fmac_f32_e32 v148, v139, v170
	ds_read_b128 v[9:12], v9 offset:880
	v_add_f32_e32 v3, v3, v152
	s_waitcnt lgkmcnt(2)
	v_mul_f32_e32 v6, v127, v198
	s_waitcnt vmcnt(4)
	v_fma_f32 v4, v140, v205, -v4
	v_add_f32_e32 v1, v1, v5
	v_mul_f32_e32 v157, v126, v198
	v_fmac_f32_e32 v159, v141, v205
	v_add_f32_e32 v3, v3, v148
	v_mul_f32_e32 v5, v129, v180
	v_fma_f32 v6, v126, v204, -v6
	v_add_f32_e32 v1, v1, v4
	v_mul_f32_e32 v153, v128, v180
	v_fmac_f32_e32 v157, v127, v204
	v_add_f32_e32 v3, v3, v159
	s_waitcnt lgkmcnt(1)
	v_mul_f32_e32 v4, v143, v199
	v_fma_f32 v5, v128, v172, -v5
	v_add_f32_e32 v1, v1, v6
	v_mul_f32_e32 v160, v142, v199
	v_fmac_f32_e32 v153, v129, v172
	v_add_f32_e32 v3, v3, v157
	v_mul_f32_e32 v6, v145, v200
	v_fma_f32 v4, v142, v171, -v4
	v_add_f32_e32 v1, v1, v5
	v_mul_f32_e32 v131, v144, v200
	v_fmac_f32_e32 v160, v143, v171
	v_add_f32_e32 v3, v3, v153
	s_waitcnt lgkmcnt(0)
	v_mul_f32_e32 v5, v10, v181
	s_waitcnt vmcnt(1)
	v_fma_f32 v6, v144, v208, -v6
	v_add_f32_e32 v1, v1, v4
	v_mul_f32_e32 v154, v9, v181
	v_fmac_f32_e32 v131, v145, v208
	v_add_f32_e32 v3, v3, v160
	v_mul_f32_e32 v4, v12, v201
	v_fma_f32 v5, v9, v207, -v5
	v_add_f32_e32 v1, v1, v6
	v_mul_f32_e32 v2, v11, v201
	v_fmac_f32_e32 v154, v10, v207
	v_add_f32_e32 v3, v3, v131
	v_fma_f32 v4, v11, v206, -v4
	v_add_f32_e32 v1, v1, v5
	v_fmac_f32_e32 v2, v12, v206
	v_add_f32_e32 v3, v3, v154
	v_add_f32_e32 v1, v1, v4
	;; [unrolled: 1-line block ×3, first 2 shown]
	s_waitcnt vmcnt(0)
	v_sub_f32_e32 v1, v209, v1
	v_sub_f32_e32 v2, v164, v2
	buffer_store_dword v1, off, s[0:3], 0 offset:40
	buffer_store_dword v2, off, s[0:3], 0 offset:44
	v_cmpx_lt_u32_e32 4, v0
	s_cbranch_execz .LBB119_341
; %bb.340:
	s_clause 0x1
	buffer_load_dword v1, off, s[0:3], 0 offset:32
	buffer_load_dword v2, off, s[0:3], 0 offset:36
	v_mov_b32_e32 v3, 0
	buffer_store_dword v3, off, s[0:3], 0 offset:32
	buffer_store_dword v3, off, s[0:3], 0 offset:36
	s_waitcnt vmcnt(0)
	ds_write_b64 v125, v[1:2]
.LBB119_341:
	s_or_b32 exec_lo, exec_lo, s4
	s_waitcnt lgkmcnt(0)
	s_waitcnt_vscnt null, 0x0
	s_barrier
	buffer_gl0_inv
	s_clause 0x35
	buffer_load_dword v2, off, s[0:3], 0 offset:44
	buffer_load_dword v4, off, s[0:3], 0 offset:52
	;; [unrolled: 1-line block ×54, first 2 shown]
	v_mov_b32_e32 v1, 0
	ds_read2_b64 v[170:173], v1 offset0:61 offset1:62
	ds_read2_b64 v[174:177], v1 offset0:63 offset1:64
	buffer_load_dword v167, off, s[0:3], 0 offset:36
	ds_read2_b64 v[178:181], v1 offset0:65 offset1:66
	ds_read2_b64 v[182:185], v1 offset0:67 offset1:68
	s_mov_b32 s4, exec_lo
	s_waitcnt vmcnt(54) lgkmcnt(3)
	v_mul_f32_e32 v186, v170, v2
	v_mul_f32_e32 v2, v171, v2
	s_waitcnt vmcnt(53)
	v_mul_f32_e32 v187, v172, v4
	v_mul_f32_e32 v4, v173, v4
	s_waitcnt vmcnt(52) lgkmcnt(2)
	v_mul_f32_e32 v188, v174, v6
	v_mul_f32_e32 v6, v175, v6
	s_waitcnt vmcnt(49)
	v_fma_f32 v189, v170, v8, -v2
	s_waitcnt vmcnt(48)
	v_mul_f32_e32 v2, v177, v7
	v_fmac_f32_e32 v186, v171, v8
	v_fmac_f32_e32 v187, v173, v5
	v_fma_f32 v191, v172, v5, -v4
	v_fmac_f32_e32 v188, v175, v3
	v_fma_f32 v174, v174, v3, -v6
	s_waitcnt vmcnt(44)
	v_fma_f32 v175, v176, v129, -v2
	ds_read2_b64 v[2:5], v1 offset0:69 offset1:70
	ds_read2_b64 v[170:173], v1 offset0:71 offset1:72
	v_mul_f32_e32 v190, v176, v7
	s_waitcnt vmcnt(43) lgkmcnt(3)
	v_mul_f32_e32 v176, v178, v127
	v_mul_f32_e32 v6, v179, v127
	s_waitcnt vmcnt(42)
	v_mul_f32_e32 v7, v181, v128
	s_waitcnt vmcnt(41) lgkmcnt(2)
	v_mul_f32_e32 v192, v182, v126
	v_fmac_f32_e32 v190, v177, v129
	v_mul_f32_e32 v177, v180, v128
	v_mul_f32_e32 v8, v183, v126
	v_fmac_f32_e32 v176, v179, v11
	v_fma_f32 v11, v178, v11, -v6
	s_waitcnt vmcnt(40)
	v_mul_f32_e32 v178, v184, v12
	v_mul_f32_e32 v6, v185, v12
	v_fmac_f32_e32 v177, v181, v10
	v_fma_f32 v10, v180, v10, -v7
	v_fmac_f32_e32 v192, v183, v9
	v_fma_f32 v12, v182, v9, -v8
	s_waitcnt vmcnt(36)
	v_fmac_f32_e32 v178, v185, v137
	v_fma_f32 v137, v184, v137, -v6
	ds_read2_b64 v[6:9], v1 offset0:73 offset1:74
	ds_read2_b64 v[126:129], v1 offset0:75 offset1:76
	s_waitcnt vmcnt(35) lgkmcnt(3)
	v_mul_f32_e32 v179, v2, v136
	v_mul_f32_e32 v136, v3, v136
	s_waitcnt vmcnt(34)
	v_mul_f32_e32 v180, v4, v135
	v_mul_f32_e32 v135, v5, v135
	s_waitcnt vmcnt(33) lgkmcnt(2)
	v_mul_f32_e32 v181, v170, v133
	v_fmac_f32_e32 v179, v3, v132
	v_fma_f32 v136, v2, v132, -v136
	s_waitcnt vmcnt(32)
	v_mul_f32_e32 v182, v172, v134
	v_mul_f32_e32 v2, v171, v133
	;; [unrolled: 1-line block ×3, first 2 shown]
	v_fmac_f32_e32 v180, v5, v131
	v_fma_f32 v134, v4, v131, -v135
	v_fmac_f32_e32 v181, v171, v130
	s_waitcnt vmcnt(28)
	v_fmac_f32_e32 v182, v173, v145
	v_fma_f32 v135, v170, v130, -v2
	v_fma_f32 v145, v172, v145, -v3
	ds_read2_b64 v[2:5], v1 offset0:77 offset1:78
	ds_read2_b64 v[130:133], v1 offset0:79 offset1:80
	s_waitcnt vmcnt(27) lgkmcnt(3)
	v_mul_f32_e32 v170, v6, v144
	v_mul_f32_e32 v144, v7, v144
	s_waitcnt vmcnt(26)
	v_mul_f32_e32 v171, v8, v143
	v_mul_f32_e32 v143, v9, v143
	s_waitcnt vmcnt(25) lgkmcnt(2)
	v_mul_f32_e32 v172, v126, v142
	v_fmac_f32_e32 v170, v7, v140
	v_fma_f32 v140, v6, v140, -v144
	v_fmac_f32_e32 v171, v9, v139
	v_fma_f32 v139, v8, v139, -v143
	s_clause 0x4
	buffer_load_dword v143, off, s[0:3], 0 offset:260
	buffer_load_dword v144, off, s[0:3], 0 offset:280
	;; [unrolled: 1-line block ×5, first 2 shown]
	v_mul_f32_e32 v142, v127, v142
	s_waitcnt vmcnt(29)
	v_mul_f32_e32 v6, v129, v141
	v_mul_f32_e32 v185, v128, v141
	v_fmac_f32_e32 v172, v127, v138
	v_fma_f32 v126, v126, v138, -v142
	s_waitcnt vmcnt(24)
	v_fma_f32 v128, v128, v154, -v6
	ds_read2_b64 v[6:9], v1 offset0:81 offset1:82
	buffer_load_dword v142, off, s[0:3], 0 offset:268
	s_waitcnt lgkmcnt(2)
	v_mul_f32_e32 v127, v2, v146
	v_mul_f32_e32 v138, v3, v146
	v_fmac_f32_e32 v185, v129, v154
	s_waitcnt vmcnt(24)
	v_mul_f32_e32 v129, v4, v152
	v_mul_f32_e32 v141, v5, v152
	v_fmac_f32_e32 v127, v3, v150
	v_fma_f32 v138, v2, v150, -v138
	s_waitcnt vmcnt(23) lgkmcnt(1)
	v_mul_f32_e32 v146, v130, v149
	v_mul_f32_e32 v2, v131, v149
	s_waitcnt vmcnt(22)
	v_mul_f32_e32 v3, v133, v153
	v_fmac_f32_e32 v129, v5, v148
	v_fma_f32 v141, v4, v148, -v141
	s_clause 0x1
	buffer_load_dword v148, off, s[0:3], 0 offset:276
	buffer_load_dword v149, off, s[0:3], 0 offset:284
	v_mul_f32_e32 v150, v132, v153
	v_fmac_f32_e32 v146, v131, v147
	v_fma_f32 v130, v130, v147, -v2
	s_clause 0x1
	buffer_load_dword v147, off, s[0:3], 0 offset:292
	buffer_load_dword v152, off, s[0:3], 0 offset:300
	v_add_f32_e32 v131, 0, v186
	s_waitcnt vmcnt(22)
	v_fma_f32 v132, v132, v161, -v3
	ds_read2_b64 v[2:5], v1 offset0:83 offset1:84
	v_fmac_f32_e32 v150, v133, v161
	s_waitcnt vmcnt(21) lgkmcnt(1)
	v_mul_f32_e32 v133, v6, v160
	v_mul_f32_e32 v153, v7, v160
	v_add_f32_e32 v131, v131, v187
	v_add_f32_e32 v160, 0, v189
	s_waitcnt vmcnt(20)
	v_mul_f32_e32 v154, v8, v159
	v_mul_f32_e32 v159, v9, v159
	v_fmac_f32_e32 v133, v7, v158
	v_fma_f32 v153, v6, v158, -v153
	v_add_f32_e32 v6, v160, v191
	v_add_f32_e32 v7, v131, v188
	v_fmac_f32_e32 v154, v9, v157
	v_fma_f32 v157, v8, v157, -v159
	s_clause 0x3
	buffer_load_dword v158, off, s[0:3], 0 offset:312
	buffer_load_dword v159, off, s[0:3], 0 offset:304
	;; [unrolled: 1-line block ×4, first 2 shown]
	v_add_f32_e32 v6, v6, v174
	v_add_f32_e32 v131, v7, v190
	s_clause 0x2
	buffer_load_dword v174, off, s[0:3], 0 offset:308
	buffer_load_dword v186, off, s[0:3], 0 offset:316
	;; [unrolled: 1-line block ×3, first 2 shown]
	v_add_f32_e32 v175, v6, v175
	ds_read2_b64 v[6:9], v1 offset0:85 offset1:86
	v_add_f32_e32 v131, v131, v176
	s_waitcnt vmcnt(26) lgkmcnt(1)
	v_mul_f32_e32 v176, v2, v155
	v_mul_f32_e32 v155, v3, v155
	v_add_f32_e32 v11, v175, v11
	s_waitcnt vmcnt(25)
	v_mul_f32_e32 v175, v4, v156
	v_mul_f32_e32 v156, v5, v156
	v_fmac_f32_e32 v176, v3, v151
	v_add_f32_e32 v3, v131, v177
	v_fma_f32 v131, v2, v151, -v155
	v_add_f32_e32 v2, v11, v10
	s_waitcnt vmcnt(20)
	v_fmac_f32_e32 v175, v5, v169
	v_fma_f32 v151, v4, v169, -v156
	v_add_f32_e32 v10, v3, v192
	s_clause 0x4
	buffer_load_dword v155, off, s[0:3], 0 offset:344
	buffer_load_dword v156, off, s[0:3], 0 offset:336
	;; [unrolled: 1-line block ×5, first 2 shown]
	v_add_f32_e32 v12, v2, v12
	ds_read2_b64 v[2:5], v1 offset0:87 offset1:88
	v_add_f32_e32 v10, v10, v178
	s_clause 0x1
	buffer_load_dword v178, off, s[0:3], 0 offset:340
	buffer_load_dword v189, off, s[0:3], 0 offset:348
	s_waitcnt vmcnt(26) lgkmcnt(1)
	v_mul_f32_e32 v188, v6, v168
	v_mul_f32_e32 v168, v7, v168
	v_add_f32_e32 v12, v12, v137
	v_add_f32_e32 v10, v10, v179
	buffer_load_dword v179, off, s[0:3], 0 offset:356
	v_fmac_f32_e32 v188, v7, v166
	v_fma_f32 v137, v6, v166, -v168
	s_waitcnt vmcnt(26)
	v_mul_f32_e32 v166, v8, v165
	v_add_f32_e32 v7, v10, v180
	v_mul_f32_e32 v10, v9, v165
	v_add_f32_e32 v6, v12, v136
	s_clause 0x2
	buffer_load_dword v12, off, s[0:3], 0 offset:364
	buffer_load_dword v168, off, s[0:3], 0 offset:372
	;; [unrolled: 1-line block ×3, first 2 shown]
	v_add_f32_e32 v7, v7, v181
	v_fmac_f32_e32 v166, v9, v164
	v_fma_f32 v10, v8, v164, -v10
	s_clause 0x1
	buffer_load_dword v164, off, s[0:3], 0 offset:388
	buffer_load_dword v180, off, s[0:3], 0 offset:396
	v_add_f32_e32 v6, v6, v134
	v_add_f32_e32 v7, v7, v182
	s_clause 0x2
	buffer_load_dword v181, off, s[0:3], 0 offset:404
	buffer_load_dword v182, off, s[0:3], 0 offset:412
	;; [unrolled: 1-line block ×3, first 2 shown]
	s_waitcnt lgkmcnt(0)
	v_mul_f32_e32 v134, v2, v163
	v_mul_f32_e32 v8, v3, v163
	v_add_f32_e32 v6, v6, v135
	v_add_f32_e32 v7, v7, v170
	s_clause 0x2
	buffer_load_dword v170, off, s[0:3], 0 offset:428
	buffer_load_dword v191, off, s[0:3], 0 offset:436
	;; [unrolled: 1-line block ×3, first 2 shown]
	v_fmac_f32_e32 v134, v3, v162
	v_fma_f32 v135, v2, v162, -v8
	v_add_f32_e32 v6, v6, v145
	v_add_f32_e32 v7, v7, v171
	s_clause 0x3
	buffer_load_dword v171, off, s[0:3], 0 offset:376
	buffer_load_dword v193, off, s[0:3], 0 offset:368
	;; [unrolled: 1-line block ×4, first 2 shown]
	v_add_f32_e32 v6, v6, v140
	v_add_f32_e32 v7, v7, v172
	;; [unrolled: 1-line block ×4, first 2 shown]
	s_clause 0x8
	buffer_load_dword v172, off, s[0:3], 0 offset:408
	buffer_load_dword v185, off, s[0:3], 0 offset:400
	;; [unrolled: 1-line block ×9, first 2 shown]
	v_add_f32_e32 v6, v6, v126
	v_add_f32_e32 v7, v7, v127
	;; [unrolled: 1-line block ×11, first 2 shown]
	ds_read2_b64 v[6:9], v1 offset0:89 offset1:90
	v_add_f32_e32 v130, v126, v154
	v_add_f32_e32 v127, v3, v153
	v_add_f32_e32 v130, v130, v176
	v_add_f32_e32 v132, v127, v157
	ds_read2_b64 v[126:129], v1 offset0:93 offset1:94
	v_add_f32_e32 v136, v130, v175
	v_add_f32_e32 v131, v132, v131
	s_waitcnt vmcnt(48)
	v_mul_f32_e32 v138, v4, v143
	v_mul_f32_e32 v2, v5, v143
	s_waitcnt vmcnt(44)
	v_fmac_f32_e32 v138, v5, v184
	v_fma_f32 v139, v4, v184, -v2
	ds_read2_b64 v[2:5], v1 offset0:91 offset1:92
	s_waitcnt vmcnt(43) lgkmcnt(2)
	v_mul_f32_e32 v133, v7, v142
	v_mul_f32_e32 v143, v6, v142
	v_fma_f32 v142, v6, v183, -v133
	v_add_f32_e32 v6, v131, v151
	v_fmac_f32_e32 v143, v7, v183
	v_add_f32_e32 v7, v136, v188
	ds_read2_b64 v[130:133], v1 offset0:95 offset1:96
	v_add_f32_e32 v6, v6, v137
	s_waitcnt vmcnt(42)
	v_mul_f32_e32 v145, v8, v148
	v_add_f32_e32 v7, v7, v166
	s_waitcnt vmcnt(41) lgkmcnt(1)
	v_mul_f32_e32 v146, v2, v149
	v_mul_f32_e32 v137, v3, v149
	v_add_f32_e32 v6, v6, v10
	s_waitcnt vmcnt(39)
	v_mul_f32_e32 v141, v127, v152
	v_mul_f32_e32 v136, v9, v148
	v_fmac_f32_e32 v146, v3, v144
	v_mul_f32_e32 v148, v4, v147
	v_add_f32_e32 v3, v6, v135
	v_mul_f32_e32 v140, v5, v147
	v_mul_f32_e32 v147, v126, v152
	v_fma_f32 v149, v2, v144, -v137
	v_add_f32_e32 v2, v7, v134
	v_fma_f32 v10, v8, v173, -v136
	v_fmac_f32_e32 v145, v9, v173
	ds_read2_b64 v[6:9], v1 offset0:97 offset1:98
	ds_read2_b64 v[134:137], v1 offset0:99 offset1:100
	s_waitcnt vmcnt(36)
	v_fma_f32 v151, v126, v160, -v141
	v_add_f32_e32 v126, v3, v139
	v_fmac_f32_e32 v147, v127, v160
	v_add_f32_e32 v127, v2, v138
	s_waitcnt vmcnt(35)
	v_fma_f32 v150, v4, v161, -v140
	v_fmac_f32_e32 v148, v5, v161
	v_add_f32_e32 v126, v126, v142
	s_waitcnt vmcnt(34)
	v_mul_f32_e32 v152, v128, v174
	v_add_f32_e32 v127, v127, v143
	v_mul_f32_e32 v143, v129, v174
	s_waitcnt vmcnt(33) lgkmcnt(2)
	v_mul_f32_e32 v153, v130, v186
	v_add_f32_e32 v10, v126, v10
	v_mul_f32_e32 v142, v131, v186
	v_add_f32_e32 v127, v127, v145
	v_fmac_f32_e32 v152, v129, v159
	v_fma_f32 v159, v128, v159, -v143
	v_add_f32_e32 v149, v10, v149
	s_waitcnt vmcnt(32)
	v_mul_f32_e32 v157, v133, v187
	v_add_f32_e32 v146, v127, v146
	v_fmac_f32_e32 v153, v131, v158
	v_fma_f32 v158, v130, v158, -v142
	v_add_f32_e32 v149, v149, v150
	v_mul_f32_e32 v154, v132, v187
	v_add_f32_e32 v146, v146, v148
	s_waitcnt vmcnt(28)
	v_fma_f32 v157, v132, v11, -v157
	s_waitcnt vmcnt(27) lgkmcnt(1)
	v_mul_f32_e32 v160, v7, v177
	v_add_f32_e32 v149, v149, v151
	ds_read2_b64 v[2:5], v1 offset0:101 offset1:102
	ds_read2_b64 v[138:141], v1 offset0:103 offset1:104
	v_add_f32_e32 v146, v146, v147
	v_fmac_f32_e32 v154, v133, v11
	v_mul_f32_e32 v148, v6, v177
	v_add_f32_e32 v149, v149, v159
	s_waitcnt vmcnt(26)
	v_mul_f32_e32 v161, v9, v178
	v_add_f32_e32 v146, v146, v152
	v_fma_f32 v6, v6, v169, -v160
	v_mul_f32_e32 v150, v8, v178
	v_add_f32_e32 v149, v149, v158
	v_fmac_f32_e32 v148, v7, v169
	v_add_f32_e32 v146, v146, v153
	s_waitcnt vmcnt(25) lgkmcnt(2)
	v_mul_f32_e32 v160, v135, v189
	v_fma_f32 v8, v8, v156, -v161
	v_add_f32_e32 v149, v149, v157
	v_mul_f32_e32 v147, v134, v189
	v_add_f32_e32 v146, v146, v154
	v_fmac_f32_e32 v150, v9, v156
	s_waitcnt vmcnt(24)
	v_mul_f32_e32 v154, v137, v179
	v_add_f32_e32 v6, v149, v6
	v_fma_f32 v134, v134, v155, -v160
	v_add_f32_e32 v146, v146, v148
	v_mul_f32_e32 v151, v136, v179
	v_fmac_f32_e32 v147, v135, v155
	v_add_f32_e32 v6, v6, v8
	s_waitcnt vmcnt(23) lgkmcnt(1)
	v_mul_f32_e32 v7, v2, v12
	v_add_f32_e32 v8, v146, v150
	v_mul_f32_e32 v12, v3, v12
	ds_read2_b64 v[126:129], v1 offset0:105 offset1:106
	ds_read2_b64 v[142:145], v1 offset0:107 offset1:108
	v_add_f32_e32 v6, v6, v134
	s_waitcnt vmcnt(9)
	v_fma_f32 v135, v136, v195, -v154
	v_fmac_f32_e32 v151, v137, v195
	v_add_f32_e32 v8, v8, v147
	v_mul_f32_e32 v134, v5, v168
	v_fmac_f32_e32 v7, v3, v194
	v_fma_f32 v2, v2, v194, -v12
	v_add_f32_e32 v3, v6, v135
	v_mul_f32_e32 v152, v4, v168
	v_add_f32_e32 v6, v8, v151
	s_waitcnt lgkmcnt(2)
	v_mul_f32_e32 v8, v139, v165
	v_fma_f32 v4, v4, v193, -v134
	v_add_f32_e32 v2, v3, v2
	v_mul_f32_e32 v159, v138, v165
	v_fmac_f32_e32 v152, v5, v193
	v_add_f32_e32 v3, v6, v7
	v_mul_f32_e32 v5, v141, v164
	v_fma_f32 v6, v138, v171, -v8
	v_add_f32_e32 v2, v2, v4
	v_mul_f32_e32 v9, v140, v164
	v_fmac_f32_e32 v159, v139, v171
	v_add_f32_e32 v3, v3, v152
	s_waitcnt lgkmcnt(1)
	v_mul_f32_e32 v4, v127, v180
	s_waitcnt vmcnt(5)
	v_fma_f32 v5, v140, v197, -v5
	v_add_f32_e32 v2, v2, v6
	ds_read2_b64 v[130:133], v1 offset0:109 offset1:110
	ds_read_b64 v[10:11], v1 offset:888
	v_mul_f32_e32 v156, v126, v180
	v_fmac_f32_e32 v9, v141, v197
	v_add_f32_e32 v3, v3, v159
	v_mul_f32_e32 v6, v129, v181
	v_fma_f32 v4, v126, v196, -v4
	v_add_f32_e32 v2, v2, v5
	v_mul_f32_e32 v153, v128, v181
	v_fmac_f32_e32 v156, v127, v196
	v_add_f32_e32 v3, v3, v9
	s_waitcnt lgkmcnt(2)
	v_mul_f32_e32 v5, v143, v182
	v_fma_f32 v6, v128, v185, -v6
	v_add_f32_e32 v2, v2, v4
	v_mul_f32_e32 v158, v142, v182
	v_fmac_f32_e32 v153, v129, v185
	v_add_f32_e32 v3, v3, v156
	v_mul_f32_e32 v4, v145, v190
	v_fma_f32 v5, v142, v172, -v5
	v_add_f32_e32 v2, v2, v6
	v_mul_f32_e32 v161, v144, v190
	v_fmac_f32_e32 v158, v143, v172
	v_add_f32_e32 v3, v3, v153
	s_waitcnt lgkmcnt(1)
	v_mul_f32_e32 v6, v131, v170
	s_waitcnt vmcnt(1)
	v_fma_f32 v4, v144, v201, -v4
	v_add_f32_e32 v2, v2, v5
	v_mul_f32_e32 v157, v130, v170
	v_fmac_f32_e32 v161, v145, v201
	v_add_f32_e32 v3, v3, v158
	v_mul_f32_e32 v5, v133, v191
	v_fma_f32 v6, v130, v200, -v6
	v_add_f32_e32 v2, v2, v4
	v_mul_f32_e32 v162, v132, v191
	v_fmac_f32_e32 v157, v131, v200
	v_add_f32_e32 v3, v3, v161
	s_waitcnt lgkmcnt(0)
	v_mul_f32_e32 v4, v11, v192
	v_fma_f32 v5, v132, v199, -v5
	v_add_f32_e32 v2, v2, v6
	v_mul_f32_e32 v148, v10, v192
	v_fmac_f32_e32 v162, v133, v199
	v_add_f32_e32 v3, v3, v157
	v_fma_f32 v4, v10, v198, -v4
	v_add_f32_e32 v2, v2, v5
	v_fmac_f32_e32 v148, v11, v198
	v_add_f32_e32 v3, v3, v162
	v_add_f32_e32 v2, v2, v4
	;; [unrolled: 1-line block ×3, first 2 shown]
	s_waitcnt vmcnt(0)
	v_sub_f32_e32 v2, v202, v2
	v_sub_f32_e32 v3, v167, v3
	buffer_store_dword v2, off, s[0:3], 0 offset:32
	buffer_store_dword v3, off, s[0:3], 0 offset:36
	v_cmpx_lt_u32_e32 3, v0
	s_cbranch_execz .LBB119_343
; %bb.342:
	s_clause 0x1
	buffer_load_dword v2, off, s[0:3], 0 offset:24
	buffer_load_dword v3, off, s[0:3], 0 offset:28
	buffer_store_dword v1, off, s[0:3], 0 offset:24
	buffer_store_dword v1, off, s[0:3], 0 offset:28
	s_waitcnt vmcnt(0)
	ds_write_b64 v125, v[2:3]
.LBB119_343:
	s_or_b32 exec_lo, exec_lo, s4
	s_waitcnt lgkmcnt(0)
	s_waitcnt_vscnt null, 0x0
	s_barrier
	buffer_gl0_inv
	s_clause 0x3b
	buffer_load_dword v161, off, s[0:3], 0 offset:36
	buffer_load_dword v2, off, s[0:3], 0 offset:48
	;; [unrolled: 1-line block ×60, first 2 shown]
	ds_read_b128 v[175:178], v1 offset:480
	ds_read_b128 v[179:182], v1 offset:496
	;; [unrolled: 1-line block ×3, first 2 shown]
	s_mov_b32 s4, exec_lo
	s_waitcnt vmcnt(59) lgkmcnt(2)
	v_mul_f32_e32 v187, v175, v161
	v_mul_f32_e32 v188, v176, v161
	buffer_load_dword v161, off, s[0:3], 0 offset:28
	s_waitcnt vmcnt(56)
	v_mul_f32_e32 v189, v177, v6
	v_mul_f32_e32 v6, v178, v6
	v_fmac_f32_e32 v187, v176, v7
	v_fma_f32 v188, v175, v7, -v188
	s_waitcnt vmcnt(55) lgkmcnt(1)
	v_mul_f32_e32 v191, v179, v5
	v_fmac_f32_e32 v189, v178, v4
	v_fma_f32 v190, v177, v4, -v6
	v_mul_f32_e32 v175, v180, v5
	ds_read_b128 v[4:7], v1 offset:528
	v_fmac_f32_e32 v191, v180, v2
	s_waitcnt vmcnt(49) lgkmcnt(1)
	v_mul_f32_e32 v195, v183, v127
	v_mul_f32_e32 v193, v181, v3
	v_fma_f32 v192, v179, v2, -v175
	v_mul_f32_e32 v2, v182, v3
	ds_read_b128 v[175:178], v1 offset:544
	v_fmac_f32_e32 v195, v184, v12
	v_fmac_f32_e32 v193, v182, v128
	v_fma_f32 v194, v181, v128, -v2
	v_mul_f32_e32 v2, v184, v127
	ds_read_b128 v[179:182], v1 offset:560
	v_fma_f32 v12, v183, v12, -v2
	s_waitcnt vmcnt(48)
	v_mul_f32_e32 v183, v185, v126
	v_mul_f32_e32 v2, v186, v126
	s_waitcnt vmcnt(47) lgkmcnt(2)
	v_mul_f32_e32 v184, v4, v11
	v_fmac_f32_e32 v183, v186, v10
	v_fma_f32 v10, v185, v10, -v2
	v_mul_f32_e32 v2, v5, v11
	s_waitcnt vmcnt(46)
	v_mul_f32_e32 v185, v6, v9
	v_fmac_f32_e32 v184, v5, v8
	s_waitcnt vmcnt(41) lgkmcnt(1)
	v_mul_f32_e32 v186, v175, v135
	v_fma_f32 v11, v4, v8, -v2
	v_mul_f32_e32 v2, v7, v9
	v_fmac_f32_e32 v185, v7, v136
	v_fmac_f32_e32 v186, v176, v133
	s_waitcnt vmcnt(39) lgkmcnt(0)
	v_mul_f32_e32 v126, v180, v132
	v_fma_f32 v136, v6, v136, -v2
	v_mul_f32_e32 v6, v176, v135
	ds_read_b128 v[2:5], v1 offset:576
	v_mul_f32_e32 v135, v177, v134
	v_fma_f32 v133, v175, v133, -v6
	v_mul_f32_e32 v6, v178, v134
	v_fmac_f32_e32 v135, v178, v131
	v_mul_f32_e32 v134, v179, v132
	v_fma_f32 v132, v179, v129, -v126
	s_waitcnt vmcnt(38)
	v_mul_f32_e32 v175, v181, v130
	v_fma_f32 v131, v177, v131, -v6
	ds_read_b128 v[6:9], v1 offset:592
	v_mul_f32_e32 v126, v182, v130
	v_fmac_f32_e32 v134, v180, v129
	s_waitcnt vmcnt(34)
	v_fmac_f32_e32 v175, v182, v143
	v_fma_f32 v130, v181, v143, -v126
	ds_read_b128 v[126:129], v1 offset:608
	s_waitcnt vmcnt(33) lgkmcnt(2)
	v_mul_f32_e32 v143, v2, v142
	v_mul_f32_e32 v142, v3, v142
	v_fmac_f32_e32 v143, v3, v140
	v_fma_f32 v140, v2, v140, -v142
	s_waitcnt vmcnt(32)
	v_mul_f32_e32 v142, v4, v141
	v_mul_f32_e32 v2, v5, v141
	s_waitcnt vmcnt(31) lgkmcnt(1)
	v_mul_f32_e32 v141, v6, v139
	v_fmac_f32_e32 v142, v5, v138
	v_fma_f32 v138, v4, v138, -v2
	v_mul_f32_e32 v2, v7, v139
	s_waitcnt vmcnt(30)
	v_mul_f32_e32 v139, v8, v144
	v_mul_f32_e32 v144, v9, v144
	v_fmac_f32_e32 v141, v7, v137
	v_fma_f32 v137, v6, v137, -v2
	ds_read_b128 v[2:5], v1 offset:624
	s_waitcnt vmcnt(26)
	v_fmac_f32_e32 v139, v9, v152
	v_fma_f32 v144, v8, v152, -v144
	ds_read_b128 v[6:9], v1 offset:640
	s_waitcnt vmcnt(25) lgkmcnt(2)
	v_mul_f32_e32 v152, v126, v150
	v_mul_f32_e32 v150, v127, v150
	v_fmac_f32_e32 v152, v127, v148
	s_waitcnt vmcnt(24)
	v_mul_f32_e32 v127, v128, v149
	v_fma_f32 v126, v126, v148, -v150
	v_mul_f32_e32 v148, v129, v149
	buffer_load_dword v150, off, s[0:3], 0 offset:276
	v_fmac_f32_e32 v127, v129, v146
	buffer_load_dword v129, off, s[0:3], 0 offset:268
	v_fma_f32 v128, v128, v146, -v148
	s_waitcnt vmcnt(25) lgkmcnt(1)
	v_mul_f32_e32 v146, v2, v147
	v_mul_f32_e32 v147, v3, v147
	s_waitcnt vmcnt(24)
	v_mul_f32_e32 v148, v4, v151
	v_mul_f32_e32 v149, v5, v151
	v_fmac_f32_e32 v146, v3, v145
	v_fma_f32 v145, v2, v145, -v147
	s_waitcnt vmcnt(20)
	v_fmac_f32_e32 v148, v5, v160
	v_fma_f32 v147, v4, v160, -v149
	ds_read_b128 v[2:5], v1 offset:656
	s_waitcnt vmcnt(19) lgkmcnt(1)
	v_mul_f32_e32 v149, v6, v159
	v_mul_f32_e32 v151, v7, v159
	s_waitcnt vmcnt(18)
	v_mul_f32_e32 v159, v8, v158
	v_mul_f32_e32 v158, v9, v158
	buffer_load_dword v160, off, s[0:3], 0 offset:284
	v_fmac_f32_e32 v149, v7, v157
	v_fma_f32 v151, v6, v157, -v151
	v_add_f32_e32 v6, 0, v187
	v_add_f32_e32 v7, 0, v188
	v_fmac_f32_e32 v159, v9, v156
	v_fma_f32 v156, v8, v156, -v158
	s_clause 0x3
	buffer_load_dword v157, off, s[0:3], 0 offset:304
	buffer_load_dword v158, off, s[0:3], 0 offset:296
	buffer_load_dword v176, off, s[0:3], 0 offset:288
	buffer_load_dword v177, off, s[0:3], 0 offset:280
	v_add_f32_e32 v6, v6, v189
	v_add_f32_e32 v7, v7, v190
	s_clause 0x3
	buffer_load_dword v178, off, s[0:3], 0 offset:292
	buffer_load_dword v179, off, s[0:3], 0 offset:300
	;; [unrolled: 1-line block ×4, first 2 shown]
	v_add_f32_e32 v6, v6, v191
	v_add_f32_e32 v7, v7, v192
	s_waitcnt vmcnt(26) lgkmcnt(0)
	v_mul_f32_e32 v182, v2, v154
	v_mul_f32_e32 v8, v3, v154
	s_waitcnt vmcnt(25)
	v_mul_f32_e32 v154, v4, v155
	v_add_f32_e32 v6, v6, v193
	v_add_f32_e32 v7, v7, v194
	v_mul_f32_e32 v9, v5, v155
	v_fmac_f32_e32 v182, v3, v153
	v_fma_f32 v153, v2, v153, -v8
	v_add_f32_e32 v6, v6, v195
	v_add_f32_e32 v7, v7, v12
	s_waitcnt vmcnt(20)
	v_fmac_f32_e32 v154, v5, v169
	v_fma_f32 v155, v4, v169, -v9
	ds_read_b128 v[2:5], v1 offset:672
	v_add_f32_e32 v6, v6, v183
	v_add_f32_e32 v7, v7, v10
	s_clause 0x3
	buffer_load_dword v12, off, s[0:3], 0 offset:336
	buffer_load_dword v169, off, s[0:3], 0 offset:328
	;; [unrolled: 1-line block ×4, first 2 shown]
	v_add_f32_e32 v6, v6, v184
	v_add_f32_e32 v10, v7, v11
	s_clause 0x2
	buffer_load_dword v11, off, s[0:3], 0 offset:324
	buffer_load_dword v183, off, s[0:3], 0 offset:332
	;; [unrolled: 1-line block ×3, first 2 shown]
	v_add_f32_e32 v185, v6, v185
	ds_read_b128 v[6:9], v1 offset:688
	v_add_f32_e32 v10, v10, v136
	v_add_f32_e32 v185, v185, v186
	;; [unrolled: 1-line block ×3, first 2 shown]
	s_waitcnt vmcnt(26) lgkmcnt(1)
	v_mul_f32_e32 v136, v2, v168
	v_mul_f32_e32 v168, v3, v168
	s_waitcnt vmcnt(25)
	v_mul_f32_e32 v133, v5, v167
	v_mul_f32_e32 v186, v4, v167
	v_fmac_f32_e32 v136, v3, v166
	v_fma_f32 v166, v2, v166, -v168
	v_add_f32_e32 v2, v185, v135
	v_add_f32_e32 v3, v10, v131
	v_fma_f32 v135, v4, v164, -v133
	s_clause 0x3
	buffer_load_dword v10, off, s[0:3], 0 offset:348
	buffer_load_dword v167, off, s[0:3], 0 offset:356
	;; [unrolled: 1-line block ×4, first 2 shown]
	v_fmac_f32_e32 v186, v5, v164
	v_add_f32_e32 v2, v2, v134
	v_add_f32_e32 v3, v3, v132
	s_waitcnt lgkmcnt(0)
	v_mul_f32_e32 v134, v6, v163
	v_mul_f32_e32 v4, v7, v163
	s_clause 0x3
	buffer_load_dword v164, off, s[0:3], 0 offset:380
	buffer_load_dword v189, off, s[0:3], 0 offset:388
	;; [unrolled: 1-line block ×4, first 2 shown]
	v_add_f32_e32 v2, v2, v175
	v_add_f32_e32 v3, v3, v130
	s_clause 0x4
	buffer_load_dword v175, off, s[0:3], 0 offset:412
	buffer_load_dword v192, off, s[0:3], 0 offset:420
	buffer_load_dword v193, off, s[0:3], 0 offset:428
	buffer_load_dword v194, off, s[0:3], 0 offset:436
	buffer_load_dword v163, off, s[0:3], 0 offset:444
	v_fmac_f32_e32 v134, v7, v162
	v_add_f32_e32 v2, v2, v143
	v_add_f32_e32 v3, v3, v140
	v_fma_f32 v140, v6, v162, -v4
	s_clause 0x3
	buffer_load_dword v162, off, s[0:3], 0 offset:368
	buffer_load_dword v195, off, s[0:3], 0 offset:360
	;; [unrolled: 1-line block ×4, first 2 shown]
	v_add_f32_e32 v6, v2, v142
	v_add_f32_e32 v2, v3, v138
	;; [unrolled: 1-line block ×4, first 2 shown]
	s_waitcnt vmcnt(41)
	v_mul_f32_e32 v2, v9, v165
	v_mul_f32_e32 v137, v8, v165
	v_add_f32_e32 v6, v6, v139
	v_add_f32_e32 v7, v7, v144
	s_waitcnt vmcnt(37)
	v_fma_f32 v138, v8, v174, -v2
	ds_read_b128 v[2:5], v1 offset:704
	v_fmac_f32_e32 v137, v9, v174
	s_clause 0x3
	buffer_load_dword v165, off, s[0:3], 0 offset:400
	buffer_load_dword v174, off, s[0:3], 0 offset:392
	;; [unrolled: 1-line block ×4, first 2 shown]
	v_add_f32_e32 v7, v7, v126
	v_add_f32_e32 v6, v6, v152
	;; [unrolled: 1-line block ×4, first 2 shown]
	ds_read_b128 v[6:9], v1 offset:720
	v_add_f32_e32 v126, v126, v145
	v_add_f32_e32 v127, v127, v146
	s_waitcnt vmcnt(40) lgkmcnt(1)
	v_mul_f32_e32 v139, v2, v173
	v_mul_f32_e32 v128, v3, v173
	v_fmac_f32_e32 v139, v3, v172
	v_fma_f32 v141, v2, v172, -v128
	v_add_f32_e32 v2, v126, v147
	v_add_f32_e32 v3, v127, v148
	s_clause 0x3
	buffer_load_dword v146, off, s[0:3], 0 offset:432
	buffer_load_dword v147, off, s[0:3], 0 offset:424
	;; [unrolled: 1-line block ×4, first 2 shown]
	v_add_f32_e32 v2, v2, v151
	buffer_load_dword v151, off, s[0:3], 0 offset:440
	v_add_f32_e32 v3, v3, v149
	buffer_load_dword v149, off, s[0:3], 0 offset:24
	v_add_f32_e32 v2, v2, v156
	v_add_f32_e32 v127, v3, v159
	;; [unrolled: 1-line block ×13, first 2 shown]
	s_waitcnt vmcnt(44) lgkmcnt(0)
	v_mul_f32_e32 v144, v6, v150
	v_mul_f32_e32 v132, v7, v150
	s_waitcnt vmcnt(43)
	v_mul_f32_e32 v142, v4, v129
	v_mul_f32_e32 v126, v5, v129
	v_fmac_f32_e32 v144, v7, v170
	v_fma_f32 v150, v6, v170, -v132
	v_fmac_f32_e32 v142, v5, v171
	v_fma_f32 v143, v4, v171, -v126
	ds_read_b128 v[2:5], v1 offset:736
	ds_read_b128 v[126:129], v1 offset:752
	v_add_f32_e32 v171, v138, v141
	v_add_f32_e32 v143, v171, v143
	s_waitcnt vmcnt(42)
	v_mul_f32_e32 v145, v8, v160
	v_mul_f32_e32 v133, v9, v160
	s_waitcnt vmcnt(38)
	v_fmac_f32_e32 v145, v9, v177
	v_fma_f32 v154, v8, v177, -v133
	ds_read_b128 v[6:9], v1 offset:768
	ds_read_b128 v[130:133], v1 offset:784
	s_waitcnt vmcnt(36) lgkmcnt(3)
	v_mul_f32_e32 v156, v4, v179
	v_mul_f32_e32 v159, v5, v179
	;; [unrolled: 1-line block ×4, first 2 shown]
	s_waitcnt vmcnt(35) lgkmcnt(2)
	v_mul_f32_e32 v160, v126, v180
	v_fmac_f32_e32 v156, v5, v158
	v_fma_f32 v158, v4, v158, -v159
	v_add_f32_e32 v159, v134, v137
	v_fma_f32 v155, v2, v176, -v155
	v_fmac_f32_e32 v153, v3, v176
	v_mul_f32_e32 v140, v127, v180
	s_waitcnt vmcnt(34)
	v_mul_f32_e32 v170, v129, v181
	v_add_f32_e32 v159, v159, v139
	v_fmac_f32_e32 v160, v127, v157
	v_mul_f32_e32 v166, v128, v181
	v_fma_f32 v157, v126, v157, -v140
	ds_read_b128 v[2:5], v1 offset:800
	ds_read_b128 v[134:137], v1 offset:816
	v_add_f32_e32 v142, v159, v142
	s_waitcnt vmcnt(30)
	v_fma_f32 v170, v128, v188, -v170
	v_fmac_f32_e32 v166, v129, v188
	v_add_f32_e32 v142, v142, v144
	s_waitcnt vmcnt(29) lgkmcnt(3)
	v_mul_f32_e32 v171, v6, v11
	v_mul_f32_e32 v11, v7, v11
	s_waitcnt vmcnt(28)
	v_mul_f32_e32 v159, v8, v183
	v_mul_f32_e32 v172, v9, v183
	ds_read_b128 v[126:129], v1 offset:832
	ds_read_b128 v[138:141], v1 offset:848
	v_fmac_f32_e32 v171, v7, v187
	v_add_f32_e32 v7, v143, v150
	v_fmac_f32_e32 v159, v9, v169
	v_fma_f32 v150, v8, v169, -v172
	v_add_f32_e32 v169, v142, v145
	v_fma_f32 v11, v6, v187, -v11
	v_add_f32_e32 v154, v7, v154
	ds_read_b128 v[6:9], v1 offset:864
	ds_read_b128 v[142:145], v1 offset:880
	s_waitcnt vmcnt(27) lgkmcnt(6)
	v_mul_f32_e32 v1, v130, v184
	v_add_f32_e32 v153, v169, v153
	v_add_f32_e32 v154, v154, v155
	v_mul_f32_e32 v155, v131, v184
	v_fmac_f32_e32 v1, v131, v12
	v_add_f32_e32 v153, v153, v156
	v_add_f32_e32 v154, v154, v158
	s_waitcnt vmcnt(26)
	v_mul_f32_e32 v169, v132, v10
	v_mul_f32_e32 v10, v133, v10
	v_add_f32_e32 v153, v153, v160
	v_fma_f32 v12, v130, v12, -v155
	v_add_f32_e32 v154, v154, v157
	s_waitcnt vmcnt(25) lgkmcnt(5)
	v_mul_f32_e32 v158, v2, v167
	s_waitcnt vmcnt(24)
	v_mul_f32_e32 v156, v4, v168
	v_add_f32_e32 v153, v153, v166
	s_waitcnt vmcnt(23) lgkmcnt(4)
	v_mul_f32_e32 v172, v134, v185
	v_add_f32_e32 v154, v154, v170
	s_waitcnt vmcnt(22)
	v_mul_f32_e32 v157, v136, v164
	s_waitcnt vmcnt(21) lgkmcnt(3)
	v_mul_f32_e32 v160, v126, v189
	v_add_f32_e32 v153, v153, v171
	s_waitcnt vmcnt(20)
	v_mul_f32_e32 v173, v128, v190
	v_add_f32_e32 v11, v154, v11
	s_waitcnt vmcnt(12)
	v_fmac_f32_e32 v156, v5, v195
	s_waitcnt vmcnt(11)
	v_fmac_f32_e32 v158, v3, v196
	v_add_f32_e32 v131, v153, v159
	s_waitcnt vmcnt(10)
	v_fma_f32 v10, v132, v197, -v10
	v_add_f32_e32 v11, v11, v150
	v_mul_f32_e32 v150, v3, v167
	v_fmac_f32_e32 v169, v133, v197
	v_add_f32_e32 v1, v131, v1
	v_fmac_f32_e32 v172, v135, v162
	v_add_f32_e32 v11, v11, v12
	v_mul_f32_e32 v12, v5, v168
	v_fma_f32 v2, v2, v196, -v150
	v_add_f32_e32 v1, v1, v169
	s_waitcnt lgkmcnt(2)
	v_mul_f32_e32 v170, v138, v191
	v_add_f32_e32 v3, v11, v10
	v_mul_f32_e32 v10, v135, v185
	v_fma_f32 v4, v4, v195, -v12
	v_add_f32_e32 v1, v1, v158
	s_waitcnt vmcnt(7)
	v_fmac_f32_e32 v160, v127, v198
	v_add_f32_e32 v2, v3, v2
	v_mul_f32_e32 v3, v137, v164
	v_fma_f32 v5, v134, v162, -v10
	v_add_f32_e32 v1, v1, v156
	s_waitcnt vmcnt(6)
	v_fmac_f32_e32 v157, v137, v199
	v_add_f32_e32 v2, v2, v4
	v_mul_f32_e32 v4, v127, v189
	v_fma_f32 v3, v136, v199, -v3
	v_add_f32_e32 v1, v1, v172
	v_fmac_f32_e32 v173, v129, v174
	v_add_f32_e32 v2, v2, v5
	v_mul_f32_e32 v5, v129, v190
	v_fma_f32 v4, v126, v198, -v4
	v_add_f32_e32 v1, v1, v157
	v_mul_f32_e32 v166, v140, v175
	v_add_f32_e32 v2, v2, v3
	v_mul_f32_e32 v3, v139, v191
	v_fma_f32 v5, v128, v174, -v5
	v_add_f32_e32 v1, v1, v160
	v_fmac_f32_e32 v170, v139, v165
	v_add_f32_e32 v2, v2, v4
	v_mul_f32_e32 v4, v141, v175
	v_fma_f32 v3, v138, v165, -v3
	v_add_f32_e32 v1, v1, v173
	s_waitcnt lgkmcnt(1)
	v_mul_f32_e32 v176, v6, v192
	v_add_f32_e32 v2, v2, v5
	v_mul_f32_e32 v5, v7, v192
	s_waitcnt vmcnt(2)
	v_fma_f32 v4, v140, v152, -v4
	v_fmac_f32_e32 v166, v141, v152
	v_add_f32_e32 v1, v1, v170
	v_add_f32_e32 v2, v2, v3
	v_mul_f32_e32 v3, v9, v193
	v_fma_f32 v5, v6, v148, -v5
	v_mul_f32_e32 v154, v8, v193
	v_fmac_f32_e32 v176, v7, v148
	v_add_f32_e32 v2, v2, v4
	v_add_f32_e32 v1, v1, v166
	s_waitcnt lgkmcnt(0)
	v_mul_f32_e32 v4, v143, v194
	v_fma_f32 v3, v8, v147, -v3
	v_mul_f32_e32 v171, v142, v194
	v_add_f32_e32 v2, v2, v5
	v_fmac_f32_e32 v154, v9, v147
	v_add_f32_e32 v1, v1, v176
	v_mul_f32_e32 v5, v145, v163
	v_fma_f32 v4, v142, v146, -v4
	v_add_f32_e32 v2, v2, v3
	v_mul_f32_e32 v130, v144, v163
	v_fmac_f32_e32 v171, v143, v146
	v_add_f32_e32 v1, v1, v154
	s_waitcnt vmcnt(1)
	v_fma_f32 v3, v144, v151, -v5
	v_add_f32_e32 v2, v2, v4
	v_fmac_f32_e32 v130, v145, v151
	v_add_f32_e32 v1, v1, v171
	v_add_f32_e32 v2, v2, v3
	;; [unrolled: 1-line block ×3, first 2 shown]
	s_waitcnt vmcnt(0)
	v_sub_f32_e32 v2, v149, v2
	v_sub_f32_e32 v1, v161, v1
	buffer_store_dword v2, off, s[0:3], 0 offset:24
	buffer_store_dword v1, off, s[0:3], 0 offset:28
	v_cmpx_lt_u32_e32 2, v0
	s_cbranch_execz .LBB119_345
; %bb.344:
	s_clause 0x1
	buffer_load_dword v1, off, s[0:3], 0 offset:16
	buffer_load_dword v2, off, s[0:3], 0 offset:20
	v_mov_b32_e32 v3, 0
	buffer_store_dword v3, off, s[0:3], 0 offset:16
	buffer_store_dword v3, off, s[0:3], 0 offset:20
	s_waitcnt vmcnt(0)
	ds_write_b64 v125, v[1:2]
.LBB119_345:
	s_or_b32 exec_lo, exec_lo, s4
	s_waitcnt lgkmcnt(0)
	s_waitcnt_vscnt null, 0x0
	s_barrier
	buffer_gl0_inv
	s_clause 0x3b
	buffer_load_dword v161, off, s[0:3], 0 offset:28
	buffer_load_dword v2, off, s[0:3], 0 offset:40
	;; [unrolled: 1-line block ×60, first 2 shown]
	v_mov_b32_e32 v1, 0
	ds_read2_b64 v[175:178], v1 offset0:59 offset1:60
	ds_read2_b64 v[179:182], v1 offset0:61 offset1:62
	;; [unrolled: 1-line block ×3, first 2 shown]
	s_mov_b32 s4, exec_lo
	s_waitcnt vmcnt(59) lgkmcnt(2)
	v_mul_f32_e32 v187, v175, v161
	v_mul_f32_e32 v188, v176, v161
	buffer_load_dword v161, off, s[0:3], 0 offset:20
	s_waitcnt vmcnt(56)
	v_mul_f32_e32 v189, v177, v6
	v_mul_f32_e32 v6, v178, v6
	v_fmac_f32_e32 v187, v176, v7
	v_fma_f32 v188, v175, v7, -v188
	s_waitcnt vmcnt(55) lgkmcnt(1)
	v_mul_f32_e32 v191, v179, v5
	v_fmac_f32_e32 v189, v178, v4
	v_fma_f32 v190, v177, v4, -v6
	v_mul_f32_e32 v175, v180, v5
	ds_read2_b64 v[4:7], v1 offset0:65 offset1:66
	v_fmac_f32_e32 v191, v180, v2
	s_waitcnt vmcnt(49) lgkmcnt(1)
	v_mul_f32_e32 v195, v183, v127
	v_mul_f32_e32 v193, v181, v3
	v_fma_f32 v192, v179, v2, -v175
	v_mul_f32_e32 v2, v182, v3
	ds_read2_b64 v[175:178], v1 offset0:67 offset1:68
	v_fmac_f32_e32 v195, v184, v12
	v_fmac_f32_e32 v193, v182, v128
	v_fma_f32 v194, v181, v128, -v2
	v_mul_f32_e32 v2, v184, v127
	ds_read2_b64 v[179:182], v1 offset0:69 offset1:70
	v_fma_f32 v12, v183, v12, -v2
	s_waitcnt vmcnt(48)
	v_mul_f32_e32 v183, v185, v126
	v_mul_f32_e32 v2, v186, v126
	s_waitcnt vmcnt(47) lgkmcnt(2)
	v_mul_f32_e32 v184, v4, v11
	v_fmac_f32_e32 v183, v186, v10
	v_fma_f32 v10, v185, v10, -v2
	v_mul_f32_e32 v2, v5, v11
	s_waitcnt vmcnt(46)
	v_mul_f32_e32 v185, v6, v9
	v_fmac_f32_e32 v184, v5, v8
	s_waitcnt vmcnt(41) lgkmcnt(1)
	v_mul_f32_e32 v186, v175, v135
	v_fma_f32 v11, v4, v8, -v2
	v_mul_f32_e32 v2, v7, v9
	v_fmac_f32_e32 v185, v7, v136
	v_fmac_f32_e32 v186, v176, v133
	s_waitcnt vmcnt(39) lgkmcnt(0)
	v_mul_f32_e32 v126, v180, v132
	v_fma_f32 v136, v6, v136, -v2
	v_mul_f32_e32 v6, v176, v135
	ds_read2_b64 v[2:5], v1 offset0:71 offset1:72
	v_mul_f32_e32 v135, v177, v134
	v_fma_f32 v133, v175, v133, -v6
	v_mul_f32_e32 v6, v178, v134
	v_fmac_f32_e32 v135, v178, v131
	v_mul_f32_e32 v134, v179, v132
	v_fma_f32 v132, v179, v129, -v126
	s_waitcnt vmcnt(38)
	v_mul_f32_e32 v175, v181, v130
	v_fma_f32 v131, v177, v131, -v6
	ds_read2_b64 v[6:9], v1 offset0:73 offset1:74
	v_mul_f32_e32 v126, v182, v130
	v_fmac_f32_e32 v134, v180, v129
	s_waitcnt vmcnt(34)
	v_fmac_f32_e32 v175, v182, v143
	v_fma_f32 v130, v181, v143, -v126
	ds_read2_b64 v[126:129], v1 offset0:75 offset1:76
	s_waitcnt vmcnt(33) lgkmcnt(2)
	v_mul_f32_e32 v143, v2, v142
	v_mul_f32_e32 v142, v3, v142
	v_fmac_f32_e32 v143, v3, v140
	v_fma_f32 v140, v2, v140, -v142
	s_waitcnt vmcnt(32)
	v_mul_f32_e32 v142, v4, v141
	v_mul_f32_e32 v2, v5, v141
	s_waitcnt vmcnt(31) lgkmcnt(1)
	v_mul_f32_e32 v141, v6, v139
	v_fmac_f32_e32 v142, v5, v138
	v_fma_f32 v138, v4, v138, -v2
	v_mul_f32_e32 v2, v7, v139
	s_waitcnt vmcnt(30)
	v_mul_f32_e32 v139, v8, v144
	v_mul_f32_e32 v144, v9, v144
	v_fmac_f32_e32 v141, v7, v137
	v_fma_f32 v137, v6, v137, -v2
	ds_read2_b64 v[2:5], v1 offset0:77 offset1:78
	s_waitcnt vmcnt(26)
	v_fmac_f32_e32 v139, v9, v152
	v_fma_f32 v144, v8, v152, -v144
	ds_read2_b64 v[6:9], v1 offset0:79 offset1:80
	s_waitcnt vmcnt(25) lgkmcnt(2)
	v_mul_f32_e32 v152, v126, v150
	v_mul_f32_e32 v150, v127, v150
	v_fmac_f32_e32 v152, v127, v148
	v_fma_f32 v126, v126, v148, -v150
	s_waitcnt vmcnt(24)
	v_mul_f32_e32 v127, v128, v149
	v_mul_f32_e32 v148, v129, v149
	buffer_load_dword v150, off, s[0:3], 0 offset:268
	v_fmac_f32_e32 v127, v129, v146
	v_fma_f32 v128, v128, v146, -v148
	buffer_load_dword v129, off, s[0:3], 0 offset:260
	s_waitcnt vmcnt(25) lgkmcnt(1)
	v_mul_f32_e32 v146, v2, v147
	v_mul_f32_e32 v147, v3, v147
	s_waitcnt vmcnt(24)
	v_mul_f32_e32 v148, v4, v151
	v_mul_f32_e32 v149, v5, v151
	v_fmac_f32_e32 v146, v3, v145
	v_fma_f32 v145, v2, v145, -v147
	s_waitcnt vmcnt(20)
	v_fmac_f32_e32 v148, v5, v160
	v_fma_f32 v147, v4, v160, -v149
	ds_read2_b64 v[2:5], v1 offset0:81 offset1:82
	s_waitcnt vmcnt(19) lgkmcnt(1)
	v_mul_f32_e32 v149, v6, v159
	v_mul_f32_e32 v151, v7, v159
	s_waitcnt vmcnt(18)
	v_mul_f32_e32 v159, v8, v158
	v_mul_f32_e32 v158, v9, v158
	buffer_load_dword v160, off, s[0:3], 0 offset:276
	v_fmac_f32_e32 v149, v7, v157
	v_fma_f32 v151, v6, v157, -v151
	v_add_f32_e32 v6, 0, v187
	v_add_f32_e32 v7, 0, v188
	v_fmac_f32_e32 v159, v9, v156
	v_fma_f32 v156, v8, v156, -v158
	s_clause 0x3
	buffer_load_dword v157, off, s[0:3], 0 offset:296
	buffer_load_dword v158, off, s[0:3], 0 offset:288
	;; [unrolled: 1-line block ×4, first 2 shown]
	v_add_f32_e32 v6, v6, v189
	v_add_f32_e32 v7, v7, v190
	s_clause 0x3
	buffer_load_dword v178, off, s[0:3], 0 offset:284
	buffer_load_dword v179, off, s[0:3], 0 offset:292
	;; [unrolled: 1-line block ×4, first 2 shown]
	v_add_f32_e32 v6, v6, v191
	v_add_f32_e32 v7, v7, v192
	s_waitcnt vmcnt(26) lgkmcnt(0)
	v_mul_f32_e32 v182, v2, v154
	v_mul_f32_e32 v8, v3, v154
	s_waitcnt vmcnt(25)
	v_mul_f32_e32 v154, v4, v155
	v_add_f32_e32 v6, v6, v193
	v_add_f32_e32 v7, v7, v194
	v_mul_f32_e32 v9, v5, v155
	v_fmac_f32_e32 v182, v3, v153
	v_fma_f32 v153, v2, v153, -v8
	v_add_f32_e32 v6, v6, v195
	v_add_f32_e32 v7, v7, v12
	s_waitcnt vmcnt(20)
	v_fmac_f32_e32 v154, v5, v169
	v_fma_f32 v155, v4, v169, -v9
	ds_read2_b64 v[2:5], v1 offset0:83 offset1:84
	v_add_f32_e32 v6, v6, v183
	v_add_f32_e32 v7, v7, v10
	s_clause 0x3
	buffer_load_dword v12, off, s[0:3], 0 offset:328
	buffer_load_dword v169, off, s[0:3], 0 offset:320
	;; [unrolled: 1-line block ×4, first 2 shown]
	v_add_f32_e32 v6, v6, v184
	v_add_f32_e32 v10, v7, v11
	s_clause 0x2
	buffer_load_dword v11, off, s[0:3], 0 offset:316
	buffer_load_dword v183, off, s[0:3], 0 offset:324
	;; [unrolled: 1-line block ×3, first 2 shown]
	v_add_f32_e32 v185, v6, v185
	v_add_f32_e32 v10, v10, v136
	ds_read2_b64 v[6:9], v1 offset0:85 offset1:86
	v_add_f32_e32 v185, v185, v186
	s_waitcnt vmcnt(26) lgkmcnt(1)
	v_mul_f32_e32 v136, v2, v167
	v_mul_f32_e32 v167, v3, v167
	s_waitcnt vmcnt(25)
	v_mul_f32_e32 v186, v4, v166
	v_mul_f32_e32 v166, v5, v166
	v_fmac_f32_e32 v136, v3, v165
	v_add_f32_e32 v3, v10, v133
	v_add_f32_e32 v10, v185, v135
	v_fma_f32 v133, v2, v165, -v167
	v_fmac_f32_e32 v186, v5, v164
	v_fma_f32 v135, v4, v164, -v166
	v_add_f32_e32 v2, v3, v131
	v_add_f32_e32 v3, v10, v134
	s_clause 0x7
	buffer_load_dword v164, off, s[0:3], 0 offset:340
	buffer_load_dword v165, off, s[0:3], 0 offset:348
	;; [unrolled: 1-line block ×8, first 2 shown]
	s_waitcnt lgkmcnt(0)
	v_mul_f32_e32 v4, v7, v163
	v_mul_f32_e32 v10, v6, v163
	v_add_f32_e32 v2, v2, v132
	v_add_f32_e32 v3, v3, v175
	s_clause 0x1
	buffer_load_dword v175, off, s[0:3], 0 offset:372
	buffer_load_dword v192, off, s[0:3], 0 offset:380
	v_fma_f32 v134, v6, v162, -v4
	s_clause 0x1
	buffer_load_dword v163, off, s[0:3], 0 offset:388
	buffer_load_dword v193, off, s[0:3], 0 offset:396
	v_add_f32_e32 v2, v2, v130
	v_add_f32_e32 v3, v3, v143
	v_fmac_f32_e32 v10, v7, v162
	s_clause 0x4
	buffer_load_dword v162, off, s[0:3], 0 offset:404
	buffer_load_dword v194, off, s[0:3], 0 offset:412
	buffer_load_dword v195, off, s[0:3], 0 offset:420
	buffer_load_dword v196, off, s[0:3], 0 offset:428
	buffer_load_dword v197, off, s[0:3], 0 offset:436
	v_add_f32_e32 v2, v2, v140
	v_add_f32_e32 v3, v3, v142
	;; [unrolled: 1-line block ×4, first 2 shown]
	s_waitcnt vmcnt(41)
	v_mul_f32_e32 v3, v9, v168
	v_mul_f32_e32 v138, v8, v168
	buffer_load_dword v168, off, s[0:3], 0 offset:444
	v_add_f32_e32 v7, v2, v137
	v_add_f32_e32 v6, v6, v139
	s_waitcnt vmcnt(38)
	v_fma_f32 v137, v8, v174, -v3
	ds_read2_b64 v[2:5], v1 offset0:87 offset1:88
	v_fmac_f32_e32 v138, v9, v174
	v_add_f32_e32 v7, v7, v144
	v_add_f32_e32 v6, v6, v152
	s_clause 0x3
	buffer_load_dword v152, off, s[0:3], 0 offset:392
	buffer_load_dword v174, off, s[0:3], 0 offset:384
	buffer_load_dword v198, off, s[0:3], 0 offset:376
	buffer_load_dword v199, off, s[0:3], 0 offset:368
	v_add_f32_e32 v7, v7, v126
	v_add_f32_e32 v6, v6, v127
	;; [unrolled: 1-line block ×4, first 2 shown]
	ds_read2_b64 v[6:9], v1 offset0:89 offset1:90
	v_add_f32_e32 v126, v126, v145
	v_add_f32_e32 v127, v127, v148
	s_waitcnt vmcnt(41) lgkmcnt(1)
	v_mul_f32_e32 v139, v2, v173
	v_mul_f32_e32 v128, v3, v173
	v_fmac_f32_e32 v139, v3, v172
	v_fma_f32 v140, v2, v172, -v128
	v_add_f32_e32 v2, v126, v147
	v_add_f32_e32 v3, v127, v149
	s_clause 0x3
	buffer_load_dword v146, off, s[0:3], 0 offset:424
	buffer_load_dword v147, off, s[0:3], 0 offset:416
	;; [unrolled: 1-line block ×4, first 2 shown]
	v_add_f32_e32 v2, v2, v151
	v_add_f32_e32 v3, v3, v159
	s_clause 0x1
	buffer_load_dword v151, off, s[0:3], 0 offset:440
	buffer_load_dword v159, off, s[0:3], 0 offset:432
	v_add_f32_e32 v2, v2, v156
	buffer_load_dword v156, off, s[0:3], 0 offset:16
	v_add_f32_e32 v3, v3, v182
	v_add_f32_e32 v127, v2, v153
	;; [unrolled: 1-line block ×14, first 2 shown]
	s_waitcnt vmcnt(46) lgkmcnt(0)
	v_mul_f32_e32 v143, v6, v150
	v_mul_f32_e32 v132, v7, v150
	s_waitcnt vmcnt(45)
	v_mul_f32_e32 v141, v4, v129
	v_mul_f32_e32 v126, v5, v129
	v_fmac_f32_e32 v143, v7, v170
	v_fma_f32 v145, v6, v170, -v132
	v_fmac_f32_e32 v141, v5, v171
	v_fma_f32 v142, v4, v171, -v126
	ds_read2_b64 v[2:5], v1 offset0:91 offset1:92
	ds_read2_b64 v[126:129], v1 offset0:93 offset1:94
	v_add_f32_e32 v10, v10, v141
	v_add_f32_e32 v142, v139, v142
	;; [unrolled: 1-line block ×3, first 2 shown]
	s_waitcnt vmcnt(44)
	v_mul_f32_e32 v144, v8, v160
	v_mul_f32_e32 v133, v9, v160
	v_add_f32_e32 v142, v142, v145
	s_waitcnt vmcnt(40)
	v_fmac_f32_e32 v144, v9, v177
	v_fma_f32 v150, v8, v177, -v133
	ds_read2_b64 v[6:9], v1 offset0:95 offset1:96
	ds_read2_b64 v[130:133], v1 offset0:97 offset1:98
	s_waitcnt vmcnt(39) lgkmcnt(3)
	v_mul_f32_e32 v136, v3, v178
	v_mul_f32_e32 v153, v2, v178
	s_waitcnt vmcnt(38)
	v_mul_f32_e32 v154, v4, v179
	v_mul_f32_e32 v135, v5, v179
	s_waitcnt vmcnt(37) lgkmcnt(2)
	v_mul_f32_e32 v155, v126, v180
	v_fma_f32 v170, v2, v176, -v136
	v_fmac_f32_e32 v153, v3, v176
	v_mul_f32_e32 v138, v127, v180
	v_fmac_f32_e32 v154, v5, v158
	v_fma_f32 v158, v4, v158, -v135
	s_waitcnt vmcnt(36)
	v_mul_f32_e32 v140, v129, v181
	v_fmac_f32_e32 v155, v127, v157
	v_fma_f32 v157, v126, v157, -v138
	v_mul_f32_e32 v160, v128, v181
	ds_read2_b64 v[2:5], v1 offset0:99 offset1:100
	ds_read2_b64 v[134:137], v1 offset0:101 offset1:102
	s_waitcnt vmcnt(32)
	v_fma_f32 v171, v128, v188, -v140
	v_fmac_f32_e32 v160, v129, v188
	ds_read2_b64 v[126:129], v1 offset0:103 offset1:104
	ds_read2_b64 v[138:141], v1 offset0:105 offset1:106
	s_waitcnt vmcnt(31) lgkmcnt(5)
	v_mul_f32_e32 v172, v6, v11
	v_mul_f32_e32 v11, v7, v11
	s_waitcnt vmcnt(30)
	v_mul_f32_e32 v173, v8, v183
	v_mul_f32_e32 v143, v9, v183
	s_waitcnt vmcnt(29) lgkmcnt(4)
	v_mul_f32_e32 v176, v131, v184
	v_fmac_f32_e32 v172, v7, v187
	v_add_f32_e32 v7, v10, v144
	v_add_f32_e32 v10, v142, v150
	v_fma_f32 v150, v6, v187, -v11
	v_fmac_f32_e32 v173, v9, v169
	v_fma_f32 v169, v8, v169, -v143
	v_add_f32_e32 v153, v7, v153
	v_add_f32_e32 v170, v10, v170
	ds_read2_b64 v[6:9], v1 offset0:107 offset1:108
	ds_read2_b64 v[142:145], v1 offset0:109 offset1:110
	ds_read_b64 v[10:11], v1 offset:888
	v_add_f32_e32 v153, v153, v154
	v_add_f32_e32 v158, v170, v158
	v_mul_f32_e32 v154, v130, v184
	s_waitcnt vmcnt(28)
	v_mul_f32_e32 v170, v132, v164
	v_add_f32_e32 v153, v153, v155
	v_add_f32_e32 v157, v158, v157
	v_fmac_f32_e32 v154, v131, v12
	v_mul_f32_e32 v164, v133, v164
	v_fma_f32 v12, v130, v12, -v176
	v_add_f32_e32 v131, v153, v160
	v_add_f32_e32 v157, v157, v171
	s_waitcnt vmcnt(27) lgkmcnt(6)
	v_mul_f32_e32 v155, v2, v165
	v_mul_f32_e32 v165, v3, v165
	s_waitcnt vmcnt(21)
	v_fma_f32 v132, v132, v191, -v164
	v_add_f32_e32 v131, v131, v172
	v_add_f32_e32 v150, v157, v150
	v_fmac_f32_e32 v170, v133, v191
	v_mul_f32_e32 v158, v4, v166
	v_mul_f32_e32 v166, v5, v166
	v_add_f32_e32 v131, v131, v173
	v_add_f32_e32 v150, v150, v169
	v_fmac_f32_e32 v155, v3, v190
	v_fma_f32 v2, v2, v190, -v165
	v_fma_f32 v4, v4, v189, -v166
	v_add_f32_e32 v131, v131, v154
	v_add_f32_e32 v12, v150, v12
	s_waitcnt lgkmcnt(5)
	v_mul_f32_e32 v130, v134, v167
	v_fmac_f32_e32 v158, v5, v189
	s_waitcnt vmcnt(20)
	v_mul_f32_e32 v5, v137, v175
	v_mul_f32_e32 v153, v136, v175
	v_add_f32_e32 v3, v12, v132
	v_add_f32_e32 v12, v131, v170
	v_mul_f32_e32 v131, v135, v167
	v_fmac_f32_e32 v130, v135, v185
	s_waitcnt vmcnt(19) lgkmcnt(4)
	v_mul_f32_e32 v160, v126, v192
	v_add_f32_e32 v2, v3, v2
	v_add_f32_e32 v3, v12, v155
	v_fma_f32 v12, v134, v185, -v131
	s_waitcnt vmcnt(18)
	v_mul_f32_e32 v133, v128, v163
	s_waitcnt vmcnt(8)
	v_fmac_f32_e32 v160, v127, v198
	v_add_f32_e32 v2, v2, v4
	v_add_f32_e32 v3, v3, v158
	v_mul_f32_e32 v4, v127, v192
	s_waitcnt vmcnt(7)
	v_fma_f32 v5, v136, v199, -v5
	v_fmac_f32_e32 v153, v137, v199
	v_add_f32_e32 v2, v2, v12
	v_add_f32_e32 v3, v3, v130
	v_mul_f32_e32 v12, v129, v163
	v_fma_f32 v4, v126, v198, -v4
	s_waitcnt lgkmcnt(3)
	v_mul_f32_e32 v164, v138, v193
	v_add_f32_e32 v2, v2, v5
	v_add_f32_e32 v3, v3, v153
	v_mul_f32_e32 v5, v139, v193
	v_fma_f32 v12, v128, v174, -v12
	v_fmac_f32_e32 v133, v129, v174
	v_add_f32_e32 v2, v2, v4
	v_add_f32_e32 v3, v3, v160
	v_mul_f32_e32 v4, v141, v162
	v_fma_f32 v5, v138, v152, -v5
	v_mul_f32_e32 v157, v140, v162
	v_add_f32_e32 v2, v2, v12
	v_fmac_f32_e32 v164, v139, v152
	v_add_f32_e32 v3, v3, v133
	s_waitcnt lgkmcnt(2)
	v_mul_f32_e32 v12, v7, v194
	v_mul_f32_e32 v171, v6, v194
	s_waitcnt vmcnt(3)
	v_fma_f32 v4, v140, v149, -v4
	v_add_f32_e32 v2, v2, v5
	v_fmac_f32_e32 v157, v141, v149
	v_add_f32_e32 v3, v3, v164
	v_mul_f32_e32 v5, v9, v195
	v_fma_f32 v6, v6, v148, -v12
	v_add_f32_e32 v2, v2, v4
	v_mul_f32_e32 v172, v8, v195
	v_fmac_f32_e32 v171, v7, v148
	v_add_f32_e32 v3, v3, v157
	s_waitcnt lgkmcnt(1)
	v_mul_f32_e32 v4, v143, v196
	v_fma_f32 v5, v8, v147, -v5
	v_add_f32_e32 v2, v2, v6
	v_mul_f32_e32 v169, v142, v196
	v_fmac_f32_e32 v172, v9, v147
	v_add_f32_e32 v3, v3, v171
	v_mul_f32_e32 v6, v145, v197
	v_fma_f32 v4, v142, v146, -v4
	v_add_f32_e32 v2, v2, v5
	v_mul_f32_e32 v173, v144, v197
	v_fmac_f32_e32 v169, v143, v146
	v_add_f32_e32 v3, v3, v172
	s_waitcnt lgkmcnt(0)
	v_mul_f32_e32 v5, v11, v168
	s_waitcnt vmcnt(1)
	v_fma_f32 v6, v144, v159, -v6
	v_add_f32_e32 v2, v2, v4
	v_mul_f32_e32 v150, v10, v168
	v_fmac_f32_e32 v173, v145, v159
	v_add_f32_e32 v3, v3, v169
	v_fma_f32 v4, v10, v151, -v5
	v_add_f32_e32 v2, v2, v6
	v_fmac_f32_e32 v150, v11, v151
	v_add_f32_e32 v3, v3, v173
	v_add_f32_e32 v2, v2, v4
	;; [unrolled: 1-line block ×3, first 2 shown]
	s_waitcnt vmcnt(0)
	v_sub_f32_e32 v2, v156, v2
	v_sub_f32_e32 v3, v161, v3
	buffer_store_dword v2, off, s[0:3], 0 offset:16
	buffer_store_dword v3, off, s[0:3], 0 offset:20
	v_cmpx_lt_u32_e32 1, v0
	s_cbranch_execz .LBB119_347
; %bb.346:
	s_clause 0x1
	buffer_load_dword v2, off, s[0:3], 0 offset:8
	buffer_load_dword v3, off, s[0:3], 0 offset:12
	buffer_store_dword v1, off, s[0:3], 0 offset:8
	buffer_store_dword v1, off, s[0:3], 0 offset:12
	s_waitcnt vmcnt(0)
	ds_write_b64 v125, v[2:3]
.LBB119_347:
	s_or_b32 exec_lo, exec_lo, s4
	s_waitcnt lgkmcnt(0)
	s_waitcnt_vscnt null, 0x0
	s_barrier
	buffer_gl0_inv
	s_clause 0x3c
	buffer_load_dword v160, off, s[0:3], 0 offset:20
	buffer_load_dword v161, off, s[0:3], 0 offset:28
	;; [unrolled: 1-line block ×61, first 2 shown]
	ds_read_b128 v[171:174], v1 offset:464
	ds_read_b128 v[175:178], v1 offset:480
	s_mov_b32 s4, exec_lo
	s_waitcnt vmcnt(60) lgkmcnt(1)
	v_mul_f32_e32 v184, v171, v160
	s_waitcnt vmcnt(59)
	v_mul_f32_e32 v185, v173, v161
	v_mul_f32_e32 v186, v172, v160
	;; [unrolled: 1-line block ×3, first 2 shown]
	buffer_load_dword v160, off, s[0:3], 0 offset:12
	s_waitcnt vmcnt(57)
	v_fmac_f32_e32 v184, v172, v6
	v_fmac_f32_e32 v185, v174, v5
	v_fma_f32 v186, v171, v6, -v186
	v_fma_f32 v161, v173, v5, -v161
	ds_read_b128 v[171:174], v1 offset:496
	s_waitcnt vmcnt(56) lgkmcnt(1)
	v_mul_f32_e32 v187, v175, v4
	v_mul_f32_e32 v4, v176, v4
	s_waitcnt vmcnt(55)
	v_mul_f32_e32 v188, v177, v3
	v_mul_f32_e32 v3, v178, v3
	v_fmac_f32_e32 v187, v176, v2
	v_fma_f32 v175, v175, v2, -v4
	s_waitcnt vmcnt(51)
	v_fmac_f32_e32 v188, v178, v127
	v_fma_f32 v127, v177, v127, -v3
	ds_read_b128 v[2:5], v1 offset:512
	s_waitcnt vmcnt(50) lgkmcnt(1)
	v_mul_f32_e32 v176, v171, v12
	s_waitcnt vmcnt(49)
	v_mul_f32_e32 v177, v173, v126
	v_mul_f32_e32 v6, v172, v12
	;; [unrolled: 1-line block ×3, first 2 shown]
	v_fmac_f32_e32 v176, v172, v11
	v_fmac_f32_e32 v177, v174, v8
	v_fma_f32 v11, v171, v11, -v6
	v_fma_f32 v12, v173, v8, -v12
	ds_read_b128 v[171:174], v1 offset:528
	s_waitcnt vmcnt(48) lgkmcnt(1)
	v_mul_f32_e32 v126, v2, v9
	s_waitcnt vmcnt(47)
	v_mul_f32_e32 v178, v4, v10
	v_mul_f32_e32 v6, v3, v9
	;; [unrolled: 1-line block ×3, first 2 shown]
	v_fmac_f32_e32 v126, v3, v7
	s_waitcnt vmcnt(43)
	v_fmac_f32_e32 v178, v5, v135
	v_fma_f32 v10, v2, v7, -v6
	v_fma_f32 v135, v4, v135, -v8
	ds_read_b128 v[2:5], v1 offset:544
	s_waitcnt vmcnt(42) lgkmcnt(1)
	v_mul_f32_e32 v189, v171, v134
	v_mul_f32_e32 v6, v172, v134
	s_waitcnt vmcnt(41)
	v_mul_f32_e32 v134, v173, v133
	v_mul_f32_e32 v7, v174, v133
	v_fmac_f32_e32 v189, v172, v132
	v_fma_f32 v132, v171, v132, -v6
	v_fmac_f32_e32 v134, v174, v129
	v_fma_f32 v129, v173, v129, -v7
	ds_read_b128 v[6:9], v1 offset:560
	s_waitcnt vmcnt(40) lgkmcnt(1)
	v_mul_f32_e32 v133, v2, v130
	s_waitcnt vmcnt(39)
	v_mul_f32_e32 v171, v4, v131
	v_mul_f32_e32 v130, v3, v130
	;; [unrolled: 1-line block ×3, first 2 shown]
	v_fmac_f32_e32 v133, v3, v128
	s_waitcnt vmcnt(35)
	v_fmac_f32_e32 v171, v5, v143
	v_fma_f32 v128, v2, v128, -v130
	v_fma_f32 v130, v4, v143, -v131
	ds_read_b128 v[2:5], v1 offset:576
	s_waitcnt vmcnt(34) lgkmcnt(1)
	v_mul_f32_e32 v131, v6, v141
	v_mul_f32_e32 v141, v7, v141
	s_waitcnt vmcnt(33)
	v_mul_f32_e32 v143, v8, v140
	v_mul_f32_e32 v140, v9, v140
	v_fmac_f32_e32 v131, v7, v139
	v_fma_f32 v139, v6, v139, -v141
	v_fmac_f32_e32 v143, v9, v137
	v_fma_f32 v137, v8, v137, -v140
	ds_read_b128 v[6:9], v1 offset:592
	s_waitcnt vmcnt(32) lgkmcnt(1)
	v_mul_f32_e32 v140, v2, v138
	v_mul_f32_e32 v138, v3, v138
	s_waitcnt vmcnt(31)
	v_mul_f32_e32 v141, v4, v142
	v_mul_f32_e32 v142, v5, v142
	v_fmac_f32_e32 v140, v3, v136
	v_fma_f32 v136, v2, v136, -v138
	s_waitcnt vmcnt(27)
	v_fmac_f32_e32 v141, v5, v151
	v_fma_f32 v138, v4, v151, -v142
	ds_read_b128 v[2:5], v1 offset:608
	s_waitcnt vmcnt(26) lgkmcnt(1)
	v_mul_f32_e32 v142, v6, v149
	v_mul_f32_e32 v149, v7, v149
	s_waitcnt vmcnt(25)
	v_mul_f32_e32 v151, v8, v148
	v_mul_f32_e32 v148, v9, v148
	v_fmac_f32_e32 v142, v7, v147
	v_fma_f32 v147, v6, v147, -v149
	v_fmac_f32_e32 v151, v9, v145
	v_fma_f32 v145, v8, v145, -v148
	ds_read_b128 v[6:9], v1 offset:624
	s_waitcnt vmcnt(24) lgkmcnt(1)
	v_mul_f32_e32 v148, v2, v146
	v_mul_f32_e32 v146, v3, v146
	s_waitcnt vmcnt(23)
	v_mul_f32_e32 v149, v4, v150
	v_mul_f32_e32 v150, v5, v150
	v_fmac_f32_e32 v148, v3, v144
	v_fma_f32 v144, v2, v144, -v146
	s_waitcnt vmcnt(19)
	v_fmac_f32_e32 v149, v5, v159
	v_fma_f32 v146, v4, v159, -v150
	ds_read_b128 v[2:5], v1 offset:640
	s_waitcnt vmcnt(18) lgkmcnt(1)
	v_mul_f32_e32 v150, v6, v157
	v_mul_f32_e32 v157, v7, v157
	s_waitcnt vmcnt(17)
	v_mul_f32_e32 v159, v8, v156
	v_mul_f32_e32 v156, v9, v156
	v_fmac_f32_e32 v150, v7, v155
	v_fma_f32 v155, v6, v155, -v157
	v_fmac_f32_e32 v159, v9, v153
	v_fma_f32 v153, v8, v153, -v156
	ds_read_b128 v[6:9], v1 offset:656
	s_waitcnt vmcnt(16) lgkmcnt(1)
	v_mul_f32_e32 v156, v2, v154
	v_mul_f32_e32 v154, v3, v154
	s_waitcnt vmcnt(15)
	v_mul_f32_e32 v157, v4, v158
	v_mul_f32_e32 v158, v5, v158
	v_fmac_f32_e32 v156, v3, v152
	v_fma_f32 v152, v2, v152, -v154
	s_waitcnt vmcnt(10)
	v_fmac_f32_e32 v157, v5, v169
	v_fma_f32 v154, v4, v169, -v158
	ds_read_b128 v[2:5], v1 offset:672
	s_waitcnt vmcnt(9) lgkmcnt(1)
	v_mul_f32_e32 v158, v6, v168
	v_mul_f32_e32 v168, v7, v168
	s_waitcnt vmcnt(8)
	v_mul_f32_e32 v169, v8, v167
	v_mul_f32_e32 v167, v9, v167
	v_fmac_f32_e32 v158, v7, v165
	v_fma_f32 v165, v6, v165, -v168
	v_fmac_f32_e32 v169, v9, v164
	v_fma_f32 v164, v8, v164, -v167
	ds_read_b128 v[6:9], v1 offset:688
	buffer_load_dword v167, off, s[0:3], 0 offset:260
	s_waitcnt lgkmcnt(1)
	v_mul_f32_e32 v168, v2, v163
	v_mul_f32_e32 v163, v3, v163
	s_waitcnt vmcnt(8)
	v_mul_f32_e32 v172, v4, v170
	v_mul_f32_e32 v170, v5, v170
	v_fmac_f32_e32 v168, v3, v162
	v_fma_f32 v162, v2, v162, -v163
	s_waitcnt vmcnt(4)
	v_fmac_f32_e32 v172, v5, v181
	v_fma_f32 v163, v4, v181, -v170
	ds_read_b128 v[2:5], v1 offset:704
	s_waitcnt vmcnt(3) lgkmcnt(1)
	v_mul_f32_e32 v170, v6, v182
	v_mul_f32_e32 v173, v7, v182
	buffer_load_dword v182, off, s[0:3], 0 offset:268
	s_waitcnt vmcnt(3)
	v_mul_f32_e32 v174, v8, v183
	v_mul_f32_e32 v181, v9, v183
	v_fmac_f32_e32 v170, v7, v180
	v_fma_f32 v173, v6, v180, -v173
	v_add_f32_e32 v7, 0, v186
	v_fmac_f32_e32 v174, v9, v179
	v_fma_f32 v179, v8, v179, -v181
	s_clause 0x4
	buffer_load_dword v180, off, s[0:3], 0 offset:288
	buffer_load_dword v181, off, s[0:3], 0 offset:280
	;; [unrolled: 1-line block ×5, first 2 shown]
	v_add_f32_e32 v6, 0, v184
	v_add_f32_e32 v7, v7, v161
	;; [unrolled: 1-line block ×3, first 2 shown]
	s_clause 0x1
	buffer_load_dword v184, off, s[0:3], 0 offset:284
	buffer_load_dword v185, off, s[0:3], 0 offset:292
	v_add_f32_e32 v7, v7, v175
	s_clause 0x1
	buffer_load_dword v161, off, s[0:3], 0 offset:300
	buffer_load_dword v186, off, s[0:3], 0 offset:308
	v_add_f32_e32 v6, v6, v187
	v_add_f32_e32 v7, v7, v127
	;; [unrolled: 1-line block ×5, first 2 shown]
	s_clause 0x3
	buffer_load_dword v175, off, s[0:3], 0 offset:320
	buffer_load_dword v176, off, s[0:3], 0 offset:312
	;; [unrolled: 1-line block ×4, first 2 shown]
	v_add_f32_e32 v7, v7, v12
	buffer_load_dword v11, off, s[0:3], 0 offset:316
	v_add_f32_e32 v6, v6, v177
	s_clause 0x1
	buffer_load_dword v12, off, s[0:3], 0 offset:324
	buffer_load_dword v177, off, s[0:3], 0 offset:332
	v_add_f32_e32 v7, v7, v10
	v_add_f32_e32 v6, v6, v126
	;; [unrolled: 1-line block ×6, first 2 shown]
	s_clause 0x3
	buffer_load_dword v10, off, s[0:3], 0 offset:352
	buffer_load_dword v178, off, s[0:3], 0 offset:344
	;; [unrolled: 1-line block ×4, first 2 shown]
	v_add_f32_e32 v7, v7, v129
	s_clause 0x2
	buffer_load_dword v193, off, s[0:3], 0 offset:340
	buffer_load_dword v194, off, s[0:3], 0 offset:348
	;; [unrolled: 1-line block ×3, first 2 shown]
	v_add_f32_e32 v6, v6, v134
	v_add_f32_e32 v7, v7, v128
	;; [unrolled: 1-line block ×6, first 2 shown]
	s_clause 0x4
	buffer_load_dword v171, off, s[0:3], 0 offset:364
	buffer_load_dword v196, off, s[0:3], 0 offset:372
	;; [unrolled: 1-line block ×5, first 2 shown]
	v_add_f32_e32 v6, v6, v131
	v_add_f32_e32 v7, v7, v137
	s_clause 0x5
	buffer_load_dword v200, off, s[0:3], 0 offset:404
	buffer_load_dword v201, off, s[0:3], 0 offset:412
	;; [unrolled: 1-line block ×6, first 2 shown]
	v_add_f32_e32 v7, v7, v136
	v_add_f32_e32 v6, v6, v143
	v_add_f32_e32 v7, v7, v138
	v_add_f32_e32 v6, v6, v140
	v_add_f32_e32 v7, v7, v147
	s_clause 0x3
	buffer_load_dword v147, off, s[0:3], 0 offset:384
	buffer_load_dword v206, off, s[0:3], 0 offset:376
	;; [unrolled: 1-line block ×4, first 2 shown]
	v_add_f32_e32 v6, v6, v141
	v_add_f32_e32 v7, v7, v145
	;; [unrolled: 1-line block ×7, first 2 shown]
	s_clause 0x3
	buffer_load_dword v148, off, s[0:3], 0 offset:416
	buffer_load_dword v151, off, s[0:3], 0 offset:408
	;; [unrolled: 1-line block ×4, first 2 shown]
	v_add_f32_e32 v7, v7, v155
	v_add_f32_e32 v6, v6, v149
	;; [unrolled: 1-line block ×4, first 2 shown]
	s_clause 0x3
	buffer_load_dword v146, off, s[0:3], 0 offset:440
	buffer_load_dword v149, off, s[0:3], 0 offset:432
	;; [unrolled: 1-line block ×4, first 2 shown]
	v_add_f32_e32 v6, v6, v159
	s_waitcnt vmcnt(47) lgkmcnt(0)
	v_mul_f32_e32 v138, v2, v167
	v_mul_f32_e32 v8, v3, v167
	v_fmac_f32_e32 v138, v3, v166
	v_fma_f32 v139, v2, v166, -v8
	v_add_f32_e32 v2, v7, v152
	v_add_f32_e32 v3, v6, v156
	ds_read_b128 v[6:9], v1 offset:720
	v_add_f32_e32 v126, v2, v154
	v_add_f32_e32 v127, v3, v157
	;; [unrolled: 1-line block ×4, first 2 shown]
	ds_read_b128 v[126:129], v1 offset:752
	s_waitcnt vmcnt(46)
	v_mul_f32_e32 v142, v4, v182
	v_mul_f32_e32 v2, v5, v182
	v_add_f32_e32 v130, v130, v164
	v_add_f32_e32 v131, v131, v169
	s_waitcnt vmcnt(42)
	v_fmac_f32_e32 v142, v5, v190
	v_fma_f32 v143, v4, v190, -v2
	ds_read_b128 v[2:5], v1 offset:736
	s_waitcnt vmcnt(41) lgkmcnt(2)
	v_mul_f32_e32 v132, v7, v191
	v_mul_f32_e32 v144, v6, v191
	v_add_f32_e32 v134, v130, v162
	s_waitcnt vmcnt(40)
	v_mul_f32_e32 v152, v8, v184
	v_fma_f32 v145, v6, v183, -v132
	v_add_f32_e32 v6, v131, v168
	v_fmac_f32_e32 v144, v7, v183
	v_add_f32_e32 v7, v134, v163
	ds_read_b128 v[130:133], v1 offset:768
	s_waitcnt vmcnt(37) lgkmcnt(2)
	v_mul_f32_e32 v156, v126, v186
	v_add_f32_e32 v6, v6, v172
	v_mul_f32_e32 v141, v127, v186
	v_add_f32_e32 v7, v7, v173
	v_mul_f32_e32 v134, v9, v184
	v_fmac_f32_e32 v152, v9, v181
	v_add_f32_e32 v6, v6, v170
	s_waitcnt lgkmcnt(1)
	v_mul_f32_e32 v135, v3, v185
	v_mul_f32_e32 v153, v2, v185
	s_waitcnt vmcnt(34)
	v_fmac_f32_e32 v156, v127, v187
	v_mul_f32_e32 v154, v4, v161
	v_mul_f32_e32 v140, v5, v161
	v_fma_f32 v158, v2, v180, -v135
	v_add_f32_e32 v2, v7, v179
	v_fmac_f32_e32 v153, v3, v180
	v_add_f32_e32 v3, v6, v174
	v_fma_f32 v161, v126, v187, -v141
	s_waitcnt vmcnt(31) lgkmcnt(0)
	v_mul_f32_e32 v163, v130, v12
	v_add_f32_e32 v127, v2, v139
	v_mul_f32_e32 v12, v131, v12
	v_add_f32_e32 v126, v3, v138
	v_fma_f32 v157, v8, v181, -v134
	v_fma_f32 v159, v4, v188, -v140
	v_add_f32_e32 v127, v127, v143
	v_fma_f32 v12, v130, v175, -v12
	v_add_f32_e32 v126, v126, v142
	ds_read_b128 v[6:9], v1 offset:784
	ds_read_b128 v[134:137], v1 offset:800
	v_fmac_f32_e32 v154, v5, v188
	v_add_f32_e32 v127, v127, v145
	v_mul_f32_e32 v162, v128, v11
	v_add_f32_e32 v130, v126, v144
	v_mul_f32_e32 v11, v129, v11
	s_waitcnt vmcnt(30)
	v_mul_f32_e32 v165, v133, v177
	v_add_f32_e32 v157, v127, v157
	v_fmac_f32_e32 v162, v129, v176
	v_add_f32_e32 v152, v130, v152
	v_fma_f32 v11, v128, v176, -v11
	v_mul_f32_e32 v164, v132, v177
	v_add_f32_e32 v157, v157, v158
	v_fmac_f32_e32 v163, v131, v175
	v_add_f32_e32 v152, v152, v153
	s_waitcnt vmcnt(26)
	v_fma_f32 v165, v132, v192, -v165
	ds_read_b128 v[2:5], v1 offset:816
	ds_read_b128 v[138:141], v1 offset:832
	v_add_f32_e32 v157, v157, v159
	ds_read_b128 v[126:129], v1 offset:848
	ds_read_b128 v[142:145], v1 offset:864
	v_add_f32_e32 v152, v152, v154
	s_waitcnt vmcnt(25) lgkmcnt(5)
	v_mul_f32_e32 v158, v7, v193
	v_fmac_f32_e32 v164, v133, v192
	v_add_f32_e32 v157, v157, v161
	ds_read_b128 v[130:133], v1 offset:880
	v_add_f32_e32 v152, v152, v156
	v_mul_f32_e32 v1, v6, v193
	s_waitcnt vmcnt(24)
	v_mul_f32_e32 v166, v9, v194
	v_add_f32_e32 v11, v157, v11
	v_fma_f32 v6, v6, v189, -v158
	v_add_f32_e32 v152, v152, v162
	v_mul_f32_e32 v153, v8, v194
	v_fmac_f32_e32 v1, v7, v189
	v_add_f32_e32 v11, v11, v12
	s_waitcnt vmcnt(23) lgkmcnt(5)
	v_mul_f32_e32 v159, v134, v195
	v_add_f32_e32 v152, v152, v163
	v_mul_f32_e32 v158, v135, v195
	v_fma_f32 v8, v8, v178, -v166
	v_add_f32_e32 v11, v11, v165
	v_fmac_f32_e32 v153, v9, v178
	v_add_f32_e32 v152, v152, v164
	s_waitcnt vmcnt(22)
	v_mul_f32_e32 v9, v137, v171
	v_fmac_f32_e32 v159, v135, v10
	v_add_f32_e32 v6, v11, v6
	v_fma_f32 v10, v134, v10, -v158
	v_add_f32_e32 v1, v152, v1
	v_mul_f32_e32 v154, v136, v171
	s_waitcnt vmcnt(21) lgkmcnt(4)
	v_mul_f32_e32 v167, v2, v196
	v_add_f32_e32 v6, v6, v8
	v_mul_f32_e32 v8, v3, v196
	v_add_f32_e32 v1, v1, v153
	s_waitcnt vmcnt(8)
	v_fma_f32 v9, v136, v208, -v9
	v_fmac_f32_e32 v154, v137, v208
	v_add_f32_e32 v6, v6, v10
	v_mul_f32_e32 v10, v5, v197
	v_add_f32_e32 v1, v1, v159
	v_fmac_f32_e32 v167, v3, v207
	v_fma_f32 v2, v2, v207, -v8
	v_add_f32_e32 v3, v6, v9
	v_mul_f32_e32 v161, v4, v197
	v_add_f32_e32 v1, v1, v154
	s_waitcnt lgkmcnt(3)
	v_mul_f32_e32 v6, v139, v198
	v_fma_f32 v4, v4, v206, -v10
	v_add_f32_e32 v2, v3, v2
	v_mul_f32_e32 v156, v138, v198
	v_fmac_f32_e32 v161, v5, v206
	v_add_f32_e32 v1, v1, v167
	v_mul_f32_e32 v3, v141, v199
	v_fma_f32 v5, v138, v147, -v6
	v_add_f32_e32 v2, v2, v4
	v_mul_f32_e32 v168, v140, v199
	v_fmac_f32_e32 v156, v139, v147
	v_add_f32_e32 v1, v1, v161
	s_waitcnt lgkmcnt(2)
	v_mul_f32_e32 v4, v127, v200
	s_waitcnt vmcnt(4)
	v_fma_f32 v3, v140, v210, -v3
	v_add_f32_e32 v2, v2, v5
	v_mul_f32_e32 v157, v126, v200
	v_fmac_f32_e32 v168, v141, v210
	v_add_f32_e32 v1, v1, v156
	v_mul_f32_e32 v5, v129, v201
	v_fma_f32 v4, v126, v209, -v4
	v_add_f32_e32 v2, v2, v3
	v_mul_f32_e32 v162, v128, v201
	v_fmac_f32_e32 v157, v127, v209
	v_add_f32_e32 v1, v1, v168
	s_waitcnt lgkmcnt(1)
	v_mul_f32_e32 v3, v143, v202
	v_fma_f32 v5, v128, v151, -v5
	v_add_f32_e32 v2, v2, v4
	v_mul_f32_e32 v169, v142, v202
	v_fmac_f32_e32 v162, v129, v151
	v_add_f32_e32 v1, v1, v157
	v_mul_f32_e32 v4, v145, v203
	v_fma_f32 v3, v142, v148, -v3
	v_add_f32_e32 v2, v2, v5
	v_mul_f32_e32 v12, v144, v203
	v_fmac_f32_e32 v169, v143, v148
	v_add_f32_e32 v1, v1, v162
	s_waitcnt lgkmcnt(0)
	v_mul_f32_e32 v5, v131, v204
	s_waitcnt vmcnt(1)
	v_fma_f32 v4, v144, v150, -v4
	v_add_f32_e32 v2, v2, v3
	v_mul_f32_e32 v163, v130, v204
	v_fmac_f32_e32 v12, v145, v150
	v_add_f32_e32 v1, v1, v169
	v_mul_f32_e32 v3, v133, v205
	v_fma_f32 v5, v130, v149, -v5
	v_add_f32_e32 v2, v2, v4
	v_mul_f32_e32 v7, v132, v205
	v_fmac_f32_e32 v163, v131, v149
	v_add_f32_e32 v1, v1, v12
	v_fma_f32 v3, v132, v146, -v3
	v_add_f32_e32 v2, v2, v5
	v_fmac_f32_e32 v7, v133, v146
	v_add_f32_e32 v1, v1, v163
	v_add_f32_e32 v2, v2, v3
	;; [unrolled: 1-line block ×3, first 2 shown]
	s_waitcnt vmcnt(0)
	v_sub_f32_e32 v2, v155, v2
	v_sub_f32_e32 v1, v160, v1
	buffer_store_dword v2, off, s[0:3], 0 offset:8
	buffer_store_dword v1, off, s[0:3], 0 offset:12
	v_cmpx_ne_u32_e32 0, v0
	s_cbranch_execz .LBB119_349
; %bb.348:
	s_clause 0x1
	buffer_load_dword v0, off, s[0:3], 0
	buffer_load_dword v1, off, s[0:3], 0 offset:4
	v_mov_b32_e32 v2, 0
	buffer_store_dword v2, off, s[0:3], 0
	buffer_store_dword v2, off, s[0:3], 0 offset:4
	s_waitcnt vmcnt(0)
	ds_write_b64 v125, v[0:1]
.LBB119_349:
	s_or_b32 exec_lo, exec_lo, s4
	s_waitcnt lgkmcnt(0)
	s_waitcnt_vscnt null, 0x0
	s_barrier
	buffer_gl0_inv
	s_clause 0x3c
	buffer_load_dword v8, off, s[0:3], 0 offset:12
	buffer_load_dword v1, off, s[0:3], 0 offset:24
	;; [unrolled: 1-line block ×61, first 2 shown]
	v_mov_b32_e32 v0, 0
	ds_read2_b64 v[169:172], v0 offset0:57 offset1:58
	ds_read2_b64 v[173:176], v0 offset0:59 offset1:60
	;; [unrolled: 1-line block ×3, first 2 shown]
	buffer_load_dword v187, off, s[0:3], 0 offset:4
	s_and_b32 vcc_lo, exec_lo, s16
	s_waitcnt vmcnt(61) lgkmcnt(2)
	v_mul_f32_e32 v186, v169, v8
	v_mul_f32_e32 v8, v170, v8
	s_waitcnt vmcnt(57)
	v_mul_f32_e32 v189, v171, v5
	v_mul_f32_e32 v5, v172, v5
	v_fmac_f32_e32 v186, v170, v6
	v_fma_f32 v188, v169, v6, -v8
	s_waitcnt vmcnt(56) lgkmcnt(1)
	v_mul_f32_e32 v191, v173, v4
	v_fmac_f32_e32 v189, v172, v3
	v_fma_f32 v190, v171, v3, -v5
	v_mul_f32_e32 v8, v174, v4
	ds_read2_b64 v[3:6], v0 offset0:63 offset1:64
	v_fmac_f32_e32 v191, v174, v1
	s_waitcnt vmcnt(55)
	v_mul_f32_e32 v193, v175, v2
	ds_read2_b64 v[169:172], v0 offset0:65 offset1:66
	v_fma_f32 v192, v173, v1, -v8
	v_mul_f32_e32 v1, v176, v2
	s_waitcnt vmcnt(50) lgkmcnt(2)
	v_mul_f32_e32 v194, v177, v158
	v_fmac_f32_e32 v193, v176, v159
	v_fma_f32 v159, v175, v159, -v1
	v_mul_f32_e32 v1, v178, v158
	ds_read2_b64 v[173:176], v0 offset0:67 offset1:68
	v_fmac_f32_e32 v194, v178, v154
	v_fma_f32 v158, v177, v154, -v1
	s_waitcnt vmcnt(49)
	v_mul_f32_e32 v177, v179, v155
	v_mul_f32_e32 v1, v180, v155
	s_waitcnt vmcnt(48) lgkmcnt(2)
	v_mul_f32_e32 v178, v3, v150
	v_fmac_f32_e32 v177, v180, v146
	v_fma_f32 v146, v179, v146, -v1
	v_mul_f32_e32 v1, v4, v150
	v_fmac_f32_e32 v178, v4, v134
	s_waitcnt vmcnt(47)
	v_mul_f32_e32 v180, v5, v143
	s_waitcnt vmcnt(42) lgkmcnt(1)
	v_mul_f32_e32 v196, v169, v156
	v_fma_f32 v179, v3, v134, -v1
	v_mul_f32_e32 v1, v6, v143
	v_fmac_f32_e32 v180, v6, v157
	v_fmac_f32_e32 v196, v170, v149
	v_fma_f32 v195, v5, v157, -v1
	v_mul_f32_e32 v5, v170, v156
	ds_read2_b64 v[1:4], v0 offset0:69 offset1:70
	ds_read2_b64 v[154:157], v0 offset0:71 offset1:72
	s_waitcnt vmcnt(41)
	v_mul_f32_e32 v170, v171, v151
	v_fma_f32 v169, v169, v149, -v5
	v_mul_f32_e32 v5, v172, v151
	v_fmac_f32_e32 v170, v172, v141
	s_waitcnt vmcnt(40) lgkmcnt(2)
	v_mul_f32_e32 v172, v173, v147
	v_fma_f32 v171, v171, v141, -v5
	v_mul_f32_e32 v5, v174, v147
	s_waitcnt vmcnt(39)
	v_mul_f32_e32 v147, v175, v138
	v_fmac_f32_e32 v172, v174, v128
	v_fma_f32 v128, v173, v128, -v5
	v_mul_f32_e32 v5, v176, v138
	s_waitcnt vmcnt(35)
	v_fmac_f32_e32 v147, v176, v153
	s_waitcnt vmcnt(33) lgkmcnt(1)
	v_mul_f32_e32 v174, v3, v144
	s_waitcnt vmcnt(32) lgkmcnt(0)
	v_mul_f32_e32 v176, v154, v139
	v_fma_f32 v138, v175, v153, -v5
	v_mul_f32_e32 v153, v1, v152
	v_mul_f32_e32 v5, v2, v152
	ds_read2_b64 v[149:152], v0 offset0:73 offset1:74
	v_fmac_f32_e32 v174, v4, v133
	v_fmac_f32_e32 v176, v155, v12
	;; [unrolled: 1-line block ×3, first 2 shown]
	v_fma_f32 v173, v1, v142, -v5
	v_mul_f32_e32 v1, v4, v144
	v_mul_f32_e32 v5, v155, v139
	s_waitcnt vmcnt(31)
	v_mul_f32_e32 v139, v156, v131
	ds_read2_b64 v[141:144], v0 offset0:77 offset1:78
	v_fma_f32 v175, v3, v133, -v1
	ds_read2_b64 v[1:4], v0 offset0:75 offset1:76
	v_fma_f32 v12, v154, v12, -v5
	v_mul_f32_e32 v5, v157, v131
	s_waitcnt vmcnt(27)
	v_fmac_f32_e32 v139, v157, v148
	v_fma_f32 v148, v156, v148, -v5
	s_waitcnt vmcnt(26) lgkmcnt(2)
	v_mul_f32_e32 v154, v149, v145
	v_mul_f32_e32 v5, v150, v145
	s_waitcnt vmcnt(25)
	v_mul_f32_e32 v145, v151, v136
	v_fmac_f32_e32 v154, v150, v135
	v_fma_f32 v135, v149, v135, -v5
	v_mul_f32_e32 v5, v152, v136
	v_fmac_f32_e32 v145, v152, v126
	s_waitcnt vmcnt(24) lgkmcnt(0)
	v_mul_f32_e32 v136, v1, v132
	v_fma_f32 v126, v151, v126, -v5
	v_mul_f32_e32 v5, v2, v132
	s_waitcnt vmcnt(23)
	v_mul_f32_e32 v149, v3, v129
	v_mul_f32_e32 v6, v4, v129
	ds_read2_b64 v[131:134], v0 offset0:79 offset1:80
	v_fmac_f32_e32 v136, v2, v9
	v_fma_f32 v9, v1, v9, -v5
	s_waitcnt vmcnt(19)
	v_fmac_f32_e32 v149, v4, v140
	v_fma_f32 v129, v3, v140, -v6
	s_waitcnt vmcnt(18)
	v_mul_f32_e32 v140, v141, v137
	v_mul_f32_e32 v5, v142, v137
	ds_read2_b64 v[1:4], v0 offset0:81 offset1:82
	s_waitcnt vmcnt(17)
	v_mul_f32_e32 v137, v143, v130
	v_fmac_f32_e32 v140, v142, v127
	v_fma_f32 v127, v141, v127, -v5
	v_mul_f32_e32 v5, v144, v130
	buffer_load_dword v130, off, s[0:3], 0 offset:252
	v_fmac_f32_e32 v137, v144, v10
	v_fma_f32 v10, v143, v10, -v5
	buffer_load_dword v143, off, s[0:3], 0 offset:260
	s_waitcnt vmcnt(18) lgkmcnt(1)
	v_mul_f32_e32 v141, v131, v125
	v_mul_f32_e32 v5, v132, v125
	s_waitcnt vmcnt(17)
	v_mul_f32_e32 v6, v134, v11
	v_mul_f32_e32 v125, v133, v11
	v_fmac_f32_e32 v141, v132, v7
	v_fma_f32 v11, v131, v7, -v5
	s_waitcnt vmcnt(13)
	v_fma_f32 v131, v133, v168, -v6
	ds_read2_b64 v[5:8], v0 offset0:83 offset1:84
	s_clause 0x4
	buffer_load_dword v144, off, s[0:3], 0 offset:280
	buffer_load_dword v150, off, s[0:3], 0 offset:272
	;; [unrolled: 1-line block ×5, first 2 shown]
	s_waitcnt vmcnt(17) lgkmcnt(1)
	v_mul_f32_e32 v132, v1, v167
	v_mul_f32_e32 v133, v2, v167
	v_fmac_f32_e32 v125, v134, v168
	s_waitcnt vmcnt(16)
	v_mul_f32_e32 v134, v3, v166
	v_mul_f32_e32 v142, v4, v166
	v_fmac_f32_e32 v132, v2, v164
	v_fma_f32 v133, v1, v164, -v133
	v_add_f32_e32 v1, 0, v186
	v_add_f32_e32 v2, 0, v188
	v_fmac_f32_e32 v134, v4, v163
	v_fma_f32 v142, v3, v163, -v142
	s_clause 0x1
	buffer_load_dword v156, off, s[0:3], 0 offset:276
	buffer_load_dword v157, off, s[0:3], 0 offset:284
	v_add_f32_e32 v1, v1, v189
	v_add_f32_e32 v2, v2, v190
	;; [unrolled: 1-line block ×3, first 2 shown]
	s_waitcnt vmcnt(17) lgkmcnt(0)
	v_mul_f32_e32 v163, v5, v162
	v_mul_f32_e32 v3, v6, v162
	s_waitcnt vmcnt(16)
	v_mul_f32_e32 v4, v8, v161
	v_add_f32_e32 v2, v2, v192
	v_mul_f32_e32 v162, v7, v161
	s_clause 0x1
	buffer_load_dword v161, off, s[0:3], 0 offset:292
	buffer_load_dword v164, off, s[0:3], 0 offset:300
	v_fmac_f32_e32 v163, v6, v160
	v_fma_f32 v160, v5, v160, -v3
	s_waitcnt vmcnt(14)
	v_fma_f32 v166, v7, v183, -v4
	v_add_f32_e32 v5, v1, v193
	v_add_f32_e32 v6, v2, v159
	ds_read2_b64 v[1:4], v0 offset0:85 offset1:86
	v_fmac_f32_e32 v162, v8, v183
	v_add_f32_e32 v5, v5, v194
	v_add_f32_e32 v6, v6, v158
	s_clause 0x3
	buffer_load_dword v158, off, s[0:3], 0 offset:312
	buffer_load_dword v159, off, s[0:3], 0 offset:304
	;; [unrolled: 1-line block ×4, first 2 shown]
	v_add_f32_e32 v5, v5, v177
	v_add_f32_e32 v6, v6, v146
	;; [unrolled: 1-line block ×4, first 2 shown]
	s_clause 0x1
	buffer_load_dword v177, off, s[0:3], 0 offset:308
	buffer_load_dword v179, off, s[0:3], 0 offset:316
	ds_read2_b64 v[5:8], v0 offset0:87 offset1:88
	v_add_f32_e32 v178, v178, v180
	v_add_f32_e32 v146, v146, v195
	s_waitcnt vmcnt(19) lgkmcnt(1)
	v_mul_f32_e32 v183, v1, v184
	v_mul_f32_e32 v184, v2, v184
	buffer_load_dword v180, off, s[0:3], 0 offset:324
	v_add_f32_e32 v146, v146, v169
	v_fmac_f32_e32 v183, v2, v182
	v_fma_f32 v169, v1, v182, -v184
	v_add_f32_e32 v1, v178, v196
	s_waitcnt vmcnt(19)
	v_mul_f32_e32 v184, v3, v185
	v_add_f32_e32 v2, v146, v171
	s_clause 0x3
	buffer_load_dword v146, off, s[0:3], 0 offset:344
	buffer_load_dword v171, off, s[0:3], 0 offset:336
	;; [unrolled: 1-line block ×4, first 2 shown]
	v_add_f32_e32 v1, v1, v170
	buffer_load_dword v170, off, s[0:3], 0 offset:332
	v_add_f32_e32 v2, v2, v128
	v_mul_f32_e32 v128, v4, v185
	v_fmac_f32_e32 v184, v4, v181
	v_add_f32_e32 v1, v1, v172
	buffer_load_dword v172, off, s[0:3], 0 offset:340
	v_add_f32_e32 v2, v2, v138
	s_clause 0x1
	buffer_load_dword v185, off, s[0:3], 0 offset:348
	buffer_load_dword v186, off, s[0:3], 0 offset:356
	v_fma_f32 v181, v3, v181, -v128
	v_add_f32_e32 v1, v1, v147
	s_clause 0x2
	buffer_load_dword v147, off, s[0:3], 0 offset:364
	buffer_load_dword v188, off, s[0:3], 0 offset:372
	;; [unrolled: 1-line block ×3, first 2 shown]
	v_add_f32_e32 v2, v2, v173
	v_add_f32_e32 v1, v1, v153
	s_clause 0x1
	buffer_load_dword v153, off, s[0:3], 0 offset:388
	buffer_load_dword v173, off, s[0:3], 0 offset:396
	v_add_f32_e32 v2, v2, v175
	v_add_f32_e32 v1, v1, v174
	s_clause 0x1
	buffer_load_dword v174, off, s[0:3], 0 offset:404
	buffer_load_dword v175, off, s[0:3], 0 offset:412
	v_add_f32_e32 v2, v2, v12
	v_add_f32_e32 v1, v1, v176
	s_clause 0x2
	buffer_load_dword v176, off, s[0:3], 0 offset:420
	buffer_load_dword v190, off, s[0:3], 0 offset:428
	buffer_load_dword v191, off, s[0:3], 0 offset:436
	v_add_f32_e32 v2, v2, v148
	buffer_load_dword v148, off, s[0:3], 0 offset:444
	v_add_f32_e32 v1, v1, v139
	v_add_f32_e32 v2, v2, v135
	;; [unrolled: 1-line block ×3, first 2 shown]
	s_clause 0x3
	buffer_load_dword v154, off, s[0:3], 0 offset:376
	buffer_load_dword v192, off, s[0:3], 0 offset:368
	;; [unrolled: 1-line block ×4, first 2 shown]
	v_add_f32_e32 v2, v2, v126
	v_add_f32_e32 v1, v1, v145
	s_clause 0x3
	buffer_load_dword v145, off, s[0:3], 0 offset:408
	buffer_load_dword v195, off, s[0:3], 0 offset:400
	;; [unrolled: 1-line block ×4, first 2 shown]
	v_add_f32_e32 v2, v2, v9
	v_add_f32_e32 v1, v1, v136
	;; [unrolled: 1-line block ×4, first 2 shown]
	s_clause 0x4
	buffer_load_dword v149, off, s[0:3], 0 offset:440
	buffer_load_dword v198, off, s[0:3], 0 offset:432
	;; [unrolled: 1-line block ×4, first 2 shown]
	buffer_load_dword v201, off, s[0:3], 0
	v_add_f32_e32 v2, v2, v127
	v_add_f32_e32 v1, v1, v140
	v_add_f32_e32 v2, v2, v10
	v_add_f32_e32 v1, v1, v137
	v_add_f32_e32 v2, v2, v11
	s_waitcnt vmcnt(49) lgkmcnt(0)
	v_mul_f32_e32 v135, v5, v130
	v_mul_f32_e32 v3, v6, v130
	v_fmac_f32_e32 v135, v6, v165
	v_fma_f32 v129, v5, v165, -v3
	v_add_f32_e32 v5, v1, v141
	v_add_f32_e32 v6, v2, v131
	ds_read2_b64 v[1:4], v0 offset0:89 offset1:90
	s_waitcnt vmcnt(48)
	v_mul_f32_e32 v137, v7, v143
	v_add_f32_e32 v9, v5, v125
	v_mul_f32_e32 v5, v8, v143
	v_add_f32_e32 v10, v6, v133
	s_waitcnt vmcnt(44)
	v_fmac_f32_e32 v137, v8, v152
	v_add_f32_e32 v125, v9, v132
	v_fma_f32 v136, v7, v152, -v5
	ds_read2_b64 v[5:8], v0 offset0:91 offset1:92
	v_add_f32_e32 v126, v10, v142
	ds_read2_b64 v[9:12], v0 offset0:93 offset1:94
	v_add_f32_e32 v125, v125, v134
	v_add_f32_e32 v126, v126, v160
	;; [unrolled: 1-line block ×3, first 2 shown]
	s_waitcnt vmcnt(43) lgkmcnt(2)
	v_mul_f32_e32 v127, v2, v155
	v_mul_f32_e32 v138, v1, v155
	s_waitcnt vmcnt(42)
	v_mul_f32_e32 v140, v3, v156
	v_fma_f32 v139, v1, v151, -v127
	v_add_f32_e32 v1, v126, v166
	v_fmac_f32_e32 v138, v2, v151
	v_add_f32_e32 v2, v130, v162
	ds_read2_b64 v[125:128], v0 offset0:95 offset1:96
	s_waitcnt vmcnt(41) lgkmcnt(2)
	v_mul_f32_e32 v131, v6, v157
	v_add_f32_e32 v1, v1, v169
	v_mul_f32_e32 v143, v5, v157
	v_add_f32_e32 v2, v2, v183
	s_waitcnt vmcnt(39) lgkmcnt(1)
	v_mul_f32_e32 v152, v9, v164
	v_fma_f32 v142, v5, v144, -v131
	v_add_f32_e32 v1, v1, v181
	v_mul_f32_e32 v130, v4, v156
	v_add_f32_e32 v5, v2, v184
	v_fmac_f32_e32 v143, v6, v144
	v_mul_f32_e32 v134, v10, v164
	v_add_f32_e32 v6, v1, v129
	s_waitcnt vmcnt(36)
	v_fmac_f32_e32 v152, v10, v167
	v_add_f32_e32 v10, v5, v135
	v_fmac_f32_e32 v140, v4, v150
	v_fma_f32 v141, v3, v150, -v130
	v_fma_f32 v150, v9, v167, -v134
	v_add_f32_e32 v9, v6, v136
	v_add_f32_e32 v10, v10, v137
	v_mul_f32_e32 v133, v8, v161
	v_mul_f32_e32 v151, v7, v161
	ds_read2_b64 v[1:4], v0 offset0:97 offset1:98
	ds_read2_b64 v[129:132], v0 offset0:99 offset1:100
	v_add_f32_e32 v9, v9, v139
	s_waitcnt vmcnt(33) lgkmcnt(2)
	v_mul_f32_e32 v156, v125, v179
	v_mul_f32_e32 v139, v126, v179
	v_add_f32_e32 v10, v10, v138
	v_fma_f32 v144, v7, v168, -v133
	v_fmac_f32_e32 v151, v8, v168
	v_fmac_f32_e32 v156, v126, v158
	v_fma_f32 v158, v125, v158, -v139
	v_add_f32_e32 v125, v9, v141
	v_add_f32_e32 v161, v10, v140
	v_mul_f32_e32 v155, v11, v177
	v_mul_f32_e32 v137, v12, v177
	s_waitcnt vmcnt(32)
	v_mul_f32_e32 v160, v128, v180
	v_add_f32_e32 v162, v125, v142
	v_add_f32_e32 v143, v161, v143
	v_fmac_f32_e32 v155, v12, v159
	v_fma_f32 v159, v11, v159, -v137
	v_mul_f32_e32 v157, v127, v180
	v_add_f32_e32 v144, v162, v144
	v_add_f32_e32 v143, v143, v151
	s_waitcnt vmcnt(28)
	v_fma_f32 v160, v127, v182, -v160
	s_waitcnt vmcnt(27) lgkmcnt(1)
	v_mul_f32_e32 v163, v2, v170
	ds_read2_b64 v[5:8], v0 offset0:101 offset1:102
	ds_read2_b64 v[133:136], v0 offset0:103 offset1:104
	v_add_f32_e32 v144, v144, v150
	v_add_f32_e32 v143, v143, v152
	v_fmac_f32_e32 v157, v128, v182
	v_mul_f32_e32 v161, v1, v170
	s_waitcnt vmcnt(26)
	v_mul_f32_e32 v151, v4, v172
	v_add_f32_e32 v144, v144, v159
	v_add_f32_e32 v143, v143, v155
	v_fma_f32 v1, v1, v178, -v163
	v_mul_f32_e32 v162, v3, v172
	v_fmac_f32_e32 v161, v2, v178
	v_add_f32_e32 v144, v144, v158
	v_add_f32_e32 v143, v143, v156
	s_waitcnt vmcnt(25) lgkmcnt(2)
	v_mul_f32_e32 v163, v130, v185
	v_fma_f32 v3, v3, v171, -v151
	v_mul_f32_e32 v150, v129, v185
	v_add_f32_e32 v144, v144, v160
	v_add_f32_e32 v143, v143, v157
	v_fmac_f32_e32 v162, v4, v171
	s_waitcnt vmcnt(24)
	v_mul_f32_e32 v165, v132, v186
	v_fma_f32 v129, v129, v146, -v163
	v_add_f32_e32 v1, v144, v1
	v_add_f32_e32 v143, v143, v161
	v_mul_f32_e32 v164, v131, v186
	v_fmac_f32_e32 v150, v130, v146
	s_waitcnt vmcnt(23) lgkmcnt(1)
	v_mul_f32_e32 v130, v6, v147
	v_add_f32_e32 v1, v1, v3
	v_add_f32_e32 v3, v143, v162
	ds_read2_b64 v[9:12], v0 offset0:105 offset1:106
	ds_read2_b64 v[137:140], v0 offset0:107 offset1:108
	v_mul_f32_e32 v152, v5, v147
	s_waitcnt vmcnt(10)
	v_fma_f32 v5, v5, v193, -v130
	s_waitcnt vmcnt(9)
	v_fma_f32 v131, v131, v194, -v165
	v_add_f32_e32 v1, v1, v129
	v_fmac_f32_e32 v164, v132, v194
	v_add_f32_e32 v3, v3, v150
	v_mul_f32_e32 v129, v8, v188
	v_mul_f32_e32 v159, v7, v188
	v_add_f32_e32 v1, v1, v131
	v_fmac_f32_e32 v152, v6, v193
	v_add_f32_e32 v3, v3, v164
	s_waitcnt lgkmcnt(2)
	v_mul_f32_e32 v6, v134, v189
	v_fma_f32 v7, v7, v192, -v129
	v_add_f32_e32 v1, v1, v5
	v_mul_f32_e32 v2, v133, v189
	v_fmac_f32_e32 v159, v8, v192
	v_add_f32_e32 v3, v3, v152
	v_mul_f32_e32 v5, v136, v153
	v_fma_f32 v6, v133, v154, -v6
	v_add_f32_e32 v1, v1, v7
	v_mul_f32_e32 v155, v135, v153
	v_fmac_f32_e32 v2, v134, v154
	v_add_f32_e32 v3, v3, v159
	s_waitcnt lgkmcnt(1)
	v_mul_f32_e32 v7, v10, v173
	s_waitcnt vmcnt(5)
	v_fma_f32 v5, v135, v197, -v5
	v_add_f32_e32 v1, v1, v6
	ds_read2_b64 v[125:128], v0 offset0:109 offset1:110
	ds_read_b64 v[141:142], v0 offset:888
	v_mul_f32_e32 v158, v9, v173
	v_fmac_f32_e32 v155, v136, v197
	v_add_f32_e32 v2, v3, v2
	v_mul_f32_e32 v3, v12, v174
	v_fma_f32 v6, v9, v196, -v7
	v_add_f32_e32 v1, v1, v5
	v_mul_f32_e32 v156, v11, v174
	v_fmac_f32_e32 v158, v10, v196
	v_add_f32_e32 v2, v2, v155
	s_waitcnt lgkmcnt(2)
	v_mul_f32_e32 v5, v138, v175
	v_fma_f32 v3, v11, v195, -v3
	v_add_f32_e32 v1, v1, v6
	v_mul_f32_e32 v4, v137, v175
	v_fmac_f32_e32 v156, v12, v195
	v_add_f32_e32 v2, v2, v158
	v_mul_f32_e32 v6, v140, v176
	v_fma_f32 v5, v137, v145, -v5
	v_add_f32_e32 v1, v1, v3
	v_mul_f32_e32 v151, v139, v176
	v_fmac_f32_e32 v4, v138, v145
	v_add_f32_e32 v2, v2, v156
	s_waitcnt lgkmcnt(1)
	v_mul_f32_e32 v3, v126, v190
	s_waitcnt vmcnt(1)
	v_fma_f32 v6, v139, v200, -v6
	v_add_f32_e32 v1, v1, v5
	v_mul_f32_e32 v157, v125, v190
	v_fmac_f32_e32 v151, v140, v200
	v_add_f32_e32 v2, v2, v4
	v_mul_f32_e32 v4, v128, v191
	v_fma_f32 v3, v125, v199, -v3
	v_add_f32_e32 v1, v1, v6
	v_mul_f32_e32 v160, v127, v191
	v_fmac_f32_e32 v157, v126, v199
	v_add_f32_e32 v2, v2, v151
	s_waitcnt lgkmcnt(0)
	v_mul_f32_e32 v5, v142, v148
	v_fma_f32 v4, v127, v198, -v4
	v_add_f32_e32 v1, v1, v3
	v_mul_f32_e32 v144, v141, v148
	v_fmac_f32_e32 v160, v128, v198
	v_add_f32_e32 v2, v2, v157
	v_fma_f32 v3, v141, v149, -v5
	v_add_f32_e32 v1, v1, v4
	v_fmac_f32_e32 v144, v142, v149
	v_add_f32_e32 v2, v2, v160
	v_add_f32_e32 v1, v1, v3
	;; [unrolled: 1-line block ×3, first 2 shown]
	s_waitcnt vmcnt(0)
	v_sub_f32_e32 v1, v201, v1
	v_sub_f32_e32 v2, v187, v2
	buffer_store_dword v1, off, s[0:3], 0
	buffer_store_dword v2, off, s[0:3], 0 offset:4
	s_cbranch_vccz .LBB119_460
; %bb.350:
	global_load_dword v0, v0, s[12:13] offset:216
	s_waitcnt vmcnt(0)
	v_add_nc_u32_e32 v0, -1, v0
	v_cmp_ne_u32_e32 vcc_lo, 54, v0
	s_cbranch_vccz .LBB119_352
; %bb.351:
	v_lshlrev_b32_e32 v0, 3, v0
	s_clause 0x3
	buffer_load_dword v1, v0, s[0:3], 0 offen
	buffer_load_dword v2, v0, s[0:3], 0 offen offset:4
	buffer_load_dword v3, off, s[0:3], 0 offset:436
	buffer_load_dword v4, off, s[0:3], 0 offset:432
	s_waitcnt vmcnt(3)
	buffer_store_dword v1, off, s[0:3], 0 offset:432
	s_waitcnt vmcnt(2)
	buffer_store_dword v2, off, s[0:3], 0 offset:436
	s_waitcnt vmcnt(1)
	buffer_store_dword v3, v0, s[0:3], 0 offen offset:4
	s_waitcnt vmcnt(0)
	buffer_store_dword v4, v0, s[0:3], 0 offen
.LBB119_352:
	v_mov_b32_e32 v0, 0
	global_load_dword v1, v0, s[12:13] offset:212
	s_waitcnt vmcnt(0)
	v_add_nc_u32_e32 v1, -1, v1
	v_cmp_eq_u32_e32 vcc_lo, 53, v1
	s_cbranch_vccnz .LBB119_354
; %bb.353:
	v_lshlrev_b32_e32 v1, 3, v1
	s_clause 0x3
	buffer_load_dword v2, v1, s[0:3], 0 offen
	buffer_load_dword v3, v1, s[0:3], 0 offen offset:4
	buffer_load_dword v4, off, s[0:3], 0 offset:424
	buffer_load_dword v5, off, s[0:3], 0 offset:428
	s_waitcnt vmcnt(3)
	buffer_store_dword v2, off, s[0:3], 0 offset:424
	s_waitcnt vmcnt(2)
	buffer_store_dword v3, off, s[0:3], 0 offset:428
	s_waitcnt vmcnt(1)
	buffer_store_dword v4, v1, s[0:3], 0 offen
	s_waitcnt vmcnt(0)
	buffer_store_dword v5, v1, s[0:3], 0 offen offset:4
.LBB119_354:
	global_load_dword v0, v0, s[12:13] offset:208
	s_waitcnt vmcnt(0)
	v_add_nc_u32_e32 v0, -1, v0
	v_cmp_eq_u32_e32 vcc_lo, 52, v0
	s_cbranch_vccnz .LBB119_356
; %bb.355:
	v_lshlrev_b32_e32 v0, 3, v0
	s_clause 0x3
	buffer_load_dword v1, v0, s[0:3], 0 offen
	buffer_load_dword v2, v0, s[0:3], 0 offen offset:4
	buffer_load_dword v3, off, s[0:3], 0 offset:420
	buffer_load_dword v4, off, s[0:3], 0 offset:416
	s_waitcnt vmcnt(3)
	buffer_store_dword v1, off, s[0:3], 0 offset:416
	s_waitcnt vmcnt(2)
	buffer_store_dword v2, off, s[0:3], 0 offset:420
	s_waitcnt vmcnt(1)
	buffer_store_dword v3, v0, s[0:3], 0 offen offset:4
	s_waitcnt vmcnt(0)
	buffer_store_dword v4, v0, s[0:3], 0 offen
.LBB119_356:
	v_mov_b32_e32 v0, 0
	global_load_dword v1, v0, s[12:13] offset:204
	s_waitcnt vmcnt(0)
	v_add_nc_u32_e32 v1, -1, v1
	v_cmp_eq_u32_e32 vcc_lo, 51, v1
	s_cbranch_vccnz .LBB119_358
; %bb.357:
	v_lshlrev_b32_e32 v1, 3, v1
	s_clause 0x3
	buffer_load_dword v2, v1, s[0:3], 0 offen
	buffer_load_dword v3, v1, s[0:3], 0 offen offset:4
	buffer_load_dword v4, off, s[0:3], 0 offset:408
	buffer_load_dword v5, off, s[0:3], 0 offset:412
	s_waitcnt vmcnt(3)
	buffer_store_dword v2, off, s[0:3], 0 offset:408
	s_waitcnt vmcnt(2)
	buffer_store_dword v3, off, s[0:3], 0 offset:412
	s_waitcnt vmcnt(1)
	buffer_store_dword v4, v1, s[0:3], 0 offen
	s_waitcnt vmcnt(0)
	buffer_store_dword v5, v1, s[0:3], 0 offen offset:4
.LBB119_358:
	global_load_dword v0, v0, s[12:13] offset:200
	s_waitcnt vmcnt(0)
	v_add_nc_u32_e32 v0, -1, v0
	v_cmp_eq_u32_e32 vcc_lo, 50, v0
	s_cbranch_vccnz .LBB119_360
; %bb.359:
	v_lshlrev_b32_e32 v0, 3, v0
	s_clause 0x3
	buffer_load_dword v1, v0, s[0:3], 0 offen
	buffer_load_dword v2, v0, s[0:3], 0 offen offset:4
	buffer_load_dword v3, off, s[0:3], 0 offset:404
	buffer_load_dword v4, off, s[0:3], 0 offset:400
	s_waitcnt vmcnt(3)
	buffer_store_dword v1, off, s[0:3], 0 offset:400
	s_waitcnt vmcnt(2)
	buffer_store_dword v2, off, s[0:3], 0 offset:404
	s_waitcnt vmcnt(1)
	buffer_store_dword v3, v0, s[0:3], 0 offen offset:4
	s_waitcnt vmcnt(0)
	buffer_store_dword v4, v0, s[0:3], 0 offen
.LBB119_360:
	;; [unrolled: 43-line block ×26, first 2 shown]
	v_mov_b32_e32 v0, 0
	global_load_dword v1, v0, s[12:13] offset:4
	s_waitcnt vmcnt(0)
	v_add_nc_u32_e32 v1, -1, v1
	v_cmp_eq_u32_e32 vcc_lo, 1, v1
	s_cbranch_vccnz .LBB119_458
; %bb.457:
	v_lshlrev_b32_e32 v1, 3, v1
	s_clause 0x3
	buffer_load_dword v2, v1, s[0:3], 0 offen
	buffer_load_dword v3, v1, s[0:3], 0 offen offset:4
	buffer_load_dword v4, off, s[0:3], 0 offset:8
	buffer_load_dword v5, off, s[0:3], 0 offset:12
	s_waitcnt vmcnt(3)
	buffer_store_dword v2, off, s[0:3], 0 offset:8
	s_waitcnt vmcnt(2)
	buffer_store_dword v3, off, s[0:3], 0 offset:12
	s_waitcnt vmcnt(1)
	buffer_store_dword v4, v1, s[0:3], 0 offen
	s_waitcnt vmcnt(0)
	buffer_store_dword v5, v1, s[0:3], 0 offen offset:4
.LBB119_458:
	global_load_dword v0, v0, s[12:13]
	s_waitcnt vmcnt(0)
	v_add_nc_u32_e32 v0, -1, v0
	v_cmp_eq_u32_e32 vcc_lo, 0, v0
	s_cbranch_vccnz .LBB119_460
; %bb.459:
	v_lshlrev_b32_e32 v0, 3, v0
	s_clause 0x3
	buffer_load_dword v1, v0, s[0:3], 0 offen
	buffer_load_dword v2, v0, s[0:3], 0 offen offset:4
	buffer_load_dword v3, off, s[0:3], 0 offset:4
	buffer_load_dword v4, off, s[0:3], 0
	s_waitcnt vmcnt(3)
	buffer_store_dword v1, off, s[0:3], 0
	s_waitcnt vmcnt(2)
	buffer_store_dword v2, off, s[0:3], 0 offset:4
	s_waitcnt vmcnt(1)
	buffer_store_dword v3, v0, s[0:3], 0 offen offset:4
	s_waitcnt vmcnt(0)
	buffer_store_dword v4, v0, s[0:3], 0 offen
.LBB119_460:
	s_clause 0x1
	buffer_load_dword v0, off, s[0:3], 0
	buffer_load_dword v1, off, s[0:3], 0 offset:4
	s_waitcnt vmcnt(0)
	flat_store_dwordx2 v[13:14], v[0:1]
	s_clause 0x1
	buffer_load_dword v0, off, s[0:3], 0 offset:8
	buffer_load_dword v1, off, s[0:3], 0 offset:12
	s_waitcnt vmcnt(0)
	flat_store_dwordx2 v[15:16], v[0:1]
	s_clause 0x1
	buffer_load_dword v0, off, s[0:3], 0 offset:16
	;; [unrolled: 5-line block ×55, first 2 shown]
	buffer_load_dword v1, off, s[0:3], 0 offset:444
	s_waitcnt vmcnt(0)
	flat_store_dwordx2 v[123:124], v[0:1]
	s_endpgm
	.section	.rodata,"a",@progbits
	.p2align	6, 0x0
	.amdhsa_kernel _ZN9rocsolver6v33100L18getri_kernel_smallILi56E19rocblas_complex_numIfEPKPS3_EEvT1_iilPiilS8_bb
		.amdhsa_group_segment_fixed_size 900
		.amdhsa_private_segment_fixed_size 464
		.amdhsa_kernarg_size 60
		.amdhsa_user_sgpr_count 6
		.amdhsa_user_sgpr_private_segment_buffer 1
		.amdhsa_user_sgpr_dispatch_ptr 0
		.amdhsa_user_sgpr_queue_ptr 0
		.amdhsa_user_sgpr_kernarg_segment_ptr 1
		.amdhsa_user_sgpr_dispatch_id 0
		.amdhsa_user_sgpr_flat_scratch_init 0
		.amdhsa_user_sgpr_private_segment_size 0
		.amdhsa_wavefront_size32 1
		.amdhsa_uses_dynamic_stack 0
		.amdhsa_system_sgpr_private_segment_wavefront_offset 1
		.amdhsa_system_sgpr_workgroup_id_x 1
		.amdhsa_system_sgpr_workgroup_id_y 0
		.amdhsa_system_sgpr_workgroup_id_z 0
		.amdhsa_system_sgpr_workgroup_info 0
		.amdhsa_system_vgpr_workitem_id 0
		.amdhsa_next_free_vgpr 252
		.amdhsa_next_free_sgpr 20
		.amdhsa_reserve_vcc 1
		.amdhsa_reserve_flat_scratch 0
		.amdhsa_float_round_mode_32 0
		.amdhsa_float_round_mode_16_64 0
		.amdhsa_float_denorm_mode_32 3
		.amdhsa_float_denorm_mode_16_64 3
		.amdhsa_dx10_clamp 1
		.amdhsa_ieee_mode 1
		.amdhsa_fp16_overflow 0
		.amdhsa_workgroup_processor_mode 1
		.amdhsa_memory_ordered 1
		.amdhsa_forward_progress 1
		.amdhsa_shared_vgpr_count 0
		.amdhsa_exception_fp_ieee_invalid_op 0
		.amdhsa_exception_fp_denorm_src 0
		.amdhsa_exception_fp_ieee_div_zero 0
		.amdhsa_exception_fp_ieee_overflow 0
		.amdhsa_exception_fp_ieee_underflow 0
		.amdhsa_exception_fp_ieee_inexact 0
		.amdhsa_exception_int_div_zero 0
	.end_amdhsa_kernel
	.section	.text._ZN9rocsolver6v33100L18getri_kernel_smallILi56E19rocblas_complex_numIfEPKPS3_EEvT1_iilPiilS8_bb,"axG",@progbits,_ZN9rocsolver6v33100L18getri_kernel_smallILi56E19rocblas_complex_numIfEPKPS3_EEvT1_iilPiilS8_bb,comdat
.Lfunc_end119:
	.size	_ZN9rocsolver6v33100L18getri_kernel_smallILi56E19rocblas_complex_numIfEPKPS3_EEvT1_iilPiilS8_bb, .Lfunc_end119-_ZN9rocsolver6v33100L18getri_kernel_smallILi56E19rocblas_complex_numIfEPKPS3_EEvT1_iilPiilS8_bb
                                        ; -- End function
	.set _ZN9rocsolver6v33100L18getri_kernel_smallILi56E19rocblas_complex_numIfEPKPS3_EEvT1_iilPiilS8_bb.num_vgpr, 252
	.set _ZN9rocsolver6v33100L18getri_kernel_smallILi56E19rocblas_complex_numIfEPKPS3_EEvT1_iilPiilS8_bb.num_agpr, 0
	.set _ZN9rocsolver6v33100L18getri_kernel_smallILi56E19rocblas_complex_numIfEPKPS3_EEvT1_iilPiilS8_bb.numbered_sgpr, 20
	.set _ZN9rocsolver6v33100L18getri_kernel_smallILi56E19rocblas_complex_numIfEPKPS3_EEvT1_iilPiilS8_bb.num_named_barrier, 0
	.set _ZN9rocsolver6v33100L18getri_kernel_smallILi56E19rocblas_complex_numIfEPKPS3_EEvT1_iilPiilS8_bb.private_seg_size, 464
	.set _ZN9rocsolver6v33100L18getri_kernel_smallILi56E19rocblas_complex_numIfEPKPS3_EEvT1_iilPiilS8_bb.uses_vcc, 1
	.set _ZN9rocsolver6v33100L18getri_kernel_smallILi56E19rocblas_complex_numIfEPKPS3_EEvT1_iilPiilS8_bb.uses_flat_scratch, 0
	.set _ZN9rocsolver6v33100L18getri_kernel_smallILi56E19rocblas_complex_numIfEPKPS3_EEvT1_iilPiilS8_bb.has_dyn_sized_stack, 0
	.set _ZN9rocsolver6v33100L18getri_kernel_smallILi56E19rocblas_complex_numIfEPKPS3_EEvT1_iilPiilS8_bb.has_recursion, 0
	.set _ZN9rocsolver6v33100L18getri_kernel_smallILi56E19rocblas_complex_numIfEPKPS3_EEvT1_iilPiilS8_bb.has_indirect_call, 0
	.section	.AMDGPU.csdata,"",@progbits
; Kernel info:
; codeLenInByte = 117244
; TotalNumSgprs: 22
; NumVgprs: 252
; ScratchSize: 464
; MemoryBound: 0
; FloatMode: 240
; IeeeMode: 1
; LDSByteSize: 900 bytes/workgroup (compile time only)
; SGPRBlocks: 0
; VGPRBlocks: 31
; NumSGPRsForWavesPerEU: 22
; NumVGPRsForWavesPerEU: 252
; Occupancy: 4
; WaveLimiterHint : 1
; COMPUTE_PGM_RSRC2:SCRATCH_EN: 1
; COMPUTE_PGM_RSRC2:USER_SGPR: 6
; COMPUTE_PGM_RSRC2:TRAP_HANDLER: 0
; COMPUTE_PGM_RSRC2:TGID_X_EN: 1
; COMPUTE_PGM_RSRC2:TGID_Y_EN: 0
; COMPUTE_PGM_RSRC2:TGID_Z_EN: 0
; COMPUTE_PGM_RSRC2:TIDIG_COMP_CNT: 0
	.section	.text._ZN9rocsolver6v33100L18getri_kernel_smallILi57E19rocblas_complex_numIfEPKPS3_EEvT1_iilPiilS8_bb,"axG",@progbits,_ZN9rocsolver6v33100L18getri_kernel_smallILi57E19rocblas_complex_numIfEPKPS3_EEvT1_iilPiilS8_bb,comdat
	.globl	_ZN9rocsolver6v33100L18getri_kernel_smallILi57E19rocblas_complex_numIfEPKPS3_EEvT1_iilPiilS8_bb ; -- Begin function _ZN9rocsolver6v33100L18getri_kernel_smallILi57E19rocblas_complex_numIfEPKPS3_EEvT1_iilPiilS8_bb
	.p2align	8
	.type	_ZN9rocsolver6v33100L18getri_kernel_smallILi57E19rocblas_complex_numIfEPKPS3_EEvT1_iilPiilS8_bb,@function
_ZN9rocsolver6v33100L18getri_kernel_smallILi57E19rocblas_complex_numIfEPKPS3_EEvT1_iilPiilS8_bb: ; @_ZN9rocsolver6v33100L18getri_kernel_smallILi57E19rocblas_complex_numIfEPKPS3_EEvT1_iilPiilS8_bb
; %bb.0:
	s_add_u32 s0, s0, s7
	s_addc_u32 s1, s1, 0
	s_mov_b32 s7, exec_lo
	v_cmpx_gt_u32_e32 57, v0
	s_cbranch_execz .LBB120_242
; %bb.1:
	s_clause 0x2
	s_load_dword s17, s[4:5], 0x38
	s_load_dwordx2 s[12:13], s[4:5], 0x0
	s_load_dwordx4 s[8:11], s[4:5], 0x28
	s_waitcnt lgkmcnt(0)
	s_bitcmp1_b32 s17, 8
	s_cselect_b32 s16, -1, 0
	s_ashr_i32 s7, s6, 31
	s_lshl_b64 s[14:15], s[6:7], 3
	s_add_u32 s12, s12, s14
	s_addc_u32 s13, s13, s15
	s_load_dwordx2 s[14:15], s[12:13], 0x0
	s_bfe_u32 s12, s17, 0x10008
	s_cmp_eq_u32 s12, 0
                                        ; implicit-def: $sgpr12_sgpr13
	s_cbranch_scc1 .LBB120_3
; %bb.2:
	s_clause 0x1
	s_load_dword s12, s[4:5], 0x20
	s_load_dwordx2 s[18:19], s[4:5], 0x18
	s_mul_i32 s13, s8, s7
	s_mul_hi_u32 s17, s8, s6
	s_mul_i32 s9, s9, s6
	s_add_i32 s13, s17, s13
	s_mul_i32 s8, s8, s6
	s_add_i32 s9, s13, s9
	s_lshl_b64 s[8:9], s[8:9], 2
	s_waitcnt lgkmcnt(0)
	s_ashr_i32 s13, s12, 31
	s_add_u32 s17, s18, s8
	s_addc_u32 s18, s19, s9
	s_lshl_b64 s[8:9], s[12:13], 2
	s_add_u32 s12, s17, s8
	s_addc_u32 s13, s18, s9
.LBB120_3:
	s_clause 0x1
	s_load_dwordx2 s[8:9], s[4:5], 0x8
	s_load_dword s17, s[4:5], 0x38
	v_lshlrev_b32_e32 v3, 3, v0
	s_waitcnt lgkmcnt(0)
	s_ashr_i32 s5, s8, 31
	s_mov_b32 s4, s8
	v_add3_u32 v4, s9, s9, v0
	s_lshl_b64 s[4:5], s[4:5], 3
	s_add_u32 s4, s14, s4
	s_addc_u32 s5, s15, s5
	v_add_co_u32 v13, s8, s4, v3
	v_add_co_ci_u32_e64 v14, null, s5, 0, s8
	s_mov_b32 s14, s9
	s_ashr_i32 s15, s9, 31
	v_ashrrev_i32_e32 v5, 31, v4
	flat_load_dwordx2 v[1:2], v[13:14]
	s_lshl_b64 s[14:15], s[14:15], 3
	s_bitcmp0_b32 s17, 0
	v_add_co_u32 v15, vcc_lo, v13, s14
	v_add_co_ci_u32_e64 v16, null, s15, v14, vcc_lo
	v_lshlrev_b64 v[5:6], 3, v[4:5]
	v_add_nc_u32_e32 v4, s9, v4
	s_waitcnt vmcnt(0) lgkmcnt(0)
	buffer_store_dword v2, off, s[0:3], 0 offset:4
	buffer_store_dword v1, off, s[0:3], 0
	flat_load_dwordx2 v[1:2], v[15:16]
	v_add_co_u32 v17, vcc_lo, s4, v5
	v_add_co_ci_u32_e64 v18, null, s5, v6, vcc_lo
	v_ashrrev_i32_e32 v5, 31, v4
	s_waitcnt vmcnt(0) lgkmcnt(0)
	buffer_store_dword v2, off, s[0:3], 0 offset:12
	buffer_store_dword v1, off, s[0:3], 0 offset:8
	flat_load_dwordx2 v[1:2], v[17:18]
	v_lshlrev_b64 v[5:6], 3, v[4:5]
	v_add_nc_u32_e32 v4, s9, v4
	s_waitcnt vmcnt(0) lgkmcnt(0)
	buffer_store_dword v2, off, s[0:3], 0 offset:20
	buffer_store_dword v1, off, s[0:3], 0 offset:16
	v_add_co_u32 v19, vcc_lo, s4, v5
	v_add_co_ci_u32_e64 v20, null, s5, v6, vcc_lo
	v_ashrrev_i32_e32 v5, 31, v4
	flat_load_dwordx2 v[1:2], v[19:20]
	s_waitcnt vmcnt(0) lgkmcnt(0)
	buffer_store_dword v2, off, s[0:3], 0 offset:28
	buffer_store_dword v1, off, s[0:3], 0 offset:24
	v_lshlrev_b64 v[5:6], 3, v[4:5]
	v_add_nc_u32_e32 v4, s9, v4
	v_add_co_u32 v21, vcc_lo, s4, v5
	v_add_co_ci_u32_e64 v22, null, s5, v6, vcc_lo
	v_ashrrev_i32_e32 v5, 31, v4
	flat_load_dwordx2 v[1:2], v[21:22]
	s_waitcnt vmcnt(0) lgkmcnt(0)
	buffer_store_dword v2, off, s[0:3], 0 offset:36
	buffer_store_dword v1, off, s[0:3], 0 offset:32
	v_lshlrev_b64 v[5:6], 3, v[4:5]
	v_add_nc_u32_e32 v4, s9, v4
	;; [unrolled: 9-line block ×52, first 2 shown]
	v_add_co_u32 v123, vcc_lo, s4, v5
	v_add_co_ci_u32_e64 v124, null, s5, v6, vcc_lo
	v_ashrrev_i32_e32 v5, 31, v4
	flat_load_dwordx2 v[1:2], v[123:124]
	s_waitcnt vmcnt(0) lgkmcnt(0)
	buffer_store_dword v2, off, s[0:3], 0 offset:444
	buffer_store_dword v1, off, s[0:3], 0 offset:440
	v_lshlrev_b64 v[4:5], 3, v[4:5]
	v_add_co_u32 v125, vcc_lo, s4, v4
	v_add_co_ci_u32_e64 v126, null, s5, v5, vcc_lo
	s_mov_b32 s5, -1
	flat_load_dwordx2 v[1:2], v[125:126]
	s_waitcnt vmcnt(0) lgkmcnt(0)
	buffer_store_dword v2, off, s[0:3], 0 offset:452
	buffer_store_dword v1, off, s[0:3], 0 offset:448
	s_cbranch_scc1 .LBB120_240
; %bb.4:
	v_cmp_eq_u32_e64 s4, 0, v0
	s_and_saveexec_b32 s5, s4
; %bb.5:
	v_mov_b32_e32 v1, 0
	ds_write_b32 v1, v1 offset:456
; %bb.6:
	s_or_b32 exec_lo, exec_lo, s5
	v_lshl_add_u32 v5, v0, 3, 0
	s_waitcnt lgkmcnt(0)
	s_waitcnt_vscnt null, 0x0
	s_barrier
	buffer_gl0_inv
	s_clause 0x1
	buffer_load_dword v1, v5, s[0:3], 0 offen
	buffer_load_dword v2, v5, s[0:3], 0 offen offset:4
	s_waitcnt vmcnt(1)
	v_cmp_eq_f32_e32 vcc_lo, 0, v1
	s_waitcnt vmcnt(0)
	v_cmp_eq_f32_e64 s5, 0, v2
	s_and_b32 s5, vcc_lo, s5
	s_and_saveexec_b32 s8, s5
	s_cbranch_execz .LBB120_10
; %bb.7:
	v_mov_b32_e32 v1, 0
	s_mov_b32 s9, 0
	ds_read_b32 v2, v1 offset:456
	s_waitcnt lgkmcnt(0)
	v_readfirstlane_b32 s5, v2
	v_add_nc_u32_e32 v2, 1, v0
	s_cmp_eq_u32 s5, 0
	v_cmp_gt_i32_e32 vcc_lo, s5, v2
	s_cselect_b32 s14, -1, 0
	s_or_b32 s14, s14, vcc_lo
	s_and_b32 exec_lo, exec_lo, s14
	s_cbranch_execz .LBB120_10
; %bb.8:
	v_mov_b32_e32 v4, s5
.LBB120_9:                              ; =>This Inner Loop Header: Depth=1
	ds_cmpst_rtn_b32 v4, v1, v4, v2 offset:456
	s_waitcnt lgkmcnt(0)
	v_cmp_ne_u32_e32 vcc_lo, 0, v4
	v_cmp_le_i32_e64 s5, v4, v2
	s_and_b32 s5, vcc_lo, s5
	s_and_b32 s5, exec_lo, s5
	s_or_b32 s9, s5, s9
	s_andn2_b32 exec_lo, exec_lo, s9
	s_cbranch_execnz .LBB120_9
.LBB120_10:
	s_or_b32 exec_lo, exec_lo, s8
	v_mov_b32_e32 v1, 0
	s_barrier
	buffer_gl0_inv
	ds_read_b32 v2, v1 offset:456
	s_and_saveexec_b32 s5, s4
	s_cbranch_execz .LBB120_12
; %bb.11:
	s_lshl_b64 s[8:9], s[6:7], 2
	s_add_u32 s8, s10, s8
	s_addc_u32 s9, s11, s9
	s_waitcnt lgkmcnt(0)
	global_store_dword v1, v2, s[8:9]
.LBB120_12:
	s_or_b32 exec_lo, exec_lo, s5
	s_waitcnt lgkmcnt(0)
	v_cmp_ne_u32_e32 vcc_lo, 0, v2
	s_mov_b32 s5, 0
	s_cbranch_vccnz .LBB120_240
; %bb.13:
	s_clause 0x1
	buffer_load_dword v2, v5, s[0:3], 0 offen
	buffer_load_dword v4, v5, s[0:3], 0 offen offset:4
                                        ; implicit-def: $vgpr7
                                        ; implicit-def: $vgpr6
                                        ; implicit-def: $vgpr1
	s_waitcnt vmcnt(0)
	v_cmp_ngt_f32_e64 s5, |v2|, |v4|
	s_and_saveexec_b32 s8, s5
	s_xor_b32 s5, exec_lo, s8
	s_cbranch_execz .LBB120_15
; %bb.14:
	v_div_scale_f32 v1, null, v4, v4, v2
	v_div_scale_f32 v8, vcc_lo, v2, v4, v2
	v_rcp_f32_e32 v6, v1
	v_fma_f32 v7, -v1, v6, 1.0
	v_fmac_f32_e32 v6, v7, v6
	v_mul_f32_e32 v7, v8, v6
	v_fma_f32 v9, -v1, v7, v8
	v_fmac_f32_e32 v7, v9, v6
	v_fma_f32 v1, -v1, v7, v8
	v_div_fmas_f32 v1, v1, v6, v7
	v_div_fixup_f32 v1, v1, v4, v2
	v_fmac_f32_e32 v4, v2, v1
	v_div_scale_f32 v2, null, v4, v4, 1.0
	v_rcp_f32_e32 v6, v2
	v_fma_f32 v7, -v2, v6, 1.0
	v_fmac_f32_e32 v6, v7, v6
	v_div_scale_f32 v7, vcc_lo, 1.0, v4, 1.0
	v_mul_f32_e32 v8, v7, v6
	v_fma_f32 v9, -v2, v8, v7
	v_fmac_f32_e32 v8, v9, v6
	v_fma_f32 v2, -v2, v8, v7
	v_div_fmas_f32 v2, v2, v6, v8
	v_div_fixup_f32 v2, v2, v4, 1.0
                                        ; implicit-def: $vgpr4
	v_mul_f32_e32 v7, v1, v2
	v_xor_b32_e32 v6, 0x80000000, v2
                                        ; implicit-def: $vgpr2
	v_xor_b32_e32 v1, 0x80000000, v7
.LBB120_15:
	s_andn2_saveexec_b32 s5, s5
	s_cbranch_execz .LBB120_17
; %bb.16:
	v_div_scale_f32 v1, null, v2, v2, v4
	v_div_scale_f32 v8, vcc_lo, v4, v2, v4
	v_rcp_f32_e32 v6, v1
	v_fma_f32 v7, -v1, v6, 1.0
	v_fmac_f32_e32 v6, v7, v6
	v_mul_f32_e32 v7, v8, v6
	v_fma_f32 v9, -v1, v7, v8
	v_fmac_f32_e32 v7, v9, v6
	v_fma_f32 v1, -v1, v7, v8
	v_div_fmas_f32 v1, v1, v6, v7
	v_div_fixup_f32 v6, v1, v2, v4
	v_fmac_f32_e32 v2, v4, v6
	v_div_scale_f32 v1, null, v2, v2, 1.0
	v_div_scale_f32 v8, vcc_lo, 1.0, v2, 1.0
	v_rcp_f32_e32 v4, v1
	v_fma_f32 v7, -v1, v4, 1.0
	v_fmac_f32_e32 v4, v7, v4
	v_mul_f32_e32 v7, v8, v4
	v_fma_f32 v9, -v1, v7, v8
	v_fmac_f32_e32 v7, v9, v4
	v_fma_f32 v1, -v1, v7, v8
	v_div_fmas_f32 v1, v1, v4, v7
	v_div_fixup_f32 v7, v1, v2, 1.0
	v_xor_b32_e32 v1, 0x80000000, v7
	v_mul_f32_e64 v6, v6, -v7
.LBB120_17:
	s_or_b32 exec_lo, exec_lo, s5
	buffer_store_dword v7, v5, s[0:3], 0 offen
	buffer_store_dword v6, v5, s[0:3], 0 offen offset:4
	s_clause 0x1
	buffer_load_dword v8, off, s[0:3], 0 offset:12
	buffer_load_dword v7, off, s[0:3], 0 offset:8
	v_xor_b32_e32 v2, 0x80000000, v6
	v_add_nc_u32_e32 v4, 0x1d0, v3
	s_waitcnt vmcnt(0)
	ds_write2_b64 v3, v[1:2], v[7:8] offset1:58
	s_waitcnt lgkmcnt(0)
	s_waitcnt_vscnt null, 0x0
	s_barrier
	buffer_gl0_inv
	s_and_saveexec_b32 s5, s4
	s_cbranch_execz .LBB120_19
; %bb.18:
	s_clause 0x1
	buffer_load_dword v8, v5, s[0:3], 0 offen offset:4
	buffer_load_dword v9, v5, s[0:3], 0 offen
	ds_read_b64 v[1:2], v4
	v_mov_b32_e32 v6, 0
	ds_read_b64 v[6:7], v6 offset:8
	s_waitcnt vmcnt(1) lgkmcnt(1)
	v_mul_f32_e32 v10, v1, v8
	v_mul_f32_e32 v8, v2, v8
	s_waitcnt vmcnt(0)
	v_fmac_f32_e32 v10, v2, v9
	v_fma_f32 v1, v1, v9, -v8
	v_add_f32_e32 v2, 0, v10
	v_add_f32_e32 v1, 0, v1
	s_waitcnt lgkmcnt(0)
	v_mul_f32_e32 v8, v2, v7
	v_mul_f32_e32 v7, v1, v7
	v_fma_f32 v1, v1, v6, -v8
	v_fmac_f32_e32 v7, v2, v6
	buffer_store_dword v1, off, s[0:3], 0 offset:8
	buffer_store_dword v7, off, s[0:3], 0 offset:12
.LBB120_19:
	s_or_b32 exec_lo, exec_lo, s5
	s_waitcnt_vscnt null, 0x0
	s_barrier
	buffer_gl0_inv
	s_clause 0x1
	buffer_load_dword v1, off, s[0:3], 0 offset:16
	buffer_load_dword v2, off, s[0:3], 0 offset:20
	s_mov_b32 s5, exec_lo
	s_waitcnt vmcnt(0)
	ds_write_b64 v4, v[1:2]
	s_waitcnt lgkmcnt(0)
	s_barrier
	buffer_gl0_inv
	v_cmpx_gt_u32_e32 2, v0
	s_cbranch_execz .LBB120_23
; %bb.20:
	s_clause 0x1
	buffer_load_dword v6, v5, s[0:3], 0 offen offset:4
	buffer_load_dword v5, v5, s[0:3], 0 offen
	ds_read_b64 v[1:2], v4
	s_waitcnt vmcnt(1) lgkmcnt(0)
	v_mul_f32_e32 v7, v2, v6
	v_mul_f32_e32 v6, v1, v6
	s_waitcnt vmcnt(0)
	v_fma_f32 v1, v1, v5, -v7
	v_fmac_f32_e32 v6, v2, v5
	v_add_f32_e32 v2, 0, v1
	v_add_f32_e32 v1, 0, v6
	s_and_saveexec_b32 s8, s4
	s_cbranch_execz .LBB120_22
; %bb.21:
	s_clause 0x1
	buffer_load_dword v7, off, s[0:3], 0 offset:12
	buffer_load_dword v8, off, s[0:3], 0 offset:8
	v_mov_b32_e32 v5, 0
	ds_read_b64 v[5:6], v5 offset:472
	s_waitcnt vmcnt(1) lgkmcnt(0)
	v_mul_f32_e32 v9, v5, v7
	v_mul_f32_e32 v7, v6, v7
	s_waitcnt vmcnt(0)
	v_fmac_f32_e32 v9, v6, v8
	v_fma_f32 v5, v5, v8, -v7
	v_add_f32_e32 v1, v1, v9
	v_add_f32_e32 v2, v2, v5
.LBB120_22:
	s_or_b32 exec_lo, exec_lo, s8
	v_mov_b32_e32 v5, 0
	ds_read_b64 v[5:6], v5 offset:16
	s_waitcnt lgkmcnt(0)
	v_mul_f32_e32 v7, v1, v6
	v_mul_f32_e32 v6, v2, v6
	v_fma_f32 v2, v2, v5, -v7
	v_fmac_f32_e32 v6, v1, v5
	buffer_store_dword v2, off, s[0:3], 0 offset:16
	buffer_store_dword v6, off, s[0:3], 0 offset:20
.LBB120_23:
	s_or_b32 exec_lo, exec_lo, s5
	s_waitcnt_vscnt null, 0x0
	s_barrier
	buffer_gl0_inv
	s_clause 0x1
	buffer_load_dword v5, off, s[0:3], 0 offset:24
	buffer_load_dword v6, off, s[0:3], 0 offset:28
	v_add_nc_u32_e32 v1, -1, v0
	s_mov_b32 s4, exec_lo
	s_waitcnt vmcnt(0)
	ds_write_b64 v4, v[5:6]
	s_waitcnt lgkmcnt(0)
	s_barrier
	buffer_gl0_inv
	v_cmpx_gt_u32_e32 3, v0
	s_cbranch_execz .LBB120_27
; %bb.24:
	v_add_nc_u32_e32 v5, -1, v0
	v_add_nc_u32_e32 v6, 0x1d0, v3
	v_mov_b32_e32 v7, v3
	v_mov_b32_e32 v2, 0
	;; [unrolled: 1-line block ×3, first 2 shown]
	s_mov_b32 s5, 0
	.p2align	6
.LBB120_25:                             ; =>This Inner Loop Header: Depth=1
	s_clause 0x1
	buffer_load_dword v11, v7, s[0:3], 0 offen offset:4
	buffer_load_dword v12, v7, s[0:3], 0 offen
	ds_read_b64 v[9:10], v6
	v_add_nc_u32_e32 v5, 1, v5
	v_add_nc_u32_e32 v6, 8, v6
	;; [unrolled: 1-line block ×3, first 2 shown]
	v_cmp_lt_u32_e32 vcc_lo, 1, v5
	s_or_b32 s5, vcc_lo, s5
	s_waitcnt vmcnt(1) lgkmcnt(0)
	v_mul_f32_e32 v127, v10, v11
	v_mul_f32_e32 v11, v9, v11
	s_waitcnt vmcnt(0)
	v_fma_f32 v9, v9, v12, -v127
	v_fmac_f32_e32 v11, v10, v12
	v_add_f32_e32 v8, v8, v9
	v_add_f32_e32 v2, v2, v11
	s_andn2_b32 exec_lo, exec_lo, s5
	s_cbranch_execnz .LBB120_25
; %bb.26:
	s_or_b32 exec_lo, exec_lo, s5
	v_mov_b32_e32 v5, 0
	ds_read_b64 v[5:6], v5 offset:24
	s_waitcnt lgkmcnt(0)
	v_mul_f32_e32 v7, v2, v6
	v_mul_f32_e32 v6, v8, v6
	v_fma_f32 v7, v8, v5, -v7
	v_fmac_f32_e32 v6, v2, v5
	buffer_store_dword v7, off, s[0:3], 0 offset:24
	buffer_store_dword v6, off, s[0:3], 0 offset:28
.LBB120_27:
	s_or_b32 exec_lo, exec_lo, s4
	s_waitcnt_vscnt null, 0x0
	s_barrier
	buffer_gl0_inv
	s_clause 0x1
	buffer_load_dword v5, off, s[0:3], 0 offset:32
	buffer_load_dword v6, off, s[0:3], 0 offset:36
	s_mov_b32 s4, exec_lo
	s_waitcnt vmcnt(0)
	ds_write_b64 v4, v[5:6]
	s_waitcnt lgkmcnt(0)
	s_barrier
	buffer_gl0_inv
	v_cmpx_gt_u32_e32 4, v0
	s_cbranch_execz .LBB120_31
; %bb.28:
	v_add_nc_u32_e32 v5, -1, v0
	v_add_nc_u32_e32 v6, 0x1d0, v3
	v_mov_b32_e32 v7, v3
	v_mov_b32_e32 v2, 0
	;; [unrolled: 1-line block ×3, first 2 shown]
	s_mov_b32 s5, 0
	.p2align	6
.LBB120_29:                             ; =>This Inner Loop Header: Depth=1
	s_clause 0x1
	buffer_load_dword v11, v7, s[0:3], 0 offen offset:4
	buffer_load_dword v12, v7, s[0:3], 0 offen
	ds_read_b64 v[9:10], v6
	v_add_nc_u32_e32 v5, 1, v5
	v_add_nc_u32_e32 v6, 8, v6
	;; [unrolled: 1-line block ×3, first 2 shown]
	v_cmp_lt_u32_e32 vcc_lo, 2, v5
	s_or_b32 s5, vcc_lo, s5
	s_waitcnt vmcnt(1) lgkmcnt(0)
	v_mul_f32_e32 v127, v10, v11
	v_mul_f32_e32 v11, v9, v11
	s_waitcnt vmcnt(0)
	v_fma_f32 v9, v9, v12, -v127
	v_fmac_f32_e32 v11, v10, v12
	v_add_f32_e32 v8, v8, v9
	v_add_f32_e32 v2, v2, v11
	s_andn2_b32 exec_lo, exec_lo, s5
	s_cbranch_execnz .LBB120_29
; %bb.30:
	s_or_b32 exec_lo, exec_lo, s5
	v_mov_b32_e32 v5, 0
	ds_read_b64 v[5:6], v5 offset:32
	s_waitcnt lgkmcnt(0)
	v_mul_f32_e32 v7, v2, v6
	v_mul_f32_e32 v6, v8, v6
	v_fma_f32 v7, v8, v5, -v7
	v_fmac_f32_e32 v6, v2, v5
	buffer_store_dword v7, off, s[0:3], 0 offset:32
	buffer_store_dword v6, off, s[0:3], 0 offset:36
.LBB120_31:
	s_or_b32 exec_lo, exec_lo, s4
	s_waitcnt_vscnt null, 0x0
	s_barrier
	buffer_gl0_inv
	s_clause 0x1
	buffer_load_dword v5, off, s[0:3], 0 offset:40
	buffer_load_dword v6, off, s[0:3], 0 offset:44
	s_mov_b32 s4, exec_lo
	s_waitcnt vmcnt(0)
	ds_write_b64 v4, v[5:6]
	s_waitcnt lgkmcnt(0)
	s_barrier
	buffer_gl0_inv
	v_cmpx_gt_u32_e32 5, v0
	s_cbranch_execz .LBB120_35
; %bb.32:
	v_add_nc_u32_e32 v5, -1, v0
	v_add_nc_u32_e32 v6, 0x1d0, v3
	v_mov_b32_e32 v7, v3
	v_mov_b32_e32 v2, 0
	;; [unrolled: 1-line block ×3, first 2 shown]
	s_mov_b32 s5, 0
	.p2align	6
.LBB120_33:                             ; =>This Inner Loop Header: Depth=1
	s_clause 0x1
	buffer_load_dword v11, v7, s[0:3], 0 offen offset:4
	buffer_load_dword v12, v7, s[0:3], 0 offen
	ds_read_b64 v[9:10], v6
	v_add_nc_u32_e32 v5, 1, v5
	v_add_nc_u32_e32 v6, 8, v6
	;; [unrolled: 1-line block ×3, first 2 shown]
	v_cmp_lt_u32_e32 vcc_lo, 3, v5
	s_or_b32 s5, vcc_lo, s5
	s_waitcnt vmcnt(1) lgkmcnt(0)
	v_mul_f32_e32 v127, v10, v11
	v_mul_f32_e32 v11, v9, v11
	s_waitcnt vmcnt(0)
	v_fma_f32 v9, v9, v12, -v127
	v_fmac_f32_e32 v11, v10, v12
	v_add_f32_e32 v8, v8, v9
	v_add_f32_e32 v2, v2, v11
	s_andn2_b32 exec_lo, exec_lo, s5
	s_cbranch_execnz .LBB120_33
; %bb.34:
	s_or_b32 exec_lo, exec_lo, s5
	v_mov_b32_e32 v5, 0
	ds_read_b64 v[5:6], v5 offset:40
	s_waitcnt lgkmcnt(0)
	v_mul_f32_e32 v7, v2, v6
	v_mul_f32_e32 v6, v8, v6
	v_fma_f32 v7, v8, v5, -v7
	v_fmac_f32_e32 v6, v2, v5
	buffer_store_dword v7, off, s[0:3], 0 offset:40
	buffer_store_dword v6, off, s[0:3], 0 offset:44
.LBB120_35:
	s_or_b32 exec_lo, exec_lo, s4
	s_waitcnt_vscnt null, 0x0
	s_barrier
	buffer_gl0_inv
	s_clause 0x1
	buffer_load_dword v5, off, s[0:3], 0 offset:48
	buffer_load_dword v6, off, s[0:3], 0 offset:52
	s_mov_b32 s4, exec_lo
	s_waitcnt vmcnt(0)
	ds_write_b64 v4, v[5:6]
	s_waitcnt lgkmcnt(0)
	s_barrier
	buffer_gl0_inv
	v_cmpx_gt_u32_e32 6, v0
	s_cbranch_execz .LBB120_39
; %bb.36:
	v_add_nc_u32_e32 v5, -1, v0
	v_add_nc_u32_e32 v6, 0x1d0, v3
	v_mov_b32_e32 v7, v3
	v_mov_b32_e32 v2, 0
	;; [unrolled: 1-line block ×3, first 2 shown]
	s_mov_b32 s5, 0
	.p2align	6
.LBB120_37:                             ; =>This Inner Loop Header: Depth=1
	s_clause 0x1
	buffer_load_dword v11, v7, s[0:3], 0 offen offset:4
	buffer_load_dword v12, v7, s[0:3], 0 offen
	ds_read_b64 v[9:10], v6
	v_add_nc_u32_e32 v5, 1, v5
	v_add_nc_u32_e32 v6, 8, v6
	;; [unrolled: 1-line block ×3, first 2 shown]
	v_cmp_lt_u32_e32 vcc_lo, 4, v5
	s_or_b32 s5, vcc_lo, s5
	s_waitcnt vmcnt(1) lgkmcnt(0)
	v_mul_f32_e32 v127, v10, v11
	v_mul_f32_e32 v11, v9, v11
	s_waitcnt vmcnt(0)
	v_fma_f32 v9, v9, v12, -v127
	v_fmac_f32_e32 v11, v10, v12
	v_add_f32_e32 v8, v8, v9
	v_add_f32_e32 v2, v2, v11
	s_andn2_b32 exec_lo, exec_lo, s5
	s_cbranch_execnz .LBB120_37
; %bb.38:
	s_or_b32 exec_lo, exec_lo, s5
	v_mov_b32_e32 v5, 0
	ds_read_b64 v[5:6], v5 offset:48
	s_waitcnt lgkmcnt(0)
	v_mul_f32_e32 v7, v2, v6
	v_mul_f32_e32 v6, v8, v6
	v_fma_f32 v7, v8, v5, -v7
	v_fmac_f32_e32 v6, v2, v5
	buffer_store_dword v7, off, s[0:3], 0 offset:48
	buffer_store_dword v6, off, s[0:3], 0 offset:52
.LBB120_39:
	s_or_b32 exec_lo, exec_lo, s4
	s_waitcnt_vscnt null, 0x0
	s_barrier
	buffer_gl0_inv
	s_clause 0x1
	buffer_load_dword v5, off, s[0:3], 0 offset:56
	buffer_load_dword v6, off, s[0:3], 0 offset:60
	s_mov_b32 s4, exec_lo
	s_waitcnt vmcnt(0)
	ds_write_b64 v4, v[5:6]
	s_waitcnt lgkmcnt(0)
	s_barrier
	buffer_gl0_inv
	v_cmpx_gt_u32_e32 7, v0
	s_cbranch_execz .LBB120_43
; %bb.40:
	v_add_nc_u32_e32 v5, -1, v0
	v_add_nc_u32_e32 v6, 0x1d0, v3
	v_mov_b32_e32 v7, v3
	v_mov_b32_e32 v2, 0
	;; [unrolled: 1-line block ×3, first 2 shown]
	s_mov_b32 s5, 0
	.p2align	6
.LBB120_41:                             ; =>This Inner Loop Header: Depth=1
	s_clause 0x1
	buffer_load_dword v11, v7, s[0:3], 0 offen offset:4
	buffer_load_dword v12, v7, s[0:3], 0 offen
	ds_read_b64 v[9:10], v6
	v_add_nc_u32_e32 v5, 1, v5
	v_add_nc_u32_e32 v6, 8, v6
	;; [unrolled: 1-line block ×3, first 2 shown]
	v_cmp_lt_u32_e32 vcc_lo, 5, v5
	s_or_b32 s5, vcc_lo, s5
	s_waitcnt vmcnt(1) lgkmcnt(0)
	v_mul_f32_e32 v127, v10, v11
	v_mul_f32_e32 v11, v9, v11
	s_waitcnt vmcnt(0)
	v_fma_f32 v9, v9, v12, -v127
	v_fmac_f32_e32 v11, v10, v12
	v_add_f32_e32 v8, v8, v9
	v_add_f32_e32 v2, v2, v11
	s_andn2_b32 exec_lo, exec_lo, s5
	s_cbranch_execnz .LBB120_41
; %bb.42:
	s_or_b32 exec_lo, exec_lo, s5
	v_mov_b32_e32 v5, 0
	ds_read_b64 v[5:6], v5 offset:56
	s_waitcnt lgkmcnt(0)
	v_mul_f32_e32 v7, v2, v6
	v_mul_f32_e32 v6, v8, v6
	v_fma_f32 v7, v8, v5, -v7
	v_fmac_f32_e32 v6, v2, v5
	buffer_store_dword v7, off, s[0:3], 0 offset:56
	buffer_store_dword v6, off, s[0:3], 0 offset:60
.LBB120_43:
	s_or_b32 exec_lo, exec_lo, s4
	s_waitcnt_vscnt null, 0x0
	s_barrier
	buffer_gl0_inv
	s_clause 0x1
	buffer_load_dword v5, off, s[0:3], 0 offset:64
	buffer_load_dword v6, off, s[0:3], 0 offset:68
	s_mov_b32 s4, exec_lo
	s_waitcnt vmcnt(0)
	ds_write_b64 v4, v[5:6]
	s_waitcnt lgkmcnt(0)
	s_barrier
	buffer_gl0_inv
	v_cmpx_gt_u32_e32 8, v0
	s_cbranch_execz .LBB120_47
; %bb.44:
	v_add_nc_u32_e32 v5, -1, v0
	v_add_nc_u32_e32 v6, 0x1d0, v3
	v_mov_b32_e32 v7, v3
	v_mov_b32_e32 v2, 0
	;; [unrolled: 1-line block ×3, first 2 shown]
	s_mov_b32 s5, 0
	.p2align	6
.LBB120_45:                             ; =>This Inner Loop Header: Depth=1
	s_clause 0x1
	buffer_load_dword v11, v7, s[0:3], 0 offen offset:4
	buffer_load_dword v12, v7, s[0:3], 0 offen
	ds_read_b64 v[9:10], v6
	v_add_nc_u32_e32 v5, 1, v5
	v_add_nc_u32_e32 v6, 8, v6
	;; [unrolled: 1-line block ×3, first 2 shown]
	v_cmp_lt_u32_e32 vcc_lo, 6, v5
	s_or_b32 s5, vcc_lo, s5
	s_waitcnt vmcnt(1) lgkmcnt(0)
	v_mul_f32_e32 v127, v10, v11
	v_mul_f32_e32 v11, v9, v11
	s_waitcnt vmcnt(0)
	v_fma_f32 v9, v9, v12, -v127
	v_fmac_f32_e32 v11, v10, v12
	v_add_f32_e32 v8, v8, v9
	v_add_f32_e32 v2, v2, v11
	s_andn2_b32 exec_lo, exec_lo, s5
	s_cbranch_execnz .LBB120_45
; %bb.46:
	s_or_b32 exec_lo, exec_lo, s5
	v_mov_b32_e32 v5, 0
	ds_read_b64 v[5:6], v5 offset:64
	s_waitcnt lgkmcnt(0)
	v_mul_f32_e32 v7, v2, v6
	v_mul_f32_e32 v6, v8, v6
	v_fma_f32 v7, v8, v5, -v7
	v_fmac_f32_e32 v6, v2, v5
	buffer_store_dword v7, off, s[0:3], 0 offset:64
	buffer_store_dword v6, off, s[0:3], 0 offset:68
.LBB120_47:
	s_or_b32 exec_lo, exec_lo, s4
	s_waitcnt_vscnt null, 0x0
	s_barrier
	buffer_gl0_inv
	s_clause 0x1
	buffer_load_dword v5, off, s[0:3], 0 offset:72
	buffer_load_dword v6, off, s[0:3], 0 offset:76
	s_mov_b32 s4, exec_lo
	s_waitcnt vmcnt(0)
	ds_write_b64 v4, v[5:6]
	s_waitcnt lgkmcnt(0)
	s_barrier
	buffer_gl0_inv
	v_cmpx_gt_u32_e32 9, v0
	s_cbranch_execz .LBB120_51
; %bb.48:
	v_add_nc_u32_e32 v5, -1, v0
	v_add_nc_u32_e32 v6, 0x1d0, v3
	v_mov_b32_e32 v7, v3
	v_mov_b32_e32 v2, 0
	;; [unrolled: 1-line block ×3, first 2 shown]
	s_mov_b32 s5, 0
	.p2align	6
.LBB120_49:                             ; =>This Inner Loop Header: Depth=1
	s_clause 0x1
	buffer_load_dword v11, v7, s[0:3], 0 offen offset:4
	buffer_load_dword v12, v7, s[0:3], 0 offen
	ds_read_b64 v[9:10], v6
	v_add_nc_u32_e32 v5, 1, v5
	v_add_nc_u32_e32 v6, 8, v6
	v_add_nc_u32_e32 v7, 8, v7
	v_cmp_lt_u32_e32 vcc_lo, 7, v5
	s_or_b32 s5, vcc_lo, s5
	s_waitcnt vmcnt(1) lgkmcnt(0)
	v_mul_f32_e32 v127, v10, v11
	v_mul_f32_e32 v11, v9, v11
	s_waitcnt vmcnt(0)
	v_fma_f32 v9, v9, v12, -v127
	v_fmac_f32_e32 v11, v10, v12
	v_add_f32_e32 v8, v8, v9
	v_add_f32_e32 v2, v2, v11
	s_andn2_b32 exec_lo, exec_lo, s5
	s_cbranch_execnz .LBB120_49
; %bb.50:
	s_or_b32 exec_lo, exec_lo, s5
	v_mov_b32_e32 v5, 0
	ds_read_b64 v[5:6], v5 offset:72
	s_waitcnt lgkmcnt(0)
	v_mul_f32_e32 v7, v2, v6
	v_mul_f32_e32 v6, v8, v6
	v_fma_f32 v7, v8, v5, -v7
	v_fmac_f32_e32 v6, v2, v5
	buffer_store_dword v7, off, s[0:3], 0 offset:72
	buffer_store_dword v6, off, s[0:3], 0 offset:76
.LBB120_51:
	s_or_b32 exec_lo, exec_lo, s4
	s_waitcnt_vscnt null, 0x0
	s_barrier
	buffer_gl0_inv
	s_clause 0x1
	buffer_load_dword v5, off, s[0:3], 0 offset:80
	buffer_load_dword v6, off, s[0:3], 0 offset:84
	s_mov_b32 s4, exec_lo
	s_waitcnt vmcnt(0)
	ds_write_b64 v4, v[5:6]
	s_waitcnt lgkmcnt(0)
	s_barrier
	buffer_gl0_inv
	v_cmpx_gt_u32_e32 10, v0
	s_cbranch_execz .LBB120_55
; %bb.52:
	v_add_nc_u32_e32 v5, -1, v0
	v_add_nc_u32_e32 v6, 0x1d0, v3
	v_mov_b32_e32 v7, v3
	v_mov_b32_e32 v2, 0
	;; [unrolled: 1-line block ×3, first 2 shown]
	s_mov_b32 s5, 0
	.p2align	6
.LBB120_53:                             ; =>This Inner Loop Header: Depth=1
	s_clause 0x1
	buffer_load_dword v11, v7, s[0:3], 0 offen offset:4
	buffer_load_dword v12, v7, s[0:3], 0 offen
	ds_read_b64 v[9:10], v6
	v_add_nc_u32_e32 v5, 1, v5
	v_add_nc_u32_e32 v6, 8, v6
	;; [unrolled: 1-line block ×3, first 2 shown]
	v_cmp_lt_u32_e32 vcc_lo, 8, v5
	s_or_b32 s5, vcc_lo, s5
	s_waitcnt vmcnt(1) lgkmcnt(0)
	v_mul_f32_e32 v127, v10, v11
	v_mul_f32_e32 v11, v9, v11
	s_waitcnt vmcnt(0)
	v_fma_f32 v9, v9, v12, -v127
	v_fmac_f32_e32 v11, v10, v12
	v_add_f32_e32 v8, v8, v9
	v_add_f32_e32 v2, v2, v11
	s_andn2_b32 exec_lo, exec_lo, s5
	s_cbranch_execnz .LBB120_53
; %bb.54:
	s_or_b32 exec_lo, exec_lo, s5
	v_mov_b32_e32 v5, 0
	ds_read_b64 v[5:6], v5 offset:80
	s_waitcnt lgkmcnt(0)
	v_mul_f32_e32 v7, v2, v6
	v_mul_f32_e32 v6, v8, v6
	v_fma_f32 v7, v8, v5, -v7
	v_fmac_f32_e32 v6, v2, v5
	buffer_store_dword v7, off, s[0:3], 0 offset:80
	buffer_store_dword v6, off, s[0:3], 0 offset:84
.LBB120_55:
	s_or_b32 exec_lo, exec_lo, s4
	s_waitcnt_vscnt null, 0x0
	s_barrier
	buffer_gl0_inv
	s_clause 0x1
	buffer_load_dword v5, off, s[0:3], 0 offset:88
	buffer_load_dword v6, off, s[0:3], 0 offset:92
	s_mov_b32 s4, exec_lo
	s_waitcnt vmcnt(0)
	ds_write_b64 v4, v[5:6]
	s_waitcnt lgkmcnt(0)
	s_barrier
	buffer_gl0_inv
	v_cmpx_gt_u32_e32 11, v0
	s_cbranch_execz .LBB120_59
; %bb.56:
	v_add_nc_u32_e32 v5, -1, v0
	v_add_nc_u32_e32 v6, 0x1d0, v3
	v_mov_b32_e32 v7, v3
	v_mov_b32_e32 v2, 0
	;; [unrolled: 1-line block ×3, first 2 shown]
	s_mov_b32 s5, 0
	.p2align	6
.LBB120_57:                             ; =>This Inner Loop Header: Depth=1
	s_clause 0x1
	buffer_load_dword v11, v7, s[0:3], 0 offen offset:4
	buffer_load_dword v12, v7, s[0:3], 0 offen
	ds_read_b64 v[9:10], v6
	v_add_nc_u32_e32 v5, 1, v5
	v_add_nc_u32_e32 v6, 8, v6
	;; [unrolled: 1-line block ×3, first 2 shown]
	v_cmp_lt_u32_e32 vcc_lo, 9, v5
	s_or_b32 s5, vcc_lo, s5
	s_waitcnt vmcnt(1) lgkmcnt(0)
	v_mul_f32_e32 v127, v10, v11
	v_mul_f32_e32 v11, v9, v11
	s_waitcnt vmcnt(0)
	v_fma_f32 v9, v9, v12, -v127
	v_fmac_f32_e32 v11, v10, v12
	v_add_f32_e32 v8, v8, v9
	v_add_f32_e32 v2, v2, v11
	s_andn2_b32 exec_lo, exec_lo, s5
	s_cbranch_execnz .LBB120_57
; %bb.58:
	s_or_b32 exec_lo, exec_lo, s5
	v_mov_b32_e32 v5, 0
	ds_read_b64 v[5:6], v5 offset:88
	s_waitcnt lgkmcnt(0)
	v_mul_f32_e32 v7, v2, v6
	v_mul_f32_e32 v6, v8, v6
	v_fma_f32 v7, v8, v5, -v7
	v_fmac_f32_e32 v6, v2, v5
	buffer_store_dword v7, off, s[0:3], 0 offset:88
	buffer_store_dword v6, off, s[0:3], 0 offset:92
.LBB120_59:
	s_or_b32 exec_lo, exec_lo, s4
	s_waitcnt_vscnt null, 0x0
	s_barrier
	buffer_gl0_inv
	s_clause 0x1
	buffer_load_dword v5, off, s[0:3], 0 offset:96
	buffer_load_dword v6, off, s[0:3], 0 offset:100
	s_mov_b32 s4, exec_lo
	s_waitcnt vmcnt(0)
	ds_write_b64 v4, v[5:6]
	s_waitcnt lgkmcnt(0)
	s_barrier
	buffer_gl0_inv
	v_cmpx_gt_u32_e32 12, v0
	s_cbranch_execz .LBB120_63
; %bb.60:
	v_add_nc_u32_e32 v5, -1, v0
	v_add_nc_u32_e32 v6, 0x1d0, v3
	v_mov_b32_e32 v7, v3
	v_mov_b32_e32 v2, 0
	;; [unrolled: 1-line block ×3, first 2 shown]
	s_mov_b32 s5, 0
	.p2align	6
.LBB120_61:                             ; =>This Inner Loop Header: Depth=1
	s_clause 0x1
	buffer_load_dword v11, v7, s[0:3], 0 offen offset:4
	buffer_load_dword v12, v7, s[0:3], 0 offen
	ds_read_b64 v[9:10], v6
	v_add_nc_u32_e32 v5, 1, v5
	v_add_nc_u32_e32 v6, 8, v6
	;; [unrolled: 1-line block ×3, first 2 shown]
	v_cmp_lt_u32_e32 vcc_lo, 10, v5
	s_or_b32 s5, vcc_lo, s5
	s_waitcnt vmcnt(1) lgkmcnt(0)
	v_mul_f32_e32 v127, v10, v11
	v_mul_f32_e32 v11, v9, v11
	s_waitcnt vmcnt(0)
	v_fma_f32 v9, v9, v12, -v127
	v_fmac_f32_e32 v11, v10, v12
	v_add_f32_e32 v8, v8, v9
	v_add_f32_e32 v2, v2, v11
	s_andn2_b32 exec_lo, exec_lo, s5
	s_cbranch_execnz .LBB120_61
; %bb.62:
	s_or_b32 exec_lo, exec_lo, s5
	v_mov_b32_e32 v5, 0
	ds_read_b64 v[5:6], v5 offset:96
	s_waitcnt lgkmcnt(0)
	v_mul_f32_e32 v7, v2, v6
	v_mul_f32_e32 v6, v8, v6
	v_fma_f32 v7, v8, v5, -v7
	v_fmac_f32_e32 v6, v2, v5
	buffer_store_dword v7, off, s[0:3], 0 offset:96
	buffer_store_dword v6, off, s[0:3], 0 offset:100
.LBB120_63:
	s_or_b32 exec_lo, exec_lo, s4
	s_waitcnt_vscnt null, 0x0
	s_barrier
	buffer_gl0_inv
	s_clause 0x1
	buffer_load_dword v5, off, s[0:3], 0 offset:104
	buffer_load_dword v6, off, s[0:3], 0 offset:108
	s_mov_b32 s4, exec_lo
	s_waitcnt vmcnt(0)
	ds_write_b64 v4, v[5:6]
	s_waitcnt lgkmcnt(0)
	s_barrier
	buffer_gl0_inv
	v_cmpx_gt_u32_e32 13, v0
	s_cbranch_execz .LBB120_67
; %bb.64:
	v_add_nc_u32_e32 v5, -1, v0
	v_add_nc_u32_e32 v6, 0x1d0, v3
	v_mov_b32_e32 v7, v3
	v_mov_b32_e32 v2, 0
	;; [unrolled: 1-line block ×3, first 2 shown]
	s_mov_b32 s5, 0
	.p2align	6
.LBB120_65:                             ; =>This Inner Loop Header: Depth=1
	s_clause 0x1
	buffer_load_dword v11, v7, s[0:3], 0 offen offset:4
	buffer_load_dword v12, v7, s[0:3], 0 offen
	ds_read_b64 v[9:10], v6
	v_add_nc_u32_e32 v5, 1, v5
	v_add_nc_u32_e32 v6, 8, v6
	;; [unrolled: 1-line block ×3, first 2 shown]
	v_cmp_lt_u32_e32 vcc_lo, 11, v5
	s_or_b32 s5, vcc_lo, s5
	s_waitcnt vmcnt(1) lgkmcnt(0)
	v_mul_f32_e32 v127, v10, v11
	v_mul_f32_e32 v11, v9, v11
	s_waitcnt vmcnt(0)
	v_fma_f32 v9, v9, v12, -v127
	v_fmac_f32_e32 v11, v10, v12
	v_add_f32_e32 v8, v8, v9
	v_add_f32_e32 v2, v2, v11
	s_andn2_b32 exec_lo, exec_lo, s5
	s_cbranch_execnz .LBB120_65
; %bb.66:
	s_or_b32 exec_lo, exec_lo, s5
	v_mov_b32_e32 v5, 0
	ds_read_b64 v[5:6], v5 offset:104
	s_waitcnt lgkmcnt(0)
	v_mul_f32_e32 v7, v2, v6
	v_mul_f32_e32 v6, v8, v6
	v_fma_f32 v7, v8, v5, -v7
	v_fmac_f32_e32 v6, v2, v5
	buffer_store_dword v7, off, s[0:3], 0 offset:104
	buffer_store_dword v6, off, s[0:3], 0 offset:108
.LBB120_67:
	s_or_b32 exec_lo, exec_lo, s4
	s_waitcnt_vscnt null, 0x0
	s_barrier
	buffer_gl0_inv
	s_clause 0x1
	buffer_load_dword v5, off, s[0:3], 0 offset:112
	buffer_load_dword v6, off, s[0:3], 0 offset:116
	s_mov_b32 s4, exec_lo
	s_waitcnt vmcnt(0)
	ds_write_b64 v4, v[5:6]
	s_waitcnt lgkmcnt(0)
	s_barrier
	buffer_gl0_inv
	v_cmpx_gt_u32_e32 14, v0
	s_cbranch_execz .LBB120_71
; %bb.68:
	v_add_nc_u32_e32 v5, -1, v0
	v_add_nc_u32_e32 v6, 0x1d0, v3
	v_mov_b32_e32 v7, v3
	v_mov_b32_e32 v2, 0
	v_mov_b32_e32 v8, 0
	s_mov_b32 s5, 0
	.p2align	6
.LBB120_69:                             ; =>This Inner Loop Header: Depth=1
	s_clause 0x1
	buffer_load_dword v11, v7, s[0:3], 0 offen offset:4
	buffer_load_dword v12, v7, s[0:3], 0 offen
	ds_read_b64 v[9:10], v6
	v_add_nc_u32_e32 v5, 1, v5
	v_add_nc_u32_e32 v6, 8, v6
	;; [unrolled: 1-line block ×3, first 2 shown]
	v_cmp_lt_u32_e32 vcc_lo, 12, v5
	s_or_b32 s5, vcc_lo, s5
	s_waitcnt vmcnt(1) lgkmcnt(0)
	v_mul_f32_e32 v127, v10, v11
	v_mul_f32_e32 v11, v9, v11
	s_waitcnt vmcnt(0)
	v_fma_f32 v9, v9, v12, -v127
	v_fmac_f32_e32 v11, v10, v12
	v_add_f32_e32 v8, v8, v9
	v_add_f32_e32 v2, v2, v11
	s_andn2_b32 exec_lo, exec_lo, s5
	s_cbranch_execnz .LBB120_69
; %bb.70:
	s_or_b32 exec_lo, exec_lo, s5
	v_mov_b32_e32 v5, 0
	ds_read_b64 v[5:6], v5 offset:112
	s_waitcnt lgkmcnt(0)
	v_mul_f32_e32 v7, v2, v6
	v_mul_f32_e32 v6, v8, v6
	v_fma_f32 v7, v8, v5, -v7
	v_fmac_f32_e32 v6, v2, v5
	buffer_store_dword v7, off, s[0:3], 0 offset:112
	buffer_store_dword v6, off, s[0:3], 0 offset:116
.LBB120_71:
	s_or_b32 exec_lo, exec_lo, s4
	s_waitcnt_vscnt null, 0x0
	s_barrier
	buffer_gl0_inv
	s_clause 0x1
	buffer_load_dword v5, off, s[0:3], 0 offset:120
	buffer_load_dword v6, off, s[0:3], 0 offset:124
	s_mov_b32 s4, exec_lo
	s_waitcnt vmcnt(0)
	ds_write_b64 v4, v[5:6]
	s_waitcnt lgkmcnt(0)
	s_barrier
	buffer_gl0_inv
	v_cmpx_gt_u32_e32 15, v0
	s_cbranch_execz .LBB120_75
; %bb.72:
	v_add_nc_u32_e32 v5, -1, v0
	v_add_nc_u32_e32 v6, 0x1d0, v3
	v_mov_b32_e32 v7, v3
	v_mov_b32_e32 v2, 0
	;; [unrolled: 1-line block ×3, first 2 shown]
	s_mov_b32 s5, 0
	.p2align	6
.LBB120_73:                             ; =>This Inner Loop Header: Depth=1
	s_clause 0x1
	buffer_load_dword v11, v7, s[0:3], 0 offen offset:4
	buffer_load_dword v12, v7, s[0:3], 0 offen
	ds_read_b64 v[9:10], v6
	v_add_nc_u32_e32 v5, 1, v5
	v_add_nc_u32_e32 v6, 8, v6
	;; [unrolled: 1-line block ×3, first 2 shown]
	v_cmp_lt_u32_e32 vcc_lo, 13, v5
	s_or_b32 s5, vcc_lo, s5
	s_waitcnt vmcnt(1) lgkmcnt(0)
	v_mul_f32_e32 v127, v10, v11
	v_mul_f32_e32 v11, v9, v11
	s_waitcnt vmcnt(0)
	v_fma_f32 v9, v9, v12, -v127
	v_fmac_f32_e32 v11, v10, v12
	v_add_f32_e32 v8, v8, v9
	v_add_f32_e32 v2, v2, v11
	s_andn2_b32 exec_lo, exec_lo, s5
	s_cbranch_execnz .LBB120_73
; %bb.74:
	s_or_b32 exec_lo, exec_lo, s5
	v_mov_b32_e32 v5, 0
	ds_read_b64 v[5:6], v5 offset:120
	s_waitcnt lgkmcnt(0)
	v_mul_f32_e32 v7, v2, v6
	v_mul_f32_e32 v6, v8, v6
	v_fma_f32 v7, v8, v5, -v7
	v_fmac_f32_e32 v6, v2, v5
	buffer_store_dword v7, off, s[0:3], 0 offset:120
	buffer_store_dword v6, off, s[0:3], 0 offset:124
.LBB120_75:
	s_or_b32 exec_lo, exec_lo, s4
	s_waitcnt_vscnt null, 0x0
	s_barrier
	buffer_gl0_inv
	s_clause 0x1
	buffer_load_dword v5, off, s[0:3], 0 offset:128
	buffer_load_dword v6, off, s[0:3], 0 offset:132
	s_mov_b32 s4, exec_lo
	s_waitcnt vmcnt(0)
	ds_write_b64 v4, v[5:6]
	s_waitcnt lgkmcnt(0)
	s_barrier
	buffer_gl0_inv
	v_cmpx_gt_u32_e32 16, v0
	s_cbranch_execz .LBB120_79
; %bb.76:
	v_add_nc_u32_e32 v5, -1, v0
	v_add_nc_u32_e32 v6, 0x1d0, v3
	v_mov_b32_e32 v7, v3
	v_mov_b32_e32 v2, 0
	v_mov_b32_e32 v8, 0
	s_mov_b32 s5, 0
	.p2align	6
.LBB120_77:                             ; =>This Inner Loop Header: Depth=1
	s_clause 0x1
	buffer_load_dword v11, v7, s[0:3], 0 offen offset:4
	buffer_load_dword v12, v7, s[0:3], 0 offen
	ds_read_b64 v[9:10], v6
	v_add_nc_u32_e32 v5, 1, v5
	v_add_nc_u32_e32 v6, 8, v6
	;; [unrolled: 1-line block ×3, first 2 shown]
	v_cmp_lt_u32_e32 vcc_lo, 14, v5
	s_or_b32 s5, vcc_lo, s5
	s_waitcnt vmcnt(1) lgkmcnt(0)
	v_mul_f32_e32 v127, v10, v11
	v_mul_f32_e32 v11, v9, v11
	s_waitcnt vmcnt(0)
	v_fma_f32 v9, v9, v12, -v127
	v_fmac_f32_e32 v11, v10, v12
	v_add_f32_e32 v8, v8, v9
	v_add_f32_e32 v2, v2, v11
	s_andn2_b32 exec_lo, exec_lo, s5
	s_cbranch_execnz .LBB120_77
; %bb.78:
	s_or_b32 exec_lo, exec_lo, s5
	v_mov_b32_e32 v5, 0
	ds_read_b64 v[5:6], v5 offset:128
	s_waitcnt lgkmcnt(0)
	v_mul_f32_e32 v7, v2, v6
	v_mul_f32_e32 v6, v8, v6
	v_fma_f32 v7, v8, v5, -v7
	v_fmac_f32_e32 v6, v2, v5
	buffer_store_dword v7, off, s[0:3], 0 offset:128
	buffer_store_dword v6, off, s[0:3], 0 offset:132
.LBB120_79:
	s_or_b32 exec_lo, exec_lo, s4
	s_waitcnt_vscnt null, 0x0
	s_barrier
	buffer_gl0_inv
	s_clause 0x1
	buffer_load_dword v5, off, s[0:3], 0 offset:136
	buffer_load_dword v6, off, s[0:3], 0 offset:140
	s_mov_b32 s4, exec_lo
	s_waitcnt vmcnt(0)
	ds_write_b64 v4, v[5:6]
	s_waitcnt lgkmcnt(0)
	s_barrier
	buffer_gl0_inv
	v_cmpx_gt_u32_e32 17, v0
	s_cbranch_execz .LBB120_83
; %bb.80:
	v_add_nc_u32_e32 v5, -1, v0
	v_add_nc_u32_e32 v6, 0x1d0, v3
	v_mov_b32_e32 v7, v3
	v_mov_b32_e32 v2, 0
	;; [unrolled: 1-line block ×3, first 2 shown]
	s_mov_b32 s5, 0
	.p2align	6
.LBB120_81:                             ; =>This Inner Loop Header: Depth=1
	s_clause 0x1
	buffer_load_dword v11, v7, s[0:3], 0 offen offset:4
	buffer_load_dword v12, v7, s[0:3], 0 offen
	ds_read_b64 v[9:10], v6
	v_add_nc_u32_e32 v5, 1, v5
	v_add_nc_u32_e32 v6, 8, v6
	;; [unrolled: 1-line block ×3, first 2 shown]
	v_cmp_lt_u32_e32 vcc_lo, 15, v5
	s_or_b32 s5, vcc_lo, s5
	s_waitcnt vmcnt(1) lgkmcnt(0)
	v_mul_f32_e32 v127, v10, v11
	v_mul_f32_e32 v11, v9, v11
	s_waitcnt vmcnt(0)
	v_fma_f32 v9, v9, v12, -v127
	v_fmac_f32_e32 v11, v10, v12
	v_add_f32_e32 v8, v8, v9
	v_add_f32_e32 v2, v2, v11
	s_andn2_b32 exec_lo, exec_lo, s5
	s_cbranch_execnz .LBB120_81
; %bb.82:
	s_or_b32 exec_lo, exec_lo, s5
	v_mov_b32_e32 v5, 0
	ds_read_b64 v[5:6], v5 offset:136
	s_waitcnt lgkmcnt(0)
	v_mul_f32_e32 v7, v2, v6
	v_mul_f32_e32 v6, v8, v6
	v_fma_f32 v7, v8, v5, -v7
	v_fmac_f32_e32 v6, v2, v5
	buffer_store_dword v7, off, s[0:3], 0 offset:136
	buffer_store_dword v6, off, s[0:3], 0 offset:140
.LBB120_83:
	s_or_b32 exec_lo, exec_lo, s4
	s_waitcnt_vscnt null, 0x0
	s_barrier
	buffer_gl0_inv
	s_clause 0x1
	buffer_load_dword v5, off, s[0:3], 0 offset:144
	buffer_load_dword v6, off, s[0:3], 0 offset:148
	s_mov_b32 s4, exec_lo
	s_waitcnt vmcnt(0)
	ds_write_b64 v4, v[5:6]
	s_waitcnt lgkmcnt(0)
	s_barrier
	buffer_gl0_inv
	v_cmpx_gt_u32_e32 18, v0
	s_cbranch_execz .LBB120_87
; %bb.84:
	v_add_nc_u32_e32 v5, -1, v0
	v_add_nc_u32_e32 v6, 0x1d0, v3
	v_mov_b32_e32 v7, v3
	v_mov_b32_e32 v2, 0
	;; [unrolled: 1-line block ×3, first 2 shown]
	s_mov_b32 s5, 0
	.p2align	6
.LBB120_85:                             ; =>This Inner Loop Header: Depth=1
	s_clause 0x1
	buffer_load_dword v11, v7, s[0:3], 0 offen offset:4
	buffer_load_dword v12, v7, s[0:3], 0 offen
	ds_read_b64 v[9:10], v6
	v_add_nc_u32_e32 v5, 1, v5
	v_add_nc_u32_e32 v6, 8, v6
	v_add_nc_u32_e32 v7, 8, v7
	v_cmp_lt_u32_e32 vcc_lo, 16, v5
	s_or_b32 s5, vcc_lo, s5
	s_waitcnt vmcnt(1) lgkmcnt(0)
	v_mul_f32_e32 v127, v10, v11
	v_mul_f32_e32 v11, v9, v11
	s_waitcnt vmcnt(0)
	v_fma_f32 v9, v9, v12, -v127
	v_fmac_f32_e32 v11, v10, v12
	v_add_f32_e32 v8, v8, v9
	v_add_f32_e32 v2, v2, v11
	s_andn2_b32 exec_lo, exec_lo, s5
	s_cbranch_execnz .LBB120_85
; %bb.86:
	s_or_b32 exec_lo, exec_lo, s5
	v_mov_b32_e32 v5, 0
	ds_read_b64 v[5:6], v5 offset:144
	s_waitcnt lgkmcnt(0)
	v_mul_f32_e32 v7, v2, v6
	v_mul_f32_e32 v6, v8, v6
	v_fma_f32 v7, v8, v5, -v7
	v_fmac_f32_e32 v6, v2, v5
	buffer_store_dword v7, off, s[0:3], 0 offset:144
	buffer_store_dword v6, off, s[0:3], 0 offset:148
.LBB120_87:
	s_or_b32 exec_lo, exec_lo, s4
	s_waitcnt_vscnt null, 0x0
	s_barrier
	buffer_gl0_inv
	s_clause 0x1
	buffer_load_dword v5, off, s[0:3], 0 offset:152
	buffer_load_dword v6, off, s[0:3], 0 offset:156
	s_mov_b32 s4, exec_lo
	s_waitcnt vmcnt(0)
	ds_write_b64 v4, v[5:6]
	s_waitcnt lgkmcnt(0)
	s_barrier
	buffer_gl0_inv
	v_cmpx_gt_u32_e32 19, v0
	s_cbranch_execz .LBB120_91
; %bb.88:
	v_add_nc_u32_e32 v5, -1, v0
	v_add_nc_u32_e32 v6, 0x1d0, v3
	v_mov_b32_e32 v7, v3
	v_mov_b32_e32 v2, 0
	;; [unrolled: 1-line block ×3, first 2 shown]
	s_mov_b32 s5, 0
	.p2align	6
.LBB120_89:                             ; =>This Inner Loop Header: Depth=1
	s_clause 0x1
	buffer_load_dword v11, v7, s[0:3], 0 offen offset:4
	buffer_load_dword v12, v7, s[0:3], 0 offen
	ds_read_b64 v[9:10], v6
	v_add_nc_u32_e32 v5, 1, v5
	v_add_nc_u32_e32 v6, 8, v6
	;; [unrolled: 1-line block ×3, first 2 shown]
	v_cmp_lt_u32_e32 vcc_lo, 17, v5
	s_or_b32 s5, vcc_lo, s5
	s_waitcnt vmcnt(1) lgkmcnt(0)
	v_mul_f32_e32 v127, v10, v11
	v_mul_f32_e32 v11, v9, v11
	s_waitcnt vmcnt(0)
	v_fma_f32 v9, v9, v12, -v127
	v_fmac_f32_e32 v11, v10, v12
	v_add_f32_e32 v8, v8, v9
	v_add_f32_e32 v2, v2, v11
	s_andn2_b32 exec_lo, exec_lo, s5
	s_cbranch_execnz .LBB120_89
; %bb.90:
	s_or_b32 exec_lo, exec_lo, s5
	v_mov_b32_e32 v5, 0
	ds_read_b64 v[5:6], v5 offset:152
	s_waitcnt lgkmcnt(0)
	v_mul_f32_e32 v7, v2, v6
	v_mul_f32_e32 v6, v8, v6
	v_fma_f32 v7, v8, v5, -v7
	v_fmac_f32_e32 v6, v2, v5
	buffer_store_dword v7, off, s[0:3], 0 offset:152
	buffer_store_dword v6, off, s[0:3], 0 offset:156
.LBB120_91:
	s_or_b32 exec_lo, exec_lo, s4
	s_waitcnt_vscnt null, 0x0
	s_barrier
	buffer_gl0_inv
	s_clause 0x1
	buffer_load_dword v5, off, s[0:3], 0 offset:160
	buffer_load_dword v6, off, s[0:3], 0 offset:164
	s_mov_b32 s4, exec_lo
	s_waitcnt vmcnt(0)
	ds_write_b64 v4, v[5:6]
	s_waitcnt lgkmcnt(0)
	s_barrier
	buffer_gl0_inv
	v_cmpx_gt_u32_e32 20, v0
	s_cbranch_execz .LBB120_95
; %bb.92:
	v_add_nc_u32_e32 v5, -1, v0
	v_add_nc_u32_e32 v6, 0x1d0, v3
	v_mov_b32_e32 v7, v3
	v_mov_b32_e32 v2, 0
	;; [unrolled: 1-line block ×3, first 2 shown]
	s_mov_b32 s5, 0
	.p2align	6
.LBB120_93:                             ; =>This Inner Loop Header: Depth=1
	s_clause 0x1
	buffer_load_dword v11, v7, s[0:3], 0 offen offset:4
	buffer_load_dword v12, v7, s[0:3], 0 offen
	ds_read_b64 v[9:10], v6
	v_add_nc_u32_e32 v5, 1, v5
	v_add_nc_u32_e32 v6, 8, v6
	;; [unrolled: 1-line block ×3, first 2 shown]
	v_cmp_lt_u32_e32 vcc_lo, 18, v5
	s_or_b32 s5, vcc_lo, s5
	s_waitcnt vmcnt(1) lgkmcnt(0)
	v_mul_f32_e32 v127, v10, v11
	v_mul_f32_e32 v11, v9, v11
	s_waitcnt vmcnt(0)
	v_fma_f32 v9, v9, v12, -v127
	v_fmac_f32_e32 v11, v10, v12
	v_add_f32_e32 v8, v8, v9
	v_add_f32_e32 v2, v2, v11
	s_andn2_b32 exec_lo, exec_lo, s5
	s_cbranch_execnz .LBB120_93
; %bb.94:
	s_or_b32 exec_lo, exec_lo, s5
	v_mov_b32_e32 v5, 0
	ds_read_b64 v[5:6], v5 offset:160
	s_waitcnt lgkmcnt(0)
	v_mul_f32_e32 v7, v2, v6
	v_mul_f32_e32 v6, v8, v6
	v_fma_f32 v7, v8, v5, -v7
	v_fmac_f32_e32 v6, v2, v5
	buffer_store_dword v7, off, s[0:3], 0 offset:160
	buffer_store_dword v6, off, s[0:3], 0 offset:164
.LBB120_95:
	s_or_b32 exec_lo, exec_lo, s4
	s_waitcnt_vscnt null, 0x0
	s_barrier
	buffer_gl0_inv
	s_clause 0x1
	buffer_load_dword v5, off, s[0:3], 0 offset:168
	buffer_load_dword v6, off, s[0:3], 0 offset:172
	s_mov_b32 s4, exec_lo
	s_waitcnt vmcnt(0)
	ds_write_b64 v4, v[5:6]
	s_waitcnt lgkmcnt(0)
	s_barrier
	buffer_gl0_inv
	v_cmpx_gt_u32_e32 21, v0
	s_cbranch_execz .LBB120_99
; %bb.96:
	v_add_nc_u32_e32 v5, -1, v0
	v_add_nc_u32_e32 v6, 0x1d0, v3
	v_mov_b32_e32 v7, v3
	v_mov_b32_e32 v2, 0
	;; [unrolled: 1-line block ×3, first 2 shown]
	s_mov_b32 s5, 0
	.p2align	6
.LBB120_97:                             ; =>This Inner Loop Header: Depth=1
	s_clause 0x1
	buffer_load_dword v11, v7, s[0:3], 0 offen offset:4
	buffer_load_dword v12, v7, s[0:3], 0 offen
	ds_read_b64 v[9:10], v6
	v_add_nc_u32_e32 v5, 1, v5
	v_add_nc_u32_e32 v6, 8, v6
	;; [unrolled: 1-line block ×3, first 2 shown]
	v_cmp_lt_u32_e32 vcc_lo, 19, v5
	s_or_b32 s5, vcc_lo, s5
	s_waitcnt vmcnt(1) lgkmcnt(0)
	v_mul_f32_e32 v127, v10, v11
	v_mul_f32_e32 v11, v9, v11
	s_waitcnt vmcnt(0)
	v_fma_f32 v9, v9, v12, -v127
	v_fmac_f32_e32 v11, v10, v12
	v_add_f32_e32 v8, v8, v9
	v_add_f32_e32 v2, v2, v11
	s_andn2_b32 exec_lo, exec_lo, s5
	s_cbranch_execnz .LBB120_97
; %bb.98:
	s_or_b32 exec_lo, exec_lo, s5
	v_mov_b32_e32 v5, 0
	ds_read_b64 v[5:6], v5 offset:168
	s_waitcnt lgkmcnt(0)
	v_mul_f32_e32 v7, v2, v6
	v_mul_f32_e32 v6, v8, v6
	v_fma_f32 v7, v8, v5, -v7
	v_fmac_f32_e32 v6, v2, v5
	buffer_store_dword v7, off, s[0:3], 0 offset:168
	buffer_store_dword v6, off, s[0:3], 0 offset:172
.LBB120_99:
	s_or_b32 exec_lo, exec_lo, s4
	s_waitcnt_vscnt null, 0x0
	s_barrier
	buffer_gl0_inv
	s_clause 0x1
	buffer_load_dword v5, off, s[0:3], 0 offset:176
	buffer_load_dword v6, off, s[0:3], 0 offset:180
	s_mov_b32 s4, exec_lo
	s_waitcnt vmcnt(0)
	ds_write_b64 v4, v[5:6]
	s_waitcnt lgkmcnt(0)
	s_barrier
	buffer_gl0_inv
	v_cmpx_gt_u32_e32 22, v0
	s_cbranch_execz .LBB120_103
; %bb.100:
	v_add_nc_u32_e32 v5, -1, v0
	v_add_nc_u32_e32 v6, 0x1d0, v3
	v_mov_b32_e32 v7, v3
	v_mov_b32_e32 v2, 0
	;; [unrolled: 1-line block ×3, first 2 shown]
	s_mov_b32 s5, 0
	.p2align	6
.LBB120_101:                            ; =>This Inner Loop Header: Depth=1
	s_clause 0x1
	buffer_load_dword v11, v7, s[0:3], 0 offen offset:4
	buffer_load_dword v12, v7, s[0:3], 0 offen
	ds_read_b64 v[9:10], v6
	v_add_nc_u32_e32 v5, 1, v5
	v_add_nc_u32_e32 v6, 8, v6
	;; [unrolled: 1-line block ×3, first 2 shown]
	v_cmp_lt_u32_e32 vcc_lo, 20, v5
	s_or_b32 s5, vcc_lo, s5
	s_waitcnt vmcnt(1) lgkmcnt(0)
	v_mul_f32_e32 v127, v10, v11
	v_mul_f32_e32 v11, v9, v11
	s_waitcnt vmcnt(0)
	v_fma_f32 v9, v9, v12, -v127
	v_fmac_f32_e32 v11, v10, v12
	v_add_f32_e32 v8, v8, v9
	v_add_f32_e32 v2, v2, v11
	s_andn2_b32 exec_lo, exec_lo, s5
	s_cbranch_execnz .LBB120_101
; %bb.102:
	s_or_b32 exec_lo, exec_lo, s5
	v_mov_b32_e32 v5, 0
	ds_read_b64 v[5:6], v5 offset:176
	s_waitcnt lgkmcnt(0)
	v_mul_f32_e32 v7, v2, v6
	v_mul_f32_e32 v6, v8, v6
	v_fma_f32 v7, v8, v5, -v7
	v_fmac_f32_e32 v6, v2, v5
	buffer_store_dword v7, off, s[0:3], 0 offset:176
	buffer_store_dword v6, off, s[0:3], 0 offset:180
.LBB120_103:
	s_or_b32 exec_lo, exec_lo, s4
	s_waitcnt_vscnt null, 0x0
	s_barrier
	buffer_gl0_inv
	s_clause 0x1
	buffer_load_dword v5, off, s[0:3], 0 offset:184
	buffer_load_dword v6, off, s[0:3], 0 offset:188
	s_mov_b32 s4, exec_lo
	s_waitcnt vmcnt(0)
	ds_write_b64 v4, v[5:6]
	s_waitcnt lgkmcnt(0)
	s_barrier
	buffer_gl0_inv
	v_cmpx_gt_u32_e32 23, v0
	s_cbranch_execz .LBB120_107
; %bb.104:
	v_add_nc_u32_e32 v5, -1, v0
	v_add_nc_u32_e32 v6, 0x1d0, v3
	v_mov_b32_e32 v7, v3
	v_mov_b32_e32 v2, 0
	;; [unrolled: 1-line block ×3, first 2 shown]
	s_mov_b32 s5, 0
	.p2align	6
.LBB120_105:                            ; =>This Inner Loop Header: Depth=1
	s_clause 0x1
	buffer_load_dword v11, v7, s[0:3], 0 offen offset:4
	buffer_load_dword v12, v7, s[0:3], 0 offen
	ds_read_b64 v[9:10], v6
	v_add_nc_u32_e32 v5, 1, v5
	v_add_nc_u32_e32 v6, 8, v6
	;; [unrolled: 1-line block ×3, first 2 shown]
	v_cmp_lt_u32_e32 vcc_lo, 21, v5
	s_or_b32 s5, vcc_lo, s5
	s_waitcnt vmcnt(1) lgkmcnt(0)
	v_mul_f32_e32 v127, v10, v11
	v_mul_f32_e32 v11, v9, v11
	s_waitcnt vmcnt(0)
	v_fma_f32 v9, v9, v12, -v127
	v_fmac_f32_e32 v11, v10, v12
	v_add_f32_e32 v8, v8, v9
	v_add_f32_e32 v2, v2, v11
	s_andn2_b32 exec_lo, exec_lo, s5
	s_cbranch_execnz .LBB120_105
; %bb.106:
	s_or_b32 exec_lo, exec_lo, s5
	v_mov_b32_e32 v5, 0
	ds_read_b64 v[5:6], v5 offset:184
	s_waitcnt lgkmcnt(0)
	v_mul_f32_e32 v7, v2, v6
	v_mul_f32_e32 v6, v8, v6
	v_fma_f32 v7, v8, v5, -v7
	v_fmac_f32_e32 v6, v2, v5
	buffer_store_dword v7, off, s[0:3], 0 offset:184
	buffer_store_dword v6, off, s[0:3], 0 offset:188
.LBB120_107:
	s_or_b32 exec_lo, exec_lo, s4
	s_waitcnt_vscnt null, 0x0
	s_barrier
	buffer_gl0_inv
	s_clause 0x1
	buffer_load_dword v5, off, s[0:3], 0 offset:192
	buffer_load_dword v6, off, s[0:3], 0 offset:196
	s_mov_b32 s4, exec_lo
	s_waitcnt vmcnt(0)
	ds_write_b64 v4, v[5:6]
	s_waitcnt lgkmcnt(0)
	s_barrier
	buffer_gl0_inv
	v_cmpx_gt_u32_e32 24, v0
	s_cbranch_execz .LBB120_111
; %bb.108:
	v_add_nc_u32_e32 v5, -1, v0
	v_add_nc_u32_e32 v6, 0x1d0, v3
	v_mov_b32_e32 v7, v3
	v_mov_b32_e32 v2, 0
	;; [unrolled: 1-line block ×3, first 2 shown]
	s_mov_b32 s5, 0
	.p2align	6
.LBB120_109:                            ; =>This Inner Loop Header: Depth=1
	s_clause 0x1
	buffer_load_dword v11, v7, s[0:3], 0 offen offset:4
	buffer_load_dword v12, v7, s[0:3], 0 offen
	ds_read_b64 v[9:10], v6
	v_add_nc_u32_e32 v5, 1, v5
	v_add_nc_u32_e32 v6, 8, v6
	;; [unrolled: 1-line block ×3, first 2 shown]
	v_cmp_lt_u32_e32 vcc_lo, 22, v5
	s_or_b32 s5, vcc_lo, s5
	s_waitcnt vmcnt(1) lgkmcnt(0)
	v_mul_f32_e32 v127, v10, v11
	v_mul_f32_e32 v11, v9, v11
	s_waitcnt vmcnt(0)
	v_fma_f32 v9, v9, v12, -v127
	v_fmac_f32_e32 v11, v10, v12
	v_add_f32_e32 v8, v8, v9
	v_add_f32_e32 v2, v2, v11
	s_andn2_b32 exec_lo, exec_lo, s5
	s_cbranch_execnz .LBB120_109
; %bb.110:
	s_or_b32 exec_lo, exec_lo, s5
	v_mov_b32_e32 v5, 0
	ds_read_b64 v[5:6], v5 offset:192
	s_waitcnt lgkmcnt(0)
	v_mul_f32_e32 v7, v2, v6
	v_mul_f32_e32 v6, v8, v6
	v_fma_f32 v7, v8, v5, -v7
	v_fmac_f32_e32 v6, v2, v5
	buffer_store_dword v7, off, s[0:3], 0 offset:192
	buffer_store_dword v6, off, s[0:3], 0 offset:196
.LBB120_111:
	s_or_b32 exec_lo, exec_lo, s4
	s_waitcnt_vscnt null, 0x0
	s_barrier
	buffer_gl0_inv
	s_clause 0x1
	buffer_load_dword v5, off, s[0:3], 0 offset:200
	buffer_load_dword v6, off, s[0:3], 0 offset:204
	s_mov_b32 s4, exec_lo
	s_waitcnt vmcnt(0)
	ds_write_b64 v4, v[5:6]
	s_waitcnt lgkmcnt(0)
	s_barrier
	buffer_gl0_inv
	v_cmpx_gt_u32_e32 25, v0
	s_cbranch_execz .LBB120_115
; %bb.112:
	v_add_nc_u32_e32 v5, -1, v0
	v_add_nc_u32_e32 v6, 0x1d0, v3
	v_mov_b32_e32 v7, v3
	v_mov_b32_e32 v2, 0
	;; [unrolled: 1-line block ×3, first 2 shown]
	s_mov_b32 s5, 0
	.p2align	6
.LBB120_113:                            ; =>This Inner Loop Header: Depth=1
	s_clause 0x1
	buffer_load_dword v11, v7, s[0:3], 0 offen offset:4
	buffer_load_dword v12, v7, s[0:3], 0 offen
	ds_read_b64 v[9:10], v6
	v_add_nc_u32_e32 v5, 1, v5
	v_add_nc_u32_e32 v6, 8, v6
	;; [unrolled: 1-line block ×3, first 2 shown]
	v_cmp_lt_u32_e32 vcc_lo, 23, v5
	s_or_b32 s5, vcc_lo, s5
	s_waitcnt vmcnt(1) lgkmcnt(0)
	v_mul_f32_e32 v127, v10, v11
	v_mul_f32_e32 v11, v9, v11
	s_waitcnt vmcnt(0)
	v_fma_f32 v9, v9, v12, -v127
	v_fmac_f32_e32 v11, v10, v12
	v_add_f32_e32 v8, v8, v9
	v_add_f32_e32 v2, v2, v11
	s_andn2_b32 exec_lo, exec_lo, s5
	s_cbranch_execnz .LBB120_113
; %bb.114:
	s_or_b32 exec_lo, exec_lo, s5
	v_mov_b32_e32 v5, 0
	ds_read_b64 v[5:6], v5 offset:200
	s_waitcnt lgkmcnt(0)
	v_mul_f32_e32 v7, v2, v6
	v_mul_f32_e32 v6, v8, v6
	v_fma_f32 v7, v8, v5, -v7
	v_fmac_f32_e32 v6, v2, v5
	buffer_store_dword v7, off, s[0:3], 0 offset:200
	buffer_store_dword v6, off, s[0:3], 0 offset:204
.LBB120_115:
	s_or_b32 exec_lo, exec_lo, s4
	s_waitcnt_vscnt null, 0x0
	s_barrier
	buffer_gl0_inv
	s_clause 0x1
	buffer_load_dword v5, off, s[0:3], 0 offset:208
	buffer_load_dword v6, off, s[0:3], 0 offset:212
	s_mov_b32 s4, exec_lo
	s_waitcnt vmcnt(0)
	ds_write_b64 v4, v[5:6]
	s_waitcnt lgkmcnt(0)
	s_barrier
	buffer_gl0_inv
	v_cmpx_gt_u32_e32 26, v0
	s_cbranch_execz .LBB120_119
; %bb.116:
	v_add_nc_u32_e32 v5, -1, v0
	v_add_nc_u32_e32 v6, 0x1d0, v3
	v_mov_b32_e32 v7, v3
	v_mov_b32_e32 v2, 0
	;; [unrolled: 1-line block ×3, first 2 shown]
	s_mov_b32 s5, 0
	.p2align	6
.LBB120_117:                            ; =>This Inner Loop Header: Depth=1
	s_clause 0x1
	buffer_load_dword v11, v7, s[0:3], 0 offen offset:4
	buffer_load_dword v12, v7, s[0:3], 0 offen
	ds_read_b64 v[9:10], v6
	v_add_nc_u32_e32 v5, 1, v5
	v_add_nc_u32_e32 v6, 8, v6
	v_add_nc_u32_e32 v7, 8, v7
	v_cmp_lt_u32_e32 vcc_lo, 24, v5
	s_or_b32 s5, vcc_lo, s5
	s_waitcnt vmcnt(1) lgkmcnt(0)
	v_mul_f32_e32 v127, v10, v11
	v_mul_f32_e32 v11, v9, v11
	s_waitcnt vmcnt(0)
	v_fma_f32 v9, v9, v12, -v127
	v_fmac_f32_e32 v11, v10, v12
	v_add_f32_e32 v8, v8, v9
	v_add_f32_e32 v2, v2, v11
	s_andn2_b32 exec_lo, exec_lo, s5
	s_cbranch_execnz .LBB120_117
; %bb.118:
	s_or_b32 exec_lo, exec_lo, s5
	v_mov_b32_e32 v5, 0
	ds_read_b64 v[5:6], v5 offset:208
	s_waitcnt lgkmcnt(0)
	v_mul_f32_e32 v7, v2, v6
	v_mul_f32_e32 v6, v8, v6
	v_fma_f32 v7, v8, v5, -v7
	v_fmac_f32_e32 v6, v2, v5
	buffer_store_dword v7, off, s[0:3], 0 offset:208
	buffer_store_dword v6, off, s[0:3], 0 offset:212
.LBB120_119:
	s_or_b32 exec_lo, exec_lo, s4
	s_waitcnt_vscnt null, 0x0
	s_barrier
	buffer_gl0_inv
	s_clause 0x1
	buffer_load_dword v5, off, s[0:3], 0 offset:216
	buffer_load_dword v6, off, s[0:3], 0 offset:220
	s_mov_b32 s4, exec_lo
	s_waitcnt vmcnt(0)
	ds_write_b64 v4, v[5:6]
	s_waitcnt lgkmcnt(0)
	s_barrier
	buffer_gl0_inv
	v_cmpx_gt_u32_e32 27, v0
	s_cbranch_execz .LBB120_123
; %bb.120:
	v_add_nc_u32_e32 v5, -1, v0
	v_add_nc_u32_e32 v6, 0x1d0, v3
	v_mov_b32_e32 v7, v3
	v_mov_b32_e32 v2, 0
	;; [unrolled: 1-line block ×3, first 2 shown]
	s_mov_b32 s5, 0
	.p2align	6
.LBB120_121:                            ; =>This Inner Loop Header: Depth=1
	s_clause 0x1
	buffer_load_dword v11, v7, s[0:3], 0 offen offset:4
	buffer_load_dword v12, v7, s[0:3], 0 offen
	ds_read_b64 v[9:10], v6
	v_add_nc_u32_e32 v5, 1, v5
	v_add_nc_u32_e32 v6, 8, v6
	;; [unrolled: 1-line block ×3, first 2 shown]
	v_cmp_lt_u32_e32 vcc_lo, 25, v5
	s_or_b32 s5, vcc_lo, s5
	s_waitcnt vmcnt(1) lgkmcnt(0)
	v_mul_f32_e32 v127, v10, v11
	v_mul_f32_e32 v11, v9, v11
	s_waitcnt vmcnt(0)
	v_fma_f32 v9, v9, v12, -v127
	v_fmac_f32_e32 v11, v10, v12
	v_add_f32_e32 v8, v8, v9
	v_add_f32_e32 v2, v2, v11
	s_andn2_b32 exec_lo, exec_lo, s5
	s_cbranch_execnz .LBB120_121
; %bb.122:
	s_or_b32 exec_lo, exec_lo, s5
	v_mov_b32_e32 v5, 0
	ds_read_b64 v[5:6], v5 offset:216
	s_waitcnt lgkmcnt(0)
	v_mul_f32_e32 v7, v2, v6
	v_mul_f32_e32 v6, v8, v6
	v_fma_f32 v7, v8, v5, -v7
	v_fmac_f32_e32 v6, v2, v5
	buffer_store_dword v7, off, s[0:3], 0 offset:216
	buffer_store_dword v6, off, s[0:3], 0 offset:220
.LBB120_123:
	s_or_b32 exec_lo, exec_lo, s4
	s_waitcnt_vscnt null, 0x0
	s_barrier
	buffer_gl0_inv
	s_clause 0x1
	buffer_load_dword v5, off, s[0:3], 0 offset:224
	buffer_load_dword v6, off, s[0:3], 0 offset:228
	s_mov_b32 s4, exec_lo
	s_waitcnt vmcnt(0)
	ds_write_b64 v4, v[5:6]
	s_waitcnt lgkmcnt(0)
	s_barrier
	buffer_gl0_inv
	v_cmpx_gt_u32_e32 28, v0
	s_cbranch_execz .LBB120_127
; %bb.124:
	v_add_nc_u32_e32 v5, -1, v0
	v_add_nc_u32_e32 v6, 0x1d0, v3
	v_mov_b32_e32 v7, v3
	v_mov_b32_e32 v2, 0
	v_mov_b32_e32 v8, 0
	s_mov_b32 s5, 0
	.p2align	6
.LBB120_125:                            ; =>This Inner Loop Header: Depth=1
	s_clause 0x1
	buffer_load_dword v11, v7, s[0:3], 0 offen offset:4
	buffer_load_dword v12, v7, s[0:3], 0 offen
	ds_read_b64 v[9:10], v6
	v_add_nc_u32_e32 v5, 1, v5
	v_add_nc_u32_e32 v6, 8, v6
	;; [unrolled: 1-line block ×3, first 2 shown]
	v_cmp_lt_u32_e32 vcc_lo, 26, v5
	s_or_b32 s5, vcc_lo, s5
	s_waitcnt vmcnt(1) lgkmcnt(0)
	v_mul_f32_e32 v127, v10, v11
	v_mul_f32_e32 v11, v9, v11
	s_waitcnt vmcnt(0)
	v_fma_f32 v9, v9, v12, -v127
	v_fmac_f32_e32 v11, v10, v12
	v_add_f32_e32 v8, v8, v9
	v_add_f32_e32 v2, v2, v11
	s_andn2_b32 exec_lo, exec_lo, s5
	s_cbranch_execnz .LBB120_125
; %bb.126:
	s_or_b32 exec_lo, exec_lo, s5
	v_mov_b32_e32 v5, 0
	ds_read_b64 v[5:6], v5 offset:224
	s_waitcnt lgkmcnt(0)
	v_mul_f32_e32 v7, v2, v6
	v_mul_f32_e32 v6, v8, v6
	v_fma_f32 v7, v8, v5, -v7
	v_fmac_f32_e32 v6, v2, v5
	buffer_store_dword v7, off, s[0:3], 0 offset:224
	buffer_store_dword v6, off, s[0:3], 0 offset:228
.LBB120_127:
	s_or_b32 exec_lo, exec_lo, s4
	s_waitcnt_vscnt null, 0x0
	s_barrier
	buffer_gl0_inv
	s_clause 0x1
	buffer_load_dword v5, off, s[0:3], 0 offset:232
	buffer_load_dword v6, off, s[0:3], 0 offset:236
	s_mov_b32 s4, exec_lo
	s_waitcnt vmcnt(0)
	ds_write_b64 v4, v[5:6]
	s_waitcnt lgkmcnt(0)
	s_barrier
	buffer_gl0_inv
	v_cmpx_gt_u32_e32 29, v0
	s_cbranch_execz .LBB120_131
; %bb.128:
	v_add_nc_u32_e32 v5, -1, v0
	v_add_nc_u32_e32 v6, 0x1d0, v3
	v_mov_b32_e32 v7, v3
	v_mov_b32_e32 v2, 0
	;; [unrolled: 1-line block ×3, first 2 shown]
	s_mov_b32 s5, 0
	.p2align	6
.LBB120_129:                            ; =>This Inner Loop Header: Depth=1
	s_clause 0x1
	buffer_load_dword v11, v7, s[0:3], 0 offen offset:4
	buffer_load_dword v12, v7, s[0:3], 0 offen
	ds_read_b64 v[9:10], v6
	v_add_nc_u32_e32 v5, 1, v5
	v_add_nc_u32_e32 v6, 8, v6
	;; [unrolled: 1-line block ×3, first 2 shown]
	v_cmp_lt_u32_e32 vcc_lo, 27, v5
	s_or_b32 s5, vcc_lo, s5
	s_waitcnt vmcnt(1) lgkmcnt(0)
	v_mul_f32_e32 v127, v10, v11
	v_mul_f32_e32 v11, v9, v11
	s_waitcnt vmcnt(0)
	v_fma_f32 v9, v9, v12, -v127
	v_fmac_f32_e32 v11, v10, v12
	v_add_f32_e32 v8, v8, v9
	v_add_f32_e32 v2, v2, v11
	s_andn2_b32 exec_lo, exec_lo, s5
	s_cbranch_execnz .LBB120_129
; %bb.130:
	s_or_b32 exec_lo, exec_lo, s5
	v_mov_b32_e32 v5, 0
	ds_read_b64 v[5:6], v5 offset:232
	s_waitcnt lgkmcnt(0)
	v_mul_f32_e32 v7, v2, v6
	v_mul_f32_e32 v6, v8, v6
	v_fma_f32 v7, v8, v5, -v7
	v_fmac_f32_e32 v6, v2, v5
	buffer_store_dword v7, off, s[0:3], 0 offset:232
	buffer_store_dword v6, off, s[0:3], 0 offset:236
.LBB120_131:
	s_or_b32 exec_lo, exec_lo, s4
	s_waitcnt_vscnt null, 0x0
	s_barrier
	buffer_gl0_inv
	s_clause 0x1
	buffer_load_dword v5, off, s[0:3], 0 offset:240
	buffer_load_dword v6, off, s[0:3], 0 offset:244
	s_mov_b32 s4, exec_lo
	s_waitcnt vmcnt(0)
	ds_write_b64 v4, v[5:6]
	s_waitcnt lgkmcnt(0)
	s_barrier
	buffer_gl0_inv
	v_cmpx_gt_u32_e32 30, v0
	s_cbranch_execz .LBB120_135
; %bb.132:
	v_add_nc_u32_e32 v5, -1, v0
	v_add_nc_u32_e32 v6, 0x1d0, v3
	v_mov_b32_e32 v7, v3
	v_mov_b32_e32 v2, 0
	;; [unrolled: 1-line block ×3, first 2 shown]
	s_mov_b32 s5, 0
	.p2align	6
.LBB120_133:                            ; =>This Inner Loop Header: Depth=1
	s_clause 0x1
	buffer_load_dword v11, v7, s[0:3], 0 offen offset:4
	buffer_load_dword v12, v7, s[0:3], 0 offen
	ds_read_b64 v[9:10], v6
	v_add_nc_u32_e32 v5, 1, v5
	v_add_nc_u32_e32 v6, 8, v6
	;; [unrolled: 1-line block ×3, first 2 shown]
	v_cmp_lt_u32_e32 vcc_lo, 28, v5
	s_or_b32 s5, vcc_lo, s5
	s_waitcnt vmcnt(1) lgkmcnt(0)
	v_mul_f32_e32 v127, v10, v11
	v_mul_f32_e32 v11, v9, v11
	s_waitcnt vmcnt(0)
	v_fma_f32 v9, v9, v12, -v127
	v_fmac_f32_e32 v11, v10, v12
	v_add_f32_e32 v8, v8, v9
	v_add_f32_e32 v2, v2, v11
	s_andn2_b32 exec_lo, exec_lo, s5
	s_cbranch_execnz .LBB120_133
; %bb.134:
	s_or_b32 exec_lo, exec_lo, s5
	v_mov_b32_e32 v5, 0
	ds_read_b64 v[5:6], v5 offset:240
	s_waitcnt lgkmcnt(0)
	v_mul_f32_e32 v7, v2, v6
	v_mul_f32_e32 v6, v8, v6
	v_fma_f32 v7, v8, v5, -v7
	v_fmac_f32_e32 v6, v2, v5
	buffer_store_dword v7, off, s[0:3], 0 offset:240
	buffer_store_dword v6, off, s[0:3], 0 offset:244
.LBB120_135:
	s_or_b32 exec_lo, exec_lo, s4
	s_waitcnt_vscnt null, 0x0
	s_barrier
	buffer_gl0_inv
	s_clause 0x1
	buffer_load_dword v5, off, s[0:3], 0 offset:248
	buffer_load_dword v6, off, s[0:3], 0 offset:252
	s_mov_b32 s4, exec_lo
	s_waitcnt vmcnt(0)
	ds_write_b64 v4, v[5:6]
	s_waitcnt lgkmcnt(0)
	s_barrier
	buffer_gl0_inv
	v_cmpx_gt_u32_e32 31, v0
	s_cbranch_execz .LBB120_139
; %bb.136:
	v_add_nc_u32_e32 v5, -1, v0
	v_add_nc_u32_e32 v6, 0x1d0, v3
	v_mov_b32_e32 v7, v3
	v_mov_b32_e32 v2, 0
	;; [unrolled: 1-line block ×3, first 2 shown]
	s_mov_b32 s5, 0
	.p2align	6
.LBB120_137:                            ; =>This Inner Loop Header: Depth=1
	s_clause 0x1
	buffer_load_dword v11, v7, s[0:3], 0 offen offset:4
	buffer_load_dword v12, v7, s[0:3], 0 offen
	ds_read_b64 v[9:10], v6
	v_add_nc_u32_e32 v5, 1, v5
	v_add_nc_u32_e32 v6, 8, v6
	v_add_nc_u32_e32 v7, 8, v7
	v_cmp_lt_u32_e32 vcc_lo, 29, v5
	s_or_b32 s5, vcc_lo, s5
	s_waitcnt vmcnt(1) lgkmcnt(0)
	v_mul_f32_e32 v127, v10, v11
	v_mul_f32_e32 v11, v9, v11
	s_waitcnt vmcnt(0)
	v_fma_f32 v9, v9, v12, -v127
	v_fmac_f32_e32 v11, v10, v12
	v_add_f32_e32 v8, v8, v9
	v_add_f32_e32 v2, v2, v11
	s_andn2_b32 exec_lo, exec_lo, s5
	s_cbranch_execnz .LBB120_137
; %bb.138:
	s_or_b32 exec_lo, exec_lo, s5
	v_mov_b32_e32 v5, 0
	ds_read_b64 v[5:6], v5 offset:248
	s_waitcnt lgkmcnt(0)
	v_mul_f32_e32 v7, v2, v6
	v_mul_f32_e32 v6, v8, v6
	v_fma_f32 v7, v8, v5, -v7
	v_fmac_f32_e32 v6, v2, v5
	buffer_store_dword v7, off, s[0:3], 0 offset:248
	buffer_store_dword v6, off, s[0:3], 0 offset:252
.LBB120_139:
	s_or_b32 exec_lo, exec_lo, s4
	s_waitcnt_vscnt null, 0x0
	s_barrier
	buffer_gl0_inv
	s_clause 0x1
	buffer_load_dword v5, off, s[0:3], 0 offset:256
	buffer_load_dword v6, off, s[0:3], 0 offset:260
	s_mov_b32 s4, exec_lo
	s_waitcnt vmcnt(0)
	ds_write_b64 v4, v[5:6]
	s_waitcnt lgkmcnt(0)
	s_barrier
	buffer_gl0_inv
	v_cmpx_gt_u32_e32 32, v0
	s_cbranch_execz .LBB120_143
; %bb.140:
	v_add_nc_u32_e32 v5, -1, v0
	v_add_nc_u32_e32 v6, 0x1d0, v3
	v_mov_b32_e32 v7, v3
	v_mov_b32_e32 v2, 0
	v_mov_b32_e32 v8, 0
	s_mov_b32 s5, 0
	.p2align	6
.LBB120_141:                            ; =>This Inner Loop Header: Depth=1
	s_clause 0x1
	buffer_load_dword v11, v7, s[0:3], 0 offen offset:4
	buffer_load_dword v12, v7, s[0:3], 0 offen
	ds_read_b64 v[9:10], v6
	v_add_nc_u32_e32 v5, 1, v5
	v_add_nc_u32_e32 v6, 8, v6
	;; [unrolled: 1-line block ×3, first 2 shown]
	v_cmp_lt_u32_e32 vcc_lo, 30, v5
	s_or_b32 s5, vcc_lo, s5
	s_waitcnt vmcnt(1) lgkmcnt(0)
	v_mul_f32_e32 v127, v10, v11
	v_mul_f32_e32 v11, v9, v11
	s_waitcnt vmcnt(0)
	v_fma_f32 v9, v9, v12, -v127
	v_fmac_f32_e32 v11, v10, v12
	v_add_f32_e32 v8, v8, v9
	v_add_f32_e32 v2, v2, v11
	s_andn2_b32 exec_lo, exec_lo, s5
	s_cbranch_execnz .LBB120_141
; %bb.142:
	s_or_b32 exec_lo, exec_lo, s5
	v_mov_b32_e32 v5, 0
	ds_read_b64 v[5:6], v5 offset:256
	s_waitcnt lgkmcnt(0)
	v_mul_f32_e32 v7, v2, v6
	v_mul_f32_e32 v6, v8, v6
	v_fma_f32 v7, v8, v5, -v7
	v_fmac_f32_e32 v6, v2, v5
	buffer_store_dword v7, off, s[0:3], 0 offset:256
	buffer_store_dword v6, off, s[0:3], 0 offset:260
.LBB120_143:
	s_or_b32 exec_lo, exec_lo, s4
	s_waitcnt_vscnt null, 0x0
	s_barrier
	buffer_gl0_inv
	s_clause 0x1
	buffer_load_dword v5, off, s[0:3], 0 offset:264
	buffer_load_dword v6, off, s[0:3], 0 offset:268
	s_mov_b32 s4, exec_lo
	s_waitcnt vmcnt(0)
	ds_write_b64 v4, v[5:6]
	s_waitcnt lgkmcnt(0)
	s_barrier
	buffer_gl0_inv
	v_cmpx_gt_u32_e32 33, v0
	s_cbranch_execz .LBB120_147
; %bb.144:
	v_add_nc_u32_e32 v5, -1, v0
	v_add_nc_u32_e32 v6, 0x1d0, v3
	v_mov_b32_e32 v7, v3
	v_mov_b32_e32 v2, 0
	;; [unrolled: 1-line block ×3, first 2 shown]
	s_mov_b32 s5, 0
	.p2align	6
.LBB120_145:                            ; =>This Inner Loop Header: Depth=1
	s_clause 0x1
	buffer_load_dword v11, v7, s[0:3], 0 offen offset:4
	buffer_load_dword v12, v7, s[0:3], 0 offen
	ds_read_b64 v[9:10], v6
	v_add_nc_u32_e32 v5, 1, v5
	v_add_nc_u32_e32 v6, 8, v6
	;; [unrolled: 1-line block ×3, first 2 shown]
	v_cmp_lt_u32_e32 vcc_lo, 31, v5
	s_or_b32 s5, vcc_lo, s5
	s_waitcnt vmcnt(1) lgkmcnt(0)
	v_mul_f32_e32 v127, v10, v11
	v_mul_f32_e32 v11, v9, v11
	s_waitcnt vmcnt(0)
	v_fma_f32 v9, v9, v12, -v127
	v_fmac_f32_e32 v11, v10, v12
	v_add_f32_e32 v8, v8, v9
	v_add_f32_e32 v2, v2, v11
	s_andn2_b32 exec_lo, exec_lo, s5
	s_cbranch_execnz .LBB120_145
; %bb.146:
	s_or_b32 exec_lo, exec_lo, s5
	v_mov_b32_e32 v5, 0
	ds_read_b64 v[5:6], v5 offset:264
	s_waitcnt lgkmcnt(0)
	v_mul_f32_e32 v7, v2, v6
	v_mul_f32_e32 v6, v8, v6
	v_fma_f32 v7, v8, v5, -v7
	v_fmac_f32_e32 v6, v2, v5
	buffer_store_dword v7, off, s[0:3], 0 offset:264
	buffer_store_dword v6, off, s[0:3], 0 offset:268
.LBB120_147:
	s_or_b32 exec_lo, exec_lo, s4
	s_waitcnt_vscnt null, 0x0
	s_barrier
	buffer_gl0_inv
	s_clause 0x1
	buffer_load_dword v5, off, s[0:3], 0 offset:272
	buffer_load_dword v6, off, s[0:3], 0 offset:276
	s_mov_b32 s4, exec_lo
	s_waitcnt vmcnt(0)
	ds_write_b64 v4, v[5:6]
	s_waitcnt lgkmcnt(0)
	s_barrier
	buffer_gl0_inv
	v_cmpx_gt_u32_e32 34, v0
	s_cbranch_execz .LBB120_151
; %bb.148:
	v_add_nc_u32_e32 v5, -1, v0
	v_add_nc_u32_e32 v6, 0x1d0, v3
	v_mov_b32_e32 v7, v3
	v_mov_b32_e32 v2, 0
	v_mov_b32_e32 v8, 0
	s_mov_b32 s5, 0
	.p2align	6
.LBB120_149:                            ; =>This Inner Loop Header: Depth=1
	s_clause 0x1
	buffer_load_dword v11, v7, s[0:3], 0 offen offset:4
	buffer_load_dword v12, v7, s[0:3], 0 offen
	ds_read_b64 v[9:10], v6
	v_add_nc_u32_e32 v5, 1, v5
	v_add_nc_u32_e32 v6, 8, v6
	;; [unrolled: 1-line block ×3, first 2 shown]
	v_cmp_lt_u32_e32 vcc_lo, 32, v5
	s_or_b32 s5, vcc_lo, s5
	s_waitcnt vmcnt(1) lgkmcnt(0)
	v_mul_f32_e32 v127, v10, v11
	v_mul_f32_e32 v11, v9, v11
	s_waitcnt vmcnt(0)
	v_fma_f32 v9, v9, v12, -v127
	v_fmac_f32_e32 v11, v10, v12
	v_add_f32_e32 v8, v8, v9
	v_add_f32_e32 v2, v2, v11
	s_andn2_b32 exec_lo, exec_lo, s5
	s_cbranch_execnz .LBB120_149
; %bb.150:
	s_or_b32 exec_lo, exec_lo, s5
	v_mov_b32_e32 v5, 0
	ds_read_b64 v[5:6], v5 offset:272
	s_waitcnt lgkmcnt(0)
	v_mul_f32_e32 v7, v2, v6
	v_mul_f32_e32 v6, v8, v6
	v_fma_f32 v7, v8, v5, -v7
	v_fmac_f32_e32 v6, v2, v5
	buffer_store_dword v7, off, s[0:3], 0 offset:272
	buffer_store_dword v6, off, s[0:3], 0 offset:276
.LBB120_151:
	s_or_b32 exec_lo, exec_lo, s4
	s_waitcnt_vscnt null, 0x0
	s_barrier
	buffer_gl0_inv
	s_clause 0x1
	buffer_load_dword v5, off, s[0:3], 0 offset:280
	buffer_load_dword v6, off, s[0:3], 0 offset:284
	s_mov_b32 s4, exec_lo
	s_waitcnt vmcnt(0)
	ds_write_b64 v4, v[5:6]
	s_waitcnt lgkmcnt(0)
	s_barrier
	buffer_gl0_inv
	v_cmpx_gt_u32_e32 35, v0
	s_cbranch_execz .LBB120_155
; %bb.152:
	v_add_nc_u32_e32 v5, -1, v0
	v_add_nc_u32_e32 v6, 0x1d0, v3
	v_mov_b32_e32 v7, v3
	v_mov_b32_e32 v2, 0
	;; [unrolled: 1-line block ×3, first 2 shown]
	s_mov_b32 s5, 0
	.p2align	6
.LBB120_153:                            ; =>This Inner Loop Header: Depth=1
	s_clause 0x1
	buffer_load_dword v11, v7, s[0:3], 0 offen offset:4
	buffer_load_dword v12, v7, s[0:3], 0 offen
	ds_read_b64 v[9:10], v6
	v_add_nc_u32_e32 v5, 1, v5
	v_add_nc_u32_e32 v6, 8, v6
	;; [unrolled: 1-line block ×3, first 2 shown]
	v_cmp_lt_u32_e32 vcc_lo, 33, v5
	s_or_b32 s5, vcc_lo, s5
	s_waitcnt vmcnt(1) lgkmcnt(0)
	v_mul_f32_e32 v127, v10, v11
	v_mul_f32_e32 v11, v9, v11
	s_waitcnt vmcnt(0)
	v_fma_f32 v9, v9, v12, -v127
	v_fmac_f32_e32 v11, v10, v12
	v_add_f32_e32 v8, v8, v9
	v_add_f32_e32 v2, v2, v11
	s_andn2_b32 exec_lo, exec_lo, s5
	s_cbranch_execnz .LBB120_153
; %bb.154:
	s_or_b32 exec_lo, exec_lo, s5
	v_mov_b32_e32 v5, 0
	ds_read_b64 v[5:6], v5 offset:280
	s_waitcnt lgkmcnt(0)
	v_mul_f32_e32 v7, v2, v6
	v_mul_f32_e32 v6, v8, v6
	v_fma_f32 v7, v8, v5, -v7
	v_fmac_f32_e32 v6, v2, v5
	buffer_store_dword v7, off, s[0:3], 0 offset:280
	buffer_store_dword v6, off, s[0:3], 0 offset:284
.LBB120_155:
	s_or_b32 exec_lo, exec_lo, s4
	s_waitcnt_vscnt null, 0x0
	s_barrier
	buffer_gl0_inv
	s_clause 0x1
	buffer_load_dword v5, off, s[0:3], 0 offset:288
	buffer_load_dword v6, off, s[0:3], 0 offset:292
	s_mov_b32 s4, exec_lo
	s_waitcnt vmcnt(0)
	ds_write_b64 v4, v[5:6]
	s_waitcnt lgkmcnt(0)
	s_barrier
	buffer_gl0_inv
	v_cmpx_gt_u32_e32 36, v0
	s_cbranch_execz .LBB120_159
; %bb.156:
	v_add_nc_u32_e32 v5, -1, v0
	v_add_nc_u32_e32 v6, 0x1d0, v3
	v_mov_b32_e32 v7, v3
	v_mov_b32_e32 v2, 0
	;; [unrolled: 1-line block ×3, first 2 shown]
	s_mov_b32 s5, 0
	.p2align	6
.LBB120_157:                            ; =>This Inner Loop Header: Depth=1
	s_clause 0x1
	buffer_load_dword v11, v7, s[0:3], 0 offen offset:4
	buffer_load_dword v12, v7, s[0:3], 0 offen
	ds_read_b64 v[9:10], v6
	v_add_nc_u32_e32 v5, 1, v5
	v_add_nc_u32_e32 v6, 8, v6
	v_add_nc_u32_e32 v7, 8, v7
	v_cmp_lt_u32_e32 vcc_lo, 34, v5
	s_or_b32 s5, vcc_lo, s5
	s_waitcnt vmcnt(1) lgkmcnt(0)
	v_mul_f32_e32 v127, v10, v11
	v_mul_f32_e32 v11, v9, v11
	s_waitcnt vmcnt(0)
	v_fma_f32 v9, v9, v12, -v127
	v_fmac_f32_e32 v11, v10, v12
	v_add_f32_e32 v8, v8, v9
	v_add_f32_e32 v2, v2, v11
	s_andn2_b32 exec_lo, exec_lo, s5
	s_cbranch_execnz .LBB120_157
; %bb.158:
	s_or_b32 exec_lo, exec_lo, s5
	v_mov_b32_e32 v5, 0
	ds_read_b64 v[5:6], v5 offset:288
	s_waitcnt lgkmcnt(0)
	v_mul_f32_e32 v7, v2, v6
	v_mul_f32_e32 v6, v8, v6
	v_fma_f32 v7, v8, v5, -v7
	v_fmac_f32_e32 v6, v2, v5
	buffer_store_dword v7, off, s[0:3], 0 offset:288
	buffer_store_dword v6, off, s[0:3], 0 offset:292
.LBB120_159:
	s_or_b32 exec_lo, exec_lo, s4
	s_waitcnt_vscnt null, 0x0
	s_barrier
	buffer_gl0_inv
	s_clause 0x1
	buffer_load_dword v5, off, s[0:3], 0 offset:296
	buffer_load_dword v6, off, s[0:3], 0 offset:300
	s_mov_b32 s4, exec_lo
	s_waitcnt vmcnt(0)
	ds_write_b64 v4, v[5:6]
	s_waitcnt lgkmcnt(0)
	s_barrier
	buffer_gl0_inv
	v_cmpx_gt_u32_e32 37, v0
	s_cbranch_execz .LBB120_163
; %bb.160:
	v_add_nc_u32_e32 v5, -1, v0
	v_add_nc_u32_e32 v6, 0x1d0, v3
	v_mov_b32_e32 v7, v3
	v_mov_b32_e32 v2, 0
	;; [unrolled: 1-line block ×3, first 2 shown]
	s_mov_b32 s5, 0
	.p2align	6
.LBB120_161:                            ; =>This Inner Loop Header: Depth=1
	s_clause 0x1
	buffer_load_dword v11, v7, s[0:3], 0 offen offset:4
	buffer_load_dword v12, v7, s[0:3], 0 offen
	ds_read_b64 v[9:10], v6
	v_add_nc_u32_e32 v5, 1, v5
	v_add_nc_u32_e32 v6, 8, v6
	;; [unrolled: 1-line block ×3, first 2 shown]
	v_cmp_lt_u32_e32 vcc_lo, 35, v5
	s_or_b32 s5, vcc_lo, s5
	s_waitcnt vmcnt(1) lgkmcnt(0)
	v_mul_f32_e32 v127, v10, v11
	v_mul_f32_e32 v11, v9, v11
	s_waitcnt vmcnt(0)
	v_fma_f32 v9, v9, v12, -v127
	v_fmac_f32_e32 v11, v10, v12
	v_add_f32_e32 v8, v8, v9
	v_add_f32_e32 v2, v2, v11
	s_andn2_b32 exec_lo, exec_lo, s5
	s_cbranch_execnz .LBB120_161
; %bb.162:
	s_or_b32 exec_lo, exec_lo, s5
	v_mov_b32_e32 v5, 0
	ds_read_b64 v[5:6], v5 offset:296
	s_waitcnt lgkmcnt(0)
	v_mul_f32_e32 v7, v2, v6
	v_mul_f32_e32 v6, v8, v6
	v_fma_f32 v7, v8, v5, -v7
	v_fmac_f32_e32 v6, v2, v5
	buffer_store_dword v7, off, s[0:3], 0 offset:296
	buffer_store_dword v6, off, s[0:3], 0 offset:300
.LBB120_163:
	s_or_b32 exec_lo, exec_lo, s4
	s_waitcnt_vscnt null, 0x0
	s_barrier
	buffer_gl0_inv
	s_clause 0x1
	buffer_load_dword v5, off, s[0:3], 0 offset:304
	buffer_load_dword v6, off, s[0:3], 0 offset:308
	s_mov_b32 s4, exec_lo
	s_waitcnt vmcnt(0)
	ds_write_b64 v4, v[5:6]
	s_waitcnt lgkmcnt(0)
	s_barrier
	buffer_gl0_inv
	v_cmpx_gt_u32_e32 38, v0
	s_cbranch_execz .LBB120_167
; %bb.164:
	v_add_nc_u32_e32 v5, -1, v0
	v_add_nc_u32_e32 v6, 0x1d0, v3
	v_mov_b32_e32 v7, v3
	v_mov_b32_e32 v2, 0
	v_mov_b32_e32 v8, 0
	s_mov_b32 s5, 0
	.p2align	6
.LBB120_165:                            ; =>This Inner Loop Header: Depth=1
	s_clause 0x1
	buffer_load_dword v11, v7, s[0:3], 0 offen offset:4
	buffer_load_dword v12, v7, s[0:3], 0 offen
	ds_read_b64 v[9:10], v6
	v_add_nc_u32_e32 v5, 1, v5
	v_add_nc_u32_e32 v6, 8, v6
	;; [unrolled: 1-line block ×3, first 2 shown]
	v_cmp_lt_u32_e32 vcc_lo, 36, v5
	s_or_b32 s5, vcc_lo, s5
	s_waitcnt vmcnt(1) lgkmcnt(0)
	v_mul_f32_e32 v127, v10, v11
	v_mul_f32_e32 v11, v9, v11
	s_waitcnt vmcnt(0)
	v_fma_f32 v9, v9, v12, -v127
	v_fmac_f32_e32 v11, v10, v12
	v_add_f32_e32 v8, v8, v9
	v_add_f32_e32 v2, v2, v11
	s_andn2_b32 exec_lo, exec_lo, s5
	s_cbranch_execnz .LBB120_165
; %bb.166:
	s_or_b32 exec_lo, exec_lo, s5
	v_mov_b32_e32 v5, 0
	ds_read_b64 v[5:6], v5 offset:304
	s_waitcnt lgkmcnt(0)
	v_mul_f32_e32 v7, v2, v6
	v_mul_f32_e32 v6, v8, v6
	v_fma_f32 v7, v8, v5, -v7
	v_fmac_f32_e32 v6, v2, v5
	buffer_store_dword v7, off, s[0:3], 0 offset:304
	buffer_store_dword v6, off, s[0:3], 0 offset:308
.LBB120_167:
	s_or_b32 exec_lo, exec_lo, s4
	s_waitcnt_vscnt null, 0x0
	s_barrier
	buffer_gl0_inv
	s_clause 0x1
	buffer_load_dword v5, off, s[0:3], 0 offset:312
	buffer_load_dword v6, off, s[0:3], 0 offset:316
	s_mov_b32 s4, exec_lo
	s_waitcnt vmcnt(0)
	ds_write_b64 v4, v[5:6]
	s_waitcnt lgkmcnt(0)
	s_barrier
	buffer_gl0_inv
	v_cmpx_gt_u32_e32 39, v0
	s_cbranch_execz .LBB120_171
; %bb.168:
	v_add_nc_u32_e32 v5, -1, v0
	v_add_nc_u32_e32 v6, 0x1d0, v3
	v_mov_b32_e32 v7, v3
	v_mov_b32_e32 v2, 0
	v_mov_b32_e32 v8, 0
	s_mov_b32 s5, 0
	.p2align	6
.LBB120_169:                            ; =>This Inner Loop Header: Depth=1
	s_clause 0x1
	buffer_load_dword v11, v7, s[0:3], 0 offen offset:4
	buffer_load_dword v12, v7, s[0:3], 0 offen
	ds_read_b64 v[9:10], v6
	v_add_nc_u32_e32 v5, 1, v5
	v_add_nc_u32_e32 v6, 8, v6
	;; [unrolled: 1-line block ×3, first 2 shown]
	v_cmp_lt_u32_e32 vcc_lo, 37, v5
	s_or_b32 s5, vcc_lo, s5
	s_waitcnt vmcnt(1) lgkmcnt(0)
	v_mul_f32_e32 v127, v10, v11
	v_mul_f32_e32 v11, v9, v11
	s_waitcnt vmcnt(0)
	v_fma_f32 v9, v9, v12, -v127
	v_fmac_f32_e32 v11, v10, v12
	v_add_f32_e32 v8, v8, v9
	v_add_f32_e32 v2, v2, v11
	s_andn2_b32 exec_lo, exec_lo, s5
	s_cbranch_execnz .LBB120_169
; %bb.170:
	s_or_b32 exec_lo, exec_lo, s5
	v_mov_b32_e32 v5, 0
	ds_read_b64 v[5:6], v5 offset:312
	s_waitcnt lgkmcnt(0)
	v_mul_f32_e32 v7, v2, v6
	v_mul_f32_e32 v6, v8, v6
	v_fma_f32 v7, v8, v5, -v7
	v_fmac_f32_e32 v6, v2, v5
	buffer_store_dword v7, off, s[0:3], 0 offset:312
	buffer_store_dword v6, off, s[0:3], 0 offset:316
.LBB120_171:
	s_or_b32 exec_lo, exec_lo, s4
	s_waitcnt_vscnt null, 0x0
	s_barrier
	buffer_gl0_inv
	s_clause 0x1
	buffer_load_dword v5, off, s[0:3], 0 offset:320
	buffer_load_dword v6, off, s[0:3], 0 offset:324
	s_mov_b32 s4, exec_lo
	s_waitcnt vmcnt(0)
	ds_write_b64 v4, v[5:6]
	s_waitcnt lgkmcnt(0)
	s_barrier
	buffer_gl0_inv
	v_cmpx_gt_u32_e32 40, v0
	s_cbranch_execz .LBB120_175
; %bb.172:
	v_add_nc_u32_e32 v5, -1, v0
	v_add_nc_u32_e32 v6, 0x1d0, v3
	v_mov_b32_e32 v7, v3
	v_mov_b32_e32 v2, 0
	;; [unrolled: 1-line block ×3, first 2 shown]
	s_mov_b32 s5, 0
	.p2align	6
.LBB120_173:                            ; =>This Inner Loop Header: Depth=1
	s_clause 0x1
	buffer_load_dword v11, v7, s[0:3], 0 offen offset:4
	buffer_load_dword v12, v7, s[0:3], 0 offen
	ds_read_b64 v[9:10], v6
	v_add_nc_u32_e32 v5, 1, v5
	v_add_nc_u32_e32 v6, 8, v6
	;; [unrolled: 1-line block ×3, first 2 shown]
	v_cmp_lt_u32_e32 vcc_lo, 38, v5
	s_or_b32 s5, vcc_lo, s5
	s_waitcnt vmcnt(1) lgkmcnt(0)
	v_mul_f32_e32 v127, v10, v11
	v_mul_f32_e32 v11, v9, v11
	s_waitcnt vmcnt(0)
	v_fma_f32 v9, v9, v12, -v127
	v_fmac_f32_e32 v11, v10, v12
	v_add_f32_e32 v8, v8, v9
	v_add_f32_e32 v2, v2, v11
	s_andn2_b32 exec_lo, exec_lo, s5
	s_cbranch_execnz .LBB120_173
; %bb.174:
	s_or_b32 exec_lo, exec_lo, s5
	v_mov_b32_e32 v5, 0
	ds_read_b64 v[5:6], v5 offset:320
	s_waitcnt lgkmcnt(0)
	v_mul_f32_e32 v7, v2, v6
	v_mul_f32_e32 v6, v8, v6
	v_fma_f32 v7, v8, v5, -v7
	v_fmac_f32_e32 v6, v2, v5
	buffer_store_dword v7, off, s[0:3], 0 offset:320
	buffer_store_dword v6, off, s[0:3], 0 offset:324
.LBB120_175:
	s_or_b32 exec_lo, exec_lo, s4
	s_waitcnt_vscnt null, 0x0
	s_barrier
	buffer_gl0_inv
	s_clause 0x1
	buffer_load_dword v5, off, s[0:3], 0 offset:328
	buffer_load_dword v6, off, s[0:3], 0 offset:332
	s_mov_b32 s4, exec_lo
	s_waitcnt vmcnt(0)
	ds_write_b64 v4, v[5:6]
	s_waitcnt lgkmcnt(0)
	s_barrier
	buffer_gl0_inv
	v_cmpx_gt_u32_e32 41, v0
	s_cbranch_execz .LBB120_179
; %bb.176:
	v_add_nc_u32_e32 v5, -1, v0
	v_add_nc_u32_e32 v6, 0x1d0, v3
	v_mov_b32_e32 v7, v3
	v_mov_b32_e32 v2, 0
	;; [unrolled: 1-line block ×3, first 2 shown]
	s_mov_b32 s5, 0
	.p2align	6
.LBB120_177:                            ; =>This Inner Loop Header: Depth=1
	s_clause 0x1
	buffer_load_dword v11, v7, s[0:3], 0 offen offset:4
	buffer_load_dword v12, v7, s[0:3], 0 offen
	ds_read_b64 v[9:10], v6
	v_add_nc_u32_e32 v5, 1, v5
	v_add_nc_u32_e32 v6, 8, v6
	;; [unrolled: 1-line block ×3, first 2 shown]
	v_cmp_lt_u32_e32 vcc_lo, 39, v5
	s_or_b32 s5, vcc_lo, s5
	s_waitcnt vmcnt(1) lgkmcnt(0)
	v_mul_f32_e32 v127, v10, v11
	v_mul_f32_e32 v11, v9, v11
	s_waitcnt vmcnt(0)
	v_fma_f32 v9, v9, v12, -v127
	v_fmac_f32_e32 v11, v10, v12
	v_add_f32_e32 v8, v8, v9
	v_add_f32_e32 v2, v2, v11
	s_andn2_b32 exec_lo, exec_lo, s5
	s_cbranch_execnz .LBB120_177
; %bb.178:
	s_or_b32 exec_lo, exec_lo, s5
	v_mov_b32_e32 v5, 0
	ds_read_b64 v[5:6], v5 offset:328
	s_waitcnt lgkmcnt(0)
	v_mul_f32_e32 v7, v2, v6
	v_mul_f32_e32 v6, v8, v6
	v_fma_f32 v7, v8, v5, -v7
	v_fmac_f32_e32 v6, v2, v5
	buffer_store_dword v7, off, s[0:3], 0 offset:328
	buffer_store_dword v6, off, s[0:3], 0 offset:332
.LBB120_179:
	s_or_b32 exec_lo, exec_lo, s4
	s_waitcnt_vscnt null, 0x0
	s_barrier
	buffer_gl0_inv
	s_clause 0x1
	buffer_load_dword v5, off, s[0:3], 0 offset:336
	buffer_load_dword v6, off, s[0:3], 0 offset:340
	s_mov_b32 s4, exec_lo
	s_waitcnt vmcnt(0)
	ds_write_b64 v4, v[5:6]
	s_waitcnt lgkmcnt(0)
	s_barrier
	buffer_gl0_inv
	v_cmpx_gt_u32_e32 42, v0
	s_cbranch_execz .LBB120_183
; %bb.180:
	v_add_nc_u32_e32 v5, -1, v0
	v_add_nc_u32_e32 v6, 0x1d0, v3
	v_mov_b32_e32 v7, v3
	v_mov_b32_e32 v2, 0
	;; [unrolled: 1-line block ×3, first 2 shown]
	s_mov_b32 s5, 0
	.p2align	6
.LBB120_181:                            ; =>This Inner Loop Header: Depth=1
	s_clause 0x1
	buffer_load_dword v11, v7, s[0:3], 0 offen offset:4
	buffer_load_dword v12, v7, s[0:3], 0 offen
	ds_read_b64 v[9:10], v6
	v_add_nc_u32_e32 v5, 1, v5
	v_add_nc_u32_e32 v6, 8, v6
	;; [unrolled: 1-line block ×3, first 2 shown]
	v_cmp_lt_u32_e32 vcc_lo, 40, v5
	s_or_b32 s5, vcc_lo, s5
	s_waitcnt vmcnt(1) lgkmcnt(0)
	v_mul_f32_e32 v127, v10, v11
	v_mul_f32_e32 v11, v9, v11
	s_waitcnt vmcnt(0)
	v_fma_f32 v9, v9, v12, -v127
	v_fmac_f32_e32 v11, v10, v12
	v_add_f32_e32 v8, v8, v9
	v_add_f32_e32 v2, v2, v11
	s_andn2_b32 exec_lo, exec_lo, s5
	s_cbranch_execnz .LBB120_181
; %bb.182:
	s_or_b32 exec_lo, exec_lo, s5
	v_mov_b32_e32 v5, 0
	ds_read_b64 v[5:6], v5 offset:336
	s_waitcnt lgkmcnt(0)
	v_mul_f32_e32 v7, v2, v6
	v_mul_f32_e32 v6, v8, v6
	v_fma_f32 v7, v8, v5, -v7
	v_fmac_f32_e32 v6, v2, v5
	buffer_store_dword v7, off, s[0:3], 0 offset:336
	buffer_store_dword v6, off, s[0:3], 0 offset:340
.LBB120_183:
	s_or_b32 exec_lo, exec_lo, s4
	s_waitcnt_vscnt null, 0x0
	s_barrier
	buffer_gl0_inv
	s_clause 0x1
	buffer_load_dword v5, off, s[0:3], 0 offset:344
	buffer_load_dword v6, off, s[0:3], 0 offset:348
	s_mov_b32 s4, exec_lo
	s_waitcnt vmcnt(0)
	ds_write_b64 v4, v[5:6]
	s_waitcnt lgkmcnt(0)
	s_barrier
	buffer_gl0_inv
	v_cmpx_gt_u32_e32 43, v0
	s_cbranch_execz .LBB120_187
; %bb.184:
	v_add_nc_u32_e32 v5, -1, v0
	v_add_nc_u32_e32 v6, 0x1d0, v3
	v_mov_b32_e32 v7, v3
	v_mov_b32_e32 v2, 0
	;; [unrolled: 1-line block ×3, first 2 shown]
	s_mov_b32 s5, 0
	.p2align	6
.LBB120_185:                            ; =>This Inner Loop Header: Depth=1
	s_clause 0x1
	buffer_load_dword v11, v7, s[0:3], 0 offen offset:4
	buffer_load_dword v12, v7, s[0:3], 0 offen
	ds_read_b64 v[9:10], v6
	v_add_nc_u32_e32 v5, 1, v5
	v_add_nc_u32_e32 v6, 8, v6
	;; [unrolled: 1-line block ×3, first 2 shown]
	v_cmp_lt_u32_e32 vcc_lo, 41, v5
	s_or_b32 s5, vcc_lo, s5
	s_waitcnt vmcnt(1) lgkmcnt(0)
	v_mul_f32_e32 v127, v10, v11
	v_mul_f32_e32 v11, v9, v11
	s_waitcnt vmcnt(0)
	v_fma_f32 v9, v9, v12, -v127
	v_fmac_f32_e32 v11, v10, v12
	v_add_f32_e32 v8, v8, v9
	v_add_f32_e32 v2, v2, v11
	s_andn2_b32 exec_lo, exec_lo, s5
	s_cbranch_execnz .LBB120_185
; %bb.186:
	s_or_b32 exec_lo, exec_lo, s5
	v_mov_b32_e32 v5, 0
	ds_read_b64 v[5:6], v5 offset:344
	s_waitcnt lgkmcnt(0)
	v_mul_f32_e32 v7, v2, v6
	v_mul_f32_e32 v6, v8, v6
	v_fma_f32 v7, v8, v5, -v7
	v_fmac_f32_e32 v6, v2, v5
	buffer_store_dword v7, off, s[0:3], 0 offset:344
	buffer_store_dword v6, off, s[0:3], 0 offset:348
.LBB120_187:
	s_or_b32 exec_lo, exec_lo, s4
	s_waitcnt_vscnt null, 0x0
	s_barrier
	buffer_gl0_inv
	s_clause 0x1
	buffer_load_dword v5, off, s[0:3], 0 offset:352
	buffer_load_dword v6, off, s[0:3], 0 offset:356
	s_mov_b32 s4, exec_lo
	s_waitcnt vmcnt(0)
	ds_write_b64 v4, v[5:6]
	s_waitcnt lgkmcnt(0)
	s_barrier
	buffer_gl0_inv
	v_cmpx_gt_u32_e32 44, v0
	s_cbranch_execz .LBB120_191
; %bb.188:
	v_add_nc_u32_e32 v5, -1, v0
	v_add_nc_u32_e32 v6, 0x1d0, v3
	v_mov_b32_e32 v7, v3
	v_mov_b32_e32 v2, 0
	;; [unrolled: 1-line block ×3, first 2 shown]
	s_mov_b32 s5, 0
	.p2align	6
.LBB120_189:                            ; =>This Inner Loop Header: Depth=1
	s_clause 0x1
	buffer_load_dword v11, v7, s[0:3], 0 offen offset:4
	buffer_load_dword v12, v7, s[0:3], 0 offen
	ds_read_b64 v[9:10], v6
	v_add_nc_u32_e32 v5, 1, v5
	v_add_nc_u32_e32 v6, 8, v6
	;; [unrolled: 1-line block ×3, first 2 shown]
	v_cmp_lt_u32_e32 vcc_lo, 42, v5
	s_or_b32 s5, vcc_lo, s5
	s_waitcnt vmcnt(1) lgkmcnt(0)
	v_mul_f32_e32 v127, v10, v11
	v_mul_f32_e32 v11, v9, v11
	s_waitcnt vmcnt(0)
	v_fma_f32 v9, v9, v12, -v127
	v_fmac_f32_e32 v11, v10, v12
	v_add_f32_e32 v8, v8, v9
	v_add_f32_e32 v2, v2, v11
	s_andn2_b32 exec_lo, exec_lo, s5
	s_cbranch_execnz .LBB120_189
; %bb.190:
	s_or_b32 exec_lo, exec_lo, s5
	v_mov_b32_e32 v5, 0
	ds_read_b64 v[5:6], v5 offset:352
	s_waitcnt lgkmcnt(0)
	v_mul_f32_e32 v7, v2, v6
	v_mul_f32_e32 v6, v8, v6
	v_fma_f32 v7, v8, v5, -v7
	v_fmac_f32_e32 v6, v2, v5
	buffer_store_dword v7, off, s[0:3], 0 offset:352
	buffer_store_dword v6, off, s[0:3], 0 offset:356
.LBB120_191:
	s_or_b32 exec_lo, exec_lo, s4
	s_waitcnt_vscnt null, 0x0
	s_barrier
	buffer_gl0_inv
	s_clause 0x1
	buffer_load_dword v5, off, s[0:3], 0 offset:360
	buffer_load_dword v6, off, s[0:3], 0 offset:364
	s_mov_b32 s4, exec_lo
	s_waitcnt vmcnt(0)
	ds_write_b64 v4, v[5:6]
	s_waitcnt lgkmcnt(0)
	s_barrier
	buffer_gl0_inv
	v_cmpx_gt_u32_e32 45, v0
	s_cbranch_execz .LBB120_195
; %bb.192:
	v_add_nc_u32_e32 v5, -1, v0
	v_add_nc_u32_e32 v6, 0x1d0, v3
	v_mov_b32_e32 v7, v3
	v_mov_b32_e32 v2, 0
	;; [unrolled: 1-line block ×3, first 2 shown]
	s_mov_b32 s5, 0
	.p2align	6
.LBB120_193:                            ; =>This Inner Loop Header: Depth=1
	s_clause 0x1
	buffer_load_dword v11, v7, s[0:3], 0 offen offset:4
	buffer_load_dword v12, v7, s[0:3], 0 offen
	ds_read_b64 v[9:10], v6
	v_add_nc_u32_e32 v5, 1, v5
	v_add_nc_u32_e32 v6, 8, v6
	;; [unrolled: 1-line block ×3, first 2 shown]
	v_cmp_lt_u32_e32 vcc_lo, 43, v5
	s_or_b32 s5, vcc_lo, s5
	s_waitcnt vmcnt(1) lgkmcnt(0)
	v_mul_f32_e32 v127, v10, v11
	v_mul_f32_e32 v11, v9, v11
	s_waitcnt vmcnt(0)
	v_fma_f32 v9, v9, v12, -v127
	v_fmac_f32_e32 v11, v10, v12
	v_add_f32_e32 v8, v8, v9
	v_add_f32_e32 v2, v2, v11
	s_andn2_b32 exec_lo, exec_lo, s5
	s_cbranch_execnz .LBB120_193
; %bb.194:
	s_or_b32 exec_lo, exec_lo, s5
	v_mov_b32_e32 v5, 0
	ds_read_b64 v[5:6], v5 offset:360
	s_waitcnt lgkmcnt(0)
	v_mul_f32_e32 v7, v2, v6
	v_mul_f32_e32 v6, v8, v6
	v_fma_f32 v7, v8, v5, -v7
	v_fmac_f32_e32 v6, v2, v5
	buffer_store_dword v7, off, s[0:3], 0 offset:360
	buffer_store_dword v6, off, s[0:3], 0 offset:364
.LBB120_195:
	s_or_b32 exec_lo, exec_lo, s4
	s_waitcnt_vscnt null, 0x0
	s_barrier
	buffer_gl0_inv
	s_clause 0x1
	buffer_load_dword v5, off, s[0:3], 0 offset:368
	buffer_load_dword v6, off, s[0:3], 0 offset:372
	s_mov_b32 s4, exec_lo
	s_waitcnt vmcnt(0)
	ds_write_b64 v4, v[5:6]
	s_waitcnt lgkmcnt(0)
	s_barrier
	buffer_gl0_inv
	v_cmpx_gt_u32_e32 46, v0
	s_cbranch_execz .LBB120_199
; %bb.196:
	v_add_nc_u32_e32 v5, -1, v0
	v_add_nc_u32_e32 v6, 0x1d0, v3
	v_mov_b32_e32 v7, v3
	v_mov_b32_e32 v2, 0
	;; [unrolled: 1-line block ×3, first 2 shown]
	s_mov_b32 s5, 0
	.p2align	6
.LBB120_197:                            ; =>This Inner Loop Header: Depth=1
	s_clause 0x1
	buffer_load_dword v11, v7, s[0:3], 0 offen offset:4
	buffer_load_dword v12, v7, s[0:3], 0 offen
	ds_read_b64 v[9:10], v6
	v_add_nc_u32_e32 v5, 1, v5
	v_add_nc_u32_e32 v6, 8, v6
	;; [unrolled: 1-line block ×3, first 2 shown]
	v_cmp_lt_u32_e32 vcc_lo, 44, v5
	s_or_b32 s5, vcc_lo, s5
	s_waitcnt vmcnt(1) lgkmcnt(0)
	v_mul_f32_e32 v127, v10, v11
	v_mul_f32_e32 v11, v9, v11
	s_waitcnt vmcnt(0)
	v_fma_f32 v9, v9, v12, -v127
	v_fmac_f32_e32 v11, v10, v12
	v_add_f32_e32 v8, v8, v9
	v_add_f32_e32 v2, v2, v11
	s_andn2_b32 exec_lo, exec_lo, s5
	s_cbranch_execnz .LBB120_197
; %bb.198:
	s_or_b32 exec_lo, exec_lo, s5
	v_mov_b32_e32 v5, 0
	ds_read_b64 v[5:6], v5 offset:368
	s_waitcnt lgkmcnt(0)
	v_mul_f32_e32 v7, v2, v6
	v_mul_f32_e32 v6, v8, v6
	v_fma_f32 v7, v8, v5, -v7
	v_fmac_f32_e32 v6, v2, v5
	buffer_store_dword v7, off, s[0:3], 0 offset:368
	buffer_store_dword v6, off, s[0:3], 0 offset:372
.LBB120_199:
	s_or_b32 exec_lo, exec_lo, s4
	s_waitcnt_vscnt null, 0x0
	s_barrier
	buffer_gl0_inv
	s_clause 0x1
	buffer_load_dword v5, off, s[0:3], 0 offset:376
	buffer_load_dword v6, off, s[0:3], 0 offset:380
	s_mov_b32 s4, exec_lo
	s_waitcnt vmcnt(0)
	ds_write_b64 v4, v[5:6]
	s_waitcnt lgkmcnt(0)
	s_barrier
	buffer_gl0_inv
	v_cmpx_gt_u32_e32 47, v0
	s_cbranch_execz .LBB120_203
; %bb.200:
	v_add_nc_u32_e32 v5, -1, v0
	v_add_nc_u32_e32 v6, 0x1d0, v3
	v_mov_b32_e32 v7, v3
	v_mov_b32_e32 v2, 0
	;; [unrolled: 1-line block ×3, first 2 shown]
	s_mov_b32 s5, 0
	.p2align	6
.LBB120_201:                            ; =>This Inner Loop Header: Depth=1
	s_clause 0x1
	buffer_load_dword v11, v7, s[0:3], 0 offen offset:4
	buffer_load_dword v12, v7, s[0:3], 0 offen
	ds_read_b64 v[9:10], v6
	v_add_nc_u32_e32 v5, 1, v5
	v_add_nc_u32_e32 v6, 8, v6
	;; [unrolled: 1-line block ×3, first 2 shown]
	v_cmp_lt_u32_e32 vcc_lo, 45, v5
	s_or_b32 s5, vcc_lo, s5
	s_waitcnt vmcnt(1) lgkmcnt(0)
	v_mul_f32_e32 v127, v10, v11
	v_mul_f32_e32 v11, v9, v11
	s_waitcnt vmcnt(0)
	v_fma_f32 v9, v9, v12, -v127
	v_fmac_f32_e32 v11, v10, v12
	v_add_f32_e32 v8, v8, v9
	v_add_f32_e32 v2, v2, v11
	s_andn2_b32 exec_lo, exec_lo, s5
	s_cbranch_execnz .LBB120_201
; %bb.202:
	s_or_b32 exec_lo, exec_lo, s5
	v_mov_b32_e32 v5, 0
	ds_read_b64 v[5:6], v5 offset:376
	s_waitcnt lgkmcnt(0)
	v_mul_f32_e32 v7, v2, v6
	v_mul_f32_e32 v6, v8, v6
	v_fma_f32 v7, v8, v5, -v7
	v_fmac_f32_e32 v6, v2, v5
	buffer_store_dword v7, off, s[0:3], 0 offset:376
	buffer_store_dword v6, off, s[0:3], 0 offset:380
.LBB120_203:
	s_or_b32 exec_lo, exec_lo, s4
	s_waitcnt_vscnt null, 0x0
	s_barrier
	buffer_gl0_inv
	s_clause 0x1
	buffer_load_dword v5, off, s[0:3], 0 offset:384
	buffer_load_dword v6, off, s[0:3], 0 offset:388
	s_mov_b32 s4, exec_lo
	s_waitcnt vmcnt(0)
	ds_write_b64 v4, v[5:6]
	s_waitcnt lgkmcnt(0)
	s_barrier
	buffer_gl0_inv
	v_cmpx_gt_u32_e32 48, v0
	s_cbranch_execz .LBB120_207
; %bb.204:
	v_add_nc_u32_e32 v5, -1, v0
	v_add_nc_u32_e32 v6, 0x1d0, v3
	v_mov_b32_e32 v7, v3
	v_mov_b32_e32 v2, 0
	;; [unrolled: 1-line block ×3, first 2 shown]
	s_mov_b32 s5, 0
	.p2align	6
.LBB120_205:                            ; =>This Inner Loop Header: Depth=1
	s_clause 0x1
	buffer_load_dword v11, v7, s[0:3], 0 offen offset:4
	buffer_load_dword v12, v7, s[0:3], 0 offen
	ds_read_b64 v[9:10], v6
	v_add_nc_u32_e32 v5, 1, v5
	v_add_nc_u32_e32 v6, 8, v6
	;; [unrolled: 1-line block ×3, first 2 shown]
	v_cmp_lt_u32_e32 vcc_lo, 46, v5
	s_or_b32 s5, vcc_lo, s5
	s_waitcnt vmcnt(1) lgkmcnt(0)
	v_mul_f32_e32 v127, v10, v11
	v_mul_f32_e32 v11, v9, v11
	s_waitcnt vmcnt(0)
	v_fma_f32 v9, v9, v12, -v127
	v_fmac_f32_e32 v11, v10, v12
	v_add_f32_e32 v8, v8, v9
	v_add_f32_e32 v2, v2, v11
	s_andn2_b32 exec_lo, exec_lo, s5
	s_cbranch_execnz .LBB120_205
; %bb.206:
	s_or_b32 exec_lo, exec_lo, s5
	v_mov_b32_e32 v5, 0
	ds_read_b64 v[5:6], v5 offset:384
	s_waitcnt lgkmcnt(0)
	v_mul_f32_e32 v7, v2, v6
	v_mul_f32_e32 v6, v8, v6
	v_fma_f32 v7, v8, v5, -v7
	v_fmac_f32_e32 v6, v2, v5
	buffer_store_dword v7, off, s[0:3], 0 offset:384
	buffer_store_dword v6, off, s[0:3], 0 offset:388
.LBB120_207:
	s_or_b32 exec_lo, exec_lo, s4
	s_waitcnt_vscnt null, 0x0
	s_barrier
	buffer_gl0_inv
	s_clause 0x1
	buffer_load_dword v5, off, s[0:3], 0 offset:392
	buffer_load_dword v6, off, s[0:3], 0 offset:396
	s_mov_b32 s4, exec_lo
	s_waitcnt vmcnt(0)
	ds_write_b64 v4, v[5:6]
	s_waitcnt lgkmcnt(0)
	s_barrier
	buffer_gl0_inv
	v_cmpx_gt_u32_e32 49, v0
	s_cbranch_execz .LBB120_211
; %bb.208:
	v_add_nc_u32_e32 v5, -1, v0
	v_add_nc_u32_e32 v6, 0x1d0, v3
	v_mov_b32_e32 v7, v3
	v_mov_b32_e32 v2, 0
	;; [unrolled: 1-line block ×3, first 2 shown]
	s_mov_b32 s5, 0
	.p2align	6
.LBB120_209:                            ; =>This Inner Loop Header: Depth=1
	s_clause 0x1
	buffer_load_dword v11, v7, s[0:3], 0 offen offset:4
	buffer_load_dword v12, v7, s[0:3], 0 offen
	ds_read_b64 v[9:10], v6
	v_add_nc_u32_e32 v5, 1, v5
	v_add_nc_u32_e32 v6, 8, v6
	;; [unrolled: 1-line block ×3, first 2 shown]
	v_cmp_lt_u32_e32 vcc_lo, 47, v5
	s_or_b32 s5, vcc_lo, s5
	s_waitcnt vmcnt(1) lgkmcnt(0)
	v_mul_f32_e32 v127, v10, v11
	v_mul_f32_e32 v11, v9, v11
	s_waitcnt vmcnt(0)
	v_fma_f32 v9, v9, v12, -v127
	v_fmac_f32_e32 v11, v10, v12
	v_add_f32_e32 v8, v8, v9
	v_add_f32_e32 v2, v2, v11
	s_andn2_b32 exec_lo, exec_lo, s5
	s_cbranch_execnz .LBB120_209
; %bb.210:
	s_or_b32 exec_lo, exec_lo, s5
	v_mov_b32_e32 v5, 0
	ds_read_b64 v[5:6], v5 offset:392
	s_waitcnt lgkmcnt(0)
	v_mul_f32_e32 v7, v2, v6
	v_mul_f32_e32 v6, v8, v6
	v_fma_f32 v7, v8, v5, -v7
	v_fmac_f32_e32 v6, v2, v5
	buffer_store_dword v7, off, s[0:3], 0 offset:392
	buffer_store_dword v6, off, s[0:3], 0 offset:396
.LBB120_211:
	s_or_b32 exec_lo, exec_lo, s4
	s_waitcnt_vscnt null, 0x0
	s_barrier
	buffer_gl0_inv
	s_clause 0x1
	buffer_load_dword v5, off, s[0:3], 0 offset:400
	buffer_load_dword v6, off, s[0:3], 0 offset:404
	s_mov_b32 s4, exec_lo
	s_waitcnt vmcnt(0)
	ds_write_b64 v4, v[5:6]
	s_waitcnt lgkmcnt(0)
	s_barrier
	buffer_gl0_inv
	v_cmpx_gt_u32_e32 50, v0
	s_cbranch_execz .LBB120_215
; %bb.212:
	v_add_nc_u32_e32 v5, -1, v0
	v_add_nc_u32_e32 v6, 0x1d0, v3
	v_mov_b32_e32 v7, v3
	v_mov_b32_e32 v2, 0
	;; [unrolled: 1-line block ×3, first 2 shown]
	s_mov_b32 s5, 0
	.p2align	6
.LBB120_213:                            ; =>This Inner Loop Header: Depth=1
	s_clause 0x1
	buffer_load_dword v11, v7, s[0:3], 0 offen offset:4
	buffer_load_dword v12, v7, s[0:3], 0 offen
	ds_read_b64 v[9:10], v6
	v_add_nc_u32_e32 v5, 1, v5
	v_add_nc_u32_e32 v6, 8, v6
	;; [unrolled: 1-line block ×3, first 2 shown]
	v_cmp_lt_u32_e32 vcc_lo, 48, v5
	s_or_b32 s5, vcc_lo, s5
	s_waitcnt vmcnt(1) lgkmcnt(0)
	v_mul_f32_e32 v127, v10, v11
	v_mul_f32_e32 v11, v9, v11
	s_waitcnt vmcnt(0)
	v_fma_f32 v9, v9, v12, -v127
	v_fmac_f32_e32 v11, v10, v12
	v_add_f32_e32 v8, v8, v9
	v_add_f32_e32 v2, v2, v11
	s_andn2_b32 exec_lo, exec_lo, s5
	s_cbranch_execnz .LBB120_213
; %bb.214:
	s_or_b32 exec_lo, exec_lo, s5
	v_mov_b32_e32 v5, 0
	ds_read_b64 v[5:6], v5 offset:400
	s_waitcnt lgkmcnt(0)
	v_mul_f32_e32 v7, v2, v6
	v_mul_f32_e32 v6, v8, v6
	v_fma_f32 v7, v8, v5, -v7
	v_fmac_f32_e32 v6, v2, v5
	buffer_store_dword v7, off, s[0:3], 0 offset:400
	buffer_store_dword v6, off, s[0:3], 0 offset:404
.LBB120_215:
	s_or_b32 exec_lo, exec_lo, s4
	s_waitcnt_vscnt null, 0x0
	s_barrier
	buffer_gl0_inv
	s_clause 0x1
	buffer_load_dword v5, off, s[0:3], 0 offset:408
	buffer_load_dword v6, off, s[0:3], 0 offset:412
	s_mov_b32 s4, exec_lo
	s_waitcnt vmcnt(0)
	ds_write_b64 v4, v[5:6]
	s_waitcnt lgkmcnt(0)
	s_barrier
	buffer_gl0_inv
	v_cmpx_gt_u32_e32 51, v0
	s_cbranch_execz .LBB120_219
; %bb.216:
	v_add_nc_u32_e32 v5, -1, v0
	v_add_nc_u32_e32 v6, 0x1d0, v3
	v_mov_b32_e32 v7, v3
	v_mov_b32_e32 v2, 0
	;; [unrolled: 1-line block ×3, first 2 shown]
	s_mov_b32 s5, 0
	.p2align	6
.LBB120_217:                            ; =>This Inner Loop Header: Depth=1
	s_clause 0x1
	buffer_load_dword v11, v7, s[0:3], 0 offen offset:4
	buffer_load_dword v12, v7, s[0:3], 0 offen
	ds_read_b64 v[9:10], v6
	v_add_nc_u32_e32 v5, 1, v5
	v_add_nc_u32_e32 v6, 8, v6
	;; [unrolled: 1-line block ×3, first 2 shown]
	v_cmp_lt_u32_e32 vcc_lo, 49, v5
	s_or_b32 s5, vcc_lo, s5
	s_waitcnt vmcnt(1) lgkmcnt(0)
	v_mul_f32_e32 v127, v10, v11
	v_mul_f32_e32 v11, v9, v11
	s_waitcnt vmcnt(0)
	v_fma_f32 v9, v9, v12, -v127
	v_fmac_f32_e32 v11, v10, v12
	v_add_f32_e32 v8, v8, v9
	v_add_f32_e32 v2, v2, v11
	s_andn2_b32 exec_lo, exec_lo, s5
	s_cbranch_execnz .LBB120_217
; %bb.218:
	s_or_b32 exec_lo, exec_lo, s5
	v_mov_b32_e32 v5, 0
	ds_read_b64 v[5:6], v5 offset:408
	s_waitcnt lgkmcnt(0)
	v_mul_f32_e32 v7, v2, v6
	v_mul_f32_e32 v6, v8, v6
	v_fma_f32 v7, v8, v5, -v7
	v_fmac_f32_e32 v6, v2, v5
	buffer_store_dword v7, off, s[0:3], 0 offset:408
	buffer_store_dword v6, off, s[0:3], 0 offset:412
.LBB120_219:
	s_or_b32 exec_lo, exec_lo, s4
	s_waitcnt_vscnt null, 0x0
	s_barrier
	buffer_gl0_inv
	s_clause 0x1
	buffer_load_dword v5, off, s[0:3], 0 offset:416
	buffer_load_dword v6, off, s[0:3], 0 offset:420
	s_mov_b32 s4, exec_lo
	s_waitcnt vmcnt(0)
	ds_write_b64 v4, v[5:6]
	s_waitcnt lgkmcnt(0)
	s_barrier
	buffer_gl0_inv
	v_cmpx_gt_u32_e32 52, v0
	s_cbranch_execz .LBB120_223
; %bb.220:
	v_add_nc_u32_e32 v5, -1, v0
	v_add_nc_u32_e32 v6, 0x1d0, v3
	v_mov_b32_e32 v7, v3
	v_mov_b32_e32 v2, 0
	;; [unrolled: 1-line block ×3, first 2 shown]
	s_mov_b32 s5, 0
	.p2align	6
.LBB120_221:                            ; =>This Inner Loop Header: Depth=1
	s_clause 0x1
	buffer_load_dword v11, v7, s[0:3], 0 offen offset:4
	buffer_load_dword v12, v7, s[0:3], 0 offen
	ds_read_b64 v[9:10], v6
	v_add_nc_u32_e32 v5, 1, v5
	v_add_nc_u32_e32 v6, 8, v6
	;; [unrolled: 1-line block ×3, first 2 shown]
	v_cmp_lt_u32_e32 vcc_lo, 50, v5
	s_or_b32 s5, vcc_lo, s5
	s_waitcnt vmcnt(1) lgkmcnt(0)
	v_mul_f32_e32 v127, v10, v11
	v_mul_f32_e32 v11, v9, v11
	s_waitcnt vmcnt(0)
	v_fma_f32 v9, v9, v12, -v127
	v_fmac_f32_e32 v11, v10, v12
	v_add_f32_e32 v8, v8, v9
	v_add_f32_e32 v2, v2, v11
	s_andn2_b32 exec_lo, exec_lo, s5
	s_cbranch_execnz .LBB120_221
; %bb.222:
	s_or_b32 exec_lo, exec_lo, s5
	v_mov_b32_e32 v5, 0
	ds_read_b64 v[5:6], v5 offset:416
	s_waitcnt lgkmcnt(0)
	v_mul_f32_e32 v7, v2, v6
	v_mul_f32_e32 v6, v8, v6
	v_fma_f32 v7, v8, v5, -v7
	v_fmac_f32_e32 v6, v2, v5
	buffer_store_dword v7, off, s[0:3], 0 offset:416
	buffer_store_dword v6, off, s[0:3], 0 offset:420
.LBB120_223:
	s_or_b32 exec_lo, exec_lo, s4
	s_waitcnt_vscnt null, 0x0
	s_barrier
	buffer_gl0_inv
	s_clause 0x1
	buffer_load_dword v5, off, s[0:3], 0 offset:424
	buffer_load_dword v6, off, s[0:3], 0 offset:428
	s_mov_b32 s4, exec_lo
	s_waitcnt vmcnt(0)
	ds_write_b64 v4, v[5:6]
	s_waitcnt lgkmcnt(0)
	s_barrier
	buffer_gl0_inv
	v_cmpx_gt_u32_e32 53, v0
	s_cbranch_execz .LBB120_227
; %bb.224:
	v_add_nc_u32_e32 v5, -1, v0
	v_add_nc_u32_e32 v6, 0x1d0, v3
	v_mov_b32_e32 v7, v3
	v_mov_b32_e32 v2, 0
	;; [unrolled: 1-line block ×3, first 2 shown]
	s_mov_b32 s5, 0
	.p2align	6
.LBB120_225:                            ; =>This Inner Loop Header: Depth=1
	s_clause 0x1
	buffer_load_dword v11, v7, s[0:3], 0 offen offset:4
	buffer_load_dword v12, v7, s[0:3], 0 offen
	ds_read_b64 v[9:10], v6
	v_add_nc_u32_e32 v5, 1, v5
	v_add_nc_u32_e32 v6, 8, v6
	;; [unrolled: 1-line block ×3, first 2 shown]
	v_cmp_lt_u32_e32 vcc_lo, 51, v5
	s_or_b32 s5, vcc_lo, s5
	s_waitcnt vmcnt(1) lgkmcnt(0)
	v_mul_f32_e32 v127, v10, v11
	v_mul_f32_e32 v11, v9, v11
	s_waitcnt vmcnt(0)
	v_fma_f32 v9, v9, v12, -v127
	v_fmac_f32_e32 v11, v10, v12
	v_add_f32_e32 v8, v8, v9
	v_add_f32_e32 v2, v2, v11
	s_andn2_b32 exec_lo, exec_lo, s5
	s_cbranch_execnz .LBB120_225
; %bb.226:
	s_or_b32 exec_lo, exec_lo, s5
	v_mov_b32_e32 v5, 0
	ds_read_b64 v[5:6], v5 offset:424
	s_waitcnt lgkmcnt(0)
	v_mul_f32_e32 v7, v2, v6
	v_mul_f32_e32 v6, v8, v6
	v_fma_f32 v7, v8, v5, -v7
	v_fmac_f32_e32 v6, v2, v5
	buffer_store_dword v7, off, s[0:3], 0 offset:424
	buffer_store_dword v6, off, s[0:3], 0 offset:428
.LBB120_227:
	s_or_b32 exec_lo, exec_lo, s4
	s_waitcnt_vscnt null, 0x0
	s_barrier
	buffer_gl0_inv
	s_clause 0x1
	buffer_load_dword v5, off, s[0:3], 0 offset:432
	buffer_load_dword v6, off, s[0:3], 0 offset:436
	s_mov_b32 s4, exec_lo
	s_waitcnt vmcnt(0)
	ds_write_b64 v4, v[5:6]
	s_waitcnt lgkmcnt(0)
	s_barrier
	buffer_gl0_inv
	v_cmpx_gt_u32_e32 54, v0
	s_cbranch_execz .LBB120_231
; %bb.228:
	v_add_nc_u32_e32 v5, -1, v0
	v_add_nc_u32_e32 v6, 0x1d0, v3
	v_mov_b32_e32 v7, v3
	v_mov_b32_e32 v2, 0
	;; [unrolled: 1-line block ×3, first 2 shown]
	s_mov_b32 s5, 0
	.p2align	6
.LBB120_229:                            ; =>This Inner Loop Header: Depth=1
	s_clause 0x1
	buffer_load_dword v11, v7, s[0:3], 0 offen offset:4
	buffer_load_dword v12, v7, s[0:3], 0 offen
	ds_read_b64 v[9:10], v6
	v_add_nc_u32_e32 v5, 1, v5
	v_add_nc_u32_e32 v6, 8, v6
	;; [unrolled: 1-line block ×3, first 2 shown]
	v_cmp_lt_u32_e32 vcc_lo, 52, v5
	s_or_b32 s5, vcc_lo, s5
	s_waitcnt vmcnt(1) lgkmcnt(0)
	v_mul_f32_e32 v127, v10, v11
	v_mul_f32_e32 v11, v9, v11
	s_waitcnt vmcnt(0)
	v_fma_f32 v9, v9, v12, -v127
	v_fmac_f32_e32 v11, v10, v12
	v_add_f32_e32 v8, v8, v9
	v_add_f32_e32 v2, v2, v11
	s_andn2_b32 exec_lo, exec_lo, s5
	s_cbranch_execnz .LBB120_229
; %bb.230:
	s_or_b32 exec_lo, exec_lo, s5
	v_mov_b32_e32 v5, 0
	ds_read_b64 v[5:6], v5 offset:432
	s_waitcnt lgkmcnt(0)
	v_mul_f32_e32 v7, v2, v6
	v_mul_f32_e32 v6, v8, v6
	v_fma_f32 v7, v8, v5, -v7
	v_fmac_f32_e32 v6, v2, v5
	buffer_store_dword v7, off, s[0:3], 0 offset:432
	buffer_store_dword v6, off, s[0:3], 0 offset:436
.LBB120_231:
	s_or_b32 exec_lo, exec_lo, s4
	s_waitcnt_vscnt null, 0x0
	s_barrier
	buffer_gl0_inv
	s_clause 0x1
	buffer_load_dword v5, off, s[0:3], 0 offset:440
	buffer_load_dword v6, off, s[0:3], 0 offset:444
	s_mov_b32 s4, exec_lo
	s_waitcnt vmcnt(0)
	ds_write_b64 v4, v[5:6]
	s_waitcnt lgkmcnt(0)
	s_barrier
	buffer_gl0_inv
	v_cmpx_gt_u32_e32 55, v0
	s_cbranch_execz .LBB120_235
; %bb.232:
	v_add_nc_u32_e32 v5, -1, v0
	v_add_nc_u32_e32 v6, 0x1d0, v3
	v_mov_b32_e32 v7, v3
	v_mov_b32_e32 v2, 0
	;; [unrolled: 1-line block ×3, first 2 shown]
	s_mov_b32 s5, 0
	.p2align	6
.LBB120_233:                            ; =>This Inner Loop Header: Depth=1
	s_clause 0x1
	buffer_load_dword v11, v7, s[0:3], 0 offen offset:4
	buffer_load_dword v12, v7, s[0:3], 0 offen
	ds_read_b64 v[9:10], v6
	v_add_nc_u32_e32 v5, 1, v5
	v_add_nc_u32_e32 v6, 8, v6
	;; [unrolled: 1-line block ×3, first 2 shown]
	v_cmp_lt_u32_e32 vcc_lo, 53, v5
	s_or_b32 s5, vcc_lo, s5
	s_waitcnt vmcnt(1) lgkmcnt(0)
	v_mul_f32_e32 v127, v10, v11
	v_mul_f32_e32 v11, v9, v11
	s_waitcnt vmcnt(0)
	v_fma_f32 v9, v9, v12, -v127
	v_fmac_f32_e32 v11, v10, v12
	v_add_f32_e32 v8, v8, v9
	v_add_f32_e32 v2, v2, v11
	s_andn2_b32 exec_lo, exec_lo, s5
	s_cbranch_execnz .LBB120_233
; %bb.234:
	s_or_b32 exec_lo, exec_lo, s5
	v_mov_b32_e32 v5, 0
	ds_read_b64 v[5:6], v5 offset:440
	s_waitcnt lgkmcnt(0)
	v_mul_f32_e32 v7, v2, v6
	v_mul_f32_e32 v6, v8, v6
	v_fma_f32 v7, v8, v5, -v7
	v_fmac_f32_e32 v6, v2, v5
	buffer_store_dword v7, off, s[0:3], 0 offset:440
	buffer_store_dword v6, off, s[0:3], 0 offset:444
.LBB120_235:
	s_or_b32 exec_lo, exec_lo, s4
	s_waitcnt_vscnt null, 0x0
	s_barrier
	buffer_gl0_inv
	s_clause 0x1
	buffer_load_dword v5, off, s[0:3], 0 offset:448
	buffer_load_dword v6, off, s[0:3], 0 offset:452
	s_mov_b32 s4, exec_lo
	s_waitcnt vmcnt(0)
	ds_write_b64 v4, v[5:6]
	s_waitcnt lgkmcnt(0)
	s_barrier
	buffer_gl0_inv
	v_cmpx_ne_u32_e32 56, v0
	s_cbranch_execz .LBB120_239
; %bb.236:
	v_mov_b32_e32 v2, 0
	v_mov_b32_e32 v5, 0
	s_mov_b32 s5, 0
	.p2align	6
.LBB120_237:                            ; =>This Inner Loop Header: Depth=1
	s_clause 0x1
	buffer_load_dword v8, v3, s[0:3], 0 offen offset:4
	buffer_load_dword v9, v3, s[0:3], 0 offen
	ds_read_b64 v[6:7], v4
	v_add_nc_u32_e32 v1, 1, v1
	v_add_nc_u32_e32 v4, 8, v4
	;; [unrolled: 1-line block ×3, first 2 shown]
	v_cmp_lt_u32_e32 vcc_lo, 54, v1
	s_or_b32 s5, vcc_lo, s5
	s_waitcnt vmcnt(1) lgkmcnt(0)
	v_mul_f32_e32 v10, v7, v8
	v_mul_f32_e32 v8, v6, v8
	s_waitcnt vmcnt(0)
	v_fma_f32 v6, v6, v9, -v10
	v_fmac_f32_e32 v8, v7, v9
	v_add_f32_e32 v5, v5, v6
	v_add_f32_e32 v2, v2, v8
	s_andn2_b32 exec_lo, exec_lo, s5
	s_cbranch_execnz .LBB120_237
; %bb.238:
	s_or_b32 exec_lo, exec_lo, s5
	v_mov_b32_e32 v1, 0
	ds_read_b64 v[3:4], v1 offset:448
	s_waitcnt lgkmcnt(0)
	v_mul_f32_e32 v1, v2, v4
	v_mul_f32_e32 v4, v5, v4
	v_fma_f32 v1, v5, v3, -v1
	v_fmac_f32_e32 v4, v2, v3
	buffer_store_dword v1, off, s[0:3], 0 offset:448
	buffer_store_dword v4, off, s[0:3], 0 offset:452
.LBB120_239:
	s_or_b32 exec_lo, exec_lo, s4
	s_mov_b32 s5, -1
	s_waitcnt_vscnt null, 0x0
	s_barrier
	buffer_gl0_inv
.LBB120_240:
	s_and_b32 vcc_lo, exec_lo, s5
	s_cbranch_vccz .LBB120_242
; %bb.241:
	s_lshl_b64 s[4:5], s[6:7], 2
	v_mov_b32_e32 v1, 0
	s_add_u32 s4, s10, s4
	s_addc_u32 s5, s11, s5
	global_load_dword v1, v1, s[4:5]
	s_waitcnt vmcnt(0)
	v_cmp_ne_u32_e32 vcc_lo, 0, v1
	s_cbranch_vccz .LBB120_243
.LBB120_242:
	s_endpgm
.LBB120_243:
	v_lshl_add_u32 v127, v0, 3, 0x1d0
	s_mov_b32 s4, exec_lo
	v_cmpx_eq_u32_e32 56, v0
	s_cbranch_execz .LBB120_245
; %bb.244:
	s_clause 0x1
	buffer_load_dword v1, off, s[0:3], 0 offset:440
	buffer_load_dword v2, off, s[0:3], 0 offset:444
	v_mov_b32_e32 v3, 0
	buffer_store_dword v3, off, s[0:3], 0 offset:440
	buffer_store_dword v3, off, s[0:3], 0 offset:444
	s_waitcnt vmcnt(0)
	ds_write_b64 v127, v[1:2]
.LBB120_245:
	s_or_b32 exec_lo, exec_lo, s4
	s_waitcnt lgkmcnt(0)
	s_waitcnt_vscnt null, 0x0
	s_barrier
	buffer_gl0_inv
	s_clause 0x3
	buffer_load_dword v4, off, s[0:3], 0 offset:452
	buffer_load_dword v5, off, s[0:3], 0 offset:448
	;; [unrolled: 1-line block ×4, first 2 shown]
	v_mov_b32_e32 v1, 0
	s_mov_b32 s4, exec_lo
	ds_read_b64 v[2:3], v1 offset:912
	s_waitcnt vmcnt(3) lgkmcnt(0)
	v_mul_f32_e32 v8, v3, v4
	v_mul_f32_e32 v4, v2, v4
	s_waitcnt vmcnt(2)
	v_fma_f32 v2, v2, v5, -v8
	v_fmac_f32_e32 v4, v3, v5
	v_add_f32_e32 v2, 0, v2
	v_add_f32_e32 v3, 0, v4
	s_waitcnt vmcnt(1)
	v_sub_f32_e32 v2, v6, v2
	s_waitcnt vmcnt(0)
	v_sub_f32_e32 v3, v7, v3
	buffer_store_dword v2, off, s[0:3], 0 offset:440
	buffer_store_dword v3, off, s[0:3], 0 offset:444
	v_cmpx_lt_u32_e32 54, v0
	s_cbranch_execz .LBB120_247
; %bb.246:
	s_clause 0x1
	buffer_load_dword v2, off, s[0:3], 0 offset:432
	buffer_load_dword v3, off, s[0:3], 0 offset:436
	buffer_store_dword v1, off, s[0:3], 0 offset:432
	buffer_store_dword v1, off, s[0:3], 0 offset:436
	s_waitcnt vmcnt(0)
	ds_write_b64 v127, v[2:3]
.LBB120_247:
	s_or_b32 exec_lo, exec_lo, s4
	s_waitcnt lgkmcnt(0)
	s_waitcnt_vscnt null, 0x0
	s_barrier
	buffer_gl0_inv
	s_clause 0x5
	buffer_load_dword v5, off, s[0:3], 0 offset:444
	buffer_load_dword v6, off, s[0:3], 0 offset:452
	;; [unrolled: 1-line block ×6, first 2 shown]
	ds_read2_b64 v[1:4], v1 offset0:113 offset1:114
	s_mov_b32 s4, exec_lo
	s_waitcnt vmcnt(5) lgkmcnt(0)
	v_mul_f32_e32 v11, v2, v5
	v_mul_f32_e32 v5, v1, v5
	s_waitcnt vmcnt(4)
	v_mul_f32_e32 v12, v3, v6
	v_mul_f32_e32 v6, v4, v6
	s_waitcnt vmcnt(3)
	v_fma_f32 v1, v1, v7, -v11
	v_fmac_f32_e32 v5, v2, v7
	s_waitcnt vmcnt(2)
	v_fmac_f32_e32 v12, v4, v8
	v_fma_f32 v2, v3, v8, -v6
	v_add_f32_e32 v1, 0, v1
	v_add_f32_e32 v3, 0, v5
	v_add_f32_e32 v1, v1, v2
	v_add_f32_e32 v2, v3, v12
	s_waitcnt vmcnt(1)
	v_sub_f32_e32 v1, v9, v1
	s_waitcnt vmcnt(0)
	v_sub_f32_e32 v2, v10, v2
	buffer_store_dword v1, off, s[0:3], 0 offset:432
	buffer_store_dword v2, off, s[0:3], 0 offset:436
	v_cmpx_lt_u32_e32 53, v0
	s_cbranch_execz .LBB120_249
; %bb.248:
	s_clause 0x1
	buffer_load_dword v1, off, s[0:3], 0 offset:424
	buffer_load_dword v2, off, s[0:3], 0 offset:428
	v_mov_b32_e32 v3, 0
	buffer_store_dword v3, off, s[0:3], 0 offset:424
	buffer_store_dword v3, off, s[0:3], 0 offset:428
	s_waitcnt vmcnt(0)
	ds_write_b64 v127, v[1:2]
.LBB120_249:
	s_or_b32 exec_lo, exec_lo, s4
	s_waitcnt lgkmcnt(0)
	s_waitcnt_vscnt null, 0x0
	s_barrier
	buffer_gl0_inv
	s_clause 0x7
	buffer_load_dword v8, off, s[0:3], 0 offset:436
	buffer_load_dword v9, off, s[0:3], 0 offset:444
	;; [unrolled: 1-line block ×8, first 2 shown]
	v_mov_b32_e32 v1, 0
	ds_read_b128 v[2:5], v1 offset:896
	ds_read_b64 v[6:7], v1 offset:912
	s_mov_b32 s4, exec_lo
	s_waitcnt vmcnt(7) lgkmcnt(1)
	v_mul_f32_e32 v131, v3, v8
	v_mul_f32_e32 v8, v2, v8
	s_waitcnt vmcnt(6)
	v_mul_f32_e32 v132, v4, v9
	v_mul_f32_e32 v9, v5, v9
	s_waitcnt vmcnt(5) lgkmcnt(0)
	v_mul_f32_e32 v133, v6, v10
	s_waitcnt vmcnt(4)
	v_fma_f32 v2, v2, v11, -v131
	v_fmac_f32_e32 v8, v3, v11
	v_mul_f32_e32 v3, v7, v10
	s_waitcnt vmcnt(3)
	v_fma_f32 v4, v4, v12, -v9
	v_fmac_f32_e32 v132, v5, v12
	v_add_f32_e32 v2, 0, v2
	v_add_f32_e32 v5, 0, v8
	s_waitcnt vmcnt(2)
	v_fma_f32 v3, v6, v128, -v3
	v_fmac_f32_e32 v133, v7, v128
	v_add_f32_e32 v2, v2, v4
	v_add_f32_e32 v4, v5, v132
	v_add_f32_e32 v2, v2, v3
	v_add_f32_e32 v3, v4, v133
	s_waitcnt vmcnt(1)
	v_sub_f32_e32 v2, v129, v2
	s_waitcnt vmcnt(0)
	v_sub_f32_e32 v3, v130, v3
	buffer_store_dword v2, off, s[0:3], 0 offset:424
	buffer_store_dword v3, off, s[0:3], 0 offset:428
	v_cmpx_lt_u32_e32 52, v0
	s_cbranch_execz .LBB120_251
; %bb.250:
	s_clause 0x1
	buffer_load_dword v2, off, s[0:3], 0 offset:416
	buffer_load_dword v3, off, s[0:3], 0 offset:420
	buffer_store_dword v1, off, s[0:3], 0 offset:416
	buffer_store_dword v1, off, s[0:3], 0 offset:420
	s_waitcnt vmcnt(0)
	ds_write_b64 v127, v[2:3]
.LBB120_251:
	s_or_b32 exec_lo, exec_lo, s4
	s_waitcnt lgkmcnt(0)
	s_waitcnt_vscnt null, 0x0
	s_barrier
	buffer_gl0_inv
	s_clause 0x9
	buffer_load_dword v10, off, s[0:3], 0 offset:428
	buffer_load_dword v11, off, s[0:3], 0 offset:436
	;; [unrolled: 1-line block ×10, first 2 shown]
	ds_read2_b64 v[2:5], v1 offset0:111 offset1:112
	ds_read2_b64 v[6:9], v1 offset0:113 offset1:114
	s_mov_b32 s4, exec_lo
	s_waitcnt vmcnt(9) lgkmcnt(1)
	v_mul_f32_e32 v1, v2, v10
	v_mul_f32_e32 v10, v3, v10
	s_waitcnt vmcnt(8)
	v_mul_f32_e32 v135, v4, v11
	v_mul_f32_e32 v11, v5, v11
	s_waitcnt vmcnt(7) lgkmcnt(0)
	v_mul_f32_e32 v136, v6, v12
	s_waitcnt vmcnt(5)
	v_fmac_f32_e32 v1, v3, v129
	v_fma_f32 v2, v2, v129, -v10
	v_mul_f32_e32 v3, v7, v12
	s_waitcnt vmcnt(4)
	v_fma_f32 v4, v4, v130, -v11
	v_fmac_f32_e32 v135, v5, v130
	v_add_f32_e32 v1, 0, v1
	v_add_f32_e32 v2, 0, v2
	v_mul_f32_e32 v5, v9, v128
	s_waitcnt vmcnt(3)
	v_fma_f32 v3, v6, v131, -v3
	v_mul_f32_e32 v137, v8, v128
	v_fmac_f32_e32 v136, v7, v131
	v_add_f32_e32 v2, v2, v4
	v_add_f32_e32 v1, v1, v135
	s_waitcnt vmcnt(2)
	v_fma_f32 v4, v8, v132, -v5
	v_fmac_f32_e32 v137, v9, v132
	v_add_f32_e32 v2, v2, v3
	v_add_f32_e32 v1, v1, v136
	;; [unrolled: 1-line block ×4, first 2 shown]
	s_waitcnt vmcnt(1)
	v_sub_f32_e32 v2, v133, v2
	s_waitcnt vmcnt(0)
	v_sub_f32_e32 v1, v134, v1
	buffer_store_dword v2, off, s[0:3], 0 offset:416
	buffer_store_dword v1, off, s[0:3], 0 offset:420
	v_cmpx_lt_u32_e32 51, v0
	s_cbranch_execz .LBB120_253
; %bb.252:
	s_clause 0x1
	buffer_load_dword v1, off, s[0:3], 0 offset:408
	buffer_load_dword v2, off, s[0:3], 0 offset:412
	v_mov_b32_e32 v3, 0
	buffer_store_dword v3, off, s[0:3], 0 offset:408
	buffer_store_dword v3, off, s[0:3], 0 offset:412
	s_waitcnt vmcnt(0)
	ds_write_b64 v127, v[1:2]
.LBB120_253:
	s_or_b32 exec_lo, exec_lo, s4
	s_waitcnt lgkmcnt(0)
	s_waitcnt_vscnt null, 0x0
	s_barrier
	buffer_gl0_inv
	s_clause 0xb
	buffer_load_dword v12, off, s[0:3], 0 offset:420
	buffer_load_dword v128, off, s[0:3], 0 offset:428
	;; [unrolled: 1-line block ×12, first 2 shown]
	v_mov_b32_e32 v1, 0
	ds_read_b128 v[2:5], v1 offset:880
	ds_read_b128 v[6:9], v1 offset:896
	ds_read_b64 v[10:11], v1 offset:912
	s_mov_b32 s4, exec_lo
	s_waitcnt vmcnt(11) lgkmcnt(2)
	v_mul_f32_e32 v139, v2, v12
	v_mul_f32_e32 v12, v3, v12
	s_waitcnt vmcnt(10)
	v_mul_f32_e32 v140, v4, v128
	v_mul_f32_e32 v128, v5, v128
	s_waitcnt vmcnt(9) lgkmcnt(1)
	v_mul_f32_e32 v141, v6, v129
	s_waitcnt vmcnt(6)
	v_fmac_f32_e32 v139, v3, v132
	v_fma_f32 v2, v2, v132, -v12
	v_mul_f32_e32 v3, v7, v129
	s_waitcnt vmcnt(5)
	v_fma_f32 v4, v4, v133, -v128
	v_fmac_f32_e32 v140, v5, v133
	v_add_f32_e32 v5, 0, v139
	v_add_f32_e32 v2, 0, v2
	v_mul_f32_e32 v12, v9, v130
	s_waitcnt vmcnt(4)
	v_fma_f32 v3, v6, v134, -v3
	v_mul_f32_e32 v142, v8, v130
	v_fmac_f32_e32 v141, v7, v134
	v_add_f32_e32 v2, v2, v4
	v_add_f32_e32 v4, v5, v140
	s_waitcnt lgkmcnt(0)
	v_mul_f32_e32 v5, v11, v131
	s_waitcnt vmcnt(3)
	v_fma_f32 v6, v8, v135, -v12
	v_mul_f32_e32 v143, v10, v131
	v_add_f32_e32 v2, v2, v3
	v_fmac_f32_e32 v142, v9, v135
	v_add_f32_e32 v3, v4, v141
	s_waitcnt vmcnt(2)
	v_fma_f32 v4, v10, v136, -v5
	v_fmac_f32_e32 v143, v11, v136
	v_add_f32_e32 v2, v2, v6
	v_add_f32_e32 v3, v3, v142
	;; [unrolled: 1-line block ×4, first 2 shown]
	s_waitcnt vmcnt(1)
	v_sub_f32_e32 v2, v137, v2
	s_waitcnt vmcnt(0)
	v_sub_f32_e32 v3, v138, v3
	buffer_store_dword v2, off, s[0:3], 0 offset:408
	buffer_store_dword v3, off, s[0:3], 0 offset:412
	v_cmpx_lt_u32_e32 50, v0
	s_cbranch_execz .LBB120_255
; %bb.254:
	s_clause 0x1
	buffer_load_dword v2, off, s[0:3], 0 offset:400
	buffer_load_dword v3, off, s[0:3], 0 offset:404
	buffer_store_dword v1, off, s[0:3], 0 offset:400
	buffer_store_dword v1, off, s[0:3], 0 offset:404
	s_waitcnt vmcnt(0)
	ds_write_b64 v127, v[2:3]
.LBB120_255:
	s_or_b32 exec_lo, exec_lo, s4
	s_waitcnt lgkmcnt(0)
	s_waitcnt_vscnt null, 0x0
	s_barrier
	buffer_gl0_inv
	s_clause 0xd
	buffer_load_dword v10, off, s[0:3], 0 offset:412
	buffer_load_dword v11, off, s[0:3], 0 offset:420
	;; [unrolled: 1-line block ×14, first 2 shown]
	ds_read2_b64 v[2:5], v1 offset0:109 offset1:110
	ds_read2_b64 v[6:9], v1 offset0:111 offset1:112
	;; [unrolled: 1-line block ×3, first 2 shown]
	s_mov_b32 s4, exec_lo
	s_waitcnt vmcnt(13) lgkmcnt(2)
	v_mul_f32_e32 v1, v2, v10
	v_mul_f32_e32 v10, v3, v10
	s_waitcnt vmcnt(12)
	v_mul_f32_e32 v143, v4, v11
	v_mul_f32_e32 v11, v5, v11
	s_waitcnt vmcnt(11) lgkmcnt(1)
	v_mul_f32_e32 v144, v6, v12
	s_waitcnt vmcnt(10)
	v_mul_f32_e32 v145, v8, v132
	s_waitcnt vmcnt(7)
	v_fma_f32 v2, v2, v135, -v10
	v_fmac_f32_e32 v1, v3, v135
	v_mul_f32_e32 v3, v7, v12
	s_waitcnt vmcnt(6)
	v_fma_f32 v4, v4, v136, -v11
	v_fmac_f32_e32 v143, v5, v136
	v_add_f32_e32 v2, 0, v2
	v_add_f32_e32 v1, 0, v1
	v_mul_f32_e32 v5, v9, v132
	s_waitcnt vmcnt(5)
	v_fma_f32 v3, v6, v137, -v3
	v_fmac_f32_e32 v144, v7, v137
	v_add_f32_e32 v2, v2, v4
	v_add_f32_e32 v1, v1, v143
	s_waitcnt lgkmcnt(0)
	v_mul_f32_e32 v4, v129, v133
	s_waitcnt vmcnt(4)
	v_fma_f32 v5, v8, v138, -v5
	v_mul_f32_e32 v146, v128, v133
	v_add_f32_e32 v2, v2, v3
	v_fmac_f32_e32 v145, v9, v138
	v_add_f32_e32 v1, v1, v144
	v_mul_f32_e32 v3, v131, v134
	s_waitcnt vmcnt(3)
	v_fma_f32 v4, v128, v139, -v4
	v_add_f32_e32 v2, v2, v5
	v_mul_f32_e32 v147, v130, v134
	v_fmac_f32_e32 v146, v129, v139
	v_add_f32_e32 v1, v1, v145
	s_waitcnt vmcnt(2)
	v_fma_f32 v3, v130, v140, -v3
	v_add_f32_e32 v2, v2, v4
	v_fmac_f32_e32 v147, v131, v140
	v_add_f32_e32 v1, v1, v146
	v_add_f32_e32 v2, v2, v3
	;; [unrolled: 1-line block ×3, first 2 shown]
	s_waitcnt vmcnt(1)
	v_sub_f32_e32 v2, v141, v2
	s_waitcnt vmcnt(0)
	v_sub_f32_e32 v1, v142, v1
	buffer_store_dword v2, off, s[0:3], 0 offset:400
	buffer_store_dword v1, off, s[0:3], 0 offset:404
	v_cmpx_lt_u32_e32 49, v0
	s_cbranch_execz .LBB120_257
; %bb.256:
	s_clause 0x1
	buffer_load_dword v1, off, s[0:3], 0 offset:392
	buffer_load_dword v2, off, s[0:3], 0 offset:396
	v_mov_b32_e32 v3, 0
	buffer_store_dword v3, off, s[0:3], 0 offset:392
	buffer_store_dword v3, off, s[0:3], 0 offset:396
	s_waitcnt vmcnt(0)
	ds_write_b64 v127, v[1:2]
.LBB120_257:
	s_or_b32 exec_lo, exec_lo, s4
	s_waitcnt lgkmcnt(0)
	s_waitcnt_vscnt null, 0x0
	s_barrier
	buffer_gl0_inv
	s_clause 0xf
	buffer_load_dword v12, off, s[0:3], 0 offset:404
	buffer_load_dword v132, off, s[0:3], 0 offset:412
	;; [unrolled: 1-line block ×16, first 2 shown]
	v_mov_b32_e32 v1, 0
	ds_read_b128 v[2:5], v1 offset:864
	ds_read_b128 v[6:9], v1 offset:880
	;; [unrolled: 1-line block ×3, first 2 shown]
	ds_read_b64 v[10:11], v1 offset:912
	s_mov_b32 s4, exec_lo
	s_waitcnt vmcnt(15) lgkmcnt(3)
	v_mul_f32_e32 v147, v2, v12
	v_mul_f32_e32 v12, v3, v12
	s_waitcnt vmcnt(14)
	v_mul_f32_e32 v148, v4, v132
	v_mul_f32_e32 v132, v5, v132
	s_waitcnt vmcnt(13) lgkmcnt(2)
	v_mul_f32_e32 v149, v6, v133
	s_waitcnt vmcnt(12)
	v_mul_f32_e32 v150, v8, v134
	s_waitcnt vmcnt(11) lgkmcnt(1)
	v_mul_f32_e32 v151, v128, v135
	s_waitcnt vmcnt(8)
	v_fma_f32 v2, v2, v138, -v12
	v_fmac_f32_e32 v147, v3, v138
	v_mul_f32_e32 v3, v7, v133
	s_waitcnt vmcnt(7)
	v_fma_f32 v4, v4, v139, -v132
	v_fmac_f32_e32 v148, v5, v139
	v_add_f32_e32 v2, 0, v2
	v_add_f32_e32 v5, 0, v147
	v_mul_f32_e32 v12, v9, v134
	s_waitcnt vmcnt(6)
	v_fma_f32 v3, v6, v140, -v3
	v_fmac_f32_e32 v149, v7, v140
	v_add_f32_e32 v2, v2, v4
	v_add_f32_e32 v4, v5, v148
	v_mul_f32_e32 v5, v129, v135
	s_waitcnt vmcnt(5)
	v_fma_f32 v6, v8, v141, -v12
	v_fmac_f32_e32 v150, v9, v141
	v_add_f32_e32 v2, v2, v3
	v_add_f32_e32 v3, v4, v149
	v_mul_f32_e32 v4, v131, v136
	s_waitcnt vmcnt(4)
	v_fma_f32 v5, v128, v142, -v5
	v_mul_f32_e32 v152, v130, v136
	v_add_f32_e32 v2, v2, v6
	v_fmac_f32_e32 v151, v129, v142
	v_add_f32_e32 v3, v3, v150
	s_waitcnt lgkmcnt(0)
	v_mul_f32_e32 v6, v11, v137
	s_waitcnt vmcnt(3)
	v_fma_f32 v4, v130, v143, -v4
	v_add_f32_e32 v2, v2, v5
	v_mul_f32_e32 v153, v10, v137
	v_fmac_f32_e32 v152, v131, v143
	v_add_f32_e32 v3, v3, v151
	s_waitcnt vmcnt(2)
	v_fma_f32 v5, v10, v144, -v6
	v_add_f32_e32 v2, v2, v4
	v_fmac_f32_e32 v153, v11, v144
	v_add_f32_e32 v3, v3, v152
	v_add_f32_e32 v2, v2, v5
	;; [unrolled: 1-line block ×3, first 2 shown]
	s_waitcnt vmcnt(1)
	v_sub_f32_e32 v2, v145, v2
	s_waitcnt vmcnt(0)
	v_sub_f32_e32 v3, v146, v3
	buffer_store_dword v2, off, s[0:3], 0 offset:392
	buffer_store_dword v3, off, s[0:3], 0 offset:396
	v_cmpx_lt_u32_e32 48, v0
	s_cbranch_execz .LBB120_259
; %bb.258:
	s_clause 0x1
	buffer_load_dword v2, off, s[0:3], 0 offset:384
	buffer_load_dword v3, off, s[0:3], 0 offset:388
	buffer_store_dword v1, off, s[0:3], 0 offset:384
	buffer_store_dword v1, off, s[0:3], 0 offset:388
	s_waitcnt vmcnt(0)
	ds_write_b64 v127, v[2:3]
.LBB120_259:
	s_or_b32 exec_lo, exec_lo, s4
	s_waitcnt lgkmcnt(0)
	s_waitcnt_vscnt null, 0x0
	s_barrier
	buffer_gl0_inv
	s_clause 0x11
	buffer_load_dword v10, off, s[0:3], 0 offset:396
	buffer_load_dword v11, off, s[0:3], 0 offset:404
	;; [unrolled: 1-line block ×18, first 2 shown]
	ds_read2_b64 v[2:5], v1 offset0:107 offset1:108
	ds_read2_b64 v[6:9], v1 offset0:109 offset1:110
	;; [unrolled: 1-line block ×4, first 2 shown]
	s_mov_b32 s4, exec_lo
	s_waitcnt vmcnt(17) lgkmcnt(3)
	v_mul_f32_e32 v1, v2, v10
	v_mul_f32_e32 v10, v3, v10
	s_waitcnt vmcnt(16)
	v_mul_f32_e32 v151, v4, v11
	v_mul_f32_e32 v11, v5, v11
	s_waitcnt vmcnt(15) lgkmcnt(2)
	v_mul_f32_e32 v152, v6, v12
	s_waitcnt vmcnt(14)
	v_mul_f32_e32 v153, v8, v136
	s_waitcnt vmcnt(13) lgkmcnt(1)
	v_mul_f32_e32 v154, v128, v137
	s_waitcnt vmcnt(12)
	v_mul_f32_e32 v155, v130, v138
	s_waitcnt vmcnt(9)
	v_fma_f32 v2, v2, v141, -v10
	v_fmac_f32_e32 v1, v3, v141
	v_mul_f32_e32 v3, v7, v12
	s_waitcnt vmcnt(8)
	v_fma_f32 v4, v4, v142, -v11
	v_fmac_f32_e32 v151, v5, v142
	v_add_f32_e32 v2, 0, v2
	v_add_f32_e32 v1, 0, v1
	v_mul_f32_e32 v5, v9, v136
	s_waitcnt vmcnt(7)
	v_fma_f32 v3, v6, v143, -v3
	v_fmac_f32_e32 v152, v7, v143
	v_add_f32_e32 v2, v2, v4
	v_add_f32_e32 v1, v1, v151
	;; [unrolled: 6-line block ×4, first 2 shown]
	s_waitcnt lgkmcnt(0)
	v_mul_f32_e32 v5, v133, v139
	s_waitcnt vmcnt(4)
	v_fma_f32 v3, v130, v146, -v3
	v_mul_f32_e32 v156, v132, v139
	v_add_f32_e32 v2, v2, v4
	v_fmac_f32_e32 v155, v131, v146
	v_add_f32_e32 v1, v1, v154
	v_mul_f32_e32 v4, v135, v140
	s_waitcnt vmcnt(3)
	v_fma_f32 v5, v132, v147, -v5
	v_add_f32_e32 v2, v2, v3
	v_mul_f32_e32 v157, v134, v140
	v_fmac_f32_e32 v156, v133, v147
	v_add_f32_e32 v1, v1, v155
	s_waitcnt vmcnt(2)
	v_fma_f32 v3, v134, v148, -v4
	v_add_f32_e32 v2, v2, v5
	v_fmac_f32_e32 v157, v135, v148
	v_add_f32_e32 v1, v1, v156
	v_add_f32_e32 v2, v2, v3
	;; [unrolled: 1-line block ×3, first 2 shown]
	s_waitcnt vmcnt(1)
	v_sub_f32_e32 v2, v149, v2
	s_waitcnt vmcnt(0)
	v_sub_f32_e32 v1, v150, v1
	buffer_store_dword v2, off, s[0:3], 0 offset:384
	buffer_store_dword v1, off, s[0:3], 0 offset:388
	v_cmpx_lt_u32_e32 47, v0
	s_cbranch_execz .LBB120_261
; %bb.260:
	s_clause 0x1
	buffer_load_dword v1, off, s[0:3], 0 offset:376
	buffer_load_dword v2, off, s[0:3], 0 offset:380
	v_mov_b32_e32 v3, 0
	buffer_store_dword v3, off, s[0:3], 0 offset:376
	buffer_store_dword v3, off, s[0:3], 0 offset:380
	s_waitcnt vmcnt(0)
	ds_write_b64 v127, v[1:2]
.LBB120_261:
	s_or_b32 exec_lo, exec_lo, s4
	s_waitcnt lgkmcnt(0)
	s_waitcnt_vscnt null, 0x0
	s_barrier
	buffer_gl0_inv
	s_clause 0x13
	buffer_load_dword v12, off, s[0:3], 0 offset:388
	buffer_load_dword v136, off, s[0:3], 0 offset:396
	;; [unrolled: 1-line block ×20, first 2 shown]
	v_mov_b32_e32 v1, 0
	ds_read_b128 v[2:5], v1 offset:848
	ds_read_b128 v[6:9], v1 offset:864
	;; [unrolled: 1-line block ×4, first 2 shown]
	ds_read_b64 v[10:11], v1 offset:912
	s_mov_b32 s4, exec_lo
	s_waitcnt vmcnt(19) lgkmcnt(4)
	v_mul_f32_e32 v155, v2, v12
	v_mul_f32_e32 v12, v3, v12
	s_waitcnt vmcnt(18)
	v_mul_f32_e32 v156, v4, v136
	v_mul_f32_e32 v136, v5, v136
	s_waitcnt vmcnt(17) lgkmcnt(3)
	v_mul_f32_e32 v157, v6, v137
	s_waitcnt vmcnt(16)
	v_mul_f32_e32 v158, v8, v138
	s_waitcnt vmcnt(15) lgkmcnt(2)
	v_mul_f32_e32 v159, v128, v139
	s_waitcnt vmcnt(14)
	;; [unrolled: 4-line block ×3, first 2 shown]
	v_fma_f32 v2, v2, v144, -v12
	v_fmac_f32_e32 v155, v3, v144
	v_mul_f32_e32 v3, v7, v137
	s_waitcnt vmcnt(9)
	v_fma_f32 v4, v4, v145, -v136
	v_fmac_f32_e32 v156, v5, v145
	v_add_f32_e32 v2, 0, v2
	v_add_f32_e32 v5, 0, v155
	v_mul_f32_e32 v12, v9, v138
	s_waitcnt vmcnt(8)
	v_fma_f32 v3, v6, v146, -v3
	v_fmac_f32_e32 v157, v7, v146
	v_add_f32_e32 v2, v2, v4
	v_add_f32_e32 v4, v5, v156
	;; [unrolled: 6-line block ×5, first 2 shown]
	v_mul_f32_e32 v5, v135, v142
	s_waitcnt vmcnt(4)
	v_fma_f32 v6, v132, v150, -v6
	v_mul_f32_e32 v162, v134, v142
	v_add_f32_e32 v2, v2, v4
	v_fmac_f32_e32 v161, v133, v150
	v_add_f32_e32 v3, v3, v160
	s_waitcnt lgkmcnt(0)
	v_mul_f32_e32 v4, v11, v143
	s_waitcnt vmcnt(3)
	v_fma_f32 v5, v134, v151, -v5
	v_add_f32_e32 v2, v2, v6
	v_mul_f32_e32 v163, v10, v143
	v_fmac_f32_e32 v162, v135, v151
	v_add_f32_e32 v3, v3, v161
	s_waitcnt vmcnt(2)
	v_fma_f32 v4, v10, v152, -v4
	v_add_f32_e32 v2, v2, v5
	v_fmac_f32_e32 v163, v11, v152
	v_add_f32_e32 v3, v3, v162
	v_add_f32_e32 v2, v2, v4
	;; [unrolled: 1-line block ×3, first 2 shown]
	s_waitcnt vmcnt(1)
	v_sub_f32_e32 v2, v153, v2
	s_waitcnt vmcnt(0)
	v_sub_f32_e32 v3, v154, v3
	buffer_store_dword v2, off, s[0:3], 0 offset:376
	buffer_store_dword v3, off, s[0:3], 0 offset:380
	v_cmpx_lt_u32_e32 46, v0
	s_cbranch_execz .LBB120_263
; %bb.262:
	s_clause 0x1
	buffer_load_dword v2, off, s[0:3], 0 offset:368
	buffer_load_dword v3, off, s[0:3], 0 offset:372
	buffer_store_dword v1, off, s[0:3], 0 offset:368
	buffer_store_dword v1, off, s[0:3], 0 offset:372
	s_waitcnt vmcnt(0)
	ds_write_b64 v127, v[2:3]
.LBB120_263:
	s_or_b32 exec_lo, exec_lo, s4
	s_waitcnt lgkmcnt(0)
	s_waitcnt_vscnt null, 0x0
	s_barrier
	buffer_gl0_inv
	s_clause 0x15
	buffer_load_dword v10, off, s[0:3], 0 offset:380
	buffer_load_dword v11, off, s[0:3], 0 offset:388
	buffer_load_dword v12, off, s[0:3], 0 offset:396
	buffer_load_dword v140, off, s[0:3], 0 offset:404
	buffer_load_dword v141, off, s[0:3], 0 offset:412
	buffer_load_dword v142, off, s[0:3], 0 offset:420
	buffer_load_dword v143, off, s[0:3], 0 offset:428
	buffer_load_dword v144, off, s[0:3], 0 offset:436
	buffer_load_dword v145, off, s[0:3], 0 offset:444
	buffer_load_dword v146, off, s[0:3], 0 offset:452
	buffer_load_dword v147, off, s[0:3], 0 offset:376
	buffer_load_dword v148, off, s[0:3], 0 offset:384
	buffer_load_dword v149, off, s[0:3], 0 offset:392
	buffer_load_dword v150, off, s[0:3], 0 offset:400
	buffer_load_dword v151, off, s[0:3], 0 offset:408
	buffer_load_dword v152, off, s[0:3], 0 offset:416
	buffer_load_dword v153, off, s[0:3], 0 offset:424
	buffer_load_dword v154, off, s[0:3], 0 offset:432
	buffer_load_dword v155, off, s[0:3], 0 offset:440
	buffer_load_dword v156, off, s[0:3], 0 offset:448
	buffer_load_dword v157, off, s[0:3], 0 offset:368
	buffer_load_dword v158, off, s[0:3], 0 offset:372
	ds_read2_b64 v[2:5], v1 offset0:105 offset1:106
	ds_read2_b64 v[6:9], v1 offset0:107 offset1:108
	;; [unrolled: 1-line block ×5, first 2 shown]
	s_mov_b32 s4, exec_lo
	s_waitcnt vmcnt(21) lgkmcnt(4)
	v_mul_f32_e32 v1, v2, v10
	v_mul_f32_e32 v10, v3, v10
	s_waitcnt vmcnt(20)
	v_mul_f32_e32 v159, v4, v11
	v_mul_f32_e32 v11, v5, v11
	s_waitcnt vmcnt(19) lgkmcnt(3)
	v_mul_f32_e32 v160, v6, v12
	s_waitcnt vmcnt(18)
	v_mul_f32_e32 v161, v8, v140
	s_waitcnt vmcnt(17) lgkmcnt(2)
	v_mul_f32_e32 v162, v128, v141
	s_waitcnt vmcnt(16)
	;; [unrolled: 4-line block ×3, first 2 shown]
	v_mul_f32_e32 v165, v134, v144
	s_waitcnt vmcnt(11)
	v_fma_f32 v2, v2, v147, -v10
	v_fmac_f32_e32 v1, v3, v147
	v_mul_f32_e32 v3, v7, v12
	s_waitcnt vmcnt(10)
	v_fma_f32 v4, v4, v148, -v11
	v_fmac_f32_e32 v159, v5, v148
	v_add_f32_e32 v2, 0, v2
	v_add_f32_e32 v1, 0, v1
	v_mul_f32_e32 v5, v9, v140
	s_waitcnt vmcnt(9)
	v_fma_f32 v3, v6, v149, -v3
	v_fmac_f32_e32 v160, v7, v149
	v_add_f32_e32 v2, v2, v4
	v_add_f32_e32 v1, v1, v159
	;; [unrolled: 6-line block ×6, first 2 shown]
	s_waitcnt lgkmcnt(0)
	v_mul_f32_e32 v3, v137, v145
	s_waitcnt vmcnt(4)
	v_fma_f32 v4, v134, v154, -v4
	v_mul_f32_e32 v166, v136, v145
	v_add_f32_e32 v2, v2, v5
	v_fmac_f32_e32 v165, v135, v154
	v_add_f32_e32 v1, v1, v164
	v_mul_f32_e32 v5, v139, v146
	s_waitcnt vmcnt(3)
	v_fma_f32 v3, v136, v155, -v3
	v_add_f32_e32 v2, v2, v4
	v_mul_f32_e32 v167, v138, v146
	v_fmac_f32_e32 v166, v137, v155
	v_add_f32_e32 v1, v1, v165
	s_waitcnt vmcnt(2)
	v_fma_f32 v4, v138, v156, -v5
	v_add_f32_e32 v2, v2, v3
	v_fmac_f32_e32 v167, v139, v156
	v_add_f32_e32 v1, v1, v166
	v_add_f32_e32 v2, v2, v4
	;; [unrolled: 1-line block ×3, first 2 shown]
	s_waitcnt vmcnt(1)
	v_sub_f32_e32 v2, v157, v2
	s_waitcnt vmcnt(0)
	v_sub_f32_e32 v1, v158, v1
	buffer_store_dword v2, off, s[0:3], 0 offset:368
	buffer_store_dword v1, off, s[0:3], 0 offset:372
	v_cmpx_lt_u32_e32 45, v0
	s_cbranch_execz .LBB120_265
; %bb.264:
	s_clause 0x1
	buffer_load_dword v1, off, s[0:3], 0 offset:360
	buffer_load_dword v2, off, s[0:3], 0 offset:364
	v_mov_b32_e32 v3, 0
	buffer_store_dword v3, off, s[0:3], 0 offset:360
	buffer_store_dword v3, off, s[0:3], 0 offset:364
	s_waitcnt vmcnt(0)
	ds_write_b64 v127, v[1:2]
.LBB120_265:
	s_or_b32 exec_lo, exec_lo, s4
	s_waitcnt lgkmcnt(0)
	s_waitcnt_vscnt null, 0x0
	s_barrier
	buffer_gl0_inv
	s_clause 0x17
	buffer_load_dword v12, off, s[0:3], 0 offset:372
	buffer_load_dword v140, off, s[0:3], 0 offset:380
	;; [unrolled: 1-line block ×24, first 2 shown]
	v_mov_b32_e32 v1, 0
	ds_read_b128 v[2:5], v1 offset:832
	ds_read_b128 v[6:9], v1 offset:848
	;; [unrolled: 1-line block ×5, first 2 shown]
	ds_read_b64 v[10:11], v1 offset:912
	s_mov_b32 s4, exec_lo
	s_waitcnt vmcnt(23) lgkmcnt(5)
	v_mul_f32_e32 v163, v2, v12
	v_mul_f32_e32 v12, v3, v12
	s_waitcnt vmcnt(22)
	v_mul_f32_e32 v164, v4, v140
	v_mul_f32_e32 v140, v5, v140
	s_waitcnt vmcnt(21) lgkmcnt(4)
	v_mul_f32_e32 v165, v6, v141
	s_waitcnt vmcnt(20)
	v_mul_f32_e32 v166, v8, v142
	s_waitcnt vmcnt(19) lgkmcnt(3)
	v_mul_f32_e32 v167, v128, v143
	s_waitcnt vmcnt(18)
	;; [unrolled: 4-line block ×4, first 2 shown]
	v_fma_f32 v2, v2, v150, -v12
	v_fmac_f32_e32 v163, v3, v150
	v_mul_f32_e32 v3, v7, v141
	s_waitcnt vmcnt(11)
	v_fma_f32 v4, v4, v151, -v140
	v_fmac_f32_e32 v164, v5, v151
	v_add_f32_e32 v2, 0, v2
	v_add_f32_e32 v5, 0, v163
	v_mul_f32_e32 v12, v9, v142
	s_waitcnt vmcnt(10)
	v_fma_f32 v3, v6, v152, -v3
	v_fmac_f32_e32 v165, v7, v152
	v_add_f32_e32 v2, v2, v4
	v_add_f32_e32 v4, v5, v164
	;; [unrolled: 6-line block ×7, first 2 shown]
	v_mul_f32_e32 v6, v139, v148
	s_waitcnt vmcnt(4)
	v_fma_f32 v4, v136, v158, -v4
	v_mul_f32_e32 v172, v138, v148
	v_add_f32_e32 v2, v2, v5
	v_fmac_f32_e32 v171, v137, v158
	v_add_f32_e32 v3, v3, v170
	s_waitcnt lgkmcnt(0)
	v_mul_f32_e32 v5, v11, v149
	s_waitcnt vmcnt(3)
	v_fma_f32 v6, v138, v159, -v6
	v_add_f32_e32 v2, v2, v4
	v_mul_f32_e32 v173, v10, v149
	v_fmac_f32_e32 v172, v139, v159
	v_add_f32_e32 v3, v3, v171
	s_waitcnt vmcnt(2)
	v_fma_f32 v4, v10, v160, -v5
	v_add_f32_e32 v2, v2, v6
	v_fmac_f32_e32 v173, v11, v160
	v_add_f32_e32 v3, v3, v172
	v_add_f32_e32 v2, v2, v4
	;; [unrolled: 1-line block ×3, first 2 shown]
	s_waitcnt vmcnt(1)
	v_sub_f32_e32 v2, v161, v2
	s_waitcnt vmcnt(0)
	v_sub_f32_e32 v3, v162, v3
	buffer_store_dword v2, off, s[0:3], 0 offset:360
	buffer_store_dword v3, off, s[0:3], 0 offset:364
	v_cmpx_lt_u32_e32 44, v0
	s_cbranch_execz .LBB120_267
; %bb.266:
	s_clause 0x1
	buffer_load_dword v2, off, s[0:3], 0 offset:352
	buffer_load_dword v3, off, s[0:3], 0 offset:356
	buffer_store_dword v1, off, s[0:3], 0 offset:352
	buffer_store_dword v1, off, s[0:3], 0 offset:356
	s_waitcnt vmcnt(0)
	ds_write_b64 v127, v[2:3]
.LBB120_267:
	s_or_b32 exec_lo, exec_lo, s4
	s_waitcnt lgkmcnt(0)
	s_waitcnt_vscnt null, 0x0
	s_barrier
	buffer_gl0_inv
	s_clause 0x19
	buffer_load_dword v10, off, s[0:3], 0 offset:364
	buffer_load_dword v11, off, s[0:3], 0 offset:372
	;; [unrolled: 1-line block ×26, first 2 shown]
	ds_read2_b64 v[2:5], v1 offset0:103 offset1:104
	ds_read2_b64 v[6:9], v1 offset0:105 offset1:106
	;; [unrolled: 1-line block ×6, first 2 shown]
	s_mov_b32 s4, exec_lo
	s_waitcnt vmcnt(25) lgkmcnt(5)
	v_mul_f32_e32 v1, v2, v10
	v_mul_f32_e32 v10, v3, v10
	s_waitcnt vmcnt(24)
	v_mul_f32_e32 v167, v4, v11
	v_mul_f32_e32 v11, v5, v11
	s_waitcnt vmcnt(23) lgkmcnt(4)
	v_mul_f32_e32 v168, v6, v12
	s_waitcnt vmcnt(22)
	v_mul_f32_e32 v169, v8, v144
	s_waitcnt vmcnt(21) lgkmcnt(3)
	v_mul_f32_e32 v170, v128, v145
	s_waitcnt vmcnt(20)
	;; [unrolled: 4-line block ×4, first 2 shown]
	v_mul_f32_e32 v175, v138, v150
	s_waitcnt vmcnt(13)
	v_fma_f32 v2, v2, v153, -v10
	v_fmac_f32_e32 v1, v3, v153
	v_mul_f32_e32 v3, v7, v12
	s_waitcnt vmcnt(12)
	v_fma_f32 v4, v4, v154, -v11
	v_fmac_f32_e32 v167, v5, v154
	v_add_f32_e32 v2, 0, v2
	v_add_f32_e32 v1, 0, v1
	v_mul_f32_e32 v5, v9, v144
	s_waitcnt vmcnt(11)
	v_fma_f32 v3, v6, v155, -v3
	v_fmac_f32_e32 v168, v7, v155
	v_add_f32_e32 v2, v2, v4
	v_add_f32_e32 v1, v1, v167
	;; [unrolled: 6-line block ×8, first 2 shown]
	s_waitcnt lgkmcnt(0)
	v_mul_f32_e32 v4, v141, v151
	s_waitcnt vmcnt(4)
	v_fma_f32 v5, v138, v162, -v5
	v_mul_f32_e32 v176, v140, v151
	v_add_f32_e32 v2, v2, v3
	v_fmac_f32_e32 v175, v139, v162
	v_add_f32_e32 v1, v1, v174
	v_mul_f32_e32 v3, v143, v152
	s_waitcnt vmcnt(3)
	v_fma_f32 v4, v140, v163, -v4
	v_add_f32_e32 v2, v2, v5
	v_mul_f32_e32 v177, v142, v152
	v_fmac_f32_e32 v176, v141, v163
	v_add_f32_e32 v1, v1, v175
	s_waitcnt vmcnt(2)
	v_fma_f32 v3, v142, v164, -v3
	v_add_f32_e32 v2, v2, v4
	v_fmac_f32_e32 v177, v143, v164
	v_add_f32_e32 v1, v1, v176
	v_add_f32_e32 v2, v2, v3
	;; [unrolled: 1-line block ×3, first 2 shown]
	s_waitcnt vmcnt(1)
	v_sub_f32_e32 v2, v165, v2
	s_waitcnt vmcnt(0)
	v_sub_f32_e32 v1, v166, v1
	buffer_store_dword v2, off, s[0:3], 0 offset:352
	buffer_store_dword v1, off, s[0:3], 0 offset:356
	v_cmpx_lt_u32_e32 43, v0
	s_cbranch_execz .LBB120_269
; %bb.268:
	s_clause 0x1
	buffer_load_dword v1, off, s[0:3], 0 offset:344
	buffer_load_dword v2, off, s[0:3], 0 offset:348
	v_mov_b32_e32 v3, 0
	buffer_store_dword v3, off, s[0:3], 0 offset:344
	buffer_store_dword v3, off, s[0:3], 0 offset:348
	s_waitcnt vmcnt(0)
	ds_write_b64 v127, v[1:2]
.LBB120_269:
	s_or_b32 exec_lo, exec_lo, s4
	s_waitcnt lgkmcnt(0)
	s_waitcnt_vscnt null, 0x0
	s_barrier
	buffer_gl0_inv
	s_clause 0x1b
	buffer_load_dword v12, off, s[0:3], 0 offset:356
	buffer_load_dword v144, off, s[0:3], 0 offset:364
	;; [unrolled: 1-line block ×28, first 2 shown]
	v_mov_b32_e32 v1, 0
	ds_read_b128 v[2:5], v1 offset:816
	ds_read_b128 v[6:9], v1 offset:832
	ds_read_b128 v[128:131], v1 offset:848
	ds_read_b128 v[132:135], v1 offset:864
	ds_read_b128 v[136:139], v1 offset:880
	ds_read_b128 v[140:143], v1 offset:896
	ds_read_b64 v[10:11], v1 offset:912
	s_mov_b32 s4, exec_lo
	s_waitcnt vmcnt(27) lgkmcnt(6)
	v_mul_f32_e32 v171, v2, v12
	v_mul_f32_e32 v12, v3, v12
	s_waitcnt vmcnt(26)
	v_mul_f32_e32 v172, v4, v144
	v_mul_f32_e32 v144, v5, v144
	s_waitcnt vmcnt(25) lgkmcnt(5)
	v_mul_f32_e32 v173, v6, v145
	s_waitcnt vmcnt(24)
	v_mul_f32_e32 v174, v8, v146
	s_waitcnt vmcnt(23) lgkmcnt(4)
	v_mul_f32_e32 v175, v128, v147
	s_waitcnt vmcnt(22)
	;; [unrolled: 4-line block ×5, first 2 shown]
	v_fma_f32 v2, v2, v156, -v12
	v_fmac_f32_e32 v171, v3, v156
	v_mul_f32_e32 v3, v7, v145
	s_waitcnt vmcnt(13)
	v_fma_f32 v4, v4, v157, -v144
	v_fmac_f32_e32 v172, v5, v157
	v_add_f32_e32 v2, 0, v2
	v_add_f32_e32 v5, 0, v171
	v_mul_f32_e32 v12, v9, v146
	s_waitcnt vmcnt(12)
	v_fma_f32 v3, v6, v158, -v3
	v_fmac_f32_e32 v173, v7, v158
	v_add_f32_e32 v2, v2, v4
	v_add_f32_e32 v4, v5, v172
	v_mul_f32_e32 v5, v129, v147
	s_waitcnt vmcnt(11)
	v_fma_f32 v6, v8, v159, -v12
	v_fmac_f32_e32 v174, v9, v159
	v_add_f32_e32 v2, v2, v3
	v_add_f32_e32 v3, v4, v173
	v_mul_f32_e32 v4, v131, v148
	s_waitcnt vmcnt(10)
	v_fma_f32 v5, v128, v160, -v5
	v_fmac_f32_e32 v175, v129, v160
	v_add_f32_e32 v2, v2, v6
	v_add_f32_e32 v3, v3, v174
	v_mul_f32_e32 v6, v133, v149
	s_waitcnt vmcnt(9)
	v_fma_f32 v4, v130, v161, -v4
	v_fmac_f32_e32 v176, v131, v161
	v_add_f32_e32 v2, v2, v5
	v_add_f32_e32 v3, v3, v175
	v_mul_f32_e32 v5, v135, v150
	s_waitcnt vmcnt(8)
	v_fma_f32 v6, v132, v162, -v6
	v_fmac_f32_e32 v177, v133, v162
	v_add_f32_e32 v2, v2, v4
	v_add_f32_e32 v3, v3, v176
	v_mul_f32_e32 v4, v137, v151
	s_waitcnt vmcnt(7)
	v_fma_f32 v5, v134, v163, -v5
	v_fmac_f32_e32 v178, v135, v163
	v_add_f32_e32 v2, v2, v6
	v_add_f32_e32 v3, v3, v177
	v_mul_f32_e32 v6, v139, v152
	s_waitcnt vmcnt(6)
	v_fma_f32 v4, v136, v164, -v4
	v_fmac_f32_e32 v179, v137, v164
	v_add_f32_e32 v2, v2, v5
	v_add_f32_e32 v3, v3, v178
	v_mul_f32_e32 v5, v141, v153
	s_waitcnt vmcnt(5)
	v_fma_f32 v6, v138, v165, -v6
	v_fmac_f32_e32 v180, v139, v165
	v_add_f32_e32 v2, v2, v4
	v_add_f32_e32 v3, v3, v179
	v_mul_f32_e32 v4, v143, v154
	s_waitcnt vmcnt(4)
	v_fma_f32 v5, v140, v166, -v5
	v_mul_f32_e32 v182, v142, v154
	v_add_f32_e32 v2, v2, v6
	v_fmac_f32_e32 v181, v141, v166
	v_add_f32_e32 v3, v3, v180
	s_waitcnt lgkmcnt(0)
	v_mul_f32_e32 v6, v11, v155
	s_waitcnt vmcnt(3)
	v_fma_f32 v4, v142, v167, -v4
	v_add_f32_e32 v2, v2, v5
	v_mul_f32_e32 v183, v10, v155
	v_fmac_f32_e32 v182, v143, v167
	v_add_f32_e32 v3, v3, v181
	s_waitcnt vmcnt(2)
	v_fma_f32 v5, v10, v168, -v6
	v_add_f32_e32 v2, v2, v4
	v_fmac_f32_e32 v183, v11, v168
	v_add_f32_e32 v3, v3, v182
	v_add_f32_e32 v2, v2, v5
	;; [unrolled: 1-line block ×3, first 2 shown]
	s_waitcnt vmcnt(1)
	v_sub_f32_e32 v2, v169, v2
	s_waitcnt vmcnt(0)
	v_sub_f32_e32 v3, v170, v3
	buffer_store_dword v2, off, s[0:3], 0 offset:344
	buffer_store_dword v3, off, s[0:3], 0 offset:348
	v_cmpx_lt_u32_e32 42, v0
	s_cbranch_execz .LBB120_271
; %bb.270:
	s_clause 0x1
	buffer_load_dword v2, off, s[0:3], 0 offset:336
	buffer_load_dword v3, off, s[0:3], 0 offset:340
	buffer_store_dword v1, off, s[0:3], 0 offset:336
	buffer_store_dword v1, off, s[0:3], 0 offset:340
	s_waitcnt vmcnt(0)
	ds_write_b64 v127, v[2:3]
.LBB120_271:
	s_or_b32 exec_lo, exec_lo, s4
	s_waitcnt lgkmcnt(0)
	s_waitcnt_vscnt null, 0x0
	s_barrier
	buffer_gl0_inv
	s_clause 0x1d
	buffer_load_dword v10, off, s[0:3], 0 offset:348
	buffer_load_dword v11, off, s[0:3], 0 offset:356
	;; [unrolled: 1-line block ×30, first 2 shown]
	ds_read2_b64 v[2:5], v1 offset0:101 offset1:102
	ds_read2_b64 v[6:9], v1 offset0:103 offset1:104
	ds_read2_b64 v[128:131], v1 offset0:105 offset1:106
	ds_read2_b64 v[132:135], v1 offset0:107 offset1:108
	ds_read2_b64 v[136:139], v1 offset0:109 offset1:110
	ds_read2_b64 v[140:143], v1 offset0:111 offset1:112
	ds_read2_b64 v[144:147], v1 offset0:113 offset1:114
	s_mov_b32 s4, exec_lo
	s_waitcnt vmcnt(29) lgkmcnt(6)
	v_mul_f32_e32 v1, v2, v10
	v_mul_f32_e32 v10, v3, v10
	s_waitcnt vmcnt(28)
	v_mul_f32_e32 v175, v4, v11
	v_mul_f32_e32 v11, v5, v11
	s_waitcnt vmcnt(27) lgkmcnt(5)
	v_mul_f32_e32 v176, v6, v12
	s_waitcnt vmcnt(26)
	v_mul_f32_e32 v177, v8, v148
	s_waitcnt vmcnt(25) lgkmcnt(4)
	v_mul_f32_e32 v178, v128, v149
	s_waitcnt vmcnt(24)
	;; [unrolled: 4-line block ×5, first 2 shown]
	v_mul_f32_e32 v185, v142, v156
	s_waitcnt vmcnt(15)
	v_fma_f32 v2, v2, v159, -v10
	v_fmac_f32_e32 v1, v3, v159
	v_mul_f32_e32 v3, v7, v12
	s_waitcnt vmcnt(14)
	v_fma_f32 v4, v4, v160, -v11
	v_fmac_f32_e32 v175, v5, v160
	v_add_f32_e32 v2, 0, v2
	v_add_f32_e32 v1, 0, v1
	v_mul_f32_e32 v5, v9, v148
	s_waitcnt vmcnt(13)
	v_fma_f32 v3, v6, v161, -v3
	v_fmac_f32_e32 v176, v7, v161
	v_add_f32_e32 v2, v2, v4
	v_add_f32_e32 v1, v1, v175
	;; [unrolled: 6-line block ×10, first 2 shown]
	s_waitcnt lgkmcnt(0)
	v_mul_f32_e32 v5, v145, v157
	s_waitcnt vmcnt(4)
	v_fma_f32 v3, v142, v170, -v3
	v_mul_f32_e32 v186, v144, v157
	v_add_f32_e32 v2, v2, v4
	v_fmac_f32_e32 v185, v143, v170
	v_add_f32_e32 v1, v1, v184
	v_mul_f32_e32 v4, v147, v158
	s_waitcnt vmcnt(3)
	v_fma_f32 v5, v144, v171, -v5
	v_add_f32_e32 v2, v2, v3
	v_mul_f32_e32 v187, v146, v158
	v_fmac_f32_e32 v186, v145, v171
	v_add_f32_e32 v1, v1, v185
	s_waitcnt vmcnt(2)
	v_fma_f32 v3, v146, v172, -v4
	v_add_f32_e32 v2, v2, v5
	v_fmac_f32_e32 v187, v147, v172
	v_add_f32_e32 v1, v1, v186
	v_add_f32_e32 v2, v2, v3
	;; [unrolled: 1-line block ×3, first 2 shown]
	s_waitcnt vmcnt(1)
	v_sub_f32_e32 v2, v173, v2
	s_waitcnt vmcnt(0)
	v_sub_f32_e32 v1, v174, v1
	buffer_store_dword v2, off, s[0:3], 0 offset:336
	buffer_store_dword v1, off, s[0:3], 0 offset:340
	v_cmpx_lt_u32_e32 41, v0
	s_cbranch_execz .LBB120_273
; %bb.272:
	s_clause 0x1
	buffer_load_dword v1, off, s[0:3], 0 offset:328
	buffer_load_dword v2, off, s[0:3], 0 offset:332
	v_mov_b32_e32 v3, 0
	buffer_store_dword v3, off, s[0:3], 0 offset:328
	buffer_store_dword v3, off, s[0:3], 0 offset:332
	s_waitcnt vmcnt(0)
	ds_write_b64 v127, v[1:2]
.LBB120_273:
	s_or_b32 exec_lo, exec_lo, s4
	s_waitcnt lgkmcnt(0)
	s_waitcnt_vscnt null, 0x0
	s_barrier
	buffer_gl0_inv
	s_clause 0x1f
	buffer_load_dword v12, off, s[0:3], 0 offset:340
	buffer_load_dword v148, off, s[0:3], 0 offset:348
	;; [unrolled: 1-line block ×32, first 2 shown]
	v_mov_b32_e32 v1, 0
	ds_read_b128 v[2:5], v1 offset:800
	ds_read_b128 v[6:9], v1 offset:816
	;; [unrolled: 1-line block ×7, first 2 shown]
	ds_read_b64 v[10:11], v1 offset:912
	s_mov_b32 s4, exec_lo
	s_waitcnt vmcnt(31) lgkmcnt(7)
	v_mul_f32_e32 v179, v2, v12
	v_mul_f32_e32 v12, v3, v12
	s_waitcnt vmcnt(30)
	v_mul_f32_e32 v180, v4, v148
	v_mul_f32_e32 v148, v5, v148
	s_waitcnt vmcnt(29) lgkmcnt(6)
	v_mul_f32_e32 v181, v6, v149
	s_waitcnt vmcnt(28)
	v_mul_f32_e32 v182, v8, v150
	s_waitcnt vmcnt(27) lgkmcnt(5)
	v_mul_f32_e32 v183, v128, v151
	s_waitcnt vmcnt(26)
	;; [unrolled: 4-line block ×6, first 2 shown]
	v_fma_f32 v2, v2, v162, -v12
	v_fmac_f32_e32 v179, v3, v162
	v_mul_f32_e32 v3, v7, v149
	s_waitcnt vmcnt(15)
	v_fma_f32 v4, v4, v163, -v148
	v_fmac_f32_e32 v180, v5, v163
	v_add_f32_e32 v2, 0, v2
	v_add_f32_e32 v5, 0, v179
	v_mul_f32_e32 v12, v9, v150
	s_waitcnt vmcnt(14)
	v_fma_f32 v3, v6, v164, -v3
	v_fmac_f32_e32 v181, v7, v164
	v_add_f32_e32 v2, v2, v4
	v_add_f32_e32 v4, v5, v180
	;; [unrolled: 6-line block ×11, first 2 shown]
	v_mul_f32_e32 v5, v147, v160
	s_waitcnt vmcnt(4)
	v_fma_f32 v6, v144, v174, -v6
	v_mul_f32_e32 v192, v146, v160
	v_add_f32_e32 v2, v2, v4
	v_fmac_f32_e32 v191, v145, v174
	v_add_f32_e32 v3, v3, v190
	s_waitcnt lgkmcnt(0)
	v_mul_f32_e32 v4, v11, v161
	s_waitcnt vmcnt(3)
	v_fma_f32 v5, v146, v175, -v5
	v_add_f32_e32 v2, v2, v6
	v_mul_f32_e32 v193, v10, v161
	v_fmac_f32_e32 v192, v147, v175
	v_add_f32_e32 v3, v3, v191
	s_waitcnt vmcnt(2)
	v_fma_f32 v4, v10, v176, -v4
	v_add_f32_e32 v2, v2, v5
	v_fmac_f32_e32 v193, v11, v176
	v_add_f32_e32 v3, v3, v192
	v_add_f32_e32 v2, v2, v4
	;; [unrolled: 1-line block ×3, first 2 shown]
	s_waitcnt vmcnt(1)
	v_sub_f32_e32 v2, v177, v2
	s_waitcnt vmcnt(0)
	v_sub_f32_e32 v3, v178, v3
	buffer_store_dword v2, off, s[0:3], 0 offset:328
	buffer_store_dword v3, off, s[0:3], 0 offset:332
	v_cmpx_lt_u32_e32 40, v0
	s_cbranch_execz .LBB120_275
; %bb.274:
	s_clause 0x1
	buffer_load_dword v2, off, s[0:3], 0 offset:320
	buffer_load_dword v3, off, s[0:3], 0 offset:324
	buffer_store_dword v1, off, s[0:3], 0 offset:320
	buffer_store_dword v1, off, s[0:3], 0 offset:324
	s_waitcnt vmcnt(0)
	ds_write_b64 v127, v[2:3]
.LBB120_275:
	s_or_b32 exec_lo, exec_lo, s4
	s_waitcnt lgkmcnt(0)
	s_waitcnt_vscnt null, 0x0
	s_barrier
	buffer_gl0_inv
	s_clause 0x21
	buffer_load_dword v10, off, s[0:3], 0 offset:332
	buffer_load_dword v11, off, s[0:3], 0 offset:340
	buffer_load_dword v12, off, s[0:3], 0 offset:348
	buffer_load_dword v152, off, s[0:3], 0 offset:356
	buffer_load_dword v153, off, s[0:3], 0 offset:364
	buffer_load_dword v154, off, s[0:3], 0 offset:372
	buffer_load_dword v155, off, s[0:3], 0 offset:380
	buffer_load_dword v156, off, s[0:3], 0 offset:388
	buffer_load_dword v157, off, s[0:3], 0 offset:396
	buffer_load_dword v158, off, s[0:3], 0 offset:404
	buffer_load_dword v159, off, s[0:3], 0 offset:412
	buffer_load_dword v160, off, s[0:3], 0 offset:420
	buffer_load_dword v161, off, s[0:3], 0 offset:428
	buffer_load_dword v162, off, s[0:3], 0 offset:436
	buffer_load_dword v163, off, s[0:3], 0 offset:444
	buffer_load_dword v164, off, s[0:3], 0 offset:452
	buffer_load_dword v165, off, s[0:3], 0 offset:328
	buffer_load_dword v166, off, s[0:3], 0 offset:336
	buffer_load_dword v167, off, s[0:3], 0 offset:344
	buffer_load_dword v168, off, s[0:3], 0 offset:352
	buffer_load_dword v169, off, s[0:3], 0 offset:360
	buffer_load_dword v170, off, s[0:3], 0 offset:368
	buffer_load_dword v171, off, s[0:3], 0 offset:376
	buffer_load_dword v172, off, s[0:3], 0 offset:384
	buffer_load_dword v173, off, s[0:3], 0 offset:392
	buffer_load_dword v174, off, s[0:3], 0 offset:400
	buffer_load_dword v175, off, s[0:3], 0 offset:408
	buffer_load_dword v176, off, s[0:3], 0 offset:416
	buffer_load_dword v177, off, s[0:3], 0 offset:424
	buffer_load_dword v178, off, s[0:3], 0 offset:432
	buffer_load_dword v179, off, s[0:3], 0 offset:440
	buffer_load_dword v180, off, s[0:3], 0 offset:448
	buffer_load_dword v181, off, s[0:3], 0 offset:320
	buffer_load_dword v182, off, s[0:3], 0 offset:324
	ds_read2_b64 v[2:5], v1 offset0:99 offset1:100
	ds_read2_b64 v[6:9], v1 offset0:101 offset1:102
	;; [unrolled: 1-line block ×8, first 2 shown]
	s_mov_b32 s4, exec_lo
	s_waitcnt vmcnt(33) lgkmcnt(7)
	v_mul_f32_e32 v1, v2, v10
	v_mul_f32_e32 v10, v3, v10
	s_waitcnt vmcnt(32)
	v_mul_f32_e32 v183, v4, v11
	v_mul_f32_e32 v11, v5, v11
	s_waitcnt vmcnt(31) lgkmcnt(6)
	v_mul_f32_e32 v184, v6, v12
	s_waitcnt vmcnt(30)
	v_mul_f32_e32 v185, v8, v152
	s_waitcnt vmcnt(29) lgkmcnt(5)
	v_mul_f32_e32 v186, v128, v153
	s_waitcnt vmcnt(28)
	;; [unrolled: 4-line block ×6, first 2 shown]
	v_mul_f32_e32 v195, v146, v162
	s_waitcnt vmcnt(17)
	v_fma_f32 v2, v2, v165, -v10
	v_fmac_f32_e32 v1, v3, v165
	v_mul_f32_e32 v3, v7, v12
	s_waitcnt vmcnt(16)
	v_fma_f32 v4, v4, v166, -v11
	v_fmac_f32_e32 v183, v5, v166
	v_add_f32_e32 v2, 0, v2
	v_add_f32_e32 v1, 0, v1
	v_mul_f32_e32 v5, v9, v152
	s_waitcnt vmcnt(15)
	v_fma_f32 v3, v6, v167, -v3
	v_fmac_f32_e32 v184, v7, v167
	v_add_f32_e32 v2, v2, v4
	v_add_f32_e32 v1, v1, v183
	;; [unrolled: 6-line block ×12, first 2 shown]
	s_waitcnt lgkmcnt(0)
	v_mul_f32_e32 v3, v149, v163
	s_waitcnt vmcnt(4)
	v_fma_f32 v4, v146, v178, -v4
	v_mul_f32_e32 v196, v148, v163
	v_add_f32_e32 v2, v2, v5
	v_fmac_f32_e32 v195, v147, v178
	v_add_f32_e32 v1, v1, v194
	v_mul_f32_e32 v5, v151, v164
	s_waitcnt vmcnt(3)
	v_fma_f32 v3, v148, v179, -v3
	v_add_f32_e32 v2, v2, v4
	v_mul_f32_e32 v197, v150, v164
	v_fmac_f32_e32 v196, v149, v179
	v_add_f32_e32 v1, v1, v195
	s_waitcnt vmcnt(2)
	v_fma_f32 v4, v150, v180, -v5
	v_add_f32_e32 v2, v2, v3
	v_fmac_f32_e32 v197, v151, v180
	v_add_f32_e32 v1, v1, v196
	v_add_f32_e32 v2, v2, v4
	;; [unrolled: 1-line block ×3, first 2 shown]
	s_waitcnt vmcnt(1)
	v_sub_f32_e32 v2, v181, v2
	s_waitcnt vmcnt(0)
	v_sub_f32_e32 v1, v182, v1
	buffer_store_dword v2, off, s[0:3], 0 offset:320
	buffer_store_dword v1, off, s[0:3], 0 offset:324
	v_cmpx_lt_u32_e32 39, v0
	s_cbranch_execz .LBB120_277
; %bb.276:
	s_clause 0x1
	buffer_load_dword v1, off, s[0:3], 0 offset:312
	buffer_load_dword v2, off, s[0:3], 0 offset:316
	v_mov_b32_e32 v3, 0
	buffer_store_dword v3, off, s[0:3], 0 offset:312
	buffer_store_dword v3, off, s[0:3], 0 offset:316
	s_waitcnt vmcnt(0)
	ds_write_b64 v127, v[1:2]
.LBB120_277:
	s_or_b32 exec_lo, exec_lo, s4
	s_waitcnt lgkmcnt(0)
	s_waitcnt_vscnt null, 0x0
	s_barrier
	buffer_gl0_inv
	s_clause 0x23
	buffer_load_dword v12, off, s[0:3], 0 offset:324
	buffer_load_dword v152, off, s[0:3], 0 offset:332
	;; [unrolled: 1-line block ×36, first 2 shown]
	v_mov_b32_e32 v1, 0
	ds_read_b128 v[2:5], v1 offset:784
	ds_read_b128 v[6:9], v1 offset:800
	;; [unrolled: 1-line block ×8, first 2 shown]
	ds_read_b64 v[10:11], v1 offset:912
	s_mov_b32 s4, exec_lo
	s_waitcnt vmcnt(35) lgkmcnt(8)
	v_mul_f32_e32 v187, v2, v12
	v_mul_f32_e32 v12, v3, v12
	s_waitcnt vmcnt(34)
	v_mul_f32_e32 v188, v4, v152
	v_mul_f32_e32 v152, v5, v152
	s_waitcnt vmcnt(33) lgkmcnt(7)
	v_mul_f32_e32 v189, v6, v153
	s_waitcnt vmcnt(32)
	v_mul_f32_e32 v190, v8, v154
	s_waitcnt vmcnt(31) lgkmcnt(6)
	v_mul_f32_e32 v191, v128, v155
	s_waitcnt vmcnt(30)
	;; [unrolled: 4-line block ×7, first 2 shown]
	v_fma_f32 v2, v2, v168, -v12
	v_fmac_f32_e32 v187, v3, v168
	v_mul_f32_e32 v3, v7, v153
	s_waitcnt vmcnt(17)
	v_fma_f32 v4, v4, v169, -v152
	v_fmac_f32_e32 v188, v5, v169
	v_add_f32_e32 v2, 0, v2
	v_add_f32_e32 v5, 0, v187
	v_mul_f32_e32 v12, v9, v154
	s_waitcnt vmcnt(16)
	v_fma_f32 v3, v6, v170, -v3
	v_fmac_f32_e32 v189, v7, v170
	v_add_f32_e32 v2, v2, v4
	v_add_f32_e32 v4, v5, v188
	;; [unrolled: 6-line block ×13, first 2 shown]
	v_mul_f32_e32 v6, v151, v166
	s_waitcnt vmcnt(4)
	v_fma_f32 v4, v148, v182, -v4
	v_mul_f32_e32 v202, v150, v166
	v_add_f32_e32 v2, v2, v5
	v_fmac_f32_e32 v201, v149, v182
	v_add_f32_e32 v3, v3, v200
	s_waitcnt lgkmcnt(0)
	v_mul_f32_e32 v5, v11, v167
	s_waitcnt vmcnt(3)
	v_fma_f32 v6, v150, v183, -v6
	v_add_f32_e32 v2, v2, v4
	v_mul_f32_e32 v203, v10, v167
	v_fmac_f32_e32 v202, v151, v183
	v_add_f32_e32 v3, v3, v201
	s_waitcnt vmcnt(2)
	v_fma_f32 v4, v10, v184, -v5
	v_add_f32_e32 v2, v2, v6
	v_fmac_f32_e32 v203, v11, v184
	v_add_f32_e32 v3, v3, v202
	v_add_f32_e32 v2, v2, v4
	;; [unrolled: 1-line block ×3, first 2 shown]
	s_waitcnt vmcnt(1)
	v_sub_f32_e32 v2, v185, v2
	s_waitcnt vmcnt(0)
	v_sub_f32_e32 v3, v186, v3
	buffer_store_dword v2, off, s[0:3], 0 offset:312
	buffer_store_dword v3, off, s[0:3], 0 offset:316
	v_cmpx_lt_u32_e32 38, v0
	s_cbranch_execz .LBB120_279
; %bb.278:
	s_clause 0x1
	buffer_load_dword v2, off, s[0:3], 0 offset:304
	buffer_load_dword v3, off, s[0:3], 0 offset:308
	buffer_store_dword v1, off, s[0:3], 0 offset:304
	buffer_store_dword v1, off, s[0:3], 0 offset:308
	s_waitcnt vmcnt(0)
	ds_write_b64 v127, v[2:3]
.LBB120_279:
	s_or_b32 exec_lo, exec_lo, s4
	s_waitcnt lgkmcnt(0)
	s_waitcnt_vscnt null, 0x0
	s_barrier
	buffer_gl0_inv
	s_clause 0x25
	buffer_load_dword v10, off, s[0:3], 0 offset:316
	buffer_load_dword v11, off, s[0:3], 0 offset:324
	;; [unrolled: 1-line block ×38, first 2 shown]
	ds_read2_b64 v[2:5], v1 offset0:97 offset1:98
	ds_read2_b64 v[6:9], v1 offset0:99 offset1:100
	;; [unrolled: 1-line block ×9, first 2 shown]
	s_mov_b32 s4, exec_lo
	s_waitcnt vmcnt(37) lgkmcnt(8)
	v_mul_f32_e32 v1, v2, v10
	v_mul_f32_e32 v10, v3, v10
	s_waitcnt vmcnt(36)
	v_mul_f32_e32 v191, v4, v11
	v_mul_f32_e32 v11, v5, v11
	s_waitcnt vmcnt(35) lgkmcnt(7)
	v_mul_f32_e32 v192, v6, v12
	s_waitcnt vmcnt(34)
	v_mul_f32_e32 v193, v8, v156
	s_waitcnt vmcnt(33) lgkmcnt(6)
	v_mul_f32_e32 v194, v128, v157
	s_waitcnt vmcnt(32)
	;; [unrolled: 4-line block ×7, first 2 shown]
	v_mul_f32_e32 v205, v150, v168
	s_waitcnt vmcnt(19)
	v_fma_f32 v2, v2, v171, -v10
	v_fmac_f32_e32 v1, v3, v171
	v_mul_f32_e32 v3, v7, v12
	s_waitcnt vmcnt(18)
	v_fma_f32 v4, v4, v172, -v11
	v_fmac_f32_e32 v191, v5, v172
	v_add_f32_e32 v2, 0, v2
	v_add_f32_e32 v1, 0, v1
	v_mul_f32_e32 v5, v9, v156
	s_waitcnt vmcnt(17)
	v_fma_f32 v3, v6, v173, -v3
	v_fmac_f32_e32 v192, v7, v173
	v_add_f32_e32 v2, v2, v4
	v_add_f32_e32 v1, v1, v191
	;; [unrolled: 6-line block ×14, first 2 shown]
	s_waitcnt lgkmcnt(0)
	v_mul_f32_e32 v4, v153, v169
	s_waitcnt vmcnt(4)
	v_fma_f32 v5, v150, v186, -v5
	v_mul_f32_e32 v206, v152, v169
	v_add_f32_e32 v2, v2, v3
	v_fmac_f32_e32 v205, v151, v186
	v_add_f32_e32 v1, v1, v204
	v_mul_f32_e32 v3, v155, v170
	s_waitcnt vmcnt(3)
	v_fma_f32 v4, v152, v187, -v4
	v_add_f32_e32 v2, v2, v5
	v_mul_f32_e32 v207, v154, v170
	v_fmac_f32_e32 v206, v153, v187
	v_add_f32_e32 v1, v1, v205
	s_waitcnt vmcnt(2)
	v_fma_f32 v3, v154, v188, -v3
	v_add_f32_e32 v2, v2, v4
	v_fmac_f32_e32 v207, v155, v188
	v_add_f32_e32 v1, v1, v206
	v_add_f32_e32 v2, v2, v3
	v_add_f32_e32 v1, v1, v207
	s_waitcnt vmcnt(1)
	v_sub_f32_e32 v2, v189, v2
	s_waitcnt vmcnt(0)
	v_sub_f32_e32 v1, v190, v1
	buffer_store_dword v2, off, s[0:3], 0 offset:304
	buffer_store_dword v1, off, s[0:3], 0 offset:308
	v_cmpx_lt_u32_e32 37, v0
	s_cbranch_execz .LBB120_281
; %bb.280:
	s_clause 0x1
	buffer_load_dword v1, off, s[0:3], 0 offset:296
	buffer_load_dword v2, off, s[0:3], 0 offset:300
	v_mov_b32_e32 v3, 0
	buffer_store_dword v3, off, s[0:3], 0 offset:296
	buffer_store_dword v3, off, s[0:3], 0 offset:300
	s_waitcnt vmcnt(0)
	ds_write_b64 v127, v[1:2]
.LBB120_281:
	s_or_b32 exec_lo, exec_lo, s4
	s_waitcnt lgkmcnt(0)
	s_waitcnt_vscnt null, 0x0
	s_barrier
	buffer_gl0_inv
	s_clause 0x27
	buffer_load_dword v12, off, s[0:3], 0 offset:308
	buffer_load_dword v156, off, s[0:3], 0 offset:316
	;; [unrolled: 1-line block ×40, first 2 shown]
	v_mov_b32_e32 v1, 0
	ds_read_b128 v[2:5], v1 offset:768
	ds_read_b128 v[6:9], v1 offset:784
	;; [unrolled: 1-line block ×9, first 2 shown]
	ds_read_b64 v[10:11], v1 offset:912
	s_mov_b32 s4, exec_lo
	s_waitcnt vmcnt(39) lgkmcnt(9)
	v_mul_f32_e32 v195, v2, v12
	v_mul_f32_e32 v12, v3, v12
	s_waitcnt vmcnt(38)
	v_mul_f32_e32 v196, v4, v156
	v_mul_f32_e32 v156, v5, v156
	s_waitcnt vmcnt(37) lgkmcnt(8)
	v_mul_f32_e32 v197, v6, v157
	s_waitcnt vmcnt(36)
	v_mul_f32_e32 v198, v8, v158
	s_waitcnt vmcnt(35) lgkmcnt(7)
	v_mul_f32_e32 v199, v128, v159
	s_waitcnt vmcnt(34)
	;; [unrolled: 4-line block ×8, first 2 shown]
	v_fma_f32 v2, v2, v174, -v12
	v_fmac_f32_e32 v195, v3, v174
	v_mul_f32_e32 v3, v7, v157
	s_waitcnt vmcnt(19)
	v_fma_f32 v4, v4, v175, -v156
	v_fmac_f32_e32 v196, v5, v175
	v_add_f32_e32 v2, 0, v2
	v_add_f32_e32 v5, 0, v195
	v_mul_f32_e32 v12, v9, v158
	s_waitcnt vmcnt(18)
	v_fma_f32 v3, v6, v176, -v3
	v_fmac_f32_e32 v197, v7, v176
	v_add_f32_e32 v2, v2, v4
	v_add_f32_e32 v4, v5, v196
	;; [unrolled: 6-line block ×15, first 2 shown]
	v_mul_f32_e32 v4, v155, v172
	s_waitcnt vmcnt(4)
	v_fma_f32 v5, v152, v190, -v5
	v_mul_f32_e32 v212, v154, v172
	v_add_f32_e32 v2, v2, v6
	v_fmac_f32_e32 v211, v153, v190
	v_add_f32_e32 v3, v3, v210
	s_waitcnt lgkmcnt(0)
	v_mul_f32_e32 v6, v11, v173
	s_waitcnt vmcnt(3)
	v_fma_f32 v4, v154, v191, -v4
	v_add_f32_e32 v2, v2, v5
	v_mul_f32_e32 v213, v10, v173
	v_fmac_f32_e32 v212, v155, v191
	v_add_f32_e32 v3, v3, v211
	s_waitcnt vmcnt(2)
	v_fma_f32 v5, v10, v192, -v6
	v_add_f32_e32 v2, v2, v4
	v_fmac_f32_e32 v213, v11, v192
	v_add_f32_e32 v3, v3, v212
	v_add_f32_e32 v2, v2, v5
	;; [unrolled: 1-line block ×3, first 2 shown]
	s_waitcnt vmcnt(1)
	v_sub_f32_e32 v2, v193, v2
	s_waitcnt vmcnt(0)
	v_sub_f32_e32 v3, v194, v3
	buffer_store_dword v2, off, s[0:3], 0 offset:296
	buffer_store_dword v3, off, s[0:3], 0 offset:300
	v_cmpx_lt_u32_e32 36, v0
	s_cbranch_execz .LBB120_283
; %bb.282:
	s_clause 0x1
	buffer_load_dword v2, off, s[0:3], 0 offset:288
	buffer_load_dword v3, off, s[0:3], 0 offset:292
	buffer_store_dword v1, off, s[0:3], 0 offset:288
	buffer_store_dword v1, off, s[0:3], 0 offset:292
	s_waitcnt vmcnt(0)
	ds_write_b64 v127, v[2:3]
.LBB120_283:
	s_or_b32 exec_lo, exec_lo, s4
	s_waitcnt lgkmcnt(0)
	s_waitcnt_vscnt null, 0x0
	s_barrier
	buffer_gl0_inv
	s_clause 0x29
	buffer_load_dword v10, off, s[0:3], 0 offset:300
	buffer_load_dword v11, off, s[0:3], 0 offset:308
	;; [unrolled: 1-line block ×42, first 2 shown]
	ds_read2_b64 v[2:5], v1 offset0:95 offset1:96
	ds_read2_b64 v[6:9], v1 offset0:97 offset1:98
	;; [unrolled: 1-line block ×10, first 2 shown]
	s_mov_b32 s4, exec_lo
	s_waitcnt vmcnt(41) lgkmcnt(9)
	v_mul_f32_e32 v1, v2, v10
	v_mul_f32_e32 v10, v3, v10
	s_waitcnt vmcnt(40)
	v_mul_f32_e32 v199, v4, v11
	v_mul_f32_e32 v11, v5, v11
	s_waitcnt vmcnt(39) lgkmcnt(8)
	v_mul_f32_e32 v200, v6, v12
	s_waitcnt vmcnt(38)
	v_mul_f32_e32 v201, v8, v160
	s_waitcnt vmcnt(37) lgkmcnt(7)
	v_mul_f32_e32 v202, v128, v161
	s_waitcnt vmcnt(36)
	;; [unrolled: 4-line block ×8, first 2 shown]
	v_mul_f32_e32 v215, v154, v174
	s_waitcnt vmcnt(21)
	v_fma_f32 v2, v2, v177, -v10
	v_fmac_f32_e32 v1, v3, v177
	v_mul_f32_e32 v3, v7, v12
	s_waitcnt vmcnt(20)
	v_fma_f32 v4, v4, v178, -v11
	v_fmac_f32_e32 v199, v5, v178
	v_add_f32_e32 v2, 0, v2
	v_add_f32_e32 v1, 0, v1
	v_mul_f32_e32 v5, v9, v160
	s_waitcnt vmcnt(19)
	v_fma_f32 v3, v6, v179, -v3
	v_fmac_f32_e32 v200, v7, v179
	v_add_f32_e32 v2, v2, v4
	v_add_f32_e32 v1, v1, v199
	;; [unrolled: 6-line block ×16, first 2 shown]
	s_waitcnt lgkmcnt(0)
	v_mul_f32_e32 v5, v157, v175
	s_waitcnt vmcnt(4)
	v_fma_f32 v3, v154, v194, -v3
	v_mul_f32_e32 v216, v156, v175
	v_add_f32_e32 v2, v2, v4
	v_fmac_f32_e32 v215, v155, v194
	v_add_f32_e32 v1, v1, v214
	v_mul_f32_e32 v4, v159, v176
	s_waitcnt vmcnt(3)
	v_fma_f32 v5, v156, v195, -v5
	v_add_f32_e32 v2, v2, v3
	v_mul_f32_e32 v217, v158, v176
	v_fmac_f32_e32 v216, v157, v195
	v_add_f32_e32 v1, v1, v215
	s_waitcnt vmcnt(2)
	v_fma_f32 v3, v158, v196, -v4
	v_add_f32_e32 v2, v2, v5
	v_fmac_f32_e32 v217, v159, v196
	v_add_f32_e32 v1, v1, v216
	v_add_f32_e32 v2, v2, v3
	;; [unrolled: 1-line block ×3, first 2 shown]
	s_waitcnt vmcnt(1)
	v_sub_f32_e32 v2, v197, v2
	s_waitcnt vmcnt(0)
	v_sub_f32_e32 v1, v198, v1
	buffer_store_dword v2, off, s[0:3], 0 offset:288
	buffer_store_dword v1, off, s[0:3], 0 offset:292
	v_cmpx_lt_u32_e32 35, v0
	s_cbranch_execz .LBB120_285
; %bb.284:
	s_clause 0x1
	buffer_load_dword v1, off, s[0:3], 0 offset:280
	buffer_load_dword v2, off, s[0:3], 0 offset:284
	v_mov_b32_e32 v3, 0
	buffer_store_dword v3, off, s[0:3], 0 offset:280
	buffer_store_dword v3, off, s[0:3], 0 offset:284
	s_waitcnt vmcnt(0)
	ds_write_b64 v127, v[1:2]
.LBB120_285:
	s_or_b32 exec_lo, exec_lo, s4
	s_waitcnt lgkmcnt(0)
	s_waitcnt_vscnt null, 0x0
	s_barrier
	buffer_gl0_inv
	s_clause 0x2b
	buffer_load_dword v12, off, s[0:3], 0 offset:292
	buffer_load_dword v160, off, s[0:3], 0 offset:300
	;; [unrolled: 1-line block ×44, first 2 shown]
	v_mov_b32_e32 v1, 0
	ds_read_b128 v[2:5], v1 offset:752
	ds_read_b128 v[6:9], v1 offset:768
	;; [unrolled: 1-line block ×10, first 2 shown]
	ds_read_b64 v[10:11], v1 offset:912
	s_mov_b32 s4, exec_lo
	s_waitcnt vmcnt(43) lgkmcnt(10)
	v_mul_f32_e32 v203, v2, v12
	v_mul_f32_e32 v12, v3, v12
	s_waitcnt vmcnt(42)
	v_mul_f32_e32 v204, v4, v160
	v_mul_f32_e32 v160, v5, v160
	s_waitcnt vmcnt(41) lgkmcnt(9)
	v_mul_f32_e32 v205, v6, v161
	s_waitcnt vmcnt(40)
	v_mul_f32_e32 v206, v8, v162
	s_waitcnt vmcnt(39) lgkmcnt(8)
	v_mul_f32_e32 v207, v128, v163
	s_waitcnt vmcnt(38)
	;; [unrolled: 4-line block ×9, first 2 shown]
	v_fma_f32 v2, v2, v180, -v12
	v_fmac_f32_e32 v203, v3, v180
	v_mul_f32_e32 v3, v7, v161
	s_waitcnt vmcnt(21)
	v_fma_f32 v4, v4, v181, -v160
	v_fmac_f32_e32 v204, v5, v181
	v_add_f32_e32 v2, 0, v2
	v_add_f32_e32 v5, 0, v203
	v_mul_f32_e32 v12, v9, v162
	s_waitcnt vmcnt(20)
	v_fma_f32 v3, v6, v182, -v3
	v_fmac_f32_e32 v205, v7, v182
	v_add_f32_e32 v2, v2, v4
	v_add_f32_e32 v4, v5, v204
	;; [unrolled: 6-line block ×17, first 2 shown]
	v_mul_f32_e32 v5, v159, v178
	s_waitcnt vmcnt(4)
	v_fma_f32 v6, v156, v198, -v6
	v_mul_f32_e32 v222, v158, v178
	v_add_f32_e32 v2, v2, v4
	v_fmac_f32_e32 v221, v157, v198
	v_add_f32_e32 v3, v3, v220
	s_waitcnt lgkmcnt(0)
	v_mul_f32_e32 v4, v11, v179
	s_waitcnt vmcnt(3)
	v_fma_f32 v5, v158, v199, -v5
	v_add_f32_e32 v2, v2, v6
	v_mul_f32_e32 v223, v10, v179
	v_fmac_f32_e32 v222, v159, v199
	v_add_f32_e32 v3, v3, v221
	s_waitcnt vmcnt(2)
	v_fma_f32 v4, v10, v200, -v4
	v_add_f32_e32 v2, v2, v5
	v_fmac_f32_e32 v223, v11, v200
	v_add_f32_e32 v3, v3, v222
	v_add_f32_e32 v2, v2, v4
	;; [unrolled: 1-line block ×3, first 2 shown]
	s_waitcnt vmcnt(1)
	v_sub_f32_e32 v2, v201, v2
	s_waitcnt vmcnt(0)
	v_sub_f32_e32 v3, v202, v3
	buffer_store_dword v2, off, s[0:3], 0 offset:280
	buffer_store_dword v3, off, s[0:3], 0 offset:284
	v_cmpx_lt_u32_e32 34, v0
	s_cbranch_execz .LBB120_287
; %bb.286:
	s_clause 0x1
	buffer_load_dword v2, off, s[0:3], 0 offset:272
	buffer_load_dword v3, off, s[0:3], 0 offset:276
	buffer_store_dword v1, off, s[0:3], 0 offset:272
	buffer_store_dword v1, off, s[0:3], 0 offset:276
	s_waitcnt vmcnt(0)
	ds_write_b64 v127, v[2:3]
.LBB120_287:
	s_or_b32 exec_lo, exec_lo, s4
	s_waitcnt lgkmcnt(0)
	s_waitcnt_vscnt null, 0x0
	s_barrier
	buffer_gl0_inv
	s_clause 0x2d
	buffer_load_dword v10, off, s[0:3], 0 offset:284
	buffer_load_dword v11, off, s[0:3], 0 offset:292
	;; [unrolled: 1-line block ×46, first 2 shown]
	ds_read2_b64 v[2:5], v1 offset0:93 offset1:94
	ds_read2_b64 v[6:9], v1 offset0:95 offset1:96
	ds_read2_b64 v[128:131], v1 offset0:97 offset1:98
	ds_read2_b64 v[132:135], v1 offset0:99 offset1:100
	ds_read2_b64 v[136:139], v1 offset0:101 offset1:102
	ds_read2_b64 v[140:143], v1 offset0:103 offset1:104
	ds_read2_b64 v[144:147], v1 offset0:105 offset1:106
	ds_read2_b64 v[148:151], v1 offset0:107 offset1:108
	ds_read2_b64 v[152:155], v1 offset0:109 offset1:110
	ds_read2_b64 v[156:159], v1 offset0:111 offset1:112
	ds_read2_b64 v[160:163], v1 offset0:113 offset1:114
	s_mov_b32 s4, exec_lo
	s_waitcnt vmcnt(45) lgkmcnt(10)
	v_mul_f32_e32 v1, v2, v10
	v_mul_f32_e32 v10, v3, v10
	s_waitcnt vmcnt(44)
	v_mul_f32_e32 v207, v4, v11
	v_mul_f32_e32 v11, v5, v11
	s_waitcnt vmcnt(43) lgkmcnt(9)
	v_mul_f32_e32 v208, v6, v12
	s_waitcnt vmcnt(42)
	v_mul_f32_e32 v209, v8, v164
	s_waitcnt vmcnt(41) lgkmcnt(8)
	v_mul_f32_e32 v210, v128, v165
	s_waitcnt vmcnt(40)
	;; [unrolled: 4-line block ×9, first 2 shown]
	v_mul_f32_e32 v225, v158, v180
	s_waitcnt vmcnt(23)
	v_fma_f32 v2, v2, v183, -v10
	v_fmac_f32_e32 v1, v3, v183
	v_mul_f32_e32 v3, v7, v12
	s_waitcnt vmcnt(22)
	v_fma_f32 v4, v4, v184, -v11
	v_fmac_f32_e32 v207, v5, v184
	v_add_f32_e32 v2, 0, v2
	v_add_f32_e32 v1, 0, v1
	v_mul_f32_e32 v5, v9, v164
	s_waitcnt vmcnt(21)
	v_fma_f32 v3, v6, v185, -v3
	v_fmac_f32_e32 v208, v7, v185
	v_add_f32_e32 v2, v2, v4
	v_add_f32_e32 v1, v1, v207
	v_mul_f32_e32 v4, v129, v165
	s_waitcnt vmcnt(20)
	v_fma_f32 v5, v8, v186, -v5
	v_fmac_f32_e32 v209, v9, v186
	v_add_f32_e32 v2, v2, v3
	v_add_f32_e32 v1, v1, v208
	v_mul_f32_e32 v3, v131, v166
	s_waitcnt vmcnt(19)
	v_fma_f32 v4, v128, v187, -v4
	v_fmac_f32_e32 v210, v129, v187
	v_add_f32_e32 v2, v2, v5
	v_add_f32_e32 v1, v1, v209
	v_mul_f32_e32 v5, v133, v167
	s_waitcnt vmcnt(18)
	v_fma_f32 v3, v130, v188, -v3
	v_fmac_f32_e32 v211, v131, v188
	v_add_f32_e32 v2, v2, v4
	v_add_f32_e32 v1, v1, v210
	v_mul_f32_e32 v4, v135, v168
	s_waitcnt vmcnt(17)
	v_fma_f32 v5, v132, v189, -v5
	v_fmac_f32_e32 v212, v133, v189
	v_add_f32_e32 v2, v2, v3
	v_add_f32_e32 v1, v1, v211
	v_mul_f32_e32 v3, v137, v169
	s_waitcnt vmcnt(16)
	v_fma_f32 v4, v134, v190, -v4
	v_fmac_f32_e32 v213, v135, v190
	v_add_f32_e32 v2, v2, v5
	v_add_f32_e32 v1, v1, v212
	v_mul_f32_e32 v5, v139, v170
	s_waitcnt vmcnt(15)
	v_fma_f32 v3, v136, v191, -v3
	v_fmac_f32_e32 v214, v137, v191
	v_add_f32_e32 v2, v2, v4
	v_add_f32_e32 v1, v1, v213
	v_mul_f32_e32 v4, v141, v171
	s_waitcnt vmcnt(14)
	v_fma_f32 v5, v138, v192, -v5
	v_fmac_f32_e32 v215, v139, v192
	v_add_f32_e32 v2, v2, v3
	v_add_f32_e32 v1, v1, v214
	v_mul_f32_e32 v3, v143, v172
	s_waitcnt vmcnt(13)
	v_fma_f32 v4, v140, v193, -v4
	v_fmac_f32_e32 v216, v141, v193
	v_add_f32_e32 v2, v2, v5
	v_add_f32_e32 v1, v1, v215
	v_mul_f32_e32 v5, v145, v173
	s_waitcnt vmcnt(12)
	v_fma_f32 v3, v142, v194, -v3
	v_fmac_f32_e32 v217, v143, v194
	v_add_f32_e32 v2, v2, v4
	v_add_f32_e32 v1, v1, v216
	v_mul_f32_e32 v4, v147, v174
	s_waitcnt vmcnt(11)
	v_fma_f32 v5, v144, v195, -v5
	v_fmac_f32_e32 v218, v145, v195
	v_add_f32_e32 v2, v2, v3
	v_add_f32_e32 v1, v1, v217
	v_mul_f32_e32 v3, v149, v175
	s_waitcnt vmcnt(10)
	v_fma_f32 v4, v146, v196, -v4
	v_fmac_f32_e32 v219, v147, v196
	v_add_f32_e32 v2, v2, v5
	v_add_f32_e32 v1, v1, v218
	v_mul_f32_e32 v5, v151, v176
	s_waitcnt vmcnt(9)
	v_fma_f32 v3, v148, v197, -v3
	v_fmac_f32_e32 v220, v149, v197
	v_add_f32_e32 v2, v2, v4
	v_add_f32_e32 v1, v1, v219
	v_mul_f32_e32 v4, v153, v177
	s_waitcnt vmcnt(8)
	v_fma_f32 v5, v150, v198, -v5
	v_fmac_f32_e32 v221, v151, v198
	v_add_f32_e32 v2, v2, v3
	v_add_f32_e32 v1, v1, v220
	v_mul_f32_e32 v3, v155, v178
	s_waitcnt vmcnt(7)
	v_fma_f32 v4, v152, v199, -v4
	v_fmac_f32_e32 v222, v153, v199
	v_add_f32_e32 v2, v2, v5
	v_add_f32_e32 v1, v1, v221
	v_mul_f32_e32 v5, v157, v179
	s_waitcnt vmcnt(6)
	v_fma_f32 v3, v154, v200, -v3
	v_fmac_f32_e32 v223, v155, v200
	v_add_f32_e32 v2, v2, v4
	v_add_f32_e32 v1, v1, v222
	v_mul_f32_e32 v4, v159, v180
	s_waitcnt vmcnt(5)
	v_fma_f32 v5, v156, v201, -v5
	v_fmac_f32_e32 v224, v157, v201
	v_add_f32_e32 v2, v2, v3
	v_add_f32_e32 v1, v1, v223
	s_waitcnt lgkmcnt(0)
	v_mul_f32_e32 v3, v161, v181
	s_waitcnt vmcnt(4)
	v_fma_f32 v4, v158, v202, -v4
	v_mul_f32_e32 v226, v160, v181
	v_add_f32_e32 v2, v2, v5
	v_fmac_f32_e32 v225, v159, v202
	v_add_f32_e32 v1, v1, v224
	v_mul_f32_e32 v5, v163, v182
	s_waitcnt vmcnt(3)
	v_fma_f32 v3, v160, v203, -v3
	v_add_f32_e32 v2, v2, v4
	v_mul_f32_e32 v227, v162, v182
	v_fmac_f32_e32 v226, v161, v203
	v_add_f32_e32 v1, v1, v225
	s_waitcnt vmcnt(2)
	v_fma_f32 v4, v162, v204, -v5
	v_add_f32_e32 v2, v2, v3
	v_fmac_f32_e32 v227, v163, v204
	v_add_f32_e32 v1, v1, v226
	v_add_f32_e32 v2, v2, v4
	;; [unrolled: 1-line block ×3, first 2 shown]
	s_waitcnt vmcnt(1)
	v_sub_f32_e32 v2, v205, v2
	s_waitcnt vmcnt(0)
	v_sub_f32_e32 v1, v206, v1
	buffer_store_dword v2, off, s[0:3], 0 offset:272
	buffer_store_dword v1, off, s[0:3], 0 offset:276
	v_cmpx_lt_u32_e32 33, v0
	s_cbranch_execz .LBB120_289
; %bb.288:
	s_clause 0x1
	buffer_load_dword v1, off, s[0:3], 0 offset:264
	buffer_load_dword v2, off, s[0:3], 0 offset:268
	v_mov_b32_e32 v3, 0
	buffer_store_dword v3, off, s[0:3], 0 offset:264
	buffer_store_dword v3, off, s[0:3], 0 offset:268
	s_waitcnt vmcnt(0)
	ds_write_b64 v127, v[1:2]
.LBB120_289:
	s_or_b32 exec_lo, exec_lo, s4
	s_waitcnt lgkmcnt(0)
	s_waitcnt_vscnt null, 0x0
	s_barrier
	buffer_gl0_inv
	s_clause 0x2f
	buffer_load_dword v12, off, s[0:3], 0 offset:276
	buffer_load_dword v164, off, s[0:3], 0 offset:284
	;; [unrolled: 1-line block ×48, first 2 shown]
	v_mov_b32_e32 v1, 0
	ds_read_b128 v[2:5], v1 offset:736
	ds_read_b128 v[6:9], v1 offset:752
	;; [unrolled: 1-line block ×11, first 2 shown]
	ds_read_b64 v[10:11], v1 offset:912
	s_mov_b32 s4, exec_lo
	s_waitcnt vmcnt(47) lgkmcnt(11)
	v_mul_f32_e32 v211, v2, v12
	v_mul_f32_e32 v12, v3, v12
	s_waitcnt vmcnt(46)
	v_mul_f32_e32 v212, v4, v164
	v_mul_f32_e32 v164, v5, v164
	s_waitcnt vmcnt(45) lgkmcnt(10)
	v_mul_f32_e32 v213, v6, v165
	s_waitcnt vmcnt(44)
	v_mul_f32_e32 v214, v8, v166
	s_waitcnt vmcnt(43) lgkmcnt(9)
	v_mul_f32_e32 v215, v128, v167
	s_waitcnt vmcnt(42)
	;; [unrolled: 4-line block ×10, first 2 shown]
	v_fma_f32 v2, v2, v186, -v12
	v_fmac_f32_e32 v211, v3, v186
	v_mul_f32_e32 v3, v7, v165
	s_waitcnt vmcnt(23)
	v_fma_f32 v4, v4, v187, -v164
	v_fmac_f32_e32 v212, v5, v187
	v_add_f32_e32 v2, 0, v2
	v_add_f32_e32 v5, 0, v211
	v_mul_f32_e32 v12, v9, v166
	s_waitcnt vmcnt(22)
	v_fma_f32 v3, v6, v188, -v3
	v_fmac_f32_e32 v213, v7, v188
	v_add_f32_e32 v2, v2, v4
	v_add_f32_e32 v4, v5, v212
	;; [unrolled: 6-line block ×19, first 2 shown]
	v_mul_f32_e32 v6, v163, v184
	s_waitcnt vmcnt(4)
	v_fma_f32 v4, v160, v206, -v4
	v_mul_f32_e32 v232, v162, v184
	v_add_f32_e32 v2, v2, v5
	v_fmac_f32_e32 v231, v161, v206
	v_add_f32_e32 v3, v3, v230
	s_waitcnt lgkmcnt(0)
	v_mul_f32_e32 v5, v11, v185
	s_waitcnt vmcnt(3)
	v_fma_f32 v6, v162, v207, -v6
	v_add_f32_e32 v2, v2, v4
	v_mul_f32_e32 v233, v10, v185
	v_fmac_f32_e32 v232, v163, v207
	v_add_f32_e32 v3, v3, v231
	s_waitcnt vmcnt(2)
	v_fma_f32 v4, v10, v208, -v5
	v_add_f32_e32 v2, v2, v6
	v_fmac_f32_e32 v233, v11, v208
	v_add_f32_e32 v3, v3, v232
	v_add_f32_e32 v2, v2, v4
	;; [unrolled: 1-line block ×3, first 2 shown]
	s_waitcnt vmcnt(1)
	v_sub_f32_e32 v2, v209, v2
	s_waitcnt vmcnt(0)
	v_sub_f32_e32 v3, v210, v3
	buffer_store_dword v2, off, s[0:3], 0 offset:264
	buffer_store_dword v3, off, s[0:3], 0 offset:268
	v_cmpx_lt_u32_e32 32, v0
	s_cbranch_execz .LBB120_291
; %bb.290:
	s_clause 0x1
	buffer_load_dword v2, off, s[0:3], 0 offset:256
	buffer_load_dword v3, off, s[0:3], 0 offset:260
	buffer_store_dword v1, off, s[0:3], 0 offset:256
	buffer_store_dword v1, off, s[0:3], 0 offset:260
	s_waitcnt vmcnt(0)
	ds_write_b64 v127, v[2:3]
.LBB120_291:
	s_or_b32 exec_lo, exec_lo, s4
	s_waitcnt lgkmcnt(0)
	s_waitcnt_vscnt null, 0x0
	s_barrier
	buffer_gl0_inv
	s_clause 0x31
	buffer_load_dword v10, off, s[0:3], 0 offset:268
	buffer_load_dword v11, off, s[0:3], 0 offset:276
	;; [unrolled: 1-line block ×50, first 2 shown]
	ds_read2_b64 v[2:5], v1 offset0:91 offset1:92
	ds_read2_b64 v[6:9], v1 offset0:93 offset1:94
	;; [unrolled: 1-line block ×12, first 2 shown]
	s_mov_b32 s4, exec_lo
	s_waitcnt vmcnt(49) lgkmcnt(11)
	v_mul_f32_e32 v1, v2, v10
	v_mul_f32_e32 v10, v3, v10
	s_waitcnt vmcnt(48)
	v_mul_f32_e32 v215, v4, v11
	v_mul_f32_e32 v11, v5, v11
	s_waitcnt vmcnt(47) lgkmcnt(10)
	v_mul_f32_e32 v216, v6, v12
	s_waitcnt vmcnt(46)
	v_mul_f32_e32 v217, v8, v168
	s_waitcnt vmcnt(45) lgkmcnt(9)
	v_mul_f32_e32 v218, v128, v169
	s_waitcnt vmcnt(44)
	;; [unrolled: 4-line block ×10, first 2 shown]
	v_mul_f32_e32 v235, v162, v186
	s_waitcnt vmcnt(25)
	v_fma_f32 v2, v2, v189, -v10
	v_fmac_f32_e32 v1, v3, v189
	v_mul_f32_e32 v3, v7, v12
	s_waitcnt vmcnt(24)
	v_fma_f32 v4, v4, v190, -v11
	v_fmac_f32_e32 v215, v5, v190
	v_add_f32_e32 v2, 0, v2
	v_add_f32_e32 v1, 0, v1
	v_mul_f32_e32 v5, v9, v168
	s_waitcnt vmcnt(23)
	v_fma_f32 v3, v6, v191, -v3
	v_fmac_f32_e32 v216, v7, v191
	v_add_f32_e32 v2, v2, v4
	v_add_f32_e32 v1, v1, v215
	;; [unrolled: 6-line block ×20, first 2 shown]
	s_waitcnt lgkmcnt(0)
	v_mul_f32_e32 v4, v165, v187
	s_waitcnt vmcnt(4)
	v_fma_f32 v5, v162, v210, -v5
	v_mul_f32_e32 v236, v164, v187
	v_add_f32_e32 v2, v2, v3
	v_fmac_f32_e32 v235, v163, v210
	v_add_f32_e32 v1, v1, v234
	v_mul_f32_e32 v3, v167, v188
	s_waitcnt vmcnt(3)
	v_fma_f32 v4, v164, v211, -v4
	v_add_f32_e32 v2, v2, v5
	v_mul_f32_e32 v237, v166, v188
	v_fmac_f32_e32 v236, v165, v211
	v_add_f32_e32 v1, v1, v235
	s_waitcnt vmcnt(2)
	v_fma_f32 v3, v166, v212, -v3
	v_add_f32_e32 v2, v2, v4
	v_fmac_f32_e32 v237, v167, v212
	v_add_f32_e32 v1, v1, v236
	v_add_f32_e32 v2, v2, v3
	;; [unrolled: 1-line block ×3, first 2 shown]
	s_waitcnt vmcnt(1)
	v_sub_f32_e32 v2, v213, v2
	s_waitcnt vmcnt(0)
	v_sub_f32_e32 v1, v214, v1
	buffer_store_dword v2, off, s[0:3], 0 offset:256
	buffer_store_dword v1, off, s[0:3], 0 offset:260
	v_cmpx_lt_u32_e32 31, v0
	s_cbranch_execz .LBB120_293
; %bb.292:
	s_clause 0x1
	buffer_load_dword v1, off, s[0:3], 0 offset:248
	buffer_load_dword v2, off, s[0:3], 0 offset:252
	v_mov_b32_e32 v3, 0
	buffer_store_dword v3, off, s[0:3], 0 offset:248
	buffer_store_dword v3, off, s[0:3], 0 offset:252
	s_waitcnt vmcnt(0)
	ds_write_b64 v127, v[1:2]
.LBB120_293:
	s_or_b32 exec_lo, exec_lo, s4
	s_waitcnt lgkmcnt(0)
	s_waitcnt_vscnt null, 0x0
	s_barrier
	buffer_gl0_inv
	s_clause 0x33
	buffer_load_dword v12, off, s[0:3], 0 offset:260
	buffer_load_dword v168, off, s[0:3], 0 offset:268
	;; [unrolled: 1-line block ×52, first 2 shown]
	v_mov_b32_e32 v1, 0
	ds_read_b128 v[2:5], v1 offset:720
	ds_read_b128 v[6:9], v1 offset:736
	;; [unrolled: 1-line block ×12, first 2 shown]
	ds_read_b64 v[10:11], v1 offset:912
	s_mov_b32 s4, exec_lo
	s_waitcnt vmcnt(51) lgkmcnt(12)
	v_mul_f32_e32 v219, v2, v12
	v_mul_f32_e32 v12, v3, v12
	s_waitcnt vmcnt(50)
	v_mul_f32_e32 v220, v4, v168
	v_mul_f32_e32 v168, v5, v168
	s_waitcnt vmcnt(49) lgkmcnt(11)
	v_mul_f32_e32 v221, v6, v169
	s_waitcnt vmcnt(48)
	v_mul_f32_e32 v222, v8, v170
	s_waitcnt vmcnt(47) lgkmcnt(10)
	v_mul_f32_e32 v223, v128, v171
	s_waitcnt vmcnt(46)
	;; [unrolled: 4-line block ×11, first 2 shown]
	v_fma_f32 v2, v2, v192, -v12
	v_fmac_f32_e32 v219, v3, v192
	v_mul_f32_e32 v3, v7, v169
	s_waitcnt vmcnt(25)
	v_fma_f32 v4, v4, v193, -v168
	v_fmac_f32_e32 v220, v5, v193
	v_add_f32_e32 v2, 0, v2
	v_add_f32_e32 v5, 0, v219
	v_mul_f32_e32 v12, v9, v170
	s_waitcnt vmcnt(24)
	v_fma_f32 v3, v6, v194, -v3
	v_fmac_f32_e32 v221, v7, v194
	v_add_f32_e32 v2, v2, v4
	v_add_f32_e32 v4, v5, v220
	;; [unrolled: 6-line block ×21, first 2 shown]
	v_mul_f32_e32 v4, v167, v190
	s_waitcnt vmcnt(4)
	v_fma_f32 v5, v164, v214, -v5
	v_mul_f32_e32 v242, v166, v190
	v_add_f32_e32 v2, v2, v6
	v_fmac_f32_e32 v241, v165, v214
	v_add_f32_e32 v3, v3, v240
	s_waitcnt lgkmcnt(0)
	v_mul_f32_e32 v6, v11, v191
	s_waitcnt vmcnt(3)
	v_fma_f32 v4, v166, v215, -v4
	v_add_f32_e32 v2, v2, v5
	v_mul_f32_e32 v243, v10, v191
	v_fmac_f32_e32 v242, v167, v215
	v_add_f32_e32 v3, v3, v241
	s_waitcnt vmcnt(2)
	v_fma_f32 v5, v10, v216, -v6
	v_add_f32_e32 v2, v2, v4
	v_fmac_f32_e32 v243, v11, v216
	v_add_f32_e32 v3, v3, v242
	v_add_f32_e32 v2, v2, v5
	v_add_f32_e32 v3, v3, v243
	s_waitcnt vmcnt(1)
	v_sub_f32_e32 v2, v217, v2
	s_waitcnt vmcnt(0)
	v_sub_f32_e32 v3, v218, v3
	buffer_store_dword v2, off, s[0:3], 0 offset:248
	buffer_store_dword v3, off, s[0:3], 0 offset:252
	v_cmpx_lt_u32_e32 30, v0
	s_cbranch_execz .LBB120_295
; %bb.294:
	s_clause 0x1
	buffer_load_dword v2, off, s[0:3], 0 offset:240
	buffer_load_dword v3, off, s[0:3], 0 offset:244
	buffer_store_dword v1, off, s[0:3], 0 offset:240
	buffer_store_dword v1, off, s[0:3], 0 offset:244
	s_waitcnt vmcnt(0)
	ds_write_b64 v127, v[2:3]
.LBB120_295:
	s_or_b32 exec_lo, exec_lo, s4
	s_waitcnt lgkmcnt(0)
	s_waitcnt_vscnt null, 0x0
	s_barrier
	buffer_gl0_inv
	s_clause 0x35
	buffer_load_dword v10, off, s[0:3], 0 offset:252
	buffer_load_dword v11, off, s[0:3], 0 offset:260
	;; [unrolled: 1-line block ×54, first 2 shown]
	ds_read2_b64 v[2:5], v1 offset0:89 offset1:90
	ds_read2_b64 v[6:9], v1 offset0:91 offset1:92
	;; [unrolled: 1-line block ×13, first 2 shown]
	s_mov_b32 s4, exec_lo
	s_waitcnt vmcnt(53) lgkmcnt(12)
	v_mul_f32_e32 v1, v2, v10
	v_mul_f32_e32 v10, v3, v10
	s_waitcnt vmcnt(52)
	v_mul_f32_e32 v223, v4, v11
	v_mul_f32_e32 v11, v5, v11
	s_waitcnt vmcnt(51) lgkmcnt(11)
	v_mul_f32_e32 v224, v6, v12
	s_waitcnt vmcnt(50)
	v_mul_f32_e32 v225, v8, v172
	s_waitcnt vmcnt(49) lgkmcnt(10)
	v_mul_f32_e32 v226, v128, v173
	s_waitcnt vmcnt(48)
	;; [unrolled: 4-line block ×11, first 2 shown]
	v_mul_f32_e32 v245, v166, v192
	s_waitcnt vmcnt(27)
	v_fma_f32 v2, v2, v195, -v10
	v_fmac_f32_e32 v1, v3, v195
	v_mul_f32_e32 v3, v7, v12
	s_waitcnt vmcnt(26)
	v_fma_f32 v4, v4, v196, -v11
	v_fmac_f32_e32 v223, v5, v196
	v_add_f32_e32 v2, 0, v2
	v_add_f32_e32 v1, 0, v1
	v_mul_f32_e32 v5, v9, v172
	s_waitcnt vmcnt(25)
	v_fma_f32 v3, v6, v197, -v3
	v_fmac_f32_e32 v224, v7, v197
	v_add_f32_e32 v2, v2, v4
	v_add_f32_e32 v1, v1, v223
	;; [unrolled: 6-line block ×22, first 2 shown]
	s_waitcnt lgkmcnt(0)
	v_mul_f32_e32 v5, v169, v193
	s_waitcnt vmcnt(4)
	v_fma_f32 v3, v166, v218, -v3
	v_mul_f32_e32 v246, v168, v193
	v_add_f32_e32 v2, v2, v4
	v_fmac_f32_e32 v245, v167, v218
	v_add_f32_e32 v1, v1, v244
	v_mul_f32_e32 v4, v171, v194
	s_waitcnt vmcnt(3)
	v_fma_f32 v5, v168, v219, -v5
	v_add_f32_e32 v2, v2, v3
	v_mul_f32_e32 v247, v170, v194
	v_fmac_f32_e32 v246, v169, v219
	v_add_f32_e32 v1, v1, v245
	s_waitcnt vmcnt(2)
	v_fma_f32 v3, v170, v220, -v4
	v_add_f32_e32 v2, v2, v5
	v_fmac_f32_e32 v247, v171, v220
	v_add_f32_e32 v1, v1, v246
	v_add_f32_e32 v2, v2, v3
	;; [unrolled: 1-line block ×3, first 2 shown]
	s_waitcnt vmcnt(1)
	v_sub_f32_e32 v2, v221, v2
	s_waitcnt vmcnt(0)
	v_sub_f32_e32 v1, v222, v1
	buffer_store_dword v2, off, s[0:3], 0 offset:240
	buffer_store_dword v1, off, s[0:3], 0 offset:244
	v_cmpx_lt_u32_e32 29, v0
	s_cbranch_execz .LBB120_297
; %bb.296:
	s_clause 0x1
	buffer_load_dword v1, off, s[0:3], 0 offset:232
	buffer_load_dword v2, off, s[0:3], 0 offset:236
	v_mov_b32_e32 v3, 0
	buffer_store_dword v3, off, s[0:3], 0 offset:232
	buffer_store_dword v3, off, s[0:3], 0 offset:236
	s_waitcnt vmcnt(0)
	ds_write_b64 v127, v[1:2]
.LBB120_297:
	s_or_b32 exec_lo, exec_lo, s4
	s_waitcnt lgkmcnt(0)
	s_waitcnt_vscnt null, 0x0
	s_barrier
	buffer_gl0_inv
	s_clause 0x37
	buffer_load_dword v12, off, s[0:3], 0 offset:244
	buffer_load_dword v172, off, s[0:3], 0 offset:252
	;; [unrolled: 1-line block ×56, first 2 shown]
	v_mov_b32_e32 v1, 0
	ds_read_b128 v[2:5], v1 offset:704
	ds_read_b128 v[6:9], v1 offset:720
	;; [unrolled: 1-line block ×13, first 2 shown]
	ds_read_b64 v[10:11], v1 offset:912
	s_mov_b32 s4, exec_lo
	s_waitcnt vmcnt(55) lgkmcnt(13)
	v_mul_f32_e32 v227, v2, v12
	v_mul_f32_e32 v12, v3, v12
	s_waitcnt vmcnt(54)
	v_mul_f32_e32 v228, v4, v172
	v_mul_f32_e32 v172, v5, v172
	s_waitcnt vmcnt(53) lgkmcnt(12)
	v_mul_f32_e32 v229, v6, v173
	s_waitcnt vmcnt(52)
	v_mul_f32_e32 v230, v8, v174
	s_waitcnt vmcnt(51) lgkmcnt(11)
	v_mul_f32_e32 v231, v128, v175
	s_waitcnt vmcnt(50)
	;; [unrolled: 4-line block ×12, first 2 shown]
	v_fma_f32 v2, v2, v198, -v12
	v_fmac_f32_e32 v227, v3, v198
	v_mul_f32_e32 v3, v7, v173
	s_waitcnt vmcnt(27)
	v_fma_f32 v4, v4, v199, -v172
	v_fmac_f32_e32 v228, v5, v199
	v_add_f32_e32 v2, 0, v2
	v_add_f32_e32 v5, 0, v227
	v_mul_f32_e32 v12, v9, v174
	s_waitcnt vmcnt(26)
	v_fma_f32 v3, v6, v200, -v3
	v_fmac_f32_e32 v229, v7, v200
	v_add_f32_e32 v2, v2, v4
	v_add_f32_e32 v4, v5, v228
	v_mul_f32_e32 v5, v129, v175
	s_waitcnt vmcnt(25)
	v_fma_f32 v6, v8, v201, -v12
	v_fmac_f32_e32 v230, v9, v201
	v_add_f32_e32 v2, v2, v3
	v_add_f32_e32 v3, v4, v229
	v_mul_f32_e32 v4, v131, v176
	s_waitcnt vmcnt(24)
	v_fma_f32 v5, v128, v202, -v5
	v_fmac_f32_e32 v231, v129, v202
	v_add_f32_e32 v2, v2, v6
	v_add_f32_e32 v3, v3, v230
	v_mul_f32_e32 v6, v133, v177
	s_waitcnt vmcnt(23)
	v_fma_f32 v4, v130, v203, -v4
	v_fmac_f32_e32 v232, v131, v203
	v_add_f32_e32 v2, v2, v5
	v_add_f32_e32 v3, v3, v231
	v_mul_f32_e32 v5, v135, v178
	s_waitcnt vmcnt(22)
	v_fma_f32 v6, v132, v204, -v6
	v_fmac_f32_e32 v233, v133, v204
	v_add_f32_e32 v2, v2, v4
	v_add_f32_e32 v3, v3, v232
	v_mul_f32_e32 v4, v137, v179
	s_waitcnt vmcnt(21)
	v_fma_f32 v5, v134, v205, -v5
	v_fmac_f32_e32 v234, v135, v205
	v_add_f32_e32 v2, v2, v6
	v_add_f32_e32 v3, v3, v233
	v_mul_f32_e32 v6, v139, v180
	s_waitcnt vmcnt(20)
	v_fma_f32 v4, v136, v206, -v4
	v_fmac_f32_e32 v235, v137, v206
	v_add_f32_e32 v2, v2, v5
	v_add_f32_e32 v3, v3, v234
	v_mul_f32_e32 v5, v141, v181
	s_waitcnt vmcnt(19)
	v_fma_f32 v6, v138, v207, -v6
	v_fmac_f32_e32 v236, v139, v207
	v_add_f32_e32 v2, v2, v4
	v_add_f32_e32 v3, v3, v235
	v_mul_f32_e32 v4, v143, v182
	s_waitcnt vmcnt(18)
	v_fma_f32 v5, v140, v208, -v5
	v_fmac_f32_e32 v237, v141, v208
	v_add_f32_e32 v2, v2, v6
	v_add_f32_e32 v3, v3, v236
	v_mul_f32_e32 v6, v145, v183
	s_waitcnt vmcnt(17)
	v_fma_f32 v4, v142, v209, -v4
	v_fmac_f32_e32 v238, v143, v209
	v_add_f32_e32 v2, v2, v5
	v_add_f32_e32 v3, v3, v237
	v_mul_f32_e32 v5, v147, v184
	s_waitcnt vmcnt(16)
	v_fma_f32 v6, v144, v210, -v6
	v_fmac_f32_e32 v239, v145, v210
	v_add_f32_e32 v2, v2, v4
	v_add_f32_e32 v3, v3, v238
	v_mul_f32_e32 v4, v149, v185
	s_waitcnt vmcnt(15)
	v_fma_f32 v5, v146, v211, -v5
	v_fmac_f32_e32 v240, v147, v211
	v_add_f32_e32 v2, v2, v6
	v_add_f32_e32 v3, v3, v239
	v_mul_f32_e32 v6, v151, v186
	s_waitcnt vmcnt(14)
	v_fma_f32 v4, v148, v212, -v4
	v_fmac_f32_e32 v241, v149, v212
	v_add_f32_e32 v2, v2, v5
	v_add_f32_e32 v3, v3, v240
	v_mul_f32_e32 v5, v153, v187
	s_waitcnt vmcnt(13)
	v_fma_f32 v6, v150, v213, -v6
	v_fmac_f32_e32 v242, v151, v213
	v_add_f32_e32 v2, v2, v4
	v_add_f32_e32 v3, v3, v241
	v_mul_f32_e32 v4, v155, v188
	s_waitcnt vmcnt(12)
	v_fma_f32 v5, v152, v214, -v5
	v_fmac_f32_e32 v243, v153, v214
	v_add_f32_e32 v2, v2, v6
	v_add_f32_e32 v3, v3, v242
	v_mul_f32_e32 v6, v157, v189
	s_waitcnt vmcnt(11)
	v_fma_f32 v4, v154, v215, -v4
	v_fmac_f32_e32 v244, v155, v215
	v_add_f32_e32 v2, v2, v5
	v_add_f32_e32 v3, v3, v243
	v_mul_f32_e32 v5, v159, v190
	s_waitcnt vmcnt(10)
	v_fma_f32 v6, v156, v216, -v6
	v_fmac_f32_e32 v245, v157, v216
	v_add_f32_e32 v2, v2, v4
	v_add_f32_e32 v3, v3, v244
	v_mul_f32_e32 v4, v161, v191
	s_waitcnt vmcnt(9)
	v_fma_f32 v5, v158, v217, -v5
	v_fmac_f32_e32 v246, v159, v217
	v_add_f32_e32 v2, v2, v6
	v_add_f32_e32 v3, v3, v245
	v_mul_f32_e32 v6, v163, v192
	s_waitcnt vmcnt(8)
	v_fma_f32 v4, v160, v218, -v4
	v_fmac_f32_e32 v247, v161, v218
	v_add_f32_e32 v2, v2, v5
	v_add_f32_e32 v3, v3, v246
	v_mul_f32_e32 v5, v165, v193
	s_waitcnt vmcnt(7)
	v_fma_f32 v6, v162, v219, -v6
	v_fmac_f32_e32 v248, v163, v219
	v_add_f32_e32 v2, v2, v4
	v_add_f32_e32 v3, v3, v247
	v_mul_f32_e32 v4, v167, v194
	s_waitcnt vmcnt(6)
	v_fma_f32 v5, v164, v220, -v5
	v_fmac_f32_e32 v249, v165, v220
	v_add_f32_e32 v2, v2, v6
	v_add_f32_e32 v3, v3, v248
	v_mul_f32_e32 v6, v169, v195
	s_waitcnt vmcnt(5)
	v_fma_f32 v4, v166, v221, -v4
	v_fmac_f32_e32 v250, v167, v221
	v_add_f32_e32 v2, v2, v5
	v_add_f32_e32 v3, v3, v249
	v_mul_f32_e32 v5, v171, v196
	s_waitcnt vmcnt(4)
	v_fma_f32 v6, v168, v222, -v6
	v_mul_f32_e32 v252, v170, v196
	v_add_f32_e32 v2, v2, v4
	v_fmac_f32_e32 v251, v169, v222
	v_add_f32_e32 v3, v3, v250
	s_waitcnt lgkmcnt(0)
	v_mul_f32_e32 v4, v11, v197
	s_waitcnt vmcnt(3)
	v_fma_f32 v5, v170, v223, -v5
	v_add_f32_e32 v2, v2, v6
	v_mul_f32_e32 v253, v10, v197
	v_fmac_f32_e32 v252, v171, v223
	v_add_f32_e32 v3, v3, v251
	s_waitcnt vmcnt(2)
	v_fma_f32 v4, v10, v224, -v4
	v_add_f32_e32 v2, v2, v5
	v_fmac_f32_e32 v253, v11, v224
	v_add_f32_e32 v3, v3, v252
	v_add_f32_e32 v2, v2, v4
	;; [unrolled: 1-line block ×3, first 2 shown]
	s_waitcnt vmcnt(1)
	v_sub_f32_e32 v2, v225, v2
	s_waitcnt vmcnt(0)
	v_sub_f32_e32 v3, v226, v3
	buffer_store_dword v2, off, s[0:3], 0 offset:232
	buffer_store_dword v3, off, s[0:3], 0 offset:236
	v_cmpx_lt_u32_e32 28, v0
	s_cbranch_execz .LBB120_299
; %bb.298:
	s_clause 0x1
	buffer_load_dword v2, off, s[0:3], 0 offset:224
	buffer_load_dword v3, off, s[0:3], 0 offset:228
	buffer_store_dword v1, off, s[0:3], 0 offset:224
	buffer_store_dword v1, off, s[0:3], 0 offset:228
	s_waitcnt vmcnt(0)
	ds_write_b64 v127, v[2:3]
.LBB120_299:
	s_or_b32 exec_lo, exec_lo, s4
	s_waitcnt lgkmcnt(0)
	s_waitcnt_vscnt null, 0x0
	s_barrier
	buffer_gl0_inv
	s_clause 0x39
	buffer_load_dword v148, off, s[0:3], 0 offset:236
	buffer_load_dword v149, off, s[0:3], 0 offset:244
	;; [unrolled: 1-line block ×58, first 2 shown]
	ds_read2_b64 v[136:139], v1 offset0:87 offset1:88
	ds_read2_b64 v[140:143], v1 offset0:89 offset1:90
	;; [unrolled: 1-line block ×3, first 2 shown]
	s_mov_b32 s4, exec_lo
	s_waitcnt vmcnt(57) lgkmcnt(2)
	v_mul_f32_e32 v187, v136, v148
	v_mul_f32_e32 v148, v137, v148
	s_waitcnt vmcnt(56)
	v_mul_f32_e32 v188, v138, v149
	v_mul_f32_e32 v149, v139, v149
	s_waitcnt vmcnt(53)
	v_fmac_f32_e32 v187, v137, v152
	v_fma_f32 v148, v136, v152, -v148
	v_fmac_f32_e32 v188, v139, v151
	v_fma_f32 v152, v138, v151, -v149
	ds_read2_b64 v[136:139], v1 offset0:93 offset1:94
	s_waitcnt vmcnt(52) lgkmcnt(2)
	v_mul_f32_e32 v189, v140, v153
	v_mul_f32_e32 v149, v141, v153
	s_waitcnt vmcnt(51)
	v_mul_f32_e32 v153, v142, v154
	v_mul_f32_e32 v151, v143, v154
	s_waitcnt vmcnt(50) lgkmcnt(1)
	v_mul_f32_e32 v190, v144, v155
	v_mul_f32_e32 v154, v145, v155
	s_waitcnt vmcnt(49)
	v_mul_f32_e32 v191, v146, v156
	v_mul_f32_e32 v155, v147, v156
	v_fmac_f32_e32 v189, v141, v150
	v_fma_f32 v156, v140, v150, -v149
	s_waitcnt vmcnt(45)
	v_fmac_f32_e32 v153, v143, v159
	v_fma_f32 v159, v142, v159, -v151
	ds_read2_b64 v[140:143], v1 offset0:95 offset1:96
	v_fmac_f32_e32 v190, v145, v158
	v_fma_f32 v158, v144, v158, -v154
	v_fmac_f32_e32 v191, v147, v157
	v_fma_f32 v192, v146, v157, -v155
	ds_read2_b64 v[144:147], v1 offset0:97 offset1:98
	v_add_f32_e32 v154, 0, v187
	s_waitcnt vmcnt(44) lgkmcnt(2)
	v_mul_f32_e32 v193, v136, v160
	v_mul_f32_e32 v149, v137, v160
	s_waitcnt vmcnt(43)
	v_mul_f32_e32 v160, v138, v161
	v_mul_f32_e32 v150, v139, v161
	v_add_f32_e32 v154, v154, v188
	v_fmac_f32_e32 v193, v137, v135
	v_fma_f32 v161, v136, v135, -v149
	s_waitcnt vmcnt(39)
	v_fmac_f32_e32 v160, v139, v165
	v_add_f32_e32 v139, 0, v148
	v_fma_f32 v165, v138, v165, -v150
	ds_read2_b64 v[135:138], v1 offset0:99 offset1:100
	ds_read2_b64 v[148:151], v1 offset0:101 offset1:102
	v_add_f32_e32 v154, v154, v189
	v_add_f32_e32 v139, v139, v152
	s_waitcnt vmcnt(38) lgkmcnt(3)
	v_mul_f32_e32 v187, v140, v166
	v_mul_f32_e32 v152, v141, v166
	s_waitcnt vmcnt(37)
	v_mul_f32_e32 v166, v142, v167
	v_mul_f32_e32 v155, v143, v167
	v_add_f32_e32 v139, v139, v156
	s_waitcnt vmcnt(36) lgkmcnt(2)
	v_mul_f32_e32 v167, v144, v168
	s_waitcnt vmcnt(35)
	v_mul_f32_e32 v188, v146, v169
	v_mul_f32_e32 v156, v145, v168
	v_fmac_f32_e32 v166, v143, v163
	v_add_f32_e32 v143, v139, v159
	v_add_f32_e32 v157, v154, v153
	v_mul_f32_e32 v159, v147, v169
	v_fmac_f32_e32 v167, v145, v162
	s_waitcnt vmcnt(31)
	v_fmac_f32_e32 v188, v147, v172
	v_fma_f32 v147, v144, v162, -v156
	v_add_f32_e32 v162, v143, v158
	v_fma_f32 v168, v142, v163, -v155
	v_add_f32_e32 v163, v157, v190
	v_fma_f32 v169, v146, v172, -v159
	s_waitcnt vmcnt(30) lgkmcnt(1)
	v_mul_f32_e32 v172, v135, v173
	v_add_f32_e32 v162, v162, v192
	v_mul_f32_e32 v173, v136, v173
	v_add_f32_e32 v163, v163, v191
	v_fmac_f32_e32 v187, v141, v164
	v_fmac_f32_e32 v172, v136, v171
	v_add_f32_e32 v136, v162, v161
	v_fma_f32 v164, v140, v164, -v152
	v_add_f32_e32 v161, v163, v193
	v_fma_f32 v171, v135, v171, -v173
	ds_read2_b64 v[139:142], v1 offset0:103 offset1:104
	ds_read2_b64 v[152:155], v1 offset0:105 offset1:106
	v_add_f32_e32 v165, v136, v165
	s_waitcnt vmcnt(29)
	v_mul_f32_e32 v189, v137, v174
	v_add_f32_e32 v173, v161, v160
	v_mul_f32_e32 v174, v138, v174
	ds_read2_b64 v[143:146], v1 offset0:107 offset1:108
	ds_read2_b64 v[156:159], v1 offset0:109 offset1:110
	v_add_f32_e32 v164, v165, v164
	v_fmac_f32_e32 v189, v138, v170
	v_add_f32_e32 v173, v173, v187
	v_fma_f32 v170, v137, v170, -v174
	ds_read2_b64 v[135:138], v1 offset0:111 offset1:112
	ds_read2_b64 v[160:163], v1 offset0:113 offset1:114
	v_add_f32_e32 v164, v164, v168
	s_waitcnt vmcnt(28) lgkmcnt(6)
	v_mul_f32_e32 v1, v148, v175
	v_add_f32_e32 v166, v173, v166
	v_mul_f32_e32 v165, v149, v175
	s_waitcnt vmcnt(27)
	v_mul_f32_e32 v175, v151, v176
	v_add_f32_e32 v147, v164, v147
	v_fmac_f32_e32 v1, v149, v12
	v_add_f32_e32 v166, v166, v167
	v_fma_f32 v12, v148, v12, -v165
	v_mul_f32_e32 v174, v150, v176
	v_add_f32_e32 v147, v147, v169
	s_waitcnt vmcnt(26) lgkmcnt(5)
	v_mul_f32_e32 v168, v139, v133
	v_add_f32_e32 v166, v166, v188
	v_mul_f32_e32 v133, v140, v133
	s_waitcnt vmcnt(11)
	v_fma_f32 v150, v150, v180, -v175
	v_add_f32_e32 v147, v147, v171
	v_fmac_f32_e32 v174, v151, v180
	v_add_f32_e32 v166, v166, v172
	v_mul_f32_e32 v173, v141, v132
	v_mul_f32_e32 v132, v142, v132
	v_add_f32_e32 v147, v147, v170
	v_fma_f32 v133, v139, v179, -v133
	v_add_f32_e32 v149, v166, v189
	v_fmac_f32_e32 v168, v140, v179
	s_waitcnt lgkmcnt(4)
	v_mul_f32_e32 v176, v152, v131
	v_add_f32_e32 v12, v147, v12
	v_mul_f32_e32 v131, v153, v131
	v_add_f32_e32 v1, v149, v1
	v_fma_f32 v132, v141, v178, -v132
	v_fmac_f32_e32 v173, v142, v178
	v_add_f32_e32 v12, v12, v150
	v_mul_f32_e32 v164, v154, v130
	v_add_f32_e32 v1, v1, v174
	v_mul_f32_e32 v130, v155, v130
	v_fma_f32 v131, v152, v177, -v131
	v_add_f32_e32 v12, v12, v133
	v_fmac_f32_e32 v176, v153, v177
	v_add_f32_e32 v1, v1, v168
	s_waitcnt lgkmcnt(3)
	v_mul_f32_e32 v167, v143, v128
	v_mul_f32_e32 v128, v144, v128
	v_add_f32_e32 v12, v12, v132
	s_waitcnt vmcnt(7)
	v_fma_f32 v130, v154, v184, -v130
	v_add_f32_e32 v1, v1, v173
	v_fmac_f32_e32 v164, v155, v184
	v_mul_f32_e32 v187, v145, v11
	v_add_f32_e32 v12, v12, v131
	v_mul_f32_e32 v11, v146, v11
	v_add_f32_e32 v1, v1, v176
	v_fma_f32 v128, v143, v183, -v128
	v_fmac_f32_e32 v167, v144, v183
	v_add_f32_e32 v12, v12, v130
	s_waitcnt lgkmcnt(2)
	v_mul_f32_e32 v169, v156, v10
	v_add_f32_e32 v1, v1, v164
	v_mul_f32_e32 v10, v157, v10
	v_fma_f32 v11, v145, v182, -v11
	v_add_f32_e32 v12, v12, v128
	v_fmac_f32_e32 v187, v146, v182
	v_add_f32_e32 v1, v1, v167
	v_mul_f32_e32 v188, v158, v8
	v_mul_f32_e32 v8, v159, v8
	v_fma_f32 v10, v156, v181, -v10
	v_add_f32_e32 v11, v12, v11
	v_fmac_f32_e32 v169, v157, v181
	v_add_f32_e32 v1, v1, v187
	s_waitcnt lgkmcnt(1)
	v_mul_f32_e32 v190, v135, v7
	v_mul_f32_e32 v7, v136, v7
	s_waitcnt vmcnt(3)
	v_fma_f32 v8, v158, v186, -v8
	v_add_f32_e32 v10, v11, v10
	v_fmac_f32_e32 v188, v159, v186
	v_add_f32_e32 v1, v1, v169
	v_mul_f32_e32 v171, v137, v6
	v_mul_f32_e32 v6, v138, v6
	v_fma_f32 v7, v135, v185, -v7
	v_add_f32_e32 v8, v10, v8
	v_fmac_f32_e32 v190, v136, v185
	v_add_f32_e32 v1, v1, v188
	s_waitcnt lgkmcnt(0)
	v_mul_f32_e32 v172, v160, v5
	v_mul_f32_e32 v5, v161, v5
	v_fma_f32 v6, v137, v134, -v6
	v_add_f32_e32 v7, v8, v7
	v_fmac_f32_e32 v171, v138, v134
	v_add_f32_e32 v1, v1, v190
	v_mul_f32_e32 v148, v162, v2
	v_mul_f32_e32 v2, v163, v2
	v_fma_f32 v5, v160, v129, -v5
	v_add_f32_e32 v6, v7, v6
	v_fmac_f32_e32 v172, v161, v129
	v_add_f32_e32 v1, v1, v171
	s_waitcnt vmcnt(2)
	v_fma_f32 v2, v162, v9, -v2
	v_fmac_f32_e32 v148, v163, v9
	v_add_f32_e32 v5, v6, v5
	v_add_f32_e32 v1, v1, v172
	;; [unrolled: 1-line block ×4, first 2 shown]
	s_waitcnt vmcnt(1)
	v_sub_f32_e32 v2, v3, v2
	s_waitcnt vmcnt(0)
	v_sub_f32_e32 v1, v4, v1
	buffer_store_dword v2, off, s[0:3], 0 offset:224
	buffer_store_dword v1, off, s[0:3], 0 offset:228
	v_cmpx_lt_u32_e32 27, v0
	s_cbranch_execz .LBB120_301
; %bb.300:
	s_clause 0x1
	buffer_load_dword v1, off, s[0:3], 0 offset:216
	buffer_load_dword v2, off, s[0:3], 0 offset:220
	v_mov_b32_e32 v3, 0
	buffer_store_dword v3, off, s[0:3], 0 offset:216
	buffer_store_dword v3, off, s[0:3], 0 offset:220
	s_waitcnt vmcnt(0)
	ds_write_b64 v127, v[1:2]
.LBB120_301:
	s_or_b32 exec_lo, exec_lo, s4
	s_waitcnt lgkmcnt(0)
	s_waitcnt_vscnt null, 0x0
	s_barrier
	buffer_gl0_inv
	s_clause 0x3b
	buffer_load_dword v159, off, s[0:3], 0 offset:228
	buffer_load_dword v160, off, s[0:3], 0 offset:236
	;; [unrolled: 1-line block ×60, first 2 shown]
	v_mov_b32_e32 v1, 0
	ds_read_b128 v[147:150], v1 offset:688
	ds_read_b128 v[151:154], v1 offset:704
	;; [unrolled: 1-line block ×3, first 2 shown]
	s_mov_b32 s4, exec_lo
	s_waitcnt vmcnt(59) lgkmcnt(2)
	v_mul_f32_e32 v189, v147, v159
	s_waitcnt vmcnt(58)
	v_mul_f32_e32 v190, v149, v160
	v_mul_f32_e32 v159, v148, v159
	;; [unrolled: 1-line block ×3, first 2 shown]
	s_waitcnt vmcnt(55)
	v_fmac_f32_e32 v189, v148, v162
	v_fmac_f32_e32 v190, v150, v161
	v_fma_f32 v159, v147, v162, -v159
	v_fma_f32 v160, v149, v161, -v160
	ds_read_b128 v[147:150], v1 offset:736
	s_waitcnt vmcnt(54) lgkmcnt(2)
	v_mul_f32_e32 v191, v151, v146
	v_mul_f32_e32 v146, v152, v146
	s_waitcnt vmcnt(53)
	v_mul_f32_e32 v192, v153, v145
	v_mul_f32_e32 v145, v154, v145
	v_add_f32_e32 v161, 0, v189
	v_fmac_f32_e32 v191, v152, v140
	v_fma_f32 v140, v151, v140, -v146
	s_waitcnt vmcnt(48)
	v_fmac_f32_e32 v192, v154, v165
	v_fma_f32 v165, v153, v165, -v145
	s_waitcnt vmcnt(47) lgkmcnt(1)
	v_mul_f32_e32 v145, v158, v166
	ds_read_b128 v[151:154], v1 offset:752
	v_mul_f32_e32 v193, v155, v143
	v_mul_f32_e32 v143, v156, v143
	;; [unrolled: 1-line block ×3, first 2 shown]
	v_fma_f32 v195, v157, v163, -v145
	v_fmac_f32_e32 v193, v156, v164
	v_fma_f32 v143, v155, v164, -v143
	v_fmac_f32_e32 v194, v158, v163
	s_waitcnt vmcnt(46) lgkmcnt(1)
	v_mul_f32_e32 v196, v147, v167
	s_waitcnt vmcnt(45)
	v_mul_f32_e32 v197, v149, v168
	v_mul_f32_e32 v145, v148, v167
	;; [unrolled: 1-line block ×3, first 2 shown]
	ds_read_b128 v[155:158], v1 offset:768
	v_fmac_f32_e32 v196, v148, v142
	v_add_f32_e32 v148, 0, v159
	s_waitcnt vmcnt(41)
	v_fmac_f32_e32 v197, v150, v171
	v_fma_f32 v171, v149, v171, -v146
	v_add_f32_e32 v150, v161, v190
	v_fma_f32 v142, v147, v142, -v145
	v_add_f32_e32 v149, v148, v160
	s_waitcnt vmcnt(39) lgkmcnt(1)
	v_mul_f32_e32 v163, v154, v173
	v_mul_f32_e32 v190, v153, v173
	v_add_f32_e32 v150, v150, v191
	ds_read_b128 v[145:148], v1 offset:784
	ds_read_b128 v[159:162], v1 offset:800
	v_add_f32_e32 v140, v149, v140
	v_fma_f32 v198, v153, v169, -v163
	v_mul_f32_e32 v149, v152, v172
	v_add_f32_e32 v150, v150, v192
	v_mul_f32_e32 v189, v151, v172
	v_add_f32_e32 v140, v140, v165
	v_fmac_f32_e32 v190, v154, v169
	v_fma_f32 v172, v151, v170, -v149
	v_add_f32_e32 v153, v150, v193
	s_waitcnt vmcnt(37) lgkmcnt(2)
	v_mul_f32_e32 v192, v157, v138
	v_add_f32_e32 v140, v140, v143
	v_fmac_f32_e32 v189, v152, v170
	v_mul_f32_e32 v138, v158, v138
	v_add_f32_e32 v143, v153, v194
	v_mul_f32_e32 v191, v155, v174
	v_add_f32_e32 v140, v140, v195
	v_mul_f32_e32 v167, v156, v174
	s_waitcnt vmcnt(33)
	v_fmac_f32_e32 v192, v158, v177
	v_add_f32_e32 v143, v143, v196
	v_fma_f32 v138, v157, v177, -v138
	v_add_f32_e32 v140, v140, v142
	v_fmac_f32_e32 v191, v156, v135
	v_fma_f32 v135, v155, v135, -v167
	v_add_f32_e32 v143, v143, v197
	s_waitcnt vmcnt(32) lgkmcnt(1)
	v_mul_f32_e32 v157, v145, v178
	v_add_f32_e32 v140, v140, v171
	v_mul_f32_e32 v142, v146, v178
	ds_read_b128 v[149:152], v1 offset:816
	ds_read_b128 v[163:166], v1 offset:832
	v_add_f32_e32 v177, v143, v189
	s_waitcnt vmcnt(30) lgkmcnt(2)
	v_mul_f32_e32 v178, v159, v133
	v_add_f32_e32 v140, v140, v172
	v_mul_f32_e32 v133, v160, v133
	v_mul_f32_e32 v158, v147, v179
	v_add_f32_e32 v177, v177, v190
	v_mul_f32_e32 v173, v148, v179
	v_add_f32_e32 v140, v140, v198
	v_fmac_f32_e32 v157, v146, v176
	v_fma_f32 v176, v145, v176, -v142
	v_add_f32_e32 v177, v177, v191
	v_fmac_f32_e32 v178, v160, v129
	v_add_f32_e32 v135, v140, v135
	v_fma_f32 v129, v159, v129, -v133
	v_fmac_f32_e32 v158, v148, v175
	v_add_f32_e32 v159, v177, v192
	v_fma_f32 v175, v147, v175, -v173
	v_add_f32_e32 v135, v135, v138
	s_waitcnt vmcnt(29)
	v_mul_f32_e32 v179, v161, v134
	v_mul_f32_e32 v134, v162, v134
	v_add_f32_e32 v157, v159, v157
	s_waitcnt vmcnt(28) lgkmcnt(1)
	v_mul_f32_e32 v189, v149, v130
	v_add_f32_e32 v135, v135, v176
	v_mul_f32_e32 v130, v150, v130
	s_waitcnt vmcnt(20)
	v_fma_f32 v134, v161, v183, -v134
	v_add_f32_e32 v157, v157, v158
	ds_read_b128 v[153:156], v1 offset:848
	ds_read_b128 v[167:170], v1 offset:864
	v_add_f32_e32 v135, v135, v175
	v_fmac_f32_e32 v179, v162, v183
	v_mul_f32_e32 v140, v151, v10
	v_mul_f32_e32 v10, v152, v10
	v_fma_f32 v130, v149, v182, -v130
	v_add_f32_e32 v129, v135, v129
	v_add_f32_e32 v135, v157, v178
	v_fmac_f32_e32 v189, v150, v182
	s_waitcnt lgkmcnt(2)
	v_mul_f32_e32 v133, v163, v8
	v_mul_f32_e32 v8, v164, v8
	v_add_f32_e32 v129, v129, v134
	v_add_f32_e32 v134, v135, v179
	v_fma_f32 v10, v151, v181, -v10
	v_fmac_f32_e32 v140, v152, v181
	v_mul_f32_e32 v160, v165, v6
	v_add_f32_e32 v129, v129, v130
	v_add_f32_e32 v130, v134, v189
	v_mul_f32_e32 v6, v166, v6
	v_fma_f32 v8, v163, v180, -v8
	v_fmac_f32_e32 v133, v164, v180
	v_add_f32_e32 v10, v129, v10
	v_add_f32_e32 v129, v130, v140
	s_waitcnt lgkmcnt(1)
	v_mul_f32_e32 v138, v153, v5
	v_mul_f32_e32 v5, v154, v5
	s_waitcnt vmcnt(8)
	v_fma_f32 v6, v165, v188, -v6
	v_add_f32_e32 v8, v10, v8
	v_fmac_f32_e32 v160, v166, v188
	v_add_f32_e32 v10, v129, v133
	ds_read_b128 v[145:148], v1 offset:880
	ds_read_b128 v[171:174], v1 offset:896
	ds_read_b64 v[142:143], v1 offset:912
	v_mul_f32_e32 v129, v156, v184
	v_fma_f32 v5, v153, v187, -v5
	v_add_f32_e32 v6, v8, v6
	v_mul_f32_e32 v161, v155, v184
	v_fmac_f32_e32 v138, v154, v187
	v_add_f32_e32 v8, v10, v160
	s_waitcnt lgkmcnt(3)
	v_mul_f32_e32 v10, v168, v185
	v_fma_f32 v129, v155, v186, -v129
	v_add_f32_e32 v5, v6, v5
	v_mul_f32_e32 v162, v167, v185
	v_fmac_f32_e32 v161, v156, v186
	v_add_f32_e32 v6, v8, v138
	v_mul_f32_e32 v8, v170, v139
	v_fma_f32 v10, v167, v144, -v10
	v_add_f32_e32 v5, v5, v129
	v_mul_f32_e32 v159, v169, v139
	v_fmac_f32_e32 v162, v168, v144
	v_add_f32_e32 v6, v6, v161
	s_waitcnt lgkmcnt(2)
	v_mul_f32_e32 v129, v146, v136
	s_waitcnt vmcnt(4)
	v_fma_f32 v8, v169, v141, -v8
	v_add_f32_e32 v5, v5, v10
	v_mul_f32_e32 v176, v145, v136
	v_fmac_f32_e32 v159, v170, v141
	v_add_f32_e32 v6, v6, v162
	v_mul_f32_e32 v10, v148, v132
	v_fma_f32 v129, v145, v137, -v129
	v_add_f32_e32 v5, v5, v8
	v_mul_f32_e32 v177, v147, v132
	v_fmac_f32_e32 v176, v146, v137
	v_add_f32_e32 v6, v6, v159
	s_waitcnt lgkmcnt(1)
	v_mul_f32_e32 v8, v172, v128
	v_fma_f32 v10, v147, v131, -v10
	v_add_f32_e32 v5, v5, v129
	v_mul_f32_e32 v158, v171, v128
	v_fmac_f32_e32 v177, v148, v131
	v_add_f32_e32 v6, v6, v176
	v_mul_f32_e32 v175, v173, v9
	v_mul_f32_e32 v9, v174, v9
	v_fma_f32 v8, v171, v12, -v8
	v_add_f32_e32 v5, v5, v10
	v_fmac_f32_e32 v158, v172, v12
	v_add_f32_e32 v6, v6, v177
	s_waitcnt lgkmcnt(0)
	v_mul_f32_e32 v157, v142, v4
	v_mul_f32_e32 v4, v143, v4
	s_waitcnt vmcnt(2)
	v_fma_f32 v9, v173, v11, -v9
	v_add_f32_e32 v5, v5, v8
	v_fmac_f32_e32 v175, v174, v11
	v_add_f32_e32 v6, v6, v158
	v_fma_f32 v4, v142, v7, -v4
	v_fmac_f32_e32 v157, v143, v7
	v_add_f32_e32 v5, v5, v9
	v_add_f32_e32 v6, v6, v175
	v_add_f32_e32 v4, v5, v4
	v_add_f32_e32 v5, v6, v157
	s_waitcnt vmcnt(1)
	v_sub_f32_e32 v2, v2, v4
	s_waitcnt vmcnt(0)
	v_sub_f32_e32 v3, v3, v5
	buffer_store_dword v2, off, s[0:3], 0 offset:216
	buffer_store_dword v3, off, s[0:3], 0 offset:220
	v_cmpx_lt_u32_e32 26, v0
	s_cbranch_execz .LBB120_303
; %bb.302:
	s_clause 0x1
	buffer_load_dword v2, off, s[0:3], 0 offset:208
	buffer_load_dword v3, off, s[0:3], 0 offset:212
	buffer_store_dword v1, off, s[0:3], 0 offset:208
	buffer_store_dword v1, off, s[0:3], 0 offset:212
	s_waitcnt vmcnt(0)
	ds_write_b64 v127, v[2:3]
.LBB120_303:
	s_or_b32 exec_lo, exec_lo, s4
	s_waitcnt lgkmcnt(0)
	s_waitcnt_vscnt null, 0x0
	s_barrier
	buffer_gl0_inv
	s_clause 0x3d
	buffer_load_dword v159, off, s[0:3], 0 offset:220
	buffer_load_dword v160, off, s[0:3], 0 offset:228
	;; [unrolled: 1-line block ×62, first 2 shown]
	ds_read2_b64 v[151:154], v1 offset0:85 offset1:86
	ds_read2_b64 v[155:158], v1 offset0:87 offset1:88
	s_mov_b32 s4, exec_lo
	s_waitcnt vmcnt(61) lgkmcnt(1)
	v_mul_f32_e32 v187, v151, v159
	s_waitcnt vmcnt(60)
	v_mul_f32_e32 v188, v153, v160
	v_mul_f32_e32 v159, v152, v159
	;; [unrolled: 1-line block ×3, first 2 shown]
	s_waitcnt vmcnt(57)
	v_fmac_f32_e32 v187, v152, v162
	v_fmac_f32_e32 v188, v154, v161
	v_fma_f32 v159, v151, v162, -v159
	v_fma_f32 v189, v153, v161, -v160
	ds_read2_b64 v[151:154], v1 offset0:89 offset1:90
	s_waitcnt vmcnt(56) lgkmcnt(1)
	v_mul_f32_e32 v190, v155, v148
	v_mul_f32_e32 v148, v156, v148
	s_waitcnt vmcnt(55)
	v_mul_f32_e32 v191, v157, v149
	v_mul_f32_e32 v149, v158, v149
	v_fmac_f32_e32 v190, v156, v142
	v_fma_f32 v142, v155, v142, -v148
	s_waitcnt vmcnt(51)
	v_fmac_f32_e32 v191, v158, v163
	v_fma_f32 v163, v157, v163, -v149
	ds_read2_b64 v[155:158], v1 offset0:91 offset1:92
	v_add_f32_e32 v149, 0, v187
	v_add_f32_e32 v149, v149, v188
	s_waitcnt vmcnt(50) lgkmcnt(1)
	v_mul_f32_e32 v192, v151, v139
	v_mul_f32_e32 v139, v152, v139
	s_waitcnt vmcnt(49)
	v_mul_f32_e32 v193, v153, v138
	v_mul_f32_e32 v138, v154, v138
	v_fmac_f32_e32 v192, v152, v136
	v_fma_f32 v136, v151, v136, -v139
	v_fmac_f32_e32 v193, v154, v135
	v_fma_f32 v135, v153, v135, -v138
	ds_read2_b64 v[151:154], v1 offset0:93 offset1:94
	s_waitcnt vmcnt(48) lgkmcnt(1)
	v_mul_f32_e32 v138, v155, v9
	v_mul_f32_e32 v9, v156, v9
	s_waitcnt vmcnt(47)
	v_mul_f32_e32 v139, v157, v164
	v_mul_f32_e32 v148, v158, v164
	v_fmac_f32_e32 v138, v156, v5
	v_fma_f32 v5, v155, v5, -v9
	s_waitcnt vmcnt(43)
	v_fmac_f32_e32 v139, v158, v165
	v_fma_f32 v9, v157, v165, -v148
	ds_read2_b64 v[155:158], v1 offset0:95 offset1:96
	v_add_f32_e32 v148, 0, v159
	ds_read2_b64 v[159:162], v1 offset0:97 offset1:98
	v_add_f32_e32 v148, v148, v189
	s_waitcnt vmcnt(42) lgkmcnt(2)
	v_mul_f32_e32 v187, v151, v150
	v_mul_f32_e32 v150, v152, v150
	v_add_f32_e32 v142, v148, v142
	s_waitcnt vmcnt(41)
	v_mul_f32_e32 v189, v153, v143
	v_mul_f32_e32 v143, v154, v143
	v_fmac_f32_e32 v187, v152, v144
	v_fma_f32 v188, v151, v144, -v150
	v_add_f32_e32 v144, v149, v190
	v_add_f32_e32 v142, v142, v163
	ds_read2_b64 v[148:151], v1 offset0:99 offset1:100
	s_waitcnt vmcnt(40) lgkmcnt(2)
	v_mul_f32_e32 v190, v155, v140
	v_mul_f32_e32 v140, v156, v140
	v_add_f32_e32 v144, v144, v191
	v_add_f32_e32 v136, v142, v136
	s_waitcnt vmcnt(39)
	v_mul_f32_e32 v191, v157, v145
	v_fmac_f32_e32 v190, v156, v8
	v_fma_f32 v140, v155, v8, -v140
	v_add_f32_e32 v142, v144, v192
	v_add_f32_e32 v8, v136, v135
	v_mul_f32_e32 v163, v158, v145
	v_fmac_f32_e32 v189, v154, v10
	v_fma_f32 v10, v153, v10, -v143
	v_add_f32_e32 v135, v142, v193
	v_add_f32_e32 v5, v8, v5
	s_waitcnt vmcnt(34)
	v_fmac_f32_e32 v191, v158, v167
	v_fma_f32 v136, v157, v167, -v163
	s_waitcnt lgkmcnt(1)
	v_mul_f32_e32 v192, v159, v132
	v_add_f32_e32 v8, v135, v138
	v_add_f32_e32 v5, v5, v9
	s_waitcnt vmcnt(33)
	v_mul_f32_e32 v135, v161, v133
	v_mul_f32_e32 v9, v162, v133
	s_waitcnt vmcnt(32) lgkmcnt(0)
	v_mul_f32_e32 v138, v148, v130
	v_add_f32_e32 v8, v8, v139
	v_mul_f32_e32 v130, v149, v130
	v_add_f32_e32 v5, v5, v188
	s_waitcnt vmcnt(31)
	v_mul_f32_e32 v167, v151, v131
	v_fmac_f32_e32 v135, v162, v12
	v_fma_f32 v12, v161, v12, -v9
	v_fma_f32 v161, v148, v11, -v130
	v_add_f32_e32 v148, v8, v187
	v_add_f32_e32 v5, v5, v10
	s_waitcnt vmcnt(27)
	v_fma_f32 v162, v150, v171, -v167
	v_mul_f32_e32 v132, v160, v132
	ds_read2_b64 v[142:145], v1 offset0:101 offset1:102
	ds_read2_b64 v[152:155], v1 offset0:103 offset1:104
	v_add_f32_e32 v167, v148, v189
	v_add_f32_e32 v5, v5, v140
	v_fmac_f32_e32 v192, v160, v166
	v_fma_f32 v160, v159, v166, -v132
	v_mul_f32_e32 v139, v150, v131
	v_add_f32_e32 v167, v167, v190
	v_add_f32_e32 v5, v5, v136
	v_fmac_f32_e32 v138, v149, v11
	ds_read2_b64 v[156:159], v1 offset0:105 offset1:106
	ds_read2_b64 v[163:166], v1 offset0:107 offset1:108
	;; [unrolled: 1-line block ×4, first 2 shown]
	v_add_f32_e32 v167, v167, v191
	v_add_f32_e32 v5, v5, v160
	v_fmac_f32_e32 v139, v151, v171
	ds_read2_b64 v[148:151], v1 offset0:113 offset1:114
	v_add_f32_e32 v167, v167, v192
	v_add_f32_e32 v5, v5, v12
	s_waitcnt vmcnt(26) lgkmcnt(6)
	v_mul_f32_e32 v140, v143, v172
	v_mul_f32_e32 v1, v142, v172
	v_add_f32_e32 v135, v167, v135
	v_add_f32_e32 v5, v5, v161
	s_waitcnt vmcnt(25)
	v_mul_f32_e32 v172, v145, v173
	v_fma_f32 v140, v142, v170, -v140
	v_mul_f32_e32 v171, v144, v173
	v_add_f32_e32 v135, v135, v138
	v_add_f32_e32 v5, v5, v162
	v_fmac_f32_e32 v1, v143, v170
	v_fma_f32 v143, v144, v169, -v172
	s_waitcnt vmcnt(24) lgkmcnt(5)
	v_mul_f32_e32 v136, v152, v174
	v_add_f32_e32 v135, v135, v139
	v_mul_f32_e32 v139, v153, v174
	v_add_f32_e32 v5, v5, v140
	v_fmac_f32_e32 v171, v145, v169
	s_waitcnt vmcnt(23)
	v_mul_f32_e32 v173, v154, v175
	v_add_f32_e32 v1, v135, v1
	v_mul_f32_e32 v135, v155, v175
	v_fma_f32 v139, v152, v168, -v139
	v_add_f32_e32 v5, v5, v143
	v_fmac_f32_e32 v136, v153, v168
	v_add_f32_e32 v1, v1, v171
	s_waitcnt vmcnt(22) lgkmcnt(4)
	v_mul_f32_e32 v140, v157, v176
	s_waitcnt vmcnt(9)
	v_fma_f32 v135, v154, v181, -v135
	v_add_f32_e32 v5, v5, v139
	v_mul_f32_e32 v187, v156, v176
	v_fmac_f32_e32 v173, v155, v181
	v_add_f32_e32 v1, v1, v136
	v_mul_f32_e32 v136, v159, v177
	v_fma_f32 v139, v156, v180, -v140
	v_add_f32_e32 v5, v5, v135
	v_mul_f32_e32 v160, v158, v177
	v_fmac_f32_e32 v187, v157, v180
	v_add_f32_e32 v1, v1, v173
	s_waitcnt lgkmcnt(3)
	v_mul_f32_e32 v135, v164, v178
	v_fma_f32 v136, v158, v179, -v136
	v_add_f32_e32 v5, v5, v139
	v_mul_f32_e32 v188, v163, v178
	v_fmac_f32_e32 v160, v159, v179
	v_add_f32_e32 v1, v1, v187
	v_mul_f32_e32 v139, v166, v141
	v_fma_f32 v135, v163, v147, -v135
	v_add_f32_e32 v5, v5, v136
	v_mul_f32_e32 v189, v165, v141
	v_fmac_f32_e32 v188, v164, v147
	v_add_f32_e32 v1, v1, v160
	s_waitcnt lgkmcnt(2)
	v_mul_f32_e32 v12, v8, v134
	v_mul_f32_e32 v134, v9, v134
	s_waitcnt vmcnt(5)
	v_fma_f32 v136, v165, v146, -v139
	v_add_f32_e32 v5, v5, v135
	v_fmac_f32_e32 v189, v166, v146
	v_add_f32_e32 v1, v1, v188
	v_mul_f32_e32 v167, v10, v128
	v_mul_f32_e32 v128, v11, v128
	v_fma_f32 v8, v8, v137, -v134
	v_add_f32_e32 v5, v5, v136
	v_fmac_f32_e32 v12, v9, v137
	v_add_f32_e32 v1, v1, v189
	s_waitcnt lgkmcnt(1)
	v_mul_f32_e32 v190, v130, v7
	v_mul_f32_e32 v7, v131, v7
	v_fma_f32 v9, v10, v129, -v128
	v_add_f32_e32 v5, v5, v8
	v_fmac_f32_e32 v167, v11, v129
	v_add_f32_e32 v1, v1, v12
	v_mul_f32_e32 v161, v132, v4
	v_mul_f32_e32 v4, v133, v4
	v_fmac_f32_e32 v190, v131, v6
	v_fma_f32 v6, v130, v6, -v7
	v_add_f32_e32 v5, v5, v9
	v_add_f32_e32 v1, v1, v167
	s_waitcnt lgkmcnt(0)
	v_mul_f32_e32 v138, v148, v3
	v_mul_f32_e32 v3, v149, v3
	s_waitcnt vmcnt(2)
	v_fma_f32 v4, v132, v184, -v4
	v_add_f32_e32 v5, v5, v6
	v_fmac_f32_e32 v161, v133, v184
	v_add_f32_e32 v1, v1, v190
	v_mul_f32_e32 v142, v150, v2
	v_mul_f32_e32 v2, v151, v2
	v_fma_f32 v3, v148, v183, -v3
	v_add_f32_e32 v4, v5, v4
	v_fmac_f32_e32 v138, v149, v183
	v_add_f32_e32 v1, v1, v161
	v_fma_f32 v2, v150, v182, -v2
	v_fmac_f32_e32 v142, v151, v182
	v_add_f32_e32 v3, v4, v3
	v_add_f32_e32 v1, v1, v138
	;; [unrolled: 1-line block ×4, first 2 shown]
	s_waitcnt vmcnt(1)
	v_sub_f32_e32 v2, v185, v2
	s_waitcnt vmcnt(0)
	v_sub_f32_e32 v1, v186, v1
	buffer_store_dword v2, off, s[0:3], 0 offset:208
	buffer_store_dword v1, off, s[0:3], 0 offset:212
	v_cmpx_lt_u32_e32 25, v0
	s_cbranch_execz .LBB120_305
; %bb.304:
	s_clause 0x1
	buffer_load_dword v1, off, s[0:3], 0 offset:200
	buffer_load_dword v2, off, s[0:3], 0 offset:204
	v_mov_b32_e32 v3, 0
	buffer_store_dword v3, off, s[0:3], 0 offset:200
	buffer_store_dword v3, off, s[0:3], 0 offset:204
	s_waitcnt vmcnt(0)
	ds_write_b64 v127, v[1:2]
.LBB120_305:
	s_or_b32 exec_lo, exec_lo, s4
	s_waitcnt lgkmcnt(0)
	s_waitcnt_vscnt null, 0x0
	s_barrier
	buffer_gl0_inv
	s_clause 0x3e
	buffer_load_dword v9, off, s[0:3], 0 offset:212
	buffer_load_dword v12, off, s[0:3], 0 offset:220
	;; [unrolled: 1-line block ×64, first 2 shown]
	v_mov_b32_e32 v1, 0
	ds_read_b128 v[167:170], v1 offset:672
	ds_read_b128 v[171:174], v1 offset:688
	s_mov_b32 s4, exec_lo
	ds_read_b128 v[179:182], v1 offset:784
	s_waitcnt vmcnt(62) lgkmcnt(2)
	v_mul_f32_e32 v175, v167, v9
	v_mul_f32_e32 v176, v169, v12
	v_mul_f32_e32 v9, v168, v9
	v_mul_f32_e32 v12, v170, v12
	s_waitcnt vmcnt(59)
	v_fmac_f32_e32 v175, v168, v134
	v_fmac_f32_e32 v176, v170, v133
	v_fma_f32 v9, v167, v134, -v9
	v_fma_f32 v12, v169, v133, -v12
	ds_read_b128 v[167:170], v1 offset:704
	s_waitcnt vmcnt(58) lgkmcnt(2)
	v_mul_f32_e32 v133, v171, v130
	s_waitcnt vmcnt(57)
	v_mul_f32_e32 v134, v173, v131
	v_mul_f32_e32 v130, v172, v130
	;; [unrolled: 1-line block ×3, first 2 shown]
	v_add_f32_e32 v9, 0, v9
	v_fmac_f32_e32 v133, v172, v8
	s_waitcnt vmcnt(53)
	v_fmac_f32_e32 v134, v174, v157
	v_fma_f32 v8, v171, v8, -v130
	v_fma_f32 v130, v173, v157, -v131
	ds_read_b128 v[171:174], v1 offset:720
	v_add_f32_e32 v9, v9, v12
	v_add_f32_e32 v8, v9, v8
	s_waitcnt vmcnt(51) lgkmcnt(1)
	v_mul_f32_e32 v157, v169, v155
	v_mul_f32_e32 v155, v170, v155
	;; [unrolled: 1-line block ×4, first 2 shown]
	v_add_f32_e32 v8, v8, v130
	v_fmac_f32_e32 v157, v170, v148
	v_fma_f32 v148, v169, v148, -v155
	v_fmac_f32_e32 v131, v168, v152
	v_fma_f32 v152, v167, v152, -v156
	ds_read_b128 v[167:170], v1 offset:736
	s_waitcnt vmcnt(50) lgkmcnt(1)
	v_mul_f32_e32 v155, v171, v151
	v_mul_f32_e32 v151, v172, v151
	s_waitcnt vmcnt(49)
	v_mul_f32_e32 v197, v173, v149
	v_mul_f32_e32 v149, v174, v149
	v_add_f32_e32 v8, v8, v152
	v_fmac_f32_e32 v155, v172, v142
	v_fma_f32 v142, v171, v142, -v151
	v_add_f32_e32 v151, 0, v175
	s_waitcnt vmcnt(45)
	v_fmac_f32_e32 v197, v174, v165
	v_fma_f32 v149, v173, v165, -v149
	ds_read_b128 v[171:174], v1 offset:752
	v_add_f32_e32 v8, v8, v148
	v_add_f32_e32 v151, v151, v176
	ds_read_b128 v[175:178], v1 offset:768
	v_add_f32_e32 v8, v8, v142
	v_add_f32_e32 v12, v151, v133
	s_waitcnt vmcnt(34)
	v_mul_f32_e32 v142, v180, v146
	s_waitcnt lgkmcnt(2)
	v_mul_f32_e32 v151, v168, v163
	v_mul_f32_e32 v133, v167, v163
	v_add_f32_e32 v8, v8, v149
	v_add_f32_e32 v9, v12, v134
	v_mul_f32_e32 v130, v169, v159
	v_fma_f32 v12, v167, v160, -v151
	v_fmac_f32_e32 v133, v168, v160
	v_add_f32_e32 v9, v9, v131
	v_mul_f32_e32 v131, v170, v159
	v_add_f32_e32 v8, v8, v12
	s_waitcnt lgkmcnt(1)
	v_mul_f32_e32 v134, v171, v158
	v_mul_f32_e32 v151, v172, v158
	v_add_f32_e32 v9, v9, v157
	v_fma_f32 v131, v169, v140, -v131
	v_fmac_f32_e32 v130, v170, v140
	v_mul_f32_e32 v159, v174, v161
	v_fmac_f32_e32 v134, v172, v138
	v_add_f32_e32 v9, v9, v155
	v_fma_f32 v138, v171, v138, -v151
	v_add_f32_e32 v8, v8, v131
	v_mul_f32_e32 v152, v173, v161
	s_waitcnt lgkmcnt(0)
	v_mul_f32_e32 v140, v176, v150
	v_add_f32_e32 v9, v9, v197
	v_fma_f32 v159, v173, v166, -v159
	v_add_f32_e32 v138, v8, v138
	v_mul_f32_e32 v160, v175, v150
	ds_read_b128 v[155:158], v1 offset:800
	ds_read_b128 v[167:170], v1 offset:816
	v_add_f32_e32 v9, v9, v133
	v_fmac_f32_e32 v152, v174, v166
	v_fma_f32 v161, v175, v164, -v140
	v_mul_f32_e32 v140, v178, v153
	v_add_f32_e32 v138, v138, v159
	v_add_f32_e32 v9, v9, v130
	v_fmac_f32_e32 v160, v176, v164
	v_mul_f32_e32 v133, v177, v153
	v_mul_f32_e32 v12, v179, v146
	s_waitcnt vmcnt(33)
	v_mul_f32_e32 v130, v181, v147
	v_add_f32_e32 v131, v9, v134
	v_mul_f32_e32 v146, v182, v147
	v_fma_f32 v147, v177, v143, -v140
	v_add_f32_e32 v138, v138, v161
	v_fmac_f32_e32 v133, v178, v143
	v_add_f32_e32 v131, v131, v152
	v_fma_f32 v153, v179, v141, -v142
	v_fmac_f32_e32 v12, v180, v141
	v_add_f32_e32 v138, v138, v147
	s_waitcnt vmcnt(28)
	v_fma_f32 v134, v181, v154, -v146
	v_add_f32_e32 v131, v131, v160
	s_waitcnt vmcnt(27) lgkmcnt(1)
	v_mul_f32_e32 v146, v155, v144
	v_mul_f32_e32 v144, v156, v144
	v_add_f32_e32 v138, v138, v153
	ds_read_b128 v[148:151], v1 offset:832
	ds_read_b128 v[163:166], v1 offset:848
	v_add_f32_e32 v131, v131, v133
	v_fmac_f32_e32 v130, v182, v154
	s_waitcnt vmcnt(26)
	v_mul_f32_e32 v152, v157, v145
	v_mul_f32_e32 v145, v158, v145
	v_fmac_f32_e32 v146, v156, v139
	v_add_f32_e32 v12, v131, v12
	v_fma_f32 v139, v155, v139, -v144
	v_add_f32_e32 v134, v138, v134
	s_waitcnt lgkmcnt(2)
	v_mul_f32_e32 v154, v167, v137
	v_mul_f32_e32 v137, v168, v137
	v_add_f32_e32 v12, v12, v130
	v_fmac_f32_e32 v152, v158, v136
	v_fma_f32 v136, v157, v136, -v145
	v_add_f32_e32 v134, v134, v139
	s_waitcnt vmcnt(25)
	v_mul_f32_e32 v130, v170, v135
	v_add_f32_e32 v12, v12, v146
	v_fmac_f32_e32 v154, v168, v2
	v_fma_f32 v2, v167, v2, -v137
	v_add_f32_e32 v134, v134, v136
	v_mul_f32_e32 v159, v169, v135
	v_add_f32_e32 v12, v12, v152
	s_waitcnt vmcnt(24) lgkmcnt(1)
	v_mul_f32_e32 v144, v148, v132
	v_mul_f32_e32 v132, v149, v132
	s_waitcnt vmcnt(13)
	v_fma_f32 v130, v169, v183, -v130
	v_add_f32_e32 v2, v134, v2
	ds_read_b128 v[140:143], v1 offset:864
	ds_read_b128 v[171:174], v1 offset:880
	v_fmac_f32_e32 v159, v170, v183
	v_add_f32_e32 v12, v12, v154
	v_mul_f32_e32 v133, v150, v128
	v_mul_f32_e32 v128, v151, v128
	s_waitcnt vmcnt(10)
	v_fma_f32 v132, v148, v186, -v132
	v_add_f32_e32 v2, v2, v130
	v_fmac_f32_e32 v144, v149, v186
	v_add_f32_e32 v12, v12, v159
	s_waitcnt lgkmcnt(2)
	v_mul_f32_e32 v147, v163, v129
	v_mul_f32_e32 v129, v164, v129
	v_fma_f32 v128, v150, v185, -v128
	v_add_f32_e32 v2, v2, v132
	v_fmac_f32_e32 v133, v151, v185
	v_add_f32_e32 v12, v12, v144
	v_mul_f32_e32 v145, v165, v11
	v_mul_f32_e32 v11, v166, v11
	v_fma_f32 v129, v163, v184, -v129
	v_add_f32_e32 v2, v2, v128
	v_fmac_f32_e32 v147, v164, v184
	v_add_f32_e32 v12, v12, v133
	s_waitcnt lgkmcnt(1)
	v_mul_f32_e32 v155, v140, v10
	v_mul_f32_e32 v10, v141, v10
	s_waitcnt vmcnt(6)
	v_fma_f32 v11, v165, v190, -v11
	v_add_f32_e32 v2, v2, v129
	ds_read_b128 v[175:178], v1 offset:896
	ds_read_b64 v[8:9], v1 offset:912
	v_fmac_f32_e32 v145, v166, v190
	v_add_f32_e32 v12, v12, v147
	v_mul_f32_e32 v131, v142, v7
	v_mul_f32_e32 v7, v143, v7
	v_fma_f32 v10, v140, v189, -v10
	v_add_f32_e32 v2, v2, v11
	v_fmac_f32_e32 v155, v141, v189
	v_add_f32_e32 v11, v12, v145
	s_waitcnt lgkmcnt(2)
	v_mul_f32_e32 v153, v171, v6
	v_mul_f32_e32 v6, v172, v6
	v_fma_f32 v7, v142, v188, -v7
	v_add_f32_e32 v2, v2, v10
	v_fmac_f32_e32 v131, v143, v188
	v_add_f32_e32 v10, v11, v155
	v_mul_f32_e32 v156, v173, v5
	v_mul_f32_e32 v5, v174, v5
	v_fma_f32 v6, v171, v187, -v6
	v_add_f32_e32 v2, v2, v7
	v_fmac_f32_e32 v153, v172, v187
	v_add_f32_e32 v7, v10, v131
	s_waitcnt lgkmcnt(1)
	v_mul_f32_e32 v135, v175, v4
	v_mul_f32_e32 v4, v176, v4
	s_waitcnt vmcnt(2)
	v_fma_f32 v5, v173, v194, -v5
	v_add_f32_e32 v2, v2, v6
	v_fmac_f32_e32 v156, v174, v194
	v_add_f32_e32 v6, v7, v153
	v_mul_f32_e32 v138, v177, v3
	v_mul_f32_e32 v3, v178, v3
	v_fma_f32 v4, v175, v193, -v4
	v_add_f32_e32 v2, v2, v5
	v_fmac_f32_e32 v135, v176, v193
	v_add_f32_e32 v5, v6, v156
	s_waitcnt lgkmcnt(0)
	v_mul_f32_e32 v6, v9, v162
	v_fma_f32 v3, v177, v192, -v3
	v_add_f32_e32 v2, v2, v4
	v_mul_f32_e32 v139, v8, v162
	v_fmac_f32_e32 v138, v178, v192
	v_add_f32_e32 v4, v5, v135
	v_fma_f32 v5, v8, v191, -v6
	v_add_f32_e32 v2, v2, v3
	v_fmac_f32_e32 v139, v9, v191
	v_add_f32_e32 v3, v4, v138
	v_add_f32_e32 v2, v2, v5
	;; [unrolled: 1-line block ×3, first 2 shown]
	s_waitcnt vmcnt(1)
	v_sub_f32_e32 v2, v195, v2
	s_waitcnt vmcnt(0)
	v_sub_f32_e32 v3, v196, v3
	buffer_store_dword v2, off, s[0:3], 0 offset:200
	buffer_store_dword v3, off, s[0:3], 0 offset:204
	v_cmpx_lt_u32_e32 24, v0
	s_cbranch_execz .LBB120_307
; %bb.306:
	s_clause 0x1
	buffer_load_dword v2, off, s[0:3], 0 offset:192
	buffer_load_dword v3, off, s[0:3], 0 offset:196
	buffer_store_dword v1, off, s[0:3], 0 offset:192
	buffer_store_dword v1, off, s[0:3], 0 offset:196
	s_waitcnt vmcnt(0)
	ds_write_b64 v127, v[2:3]
.LBB120_307:
	s_or_b32 exec_lo, exec_lo, s4
	s_waitcnt lgkmcnt(0)
	s_waitcnt_vscnt null, 0x0
	s_barrier
	buffer_gl0_inv
	s_clause 0x31
	buffer_load_dword v129, off, s[0:3], 0 offset:204
	buffer_load_dword v3, off, s[0:3], 0 offset:212
	;; [unrolled: 1-line block ×50, first 2 shown]
	ds_read2_b64 v[161:164], v1 offset0:83 offset1:84
	s_clause 0x1
	buffer_load_dword v179, off, s[0:3], 0 offset:452
	buffer_load_dword v180, off, s[0:3], 0 offset:352
	ds_read2_b64 v[165:168], v1 offset0:85 offset1:86
	s_clause 0x2
	buffer_load_dword v181, off, s[0:3], 0 offset:376
	buffer_load_dword v182, off, s[0:3], 0 offset:368
	;; [unrolled: 1-line block ×3, first 2 shown]
	ds_read2_b64 v[169:172], v1 offset0:87 offset1:88
	s_clause 0x4
	buffer_load_dword v184, off, s[0:3], 0 offset:408
	buffer_load_dword v185, off, s[0:3], 0 offset:400
	;; [unrolled: 1-line block ×5, first 2 shown]
	s_mov_b32 s4, exec_lo
	s_waitcnt vmcnt(59) lgkmcnt(2)
	v_mul_f32_e32 v188, v161, v129
	v_mul_f32_e32 v129, v162, v129
	s_waitcnt vmcnt(58)
	v_mul_f32_e32 v190, v163, v3
	v_mul_f32_e32 v3, v164, v3
	s_waitcnt vmcnt(55)
	v_fmac_f32_e32 v188, v162, v9
	v_fma_f32 v129, v161, v9, -v129
	v_fmac_f32_e32 v190, v164, v6
	v_fma_f32 v3, v163, v6, -v3
	ds_read2_b64 v[161:164], v1 offset0:89 offset1:90
	s_clause 0x3
	buffer_load_dword v194, off, s[0:3], 0 offset:440
	buffer_load_dword v195, off, s[0:3], 0 offset:432
	;; [unrolled: 1-line block ×4, first 2 shown]
	s_waitcnt vmcnt(57) lgkmcnt(2)
	v_mul_f32_e32 v192, v167, v7
	v_mul_f32_e32 v6, v168, v7
	s_waitcnt vmcnt(51) lgkmcnt(1)
	v_mul_f32_e32 v193, v171, v139
	buffer_load_dword v198, off, s[0:3], 0 offset:192
	v_mul_f32_e32 v191, v165, v8
	v_fmac_f32_e32 v192, v168, v140
	v_fma_f32 v140, v167, v140, -v6
	v_mul_f32_e32 v6, v172, v139
	v_mul_f32_e32 v8, v166, v8
	v_fmac_f32_e32 v191, v166, v2
	v_fmac_f32_e32 v193, v172, v134
	v_fma_f32 v139, v171, v134, -v6
	buffer_load_dword v171, off, s[0:3], 0 offset:448
	v_fma_f32 v2, v165, v2, -v8
	ds_read2_b64 v[6:9], v1 offset0:91 offset1:92
	v_mul_f32_e32 v165, v169, v4
	v_mul_f32_e32 v4, v170, v4
	s_waitcnt vmcnt(52) lgkmcnt(1)
	v_mul_f32_e32 v134, v162, v136
	v_fmac_f32_e32 v165, v170, v137
	v_fma_f32 v4, v169, v137, -v4
	v_mul_f32_e32 v169, v161, v136
	s_waitcnt vmcnt(51)
	v_mul_f32_e32 v170, v163, v135
	v_mul_f32_e32 v135, v164, v135
	v_fmac_f32_e32 v169, v162, v131
	v_fma_f32 v131, v161, v131, -v134
	s_waitcnt vmcnt(47)
	v_fmac_f32_e32 v170, v164, v157
	v_fma_f32 v157, v163, v157, -v135
	ds_read2_b64 v[134:137], v1 offset0:93 offset1:94
	ds_read2_b64 v[161:164], v1 offset0:97 offset1:98
	s_waitcnt vmcnt(46) lgkmcnt(2)
	v_mul_f32_e32 v172, v6, v156
	v_mul_f32_e32 v156, v7, v156
	v_fmac_f32_e32 v172, v7, v154
	v_fma_f32 v154, v6, v154, -v156
	v_add_f32_e32 v6, 0, v129
	s_waitcnt vmcnt(45)
	v_mul_f32_e32 v129, v8, v152
	v_mul_f32_e32 v7, v9, v152
	v_add_f32_e32 v3, v6, v3
	v_add_f32_e32 v6, 0, v188
	v_fmac_f32_e32 v129, v9, v150
	v_fma_f32 v188, v8, v150, -v7
	v_add_f32_e32 v2, v3, v2
	v_add_f32_e32 v152, v6, v190
	ds_read2_b64 v[6:9], v1 offset0:95 offset1:96
	s_waitcnt vmcnt(44) lgkmcnt(2)
	v_mul_f32_e32 v190, v134, v146
	v_add_f32_e32 v2, v2, v140
	v_add_f32_e32 v3, v152, v191
	v_mul_f32_e32 v140, v135, v146
	s_waitcnt vmcnt(43)
	v_mul_f32_e32 v146, v136, v144
	v_mul_f32_e32 v144, v137, v144
	v_add_f32_e32 v2, v2, v4
	v_add_f32_e32 v3, v3, v192
	v_fmac_f32_e32 v190, v135, v141
	v_fma_f32 v191, v134, v141, -v140
	s_waitcnt vmcnt(39)
	v_fmac_f32_e32 v146, v137, v159
	v_add_f32_e32 v2, v2, v139
	v_add_f32_e32 v3, v3, v165
	v_fma_f32 v4, v136, v159, -v144
	ds_read2_b64 v[134:137], v1 offset0:99 offset1:100
	ds_read2_b64 v[165:168], v1 offset0:101 offset1:102
	s_waitcnt vmcnt(36) lgkmcnt(3)
	v_mul_f32_e32 v141, v162, v151
	v_add_f32_e32 v2, v2, v131
	v_add_f32_e32 v3, v3, v193
	v_mul_f32_e32 v131, v161, v151
	s_waitcnt lgkmcnt(2)
	v_mul_f32_e32 v139, v7, v155
	v_mul_f32_e32 v144, v6, v155
	v_add_f32_e32 v2, v2, v157
	v_add_f32_e32 v3, v3, v169
	v_fmac_f32_e32 v131, v162, v133
	v_fma_f32 v157, v161, v133, -v141
	v_mul_f32_e32 v159, v8, v153
	v_add_f32_e32 v2, v2, v154
	v_add_f32_e32 v3, v3, v170
	v_mul_f32_e32 v140, v9, v153
	v_fma_f32 v192, v6, v149, -v139
	v_fmac_f32_e32 v144, v7, v149
	v_add_f32_e32 v2, v2, v188
	v_add_f32_e32 v3, v3, v172
	s_waitcnt vmcnt(29) lgkmcnt(1)
	v_mul_f32_e32 v161, v134, v147
	v_mul_f32_e32 v133, v135, v147
	s_waitcnt vmcnt(28)
	v_mul_f32_e32 v147, v137, v148
	v_add_f32_e32 v2, v2, v191
	v_add_f32_e32 v3, v3, v129
	v_mul_f32_e32 v129, v136, v148
	v_fmac_f32_e32 v161, v135, v143
	v_fmac_f32_e32 v159, v9, v145
	v_fma_f32 v145, v8, v145, -v140
	v_add_f32_e32 v3, v3, v190
	v_fmac_f32_e32 v129, v137, v142
	v_fma_f32 v137, v134, v143, -v133
	v_add_f32_e32 v143, v2, v4
	v_mul_f32_e32 v169, v163, v138
	v_add_f32_e32 v146, v3, v146
	v_mul_f32_e32 v138, v164, v138
	ds_read2_b64 v[6:9], v1 offset0:103 offset1:104
	ds_read2_b64 v[149:152], v1 offset0:105 offset1:106
	v_add_f32_e32 v143, v143, v192
	v_fmac_f32_e32 v169, v164, v158
	v_add_f32_e32 v144, v146, v144
	v_fma_f32 v158, v163, v158, -v138
	v_fma_f32 v142, v136, v142, -v147
	v_add_f32_e32 v143, v143, v145
	s_waitcnt lgkmcnt(2)
	v_mul_f32_e32 v147, v165, v130
	v_add_f32_e32 v144, v144, v159
	v_mul_f32_e32 v130, v166, v130
	s_waitcnt vmcnt(27)
	v_mul_f32_e32 v146, v167, v132
	v_add_f32_e32 v143, v143, v157
	v_mul_f32_e32 v132, v168, v132
	v_add_f32_e32 v131, v144, v131
	v_fmac_f32_e32 v147, v166, v5
	v_fma_f32 v5, v165, v5, -v130
	v_add_f32_e32 v143, v143, v158
	ds_read2_b64 v[138:141], v1 offset0:107 offset1:108
	ds_read2_b64 v[153:156], v1 offset0:109 offset1:110
	v_add_f32_e32 v131, v131, v169
	s_waitcnt vmcnt(26) lgkmcnt(3)
	v_mul_f32_e32 v145, v6, v128
	v_mul_f32_e32 v128, v7, v128
	v_add_f32_e32 v137, v143, v137
	s_waitcnt vmcnt(14)
	v_fmac_f32_e32 v146, v168, v180
	v_add_f32_e32 v131, v131, v161
	v_mul_f32_e32 v148, v8, v12
	v_mul_f32_e32 v12, v9, v12
	v_add_f32_e32 v137, v137, v142
	s_waitcnt vmcnt(11)
	v_fma_f32 v6, v6, v183, -v128
	v_add_f32_e32 v129, v131, v129
	v_fma_f32 v131, v167, v180, -v132
	v_fmac_f32_e32 v145, v7, v183
	v_add_f32_e32 v5, v137, v5
	s_waitcnt lgkmcnt(2)
	v_mul_f32_e32 v159, v149, v11
	v_add_f32_e32 v129, v129, v147
	v_mul_f32_e32 v11, v150, v11
	v_fma_f32 v8, v8, v182, -v12
	v_add_f32_e32 v5, v5, v131
	v_fmac_f32_e32 v148, v9, v182
	v_add_f32_e32 v7, v129, v146
	v_fma_f32 v9, v149, v181, -v11
	v_mul_f32_e32 v157, v151, v10
	v_add_f32_e32 v5, v5, v6
	v_fmac_f32_e32 v159, v150, v181
	v_add_f32_e32 v6, v7, v145
	v_mul_f32_e32 v7, v152, v10
	ds_read2_b64 v[133:136], v1 offset0:111 offset1:112
	ds_read2_b64 v[1:4], v1 offset0:113 offset1:114
	v_add_f32_e32 v5, v5, v8
	s_waitcnt lgkmcnt(3)
	v_mul_f32_e32 v8, v139, v173
	v_add_f32_e32 v6, v6, v148
	s_waitcnt vmcnt(7)
	v_fma_f32 v7, v151, v187, -v7
	v_mul_f32_e32 v144, v138, v173
	v_add_f32_e32 v5, v5, v9
	v_fmac_f32_e32 v157, v152, v187
	v_add_f32_e32 v6, v6, v159
	v_mul_f32_e32 v9, v141, v174
	v_fma_f32 v8, v138, v186, -v8
	v_add_f32_e32 v5, v5, v7
	v_mul_f32_e32 v162, v140, v174
	v_fmac_f32_e32 v144, v139, v186
	v_add_f32_e32 v6, v6, v157
	s_waitcnt lgkmcnt(2)
	v_mul_f32_e32 v7, v154, v175
	v_fma_f32 v9, v140, v185, -v9
	v_add_f32_e32 v5, v5, v8
	v_mul_f32_e32 v158, v153, v175
	v_fmac_f32_e32 v162, v141, v185
	v_add_f32_e32 v6, v6, v144
	v_mul_f32_e32 v8, v156, v176
	v_fma_f32 v7, v153, v184, -v7
	v_add_f32_e32 v5, v5, v9
	v_mul_f32_e32 v163, v155, v176
	v_fmac_f32_e32 v158, v154, v184
	v_add_f32_e32 v6, v6, v162
	s_waitcnt lgkmcnt(1)
	v_mul_f32_e32 v9, v134, v177
	v_add_f32_e32 v5, v5, v7
	v_mul_f32_e32 v164, v133, v177
	v_mul_f32_e32 v7, v136, v178
	v_add_f32_e32 v6, v6, v158
	v_mul_f32_e32 v143, v135, v178
	s_waitcnt lgkmcnt(0)
	v_mul_f32_e32 v161, v1, v160
	v_mul_f32_e32 v130, v3, v179
	s_waitcnt vmcnt(5)
	v_fmac_f32_e32 v161, v2, v194
	s_waitcnt vmcnt(4)
	v_fma_f32 v7, v135, v195, -v7
	s_waitcnt vmcnt(3)
	v_fma_f32 v9, v133, v196, -v9
	;; [unrolled: 2-line block ×3, first 2 shown]
	v_fmac_f32_e32 v163, v156, v197
	v_fmac_f32_e32 v164, v134, v196
	;; [unrolled: 1-line block ×3, first 2 shown]
	v_add_f32_e32 v5, v5, v8
	v_add_f32_e32 v6, v6, v163
	v_mul_f32_e32 v8, v2, v160
	v_add_f32_e32 v5, v5, v9
	v_add_f32_e32 v6, v6, v164
	v_mul_f32_e32 v9, v4, v179
	v_fma_f32 v1, v1, v194, -v8
	s_waitcnt vmcnt(0)
	v_fmac_f32_e32 v130, v4, v171
	v_add_f32_e32 v2, v5, v7
	v_add_f32_e32 v5, v6, v143
	v_fma_f32 v3, v3, v171, -v9
	v_add_f32_e32 v1, v2, v1
	v_add_f32_e32 v2, v5, v161
	;; [unrolled: 1-line block ×4, first 2 shown]
	v_sub_f32_e32 v1, v198, v1
	v_sub_f32_e32 v2, v189, v2
	buffer_store_dword v1, off, s[0:3], 0 offset:192
	buffer_store_dword v2, off, s[0:3], 0 offset:196
	v_cmpx_lt_u32_e32 23, v0
	s_cbranch_execz .LBB120_309
; %bb.308:
	s_clause 0x1
	buffer_load_dword v1, off, s[0:3], 0 offset:184
	buffer_load_dword v2, off, s[0:3], 0 offset:188
	v_mov_b32_e32 v3, 0
	buffer_store_dword v3, off, s[0:3], 0 offset:184
	buffer_store_dword v3, off, s[0:3], 0 offset:188
	s_waitcnt vmcnt(0)
	ds_write_b64 v127, v[1:2]
.LBB120_309:
	s_or_b32 exec_lo, exec_lo, s4
	s_waitcnt lgkmcnt(0)
	s_waitcnt_vscnt null, 0x0
	s_barrier
	buffer_gl0_inv
	s_clause 0x26
	buffer_load_dword v6, off, s[0:3], 0 offset:196
	buffer_load_dword v8, off, s[0:3], 0 offset:204
	;; [unrolled: 1-line block ×39, first 2 shown]
	v_mov_b32_e32 v1, 0
	s_clause 0x2
	buffer_load_dword v132, off, s[0:3], 0 offset:356
	buffer_load_dword v130, off, s[0:3], 0 offset:364
	;; [unrolled: 1-line block ×3, first 2 shown]
	s_mov_b32 s4, exec_lo
	ds_read_b128 v[165:168], v1 offset:656
	s_clause 0x1
	buffer_load_dword v7, off, s[0:3], 0 offset:380
	buffer_load_dword v5, off, s[0:3], 0 offset:388
	ds_read_b128 v[169:172], v1 offset:672
	s_clause 0xc
	buffer_load_dword v149, off, s[0:3], 0 offset:344
	buffer_load_dword v3, off, s[0:3], 0 offset:396
	;; [unrolled: 1-line block ×13, first 2 shown]
	ds_read_b128 v[173:176], v1 offset:688
	s_waitcnt vmcnt(56) lgkmcnt(2)
	v_mul_f32_e32 v186, v165, v6
	v_mul_f32_e32 v6, v166, v6
	s_waitcnt vmcnt(55)
	v_mul_f32_e32 v187, v167, v8
	v_mul_f32_e32 v8, v168, v8
	s_waitcnt vmcnt(54) lgkmcnt(1)
	v_mul_f32_e32 v188, v169, v10
	s_waitcnt vmcnt(51)
	v_fmac_f32_e32 v186, v166, v129
	v_fma_f32 v6, v165, v129, -v6
	v_fmac_f32_e32 v187, v168, v12
	v_fma_f32 v8, v167, v12, -v8
	ds_read_b128 v[165:168], v1 offset:704
	s_clause 0x3
	buffer_load_dword v129, off, s[0:3], 0 offset:400
	buffer_load_dword v189, off, s[0:3], 0 offset:392
	;; [unrolled: 1-line block ×4, first 2 shown]
	v_mul_f32_e32 v10, v170, v10
	s_waitcnt vmcnt(54)
	v_mul_f32_e32 v12, v171, v11
	v_mul_f32_e32 v11, v172, v11
	v_fmac_f32_e32 v188, v170, v4
	v_add_f32_e32 v6, 0, v6
	v_fma_f32 v4, v169, v4, -v10
	s_waitcnt vmcnt(50)
	v_fmac_f32_e32 v12, v172, v146
	v_fma_f32 v10, v171, v146, -v11
	s_waitcnt vmcnt(49) lgkmcnt(1)
	v_mul_f32_e32 v11, v173, v145
	s_waitcnt vmcnt(48)
	v_mul_f32_e32 v146, v175, v144
	v_mul_f32_e32 v144, v176, v144
	ds_read_b128 v[169:172], v1 offset:720
	v_mul_f32_e32 v145, v174, v145
	v_fmac_f32_e32 v11, v174, v141
	v_fmac_f32_e32 v146, v176, v139
	v_fma_f32 v144, v175, v139, -v144
	s_clause 0x3
	buffer_load_dword v174, off, s[0:3], 0 offset:432
	buffer_load_dword v175, off, s[0:3], 0 offset:424
	;; [unrolled: 1-line block ×4, first 2 shown]
	v_fma_f32 v145, v173, v141, -v145
	s_waitcnt vmcnt(51) lgkmcnt(1)
	v_mul_f32_e32 v173, v165, v140
	v_mul_f32_e32 v139, v166, v140
	s_waitcnt vmcnt(50)
	v_mul_f32_e32 v193, v167, v138
	v_mul_f32_e32 v138, v168, v138
	v_add_f32_e32 v6, v6, v8
	v_fmac_f32_e32 v173, v166, v135
	v_fma_f32 v135, v165, v135, -v139
	v_add_f32_e32 v165, 0, v186
	s_waitcnt vmcnt(46)
	v_fmac_f32_e32 v193, v168, v162
	v_fma_f32 v162, v167, v162, -v138
	ds_read_b128 v[138:141], v1 offset:736
	v_add_f32_e32 v4, v6, v4
	s_waitcnt vmcnt(45) lgkmcnt(1)
	v_mul_f32_e32 v194, v169, v161
	v_mul_f32_e32 v161, v170, v161
	v_add_f32_e32 v4, v4, v10
	v_fmac_f32_e32 v194, v170, v159
	v_fma_f32 v159, v169, v159, -v161
	v_add_f32_e32 v161, v165, v187
	s_clause 0x2
	buffer_load_dword v186, off, s[0:3], 0 offset:448
	buffer_load_dword v187, off, s[0:3], 0 offset:440
	buffer_load_dword v8, off, s[0:3], 0 offset:184
	v_add_f32_e32 v4, v4, v145
	ds_read_b128 v[165:168], v1 offset:752
	v_add_f32_e32 v161, v161, v188
	s_waitcnt vmcnt(47)
	v_mul_f32_e32 v188, v171, v156
	v_mul_f32_e32 v156, v172, v156
	v_add_f32_e32 v4, v4, v144
	v_add_f32_e32 v12, v161, v12
	v_fmac_f32_e32 v188, v172, v153
	v_fma_f32 v6, v171, v153, -v156
	v_add_f32_e32 v4, v4, v135
	ds_read_b128 v[169:172], v1 offset:768
	v_add_f32_e32 v10, v12, v11
	s_waitcnt vmcnt(46) lgkmcnt(2)
	v_mul_f32_e32 v12, v139, v151
	v_mul_f32_e32 v11, v138, v151
	v_add_f32_e32 v4, v4, v162
	s_waitcnt vmcnt(45)
	v_mul_f32_e32 v195, v140, v150
	v_add_f32_e32 v10, v10, v146
	v_mul_f32_e32 v145, v141, v150
	v_fma_f32 v12, v138, v147, -v12
	v_add_f32_e32 v4, v4, v159
	v_fmac_f32_e32 v11, v139, v147
	v_add_f32_e32 v10, v10, v173
	s_waitcnt vmcnt(41)
	v_fmac_f32_e32 v195, v141, v163
	v_fma_f32 v163, v140, v163, -v145
	v_add_f32_e32 v4, v4, v6
	s_waitcnt vmcnt(40) lgkmcnt(1)
	v_mul_f32_e32 v150, v166, v158
	v_add_f32_e32 v10, v10, v193
	ds_read_b128 v[138:141], v1 offset:784
	ds_read_b128 v[144:147], v1 offset:800
	v_mul_f32_e32 v173, v165, v158
	v_add_f32_e32 v4, v4, v12
	s_waitcnt vmcnt(39)
	v_mul_f32_e32 v135, v168, v157
	v_add_f32_e32 v10, v10, v194
	v_fma_f32 v197, v165, v154, -v150
	v_mul_f32_e32 v196, v167, v157
	v_add_f32_e32 v4, v4, v163
	v_fmac_f32_e32 v173, v166, v154
	v_add_f32_e32 v10, v10, v188
	s_waitcnt vmcnt(38) lgkmcnt(2)
	v_mul_f32_e32 v158, v170, v155
	v_fma_f32 v198, v167, v152, -v135
	v_add_f32_e32 v4, v4, v197
	v_mul_f32_e32 v193, v169, v155
	v_add_f32_e32 v6, v10, v11
	v_fmac_f32_e32 v196, v168, v152
	s_waitcnt vmcnt(37)
	v_mul_f32_e32 v135, v172, v142
	v_fma_f32 v169, v169, v137, -v158
	v_add_f32_e32 v4, v4, v198
	v_add_f32_e32 v6, v6, v195
	v_mul_f32_e32 v162, v171, v142
	v_fmac_f32_e32 v193, v170, v137
	s_waitcnt vmcnt(31)
	v_fma_f32 v170, v171, v160, -v135
	s_waitcnt lgkmcnt(1)
	v_mul_f32_e32 v171, v138, v136
	v_add_f32_e32 v6, v6, v173
	v_mul_f32_e32 v10, v139, v136
	v_add_f32_e32 v4, v4, v169
	ds_read_b128 v[150:153], v1 offset:816
	ds_read_b128 v[154:157], v1 offset:832
	v_fmac_f32_e32 v162, v172, v160
	v_add_f32_e32 v6, v6, v196
	s_waitcnt vmcnt(30)
	v_mul_f32_e32 v12, v140, v148
	v_mul_f32_e32 v11, v141, v148
	v_fmac_f32_e32 v171, v139, v133
	v_fma_f32 v133, v138, v133, -v10
	v_add_f32_e32 v6, v6, v193
	v_add_f32_e32 v4, v4, v170
	v_fmac_f32_e32 v12, v141, v143
	v_fma_f32 v143, v140, v143, -v11
	s_waitcnt lgkmcnt(2)
	v_mul_f32_e32 v148, v144, v131
	v_add_f32_e32 v6, v6, v162
	v_mul_f32_e32 v131, v145, v131
	v_add_f32_e32 v4, v4, v133
	s_waitcnt vmcnt(29)
	v_mul_f32_e32 v163, v146, v134
	v_mul_f32_e32 v134, v147, v134
	v_add_f32_e32 v6, v6, v171
	v_fmac_f32_e32 v148, v145, v128
	v_fma_f32 v128, v144, v128, -v131
	v_add_f32_e32 v4, v4, v143
	s_waitcnt vmcnt(28) lgkmcnt(1)
	v_mul_f32_e32 v172, v150, v132
	v_add_f32_e32 v6, v6, v12
	v_mul_f32_e32 v132, v151, v132
	s_waitcnt vmcnt(23)
	v_fma_f32 v134, v146, v149, -v134
	v_add_f32_e32 v4, v4, v128
	ds_read_b128 v[158:161], v1 offset:848
	ds_read_b128 v[165:168], v1 offset:864
	v_fmac_f32_e32 v163, v147, v149
	v_add_f32_e32 v6, v6, v148
	v_mul_f32_e32 v12, v153, v130
	s_waitcnt vmcnt(14)
	v_fma_f32 v132, v150, v182, -v132
	v_add_f32_e32 v4, v4, v134
	v_mul_f32_e32 v169, v152, v130
	v_fmac_f32_e32 v172, v151, v182
	v_add_f32_e32 v6, v6, v163
	s_waitcnt lgkmcnt(2)
	v_mul_f32_e32 v131, v154, v9
	v_mul_f32_e32 v9, v155, v9
	s_waitcnt vmcnt(13)
	v_fma_f32 v12, v152, v183, -v12
	v_add_f32_e32 v4, v4, v132
	v_fmac_f32_e32 v169, v153, v183
	v_add_f32_e32 v6, v6, v172
	v_mul_f32_e32 v144, v156, v7
	v_mul_f32_e32 v7, v157, v7
	s_waitcnt vmcnt(12)
	v_fma_f32 v9, v154, v184, -v9
	v_add_f32_e32 v4, v4, v12
	v_fmac_f32_e32 v131, v155, v184
	v_add_f32_e32 v6, v6, v169
	s_waitcnt lgkmcnt(1)
	v_mul_f32_e32 v145, v158, v5
	v_mul_f32_e32 v5, v159, v5
	v_add_f32_e32 v4, v4, v9
	ds_read_b128 v[135:138], v1 offset:880
	ds_read_b128 v[139:142], v1 offset:896
	ds_read_b64 v[10:11], v1 offset:912
	v_add_f32_e32 v6, v6, v131
	v_mul_f32_e32 v146, v160, v3
	v_mul_f32_e32 v3, v161, v3
	s_waitcnt lgkmcnt(3)
	v_mul_f32_e32 v147, v165, v2
	v_mul_f32_e32 v2, v166, v2
	v_mul_f32_e32 v133, v167, v164
	s_waitcnt lgkmcnt(2)
	v_mul_f32_e32 v149, v135, v177
	v_mul_f32_e32 v162, v137, v178
	s_waitcnt lgkmcnt(1)
	v_mul_f32_e32 v130, v139, v179
	v_mul_f32_e32 v143, v141, v180
	s_waitcnt lgkmcnt(0)
	v_mul_f32_e32 v128, v10, v181
	s_waitcnt vmcnt(10)
	v_fma_f32 v2, v165, v129, -v2
	s_waitcnt vmcnt(9)
	v_fma_f32 v3, v160, v189, -v3
	;; [unrolled: 2-line block ×4, first 2 shown]
	v_fmac_f32_e32 v144, v157, v191
	v_fmac_f32_e32 v145, v159, v190
	;; [unrolled: 1-line block ×4, first 2 shown]
	v_add_f32_e32 v4, v4, v7
	v_add_f32_e32 v6, v6, v144
	;; [unrolled: 1-line block ×4, first 2 shown]
	v_mul_f32_e32 v6, v168, v164
	s_waitcnt vmcnt(6)
	v_fmac_f32_e32 v130, v140, v174
	v_add_f32_e32 v3, v4, v3
	v_add_f32_e32 v4, v5, v146
	v_mul_f32_e32 v5, v136, v177
	s_waitcnt vmcnt(3)
	v_fma_f32 v6, v167, v192, -v6
	v_fmac_f32_e32 v133, v168, v192
	v_add_f32_e32 v2, v3, v2
	v_add_f32_e32 v3, v4, v147
	v_mul_f32_e32 v4, v138, v178
	v_fma_f32 v5, v135, v176, -v5
	v_fmac_f32_e32 v149, v136, v176
	v_add_f32_e32 v2, v2, v6
	v_add_f32_e32 v3, v3, v133
	v_mul_f32_e32 v6, v140, v179
	;; [unrolled: 5-line block ×3, first 2 shown]
	v_fma_f32 v6, v139, v174, -v6
	v_add_f32_e32 v2, v2, v4
	v_add_f32_e32 v3, v3, v162
	v_mul_f32_e32 v4, v11, v181
	s_waitcnt vmcnt(2)
	v_fmac_f32_e32 v128, v11, v186
	s_waitcnt vmcnt(1)
	v_fma_f32 v5, v141, v187, -v5
	v_add_f32_e32 v2, v2, v6
	v_fmac_f32_e32 v143, v142, v187
	v_add_f32_e32 v3, v3, v130
	v_fma_f32 v4, v10, v186, -v4
	v_add_f32_e32 v2, v2, v5
	v_add_f32_e32 v3, v3, v143
	;; [unrolled: 1-line block ×4, first 2 shown]
	s_waitcnt vmcnt(0)
	v_sub_f32_e32 v2, v8, v2
	v_sub_f32_e32 v3, v185, v3
	buffer_store_dword v2, off, s[0:3], 0 offset:184
	buffer_store_dword v3, off, s[0:3], 0 offset:188
	v_cmpx_lt_u32_e32 22, v0
	s_cbranch_execz .LBB120_311
; %bb.310:
	s_clause 0x1
	buffer_load_dword v2, off, s[0:3], 0 offset:176
	buffer_load_dword v3, off, s[0:3], 0 offset:180
	buffer_store_dword v1, off, s[0:3], 0 offset:176
	buffer_store_dword v1, off, s[0:3], 0 offset:180
	s_waitcnt vmcnt(0)
	ds_write_b64 v127, v[2:3]
.LBB120_311:
	s_or_b32 exec_lo, exec_lo, s4
	s_waitcnt lgkmcnt(0)
	s_waitcnt_vscnt null, 0x0
	s_barrier
	buffer_gl0_inv
	s_clause 0x24
	buffer_load_dword v10, off, s[0:3], 0 offset:188
	buffer_load_dword v11, off, s[0:3], 0 offset:196
	;; [unrolled: 1-line block ×37, first 2 shown]
	ds_read2_b64 v[2:5], v1 offset0:81 offset1:82
	s_clause 0x1
	buffer_load_dword v174, off, s[0:3], 0 offset:332
	buffer_load_dword v175, off, s[0:3], 0 offset:340
	ds_read2_b64 v[6:9], v1 offset0:83 offset1:84
	s_clause 0xa
	buffer_load_dword v176, off, s[0:3], 0 offset:348
	buffer_load_dword v177, off, s[0:3], 0 offset:356
	;; [unrolled: 1-line block ×11, first 2 shown]
	ds_read2_b64 v[128:131], v1 offset0:85 offset1:86
	ds_read2_b64 v[132:135], v1 offset0:87 offset1:88
	;; [unrolled: 1-line block ×3, first 2 shown]
	s_clause 0x7
	buffer_load_dword v189, off, s[0:3], 0 offset:180
	buffer_load_dword v190, off, s[0:3], 0 offset:404
	;; [unrolled: 1-line block ×8, first 2 shown]
	s_mov_b32 s4, exec_lo
	s_waitcnt vmcnt(57) lgkmcnt(4)
	v_mul_f32_e32 v187, v3, v10
	v_mul_f32_e32 v10, v2, v10
	s_waitcnt vmcnt(56)
	v_mul_f32_e32 v188, v4, v11
	v_mul_f32_e32 v11, v5, v11
	s_waitcnt vmcnt(53)
	v_fma_f32 v187, v2, v141, -v187
	v_fmac_f32_e32 v10, v3, v141
	v_fmac_f32_e32 v188, v5, v140
	v_fma_f32 v11, v4, v140, -v11
	s_waitcnt vmcnt(52) lgkmcnt(3)
	v_mul_f32_e32 v140, v6, v142
	v_mul_f32_e32 v2, v7, v142
	s_waitcnt vmcnt(51)
	v_mul_f32_e32 v3, v9, v143
	v_mul_f32_e32 v141, v8, v143
	s_waitcnt vmcnt(46) lgkmcnt(2)
	v_mul_f32_e32 v142, v128, v148
	v_fmac_f32_e32 v140, v7, v12
	v_fma_f32 v6, v6, v12, -v2
	v_fma_f32 v12, v8, v147, -v3
	v_mul_f32_e32 v2, v129, v148
	s_waitcnt vmcnt(45)
	v_mul_f32_e32 v143, v130, v149
	v_mul_f32_e32 v3, v131, v149
	s_clause 0x3
	buffer_load_dword v148, off, s[0:3], 0 offset:392
	buffer_load_dword v149, off, s[0:3], 0 offset:384
	;; [unrolled: 1-line block ×4, first 2 shown]
	v_fmac_f32_e32 v141, v9, v147
	v_fmac_f32_e32 v142, v129, v146
	v_fma_f32 v128, v128, v146, -v2
	v_fmac_f32_e32 v143, v131, v145
	v_fma_f32 v145, v130, v145, -v3
	s_waitcnt vmcnt(48) lgkmcnt(1)
	v_mul_f32_e32 v146, v132, v150
	v_mul_f32_e32 v2, v133, v150
	s_waitcnt vmcnt(47)
	v_mul_f32_e32 v147, v134, v151
	v_mul_f32_e32 v3, v135, v151
	s_waitcnt vmcnt(42) lgkmcnt(0)
	v_mul_f32_e32 v150, v136, v156
	v_mul_f32_e32 v7, v137, v156
	s_waitcnt vmcnt(41)
	v_mul_f32_e32 v151, v138, v157
	v_mul_f32_e32 v8, v139, v157
	v_fmac_f32_e32 v146, v133, v144
	v_fma_f32 v132, v132, v144, -v2
	v_fmac_f32_e32 v147, v135, v155
	v_fma_f32 v144, v134, v155, -v3
	ds_read2_b64 v[2:5], v1 offset0:91 offset1:92
	v_fmac_f32_e32 v150, v137, v154
	v_fma_f32 v136, v136, v154, -v7
	v_fmac_f32_e32 v151, v139, v153
	v_fma_f32 v137, v138, v153, -v8
	s_clause 0x7
	buffer_load_dword v153, off, s[0:3], 0 offset:424
	buffer_load_dword v154, off, s[0:3], 0 offset:416
	;; [unrolled: 1-line block ×8, first 2 shown]
	v_add_f32_e32 v7, 0, v187
	v_add_f32_e32 v8, 0, v10
	;; [unrolled: 1-line block ×4, first 2 shown]
	s_waitcnt vmcnt(48) lgkmcnt(0)
	v_mul_f32_e32 v10, v2, v158
	v_mul_f32_e32 v9, v3, v158
	v_fmac_f32_e32 v10, v3, v152
	v_fma_f32 v11, v2, v152, -v9
	v_add_f32_e32 v2, v7, v6
	v_add_f32_e32 v3, v8, v140
	ds_read2_b64 v[6:9], v1 offset0:93 offset1:94
	s_waitcnt vmcnt(47)
	v_mul_f32_e32 v152, v4, v159
	v_add_f32_e32 v12, v2, v12
	v_mul_f32_e32 v2, v5, v159
	v_add_f32_e32 v129, v3, v141
	s_waitcnt vmcnt(43)
	v_fmac_f32_e32 v152, v5, v163
	v_add_f32_e32 v12, v12, v128
	v_fma_f32 v158, v4, v163, -v2
	ds_read2_b64 v[2:5], v1 offset0:95 offset1:96
	v_add_f32_e32 v133, v129, v142
	ds_read2_b64 v[128:131], v1 offset0:97 offset1:98
	v_add_f32_e32 v12, v12, v145
	v_add_f32_e32 v133, v133, v143
	;; [unrolled: 1-line block ×3, first 2 shown]
	s_waitcnt vmcnt(42) lgkmcnt(2)
	v_mul_f32_e32 v134, v7, v164
	v_mul_f32_e32 v145, v6, v164
	s_waitcnt vmcnt(41)
	v_mul_f32_e32 v138, v9, v165
	v_fma_f32 v159, v6, v162, -v134
	v_add_f32_e32 v6, v133, v146
	v_fmac_f32_e32 v145, v7, v162
	v_add_f32_e32 v7, v12, v144
	v_mul_f32_e32 v12, v8, v165
	s_waitcnt vmcnt(40) lgkmcnt(1)
	v_mul_f32_e32 v162, v2, v166
	v_add_f32_e32 v6, v6, v147
	v_mul_f32_e32 v139, v3, v166
	v_add_f32_e32 v7, v7, v136
	ds_read2_b64 v[132:135], v1 offset0:99 offset1:100
	v_fmac_f32_e32 v162, v3, v160
	v_add_f32_e32 v6, v6, v150
	v_fma_f32 v160, v2, v160, -v139
	v_add_f32_e32 v2, v7, v137
	v_fma_f32 v144, v8, v161, -v138
	v_fmac_f32_e32 v12, v9, v161
	v_add_f32_e32 v3, v6, v151
	s_waitcnt vmcnt(39)
	v_mul_f32_e32 v140, v5, v167
	v_add_f32_e32 v11, v2, v11
	v_mul_f32_e32 v163, v4, v167
	s_waitcnt vmcnt(38) lgkmcnt(1)
	v_mul_f32_e32 v141, v129, v168
	v_add_f32_e32 v10, v3, v10
	s_waitcnt vmcnt(34)
	v_fma_f32 v151, v4, v172, -v140
	v_add_f32_e32 v11, v11, v158
	v_mul_f32_e32 v150, v128, v168
	ds_read2_b64 v[6:9], v1 offset0:101 offset1:102
	ds_read2_b64 v[136:139], v1 offset0:103 offset1:104
	v_add_f32_e32 v10, v10, v152
	v_fmac_f32_e32 v163, v5, v172
	v_add_f32_e32 v11, v11, v159
	v_fma_f32 v161, v128, v171, -v141
	s_waitcnt vmcnt(33)
	v_mul_f32_e32 v128, v131, v173
	v_add_f32_e32 v10, v10, v145
	v_fmac_f32_e32 v150, v129, v171
	v_add_f32_e32 v11, v11, v144
	v_mul_f32_e32 v158, v130, v173
	s_waitcnt vmcnt(32) lgkmcnt(2)
	v_mul_f32_e32 v129, v133, v174
	v_add_f32_e32 v10, v10, v12
	v_fma_f32 v165, v130, v170, -v128
	v_add_f32_e32 v11, v11, v160
	v_mul_f32_e32 v152, v132, v174
	v_fmac_f32_e32 v158, v131, v170
	v_add_f32_e32 v10, v10, v162
	s_waitcnt vmcnt(31)
	v_mul_f32_e32 v164, v135, v175
	v_add_f32_e32 v11, v11, v151
	v_fma_f32 v166, v132, v169, -v129
	v_mul_f32_e32 v159, v134, v175
	v_add_f32_e32 v10, v10, v163
	v_fmac_f32_e32 v152, v133, v169
	v_add_f32_e32 v11, v11, v161
	s_waitcnt vmcnt(24)
	v_fma_f32 v164, v134, v182, -v164
	s_waitcnt lgkmcnt(1)
	v_mul_f32_e32 v12, v7, v176
	v_add_f32_e32 v10, v10, v150
	ds_read2_b64 v[2:5], v1 offset0:105 offset1:106
	ds_read2_b64 v[140:143], v1 offset0:107 offset1:108
	v_add_f32_e32 v11, v11, v165
	ds_read2_b64 v[128:131], v1 offset0:109 offset1:110
	ds_read2_b64 v[144:147], v1 offset0:111 offset1:112
	v_fmac_f32_e32 v159, v135, v182
	v_add_f32_e32 v10, v10, v158
	ds_read2_b64 v[132:135], v1 offset0:113 offset1:114
	v_add_f32_e32 v11, v11, v166
	v_mul_f32_e32 v1, v6, v176
	v_mul_f32_e32 v162, v9, v177
	v_add_f32_e32 v10, v10, v152
	v_fma_f32 v6, v6, v181, -v12
	v_add_f32_e32 v11, v11, v164
	v_mul_f32_e32 v160, v8, v177
	v_fmac_f32_e32 v1, v7, v181
	v_add_f32_e32 v10, v10, v159
	s_waitcnt lgkmcnt(5)
	v_mul_f32_e32 v12, v137, v178
	v_fma_f32 v8, v8, v180, -v162
	v_add_f32_e32 v6, v11, v6
	v_mul_f32_e32 v151, v136, v178
	v_fmac_f32_e32 v160, v9, v180
	v_add_f32_e32 v1, v10, v1
	s_waitcnt vmcnt(23)
	v_mul_f32_e32 v9, v139, v183
	v_fma_f32 v10, v136, v179, -v12
	v_add_f32_e32 v6, v6, v8
	v_mul_f32_e32 v163, v138, v183
	v_fmac_f32_e32 v151, v137, v179
	v_add_f32_e32 v1, v1, v160
	s_waitcnt vmcnt(22) lgkmcnt(4)
	v_mul_f32_e32 v167, v2, v184
	v_mul_f32_e32 v8, v3, v184
	v_add_f32_e32 v6, v6, v10
	s_waitcnt vmcnt(21)
	v_mul_f32_e32 v10, v5, v185
	v_add_f32_e32 v1, v1, v151
	v_mul_f32_e32 v161, v4, v185
	s_waitcnt vmcnt(20) lgkmcnt(3)
	v_mul_f32_e32 v150, v140, v186
	s_waitcnt vmcnt(18)
	v_mul_f32_e32 v168, v142, v190
	s_waitcnt vmcnt(17) lgkmcnt(2)
	v_mul_f32_e32 v165, v128, v191
	s_waitcnt vmcnt(16)
	v_mul_f32_e32 v158, v130, v192
	s_waitcnt vmcnt(15) lgkmcnt(1)
	v_mul_f32_e32 v169, v144, v193
	s_waitcnt vmcnt(14)
	v_mul_f32_e32 v166, v146, v194
	s_waitcnt vmcnt(13) lgkmcnt(0)
	v_mul_f32_e32 v152, v132, v195
	s_waitcnt vmcnt(12)
	v_mul_f32_e32 v7, v134, v196
	s_waitcnt vmcnt(11)
	v_fmac_f32_e32 v150, v141, v148
	s_waitcnt vmcnt(10)
	v_fma_f32 v4, v4, v149, -v10
	s_waitcnt vmcnt(9)
	v_fmac_f32_e32 v167, v3, v197
	s_waitcnt vmcnt(8)
	v_fma_f32 v9, v138, v198, -v9
	v_fmac_f32_e32 v163, v139, v198
	v_fma_f32 v2, v2, v197, -v8
	v_fmac_f32_e32 v161, v5, v149
	v_add_f32_e32 v3, v6, v9
	v_add_f32_e32 v1, v1, v163
	v_mul_f32_e32 v6, v141, v186
	v_add_f32_e32 v2, v3, v2
	v_add_f32_e32 v1, v1, v167
	v_mul_f32_e32 v3, v143, v190
	v_fma_f32 v5, v140, v148, -v6
	v_add_f32_e32 v2, v2, v4
	v_add_f32_e32 v1, v1, v161
	v_mul_f32_e32 v4, v129, v191
	s_waitcnt vmcnt(5)
	v_fmac_f32_e32 v165, v129, v155
	s_waitcnt vmcnt(4)
	v_fma_f32 v3, v142, v156, -v3
	v_add_f32_e32 v2, v2, v5
	v_fmac_f32_e32 v168, v143, v156
	v_add_f32_e32 v1, v1, v150
	v_mul_f32_e32 v5, v131, v192
	v_fma_f32 v4, v128, v155, -v4
	v_add_f32_e32 v2, v2, v3
	v_mul_f32_e32 v3, v145, v193
	v_add_f32_e32 v1, v1, v168
	v_fma_f32 v5, v130, v154, -v5
	v_fmac_f32_e32 v158, v131, v154
	v_add_f32_e32 v2, v2, v4
	v_mul_f32_e32 v4, v147, v194
	v_add_f32_e32 v1, v1, v165
	v_fma_f32 v3, v144, v153, -v3
	v_fmac_f32_e32 v169, v145, v153
	v_add_f32_e32 v2, v2, v5
	v_mul_f32_e32 v5, v133, v195
	v_add_f32_e32 v1, v1, v158
	s_waitcnt vmcnt(1)
	v_fma_f32 v4, v146, v200, -v4
	v_fmac_f32_e32 v166, v147, v200
	v_add_f32_e32 v2, v2, v3
	v_mul_f32_e32 v3, v135, v196
	v_add_f32_e32 v1, v1, v169
	v_fma_f32 v5, v132, v199, -v5
	v_fmac_f32_e32 v152, v133, v199
	v_add_f32_e32 v2, v2, v4
	v_fma_f32 v3, v134, v157, -v3
	v_add_f32_e32 v1, v1, v166
	v_fmac_f32_e32 v7, v135, v157
	v_add_f32_e32 v2, v2, v5
	v_add_f32_e32 v1, v1, v152
	;; [unrolled: 1-line block ×4, first 2 shown]
	s_waitcnt vmcnt(0)
	v_sub_f32_e32 v2, v201, v2
	v_sub_f32_e32 v1, v189, v1
	buffer_store_dword v2, off, s[0:3], 0 offset:176
	buffer_store_dword v1, off, s[0:3], 0 offset:180
	v_cmpx_lt_u32_e32 21, v0
	s_cbranch_execz .LBB120_313
; %bb.312:
	s_clause 0x1
	buffer_load_dword v1, off, s[0:3], 0 offset:168
	buffer_load_dword v2, off, s[0:3], 0 offset:172
	v_mov_b32_e32 v3, 0
	buffer_store_dword v3, off, s[0:3], 0 offset:168
	buffer_store_dword v3, off, s[0:3], 0 offset:172
	s_waitcnt vmcnt(0)
	ds_write_b64 v127, v[1:2]
.LBB120_313:
	s_or_b32 exec_lo, exec_lo, s4
	s_waitcnt lgkmcnt(0)
	s_waitcnt_vscnt null, 0x0
	s_barrier
	buffer_gl0_inv
	s_clause 0x23
	buffer_load_dword v2, off, s[0:3], 0 offset:180
	buffer_load_dword v3, off, s[0:3], 0 offset:188
	;; [unrolled: 1-line block ×36, first 2 shown]
	v_mov_b32_e32 v1, 0
	s_clause 0x1
	buffer_load_dword v169, off, s[0:3], 0 offset:316
	buffer_load_dword v170, off, s[0:3], 0 offset:324
	s_mov_b32 s4, exec_lo
	ds_read_b128 v[4:7], v1 offset:640
	s_clause 0x7
	buffer_load_dword v171, off, s[0:3], 0 offset:332
	buffer_load_dword v172, off, s[0:3], 0 offset:340
	;; [unrolled: 1-line block ×8, first 2 shown]
	ds_read_b128 v[8:11], v1 offset:656
	s_clause 0x3
	buffer_load_dword v179, off, s[0:3], 0 offset:364
	buffer_load_dword v180, off, s[0:3], 0 offset:372
	;; [unrolled: 1-line block ×4, first 2 shown]
	ds_read_b128 v[128:131], v1 offset:672
	s_clause 0x4
	buffer_load_dword v183, off, s[0:3], 0 offset:396
	buffer_load_dword v184, off, s[0:3], 0 offset:404
	;; [unrolled: 1-line block ×5, first 2 shown]
	ds_read_b128 v[132:135], v1 offset:688
	s_waitcnt vmcnt(54) lgkmcnt(3)
	v_mul_f32_e32 v188, v5, v2
	v_mul_f32_e32 v189, v4, v2
	s_waitcnt vmcnt(53)
	v_mul_f32_e32 v190, v6, v3
	v_mul_f32_e32 v2, v7, v3
	s_waitcnt vmcnt(50)
	v_fma_f32 v188, v4, v137, -v188
	v_fmac_f32_e32 v189, v5, v137
	v_fmac_f32_e32 v190, v7, v136
	v_fma_f32 v136, v6, v136, -v2
	ds_read_b128 v[2:5], v1 offset:704
	s_waitcnt vmcnt(49) lgkmcnt(3)
	v_mul_f32_e32 v137, v8, v138
	v_mul_f32_e32 v6, v9, v138
	s_clause 0x7
	buffer_load_dword v192, off, s[0:3], 0 offset:428
	buffer_load_dword v193, off, s[0:3], 0 offset:436
	;; [unrolled: 1-line block ×8, first 2 shown]
	s_waitcnt vmcnt(56)
	v_mul_f32_e32 v138, v10, v139
	v_mul_f32_e32 v7, v11, v139
	s_waitcnt vmcnt(55) lgkmcnt(2)
	v_mul_f32_e32 v139, v128, v140
	v_mul_f32_e32 v140, v129, v140
	v_fmac_f32_e32 v137, v9, v12
	v_fma_f32 v12, v8, v12, -v6
	s_waitcnt vmcnt(54)
	v_mul_f32_e32 v6, v131, v141
	v_mul_f32_e32 v191, v130, v141
	s_waitcnt vmcnt(50)
	v_fmac_f32_e32 v138, v11, v145
	v_fma_f32 v11, v128, v144, -v140
	s_waitcnt vmcnt(49) lgkmcnt(1)
	v_mul_f32_e32 v140, v132, v146
	v_fma_f32 v128, v130, v143, -v6
	v_mul_f32_e32 v6, v133, v146
	v_fma_f32 v10, v10, v145, -v7
	v_fmac_f32_e32 v139, v129, v144
	v_fmac_f32_e32 v191, v131, v143
	s_waitcnt vmcnt(48)
	v_mul_f32_e32 v141, v134, v147
	v_mul_f32_e32 v7, v135, v147
	v_fmac_f32_e32 v140, v133, v142
	v_fma_f32 v132, v132, v142, -v6
	s_waitcnt vmcnt(43) lgkmcnt(0)
	v_mul_f32_e32 v142, v2, v152
	v_mul_f32_e32 v129, v3, v152
	s_waitcnt vmcnt(42)
	v_mul_f32_e32 v143, v4, v153
	v_mul_f32_e32 v130, v5, v153
	v_fmac_f32_e32 v141, v135, v151
	v_fma_f32 v133, v134, v151, -v7
	ds_read_b128 v[6:9], v1 offset:720
	v_fmac_f32_e32 v142, v3, v150
	v_fma_f32 v144, v2, v150, -v129
	v_fmac_f32_e32 v143, v5, v149
	v_fma_f32 v145, v4, v149, -v130
	s_clause 0x3
	buffer_load_dword v149, off, s[0:3], 0 offset:416
	buffer_load_dword v150, off, s[0:3], 0 offset:408
	;; [unrolled: 1-line block ×4, first 2 shown]
	v_add_f32_e32 v2, 0, v188
	s_clause 0x3
	buffer_load_dword v153, off, s[0:3], 0 offset:448
	buffer_load_dword v188, off, s[0:3], 0 offset:440
	;; [unrolled: 1-line block ×4, first 2 shown]
	v_add_f32_e32 v3, 0, v189
	buffer_load_dword v189, off, s[0:3], 0 offset:168
	v_add_f32_e32 v2, v2, v136
	v_add_f32_e32 v3, v3, v190
	v_add_f32_e32 v2, v2, v12
	v_add_f32_e32 v3, v3, v137
	s_waitcnt vmcnt(50) lgkmcnt(0)
	v_mul_f32_e32 v12, v6, v154
	v_mul_f32_e32 v4, v7, v154
	v_fmac_f32_e32 v12, v7, v148
	v_fma_f32 v136, v6, v148, -v4
	v_add_f32_e32 v6, v2, v10
	v_add_f32_e32 v7, v3, v138
	ds_read_b128 v[2:5], v1 offset:736
	v_add_f32_e32 v10, v6, v11
	s_waitcnt vmcnt(49)
	v_mul_f32_e32 v11, v8, v155
	v_mul_f32_e32 v6, v9, v155
	v_add_f32_e32 v129, v7, v139
	v_add_f32_e32 v10, v10, v128
	s_waitcnt vmcnt(45)
	v_fmac_f32_e32 v11, v9, v159
	v_fma_f32 v146, v8, v159, -v6
	ds_read_b128 v[6:9], v1 offset:752
	v_add_f32_e32 v134, v129, v191
	ds_read_b128 v[128:131], v1 offset:768
	v_add_f32_e32 v10, v10, v132
	v_add_f32_e32 v134, v134, v140
	;; [unrolled: 1-line block ×3, first 2 shown]
	s_waitcnt vmcnt(44) lgkmcnt(2)
	v_mul_f32_e32 v132, v3, v160
	v_mul_f32_e32 v147, v2, v160
	s_waitcnt vmcnt(43)
	v_mul_f32_e32 v137, v5, v161
	v_fma_f32 v148, v2, v158, -v132
	v_add_f32_e32 v2, v134, v141
	v_fmac_f32_e32 v147, v3, v158
	v_add_f32_e32 v3, v10, v144
	ds_read_b128 v[132:135], v1 offset:784
	v_mul_f32_e32 v10, v4, v161
	v_add_f32_e32 v2, v2, v142
	s_waitcnt vmcnt(42) lgkmcnt(2)
	v_mul_f32_e32 v138, v7, v162
	v_add_f32_e32 v3, v3, v145
	v_mul_f32_e32 v154, v6, v162
	s_waitcnt vmcnt(40) lgkmcnt(1)
	v_mul_f32_e32 v158, v128, v164
	v_add_f32_e32 v2, v2, v143
	v_fma_f32 v145, v6, v156, -v138
	v_add_f32_e32 v6, v3, v136
	v_fmac_f32_e32 v154, v7, v156
	s_waitcnt vmcnt(37)
	v_fmac_f32_e32 v158, v129, v167
	v_add_f32_e32 v7, v2, v12
	v_mul_f32_e32 v12, v129, v164
	v_add_f32_e32 v129, v6, v146
	v_fma_f32 v144, v4, v157, -v137
	v_fmac_f32_e32 v10, v5, v157
	v_add_f32_e32 v11, v7, v11
	v_fma_f32 v12, v128, v167, -v12
	v_add_f32_e32 v128, v129, v148
	v_mul_f32_e32 v140, v9, v163
	v_mul_f32_e32 v155, v8, v163
	v_add_f32_e32 v11, v11, v147
	ds_read_b128 v[2:5], v1 offset:800
	ds_read_b128 v[136:139], v1 offset:816
	v_add_f32_e32 v128, v128, v144
	s_waitcnt vmcnt(36)
	v_fma_f32 v156, v8, v168, -v140
	v_fmac_f32_e32 v155, v9, v168
	v_add_f32_e32 v10, v11, v10
	s_waitcnt vmcnt(35)
	v_mul_f32_e32 v129, v131, v169
	v_add_f32_e32 v163, v128, v145
	v_mul_f32_e32 v148, v130, v169
	s_waitcnt vmcnt(34) lgkmcnt(2)
	v_mul_f32_e32 v144, v133, v170
	v_add_f32_e32 v154, v10, v154
	v_fma_f32 v161, v130, v166, -v129
	v_add_f32_e32 v156, v163, v156
	v_mul_f32_e32 v157, v132, v170
	v_fmac_f32_e32 v148, v131, v166
	v_add_f32_e32 v154, v154, v155
	s_waitcnt vmcnt(33)
	v_mul_f32_e32 v160, v135, v171
	v_add_f32_e32 v12, v156, v12
	v_fma_f32 v162, v132, v165, -v144
	v_mul_f32_e32 v159, v134, v171
	v_add_f32_e32 v154, v154, v158
	v_fmac_f32_e32 v157, v133, v165
	v_add_f32_e32 v12, v12, v161
	s_waitcnt vmcnt(26)
	v_fma_f32 v160, v134, v178, -v160
	s_waitcnt lgkmcnt(1)
	v_mul_f32_e32 v164, v3, v172
	v_add_f32_e32 v148, v154, v148
	ds_read_b128 v[6:9], v1 offset:832
	ds_read_b128 v[140:143], v1 offset:848
	v_add_f32_e32 v12, v12, v162
	v_fmac_f32_e32 v159, v135, v178
	v_mul_f32_e32 v163, v2, v172
	v_add_f32_e32 v148, v148, v157
	v_mul_f32_e32 v165, v5, v173
	v_fma_f32 v2, v2, v177, -v164
	v_add_f32_e32 v12, v12, v160
	v_mul_f32_e32 v155, v4, v173
	v_fmac_f32_e32 v163, v3, v177
	v_add_f32_e32 v148, v148, v159
	s_waitcnt lgkmcnt(2)
	v_mul_f32_e32 v164, v137, v174
	v_fma_f32 v4, v4, v176, -v165
	v_add_f32_e32 v2, v12, v2
	v_mul_f32_e32 v156, v136, v174
	v_fmac_f32_e32 v155, v5, v176
	v_add_f32_e32 v12, v148, v163
	s_waitcnt vmcnt(25)
	v_mul_f32_e32 v159, v139, v179
	v_fma_f32 v136, v136, v175, -v164
	v_add_f32_e32 v2, v2, v4
	v_mul_f32_e32 v158, v138, v179
	v_fmac_f32_e32 v156, v137, v175
	v_add_f32_e32 v4, v12, v155
	s_waitcnt vmcnt(24) lgkmcnt(1)
	v_mul_f32_e32 v12, v7, v180
	v_add_f32_e32 v2, v2, v136
	ds_read_b128 v[128:131], v1 offset:864
	ds_read_b128 v[144:147], v1 offset:880
	v_mul_f32_e32 v3, v6, v180
	v_add_f32_e32 v4, v4, v156
	s_waitcnt vmcnt(23)
	v_mul_f32_e32 v136, v9, v181
	v_mul_f32_e32 v161, v8, v181
	s_waitcnt vmcnt(22) lgkmcnt(2)
	v_mul_f32_e32 v154, v140, v182
	s_waitcnt vmcnt(21)
	v_mul_f32_e32 v5, v142, v183
	ds_read_b128 v[132:135], v1 offset:896
	ds_read_b64 v[10:11], v1 offset:912
	s_waitcnt vmcnt(20) lgkmcnt(3)
	v_mul_f32_e32 v165, v128, v184
	s_waitcnt vmcnt(19)
	v_mul_f32_e32 v157, v130, v185
	s_waitcnt vmcnt(18) lgkmcnt(2)
	v_mul_f32_e32 v162, v144, v186
	s_waitcnt vmcnt(16)
	v_mul_f32_e32 v166, v146, v192
	s_waitcnt vmcnt(12)
	v_fmac_f32_e32 v154, v141, v196
	s_waitcnt vmcnt(11)
	v_fma_f32 v8, v8, v197, -v136
	s_waitcnt vmcnt(10)
	v_fma_f32 v6, v6, v198, -v12
	;; [unrolled: 2-line block ×3, first 2 shown]
	v_fmac_f32_e32 v158, v139, v199
	v_fmac_f32_e32 v3, v7, v198
	v_mul_f32_e32 v7, v141, v182
	v_fmac_f32_e32 v161, v9, v197
	v_add_f32_e32 v2, v2, v137
	v_add_f32_e32 v4, v4, v158
	s_waitcnt lgkmcnt(1)
	v_mul_f32_e32 v160, v132, v193
	v_mul_f32_e32 v167, v134, v194
	s_waitcnt lgkmcnt(0)
	v_mul_f32_e32 v148, v10, v195
	v_add_f32_e32 v2, v2, v6
	v_add_f32_e32 v3, v4, v3
	v_mul_f32_e32 v4, v143, v183
	v_fma_f32 v6, v140, v196, -v7
	v_mul_f32_e32 v7, v129, v184
	v_add_f32_e32 v2, v2, v8
	v_add_f32_e32 v3, v3, v161
	;; [unrolled: 1-line block ×4, first 2 shown]
	v_mul_f32_e32 v6, v131, v185
	s_waitcnt vmcnt(8)
	v_fmac_f32_e32 v162, v145, v149
	s_waitcnt vmcnt(7)
	v_fmac_f32_e32 v157, v131, v150
	s_waitcnt vmcnt(6)
	v_fma_f32 v7, v128, v151, -v7
	s_waitcnt vmcnt(5)
	v_fma_f32 v4, v142, v152, -v4
	v_fmac_f32_e32 v5, v143, v152
	v_fmac_f32_e32 v165, v129, v151
	s_waitcnt vmcnt(1)
	v_fmac_f32_e32 v166, v147, v201
	v_fmac_f32_e32 v160, v133, v200
	v_add_f32_e32 v2, v2, v4
	v_add_f32_e32 v3, v3, v5
	v_mul_f32_e32 v4, v145, v186
	v_fma_f32 v5, v130, v150, -v6
	v_mul_f32_e32 v6, v147, v192
	v_add_f32_e32 v2, v2, v7
	v_add_f32_e32 v3, v3, v165
	v_fma_f32 v4, v144, v149, -v4
	v_fmac_f32_e32 v167, v135, v188
	v_fma_f32 v6, v146, v201, -v6
	v_add_f32_e32 v2, v2, v5
	v_add_f32_e32 v3, v3, v157
	v_mul_f32_e32 v5, v133, v193
	v_fmac_f32_e32 v148, v11, v153
	v_add_f32_e32 v2, v2, v4
	v_add_f32_e32 v3, v3, v162
	v_mul_f32_e32 v4, v135, v194
	v_fma_f32 v5, v132, v200, -v5
	v_add_f32_e32 v2, v2, v6
	v_add_f32_e32 v3, v3, v166
	v_mul_f32_e32 v6, v11, v195
	v_fma_f32 v4, v134, v188, -v4
	v_add_f32_e32 v2, v2, v5
	v_add_f32_e32 v3, v3, v160
	v_fma_f32 v5, v10, v153, -v6
	v_add_f32_e32 v2, v2, v4
	v_add_f32_e32 v3, v3, v167
	;; [unrolled: 1-line block ×4, first 2 shown]
	s_waitcnt vmcnt(0)
	v_sub_f32_e32 v2, v189, v2
	v_sub_f32_e32 v3, v187, v3
	buffer_store_dword v2, off, s[0:3], 0 offset:168
	buffer_store_dword v3, off, s[0:3], 0 offset:172
	v_cmpx_lt_u32_e32 20, v0
	s_cbranch_execz .LBB120_315
; %bb.314:
	s_clause 0x1
	buffer_load_dword v2, off, s[0:3], 0 offset:160
	buffer_load_dword v3, off, s[0:3], 0 offset:164
	buffer_store_dword v1, off, s[0:3], 0 offset:160
	buffer_store_dword v1, off, s[0:3], 0 offset:164
	s_waitcnt vmcnt(0)
	ds_write_b64 v127, v[2:3]
.LBB120_315:
	s_or_b32 exec_lo, exec_lo, s4
	s_waitcnt lgkmcnt(0)
	s_waitcnt_vscnt null, 0x0
	s_barrier
	buffer_gl0_inv
	s_clause 0x23
	buffer_load_dword v136, off, s[0:3], 0 offset:172
	buffer_load_dword v137, off, s[0:3], 0 offset:180
	;; [unrolled: 1-line block ×36, first 2 shown]
	ds_read2_b64 v[5:8], v1 offset0:79 offset1:80
	s_clause 0x2
	buffer_load_dword v172, off, s[0:3], 0 offset:308
	buffer_load_dword v173, off, s[0:3], 0 offset:316
	buffer_load_dword v174, off, s[0:3], 0 offset:324
	ds_read2_b64 v[9:12], v1 offset0:81 offset1:82
	s_clause 0x3
	buffer_load_dword v175, off, s[0:3], 0 offset:356
	buffer_load_dword v4, off, s[0:3], 0 offset:364
	;; [unrolled: 1-line block ×4, first 2 shown]
	ds_read2_b64 v[128:131], v1 offset0:83 offset1:84
	s_clause 0x6
	buffer_load_dword v176, off, s[0:3], 0 offset:332
	buffer_load_dword v177, off, s[0:3], 0 offset:340
	;; [unrolled: 1-line block ×7, first 2 shown]
	ds_read2_b64 v[132:135], v1 offset0:85 offset1:86
	buffer_load_dword v186, off, s[0:3], 0 offset:164
	s_mov_b32 s4, exec_lo
	s_waitcnt vmcnt(50) lgkmcnt(3)
	v_mul_f32_e32 v183, v6, v136
	v_mul_f32_e32 v184, v5, v136
	s_waitcnt vmcnt(49)
	v_mul_f32_e32 v185, v7, v137
	v_mul_f32_e32 v136, v8, v137
	s_waitcnt vmcnt(46)
	v_fma_f32 v183, v5, v139, -v183
	v_fmac_f32_e32 v184, v6, v139
	v_fmac_f32_e32 v185, v8, v138
	v_fma_f32 v187, v7, v138, -v136
	ds_read2_b64 v[5:8], v1 offset0:87 offset1:88
	ds_read2_b64 v[136:139], v1 offset0:89 offset1:90
	s_waitcnt vmcnt(45) lgkmcnt(4)
	v_mul_f32_e32 v188, v9, v141
	v_mul_f32_e32 v141, v10, v141
	s_waitcnt vmcnt(43) lgkmcnt(3)
	v_mul_f32_e32 v190, v128, v143
	v_mul_f32_e32 v143, v129, v143
	;; [unrolled: 1-line block ×3, first 2 shown]
	v_fmac_f32_e32 v188, v10, v140
	v_fma_f32 v140, v9, v140, -v141
	s_waitcnt vmcnt(42)
	v_mul_f32_e32 v9, v131, v144
	v_mul_f32_e32 v142, v12, v142
	;; [unrolled: 1-line block ×3, first 2 shown]
	s_waitcnt vmcnt(39)
	v_fmac_f32_e32 v190, v129, v147
	v_fma_f32 v128, v128, v147, -v143
	v_fma_f32 v129, v130, v146, -v9
	s_waitcnt vmcnt(37) lgkmcnt(2)
	v_mul_f32_e32 v130, v132, v149
	v_mul_f32_e32 v9, v133, v149
	s_waitcnt vmcnt(36)
	v_mul_f32_e32 v143, v134, v150
	v_mul_f32_e32 v10, v135, v150
	v_fmac_f32_e32 v189, v12, v148
	v_fma_f32 v142, v11, v148, -v142
	s_clause 0x3
	buffer_load_dword v148, off, s[0:3], 0 offset:388
	buffer_load_dword v191, off, s[0:3], 0 offset:396
	;; [unrolled: 1-line block ×4, first 2 shown]
	v_fmac_f32_e32 v141, v131, v146
	s_clause 0x4
	buffer_load_dword v194, off, s[0:3], 0 offset:420
	buffer_load_dword v195, off, s[0:3], 0 offset:428
	;; [unrolled: 1-line block ×5, first 2 shown]
	v_fmac_f32_e32 v130, v133, v145
	v_fma_f32 v131, v132, v145, -v9
	s_waitcnt vmcnt(44) lgkmcnt(1)
	v_mul_f32_e32 v132, v5, v151
	v_mul_f32_e32 v9, v6, v151
	s_waitcnt vmcnt(40)
	v_fmac_f32_e32 v143, v135, v155
	v_fma_f32 v133, v134, v155, -v10
	s_waitcnt vmcnt(39)
	v_mul_f32_e32 v144, v7, v156
	v_mul_f32_e32 v10, v8, v156
	s_clause 0x3
	buffer_load_dword v150, off, s[0:3], 0 offset:376
	buffer_load_dword v151, off, s[0:3], 0 offset:368
	buffer_load_dword v155, off, s[0:3], 0 offset:360
	buffer_load_dword v156, off, s[0:3], 0 offset:352
	v_fmac_f32_e32 v132, v6, v154
	v_fma_f32 v134, v5, v154, -v9
	v_fmac_f32_e32 v144, v8, v153
	v_fma_f32 v145, v7, v153, -v10
	ds_read2_b64 v[5:8], v1 offset0:91 offset1:92
	s_waitcnt vmcnt(42) lgkmcnt(1)
	v_mul_f32_e32 v146, v136, v157
	v_mul_f32_e32 v9, v137, v157
	s_waitcnt vmcnt(41)
	v_mul_f32_e32 v147, v138, v158
	v_mul_f32_e32 v10, v139, v158
	v_fmac_f32_e32 v146, v137, v152
	v_fma_f32 v136, v136, v152, -v9
	s_clause 0x3
	buffer_load_dword v152, off, s[0:3], 0 offset:408
	buffer_load_dword v153, off, s[0:3], 0 offset:400
	;; [unrolled: 1-line block ×4, first 2 shown]
	v_add_f32_e32 v9, 0, v183
	s_waitcnt vmcnt(41)
	v_fmac_f32_e32 v147, v139, v162
	v_fma_f32 v137, v138, v162, -v10
	v_add_f32_e32 v10, 0, v184
	v_add_f32_e32 v135, v9, v187
	;; [unrolled: 1-line block ×3, first 2 shown]
	ds_read2_b64 v[9:12], v1 offset0:93 offset1:94
	v_add_f32_e32 v135, v135, v140
	s_waitcnt vmcnt(40) lgkmcnt(1)
	v_mul_f32_e32 v140, v5, v163
	v_mul_f32_e32 v139, v6, v163
	v_add_f32_e32 v138, v138, v188
	s_waitcnt vmcnt(39)
	v_mul_f32_e32 v187, v7, v164
	v_fmac_f32_e32 v140, v6, v161
	v_fma_f32 v158, v5, v161, -v139
	s_clause 0x5
	buffer_load_dword v161, off, s[0:3], 0 offset:440
	buffer_load_dword v162, off, s[0:3], 0 offset:432
	;; [unrolled: 1-line block ×6, first 2 shown]
	v_add_f32_e32 v5, v135, v142
	v_add_f32_e32 v6, v138, v189
	v_fmac_f32_e32 v187, v8, v160
	v_add_f32_e32 v5, v5, v128
	v_add_f32_e32 v6, v6, v190
	v_mul_f32_e32 v128, v8, v164
	s_waitcnt vmcnt(43) lgkmcnt(0)
	v_mul_f32_e32 v139, v12, v166
	v_mul_f32_e32 v164, v9, v165
	v_add_f32_e32 v5, v5, v129
	v_add_f32_e32 v129, v6, v141
	v_fma_f32 v160, v7, v160, -v128
	v_fmac_f32_e32 v164, v10, v159
	v_add_f32_e32 v135, v5, v131
	ds_read2_b64 v[5:8], v1 offset0:95 offset1:96
	v_add_f32_e32 v138, v129, v130
	ds_read2_b64 v[128:131], v1 offset0:97 offset1:98
	v_add_f32_e32 v133, v135, v133
	v_mul_f32_e32 v135, v10, v165
	v_add_f32_e32 v138, v138, v143
	v_mul_f32_e32 v165, v11, v166
	s_waitcnt vmcnt(39)
	v_fma_f32 v166, v11, v170, -v139
	v_add_f32_e32 v141, v133, v134
	v_fma_f32 v159, v9, v159, -v135
	v_add_f32_e32 v138, v138, v132
	v_fmac_f32_e32 v165, v12, v170
	ds_read2_b64 v[9:12], v1 offset0:99 offset1:100
	ds_read2_b64 v[132:135], v1 offset0:101 offset1:102
	v_add_f32_e32 v139, v141, v145
	v_add_f32_e32 v138, v138, v144
	;; [unrolled: 1-line block ×3, first 2 shown]
	s_waitcnt vmcnt(38) lgkmcnt(3)
	v_mul_f32_e32 v170, v5, v171
	v_mul_f32_e32 v141, v6, v171
	s_waitcnt vmcnt(37)
	v_mul_f32_e32 v171, v7, v172
	v_mul_f32_e32 v142, v8, v172
	v_add_f32_e32 v138, v138, v146
	v_fmac_f32_e32 v170, v6, v169
	v_fma_f32 v169, v5, v169, -v141
	v_add_f32_e32 v141, v136, v137
	v_fmac_f32_e32 v171, v8, v168
	v_fma_f32 v168, v7, v168, -v142
	v_add_f32_e32 v142, v138, v147
	s_waitcnt vmcnt(35) lgkmcnt(2)
	v_mul_f32_e32 v144, v131, v174
	v_add_f32_e32 v145, v141, v158
	s_waitcnt vmcnt(30) lgkmcnt(1)
	v_mul_f32_e32 v146, v10, v176
	v_mul_f32_e32 v172, v128, v173
	v_mul_f32_e32 v143, v129, v173
	s_waitcnt vmcnt(24)
	v_fma_f32 v158, v130, v182, -v144
	v_add_f32_e32 v144, v142, v140
	v_add_f32_e32 v145, v145, v160
	v_mul_f32_e32 v160, v9, v176
	v_fmac_f32_e32 v172, v129, v167
	v_fma_f32 v167, v128, v167, -v143
	v_add_f32_e32 v144, v144, v187
	v_mul_f32_e32 v173, v130, v174
	v_fmac_f32_e32 v160, v10, v181
	v_add_f32_e32 v10, v145, v159
	ds_read2_b64 v[5:8], v1 offset0:103 offset1:104
	ds_read2_b64 v[136:139], v1 offset0:105 offset1:106
	v_add_f32_e32 v144, v144, v164
	v_fmac_f32_e32 v173, v131, v182
	v_mul_f32_e32 v147, v12, v177
	v_add_f32_e32 v166, v10, v166
	v_fma_f32 v159, v9, v181, -v146
	v_add_f32_e32 v165, v144, v165
	v_mul_f32_e32 v174, v11, v177
	v_fma_f32 v164, v11, v180, -v147
	v_add_f32_e32 v166, v166, v169
	s_waitcnt lgkmcnt(2)
	v_mul_f32_e32 v169, v133, v178
	v_add_f32_e32 v165, v165, v170
	ds_read2_b64 v[128:131], v1 offset0:107 offset1:108
	ds_read2_b64 v[140:143], v1 offset0:109 offset1:110
	v_fmac_f32_e32 v174, v12, v180
	v_add_f32_e32 v166, v166, v168
	ds_read2_b64 v[9:12], v1 offset0:111 offset1:112
	ds_read2_b64 v[144:147], v1 offset0:113 offset1:114
	v_add_f32_e32 v165, v165, v171
	v_mul_f32_e32 v1, v132, v178
	v_mul_f32_e32 v170, v134, v175
	v_add_f32_e32 v166, v166, v167
	v_mul_f32_e32 v175, v135, v175
	v_add_f32_e32 v165, v165, v172
	v_fma_f32 v132, v132, v179, -v169
	v_fmac_f32_e32 v1, v133, v179
	v_add_f32_e32 v158, v166, v158
	s_waitcnt lgkmcnt(5)
	v_mul_f32_e32 v168, v5, v4
	v_add_f32_e32 v165, v165, v173
	v_mul_f32_e32 v4, v6, v4
	v_mul_f32_e32 v171, v7, v3
	v_add_f32_e32 v158, v158, v159
	v_mul_f32_e32 v3, v8, v3
	v_add_f32_e32 v160, v165, v160
	s_waitcnt lgkmcnt(4)
	v_mul_f32_e32 v176, v136, v2
	v_mul_f32_e32 v2, v137, v2
	v_add_f32_e32 v158, v158, v164
	v_add_f32_e32 v160, v160, v174
	;; [unrolled: 1-line block ×4, first 2 shown]
	s_waitcnt vmcnt(22)
	v_mul_f32_e32 v167, v138, v148
	s_waitcnt vmcnt(21) lgkmcnt(3)
	v_mul_f32_e32 v172, v128, v191
	s_waitcnt vmcnt(20)
	v_mul_f32_e32 v177, v130, v192
	s_waitcnt vmcnt(19) lgkmcnt(2)
	v_mul_f32_e32 v166, v140, v193
	;; [unrolled: 4-line block ×4, first 2 shown]
	s_waitcnt vmcnt(14)
	v_mul_f32_e32 v133, v146, v149
	s_waitcnt vmcnt(13)
	v_fma_f32 v2, v136, v150, -v2
	s_waitcnt vmcnt(12)
	v_fma_f32 v3, v7, v151, -v3
	;; [unrolled: 2-line block ×4, first 2 shown]
	v_fmac_f32_e32 v170, v135, v156
	v_fmac_f32_e32 v168, v6, v155
	;; [unrolled: 1-line block ×4, first 2 shown]
	v_add_f32_e32 v5, v132, v134
	v_add_f32_e32 v1, v1, v170
	v_add_f32_e32 v4, v5, v4
	v_add_f32_e32 v1, v1, v168
	v_mul_f32_e32 v5, v139, v148
	s_waitcnt vmcnt(6)
	v_fmac_f32_e32 v167, v139, v157
	v_fmac_f32_e32 v172, v129, v154
	v_add_f32_e32 v3, v4, v3
	v_add_f32_e32 v1, v1, v171
	v_mul_f32_e32 v4, v129, v191
	v_fma_f32 v5, v138, v157, -v5
	v_fmac_f32_e32 v177, v131, v153
	v_add_f32_e32 v2, v3, v2
	v_add_f32_e32 v1, v1, v176
	v_mul_f32_e32 v3, v131, v192
	v_fma_f32 v4, v128, v154, -v4
	;; [unrolled: 5-line block ×3, first 2 shown]
	s_waitcnt vmcnt(5)
	v_fmac_f32_e32 v165, v145, v161
	v_add_f32_e32 v2, v2, v4
	v_add_f32_e32 v1, v1, v172
	v_mul_f32_e32 v4, v143, v194
	v_fma_f32 v5, v140, v152, -v5
	s_waitcnt vmcnt(2)
	v_fmac_f32_e32 v173, v143, v183
	v_add_f32_e32 v2, v2, v3
	v_add_f32_e32 v1, v1, v177
	v_mul_f32_e32 v3, v10, v195
	v_fma_f32 v4, v142, v183, -v4
	v_fmac_f32_e32 v178, v10, v163
	v_add_f32_e32 v2, v2, v5
	v_add_f32_e32 v1, v1, v166
	v_mul_f32_e32 v5, v12, v196
	v_fma_f32 v3, v9, v163, -v3
	;; [unrolled: 5-line block ×3, first 2 shown]
	s_waitcnt vmcnt(1)
	v_fmac_f32_e32 v133, v147, v184
	v_add_f32_e32 v2, v2, v3
	v_add_f32_e32 v1, v1, v178
	v_mul_f32_e32 v3, v147, v149
	v_fma_f32 v4, v144, v161, -v4
	v_add_f32_e32 v2, v2, v5
	v_add_f32_e32 v1, v1, v159
	v_fma_f32 v3, v146, v184, -v3
	v_add_f32_e32 v2, v2, v4
	v_add_f32_e32 v1, v1, v165
	;; [unrolled: 1-line block ×4, first 2 shown]
	s_waitcnt vmcnt(0)
	v_sub_f32_e32 v2, v185, v2
	v_sub_f32_e32 v1, v186, v1
	buffer_store_dword v2, off, s[0:3], 0 offset:160
	buffer_store_dword v1, off, s[0:3], 0 offset:164
	v_cmpx_lt_u32_e32 19, v0
	s_cbranch_execz .LBB120_317
; %bb.316:
	s_clause 0x1
	buffer_load_dword v1, off, s[0:3], 0 offset:152
	buffer_load_dword v2, off, s[0:3], 0 offset:156
	v_mov_b32_e32 v3, 0
	buffer_store_dword v3, off, s[0:3], 0 offset:152
	buffer_store_dword v3, off, s[0:3], 0 offset:156
	s_waitcnt vmcnt(0)
	ds_write_b64 v127, v[1:2]
.LBB120_317:
	s_or_b32 exec_lo, exec_lo, s4
	s_waitcnt lgkmcnt(0)
	s_waitcnt_vscnt null, 0x0
	s_barrier
	buffer_gl0_inv
	s_clause 0x25
	buffer_load_dword v2, off, s[0:3], 0 offset:164
	buffer_load_dword v3, off, s[0:3], 0 offset:172
	buffer_load_dword v12, off, s[0:3], 0 offset:180
	buffer_load_dword v136, off, s[0:3], 0 offset:176
	buffer_load_dword v137, off, s[0:3], 0 offset:168
	buffer_load_dword v138, off, s[0:3], 0 offset:160
	buffer_load_dword v139, off, s[0:3], 0 offset:188
	buffer_load_dword v140, off, s[0:3], 0 offset:208
	buffer_load_dword v141, off, s[0:3], 0 offset:200
	buffer_load_dword v142, off, s[0:3], 0 offset:192
	buffer_load_dword v143, off, s[0:3], 0 offset:184
	buffer_load_dword v144, off, s[0:3], 0 offset:196
	buffer_load_dword v145, off, s[0:3], 0 offset:204
	buffer_load_dword v146, off, s[0:3], 0 offset:212
	buffer_load_dword v147, off, s[0:3], 0 offset:220
	buffer_load_dword v148, off, s[0:3], 0 offset:240
	buffer_load_dword v149, off, s[0:3], 0 offset:232
	buffer_load_dword v150, off, s[0:3], 0 offset:224
	buffer_load_dword v151, off, s[0:3], 0 offset:216
	buffer_load_dword v152, off, s[0:3], 0 offset:228
	buffer_load_dword v153, off, s[0:3], 0 offset:236
	buffer_load_dword v154, off, s[0:3], 0 offset:244
	buffer_load_dword v155, off, s[0:3], 0 offset:252
	buffer_load_dword v156, off, s[0:3], 0 offset:272
	buffer_load_dword v157, off, s[0:3], 0 offset:264
	buffer_load_dword v158, off, s[0:3], 0 offset:256
	buffer_load_dword v159, off, s[0:3], 0 offset:248
	buffer_load_dword v160, off, s[0:3], 0 offset:260
	buffer_load_dword v161, off, s[0:3], 0 offset:268
	buffer_load_dword v162, off, s[0:3], 0 offset:276
	buffer_load_dword v163, off, s[0:3], 0 offset:284
	buffer_load_dword v164, off, s[0:3], 0 offset:304
	buffer_load_dword v165, off, s[0:3], 0 offset:296
	buffer_load_dword v166, off, s[0:3], 0 offset:288
	buffer_load_dword v167, off, s[0:3], 0 offset:280
	buffer_load_dword v168, off, s[0:3], 0 offset:292
	buffer_load_dword v169, off, s[0:3], 0 offset:300
	buffer_load_dword v170, off, s[0:3], 0 offset:308
	v_mov_b32_e32 v1, 0
	ds_read_b128 v[4:7], v1 offset:624
	ds_read_b128 v[8:11], v1 offset:640
	s_clause 0x10
	buffer_load_dword v171, off, s[0:3], 0 offset:316
	buffer_load_dword v172, off, s[0:3], 0 offset:324
	;; [unrolled: 1-line block ×17, first 2 shown]
	ds_read_b128 v[128:131], v1 offset:656
	ds_read_b128 v[132:135], v1 offset:672
	s_mov_b32 s4, exec_lo
	s_waitcnt vmcnt(54) lgkmcnt(3)
	v_mul_f32_e32 v188, v5, v2
	v_mul_f32_e32 v189, v4, v2
	s_waitcnt vmcnt(53)
	v_mul_f32_e32 v190, v6, v3
	v_mul_f32_e32 v2, v7, v3
	s_waitcnt vmcnt(52) lgkmcnt(2)
	v_mul_f32_e32 v191, v8, v12
	v_mul_f32_e32 v3, v9, v12
	s_waitcnt vmcnt(49)
	v_fma_f32 v12, v4, v138, -v188
	s_waitcnt vmcnt(48)
	v_mul_f32_e32 v4, v11, v139
	v_fmac_f32_e32 v189, v5, v138
	v_mul_f32_e32 v138, v10, v139
	v_fmac_f32_e32 v190, v7, v137
	v_fma_f32 v137, v6, v137, -v2
	v_fmac_f32_e32 v191, v9, v136
	v_fma_f32 v136, v8, v136, -v3
	s_waitcnt vmcnt(44)
	v_fma_f32 v10, v10, v143, -v4
	ds_read_b128 v[2:5], v1 offset:688
	ds_read_b128 v[6:9], v1 offset:704
	v_fmac_f32_e32 v138, v11, v143
	s_waitcnt vmcnt(43) lgkmcnt(3)
	v_mul_f32_e32 v11, v128, v144
	v_mul_f32_e32 v139, v129, v144
	s_waitcnt vmcnt(42)
	v_mul_f32_e32 v143, v130, v145
	v_mul_f32_e32 v144, v131, v145
	s_waitcnt vmcnt(41) lgkmcnt(2)
	v_mul_f32_e32 v145, v132, v146
	v_mul_f32_e32 v146, v133, v146
	v_fmac_f32_e32 v11, v129, v142
	v_fma_f32 v128, v128, v142, -v139
	s_waitcnt vmcnt(40)
	v_mul_f32_e32 v129, v134, v147
	v_mul_f32_e32 v139, v135, v147
	v_fmac_f32_e32 v143, v131, v141
	v_fma_f32 v130, v130, v141, -v144
	v_fmac_f32_e32 v145, v133, v140
	v_fma_f32 v131, v132, v140, -v146
	s_waitcnt vmcnt(36)
	v_fmac_f32_e32 v129, v135, v151
	v_fma_f32 v132, v134, v151, -v139
	s_clause 0x3
	buffer_load_dword v188, off, s[0:3], 0 offset:380
	buffer_load_dword v192, off, s[0:3], 0 offset:388
	buffer_load_dword v193, off, s[0:3], 0 offset:396
	buffer_load_dword v194, off, s[0:3], 0 offset:404
	s_waitcnt vmcnt(39) lgkmcnt(1)
	v_mul_f32_e32 v133, v2, v152
	v_mul_f32_e32 v134, v3, v152
	s_waitcnt vmcnt(38)
	v_mul_f32_e32 v135, v4, v153
	v_mul_f32_e32 v139, v5, v153
	s_waitcnt vmcnt(37) lgkmcnt(0)
	v_mul_f32_e32 v141, v7, v154
	s_clause 0x3
	buffer_load_dword v151, off, s[0:3], 0 offset:412
	buffer_load_dword v195, off, s[0:3], 0 offset:420
	;; [unrolled: 1-line block ×4, first 2 shown]
	v_fmac_f32_e32 v133, v3, v150
	v_fma_f32 v134, v2, v150, -v134
	v_mul_f32_e32 v140, v6, v154
	v_fmac_f32_e32 v135, v5, v149
	v_fma_f32 v139, v4, v149, -v139
	ds_read_b128 v[2:5], v1 offset:720
	v_fma_f32 v141, v6, v148, -v141
	s_waitcnt vmcnt(40)
	v_mul_f32_e32 v6, v9, v155
	s_clause 0x1
	buffer_load_dword v152, off, s[0:3], 0 offset:444
	buffer_load_dword v149, off, s[0:3], 0 offset:452
	v_fmac_f32_e32 v140, v7, v148
	v_mul_f32_e32 v142, v8, v155
	s_waitcnt vmcnt(38)
	v_fma_f32 v144, v8, v159, -v6
	v_add_f32_e32 v6, 0, v12
	s_clause 0x3
	buffer_load_dword v12, off, s[0:3], 0 offset:400
	buffer_load_dword v148, off, s[0:3], 0 offset:392
	;; [unrolled: 1-line block ×4, first 2 shown]
	v_add_f32_e32 v7, 0, v189
	v_fmac_f32_e32 v142, v9, v159
	v_add_f32_e32 v6, v6, v137
	v_add_f32_e32 v137, v7, v190
	;; [unrolled: 1-line block ×3, first 2 shown]
	ds_read_b128 v[6:9], v1 offset:736
	s_waitcnt vmcnt(41) lgkmcnt(1)
	v_mul_f32_e32 v146, v2, v160
	v_mul_f32_e32 v147, v3, v160
	v_add_f32_e32 v137, v137, v191
	v_add_f32_e32 v10, v136, v10
	v_fmac_f32_e32 v146, v3, v158
	v_fma_f32 v136, v2, v158, -v147
	s_clause 0x6
	buffer_load_dword v154, off, s[0:3], 0 offset:432
	buffer_load_dword v155, off, s[0:3], 0 offset:424
	;; [unrolled: 1-line block ×7, first 2 shown]
	v_add_f32_e32 v2, v137, v138
	v_add_f32_e32 v3, v10, v128
	s_waitcnt vmcnt(47)
	v_mul_f32_e32 v10, v4, v161
	v_add_f32_e32 v2, v2, v11
	v_add_f32_e32 v3, v3, v130
	v_mul_f32_e32 v11, v5, v161
	v_fmac_f32_e32 v10, v5, v157
	s_waitcnt vmcnt(45) lgkmcnt(0)
	v_mul_f32_e32 v147, v8, v163
	v_add_f32_e32 v2, v2, v143
	v_add_f32_e32 v3, v3, v131
	v_fma_f32 v11, v4, v157, -v11
	s_waitcnt vmcnt(41)
	v_fmac_f32_e32 v147, v9, v167
	v_add_f32_e32 v128, v2, v145
	v_add_f32_e32 v132, v3, v132
	ds_read_b128 v[2:5], v1 offset:752
	v_mul_f32_e32 v145, v6, v162
	v_add_f32_e32 v137, v128, v129
	v_add_f32_e32 v132, v132, v134
	v_mul_f32_e32 v134, v7, v162
	ds_read_b128 v[128:131], v1 offset:768
	v_fmac_f32_e32 v145, v7, v156
	v_add_f32_e32 v133, v137, v133
	v_mul_f32_e32 v137, v9, v163
	v_add_f32_e32 v138, v132, v139
	v_fma_f32 v156, v6, v156, -v134
	v_fma_f32 v157, v8, v167, -v137
	v_add_f32_e32 v137, v133, v135
	v_add_f32_e32 v138, v138, v141
	ds_read_b128 v[6:9], v1 offset:784
	ds_read_b128 v[132:135], v1 offset:800
	v_add_f32_e32 v137, v137, v140
	s_waitcnt vmcnt(39) lgkmcnt(3)
	v_mul_f32_e32 v162, v4, v169
	v_mul_f32_e32 v140, v5, v169
	v_add_f32_e32 v138, v138, v144
	v_mul_f32_e32 v139, v3, v168
	v_add_f32_e32 v137, v137, v142
	v_fmac_f32_e32 v162, v5, v165
	v_fma_f32 v165, v4, v165, -v140
	v_add_f32_e32 v140, v138, v136
	v_mul_f32_e32 v161, v2, v168
	v_add_f32_e32 v142, v137, v146
	v_fma_f32 v144, v2, v166, -v139
	s_waitcnt vmcnt(38) lgkmcnt(2)
	v_mul_f32_e32 v163, v128, v170
	v_add_f32_e32 v11, v140, v11
	v_fmac_f32_e32 v161, v3, v166
	v_add_f32_e32 v10, v142, v10
	v_mul_f32_e32 v141, v129, v170
	s_waitcnt vmcnt(37)
	v_mul_f32_e32 v143, v131, v171
	v_add_f32_e32 v11, v11, v156
	s_waitcnt vmcnt(36) lgkmcnt(1)
	v_mul_f32_e32 v156, v6, v172
	v_add_f32_e32 v10, v10, v145
	v_mul_f32_e32 v145, v7, v172
	v_fmac_f32_e32 v163, v129, v164
	v_fma_f32 v164, v128, v164, -v141
	s_waitcnt vmcnt(31)
	v_fmac_f32_e32 v156, v7, v177
	v_add_f32_e32 v7, v11, v157
	v_add_f32_e32 v10, v10, v147
	v_mul_f32_e32 v167, v130, v171
	s_waitcnt vmcnt(30)
	v_fma_f32 v166, v130, v178, -v143
	ds_read_b128 v[2:5], v1 offset:816
	ds_read_b128 v[136:139], v1 offset:832
	v_add_f32_e32 v170, v7, v144
	v_add_f32_e32 v161, v10, v161
	v_fmac_f32_e32 v167, v131, v178
	v_mul_f32_e32 v146, v9, v173
	v_fma_f32 v157, v6, v177, -v145
	v_add_f32_e32 v165, v170, v165
	v_add_f32_e32 v161, v161, v162
	v_mul_f32_e32 v168, v8, v173
	v_fma_f32 v169, v8, v176, -v146
	s_waitcnt lgkmcnt(2)
	v_mul_f32_e32 v171, v133, v174
	v_add_f32_e32 v164, v165, v164
	v_add_f32_e32 v161, v161, v163
	v_fmac_f32_e32 v168, v9, v176
	v_mul_f32_e32 v170, v132, v174
	s_waitcnt vmcnt(29)
	v_mul_f32_e32 v172, v135, v179
	v_add_f32_e32 v164, v164, v166
	v_add_f32_e32 v161, v161, v167
	v_fma_f32 v132, v132, v175, -v171
	v_mul_f32_e32 v162, v134, v179
	v_fmac_f32_e32 v170, v133, v175
	v_add_f32_e32 v157, v164, v157
	v_add_f32_e32 v156, v161, v156
	s_waitcnt vmcnt(28) lgkmcnt(1)
	v_mul_f32_e32 v165, v2, v180
	v_mul_f32_e32 v171, v3, v180
	s_waitcnt vmcnt(22)
	v_fma_f32 v134, v134, v186, -v172
	v_add_f32_e32 v157, v157, v169
	v_add_f32_e32 v156, v156, v168
	ds_read_b128 v[128:131], v1 offset:848
	ds_read_b128 v[140:143], v1 offset:864
	v_fmac_f32_e32 v162, v135, v186
	v_mul_f32_e32 v168, v5, v181
	v_add_f32_e32 v132, v157, v132
	v_add_f32_e32 v156, v156, v170
	v_fmac_f32_e32 v165, v3, v185
	v_fma_f32 v2, v2, v185, -v171
	v_mul_f32_e32 v163, v4, v181
	v_add_f32_e32 v3, v132, v134
	v_add_f32_e32 v132, v156, v162
	s_waitcnt lgkmcnt(2)
	v_mul_f32_e32 v134, v137, v182
	v_fma_f32 v4, v4, v184, -v168
	v_mul_f32_e32 v133, v136, v182
	v_add_f32_e32 v2, v3, v2
	v_fmac_f32_e32 v163, v5, v184
	v_add_f32_e32 v3, v132, v165
	v_fma_f32 v132, v136, v183, -v134
	v_fmac_f32_e32 v133, v137, v183
	v_add_f32_e32 v2, v2, v4
	ds_read_b128 v[6:9], v1 offset:880
	ds_read_b128 v[144:147], v1 offset:896
	ds_read_b64 v[10:11], v1 offset:912
	v_add_f32_e32 v3, v3, v163
	v_add_f32_e32 v2, v2, v132
	;; [unrolled: 1-line block ×3, first 2 shown]
	s_waitcnt vmcnt(20)
	v_mul_f32_e32 v5, v139, v188
	v_mul_f32_e32 v166, v138, v188
	s_waitcnt vmcnt(19) lgkmcnt(4)
	v_mul_f32_e32 v4, v129, v192
	v_mul_f32_e32 v167, v128, v192
	s_waitcnt vmcnt(18)
	v_mul_f32_e32 v132, v131, v193
	v_mul_f32_e32 v135, v130, v193
	s_waitcnt vmcnt(17) lgkmcnt(3)
	v_mul_f32_e32 v172, v140, v194
	s_waitcnt vmcnt(16)
	v_mul_f32_e32 v161, v142, v151
	s_waitcnt vmcnt(15) lgkmcnt(2)
	v_mul_f32_e32 v164, v6, v195
	s_waitcnt vmcnt(14)
	;; [unrolled: 4-line block ×4, first 2 shown]
	v_fmac_f32_e32 v172, v141, v12
	s_waitcnt vmcnt(9)
	v_fmac_f32_e32 v135, v131, v148
	s_waitcnt vmcnt(8)
	v_fma_f32 v4, v128, v150, -v4
	s_waitcnt vmcnt(7)
	v_fma_f32 v5, v138, v153, -v5
	v_fmac_f32_e32 v166, v139, v153
	v_fmac_f32_e32 v167, v129, v150
	v_fma_f32 v128, v130, v148, -v132
	v_add_f32_e32 v2, v2, v5
	v_add_f32_e32 v3, v3, v166
	v_mul_f32_e32 v5, v141, v194
	v_add_f32_e32 v2, v2, v4
	v_add_f32_e32 v3, v3, v167
	v_mul_f32_e32 v4, v143, v151
	v_fma_f32 v5, v140, v12, -v5
	v_mul_f32_e32 v12, v7, v195
	v_add_f32_e32 v2, v2, v128
	v_add_f32_e32 v3, v3, v135
	s_waitcnt vmcnt(4)
	v_fmac_f32_e32 v164, v7, v158
	s_waitcnt vmcnt(3)
	v_fma_f32 v4, v142, v159, -v4
	v_fmac_f32_e32 v161, v143, v159
	v_add_f32_e32 v2, v2, v5
	v_add_f32_e32 v3, v3, v172
	v_mul_f32_e32 v5, v9, v196
	v_fma_f32 v6, v6, v158, -v12
	v_fmac_f32_e32 v173, v9, v155
	v_add_f32_e32 v2, v2, v4
	v_add_f32_e32 v3, v3, v161
	v_mul_f32_e32 v4, v145, v197
	;; [unrolled: 5-line block ×3, first 2 shown]
	v_fma_f32 v4, v144, v154, -v4
	s_waitcnt vmcnt(1)
	v_fmac_f32_e32 v174, v147, v189
	v_add_f32_e32 v2, v2, v5
	v_add_f32_e32 v3, v3, v173
	v_mul_f32_e32 v5, v11, v149
	v_fma_f32 v6, v146, v189, -v6
	v_fmac_f32_e32 v157, v11, v160
	v_add_f32_e32 v2, v2, v4
	v_add_f32_e32 v3, v3, v169
	v_fma_f32 v4, v10, v160, -v5
	v_add_f32_e32 v2, v2, v6
	v_add_f32_e32 v3, v3, v174
	;; [unrolled: 1-line block ×4, first 2 shown]
	s_waitcnt vmcnt(0)
	v_sub_f32_e32 v2, v190, v2
	v_sub_f32_e32 v3, v187, v3
	buffer_store_dword v2, off, s[0:3], 0 offset:152
	buffer_store_dword v3, off, s[0:3], 0 offset:156
	v_cmpx_lt_u32_e32 18, v0
	s_cbranch_execz .LBB120_319
; %bb.318:
	s_clause 0x1
	buffer_load_dword v2, off, s[0:3], 0 offset:144
	buffer_load_dword v3, off, s[0:3], 0 offset:148
	buffer_store_dword v1, off, s[0:3], 0 offset:144
	buffer_store_dword v1, off, s[0:3], 0 offset:148
	s_waitcnt vmcnt(0)
	ds_write_b64 v127, v[2:3]
.LBB120_319:
	s_or_b32 exec_lo, exec_lo, s4
	s_waitcnt lgkmcnt(0)
	s_waitcnt_vscnt null, 0x0
	s_barrier
	buffer_gl0_inv
	s_clause 0x1e
	buffer_load_dword v2, off, s[0:3], 0 offset:156
	buffer_load_dword v3, off, s[0:3], 0 offset:164
	;; [unrolled: 1-line block ×31, first 2 shown]
	ds_read2_b64 v[4:7], v1 offset0:77 offset1:78
	s_clause 0x3
	buffer_load_dword v172, off, s[0:3], 0 offset:296
	buffer_load_dword v173, off, s[0:3], 0 offset:288
	;; [unrolled: 1-line block ×4, first 2 shown]
	ds_read2_b64 v[8:11], v1 offset0:79 offset1:80
	s_clause 0xa
	buffer_load_dword v176, off, s[0:3], 0 offset:284
	buffer_load_dword v177, off, s[0:3], 0 offset:292
	;; [unrolled: 1-line block ×11, first 2 shown]
	ds_read2_b64 v[128:131], v1 offset0:81 offset1:82
	ds_read2_b64 v[132:135], v1 offset0:83 offset1:84
	;; [unrolled: 1-line block ×4, first 2 shown]
	buffer_load_dword v187, off, s[0:3], 0 offset:148
	s_mov_b32 s4, exec_lo
	s_waitcnt vmcnt(46) lgkmcnt(5)
	v_mul_f32_e32 v188, v5, v2
	v_mul_f32_e32 v189, v4, v2
	s_waitcnt vmcnt(45)
	v_mul_f32_e32 v190, v6, v3
	v_mul_f32_e32 v2, v7, v3
	s_waitcnt vmcnt(44) lgkmcnt(4)
	v_mul_f32_e32 v191, v8, v12
	v_mul_f32_e32 v3, v9, v12
	s_waitcnt vmcnt(41)
	v_fma_f32 v12, v4, v146, -v188
	v_fmac_f32_e32 v189, v5, v146
	s_waitcnt vmcnt(40)
	v_mul_f32_e32 v146, v10, v147
	v_mul_f32_e32 v4, v11, v147
	v_fmac_f32_e32 v190, v7, v145
	s_waitcnt vmcnt(35) lgkmcnt(3)
	v_mul_f32_e32 v147, v129, v152
	v_fma_f32 v145, v6, v145, -v2
	v_fmac_f32_e32 v146, v11, v151
	v_mul_f32_e32 v11, v128, v152
	v_fma_f32 v10, v10, v151, -v4
	s_waitcnt vmcnt(34)
	v_mul_f32_e32 v151, v130, v153
	v_mul_f32_e32 v152, v131, v153
	s_waitcnt vmcnt(33) lgkmcnt(2)
	v_mul_f32_e32 v153, v132, v154
	v_mul_f32_e32 v154, v133, v154
	v_fmac_f32_e32 v11, v129, v150
	v_fma_f32 v128, v128, v150, -v147
	s_waitcnt vmcnt(32)
	v_mul_f32_e32 v129, v134, v155
	v_mul_f32_e32 v147, v135, v155
	v_fmac_f32_e32 v191, v9, v144
	v_fma_f32 v144, v8, v144, -v3
	ds_read2_b64 v[2:5], v1 offset0:89 offset1:90
	ds_read2_b64 v[6:9], v1 offset0:91 offset1:92
	v_fmac_f32_e32 v151, v131, v149
	v_fma_f32 v130, v130, v149, -v152
	v_fmac_f32_e32 v153, v133, v148
	v_fma_f32 v131, v132, v148, -v154
	s_waitcnt vmcnt(28)
	v_fmac_f32_e32 v129, v135, v159
	v_fma_f32 v132, v134, v159, -v147
	s_clause 0x7
	buffer_load_dword v147, off, s[0:3], 0 offset:340
	buffer_load_dword v148, off, s[0:3], 0 offset:348
	;; [unrolled: 1-line block ×8, first 2 shown]
	s_waitcnt vmcnt(35) lgkmcnt(3)
	v_mul_f32_e32 v133, v136, v160
	v_mul_f32_e32 v134, v137, v160
	s_waitcnt vmcnt(34)
	v_mul_f32_e32 v135, v138, v161
	v_mul_f32_e32 v160, v139, v161
	s_waitcnt vmcnt(33) lgkmcnt(2)
	v_mul_f32_e32 v161, v140, v162
	v_mul_f32_e32 v162, v141, v162
	v_fmac_f32_e32 v133, v137, v158
	v_fma_f32 v134, v136, v158, -v134
	s_waitcnt vmcnt(32)
	v_mul_f32_e32 v136, v142, v163
	v_mul_f32_e32 v137, v143, v163
	v_fmac_f32_e32 v135, v139, v157
	v_fmac_f32_e32 v161, v141, v156
	v_fma_f32 v139, v140, v156, -v162
	s_waitcnt vmcnt(28)
	v_fmac_f32_e32 v136, v143, v167
	v_fma_f32 v137, v142, v167, -v137
	s_waitcnt vmcnt(27) lgkmcnt(1)
	v_mul_f32_e32 v140, v2, v168
	v_mul_f32_e32 v141, v3, v168
	s_waitcnt vmcnt(26)
	v_mul_f32_e32 v142, v4, v169
	v_mul_f32_e32 v143, v5, v169
	v_fma_f32 v138, v138, v157, -v160
	s_clause 0x8
	buffer_load_dword v157, off, s[0:3], 0 offset:372
	buffer_load_dword v158, off, s[0:3], 0 offset:380
	;; [unrolled: 1-line block ×9, first 2 shown]
	v_fmac_f32_e32 v140, v3, v166
	v_fma_f32 v141, v2, v166, -v141
	buffer_load_dword v166, off, s[0:3], 0 offset:444
	v_fmac_f32_e32 v142, v5, v165
	v_fma_f32 v143, v4, v165, -v143
	s_clause 0x4
	buffer_load_dword v165, off, s[0:3], 0 offset:452
	buffer_load_dword v169, off, s[0:3], 0 offset:392
	;; [unrolled: 1-line block ×5, first 2 shown]
	v_add_f32_e32 v3, 0, v189
	v_add_f32_e32 v2, 0, v12
	s_waitcnt vmcnt(40) lgkmcnt(0)
	v_mul_f32_e32 v4, v7, v170
	v_add_f32_e32 v3, v3, v190
	v_add_f32_e32 v2, v2, v145
	v_fma_f32 v145, v6, v164, -v4
	v_add_f32_e32 v3, v3, v191
	s_clause 0x3
	buffer_load_dword v12, off, s[0:3], 0 offset:424
	buffer_load_dword v189, off, s[0:3], 0 offset:416
	;; [unrolled: 1-line block ×4, first 2 shown]
	v_add_f32_e32 v2, v2, v144
	v_mul_f32_e32 v144, v6, v170
	v_add_f32_e32 v3, v3, v146
	s_waitcnt vmcnt(43)
	v_mul_f32_e32 v146, v8, v171
	v_add_f32_e32 v2, v2, v10
	s_clause 0x2
	buffer_load_dword v10, off, s[0:3], 0 offset:448
	buffer_load_dword v195, off, s[0:3], 0 offset:440
	;; [unrolled: 1-line block ×3, first 2 shown]
	v_fmac_f32_e32 v144, v7, v164
	v_add_f32_e32 v3, v3, v11
	buffer_load_dword v11, off, s[0:3], 0 offset:144
	v_add_f32_e32 v2, v2, v128
	s_waitcnt vmcnt(43)
	v_fmac_f32_e32 v146, v9, v175
	v_add_f32_e32 v3, v3, v151
	v_add_f32_e32 v2, v2, v130
	;; [unrolled: 1-line block ×4, first 2 shown]
	ds_read2_b64 v[2:5], v1 offset0:93 offset1:94
	v_add_f32_e32 v129, v7, v129
	v_add_f32_e32 v128, v6, v132
	v_mul_f32_e32 v6, v9, v171
	v_add_f32_e32 v133, v129, v133
	v_add_f32_e32 v132, v128, v134
	v_fma_f32 v151, v8, v175, -v6
	ds_read2_b64 v[6:9], v1 offset0:95 offset1:96
	ds_read2_b64 v[128:131], v1 offset0:97 offset1:98
	v_add_f32_e32 v133, v133, v135
	v_add_f32_e32 v132, v132, v138
	v_add_f32_e32 v138, v132, v139
	s_waitcnt vmcnt(42) lgkmcnt(2)
	v_mul_f32_e32 v134, v3, v176
	v_mul_f32_e32 v153, v2, v176
	v_fma_f32 v164, v2, v174, -v134
	v_add_f32_e32 v2, v133, v161
	v_fmac_f32_e32 v153, v3, v174
	v_add_f32_e32 v3, v138, v137
	ds_read2_b64 v[132:135], v1 offset0:99 offset1:100
	s_waitcnt vmcnt(41)
	v_mul_f32_e32 v161, v4, v177
	v_add_f32_e32 v2, v2, v136
	s_waitcnt vmcnt(40) lgkmcnt(2)
	v_mul_f32_e32 v170, v6, v178
	v_mul_f32_e32 v136, v7, v178
	v_add_f32_e32 v3, v3, v141
	s_waitcnt vmcnt(38) lgkmcnt(1)
	v_mul_f32_e32 v174, v128, v180
	v_add_f32_e32 v2, v2, v140
	v_fmac_f32_e32 v170, v7, v172
	v_fma_f32 v172, v6, v172, -v136
	v_add_f32_e32 v6, v3, v143
	v_mul_f32_e32 v140, v129, v180
	v_add_f32_e32 v7, v2, v142
	s_waitcnt vmcnt(33)
	v_fmac_f32_e32 v174, v129, v185
	v_mul_f32_e32 v137, v5, v177
	v_add_f32_e32 v129, v6, v145
	v_fma_f32 v176, v128, v185, -v140
	v_add_f32_e32 v128, v7, v144
	v_fmac_f32_e32 v161, v5, v173
	v_fma_f32 v173, v4, v173, -v137
	v_add_f32_e32 v129, v129, v151
	s_waitcnt lgkmcnt(0)
	v_mul_f32_e32 v145, v133, v182
	v_add_f32_e32 v128, v128, v146
	v_mul_f32_e32 v177, v132, v182
	v_mul_f32_e32 v141, v9, v179
	v_add_f32_e32 v129, v129, v164
	v_fma_f32 v180, v132, v183, -v145
	v_add_f32_e32 v132, v128, v153
	v_mul_f32_e32 v171, v8, v179
	s_waitcnt vmcnt(32)
	v_fma_f32 v175, v8, v186, -v141
	v_add_f32_e32 v153, v129, v173
	ds_read2_b64 v[2:5], v1 offset0:101 offset1:102
	ds_read2_b64 v[136:139], v1 offset0:103 offset1:104
	v_add_f32_e32 v161, v132, v161
	v_fmac_f32_e32 v171, v9, v186
	v_mul_f32_e32 v144, v131, v181
	v_add_f32_e32 v153, v153, v172
	v_mul_f32_e32 v151, v130, v181
	v_add_f32_e32 v161, v161, v170
	v_fmac_f32_e32 v177, v133, v183
	v_fma_f32 v179, v130, v184, -v144
	v_add_f32_e32 v153, v153, v175
	v_fmac_f32_e32 v151, v131, v184
	v_add_f32_e32 v161, v161, v171
	ds_read2_b64 v[6:9], v1 offset0:105 offset1:106
	ds_read2_b64 v[140:143], v1 offset0:107 offset1:108
	v_add_f32_e32 v153, v153, v176
	v_add_f32_e32 v161, v161, v174
	;; [unrolled: 1-line block ×6, first 2 shown]
	s_waitcnt vmcnt(30)
	v_mul_f32_e32 v164, v134, v147
	v_mul_f32_e32 v178, v135, v147
	ds_read2_b64 v[128:131], v1 offset0:109 offset1:110
	ds_read2_b64 v[144:147], v1 offset0:111 offset1:112
	s_waitcnt vmcnt(28) lgkmcnt(5)
	v_mul_f32_e32 v170, v4, v149
	v_mul_f32_e32 v149, v5, v149
	s_waitcnt vmcnt(27) lgkmcnt(4)
	v_mul_f32_e32 v172, v136, v150
	v_mul_f32_e32 v150, v137, v150
	s_waitcnt vmcnt(23)
	v_fmac_f32_e32 v164, v135, v159
	v_fma_f32 v159, v134, v159, -v178
	ds_read2_b64 v[132:135], v1 offset0:113 offset1:114
	v_mul_f32_e32 v1, v2, v148
	v_mul_f32_e32 v148, v3, v148
	v_add_f32_e32 v151, v151, v164
	v_fma_f32 v4, v4, v154, -v149
	v_fmac_f32_e32 v170, v5, v154
	v_fmac_f32_e32 v1, v3, v155
	v_fma_f32 v2, v2, v155, -v148
	v_add_f32_e32 v148, v153, v159
	v_fma_f32 v136, v136, v152, -v150
	v_fmac_f32_e32 v172, v137, v152
	v_add_f32_e32 v1, v151, v1
	v_add_f32_e32 v2, v148, v2
	s_waitcnt vmcnt(22)
	v_mul_f32_e32 v5, v139, v157
	v_mul_f32_e32 v171, v138, v157
	v_add_f32_e32 v2, v2, v4
	v_add_f32_e32 v1, v1, v170
	s_waitcnt vmcnt(21) lgkmcnt(4)
	v_mul_f32_e32 v4, v7, v158
	v_mul_f32_e32 v173, v6, v158
	s_waitcnt vmcnt(20)
	v_mul_f32_e32 v175, v8, v160
	v_add_f32_e32 v2, v2, v136
	v_add_f32_e32 v1, v1, v172
	v_mul_f32_e32 v136, v9, v160
	s_waitcnt vmcnt(9)
	v_fma_f32 v4, v6, v193, -v4
	s_waitcnt vmcnt(8)
	v_fma_f32 v5, v138, v194, -v5
	v_fmac_f32_e32 v171, v139, v194
	v_fmac_f32_e32 v173, v7, v193
	v_fma_f32 v6, v8, v192, -v136
	s_waitcnt lgkmcnt(3)
	v_mul_f32_e32 v174, v140, v163
	v_add_f32_e32 v2, v2, v5
	v_add_f32_e32 v1, v1, v171
	v_mul_f32_e32 v5, v141, v163
	v_fmac_f32_e32 v175, v9, v192
	v_mul_f32_e32 v176, v142, v156
	v_add_f32_e32 v2, v2, v4
	v_add_f32_e32 v1, v1, v173
	v_mul_f32_e32 v4, v143, v156
	v_fma_f32 v5, v140, v169, -v5
	v_fmac_f32_e32 v174, v141, v169
	v_add_f32_e32 v2, v2, v6
	v_add_f32_e32 v1, v1, v175
	s_waitcnt lgkmcnt(2)
	v_mul_f32_e32 v6, v129, v162
	s_waitcnt vmcnt(4)
	v_fma_f32 v4, v142, v191, -v4
	v_mul_f32_e32 v178, v128, v162
	v_add_f32_e32 v2, v2, v5
	v_fmac_f32_e32 v176, v143, v191
	v_add_f32_e32 v1, v1, v174
	v_mul_f32_e32 v5, v131, v167
	v_fma_f32 v6, v128, v190, -v6
	v_add_f32_e32 v2, v2, v4
	v_mul_f32_e32 v161, v130, v167
	v_fmac_f32_e32 v178, v129, v190
	v_add_f32_e32 v1, v1, v176
	s_waitcnt lgkmcnt(1)
	v_mul_f32_e32 v4, v145, v188
	v_fma_f32 v5, v130, v189, -v5
	v_add_f32_e32 v2, v2, v6
	v_mul_f32_e32 v179, v144, v188
	v_fmac_f32_e32 v161, v131, v189
	v_add_f32_e32 v1, v1, v178
	v_mul_f32_e32 v6, v147, v168
	v_fma_f32 v4, v144, v12, -v4
	v_add_f32_e32 v2, v2, v5
	v_mul_f32_e32 v180, v146, v168
	v_fmac_f32_e32 v179, v145, v12
	v_add_f32_e32 v1, v1, v161
	s_waitcnt lgkmcnt(0)
	v_mul_f32_e32 v5, v133, v166
	s_waitcnt vmcnt(1)
	v_fma_f32 v6, v146, v196, -v6
	v_add_f32_e32 v2, v2, v4
	v_mul_f32_e32 v177, v132, v166
	v_fmac_f32_e32 v180, v147, v196
	v_add_f32_e32 v1, v1, v179
	v_mul_f32_e32 v4, v135, v165
	v_fma_f32 v5, v132, v195, -v5
	v_add_f32_e32 v2, v2, v6
	v_mul_f32_e32 v3, v134, v165
	v_fmac_f32_e32 v177, v133, v195
	v_add_f32_e32 v1, v1, v180
	v_fma_f32 v4, v134, v10, -v4
	v_add_f32_e32 v2, v2, v5
	v_fmac_f32_e32 v3, v135, v10
	v_add_f32_e32 v1, v1, v177
	v_add_f32_e32 v2, v2, v4
	;; [unrolled: 1-line block ×3, first 2 shown]
	s_waitcnt vmcnt(0)
	v_sub_f32_e32 v2, v11, v2
	v_sub_f32_e32 v1, v187, v1
	buffer_store_dword v2, off, s[0:3], 0 offset:144
	buffer_store_dword v1, off, s[0:3], 0 offset:148
	v_cmpx_lt_u32_e32 17, v0
	s_cbranch_execz .LBB120_321
; %bb.320:
	s_clause 0x1
	buffer_load_dword v1, off, s[0:3], 0 offset:136
	buffer_load_dword v2, off, s[0:3], 0 offset:140
	v_mov_b32_e32 v3, 0
	buffer_store_dword v3, off, s[0:3], 0 offset:136
	buffer_store_dword v3, off, s[0:3], 0 offset:140
	s_waitcnt vmcnt(0)
	ds_write_b64 v127, v[1:2]
.LBB120_321:
	s_or_b32 exec_lo, exec_lo, s4
	s_waitcnt lgkmcnt(0)
	s_waitcnt_vscnt null, 0x0
	s_barrier
	buffer_gl0_inv
	s_clause 0x25
	buffer_load_dword v2, off, s[0:3], 0 offset:148
	buffer_load_dword v3, off, s[0:3], 0 offset:156
	;; [unrolled: 1-line block ×38, first 2 shown]
	v_mov_b32_e32 v1, 0
	ds_read_b128 v[4:7], v1 offset:608
	ds_read_b128 v[8:11], v1 offset:624
	s_clause 0x10
	buffer_load_dword v171, off, s[0:3], 0 offset:300
	buffer_load_dword v172, off, s[0:3], 0 offset:308
	;; [unrolled: 1-line block ×17, first 2 shown]
	ds_read_b128 v[128:131], v1 offset:640
	ds_read_b128 v[132:135], v1 offset:656
	s_mov_b32 s4, exec_lo
	s_waitcnt vmcnt(54) lgkmcnt(3)
	v_mul_f32_e32 v188, v5, v2
	v_mul_f32_e32 v189, v4, v2
	s_waitcnt vmcnt(53)
	v_mul_f32_e32 v190, v6, v3
	v_mul_f32_e32 v2, v7, v3
	s_waitcnt vmcnt(52) lgkmcnt(2)
	v_mul_f32_e32 v191, v8, v12
	v_mul_f32_e32 v3, v9, v12
	s_waitcnt vmcnt(49)
	v_fma_f32 v12, v4, v138, -v188
	v_fmac_f32_e32 v189, v5, v138
	s_waitcnt vmcnt(48)
	v_mul_f32_e32 v138, v10, v139
	v_mul_f32_e32 v4, v11, v139
	v_fmac_f32_e32 v190, v7, v137
	s_waitcnt vmcnt(43) lgkmcnt(1)
	v_mul_f32_e32 v139, v129, v144
	v_fma_f32 v137, v6, v137, -v2
	v_fmac_f32_e32 v191, v9, v136
	v_fma_f32 v136, v8, v136, -v3
	v_fmac_f32_e32 v138, v11, v143
	v_fma_f32 v10, v10, v143, -v4
	ds_read_b128 v[2:5], v1 offset:672
	ds_read_b128 v[6:9], v1 offset:688
	v_mul_f32_e32 v11, v128, v144
	s_waitcnt vmcnt(42)
	v_mul_f32_e32 v143, v130, v145
	v_mul_f32_e32 v144, v131, v145
	s_waitcnt vmcnt(41) lgkmcnt(2)
	v_mul_f32_e32 v145, v132, v146
	v_fma_f32 v139, v128, v142, -v139
	s_waitcnt vmcnt(40)
	v_mul_f32_e32 v128, v135, v147
	v_mul_f32_e32 v146, v133, v146
	v_fmac_f32_e32 v11, v129, v142
	v_fmac_f32_e32 v143, v131, v141
	v_fma_f32 v141, v130, v141, -v144
	s_clause 0x3
	buffer_load_dword v188, off, s[0:3], 0 offset:364
	buffer_load_dword v192, off, s[0:3], 0 offset:372
	;; [unrolled: 1-line block ×4, first 2 shown]
	v_fmac_f32_e32 v145, v133, v140
	s_waitcnt vmcnt(40)
	v_fma_f32 v133, v134, v151, -v128
	ds_read_b128 v[128:131], v1 offset:704
	v_mul_f32_e32 v142, v134, v147
	v_fma_f32 v132, v132, v140, -v146
	s_waitcnt vmcnt(39) lgkmcnt(2)
	v_mul_f32_e32 v134, v2, v152
	v_fmac_f32_e32 v142, v135, v151
	v_mul_f32_e32 v135, v3, v152
	s_waitcnt vmcnt(37) lgkmcnt(1)
	v_mul_f32_e32 v147, v7, v154
	v_mul_f32_e32 v140, v4, v153
	;; [unrolled: 1-line block ×4, first 2 shown]
	v_fmac_f32_e32 v134, v3, v150
	v_fma_f32 v135, v2, v150, -v135
	s_waitcnt vmcnt(36)
	v_mul_f32_e32 v150, v8, v155
	v_mul_f32_e32 v2, v9, v155
	v_fma_f32 v147, v6, v148, -v147
	v_fmac_f32_e32 v140, v5, v149
	v_fma_f32 v144, v4, v149, -v144
	s_clause 0x3
	buffer_load_dword v149, off, s[0:3], 0 offset:396
	buffer_load_dword v151, off, s[0:3], 0 offset:404
	;; [unrolled: 1-line block ×4, first 2 shown]
	s_waitcnt vmcnt(35) lgkmcnt(0)
	v_mul_f32_e32 v154, v128, v160
	v_mul_f32_e32 v6, v129, v160
	v_fmac_f32_e32 v146, v7, v148
	v_fmac_f32_e32 v150, v9, v159
	v_fma_f32 v148, v8, v159, -v2
	ds_read_b128 v[2:5], v1 offset:720
	s_waitcnt vmcnt(34)
	v_mul_f32_e32 v155, v130, v161
	v_mul_f32_e32 v7, v131, v161
	buffer_load_dword v159, off, s[0:3], 0 offset:428
	v_fmac_f32_e32 v154, v129, v158
	v_fma_f32 v158, v128, v158, -v6
	v_add_f32_e32 v6, 0, v12
	s_clause 0x6
	buffer_load_dword v12, off, s[0:3], 0 offset:436
	buffer_load_dword v160, off, s[0:3], 0 offset:444
	;; [unrolled: 1-line block ×7, first 2 shown]
	v_fmac_f32_e32 v155, v131, v157
	v_fma_f32 v157, v130, v157, -v7
	v_add_f32_e32 v7, 0, v189
	v_add_f32_e32 v6, v6, v137
	;; [unrolled: 1-line block ×4, first 2 shown]
	s_waitcnt vmcnt(41) lgkmcnt(0)
	v_mul_f32_e32 v8, v3, v162
	v_add_f32_e32 v7, v7, v191
	s_clause 0x8
	buffer_load_dword v189, off, s[0:3], 0 offset:416
	buffer_load_dword v190, off, s[0:3], 0 offset:408
	;; [unrolled: 1-line block ×9, first 2 shown]
	v_add_f32_e32 v6, v6, v10
	v_add_f32_e32 v7, v7, v138
	v_mul_f32_e32 v10, v2, v162
	v_add_f32_e32 v6, v6, v139
	v_add_f32_e32 v7, v7, v11
	v_fmac_f32_e32 v10, v3, v156
	v_fma_f32 v11, v2, v156, -v8
	v_add_f32_e32 v6, v6, v141
	v_add_f32_e32 v7, v7, v143
	s_waitcnt vmcnt(49)
	v_mul_f32_e32 v141, v4, v163
	v_add_f32_e32 v6, v6, v132
	v_add_f32_e32 v7, v7, v145
	s_waitcnt vmcnt(45)
	v_fmac_f32_e32 v141, v5, v167
	v_add_f32_e32 v2, v6, v133
	v_add_f32_e32 v3, v7, v142
	ds_read_b128 v[6:9], v1 offset:736
	v_add_f32_e32 v128, v2, v135
	v_mul_f32_e32 v2, v5, v163
	v_add_f32_e32 v129, v3, v134
	v_add_f32_e32 v132, v128, v144
	v_fma_f32 v142, v4, v167, -v2
	ds_read_b128 v[2:5], v1 offset:752
	v_add_f32_e32 v133, v129, v140
	ds_read_b128 v[128:131], v1 offset:768
	v_add_f32_e32 v132, v132, v147
	v_add_f32_e32 v133, v133, v146
	;; [unrolled: 1-line block ×3, first 2 shown]
	s_waitcnt vmcnt(44) lgkmcnt(2)
	v_mul_f32_e32 v134, v7, v168
	v_mul_f32_e32 v144, v6, v168
	s_waitcnt vmcnt(43)
	v_mul_f32_e32 v146, v8, v169
	v_fma_f32 v145, v6, v166, -v134
	v_add_f32_e32 v6, v133, v150
	v_fmac_f32_e32 v144, v7, v166
	v_add_f32_e32 v7, v136, v158
	ds_read_b128 v[132:135], v1 offset:784
	s_waitcnt vmcnt(42) lgkmcnt(2)
	v_mul_f32_e32 v137, v3, v170
	v_add_f32_e32 v6, v6, v154
	v_mul_f32_e32 v148, v2, v170
	v_add_f32_e32 v7, v7, v157
	v_mul_f32_e32 v136, v9, v169
	v_fmac_f32_e32 v146, v9, v165
	v_add_f32_e32 v6, v6, v155
	v_fma_f32 v155, v2, v164, -v137
	v_add_f32_e32 v2, v7, v11
	v_fmac_f32_e32 v148, v3, v164
	v_fma_f32 v147, v8, v165, -v136
	v_add_f32_e32 v3, v6, v10
	s_waitcnt vmcnt(40) lgkmcnt(1)
	v_mul_f32_e32 v10, v129, v172
	v_add_f32_e32 v11, v2, v142
	v_mul_f32_e32 v140, v5, v171
	v_mul_f32_e32 v150, v4, v171
	;; [unrolled: 1-line block ×3, first 2 shown]
	s_waitcnt vmcnt(35)
	v_fma_f32 v157, v128, v177, -v10
	v_add_f32_e32 v10, v3, v141
	v_add_f32_e32 v11, v11, v145
	s_waitcnt vmcnt(34)
	v_fma_f32 v156, v4, v178, -v140
	ds_read_b128 v[6:9], v1 offset:800
	ds_read_b128 v[136:139], v1 offset:816
	v_fmac_f32_e32 v150, v5, v178
	v_add_f32_e32 v10, v10, v144
	v_add_f32_e32 v11, v11, v147
	v_mul_f32_e32 v128, v131, v173
	v_fmac_f32_e32 v154, v129, v177
	v_mul_f32_e32 v158, v130, v173
	v_add_f32_e32 v10, v10, v146
	v_add_f32_e32 v155, v11, v155
	s_waitcnt lgkmcnt(2)
	v_mul_f32_e32 v129, v133, v174
	v_fma_f32 v165, v130, v176, -v128
	v_mul_f32_e32 v162, v132, v174
	v_add_f32_e32 v148, v10, v148
	v_add_f32_e32 v155, v155, v156
	v_fmac_f32_e32 v158, v131, v176
	s_waitcnt vmcnt(33)
	v_mul_f32_e32 v164, v135, v179
	v_fma_f32 v166, v132, v175, -v129
	v_add_f32_e32 v148, v148, v150
	v_add_f32_e32 v155, v155, v157
	v_mul_f32_e32 v163, v134, v179
	v_fmac_f32_e32 v162, v133, v175
	s_waitcnt vmcnt(26)
	v_fma_f32 v164, v134, v186, -v164
	v_add_f32_e32 v148, v148, v154
	v_add_f32_e32 v155, v155, v165
	s_waitcnt lgkmcnt(1)
	v_mul_f32_e32 v167, v7, v180
	ds_read_b128 v[2:5], v1 offset:832
	ds_read_b128 v[140:143], v1 offset:848
	v_fmac_f32_e32 v163, v135, v186
	v_add_f32_e32 v148, v148, v158
	v_add_f32_e32 v155, v155, v166
	v_mul_f32_e32 v156, v6, v180
	v_mul_f32_e32 v168, v9, v181
	v_fma_f32 v6, v6, v185, -v167
	v_add_f32_e32 v148, v148, v162
	v_add_f32_e32 v155, v155, v164
	v_mul_f32_e32 v150, v8, v181
	v_fmac_f32_e32 v156, v7, v185
	s_waitcnt lgkmcnt(2)
	v_mul_f32_e32 v167, v137, v182
	v_add_f32_e32 v148, v148, v163
	v_fma_f32 v8, v8, v184, -v168
	v_add_f32_e32 v6, v155, v6
	v_mul_f32_e32 v157, v136, v182
	v_fmac_f32_e32 v150, v9, v184
	v_add_f32_e32 v148, v148, v156
	v_fma_f32 v136, v136, v183, -v167
	v_add_f32_e32 v6, v6, v8
	v_fmac_f32_e32 v157, v137, v183
	ds_read_b128 v[128:131], v1 offset:864
	ds_read_b128 v[144:147], v1 offset:880
	v_add_f32_e32 v8, v148, v150
	ds_read_b128 v[132:135], v1 offset:896
	ds_read_b64 v[10:11], v1 offset:912
	v_add_f32_e32 v6, v6, v136
	v_add_f32_e32 v8, v8, v157
	s_waitcnt vmcnt(24)
	v_mul_f32_e32 v163, v139, v188
	v_mul_f32_e32 v154, v138, v188
	s_waitcnt vmcnt(23) lgkmcnt(5)
	v_mul_f32_e32 v7, v2, v192
	v_mul_f32_e32 v137, v3, v192
	s_waitcnt vmcnt(22)
	v_mul_f32_e32 v136, v5, v193
	v_mul_f32_e32 v165, v4, v193
	s_waitcnt vmcnt(21) lgkmcnt(4)
	v_mul_f32_e32 v158, v140, v194
	s_waitcnt vmcnt(20)
	v_mul_f32_e32 v9, v142, v149
	s_waitcnt vmcnt(19) lgkmcnt(3)
	v_mul_f32_e32 v168, v128, v151
	s_waitcnt vmcnt(18)
	;; [unrolled: 4-line block ×3, first 2 shown]
	v_mul_f32_e32 v169, v146, v159
	s_waitcnt vmcnt(12)
	v_fmac_f32_e32 v158, v141, v195
	s_waitcnt vmcnt(11)
	v_fma_f32 v4, v4, v196, -v136
	s_waitcnt vmcnt(10)
	v_fmac_f32_e32 v7, v3, v197
	s_waitcnt vmcnt(9)
	v_fma_f32 v138, v138, v198, -v163
	v_fmac_f32_e32 v154, v139, v198
	v_fma_f32 v2, v2, v197, -v137
	v_fmac_f32_e32 v165, v5, v196
	v_mul_f32_e32 v5, v143, v149
	v_add_f32_e32 v3, v6, v138
	v_add_f32_e32 v6, v8, v154
	v_mul_f32_e32 v8, v141, v194
	s_waitcnt lgkmcnt(1)
	v_mul_f32_e32 v164, v132, v12
	v_mul_f32_e32 v170, v134, v160
	v_add_f32_e32 v2, v3, v2
	v_add_f32_e32 v3, v6, v7
	v_fma_f32 v6, v140, v195, -v8
	s_waitcnt vmcnt(6)
	v_fmac_f32_e32 v168, v129, v191
	s_waitcnt vmcnt(5)
	v_fma_f32 v5, v142, v199, -v5
	v_add_f32_e32 v2, v2, v4
	v_add_f32_e32 v3, v3, v165
	v_mul_f32_e32 v4, v129, v151
	v_fmac_f32_e32 v9, v143, v199
	v_fmac_f32_e32 v162, v131, v190
	v_add_f32_e32 v2, v2, v6
	v_add_f32_e32 v3, v3, v158
	v_mul_f32_e32 v6, v131, v152
	v_fma_f32 v4, v128, v191, -v4
	v_fmac_f32_e32 v166, v145, v189
	v_add_f32_e32 v2, v2, v5
	v_add_f32_e32 v3, v3, v9
	v_mul_f32_e32 v5, v145, v153
	v_fma_f32 v6, v130, v190, -v6
	s_waitcnt vmcnt(1)
	v_fmac_f32_e32 v169, v147, v203
	v_add_f32_e32 v2, v2, v4
	v_add_f32_e32 v3, v3, v168
	v_mul_f32_e32 v4, v147, v159
	v_fma_f32 v5, v144, v189, -v5
	v_fmac_f32_e32 v164, v133, v202
	v_add_f32_e32 v2, v2, v6
	v_add_f32_e32 v3, v3, v162
	v_mul_f32_e32 v6, v133, v12
	v_fma_f32 v4, v146, v203, -v4
	s_waitcnt lgkmcnt(0)
	v_mul_f32_e32 v155, v10, v161
	v_add_f32_e32 v2, v2, v5
	v_add_f32_e32 v3, v3, v166
	v_mul_f32_e32 v5, v135, v160
	v_fma_f32 v6, v132, v202, -v6
	v_fmac_f32_e32 v170, v135, v201
	v_add_f32_e32 v2, v2, v4
	v_add_f32_e32 v3, v3, v169
	v_mul_f32_e32 v4, v11, v161
	v_fma_f32 v5, v134, v201, -v5
	v_fmac_f32_e32 v155, v11, v200
	v_add_f32_e32 v2, v2, v6
	v_add_f32_e32 v3, v3, v164
	v_fma_f32 v4, v10, v200, -v4
	v_add_f32_e32 v2, v2, v5
	v_add_f32_e32 v3, v3, v170
	;; [unrolled: 1-line block ×4, first 2 shown]
	s_waitcnt vmcnt(0)
	v_sub_f32_e32 v2, v204, v2
	v_sub_f32_e32 v3, v187, v3
	buffer_store_dword v2, off, s[0:3], 0 offset:136
	buffer_store_dword v3, off, s[0:3], 0 offset:140
	v_cmpx_lt_u32_e32 16, v0
	s_cbranch_execz .LBB120_323
; %bb.322:
	s_clause 0x1
	buffer_load_dword v2, off, s[0:3], 0 offset:128
	buffer_load_dword v3, off, s[0:3], 0 offset:132
	buffer_store_dword v1, off, s[0:3], 0 offset:128
	buffer_store_dword v1, off, s[0:3], 0 offset:132
	s_waitcnt vmcnt(0)
	ds_write_b64 v127, v[2:3]
.LBB120_323:
	s_or_b32 exec_lo, exec_lo, s4
	s_waitcnt lgkmcnt(0)
	s_waitcnt_vscnt null, 0x0
	s_barrier
	buffer_gl0_inv
	s_clause 0x23
	buffer_load_dword v10, off, s[0:3], 0 offset:140
	buffer_load_dword v11, off, s[0:3], 0 offset:148
	;; [unrolled: 1-line block ×36, first 2 shown]
	ds_read2_b64 v[2:5], v1 offset0:75 offset1:76
	s_clause 0x1
	buffer_load_dword v177, off, s[0:3], 0 offset:276
	buffer_load_dword v178, off, s[0:3], 0 offset:284
	ds_read2_b64 v[6:9], v1 offset0:77 offset1:78
	ds_read2_b64 v[128:131], v1 offset0:79 offset1:80
	s_clause 0x7
	buffer_load_dword v179, off, s[0:3], 0 offset:292
	buffer_load_dword v180, off, s[0:3], 0 offset:300
	;; [unrolled: 1-line block ×8, first 2 shown]
	ds_read2_b64 v[132:135], v1 offset0:81 offset1:82
	ds_read2_b64 v[136:139], v1 offset0:83 offset1:84
	;; [unrolled: 1-line block ×3, first 2 shown]
	buffer_load_dword v189, off, s[0:3], 0 offset:132
	s_mov_b32 s4, exec_lo
	s_waitcnt vmcnt(46) lgkmcnt(5)
	v_mul_f32_e32 v187, v3, v10
	v_mul_f32_e32 v10, v2, v10
	s_waitcnt vmcnt(45)
	v_mul_f32_e32 v188, v4, v11
	v_mul_f32_e32 v11, v5, v11
	s_waitcnt vmcnt(42)
	v_fma_f32 v187, v2, v145, -v187
	v_fmac_f32_e32 v10, v3, v145
	v_fmac_f32_e32 v188, v5, v144
	v_fma_f32 v11, v4, v144, -v11
	s_waitcnt vmcnt(41) lgkmcnt(4)
	v_mul_f32_e32 v144, v6, v146
	v_mul_f32_e32 v145, v7, v146
	s_waitcnt vmcnt(40)
	v_mul_f32_e32 v146, v8, v147
	v_mul_f32_e32 v147, v9, v147
	s_waitcnt vmcnt(39) lgkmcnt(3)
	v_mul_f32_e32 v190, v128, v148
	v_mul_f32_e32 v148, v129, v148
	v_fmac_f32_e32 v144, v7, v12
	v_fma_f32 v12, v6, v12, -v145
	s_waitcnt vmcnt(38)
	v_mul_f32_e32 v145, v130, v149
	v_mul_f32_e32 v6, v131, v149
	ds_read2_b64 v[2:5], v1 offset0:87 offset1:88
	s_waitcnt vmcnt(34)
	v_fmac_f32_e32 v146, v9, v153
	v_fma_f32 v147, v8, v153, -v147
	v_fmac_f32_e32 v190, v129, v152
	v_fma_f32 v128, v128, v152, -v148
	;; [unrolled: 2-line block ×3, first 2 shown]
	s_clause 0x7
	buffer_load_dword v148, off, s[0:3], 0 offset:324
	buffer_load_dword v149, off, s[0:3], 0 offset:332
	;; [unrolled: 1-line block ×8, first 2 shown]
	s_waitcnt vmcnt(41) lgkmcnt(3)
	v_mul_f32_e32 v6, v133, v154
	s_waitcnt vmcnt(40)
	v_mul_f32_e32 v7, v135, v155
	v_mul_f32_e32 v130, v132, v154
	;; [unrolled: 1-line block ×3, first 2 shown]
	s_waitcnt vmcnt(39) lgkmcnt(2)
	v_mul_f32_e32 v154, v136, v156
	v_fma_f32 v132, v132, v150, -v6
	s_waitcnt vmcnt(34)
	v_fma_f32 v134, v134, v161, -v7
	ds_read2_b64 v[6:9], v1 offset0:89 offset1:90
	v_mul_f32_e32 v155, v137, v156
	v_fmac_f32_e32 v130, v133, v150
	v_mul_f32_e32 v133, v138, v157
	v_mul_f32_e32 v150, v139, v157
	v_fmac_f32_e32 v131, v135, v161
	v_fmac_f32_e32 v154, v137, v160
	v_fma_f32 v135, v136, v160, -v155
	v_fmac_f32_e32 v133, v139, v159
	v_fma_f32 v136, v138, v159, -v150
	s_waitcnt vmcnt(33) lgkmcnt(2)
	v_mul_f32_e32 v137, v140, v162
	v_mul_f32_e32 v138, v141, v162
	s_waitcnt vmcnt(32)
	v_mul_f32_e32 v139, v142, v163
	s_waitcnt vmcnt(31) lgkmcnt(1)
	v_mul_f32_e32 v160, v2, v164
	v_mul_f32_e32 v161, v3, v164
	;; [unrolled: 1-line block ×3, first 2 shown]
	v_fmac_f32_e32 v137, v141, v158
	v_fma_f32 v138, v140, v158, -v138
	s_waitcnt vmcnt(30)
	v_mul_f32_e32 v140, v4, v165
	v_mul_f32_e32 v141, v5, v165
	s_waitcnt vmcnt(26)
	v_fmac_f32_e32 v139, v143, v169
	v_fmac_f32_e32 v160, v3, v168
	v_fma_f32 v143, v2, v168, -v161
	s_waitcnt vmcnt(25) lgkmcnt(0)
	v_mul_f32_e32 v168, v6, v170
	v_mul_f32_e32 v2, v7, v170
	v_add_f32_e32 v3, 0, v187
	s_clause 0x3
	buffer_load_dword v150, off, s[0:3], 0 offset:356
	buffer_load_dword v155, off, s[0:3], 0 offset:364
	;; [unrolled: 1-line block ×4, first 2 shown]
	v_fma_f32 v142, v142, v169, -v159
	s_clause 0x3
	buffer_load_dword v158, off, s[0:3], 0 offset:388
	buffer_load_dword v159, off, s[0:3], 0 offset:396
	;; [unrolled: 1-line block ×4, first 2 shown]
	v_fmac_f32_e32 v140, v5, v167
	v_fma_f32 v141, v4, v167, -v141
	s_clause 0x3
	buffer_load_dword v161, off, s[0:3], 0 offset:420
	buffer_load_dword v164, off, s[0:3], 0 offset:428
	;; [unrolled: 1-line block ×4, first 2 shown]
	v_add_f32_e32 v4, 0, v10
	buffer_load_dword v10, off, s[0:3], 0 offset:452
	v_fmac_f32_e32 v168, v7, v166
	v_fma_f32 v166, v6, v166, -v2
	v_add_f32_e32 v2, v3, v11
	s_clause 0x3
	buffer_load_dword v11, off, s[0:3], 0 offset:376
	buffer_load_dword v169, off, s[0:3], 0 offset:368
	;; [unrolled: 1-line block ×4, first 2 shown]
	v_add_f32_e32 v6, v4, v188
	v_add_f32_e32 v7, v2, v12
	s_waitcnt vmcnt(41)
	v_mul_f32_e32 v2, v9, v171
	v_mul_f32_e32 v12, v8, v171
	v_add_f32_e32 v6, v6, v144
	v_add_f32_e32 v7, v7, v147
	s_waitcnt vmcnt(37)
	v_fma_f32 v171, v8, v175, -v2
	ds_read2_b64 v[2:5], v1 offset0:91 offset1:92
	v_fmac_f32_e32 v12, v9, v175
	s_clause 0x3
	buffer_load_dword v175, off, s[0:3], 0 offset:408
	buffer_load_dword v188, off, s[0:3], 0 offset:400
	;; [unrolled: 1-line block ×4, first 2 shown]
	v_add_f32_e32 v7, v7, v128
	v_add_f32_e32 v6, v6, v146
	;; [unrolled: 1-line block ×6, first 2 shown]
	ds_read2_b64 v[6:9], v1 offset0:93 offset1:94
	v_add_f32_e32 v129, v129, v130
	s_waitcnt vmcnt(40) lgkmcnt(1)
	v_mul_f32_e32 v144, v2, v176
	v_mul_f32_e32 v132, v3, v176
	s_waitcnt vmcnt(39)
	v_mul_f32_e32 v146, v4, v177
	v_fmac_f32_e32 v144, v3, v174
	v_fma_f32 v145, v2, v174, -v132
	s_clause 0x4
	buffer_load_dword v174, off, s[0:3], 0 offset:440
	buffer_load_dword v176, off, s[0:3], 0 offset:432
	;; [unrolled: 1-line block ×5, first 2 shown]
	v_add_f32_e32 v3, v129, v131
	v_add_f32_e32 v2, v128, v134
	v_mul_f32_e32 v128, v5, v177
	v_fmac_f32_e32 v146, v5, v173
	v_add_f32_e32 v3, v3, v154
	buffer_load_dword v154, off, s[0:3], 0 offset:128
	v_add_f32_e32 v2, v2, v135
	v_fma_f32 v147, v4, v173, -v128
	s_waitcnt vmcnt(44) lgkmcnt(0)
	v_mul_f32_e32 v173, v6, v178
	v_add_f32_e32 v129, v3, v133
	v_mul_f32_e32 v134, v7, v178
	v_add_f32_e32 v2, v2, v136
	s_waitcnt vmcnt(43)
	v_mul_f32_e32 v177, v8, v179
	v_mul_f32_e32 v135, v9, v179
	v_add_f32_e32 v133, v129, v137
	ds_read2_b64 v[128:131], v1 offset0:97 offset1:98
	v_add_f32_e32 v132, v2, v138
	ds_read2_b64 v[2:5], v1 offset0:95 offset1:96
	v_fmac_f32_e32 v173, v7, v172
	v_add_f32_e32 v133, v133, v139
	v_fma_f32 v172, v6, v172, -v134
	v_add_f32_e32 v132, v132, v142
	s_waitcnt vmcnt(36)
	v_fmac_f32_e32 v177, v9, v186
	v_fma_f32 v178, v8, v186, -v135
	v_add_f32_e32 v137, v133, v160
	v_add_f32_e32 v136, v132, v143
	ds_read2_b64 v[6:9], v1 offset0:99 offset1:100
	ds_read2_b64 v[132:135], v1 offset0:101 offset1:102
	v_add_f32_e32 v137, v137, v140
	v_add_f32_e32 v136, v136, v141
	;; [unrolled: 1-line block ×3, first 2 shown]
	s_waitcnt lgkmcnt(3)
	v_mul_f32_e32 v140, v129, v182
	v_add_f32_e32 v136, v136, v166
	v_mul_f32_e32 v166, v128, v182
	s_waitcnt lgkmcnt(2)
	v_mul_f32_e32 v138, v3, v180
	v_add_f32_e32 v12, v137, v12
	v_mul_f32_e32 v160, v2, v180
	v_add_f32_e32 v141, v136, v171
	v_mul_f32_e32 v139, v5, v181
	v_fma_f32 v180, v2, v185, -v138
	v_add_f32_e32 v12, v12, v144
	v_mul_f32_e32 v179, v4, v181
	v_add_f32_e32 v145, v141, v145
	v_fmac_f32_e32 v160, v3, v185
	v_fma_f32 v181, v4, v184, -v139
	v_add_f32_e32 v12, v12, v146
	v_fmac_f32_e32 v179, v5, v184
	v_add_f32_e32 v144, v145, v147
	v_fmac_f32_e32 v166, v129, v183
	ds_read2_b64 v[2:5], v1 offset0:103 offset1:104
	ds_read2_b64 v[136:139], v1 offset0:105 offset1:106
	v_add_f32_e32 v12, v12, v173
	v_add_f32_e32 v12, v12, v177
	;; [unrolled: 1-line block ×5, first 2 shown]
	s_waitcnt vmcnt(34)
	v_mul_f32_e32 v168, v130, v148
	s_waitcnt vmcnt(33) lgkmcnt(3)
	v_mul_f32_e32 v182, v6, v149
	v_mul_f32_e32 v145, v7, v149
	;; [unrolled: 1-line block ×3, first 2 shown]
	v_fma_f32 v148, v128, v183, -v140
	s_waitcnt vmcnt(32)
	v_mul_f32_e32 v183, v8, v151
	s_waitcnt vmcnt(28)
	v_fmac_f32_e32 v182, v7, v192
	v_add_f32_e32 v7, v144, v172
	s_waitcnt vmcnt(27)
	v_fma_f32 v171, v130, v193, -v142
	v_fmac_f32_e32 v168, v131, v193
	v_mul_f32_e32 v146, v9, v151
	v_fma_f32 v149, v6, v192, -v145
	v_add_f32_e32 v172, v7, v178
	ds_read2_b64 v[128:131], v1 offset0:107 offset1:108
	ds_read2_b64 v[140:143], v1 offset0:109 offset1:110
	v_add_f32_e32 v12, v12, v168
	v_fmac_f32_e32 v183, v9, v191
	v_fma_f32 v151, v8, v191, -v146
	v_add_f32_e32 v172, v172, v180
	ds_read2_b64 v[6:9], v1 offset0:111 offset1:112
	ds_read2_b64 v[144:147], v1 offset0:113 offset1:114
	s_waitcnt lgkmcnt(6)
	v_mul_f32_e32 v1, v132, v152
	v_mul_f32_e32 v152, v133, v152
	v_add_f32_e32 v12, v12, v182
	v_add_f32_e32 v172, v172, v181
	v_fmac_f32_e32 v1, v133, v153
	v_fma_f32 v132, v132, v153, -v152
	v_add_f32_e32 v12, v12, v183
	v_add_f32_e32 v148, v172, v148
	;; [unrolled: 1-line block ×5, first 2 shown]
	s_waitcnt vmcnt(26)
	v_mul_f32_e32 v160, v134, v150
	v_mul_f32_e32 v150, v135, v150
	s_waitcnt vmcnt(25) lgkmcnt(5)
	v_mul_f32_e32 v173, v2, v155
	s_waitcnt vmcnt(24)
	v_mul_f32_e32 v12, v5, v156
	v_add_f32_e32 v148, v148, v151
	v_mul_f32_e32 v151, v3, v155
	v_mul_f32_e32 v177, v4, v156
	s_waitcnt vmcnt(23) lgkmcnt(4)
	v_mul_f32_e32 v178, v136, v157
	s_waitcnt vmcnt(22)
	v_mul_f32_e32 v172, v138, v158
	v_add_f32_e32 v132, v148, v132
	s_waitcnt vmcnt(21) lgkmcnt(3)
	v_mul_f32_e32 v166, v128, v159
	s_waitcnt vmcnt(20)
	v_mul_f32_e32 v179, v130, v162
	s_waitcnt vmcnt(12)
	v_fma_f32 v4, v4, v169, -v12
	s_waitcnt vmcnt(11)
	v_fmac_f32_e32 v173, v3, v170
	s_waitcnt vmcnt(10)
	v_fma_f32 v134, v134, v187, -v150
	v_fmac_f32_e32 v160, v135, v187
	v_fma_f32 v2, v2, v170, -v151
	v_fmac_f32_e32 v177, v5, v169
	v_fmac_f32_e32 v178, v137, v11
	v_add_f32_e32 v3, v132, v134
	v_add_f32_e32 v1, v1, v160
	v_mul_f32_e32 v132, v137, v157
	s_waitcnt lgkmcnt(2)
	v_mul_f32_e32 v171, v140, v163
	v_mul_f32_e32 v168, v142, v161
	v_add_f32_e32 v2, v3, v2
	v_add_f32_e32 v1, v1, v173
	v_mul_f32_e32 v3, v139, v158
	v_fma_f32 v5, v136, v11, -v132
	s_waitcnt vmcnt(6)
	v_fmac_f32_e32 v172, v139, v195
	v_add_f32_e32 v2, v2, v4
	v_add_f32_e32 v1, v1, v177
	v_mul_f32_e32 v4, v129, v159
	v_fma_f32 v3, v138, v195, -v3
	v_fmac_f32_e32 v166, v129, v194
	v_add_f32_e32 v2, v2, v5
	v_add_f32_e32 v1, v1, v178
	v_mul_f32_e32 v5, v131, v162
	v_fma_f32 v4, v128, v194, -v4
	;; [unrolled: 5-line block ×4, first 2 shown]
	s_waitcnt lgkmcnt(1)
	v_mul_f32_e32 v180, v6, v164
	v_add_f32_e32 v2, v2, v5
	v_add_f32_e32 v1, v1, v179
	v_mul_f32_e32 v5, v7, v164
	s_waitcnt vmcnt(2)
	v_fma_f32 v4, v142, v196, -v4
	v_fmac_f32_e32 v168, v143, v196
	v_add_f32_e32 v2, v2, v3
	v_add_f32_e32 v1, v1, v171
	v_mul_f32_e32 v3, v9, v165
	v_fma_f32 v5, v6, v190, -v5
	v_mul_f32_e32 v149, v8, v165
	v_add_f32_e32 v2, v2, v4
	v_fmac_f32_e32 v180, v7, v190
	v_add_f32_e32 v1, v1, v168
	s_waitcnt lgkmcnt(0)
	v_mul_f32_e32 v4, v145, v167
	v_fma_f32 v3, v8, v176, -v3
	v_add_f32_e32 v2, v2, v5
	v_mul_f32_e32 v181, v144, v167
	v_fmac_f32_e32 v149, v9, v176
	v_add_f32_e32 v1, v1, v180
	v_mul_f32_e32 v5, v147, v10
	v_fma_f32 v4, v144, v174, -v4
	v_add_f32_e32 v2, v2, v3
	v_mul_f32_e32 v133, v146, v10
	v_fmac_f32_e32 v181, v145, v174
	v_add_f32_e32 v1, v1, v149
	s_waitcnt vmcnt(1)
	v_fma_f32 v3, v146, v197, -v5
	v_add_f32_e32 v2, v2, v4
	v_fmac_f32_e32 v133, v147, v197
	v_add_f32_e32 v1, v1, v181
	v_add_f32_e32 v2, v2, v3
	;; [unrolled: 1-line block ×3, first 2 shown]
	s_waitcnt vmcnt(0)
	v_sub_f32_e32 v2, v154, v2
	v_sub_f32_e32 v1, v189, v1
	buffer_store_dword v2, off, s[0:3], 0 offset:128
	buffer_store_dword v1, off, s[0:3], 0 offset:132
	v_cmpx_lt_u32_e32 15, v0
	s_cbranch_execz .LBB120_325
; %bb.324:
	s_clause 0x1
	buffer_load_dword v1, off, s[0:3], 0 offset:120
	buffer_load_dword v2, off, s[0:3], 0 offset:124
	v_mov_b32_e32 v3, 0
	buffer_store_dword v3, off, s[0:3], 0 offset:120
	buffer_store_dword v3, off, s[0:3], 0 offset:124
	s_waitcnt vmcnt(0)
	ds_write_b64 v127, v[1:2]
.LBB120_325:
	s_or_b32 exec_lo, exec_lo, s4
	s_waitcnt lgkmcnt(0)
	s_waitcnt_vscnt null, 0x0
	s_barrier
	buffer_gl0_inv
	s_clause 0x23
	buffer_load_dword v3, off, s[0:3], 0 offset:132
	buffer_load_dword v2, off, s[0:3], 0 offset:140
	;; [unrolled: 1-line block ×36, first 2 shown]
	v_mov_b32_e32 v1, 0
	s_mov_b32 s4, exec_lo
	ds_read_b128 v[4:7], v1 offset:592
	s_clause 0x1
	buffer_load_dword v177, off, s[0:3], 0 offset:268
	buffer_load_dword v178, off, s[0:3], 0 offset:276
	ds_read_b128 v[8:11], v1 offset:608
	s_clause 0x8
	buffer_load_dword v179, off, s[0:3], 0 offset:284
	buffer_load_dword v180, off, s[0:3], 0 offset:292
	;; [unrolled: 1-line block ×9, first 2 shown]
	ds_read_b128 v[128:131], v1 offset:624
	ds_read_b128 v[132:135], v1 offset:640
	buffer_load_dword v188, off, s[0:3], 0 offset:124
	ds_read_b128 v[136:139], v1 offset:656
	ds_read_b128 v[140:143], v1 offset:672
	s_waitcnt vmcnt(47) lgkmcnt(5)
	v_mul_f32_e32 v189, v5, v3
	v_mul_f32_e32 v190, v4, v3
	s_waitcnt vmcnt(46)
	v_mul_f32_e32 v191, v6, v2
	v_mul_f32_e32 v2, v7, v2
	s_waitcnt vmcnt(43)
	v_fma_f32 v189, v4, v145, -v189
	v_fmac_f32_e32 v190, v5, v145
	s_waitcnt vmcnt(42) lgkmcnt(4)
	v_mul_f32_e32 v145, v8, v146
	v_mul_f32_e32 v146, v9, v146
	v_fmac_f32_e32 v191, v7, v144
	v_fma_f32 v144, v6, v144, -v2
	s_waitcnt vmcnt(41)
	v_mul_f32_e32 v192, v10, v147
	v_mul_f32_e32 v6, v11, v147
	v_fmac_f32_e32 v145, v9, v12
	v_fma_f32 v12, v8, v12, -v146
	s_waitcnt vmcnt(40) lgkmcnt(3)
	v_mul_f32_e32 v146, v128, v148
	v_mul_f32_e32 v7, v129, v148
	s_waitcnt vmcnt(36)
	v_fmac_f32_e32 v192, v11, v152
	v_fma_f32 v10, v10, v152, -v6
	s_waitcnt vmcnt(35)
	v_mul_f32_e32 v11, v130, v153
	v_mul_f32_e32 v6, v131, v153
	ds_read_b128 v[2:5], v1 offset:688
	s_waitcnt vmcnt(34) lgkmcnt(3)
	v_mul_f32_e32 v147, v132, v154
	v_mul_f32_e32 v8, v133, v154
	s_waitcnt vmcnt(33)
	v_mul_f32_e32 v148, v134, v155
	v_mul_f32_e32 v9, v135, v155
	v_fmac_f32_e32 v146, v129, v151
	v_fma_f32 v128, v128, v151, -v7
	v_fmac_f32_e32 v11, v131, v150
	v_fma_f32 v129, v130, v150, -v6
	s_clause 0x6
	buffer_load_dword v150, off, s[0:3], 0 offset:324
	buffer_load_dword v151, off, s[0:3], 0 offset:332
	;; [unrolled: 1-line block ×7, first 2 shown]
	v_fma_f32 v130, v132, v149, -v8
	s_waitcnt vmcnt(36)
	v_fma_f32 v131, v134, v159, -v9
	ds_read_b128 v[6:9], v1 offset:704
	v_fmac_f32_e32 v147, v133, v149
	v_fmac_f32_e32 v148, v135, v159
	s_waitcnt vmcnt(35) lgkmcnt(3)
	v_mul_f32_e32 v133, v137, v160
	s_waitcnt vmcnt(34)
	v_mul_f32_e32 v134, v138, v161
	v_mul_f32_e32 v135, v139, v161
	;; [unrolled: 1-line block ×3, first 2 shown]
	s_waitcnt vmcnt(33) lgkmcnt(2)
	v_mul_f32_e32 v149, v140, v162
	v_mul_f32_e32 v159, v141, v162
	v_fma_f32 v133, v136, v158, -v133
	s_waitcnt vmcnt(32)
	v_mul_f32_e32 v136, v142, v163
	v_fmac_f32_e32 v134, v139, v157
	v_fma_f32 v135, v138, v157, -v135
	s_waitcnt vmcnt(31) lgkmcnt(1)
	v_mul_f32_e32 v138, v2, v164
	v_mul_f32_e32 v139, v3, v164
	v_fmac_f32_e32 v132, v137, v158
	v_mul_f32_e32 v137, v143, v163
	v_fmac_f32_e32 v149, v141, v156
	v_fma_f32 v140, v140, v156, -v159
	s_waitcnt vmcnt(27)
	v_fmac_f32_e32 v136, v143, v168
	s_clause 0x7
	buffer_load_dword v156, off, s[0:3], 0 offset:348
	buffer_load_dword v157, off, s[0:3], 0 offset:356
	;; [unrolled: 1-line block ×8, first 2 shown]
	v_fmac_f32_e32 v138, v3, v167
	v_fma_f32 v139, v2, v167, -v139
	s_waitcnt vmcnt(33) lgkmcnt(0)
	v_mul_f32_e32 v143, v6, v170
	v_mul_f32_e32 v2, v7, v170
	v_add_f32_e32 v3, 0, v189
	v_fma_f32 v137, v142, v168, -v137
	v_mul_f32_e32 v141, v4, v169
	v_fmac_f32_e32 v143, v7, v165
	v_fma_f32 v165, v6, v165, -v2
	v_add_f32_e32 v2, 0, v190
	v_add_f32_e32 v3, v3, v144
	v_mul_f32_e32 v142, v5, v169
	s_clause 0x1
	buffer_load_dword v164, off, s[0:3], 0 offset:380
	buffer_load_dword v167, off, s[0:3], 0 offset:388
	v_fmac_f32_e32 v141, v5, v166
	v_add_f32_e32 v2, v2, v191
	v_add_f32_e32 v6, v3, v12
	s_waitcnt vmcnt(34)
	v_mul_f32_e32 v3, v9, v171
	v_fma_f32 v142, v4, v166, -v142
	s_clause 0x5
	buffer_load_dword v166, off, s[0:3], 0 offset:396
	buffer_load_dword v168, off, s[0:3], 0 offset:404
	;; [unrolled: 1-line block ×6, first 2 shown]
	v_mul_f32_e32 v12, v8, v171
	v_add_f32_e32 v7, v2, v145
	s_waitcnt vmcnt(36)
	v_fma_f32 v144, v8, v175, -v3
	ds_read_b128 v[2:5], v1 offset:720
	s_clause 0x1
	buffer_load_dword v191, off, s[0:3], 0 offset:444
	buffer_load_dword v171, off, s[0:3], 0 offset:452
	v_fmac_f32_e32 v12, v9, v175
	v_add_f32_e32 v7, v7, v192
	s_clause 0x3
	buffer_load_dword v175, off, s[0:3], 0 offset:400
	buffer_load_dword v192, off, s[0:3], 0 offset:392
	;; [unrolled: 1-line block ×4, first 2 shown]
	v_add_f32_e32 v6, v6, v10
	v_add_f32_e32 v7, v7, v146
	;; [unrolled: 1-line block ×6, first 2 shown]
	s_waitcnt vmcnt(41) lgkmcnt(0)
	v_mul_f32_e32 v145, v2, v176
	v_mul_f32_e32 v128, v3, v176
	v_add_f32_e32 v11, v6, v130
	ds_read_b128 v[6:9], v1 offset:736
	v_fmac_f32_e32 v145, v3, v174
	v_fma_f32 v146, v2, v174, -v128
	v_add_f32_e32 v2, v10, v148
	s_clause 0x6
	buffer_load_dword v148, off, s[0:3], 0 offset:432
	buffer_load_dword v174, off, s[0:3], 0 offset:424
	;; [unrolled: 1-line block ×7, first 2 shown]
	v_add_f32_e32 v11, v11, v131
	v_add_f32_e32 v2, v2, v132
	s_waitcnt vmcnt(47)
	v_mul_f32_e32 v10, v4, v177
	v_add_f32_e32 v3, v11, v133
	v_add_f32_e32 v2, v2, v134
	v_mul_f32_e32 v11, v5, v177
	v_fmac_f32_e32 v10, v5, v173
	v_add_f32_e32 v3, v3, v135
	v_add_f32_e32 v128, v2, v149
	s_waitcnt vmcnt(46) lgkmcnt(0)
	v_mul_f32_e32 v147, v6, v178
	v_mul_f32_e32 v134, v7, v178
	s_waitcnt vmcnt(45)
	v_mul_f32_e32 v149, v8, v179
	v_add_f32_e32 v3, v3, v140
	v_add_f32_e32 v133, v128, v136
	v_mul_f32_e32 v135, v9, v179
	v_fma_f32 v11, v4, v173, -v11
	ds_read_b128 v[128:131], v1 offset:768
	v_add_f32_e32 v132, v3, v137
	v_add_f32_e32 v133, v133, v138
	ds_read_b128 v[2:5], v1 offset:752
	v_fmac_f32_e32 v147, v7, v172
	v_fma_f32 v172, v6, v172, -v134
	v_add_f32_e32 v132, v132, v139
	v_add_f32_e32 v137, v133, v141
	s_waitcnt vmcnt(38)
	v_fmac_f32_e32 v149, v9, v186
	v_fma_f32 v173, v8, v186, -v135
	v_add_f32_e32 v136, v132, v142
	ds_read_b128 v[6:9], v1 offset:784
	ds_read_b128 v[132:135], v1 offset:800
	v_add_f32_e32 v137, v137, v143
	v_add_f32_e32 v136, v136, v165
	;; [unrolled: 1-line block ×3, first 2 shown]
	s_waitcnt lgkmcnt(3)
	v_mul_f32_e32 v140, v129, v182
	v_add_f32_e32 v136, v136, v144
	v_mul_f32_e32 v178, v128, v182
	v_add_f32_e32 v12, v12, v145
	s_waitcnt lgkmcnt(2)
	v_mul_f32_e32 v138, v3, v180
	v_mul_f32_e32 v165, v2, v180
	v_add_f32_e32 v141, v136, v146
	v_mul_f32_e32 v139, v5, v181
	v_add_f32_e32 v10, v12, v10
	v_fma_f32 v144, v2, v185, -v138
	v_mul_f32_e32 v177, v4, v181
	v_add_f32_e32 v11, v141, v11
	v_fmac_f32_e32 v165, v3, v185
	v_add_f32_e32 v10, v10, v147
	v_fma_f32 v180, v4, v184, -v139
	v_fmac_f32_e32 v177, v5, v184
	v_add_f32_e32 v11, v11, v172
	s_waitcnt vmcnt(37)
	v_mul_f32_e32 v142, v131, v187
	v_add_f32_e32 v10, v10, v149
	v_fma_f32 v181, v128, v183, -v140
	v_mul_f32_e32 v179, v130, v187
	v_fmac_f32_e32 v178, v129, v183
	ds_read_b128 v[2:5], v1 offset:816
	ds_read_b128 v[136:139], v1 offset:832
	s_waitcnt vmcnt(35) lgkmcnt(3)
	v_mul_f32_e32 v12, v6, v150
	v_mul_f32_e32 v145, v7, v150
	s_waitcnt vmcnt(34)
	v_mul_f32_e32 v172, v8, v151
	v_mul_f32_e32 v146, v9, v151
	s_waitcnt vmcnt(30)
	v_fmac_f32_e32 v12, v7, v155
	v_add_f32_e32 v7, v11, v173
	v_fmac_f32_e32 v172, v9, v154
	v_fma_f32 v150, v8, v154, -v146
	v_add_f32_e32 v154, v10, v165
	s_waitcnt vmcnt(29)
	v_fma_f32 v182, v130, v193, -v142
	v_add_f32_e32 v151, v7, v144
	v_fmac_f32_e32 v179, v131, v193
	v_fma_f32 v149, v6, v155, -v145
	v_add_f32_e32 v154, v154, v177
	s_waitcnt lgkmcnt(2)
	v_mul_f32_e32 v155, v132, v152
	v_add_f32_e32 v151, v151, v180
	v_mul_f32_e32 v152, v133, v152
	ds_read_b128 v[128:131], v1 offset:848
	ds_read_b128 v[140:143], v1 offset:864
	v_add_f32_e32 v154, v154, v178
	v_fmac_f32_e32 v155, v133, v153
	v_add_f32_e32 v151, v151, v181
	v_fma_f32 v132, v132, v153, -v152
	s_waitcnt vmcnt(28)
	v_mul_f32_e32 v165, v134, v156
	v_add_f32_e32 v153, v154, v179
	v_mul_f32_e32 v156, v135, v156
	v_add_f32_e32 v151, v151, v182
	s_waitcnt vmcnt(27) lgkmcnt(3)
	v_mul_f32_e32 v173, v2, v157
	v_mul_f32_e32 v157, v3, v157
	v_add_f32_e32 v12, v153, v12
	s_waitcnt vmcnt(21)
	v_fma_f32 v134, v134, v163, -v156
	v_add_f32_e32 v149, v151, v149
	v_fmac_f32_e32 v165, v135, v163
	v_fmac_f32_e32 v173, v3, v162
	v_add_f32_e32 v12, v12, v172
	v_fma_f32 v2, v2, v162, -v157
	v_add_f32_e32 v149, v149, v150
	v_mul_f32_e32 v150, v5, v158
	v_mul_f32_e32 v177, v4, v158
	v_add_f32_e32 v12, v12, v155
	s_waitcnt lgkmcnt(2)
	v_mul_f32_e32 v133, v136, v159
	v_add_f32_e32 v132, v149, v132
	v_fma_f32 v4, v4, v161, -v150
	v_fmac_f32_e32 v177, v5, v161
	v_add_f32_e32 v12, v12, v165
	s_waitcnt vmcnt(20)
	v_mul_f32_e32 v5, v139, v164
	v_add_f32_e32 v3, v132, v134
	v_mul_f32_e32 v132, v137, v159
	v_mul_f32_e32 v152, v138, v164
	v_fmac_f32_e32 v133, v137, v160
	s_waitcnt vmcnt(19) lgkmcnt(1)
	v_mul_f32_e32 v154, v128, v167
	v_add_f32_e32 v2, v3, v2
	v_add_f32_e32 v3, v12, v173
	v_fma_f32 v12, v136, v160, -v132
	ds_read_b128 v[6:9], v1 offset:880
	ds_read_b128 v[144:147], v1 offset:896
	ds_read_b64 v[10:11], v1 offset:912
	s_waitcnt vmcnt(18)
	v_mul_f32_e32 v135, v130, v166
	v_add_f32_e32 v2, v2, v4
	v_add_f32_e32 v3, v3, v177
	v_mul_f32_e32 v4, v129, v167
	s_waitcnt vmcnt(7)
	v_fma_f32 v5, v138, v195, -v5
	v_fmac_f32_e32 v152, v139, v195
	v_add_f32_e32 v2, v2, v12
	v_add_f32_e32 v3, v3, v133
	v_mul_f32_e32 v12, v131, v166
	v_fma_f32 v4, v128, v194, -v4
	v_fmac_f32_e32 v154, v129, v194
	v_add_f32_e32 v2, v2, v5
	v_add_f32_e32 v3, v3, v152
	s_waitcnt lgkmcnt(3)
	v_mul_f32_e32 v5, v141, v168
	v_fma_f32 v12, v130, v192, -v12
	v_mul_f32_e32 v156, v140, v168
	v_add_f32_e32 v2, v2, v4
	v_fmac_f32_e32 v135, v131, v192
	v_add_f32_e32 v3, v3, v154
	v_mul_f32_e32 v4, v143, v169
	v_fma_f32 v5, v140, v175, -v5
	v_add_f32_e32 v2, v2, v12
	v_mul_f32_e32 v151, v142, v169
	v_fmac_f32_e32 v156, v141, v175
	v_add_f32_e32 v3, v3, v135
	s_waitcnt lgkmcnt(2)
	v_mul_f32_e32 v12, v7, v170
	s_waitcnt vmcnt(3)
	v_fma_f32 v4, v142, v196, -v4
	v_add_f32_e32 v2, v2, v5
	v_mul_f32_e32 v153, v6, v170
	v_fmac_f32_e32 v151, v143, v196
	v_add_f32_e32 v3, v3, v156
	v_mul_f32_e32 v5, v9, v189
	v_fma_f32 v6, v6, v176, -v12
	v_add_f32_e32 v2, v2, v4
	v_mul_f32_e32 v163, v8, v189
	v_fmac_f32_e32 v153, v7, v176
	v_add_f32_e32 v3, v3, v151
	s_waitcnt lgkmcnt(1)
	v_mul_f32_e32 v4, v145, v190
	v_fma_f32 v5, v8, v174, -v5
	v_add_f32_e32 v2, v2, v6
	v_mul_f32_e32 v158, v144, v190
	v_fmac_f32_e32 v163, v9, v174
	v_add_f32_e32 v3, v3, v153
	v_mul_f32_e32 v6, v147, v191
	v_fma_f32 v4, v144, v148, -v4
	v_add_f32_e32 v2, v2, v5
	v_mul_f32_e32 v172, v146, v191
	v_fmac_f32_e32 v158, v145, v148
	v_add_f32_e32 v3, v3, v163
	s_waitcnt lgkmcnt(0)
	v_mul_f32_e32 v5, v11, v171
	s_waitcnt vmcnt(1)
	v_fma_f32 v6, v146, v198, -v6
	v_add_f32_e32 v2, v2, v4
	v_mul_f32_e32 v149, v10, v171
	v_fmac_f32_e32 v172, v147, v198
	v_add_f32_e32 v3, v3, v158
	v_fma_f32 v4, v10, v197, -v5
	v_add_f32_e32 v2, v2, v6
	v_fmac_f32_e32 v149, v11, v197
	v_add_f32_e32 v3, v3, v172
	v_add_f32_e32 v2, v2, v4
	;; [unrolled: 1-line block ×3, first 2 shown]
	s_waitcnt vmcnt(0)
	v_sub_f32_e32 v2, v199, v2
	v_sub_f32_e32 v3, v188, v3
	buffer_store_dword v2, off, s[0:3], 0 offset:120
	buffer_store_dword v3, off, s[0:3], 0 offset:124
	v_cmpx_lt_u32_e32 14, v0
	s_cbranch_execz .LBB120_327
; %bb.326:
	s_clause 0x1
	buffer_load_dword v2, off, s[0:3], 0 offset:112
	buffer_load_dword v3, off, s[0:3], 0 offset:116
	buffer_store_dword v1, off, s[0:3], 0 offset:112
	buffer_store_dword v1, off, s[0:3], 0 offset:116
	s_waitcnt vmcnt(0)
	ds_write_b64 v127, v[2:3]
.LBB120_327:
	s_or_b32 exec_lo, exec_lo, s4
	s_waitcnt lgkmcnt(0)
	s_waitcnt_vscnt null, 0x0
	s_barrier
	buffer_gl0_inv
	s_clause 0x24
	buffer_load_dword v2, off, s[0:3], 0 offset:124
	buffer_load_dword v3, off, s[0:3], 0 offset:132
	;; [unrolled: 1-line block ×37, first 2 shown]
	ds_read2_b64 v[6:9], v1 offset0:73 offset1:74
	ds_read2_b64 v[128:131], v1 offset0:75 offset1:76
	s_clause 0x8
	buffer_load_dword v180, off, s[0:3], 0 offset:268
	buffer_load_dword v181, off, s[0:3], 0 offset:276
	;; [unrolled: 1-line block ×9, first 2 shown]
	ds_read2_b64 v[132:135], v1 offset0:77 offset1:78
	ds_read2_b64 v[136:139], v1 offset0:79 offset1:80
	ds_read2_b64 v[140:143], v1 offset0:81 offset1:82
	ds_read2_b64 v[144:147], v1 offset0:83 offset1:84
	buffer_load_dword v187, off, s[0:3], 0 offset:116
	s_mov_b32 s4, exec_lo
	s_waitcnt vmcnt(46) lgkmcnt(5)
	v_mul_f32_e32 v188, v7, v2
	v_mul_f32_e32 v2, v6, v2
	s_waitcnt vmcnt(45)
	v_mul_f32_e32 v189, v8, v3
	v_mul_f32_e32 v3, v9, v3
	s_waitcnt vmcnt(44) lgkmcnt(4)
	v_mul_f32_e32 v190, v128, v10
	v_mul_f32_e32 v10, v129, v10
	s_waitcnt vmcnt(41)
	v_fma_f32 v188, v6, v148, -v188
	v_fmac_f32_e32 v2, v7, v148
	s_waitcnt vmcnt(40)
	v_mul_f32_e32 v148, v130, v149
	v_mul_f32_e32 v6, v131, v149
	v_fmac_f32_e32 v189, v9, v12
	v_fma_f32 v3, v8, v12, -v3
	s_waitcnt vmcnt(35) lgkmcnt(3)
	v_mul_f32_e32 v12, v132, v154
	v_mul_f32_e32 v149, v133, v154
	v_fmac_f32_e32 v190, v129, v11
	v_fma_f32 v10, v128, v11, -v10
	v_fmac_f32_e32 v148, v131, v153
	v_fma_f32 v11, v130, v153, -v6
	s_waitcnt vmcnt(34)
	v_mul_f32_e32 v153, v134, v155
	v_mul_f32_e32 v154, v135, v155
	s_waitcnt vmcnt(33) lgkmcnt(2)
	v_mul_f32_e32 v155, v136, v156
	v_mul_f32_e32 v156, v137, v156
	v_fmac_f32_e32 v12, v133, v152
	v_fma_f32 v149, v132, v152, -v149
	s_waitcnt vmcnt(32)
	v_mul_f32_e32 v152, v138, v157
	v_mul_f32_e32 v132, v139, v157
	ds_read2_b64 v[6:9], v1 offset0:85 offset1:86
	ds_read2_b64 v[128:131], v1 offset0:87 offset1:88
	v_fmac_f32_e32 v153, v135, v151
	v_fma_f32 v151, v134, v151, -v154
	s_waitcnt vmcnt(31) lgkmcnt(3)
	v_mul_f32_e32 v154, v140, v158
	v_mul_f32_e32 v133, v141, v158
	s_waitcnt vmcnt(30)
	v_mul_f32_e32 v157, v142, v159
	v_mul_f32_e32 v134, v143, v159
	v_fmac_f32_e32 v155, v137, v150
	v_fma_f32 v136, v136, v150, -v156
	s_waitcnt vmcnt(26)
	v_fmac_f32_e32 v152, v139, v163
	v_fma_f32 v137, v138, v163, -v132
	s_clause 0x7
	buffer_load_dword v150, off, s[0:3], 0 offset:308
	buffer_load_dword v156, off, s[0:3], 0 offset:316
	;; [unrolled: 1-line block ×8, first 2 shown]
	v_fmac_f32_e32 v154, v141, v162
	v_fma_f32 v138, v140, v162, -v133
	v_fmac_f32_e32 v157, v143, v161
	v_fma_f32 v139, v142, v161, -v134
	s_waitcnt vmcnt(33) lgkmcnt(2)
	v_mul_f32_e32 v140, v144, v164
	v_mul_f32_e32 v141, v145, v164
	s_waitcnt vmcnt(32)
	v_mul_f32_e32 v142, v146, v165
	v_mul_f32_e32 v143, v147, v165
	ds_read2_b64 v[132:135], v1 offset0:89 offset1:90
	buffer_load_dword v161, off, s[0:3], 0 offset:340
	v_fmac_f32_e32 v140, v145, v160
	v_fma_f32 v141, v144, v160, -v141
	s_waitcnt vmcnt(32) lgkmcnt(2)
	v_mul_f32_e32 v144, v6, v166
	v_mul_f32_e32 v145, v7, v166
	s_waitcnt vmcnt(28)
	v_fmac_f32_e32 v142, v147, v170
	v_fma_f32 v143, v146, v170, -v143
	s_waitcnt vmcnt(27)
	v_mul_f32_e32 v146, v8, v171
	v_mul_f32_e32 v147, v9, v171
	v_fmac_f32_e32 v144, v7, v169
	v_fma_f32 v145, v6, v169, -v145
	s_waitcnt vmcnt(26) lgkmcnt(1)
	v_mul_f32_e32 v160, v128, v172
	v_fmac_f32_e32 v146, v9, v168
	v_fma_f32 v147, v8, v168, -v147
	s_clause 0x4
	buffer_load_dword v164, off, s[0:3], 0 offset:348
	buffer_load_dword v165, off, s[0:3], 0 offset:360
	buffer_load_dword v166, off, s[0:3], 0 offset:352
	buffer_load_dword v168, off, s[0:3], 0 offset:344
	buffer_load_dword v169, off, s[0:3], 0 offset:336
	v_mul_f32_e32 v162, v129, v172
	s_waitcnt vmcnt(30)
	v_mul_f32_e32 v171, v131, v173
	v_fmac_f32_e32 v160, v129, v167
	v_add_f32_e32 v2, 0, v2
	v_mul_f32_e32 v170, v130, v173
	v_fma_f32 v162, v128, v167, -v162
	s_waitcnt vmcnt(26)
	v_fma_f32 v167, v130, v177, -v171
	s_waitcnt vmcnt(25) lgkmcnt(0)
	v_mul_f32_e32 v171, v132, v178
	v_mul_f32_e32 v128, v133, v178
	v_add_f32_e32 v2, v2, v189
	ds_read2_b64 v[6:9], v1 offset0:91 offset1:92
	s_clause 0x1
	buffer_load_dword v172, off, s[0:3], 0 offset:356
	buffer_load_dword v173, off, s[0:3], 0 offset:364
	v_fmac_f32_e32 v171, v133, v176
	v_fma_f32 v176, v132, v176, -v128
	v_add_f32_e32 v128, 0, v188
	v_add_f32_e32 v2, v2, v190
	v_fmac_f32_e32 v170, v131, v177
	s_waitcnt vmcnt(26)
	v_mul_f32_e32 v177, v134, v179
	v_mul_f32_e32 v129, v135, v179
	v_add_f32_e32 v3, v128, v3
	v_add_f32_e32 v2, v2, v148
	s_clause 0x4
	buffer_load_dword v178, off, s[0:3], 0 offset:372
	buffer_load_dword v179, off, s[0:3], 0 offset:380
	;; [unrolled: 1-line block ×5, first 2 shown]
	v_add_f32_e32 v3, v3, v10
	s_clause 0x5
	buffer_load_dword v196, off, s[0:3], 0 offset:412
	buffer_load_dword v197, off, s[0:3], 0 offset:420
	;; [unrolled: 1-line block ×6, first 2 shown]
	v_add_f32_e32 v3, v3, v11
	v_add_f32_e32 v2, v2, v12
	s_waitcnt vmcnt(36) lgkmcnt(0)
	v_mul_f32_e32 v202, v6, v180
	v_mul_f32_e32 v128, v7, v180
	v_fmac_f32_e32 v177, v135, v175
	v_add_f32_e32 v3, v3, v149
	s_clause 0x3
	buffer_load_dword v11, off, s[0:3], 0 offset:392
	buffer_load_dword v12, off, s[0:3], 0 offset:384
	;; [unrolled: 1-line block ×4, first 2 shown]
	v_add_f32_e32 v2, v2, v153
	v_fma_f32 v175, v134, v175, -v129
	v_fmac_f32_e32 v202, v7, v174
	v_add_f32_e32 v3, v3, v151
	v_add_f32_e32 v2, v2, v155
	s_clause 0x3
	buffer_load_dword v151, off, s[0:3], 0 offset:424
	buffer_load_dword v153, off, s[0:3], 0 offset:416
	;; [unrolled: 1-line block ×4, first 2 shown]
	v_add_f32_e32 v3, v3, v136
	v_add_f32_e32 v2, v2, v152
	s_clause 0x2
	buffer_load_dword v152, off, s[0:3], 0 offset:448
	buffer_load_dword v200, off, s[0:3], 0 offset:440
	;; [unrolled: 1-line block ×3, first 2 shown]
	ds_read2_b64 v[132:135], v1 offset0:97 offset1:98
	v_add_f32_e32 v3, v3, v137
	v_add_f32_e32 v2, v2, v154
	buffer_load_dword v154, off, s[0:3], 0 offset:112
	v_add_f32_e32 v3, v3, v138
	v_add_f32_e32 v2, v2, v157
	v_fma_f32 v157, v6, v174, -v128
	ds_read2_b64 v[128:131], v1 offset0:93 offset1:94
	v_add_f32_e32 v3, v3, v139
	s_waitcnt vmcnt(47)
	v_mul_f32_e32 v174, v8, v181
	v_add_f32_e32 v2, v2, v140
	v_mul_f32_e32 v6, v9, v181
	v_add_f32_e32 v3, v3, v141
	s_waitcnt vmcnt(40)
	v_fmac_f32_e32 v174, v9, v186
	v_add_f32_e32 v2, v2, v142
	v_fma_f32 v180, v8, v186, -v6
	ds_read2_b64 v[6:9], v1 offset0:95 offset1:96
	v_add_f32_e32 v3, v3, v143
	v_add_f32_e32 v2, v2, v144
	;; [unrolled: 1-line block ×4, first 2 shown]
	s_waitcnt lgkmcnt(1)
	v_mul_f32_e32 v144, v128, v182
	v_add_f32_e32 v3, v3, v147
	v_mul_f32_e32 v136, v129, v182
	v_add_f32_e32 v2, v2, v160
	v_mul_f32_e32 v160, v130, v183
	v_fmac_f32_e32 v144, v129, v185
	v_add_f32_e32 v3, v3, v162
	v_fma_f32 v145, v128, v185, -v136
	ds_read2_b64 v[136:139], v1 offset0:99 offset1:100
	v_add_f32_e32 v2, v2, v170
	s_waitcnt lgkmcnt(1)
	v_mul_f32_e32 v129, v7, v184
	v_add_f32_e32 v3, v3, v167
	v_mul_f32_e32 v162, v6, v184
	v_mul_f32_e32 v128, v131, v183
	v_add_f32_e32 v2, v2, v171
	v_fma_f32 v170, v6, v4, -v129
	v_add_f32_e32 v3, v3, v176
	v_fmac_f32_e32 v162, v7, v4
	v_fma_f32 v146, v130, v5, -v128
	v_add_f32_e32 v7, v2, v177
	v_fmac_f32_e32 v160, v131, v5
	v_add_f32_e32 v6, v3, v175
	ds_read2_b64 v[2:5], v1 offset0:101 offset1:102
	ds_read2_b64 v[128:131], v1 offset0:103 offset1:104
	s_waitcnt vmcnt(38)
	v_mul_f32_e32 v167, v8, v150
	v_mul_f32_e32 v140, v9, v150
	s_waitcnt vmcnt(37)
	v_mul_f32_e32 v150, v132, v156
	v_mul_f32_e32 v141, v133, v156
	;; [unrolled: 3-line block ×3, first 2 shown]
	s_waitcnt vmcnt(35) lgkmcnt(2)
	v_mul_f32_e32 v158, v136, v159
	s_waitcnt vmcnt(32)
	v_fmac_f32_e32 v150, v133, v192
	v_add_f32_e32 v133, v6, v157
	v_fma_f32 v157, v132, v192, -v141
	v_add_f32_e32 v132, v7, v202
	v_fmac_f32_e32 v158, v137, v163
	s_waitcnt vmcnt(31)
	v_fma_f32 v156, v8, v193, -v140
	v_add_f32_e32 v133, v133, v180
	v_fmac_f32_e32 v167, v9, v193
	v_add_f32_e32 v132, v132, v174
	v_fmac_f32_e32 v171, v135, v191
	s_waitcnt vmcnt(30)
	v_mul_f32_e32 v174, v138, v161
	v_add_f32_e32 v133, v133, v145
	v_mul_f32_e32 v145, v137, v159
	v_mul_f32_e32 v159, v139, v161
	v_fma_f32 v161, v134, v191, -v147
	ds_read2_b64 v[6:9], v1 offset0:105 offset1:106
	ds_read2_b64 v[140:143], v1 offset0:107 offset1:108
	v_add_f32_e32 v175, v133, v146
	v_fma_f32 v163, v136, v163, -v145
	v_add_f32_e32 v136, v132, v144
	ds_read2_b64 v[132:135], v1 offset0:109 offset1:110
	ds_read2_b64 v[144:147], v1 offset0:111 offset1:112
	v_add_f32_e32 v160, v136, v160
	s_waitcnt vmcnt(25)
	v_fmac_f32_e32 v174, v139, v169
	v_fma_f32 v159, v138, v169, -v159
	v_add_f32_e32 v169, v175, v170
	ds_read2_b64 v[136:139], v1 offset0:113 offset1:114
	v_add_f32_e32 v160, v160, v162
	s_waitcnt lgkmcnt(6)
	v_mul_f32_e32 v1, v2, v164
	v_mul_f32_e32 v164, v3, v164
	v_add_f32_e32 v156, v169, v156
	v_add_f32_e32 v160, v160, v167
	v_fmac_f32_e32 v1, v3, v168
	s_waitcnt vmcnt(24)
	v_mul_f32_e32 v170, v5, v172
	v_add_f32_e32 v156, v156, v157
	v_fma_f32 v2, v2, v168, -v164
	v_add_f32_e32 v150, v160, v150
	v_mul_f32_e32 v162, v4, v172
	v_fma_f32 v4, v4, v166, -v170
	v_add_f32_e32 v156, v156, v161
	s_waitcnt vmcnt(23) lgkmcnt(5)
	v_mul_f32_e32 v169, v128, v173
	v_add_f32_e32 v150, v150, v171
	v_fmac_f32_e32 v162, v5, v166
	s_waitcnt vmcnt(22)
	v_mul_f32_e32 v5, v131, v178
	v_add_f32_e32 v156, v156, v163
	v_mul_f32_e32 v167, v130, v178
	v_add_f32_e32 v150, v150, v158
	v_fmac_f32_e32 v169, v129, v165
	s_waitcnt vmcnt(21) lgkmcnt(4)
	v_mul_f32_e32 v172, v6, v179
	v_add_f32_e32 v156, v156, v159
	v_mul_f32_e32 v159, v129, v173
	v_add_f32_e32 v150, v150, v174
	s_waitcnt vmcnt(20)
	v_mul_f32_e32 v157, v8, v194
	s_waitcnt vmcnt(19) lgkmcnt(3)
	v_mul_f32_e32 v160, v140, v188
	v_add_f32_e32 v2, v156, v2
	v_fma_f32 v128, v128, v165, -v159
	v_add_f32_e32 v1, v150, v1
	s_waitcnt vmcnt(10)
	v_fmac_f32_e32 v157, v9, v12
	s_waitcnt vmcnt(9)
	v_fmac_f32_e32 v172, v7, v148
	v_add_f32_e32 v2, v2, v4
	v_mul_f32_e32 v4, v7, v179
	v_add_f32_e32 v1, v1, v162
	s_waitcnt vmcnt(8)
	v_fma_f32 v5, v130, v149, -v5
	v_fmac_f32_e32 v167, v131, v149
	v_add_f32_e32 v2, v2, v128
	v_mul_f32_e32 v128, v9, v194
	v_add_f32_e32 v1, v1, v169
	v_fma_f32 v4, v6, v148, -v4
	v_mul_f32_e32 v175, v142, v195
	v_add_f32_e32 v2, v2, v5
	v_mul_f32_e32 v5, v141, v188
	v_add_f32_e32 v1, v1, v167
	v_fma_f32 v6, v8, v12, -v128
	v_fmac_f32_e32 v160, v141, v11
	v_add_f32_e32 v2, v2, v4
	v_mul_f32_e32 v4, v143, v195
	v_add_f32_e32 v1, v1, v172
	v_fma_f32 v5, v140, v11, -v5
	s_waitcnt lgkmcnt(2)
	v_mul_f32_e32 v161, v132, v196
	v_add_f32_e32 v2, v2, v6
	v_mul_f32_e32 v6, v133, v196
	v_add_f32_e32 v1, v1, v157
	s_waitcnt vmcnt(4)
	v_fma_f32 v4, v142, v199, -v4
	v_fmac_f32_e32 v175, v143, v199
	v_add_f32_e32 v2, v2, v5
	v_mul_f32_e32 v5, v135, v197
	v_add_f32_e32 v1, v1, v160
	v_fma_f32 v6, v132, v155, -v6
	v_mul_f32_e32 v171, v134, v197
	v_add_f32_e32 v2, v2, v4
	v_fmac_f32_e32 v161, v133, v155
	v_add_f32_e32 v1, v1, v175
	s_waitcnt lgkmcnt(1)
	v_mul_f32_e32 v4, v145, v198
	v_fma_f32 v5, v134, v153, -v5
	v_add_f32_e32 v2, v2, v6
	v_mul_f32_e32 v176, v144, v198
	v_fmac_f32_e32 v171, v135, v153
	v_add_f32_e32 v1, v1, v161
	v_mul_f32_e32 v6, v147, v189
	v_fma_f32 v4, v144, v151, -v4
	v_add_f32_e32 v2, v2, v5
	v_mul_f32_e32 v163, v146, v189
	v_fmac_f32_e32 v176, v145, v151
	v_add_f32_e32 v1, v1, v171
	s_waitcnt lgkmcnt(0)
	v_mul_f32_e32 v5, v137, v10
	s_waitcnt vmcnt(1)
	v_fma_f32 v6, v146, v201, -v6
	v_add_f32_e32 v2, v2, v4
	v_mul_f32_e32 v158, v136, v10
	v_fmac_f32_e32 v163, v147, v201
	v_add_f32_e32 v1, v1, v176
	v_mul_f32_e32 v4, v139, v190
	v_fma_f32 v5, v136, v200, -v5
	v_add_f32_e32 v2, v2, v6
	v_mul_f32_e32 v3, v138, v190
	v_fmac_f32_e32 v158, v137, v200
	v_add_f32_e32 v1, v1, v163
	v_fma_f32 v4, v138, v152, -v4
	v_add_f32_e32 v2, v2, v5
	v_fmac_f32_e32 v3, v139, v152
	v_add_f32_e32 v1, v1, v158
	v_add_f32_e32 v2, v2, v4
	;; [unrolled: 1-line block ×3, first 2 shown]
	s_waitcnt vmcnt(0)
	v_sub_f32_e32 v2, v154, v2
	v_sub_f32_e32 v1, v187, v1
	buffer_store_dword v2, off, s[0:3], 0 offset:112
	buffer_store_dword v1, off, s[0:3], 0 offset:116
	v_cmpx_lt_u32_e32 13, v0
	s_cbranch_execz .LBB120_329
; %bb.328:
	s_clause 0x1
	buffer_load_dword v1, off, s[0:3], 0 offset:104
	buffer_load_dword v2, off, s[0:3], 0 offset:108
	v_mov_b32_e32 v3, 0
	buffer_store_dword v3, off, s[0:3], 0 offset:104
	buffer_store_dword v3, off, s[0:3], 0 offset:108
	s_waitcnt vmcnt(0)
	ds_write_b64 v127, v[1:2]
.LBB120_329:
	s_or_b32 exec_lo, exec_lo, s4
	s_waitcnt lgkmcnt(0)
	s_waitcnt_vscnt null, 0x0
	s_barrier
	buffer_gl0_inv
	s_clause 0x25
	buffer_load_dword v2, off, s[0:3], 0 offset:116
	buffer_load_dword v1, off, s[0:3], 0 offset:124
	;; [unrolled: 1-line block ×38, first 2 shown]
	v_mov_b32_e32 v128, 0
	ds_read_b128 v[8:11], v128 offset:576
	ds_read_b128 v[129:132], v128 offset:592
	s_clause 0x7
	buffer_load_dword v175, off, s[0:3], 0 offset:268
	buffer_load_dword v176, off, s[0:3], 0 offset:276
	;; [unrolled: 1-line block ×8, first 2 shown]
	ds_read_b128 v[133:136], v128 offset:608
	s_clause 0x9
	buffer_load_dword v7, off, s[0:3], 0 offset:300
	buffer_load_dword v3, off, s[0:3], 0 offset:308
	;; [unrolled: 1-line block ×10, first 2 shown]
	ds_read_b128 v[137:140], v128 offset:624
	s_mov_b32 s4, exec_lo
	s_waitcnt vmcnt(55) lgkmcnt(3)
	v_mul_f32_e32 v189, v9, v2
	v_mul_f32_e32 v2, v8, v2
	s_waitcnt vmcnt(54)
	v_mul_f32_e32 v190, v10, v1
	v_mul_f32_e32 v1, v11, v1
	s_waitcnt vmcnt(51)
	v_fma_f32 v189, v8, v142, -v189
	v_fmac_f32_e32 v2, v9, v142
	v_fmac_f32_e32 v190, v11, v141
	v_fma_f32 v1, v10, v141, -v1
	ds_read_b128 v[8:11], v128 offset:640
	s_waitcnt vmcnt(50) lgkmcnt(3)
	v_mul_f32_e32 v142, v129, v143
	v_mul_f32_e32 v143, v130, v143
	s_waitcnt vmcnt(49)
	v_mul_f32_e32 v141, v131, v144
	v_mul_f32_e32 v144, v132, v144
	v_add_f32_e32 v2, 0, v2
	v_fmac_f32_e32 v142, v130, v12
	v_fma_f32 v12, v129, v12, -v143
	s_waitcnt vmcnt(48) lgkmcnt(2)
	v_mul_f32_e32 v143, v133, v145
	v_mul_f32_e32 v145, v134, v145
	s_waitcnt vmcnt(44)
	v_fmac_f32_e32 v141, v132, v149
	v_fma_f32 v144, v131, v149, -v144
	ds_read_b128 v[129:132], v128 offset:656
	s_waitcnt vmcnt(43)
	v_mul_f32_e32 v149, v135, v150
	v_mul_f32_e32 v150, v136, v150
	v_fmac_f32_e32 v143, v134, v148
	v_fma_f32 v145, v133, v148, -v145
	s_waitcnt vmcnt(42) lgkmcnt(2)
	v_mul_f32_e32 v148, v137, v151
	v_mul_f32_e32 v151, v138, v151
	v_fmac_f32_e32 v149, v136, v147
	v_fma_f32 v147, v135, v147, -v150
	ds_read_b128 v[133:136], v128 offset:672
	s_waitcnt vmcnt(41)
	v_mul_f32_e32 v150, v139, v152
	v_mul_f32_e32 v152, v140, v152
	v_fmac_f32_e32 v148, v138, v146
	v_fma_f32 v146, v137, v146, -v151
	s_waitcnt vmcnt(40) lgkmcnt(2)
	v_mul_f32_e32 v151, v8, v153
	s_waitcnt vmcnt(36)
	v_fmac_f32_e32 v150, v140, v157
	v_fma_f32 v152, v139, v157, -v152
	ds_read_b128 v[137:140], v128 offset:688
	v_mul_f32_e32 v153, v9, v153
	s_waitcnt vmcnt(35)
	v_mul_f32_e32 v157, v10, v158
	v_mul_f32_e32 v158, v11, v158
	v_fmac_f32_e32 v151, v9, v156
	v_add_f32_e32 v2, v2, v190
	v_fma_f32 v153, v8, v156, -v153
	v_fmac_f32_e32 v157, v11, v155
	v_fma_f32 v155, v10, v155, -v158
	ds_read_b128 v[8:11], v128 offset:704
	s_waitcnt vmcnt(34) lgkmcnt(3)
	v_mul_f32_e32 v156, v129, v159
	v_mul_f32_e32 v159, v130, v159
	s_waitcnt vmcnt(33)
	v_mul_f32_e32 v158, v131, v160
	v_mul_f32_e32 v160, v132, v160
	v_add_f32_e32 v2, v2, v142
	v_fmac_f32_e32 v156, v130, v154
	v_fma_f32 v154, v129, v154, -v159
	s_waitcnt vmcnt(32) lgkmcnt(2)
	v_mul_f32_e32 v159, v133, v161
	v_mul_f32_e32 v129, v134, v161
	s_waitcnt vmcnt(27)
	v_mul_f32_e32 v161, v135, v166
	v_mul_f32_e32 v130, v136, v166
	v_fmac_f32_e32 v158, v132, v165
	v_fma_f32 v160, v131, v165, -v160
	s_waitcnt vmcnt(26) lgkmcnt(1)
	v_mul_f32_e32 v165, v137, v167
	v_mul_f32_e32 v131, v138, v167
	s_waitcnt vmcnt(25)
	v_mul_f32_e32 v166, v139, v168
	v_mul_f32_e32 v132, v140, v168
	v_fmac_f32_e32 v159, v134, v164
	v_fma_f32 v133, v133, v164, -v129
	v_fmac_f32_e32 v161, v136, v163
	v_fma_f32 v134, v135, v163, -v130
	s_clause 0x6
	buffer_load_dword v163, off, s[0:3], 0 offset:340
	buffer_load_dword v164, off, s[0:3], 0 offset:352
	;; [unrolled: 1-line block ×7, first 2 shown]
	v_add_f32_e32 v136, 0, v189
	v_fmac_f32_e32 v165, v138, v162
	v_fma_f32 v137, v137, v162, -v131
	s_waitcnt vmcnt(27) lgkmcnt(0)
	v_mul_f32_e32 v162, v8, v172
	v_mul_f32_e32 v135, v9, v172
	v_add_f32_e32 v1, v136, v1
	v_fmac_f32_e32 v166, v140, v171
	v_fma_f32 v138, v139, v171, -v132
	buffer_load_dword v171, off, s[0:3], 0 offset:364
	s_waitcnt vmcnt(27)
	v_mul_f32_e32 v172, v10, v173
	v_fmac_f32_e32 v162, v9, v170
	v_fma_f32 v170, v8, v170, -v135
	v_mul_f32_e32 v8, v11, v173
	v_add_f32_e32 v1, v1, v12
	ds_read_b128 v[129:132], v128 offset:720
	s_clause 0x2
	buffer_load_dword v189, off, s[0:3], 0 offset:372
	buffer_load_dword v194, off, s[0:3], 0 offset:380
	;; [unrolled: 1-line block ×3, first 2 shown]
	v_fmac_f32_e32 v172, v11, v169
	v_fma_f32 v12, v10, v169, -v8
	s_clause 0x1
	buffer_load_dword v169, off, s[0:3], 0 offset:396
	buffer_load_dword v190, off, s[0:3], 0 offset:404
	v_add_f32_e32 v1, v1, v144
	s_clause 0x9
	buffer_load_dword v195, off, s[0:3], 0 offset:412
	buffer_load_dword v196, off, s[0:3], 0 offset:420
	;; [unrolled: 1-line block ×10, first 2 shown]
	v_add_f32_e32 v2, v2, v141
	v_add_f32_e32 v1, v1, v145
	;; [unrolled: 1-line block ×6, first 2 shown]
	s_waitcnt vmcnt(41) lgkmcnt(0)
	v_mul_f32_e32 v141, v129, v174
	v_mul_f32_e32 v8, v130, v174
	s_waitcnt vmcnt(40)
	v_mul_f32_e32 v142, v131, v175
	v_add_f32_e32 v2, v2, v148
	v_add_f32_e32 v1, v1, v152
	s_clause 0x3
	buffer_load_dword v149, off, s[0:3], 0 offset:416
	buffer_load_dword v152, off, s[0:3], 0 offset:408
	;; [unrolled: 1-line block ×4, first 2 shown]
	v_fmac_f32_e32 v141, v130, v6
	v_fma_f32 v6, v129, v6, -v8
	v_add_f32_e32 v2, v2, v150
	v_add_f32_e32 v1, v1, v153
	v_mul_f32_e32 v129, v132, v175
	s_waitcnt vmcnt(37)
	v_fmac_f32_e32 v142, v132, v180
	v_add_f32_e32 v2, v2, v151
	v_add_f32_e32 v1, v1, v155
	s_clause 0x3
	buffer_load_dword v150, off, s[0:3], 0 offset:448
	buffer_load_dword v151, off, s[0:3], 0 offset:440
	;; [unrolled: 1-line block ×4, first 2 shown]
	ds_read_b128 v[8:11], v128 offset:736
	v_fma_f32 v143, v131, v180, -v129
	v_add_f32_e32 v2, v2, v157
	buffer_load_dword v157, off, s[0:3], 0 offset:104
	v_add_f32_e32 v1, v1, v154
	ds_read_b128 v[129:132], v128 offset:752
	v_add_f32_e32 v2, v2, v156
	v_add_f32_e32 v1, v1, v160
	;; [unrolled: 1-line block ×6, first 2 shown]
	ds_read_b128 v[133:136], v128 offset:768
	s_waitcnt lgkmcnt(2)
	v_mul_f32_e32 v145, v8, v176
	v_add_f32_e32 v2, v2, v161
	v_mul_f32_e32 v147, v10, v177
	v_add_f32_e32 v1, v1, v137
	v_mul_f32_e32 v137, v9, v176
	v_fmac_f32_e32 v145, v9, v179
	v_add_f32_e32 v2, v2, v165
	s_waitcnt lgkmcnt(1)
	v_mul_f32_e32 v9, v130, v178
	v_add_f32_e32 v1, v1, v138
	v_fma_f32 v146, v8, v179, -v137
	v_mul_f32_e32 v8, v11, v177
	v_add_f32_e32 v2, v2, v166
	ds_read_b128 v[137:140], v128 offset:784
	v_add_f32_e32 v1, v1, v170
	v_mul_f32_e32 v154, v129, v178
	v_fma_f32 v148, v10, v5, -v8
	v_add_f32_e32 v2, v2, v162
	v_fmac_f32_e32 v147, v11, v5
	v_add_f32_e32 v1, v1, v12
	s_waitcnt vmcnt(41)
	v_mul_f32_e32 v144, v132, v7
	v_fma_f32 v158, v129, v4, -v9
	v_add_f32_e32 v2, v2, v172
	v_mul_f32_e32 v12, v131, v7
	v_add_f32_e32 v1, v1, v6
	v_fmac_f32_e32 v154, v130, v4
	s_waitcnt vmcnt(40) lgkmcnt(1)
	v_mul_f32_e32 v156, v133, v3
	v_add_f32_e32 v2, v2, v141
	v_mul_f32_e32 v3, v134, v3
	v_add_f32_e32 v1, v1, v143
	s_waitcnt vmcnt(34)
	v_fma_f32 v159, v131, v186, -v144
	ds_read_b128 v[4:7], v128 offset:800
	ds_read_b128 v[8:11], v128 offset:816
	v_add_f32_e32 v2, v2, v142
	v_fmac_f32_e32 v12, v132, v186
	v_add_f32_e32 v1, v1, v146
	v_fma_f32 v3, v133, v185, -v3
	v_mul_f32_e32 v133, v136, v181
	v_add_f32_e32 v2, v2, v145
	v_fmac_f32_e32 v156, v134, v185
	v_add_f32_e32 v1, v1, v148
	v_mul_f32_e32 v160, v135, v181
	s_waitcnt lgkmcnt(2)
	v_mul_f32_e32 v134, v138, v182
	v_add_f32_e32 v2, v2, v147
	v_fma_f32 v166, v135, v184, -v133
	v_add_f32_e32 v158, v1, v158
	v_mul_f32_e32 v161, v137, v182
	v_fmac_f32_e32 v160, v136, v184
	v_add_f32_e32 v154, v2, v154
	s_waitcnt vmcnt(33)
	v_mul_f32_e32 v165, v140, v187
	v_add_f32_e32 v158, v158, v159
	v_fma_f32 v170, v137, v183, -v134
	v_mul_f32_e32 v162, v139, v187
	v_add_f32_e32 v12, v154, v12
	v_fmac_f32_e32 v161, v138, v183
	v_add_f32_e32 v3, v158, v3
	ds_read_b128 v[129:132], v128 offset:832
	ds_read_b128 v[141:144], v128 offset:848
	;; [unrolled: 1-line block ×4, first 2 shown]
	v_add_f32_e32 v12, v12, v156
	v_add_f32_e32 v3, v3, v166
	;; [unrolled: 1-line block ×5, first 2 shown]
	s_waitcnt vmcnt(31) lgkmcnt(5)
	v_mul_f32_e32 v159, v4, v163
	v_mul_f32_e32 v163, v5, v163
	s_waitcnt vmcnt(27)
	v_fma_f32 v165, v139, v191, -v165
	v_fmac_f32_e32 v162, v140, v191
	s_waitcnt vmcnt(26)
	v_mul_f32_e32 v172, v7, v192
	v_fma_f32 v4, v4, v168, -v163
	v_mul_f32_e32 v154, v6, v192
	v_add_f32_e32 v3, v3, v165
	v_fmac_f32_e32 v159, v5, v168
	v_add_f32_e32 v12, v12, v162
	s_waitcnt vmcnt(25) lgkmcnt(4)
	v_mul_f32_e32 v166, v9, v193
	v_fma_f32 v6, v6, v167, -v172
	v_add_f32_e32 v3, v3, v4
	v_mul_f32_e32 v158, v8, v193
	v_fmac_f32_e32 v154, v7, v167
	v_add_f32_e32 v4, v12, v159
	s_waitcnt vmcnt(24)
	v_mul_f32_e32 v162, v11, v171
	v_fma_f32 v8, v8, v164, -v166
	v_add_f32_e32 v3, v3, v6
	v_mul_f32_e32 v156, v10, v171
	v_fmac_f32_e32 v158, v9, v164
	v_add_f32_e32 v4, v4, v154
	s_waitcnt vmcnt(23) lgkmcnt(3)
	v_mul_f32_e32 v6, v130, v189
	v_add_f32_e32 v3, v3, v8
	v_mul_f32_e32 v5, v129, v189
	s_waitcnt vmcnt(22)
	v_mul_f32_e32 v8, v132, v194
	v_add_f32_e32 v4, v4, v158
	s_waitcnt vmcnt(10)
	v_fma_f32 v6, v129, v203, -v6
	s_waitcnt vmcnt(9)
	v_fma_f32 v9, v10, v204, -v162
	v_fmac_f32_e32 v156, v11, v204
	v_mul_f32_e32 v163, v131, v194
	v_fmac_f32_e32 v5, v130, v203
	v_fma_f32 v8, v131, v202, -v8
	v_add_f32_e32 v3, v3, v9
	v_add_f32_e32 v4, v4, v156
	s_waitcnt lgkmcnt(2)
	v_mul_f32_e32 v9, v142, v173
	v_mul_f32_e32 v160, v141, v173
	v_fmac_f32_e32 v163, v132, v202
	v_add_f32_e32 v3, v3, v6
	v_add_f32_e32 v4, v4, v5
	v_mul_f32_e32 v5, v144, v169
	v_fma_f32 v6, v141, v201, -v9
	v_mul_f32_e32 v7, v143, v169
	v_add_f32_e32 v3, v3, v8
	v_fmac_f32_e32 v160, v142, v201
	v_add_f32_e32 v4, v4, v163
	s_waitcnt lgkmcnt(1)
	v_mul_f32_e32 v8, v134, v190
	s_waitcnt vmcnt(5)
	v_fma_f32 v5, v143, v206, -v5
	v_add_f32_e32 v3, v3, v6
	ds_read_b128 v[137:140], v128 offset:896
	ds_read_b64 v[1:2], v128 offset:912
	v_mul_f32_e32 v167, v133, v190
	v_fmac_f32_e32 v7, v144, v206
	v_add_f32_e32 v4, v4, v160
	v_mul_f32_e32 v6, v136, v195
	v_fma_f32 v8, v133, v205, -v8
	v_add_f32_e32 v3, v3, v5
	v_mul_f32_e32 v161, v135, v195
	v_fmac_f32_e32 v167, v134, v205
	v_add_f32_e32 v4, v4, v7
	s_waitcnt lgkmcnt(2)
	v_mul_f32_e32 v5, v146, v196
	v_fma_f32 v6, v135, v152, -v6
	v_add_f32_e32 v3, v3, v8
	v_mul_f32_e32 v168, v145, v196
	v_fmac_f32_e32 v161, v136, v152
	v_add_f32_e32 v4, v4, v167
	v_mul_f32_e32 v7, v148, v197
	v_fma_f32 v5, v145, v149, -v5
	v_add_f32_e32 v3, v3, v6
	v_mul_f32_e32 v170, v147, v197
	v_fmac_f32_e32 v168, v146, v149
	v_add_f32_e32 v4, v4, v161
	s_waitcnt lgkmcnt(1)
	v_mul_f32_e32 v6, v138, v198
	s_waitcnt vmcnt(1)
	v_fma_f32 v7, v147, v155, -v7
	v_add_f32_e32 v3, v3, v5
	v_mul_f32_e32 v165, v137, v198
	v_fmac_f32_e32 v170, v148, v155
	v_add_f32_e32 v4, v4, v168
	v_mul_f32_e32 v5, v140, v199
	v_fma_f32 v6, v137, v153, -v6
	v_add_f32_e32 v3, v3, v7
	v_mul_f32_e32 v171, v139, v199
	v_fmac_f32_e32 v165, v138, v153
	v_add_f32_e32 v4, v4, v170
	s_waitcnt lgkmcnt(0)
	v_mul_f32_e32 v12, v1, v200
	v_mul_f32_e32 v7, v2, v200
	v_fma_f32 v5, v139, v151, -v5
	v_add_f32_e32 v3, v3, v6
	v_fmac_f32_e32 v171, v140, v151
	v_add_f32_e32 v4, v4, v165
	v_fmac_f32_e32 v12, v2, v150
	v_fma_f32 v1, v1, v150, -v7
	v_add_f32_e32 v2, v3, v5
	v_add_f32_e32 v3, v4, v171
	;; [unrolled: 1-line block ×4, first 2 shown]
	s_waitcnt vmcnt(0)
	v_sub_f32_e32 v1, v157, v1
	v_sub_f32_e32 v2, v188, v2
	buffer_store_dword v1, off, s[0:3], 0 offset:104
	buffer_store_dword v2, off, s[0:3], 0 offset:108
	v_cmpx_lt_u32_e32 12, v0
	s_cbranch_execz .LBB120_331
; %bb.330:
	s_clause 0x1
	buffer_load_dword v1, off, s[0:3], 0 offset:96
	buffer_load_dword v2, off, s[0:3], 0 offset:100
	buffer_store_dword v128, off, s[0:3], 0 offset:96
	buffer_store_dword v128, off, s[0:3], 0 offset:100
	s_waitcnt vmcnt(0)
	ds_write_b64 v127, v[1:2]
.LBB120_331:
	s_or_b32 exec_lo, exec_lo, s4
	s_waitcnt lgkmcnt(0)
	s_waitcnt_vscnt null, 0x0
	s_barrier
	buffer_gl0_inv
	s_clause 0x2b
	buffer_load_dword v149, off, s[0:3], 0 offset:108
	buffer_load_dword v150, off, s[0:3], 0 offset:116
	;; [unrolled: 1-line block ×44, first 2 shown]
	ds_read2_b64 v[9:12], v128 offset0:71 offset1:72
	s_clause 0x1
	buffer_load_dword v177, off, s[0:3], 0 offset:276
	buffer_load_dword v171, off, s[0:3], 0 offset:284
	ds_read2_b64 v[5:8], v128 offset0:73 offset1:74
	ds_read2_b64 v[1:4], v128 offset0:75 offset1:76
	s_clause 0x7
	buffer_load_dword v172, off, s[0:3], 0 offset:292
	buffer_load_dword v161, off, s[0:3], 0 offset:300
	;; [unrolled: 1-line block ×8, first 2 shown]
	ds_read2_b64 v[178:181], v128 offset0:77 offset1:78
	buffer_load_dword v189, off, s[0:3], 0 offset:100
	s_mov_b32 s4, exec_lo
	s_waitcnt vmcnt(54) lgkmcnt(3)
	v_mul_f32_e32 v187, v9, v149
	s_waitcnt vmcnt(53)
	v_mul_f32_e32 v188, v11, v150
	v_mul_f32_e32 v149, v10, v149
	;; [unrolled: 1-line block ×3, first 2 shown]
	s_waitcnt vmcnt(50)
	v_fmac_f32_e32 v187, v10, v135
	v_fmac_f32_e32 v188, v12, v134
	v_fma_f32 v135, v9, v135, -v149
	v_fma_f32 v134, v11, v134, -v150
	ds_read2_b64 v[9:12], v128 offset0:79 offset1:80
	s_waitcnt vmcnt(49) lgkmcnt(3)
	v_mul_f32_e32 v149, v5, v132
	v_mul_f32_e32 v132, v6, v132
	s_waitcnt vmcnt(48)
	v_mul_f32_e32 v150, v7, v131
	v_mul_f32_e32 v131, v8, v131
	s_waitcnt vmcnt(47) lgkmcnt(2)
	v_mul_f32_e32 v190, v1, v130
	v_fmac_f32_e32 v149, v6, v129
	v_fma_f32 v191, v5, v129, -v132
	s_waitcnt vmcnt(46)
	v_mul_f32_e32 v192, v3, v133
	v_mul_f32_e32 v129, v2, v130
	;; [unrolled: 1-line block ×3, first 2 shown]
	s_waitcnt vmcnt(42)
	v_fmac_f32_e32 v150, v8, v141
	v_fma_f32 v133, v7, v141, -v131
	ds_read2_b64 v[5:8], v128 offset0:81 offset1:82
	v_fmac_f32_e32 v190, v2, v140
	v_fmac_f32_e32 v192, v4, v138
	v_fma_f32 v140, v1, v140, -v129
	v_fma_f32 v138, v3, v138, -v130
	ds_read2_b64 v[1:4], v128 offset0:83 offset1:84
	s_waitcnt vmcnt(41) lgkmcnt(3)
	v_mul_f32_e32 v141, v178, v139
	v_mul_f32_e32 v129, v179, v139
	s_waitcnt vmcnt(40)
	v_mul_f32_e32 v139, v180, v137
	v_mul_f32_e32 v130, v181, v137
	s_waitcnt vmcnt(39) lgkmcnt(2)
	v_mul_f32_e32 v137, v9, v142
	v_fmac_f32_e32 v141, v179, v136
	v_fma_f32 v136, v178, v136, -v129
	s_waitcnt vmcnt(34)
	v_fmac_f32_e32 v139, v181, v151
	v_fma_f32 v151, v180, v151, -v130
	ds_read2_b64 v[129:132], v128 offset0:85 offset1:86
	v_mul_f32_e32 v178, v11, v143
	v_mul_f32_e32 v143, v12, v143
	;; [unrolled: 1-line block ×3, first 2 shown]
	v_fmac_f32_e32 v137, v10, v148
	s_waitcnt vmcnt(32) lgkmcnt(2)
	v_mul_f32_e32 v179, v7, v145
	v_fmac_f32_e32 v178, v12, v146
	v_fma_f32 v143, v11, v146, -v143
	v_mul_f32_e32 v146, v5, v147
	v_mul_f32_e32 v147, v6, v147
	;; [unrolled: 1-line block ×3, first 2 shown]
	v_fma_f32 v142, v9, v148, -v142
	ds_read2_b64 v[9:12], v128 offset0:87 offset1:88
	v_fmac_f32_e32 v146, v6, v144
	v_fma_f32 v144, v5, v144, -v147
	s_waitcnt vmcnt(31) lgkmcnt(2)
	v_mul_f32_e32 v147, v1, v152
	v_mul_f32_e32 v5, v2, v152
	buffer_load_dword v148, off, s[0:3], 0 offset:324
	s_waitcnt vmcnt(28)
	v_fmac_f32_e32 v179, v8, v165
	v_fma_f32 v145, v7, v165, -v145
	s_clause 0x3
	buffer_load_dword v152, off, s[0:3], 0 offset:344
	buffer_load_dword v165, off, s[0:3], 0 offset:336
	;; [unrolled: 1-line block ×4, first 2 shown]
	s_waitcnt vmcnt(31)
	v_mul_f32_e32 v193, v3, v164
	v_mul_f32_e32 v6, v4, v164
	v_fmac_f32_e32 v147, v2, v159
	v_fma_f32 v159, v1, v159, -v5
	s_waitcnt vmcnt(30) lgkmcnt(1)
	v_mul_f32_e32 v164, v129, v156
	s_waitcnt vmcnt(29)
	v_mul_f32_e32 v194, v131, v157
	v_mul_f32_e32 v1, v130, v156
	v_mul_f32_e32 v2, v132, v157
	s_clause 0x2
	buffer_load_dword v156, off, s[0:3], 0 offset:332
	buffer_load_dword v157, off, s[0:3], 0 offset:340
	;; [unrolled: 1-line block ×3, first 2 shown]
	v_fmac_f32_e32 v193, v4, v155
	v_fma_f32 v155, v3, v155, -v6
	v_fmac_f32_e32 v164, v130, v153
	v_fma_f32 v129, v129, v153, -v1
	s_waitcnt vmcnt(28)
	v_fma_f32 v130, v131, v176, -v2
	ds_read2_b64 v[1:4], v128 offset0:89 offset1:90
	s_waitcnt vmcnt(27) lgkmcnt(1)
	v_mul_f32_e32 v5, v10, v174
	v_add_f32_e32 v6, 0, v187
	v_fmac_f32_e32 v194, v132, v176
	v_add_f32_e32 v7, 0, v135
	v_mul_f32_e32 v131, v9, v174
	v_fma_f32 v132, v9, v170, -v5
	v_add_f32_e32 v5, v6, v188
	s_waitcnt vmcnt(26)
	v_mul_f32_e32 v153, v11, v173
	v_add_f32_e32 v6, v7, v134
	v_mul_f32_e32 v8, v12, v173
	v_fmac_f32_e32 v131, v10, v170
	v_add_f32_e32 v5, v5, v149
	s_clause 0x3
	buffer_load_dword v170, off, s[0:3], 0 offset:356
	buffer_load_dword v173, off, s[0:3], 0 offset:364
	;; [unrolled: 1-line block ×4, first 2 shown]
	v_add_f32_e32 v6, v6, v191
	v_fmac_f32_e32 v153, v12, v168
	v_fma_f32 v134, v11, v168, -v8
	v_add_f32_e32 v5, v5, v150
	s_clause 0x3
	buffer_load_dword v149, off, s[0:3], 0 offset:388
	buffer_load_dword v168, off, s[0:3], 0 offset:396
	;; [unrolled: 1-line block ×4, first 2 shown]
	v_add_f32_e32 v6, v6, v133
	s_waitcnt vmcnt(33) lgkmcnt(0)
	v_mul_f32_e32 v133, v1, v166
	v_mul_f32_e32 v7, v2, v166
	v_add_f32_e32 v5, v5, v190
	s_clause 0x3
	buffer_load_dword v150, off, s[0:3], 0 offset:420
	buffer_load_dword v191, off, s[0:3], 0 offset:428
	buffer_load_dword v196, off, s[0:3], 0 offset:436
	buffer_load_dword v197, off, s[0:3], 0 offset:444
	v_add_f32_e32 v6, v6, v140
	buffer_load_dword v166, off, s[0:3], 0 offset:452
	v_fmac_f32_e32 v133, v2, v162
	v_fma_f32 v135, v1, v162, -v7
	v_add_f32_e32 v5, v5, v192
	s_clause 0x3
	buffer_load_dword v162, off, s[0:3], 0 offset:376
	buffer_load_dword v190, off, s[0:3], 0 offset:368
	;; [unrolled: 1-line block ×4, first 2 shown]
	v_add_f32_e32 v1, v6, v138
	v_add_f32_e32 v5, v5, v141
	;; [unrolled: 1-line block ×3, first 2 shown]
	s_waitcnt vmcnt(41)
	v_mul_f32_e32 v136, v3, v160
	v_mul_f32_e32 v1, v4, v160
	v_add_f32_e32 v5, v5, v139
	v_add_f32_e32 v6, v6, v151
	s_waitcnt vmcnt(37)
	v_fmac_f32_e32 v136, v4, v175
	v_fma_f32 v138, v3, v175, -v1
	ds_read2_b64 v[1:4], v128 offset0:91 offset1:92
	s_clause 0x3
	buffer_load_dword v151, off, s[0:3], 0 offset:408
	buffer_load_dword v160, off, s[0:3], 0 offset:400
	;; [unrolled: 1-line block ×4, first 2 shown]
	v_add_f32_e32 v6, v6, v142
	v_add_f32_e32 v5, v5, v137
	;; [unrolled: 1-line block ×4, first 2 shown]
	ds_read2_b64 v[5:8], v128 offset0:93 offset1:94
	v_add_f32_e32 v9, v9, v144
	v_add_f32_e32 v10, v10, v146
	s_waitcnt vmcnt(40) lgkmcnt(1)
	v_mul_f32_e32 v137, v1, v169
	v_mul_f32_e32 v11, v2, v169
	s_waitcnt vmcnt(39)
	v_mul_f32_e32 v141, v3, v177
	v_fmac_f32_e32 v137, v2, v167
	v_fma_f32 v139, v1, v167, -v11
	v_add_f32_e32 v1, v9, v145
	s_clause 0x3
	buffer_load_dword v145, off, s[0:3], 0 offset:440
	buffer_load_dword v146, off, s[0:3], 0 offset:432
	;; [unrolled: 1-line block ×4, first 2 shown]
	v_add_f32_e32 v2, v10, v179
	v_mul_f32_e32 v9, v4, v177
	v_fmac_f32_e32 v141, v4, v163
	v_add_f32_e32 v1, v1, v159
	buffer_load_dword v159, off, s[0:3], 0 offset:448
	v_add_f32_e32 v2, v2, v147
	buffer_load_dword v147, off, s[0:3], 0 offset:96
	v_fma_f32 v142, v3, v163, -v9
	v_add_f32_e32 v1, v1, v155
	s_waitcnt vmcnt(44) lgkmcnt(0)
	v_mul_f32_e32 v143, v5, v171
	v_add_f32_e32 v10, v2, v193
	s_waitcnt vmcnt(43)
	v_mul_f32_e32 v144, v7, v172
	v_mul_f32_e32 v155, v8, v172
	v_add_f32_e32 v129, v1, v129
	ds_read2_b64 v[1:4], v128 offset0:95 offset1:96
	v_add_f32_e32 v140, v10, v164
	ds_read2_b64 v[9:12], v128 offset0:97 offset1:98
	v_fmac_f32_e32 v143, v6, v154
	v_add_f32_e32 v129, v129, v130
	v_mul_f32_e32 v130, v6, v171
	v_add_f32_e32 v140, v140, v194
	s_waitcnt vmcnt(36)
	v_fmac_f32_e32 v144, v8, v186
	v_fma_f32 v155, v7, v186, -v155
	v_add_f32_e32 v163, v129, v132
	v_fma_f32 v154, v5, v154, -v130
	v_add_f32_e32 v140, v140, v131
	ds_read2_b64 v[5:8], v128 offset0:99 offset1:100
	ds_read2_b64 v[129:132], v128 offset0:101 offset1:102
	v_add_f32_e32 v134, v163, v134
	v_add_f32_e32 v140, v140, v153
	;; [unrolled: 1-line block ×3, first 2 shown]
	s_waitcnt lgkmcnt(3)
	v_mul_f32_e32 v163, v1, v161
	v_add_f32_e32 v133, v140, v133
	v_mul_f32_e32 v161, v2, v161
	v_mul_f32_e32 v153, v3, v158
	v_add_f32_e32 v138, v134, v138
	v_mul_f32_e32 v158, v4, v158
	v_add_f32_e32 v172, v133, v136
	v_fma_f32 v161, v1, v185, -v161
	v_fmac_f32_e32 v163, v2, v185
	v_add_f32_e32 v178, v138, v139
	s_waitcnt lgkmcnt(2)
	v_mul_f32_e32 v140, v10, v182
	v_add_f32_e32 v172, v172, v137
	v_fma_f32 v158, v3, v184, -v158
	v_mul_f32_e32 v164, v9, v182
	v_add_f32_e32 v142, v178, v142
	v_fmac_f32_e32 v153, v4, v184
	v_add_f32_e32 v141, v172, v141
	v_fma_f32 v177, v9, v183, -v140
	v_fmac_f32_e32 v164, v10, v183
	ds_read2_b64 v[1:4], v128 offset0:103 offset1:104
	ds_read2_b64 v[133:136], v128 offset0:105 offset1:106
	v_add_f32_e32 v141, v141, v143
	s_waitcnt vmcnt(34)
	v_mul_f32_e32 v171, v11, v148
	v_mul_f32_e32 v148, v12, v148
	s_waitcnt vmcnt(30)
	v_fmac_f32_e32 v171, v12, v181
	v_fma_f32 v148, v11, v181, -v148
	ds_read2_b64 v[9:12], v128 offset0:107 offset1:108
	ds_read2_b64 v[137:140], v128 offset0:109 offset1:110
	s_waitcnt vmcnt(29) lgkmcnt(5)
	v_mul_f32_e32 v178, v5, v156
	v_mul_f32_e32 v156, v6, v156
	s_waitcnt vmcnt(28)
	v_mul_f32_e32 v172, v7, v157
	v_mul_f32_e32 v157, v8, v157
	v_fmac_f32_e32 v178, v6, v180
	v_add_f32_e32 v6, v142, v154
	v_fma_f32 v154, v5, v180, -v156
	v_fma_f32 v156, v7, v165, -v157
	v_add_f32_e32 v157, v141, v144
	v_fmac_f32_e32 v172, v8, v165
	v_add_f32_e32 v155, v6, v155
	ds_read2_b64 v[5:8], v128 offset0:111 offset1:112
	ds_read2_b64 v[141:144], v128 offset0:113 offset1:114
	s_waitcnt vmcnt(27) lgkmcnt(6)
	v_mul_f32_e32 v128, v129, v195
	v_add_f32_e32 v157, v157, v163
	v_add_f32_e32 v155, v155, v161
	v_mul_f32_e32 v161, v130, v195
	s_waitcnt vmcnt(26)
	v_mul_f32_e32 v165, v132, v170
	v_add_f32_e32 v153, v157, v153
	v_mul_f32_e32 v163, v131, v170
	v_add_f32_e32 v155, v155, v158
	v_fma_f32 v129, v129, v152, -v161
	v_fmac_f32_e32 v128, v130, v152
	v_add_f32_e32 v153, v153, v164
	s_waitcnt vmcnt(25) lgkmcnt(5)
	v_mul_f32_e32 v158, v1, v173
	v_add_f32_e32 v155, v155, v177
	s_waitcnt vmcnt(24)
	v_mul_f32_e32 v157, v3, v174
	s_waitcnt vmcnt(23) lgkmcnt(4)
	v_mul_f32_e32 v170, v133, v176
	v_add_f32_e32 v153, v153, v171
	s_waitcnt vmcnt(22)
	v_mul_f32_e32 v177, v135, v149
	v_add_f32_e32 v148, v155, v148
	s_waitcnt vmcnt(21) lgkmcnt(3)
	v_mul_f32_e32 v164, v9, v168
	s_waitcnt vmcnt(20)
	v_mul_f32_e32 v179, v11, v187
	v_add_f32_e32 v153, v153, v178
	s_waitcnt vmcnt(12)
	v_fmac_f32_e32 v157, v4, v190
	v_add_f32_e32 v148, v148, v154
	s_waitcnt vmcnt(10)
	v_fma_f32 v131, v131, v198, -v165
	v_fmac_f32_e32 v163, v132, v198
	v_add_f32_e32 v152, v153, v172
	v_mul_f32_e32 v153, v2, v173
	v_add_f32_e32 v148, v148, v156
	v_mul_f32_e32 v132, v4, v174
	v_fmac_f32_e32 v158, v2, v192
	v_add_f32_e32 v128, v152, v128
	v_fma_f32 v1, v1, v192, -v153
	v_add_f32_e32 v129, v148, v129
	v_fma_f32 v3, v3, v190, -v132
	v_mul_f32_e32 v4, v136, v149
	v_add_f32_e32 v128, v128, v163
	v_fmac_f32_e32 v170, v134, v162
	v_add_f32_e32 v2, v129, v131
	v_mul_f32_e32 v129, v134, v176
	s_waitcnt vmcnt(6)
	v_fma_f32 v4, v135, v199, -v4
	v_fmac_f32_e32 v177, v136, v199
	v_fmac_f32_e32 v164, v10, v175
	v_add_f32_e32 v1, v2, v1
	v_add_f32_e32 v2, v128, v158
	v_fma_f32 v128, v133, v162, -v129
	s_waitcnt lgkmcnt(2)
	v_mul_f32_e32 v155, v137, v188
	v_fmac_f32_e32 v179, v12, v160
	v_add_f32_e32 v1, v1, v3
	v_add_f32_e32 v2, v2, v157
	v_mul_f32_e32 v3, v10, v168
	v_mul_f32_e32 v171, v139, v150
	v_fmac_f32_e32 v155, v138, v151
	v_add_f32_e32 v1, v1, v128
	v_add_f32_e32 v2, v2, v170
	v_mul_f32_e32 v128, v12, v187
	v_fma_f32 v3, v9, v175, -v3
	s_waitcnt lgkmcnt(1)
	v_mul_f32_e32 v180, v5, v191
	v_add_f32_e32 v1, v1, v4
	v_add_f32_e32 v2, v2, v177
	v_mul_f32_e32 v4, v138, v188
	v_fma_f32 v9, v11, v160, -v128
	v_mul_f32_e32 v154, v7, v196
	v_add_f32_e32 v1, v1, v3
	v_add_f32_e32 v2, v2, v164
	v_mul_f32_e32 v3, v140, v150
	v_fma_f32 v4, v137, v151, -v4
	s_waitcnt vmcnt(2)
	v_fmac_f32_e32 v171, v140, v169
	v_add_f32_e32 v1, v1, v9
	v_add_f32_e32 v2, v2, v179
	v_mul_f32_e32 v9, v6, v191
	v_fma_f32 v3, v139, v169, -v3
	v_fmac_f32_e32 v180, v6, v167
	v_add_f32_e32 v1, v1, v4
	v_add_f32_e32 v2, v2, v155
	v_mul_f32_e32 v4, v8, v196
	v_fma_f32 v5, v5, v167, -v9
	s_waitcnt lgkmcnt(0)
	v_mul_f32_e32 v178, v141, v197
	v_add_f32_e32 v1, v1, v3
	v_add_f32_e32 v2, v2, v171
	v_mul_f32_e32 v3, v142, v197
	v_fma_f32 v4, v7, v146, -v4
	v_fmac_f32_e32 v154, v8, v146
	v_add_f32_e32 v1, v1, v5
	v_add_f32_e32 v2, v2, v180
	v_mul_f32_e32 v5, v144, v166
	v_fma_f32 v3, v141, v145, -v3
	v_mul_f32_e32 v130, v143, v166
	v_add_f32_e32 v1, v1, v4
	v_fmac_f32_e32 v178, v142, v145
	v_add_f32_e32 v2, v2, v154
	s_waitcnt vmcnt(1)
	v_fma_f32 v4, v143, v159, -v5
	v_fmac_f32_e32 v130, v144, v159
	v_add_f32_e32 v1, v1, v3
	v_add_f32_e32 v2, v2, v178
	;; [unrolled: 1-line block ×4, first 2 shown]
	s_waitcnt vmcnt(0)
	v_sub_f32_e32 v1, v147, v1
	v_sub_f32_e32 v2, v189, v2
	buffer_store_dword v1, off, s[0:3], 0 offset:96
	buffer_store_dword v2, off, s[0:3], 0 offset:100
	v_cmpx_lt_u32_e32 11, v0
	s_cbranch_execz .LBB120_333
; %bb.332:
	s_clause 0x1
	buffer_load_dword v1, off, s[0:3], 0 offset:88
	buffer_load_dword v2, off, s[0:3], 0 offset:92
	v_mov_b32_e32 v3, 0
	buffer_store_dword v3, off, s[0:3], 0 offset:88
	buffer_store_dword v3, off, s[0:3], 0 offset:92
	s_waitcnt vmcnt(0)
	ds_write_b64 v127, v[1:2]
.LBB120_333:
	s_or_b32 exec_lo, exec_lo, s4
	s_waitcnt lgkmcnt(0)
	s_waitcnt_vscnt null, 0x0
	s_barrier
	buffer_gl0_inv
	s_clause 0x2b
	buffer_load_dword v130, off, s[0:3], 0 offset:100
	buffer_load_dword v131, off, s[0:3], 0 offset:108
	;; [unrolled: 1-line block ×44, first 2 shown]
	v_mov_b32_e32 v128, 0
	ds_read_b128 v[9:12], v128 offset:560
	ds_read_b128 v[5:8], v128 offset:576
	s_clause 0x1
	buffer_load_dword v177, off, s[0:3], 0 offset:268
	buffer_load_dword v172, off, s[0:3], 0 offset:276
	ds_read_b128 v[1:4], v128 offset:592
	s_clause 0x9
	buffer_load_dword v171, off, s[0:3], 0 offset:284
	buffer_load_dword v159, off, s[0:3], 0 offset:292
	;; [unrolled: 1-line block ×10, first 2 shown]
	ds_read_b128 v[179:182], v128 offset:608
	s_mov_b32 s4, exec_lo
	s_waitcnt vmcnt(55) lgkmcnt(3)
	v_mul_f32_e32 v189, v9, v130
	v_mul_f32_e32 v130, v10, v130
	s_waitcnt vmcnt(54)
	v_mul_f32_e32 v190, v11, v131
	v_mul_f32_e32 v131, v12, v131
	s_waitcnt vmcnt(51)
	v_fmac_f32_e32 v189, v10, v136
	v_fma_f32 v136, v9, v136, -v130
	s_waitcnt vmcnt(50) lgkmcnt(2)
	v_mul_f32_e32 v191, v5, v135
	v_mul_f32_e32 v130, v6, v135
	v_fmac_f32_e32 v190, v12, v132
	v_fma_f32 v135, v11, v132, -v131
	ds_read_b128 v[9:12], v128 offset:624
	s_waitcnt vmcnt(49)
	v_mul_f32_e32 v192, v7, v133
	v_mul_f32_e32 v131, v8, v133
	v_fmac_f32_e32 v191, v6, v129
	v_fma_f32 v133, v5, v129, -v130
	s_waitcnt vmcnt(48) lgkmcnt(2)
	v_mul_f32_e32 v193, v1, v134
	v_mul_f32_e32 v129, v2, v134
	s_waitcnt vmcnt(44)
	v_fmac_f32_e32 v192, v8, v143
	v_fma_f32 v134, v7, v143, -v131
	ds_read_b128 v[5:8], v128 offset:640
	s_waitcnt vmcnt(43)
	v_mul_f32_e32 v143, v3, v142
	v_mul_f32_e32 v130, v4, v142
	v_fmac_f32_e32 v193, v2, v140
	v_fma_f32 v140, v1, v140, -v129
	s_waitcnt vmcnt(42) lgkmcnt(2)
	v_mul_f32_e32 v142, v179, v141
	v_mul_f32_e32 v129, v180, v141
	v_fmac_f32_e32 v143, v4, v138
	v_fma_f32 v138, v3, v138, -v130
	ds_read_b128 v[1:4], v128 offset:656
	s_waitcnt vmcnt(41)
	v_mul_f32_e32 v141, v181, v139
	v_mul_f32_e32 v130, v182, v139
	v_fmac_f32_e32 v142, v180, v137
	v_fma_f32 v137, v179, v137, -v129
	s_waitcnt vmcnt(40) lgkmcnt(2)
	v_mul_f32_e32 v139, v9, v144
	s_waitcnt vmcnt(36)
	v_fmac_f32_e32 v141, v182, v151
	v_fma_f32 v151, v181, v151, -v130
	ds_read_b128 v[129:132], v128 offset:672
	v_mul_f32_e32 v144, v10, v144
	s_waitcnt vmcnt(35)
	v_mul_f32_e32 v179, v11, v150
	v_mul_f32_e32 v150, v12, v150
	v_fmac_f32_e32 v139, v10, v148
	v_fma_f32 v144, v9, v148, -v144
	s_waitcnt vmcnt(34) lgkmcnt(2)
	v_mul_f32_e32 v148, v5, v149
	v_mul_f32_e32 v149, v6, v149
	v_fmac_f32_e32 v179, v12, v146
	v_fma_f32 v146, v11, v146, -v150
	s_waitcnt vmcnt(33)
	v_mul_f32_e32 v150, v7, v147
	v_mul_f32_e32 v147, v8, v147
	v_fmac_f32_e32 v148, v6, v145
	v_fma_f32 v145, v5, v145, -v149
	s_waitcnt vmcnt(32) lgkmcnt(1)
	v_mul_f32_e32 v149, v1, v152
	v_mul_f32_e32 v5, v2, v152
	ds_read_b128 v[9:12], v128 offset:688
	s_waitcnt vmcnt(28)
	v_fmac_f32_e32 v150, v8, v165
	v_fma_f32 v147, v7, v165, -v147
	s_clause 0x3
	buffer_load_dword v152, off, s[0:3], 0 offset:336
	buffer_load_dword v165, off, s[0:3], 0 offset:328
	;; [unrolled: 1-line block ×4, first 2 shown]
	s_waitcnt vmcnt(31)
	v_mul_f32_e32 v182, v3, v163
	v_mul_f32_e32 v6, v4, v163
	v_fmac_f32_e32 v149, v2, v161
	v_fma_f32 v161, v1, v161, -v5
	s_waitcnt vmcnt(30) lgkmcnt(1)
	v_mul_f32_e32 v163, v129, v157
	s_waitcnt vmcnt(29)
	v_mul_f32_e32 v194, v131, v158
	v_mul_f32_e32 v1, v130, v157
	v_mul_f32_e32 v2, v132, v158
	s_clause 0x2
	buffer_load_dword v157, off, s[0:3], 0 offset:324
	buffer_load_dword v158, off, s[0:3], 0 offset:332
	;; [unrolled: 1-line block ×3, first 2 shown]
	v_fmac_f32_e32 v182, v4, v155
	v_fma_f32 v155, v3, v155, -v6
	v_fmac_f32_e32 v163, v130, v154
	v_fma_f32 v129, v129, v154, -v1
	s_waitcnt vmcnt(28)
	v_fma_f32 v130, v131, v176, -v2
	ds_read_b128 v[1:4], v128 offset:704
	v_add_f32_e32 v5, 0, v189
	s_waitcnt vmcnt(27) lgkmcnt(1)
	v_mul_f32_e32 v6, v10, v173
	v_add_f32_e32 v8, 0, v136
	v_fmac_f32_e32 v194, v132, v176
	v_mul_f32_e32 v131, v9, v173
	v_add_f32_e32 v5, v5, v190
	v_fma_f32 v136, v9, v170, -v6
	v_add_f32_e32 v6, v8, v135
	s_waitcnt vmcnt(26)
	v_mul_f32_e32 v132, v11, v174
	v_mul_f32_e32 v7, v12, v174
	v_add_f32_e32 v5, v5, v191
	v_fmac_f32_e32 v131, v10, v170
	v_add_f32_e32 v6, v6, v133
	v_fmac_f32_e32 v132, v12, v169
	v_fma_f32 v154, v11, v169, -v7
	v_add_f32_e32 v5, v5, v192
	s_clause 0x7
	buffer_load_dword v169, off, s[0:3], 0 offset:348
	buffer_load_dword v170, off, s[0:3], 0 offset:356
	;; [unrolled: 1-line block ×8, first 2 shown]
	v_add_f32_e32 v6, v6, v134
	s_clause 0x1
	buffer_load_dword v192, off, s[0:3], 0 offset:380
	buffer_load_dword v196, off, s[0:3], 0 offset:388
	s_waitcnt vmcnt(35) lgkmcnt(0)
	v_mul_f32_e32 v133, v1, v166
	v_mul_f32_e32 v7, v2, v166
	v_add_f32_e32 v5, v5, v193
	s_waitcnt vmcnt(34)
	v_mul_f32_e32 v135, v3, v162
	s_clause 0x1
	buffer_load_dword v166, off, s[0:3], 0 offset:396
	buffer_load_dword v193, off, s[0:3], 0 offset:404
	v_fmac_f32_e32 v133, v2, v164
	v_fma_f32 v134, v1, v164, -v7
	v_add_f32_e32 v1, v6, v140
	v_add_f32_e32 v2, v5, v143
	s_clause 0x3
	buffer_load_dword v164, off, s[0:3], 0 offset:412
	buffer_load_dword v197, off, s[0:3], 0 offset:420
	;; [unrolled: 1-line block ×4, first 2 shown]
	s_waitcnt vmcnt(36)
	v_fmac_f32_e32 v135, v4, v175
	buffer_load_dword v200, off, s[0:3], 0 offset:444
	v_add_f32_e32 v1, v1, v138
	v_add_f32_e32 v5, v2, v142
	v_mul_f32_e32 v2, v4, v162
	buffer_load_dword v162, off, s[0:3], 0 offset:452
	v_add_f32_e32 v6, v1, v137
	v_add_f32_e32 v5, v5, v141
	v_fma_f32 v137, v3, v175, -v2
	ds_read_b128 v[1:4], v128 offset:720
	v_add_f32_e32 v6, v6, v151
	v_add_f32_e32 v5, v5, v139
	s_clause 0x3
	buffer_load_dword v151, off, s[0:3], 0 offset:400
	buffer_load_dword v175, off, s[0:3], 0 offset:392
	;; [unrolled: 1-line block ×4, first 2 shown]
	v_add_f32_e32 v6, v6, v144
	v_add_f32_e32 v5, v5, v179
	;; [unrolled: 1-line block ×4, first 2 shown]
	ds_read_b128 v[5:8], v128 offset:736
	v_add_f32_e32 v9, v9, v145
	v_add_f32_e32 v10, v10, v150
	s_waitcnt vmcnt(41) lgkmcnt(1)
	v_mul_f32_e32 v138, v1, v168
	v_mul_f32_e32 v11, v2, v168
	s_waitcnt vmcnt(40)
	v_mul_f32_e32 v140, v3, v177
	v_fmac_f32_e32 v138, v2, v167
	v_fma_f32 v139, v1, v167, -v11
	v_add_f32_e32 v1, v9, v147
	v_add_f32_e32 v2, v10, v149
	s_clause 0x3
	buffer_load_dword v147, off, s[0:3], 0 offset:432
	buffer_load_dword v148, off, s[0:3], 0 offset:424
	;; [unrolled: 1-line block ×4, first 2 shown]
	v_mul_f32_e32 v9, v4, v177
	v_fmac_f32_e32 v140, v4, v160
	v_add_f32_e32 v1, v1, v161
	s_clause 0x1
	buffer_load_dword v161, off, s[0:3], 0 offset:448
	buffer_load_dword v167, off, s[0:3], 0 offset:440
	v_add_f32_e32 v2, v2, v182
	s_waitcnt vmcnt(45) lgkmcnt(0)
	v_mul_f32_e32 v142, v5, v172
	s_waitcnt vmcnt(44)
	v_mul_f32_e32 v143, v7, v171
	v_add_f32_e32 v1, v1, v155
	buffer_load_dword v155, off, s[0:3], 0 offset:88
	v_add_f32_e32 v2, v2, v163
	v_fma_f32 v141, v3, v160, -v9
	v_fmac_f32_e32 v142, v6, v153
	v_add_f32_e32 v10, v1, v129
	s_waitcnt vmcnt(38)
	v_fmac_f32_e32 v143, v8, v187
	v_add_f32_e32 v129, v2, v194
	ds_read_b128 v[1:4], v128 offset:752
	v_add_f32_e32 v130, v10, v130
	ds_read_b128 v[9:12], v128 offset:768
	v_add_f32_e32 v129, v129, v131
	v_mul_f32_e32 v131, v6, v172
	v_add_f32_e32 v130, v130, v136
	v_mul_f32_e32 v136, v8, v171
	v_add_f32_e32 v145, v129, v132
	v_fma_f32 v144, v5, v153, -v131
	v_fma_f32 v146, v7, v187, -v136
	v_add_f32_e32 v136, v130, v154
	v_add_f32_e32 v133, v145, v133
	ds_read_b128 v[5:8], v128 offset:784
	ds_read_b128 v[129:132], v128 offset:800
	v_add_f32_e32 v134, v136, v134
	v_add_f32_e32 v133, v133, v135
	s_waitcnt lgkmcnt(3)
	v_mul_f32_e32 v153, v2, v159
	v_mul_f32_e32 v145, v1, v159
	;; [unrolled: 1-line block ×3, first 2 shown]
	v_add_f32_e32 v134, v134, v137
	v_add_f32_e32 v138, v133, v138
	v_fma_f32 v153, v1, v186, -v153
	v_mul_f32_e32 v154, v3, v156
	v_fmac_f32_e32 v145, v2, v186
	v_add_f32_e32 v139, v134, v139
	v_add_f32_e32 v171, v138, v140
	s_waitcnt lgkmcnt(2)
	v_mul_f32_e32 v137, v10, v184
	v_fma_f32 v160, v3, v185, -v136
	v_mul_f32_e32 v156, v9, v184
	v_add_f32_e32 v141, v139, v141
	v_add_f32_e32 v142, v171, v142
	v_fmac_f32_e32 v154, v4, v185
	s_waitcnt vmcnt(37)
	v_mul_f32_e32 v163, v12, v188
	v_fma_f32 v168, v9, v183, -v137
	v_add_f32_e32 v141, v141, v144
	v_mul_f32_e32 v159, v11, v188
	v_fmac_f32_e32 v156, v10, v183
	ds_read_b128 v[1:4], v128 offset:816
	ds_read_b128 v[133:136], v128 offset:832
	v_add_f32_e32 v141, v141, v146
	v_add_f32_e32 v153, v141, v153
	;; [unrolled: 1-line block ×4, first 2 shown]
	s_waitcnt vmcnt(32)
	v_fma_f32 v163, v11, v181, -v163
	v_fmac_f32_e32 v159, v12, v181
	ds_read_b128 v[9:12], v128 offset:848
	ds_read_b128 v[137:140], v128 offset:864
	v_add_f32_e32 v153, v153, v163
	s_waitcnt vmcnt(31) lgkmcnt(5)
	v_mul_f32_e32 v171, v5, v157
	s_waitcnt vmcnt(30)
	v_mul_f32_e32 v172, v7, v158
	v_mul_f32_e32 v144, v6, v157
	;; [unrolled: 1-line block ×3, first 2 shown]
	s_waitcnt vmcnt(29) lgkmcnt(4)
	v_mul_f32_e32 v177, v130, v195
	v_fmac_f32_e32 v171, v6, v180
	v_add_f32_e32 v6, v142, v143
	v_fmac_f32_e32 v172, v8, v165
	v_fma_f32 v157, v7, v165, -v157
	v_fma_f32 v158, v5, v180, -v144
	v_add_f32_e32 v165, v6, v145
	ds_read_b128 v[5:8], v128 offset:880
	ds_read_b128 v[141:144], v128 offset:896
	ds_read_b64 v[145:146], v128 offset:912
	v_add_f32_e32 v153, v153, v158
	v_add_f32_e32 v154, v165, v154
	v_mul_f32_e32 v165, v129, v195
	v_fma_f32 v129, v129, v152, -v177
	s_waitcnt vmcnt(28)
	v_mul_f32_e32 v160, v131, v169
	v_mul_f32_e32 v169, v132, v169
	v_add_f32_e32 v154, v154, v156
	v_fmac_f32_e32 v165, v130, v152
	v_add_f32_e32 v153, v153, v157
	s_waitcnt vmcnt(27) lgkmcnt(6)
	v_mul_f32_e32 v156, v1, v170
	v_mul_f32_e32 v163, v2, v170
	v_add_f32_e32 v152, v154, v159
	s_waitcnt vmcnt(21)
	v_fma_f32 v131, v131, v191, -v169
	v_add_f32_e32 v129, v153, v129
	v_fmac_f32_e32 v160, v132, v191
	v_mul_f32_e32 v157, v4, v173
	v_add_f32_e32 v152, v152, v171
	v_fmac_f32_e32 v156, v2, v190
	v_fma_f32 v1, v1, v190, -v163
	v_add_f32_e32 v2, v129, v131
	v_mul_f32_e32 v168, v3, v173
	v_add_f32_e32 v152, v152, v172
	s_waitcnt lgkmcnt(5)
	v_mul_f32_e32 v131, v134, v174
	v_fma_f32 v3, v3, v189, -v157
	v_add_f32_e32 v1, v2, v1
	v_mul_f32_e32 v130, v133, v174
	v_add_f32_e32 v152, v152, v165
	v_fmac_f32_e32 v168, v4, v189
	s_waitcnt vmcnt(20)
	v_mul_f32_e32 v4, v136, v192
	v_add_f32_e32 v1, v1, v3
	v_mul_f32_e32 v154, v135, v192
	v_add_f32_e32 v129, v152, v160
	v_fmac_f32_e32 v130, v134, v176
	s_waitcnt vmcnt(19) lgkmcnt(4)
	v_mul_f32_e32 v3, v10, v196
	v_mul_f32_e32 v159, v9, v196
	s_waitcnt vmcnt(18)
	v_mul_f32_e32 v132, v11, v166
	v_add_f32_e32 v2, v129, v156
	v_fma_f32 v129, v133, v176, -v131
	s_waitcnt vmcnt(7)
	v_fma_f32 v4, v135, v202, -v4
	v_fmac_f32_e32 v154, v136, v202
	v_fma_f32 v3, v9, v201, -v3
	v_add_f32_e32 v2, v2, v168
	v_add_f32_e32 v1, v1, v129
	v_mul_f32_e32 v129, v12, v166
	v_fmac_f32_e32 v159, v10, v201
	s_waitcnt lgkmcnt(3)
	v_mul_f32_e32 v169, v137, v193
	v_add_f32_e32 v2, v2, v130
	v_add_f32_e32 v1, v1, v4
	v_mul_f32_e32 v4, v138, v193
	v_fma_f32 v9, v11, v175, -v129
	v_fmac_f32_e32 v132, v12, v175
	v_add_f32_e32 v2, v2, v154
	v_add_f32_e32 v1, v1, v3
	v_mul_f32_e32 v3, v140, v164
	v_fma_f32 v4, v137, v151, -v4
	v_mul_f32_e32 v158, v139, v164
	v_add_f32_e32 v2, v2, v159
	v_add_f32_e32 v1, v1, v9
	v_fmac_f32_e32 v169, v138, v151
	s_waitcnt lgkmcnt(2)
	v_mul_f32_e32 v9, v6, v197
	v_mul_f32_e32 v170, v5, v197
	v_add_f32_e32 v2, v2, v132
	s_waitcnt vmcnt(3)
	v_fma_f32 v3, v139, v150, -v3
	v_add_f32_e32 v1, v1, v4
	v_fmac_f32_e32 v158, v140, v150
	v_mul_f32_e32 v4, v8, v198
	v_add_f32_e32 v2, v2, v169
	v_fma_f32 v5, v5, v149, -v9
	v_add_f32_e32 v1, v1, v3
	v_mul_f32_e32 v171, v7, v198
	v_fmac_f32_e32 v170, v6, v149
	v_add_f32_e32 v2, v2, v158
	s_waitcnt lgkmcnt(1)
	v_mul_f32_e32 v3, v142, v199
	v_fma_f32 v4, v7, v148, -v4
	v_add_f32_e32 v1, v1, v5
	v_mul_f32_e32 v172, v141, v199
	v_fmac_f32_e32 v171, v8, v148
	v_add_f32_e32 v2, v2, v170
	v_mul_f32_e32 v5, v144, v200
	v_fma_f32 v3, v141, v147, -v3
	v_add_f32_e32 v1, v1, v4
	v_mul_f32_e32 v173, v143, v200
	v_fmac_f32_e32 v172, v142, v147
	v_add_f32_e32 v2, v2, v171
	s_waitcnt lgkmcnt(0)
	v_mul_f32_e32 v4, v146, v162
	s_waitcnt vmcnt(1)
	v_fma_f32 v5, v143, v167, -v5
	v_add_f32_e32 v1, v1, v3
	v_mul_f32_e32 v153, v145, v162
	v_fmac_f32_e32 v173, v144, v167
	v_add_f32_e32 v2, v2, v172
	v_fma_f32 v3, v145, v161, -v4
	v_add_f32_e32 v1, v1, v5
	v_fmac_f32_e32 v153, v146, v161
	v_add_f32_e32 v2, v2, v173
	v_add_f32_e32 v1, v1, v3
	;; [unrolled: 1-line block ×3, first 2 shown]
	s_waitcnt vmcnt(0)
	v_sub_f32_e32 v1, v155, v1
	v_sub_f32_e32 v2, v178, v2
	buffer_store_dword v1, off, s[0:3], 0 offset:88
	buffer_store_dword v2, off, s[0:3], 0 offset:92
	v_cmpx_lt_u32_e32 10, v0
	s_cbranch_execz .LBB120_335
; %bb.334:
	s_clause 0x1
	buffer_load_dword v1, off, s[0:3], 0 offset:80
	buffer_load_dword v2, off, s[0:3], 0 offset:84
	buffer_store_dword v128, off, s[0:3], 0 offset:80
	buffer_store_dword v128, off, s[0:3], 0 offset:84
	s_waitcnt vmcnt(0)
	ds_write_b64 v127, v[1:2]
.LBB120_335:
	s_or_b32 exec_lo, exec_lo, s4
	s_waitcnt lgkmcnt(0)
	s_waitcnt_vscnt null, 0x0
	s_barrier
	buffer_gl0_inv
	s_clause 0x2c
	buffer_load_dword v169, off, s[0:3], 0 offset:92
	buffer_load_dword v170, off, s[0:3], 0 offset:100
	;; [unrolled: 1-line block ×45, first 2 shown]
	ds_read2_b64 v[5:8], v128 offset0:69 offset1:70
	buffer_load_dword v163, off, s[0:3], 0 offset:268
	ds_read2_b64 v[1:4], v128 offset0:71 offset1:72
	ds_read2_b64 v[179:182], v128 offset0:73 offset1:74
	s_clause 0x7
	buffer_load_dword v177, off, s[0:3], 0 offset:276
	buffer_load_dword v175, off, s[0:3], 0 offset:284
	;; [unrolled: 1-line block ×8, first 2 shown]
	ds_read2_b64 v[183:186], v128 offset0:75 offset1:76
	s_mov_b32 s4, exec_lo
	s_waitcnt vmcnt(53) lgkmcnt(3)
	v_mul_f32_e32 v187, v5, v169
	s_waitcnt vmcnt(52)
	v_mul_f32_e32 v188, v7, v170
	v_mul_f32_e32 v189, v6, v169
	;; [unrolled: 1-line block ×3, first 2 shown]
	buffer_load_dword v169, off, s[0:3], 0 offset:84
	s_waitcnt vmcnt(50)
	v_fmac_f32_e32 v187, v6, v131
	v_fmac_f32_e32 v188, v8, v130
	v_fma_f32 v189, v5, v131, -v189
	v_fma_f32 v170, v7, v130, -v170
	ds_read2_b64 v[5:8], v128 offset0:77 offset1:78
	s_waitcnt vmcnt(49) lgkmcnt(3)
	v_mul_f32_e32 v190, v1, v12
	v_mul_f32_e32 v12, v2, v12
	s_waitcnt vmcnt(48)
	v_mul_f32_e32 v191, v3, v11
	v_mul_f32_e32 v11, v4, v11
	s_waitcnt vmcnt(47) lgkmcnt(2)
	v_mul_f32_e32 v192, v179, v10
	v_fmac_f32_e32 v190, v2, v9
	v_fma_f32 v193, v1, v9, -v12
	s_waitcnt vmcnt(46)
	v_mul_f32_e32 v194, v181, v129
	v_mul_f32_e32 v9, v180, v10
	;; [unrolled: 1-line block ×3, first 2 shown]
	s_waitcnt vmcnt(42)
	v_fmac_f32_e32 v191, v4, v137
	v_fma_f32 v137, v3, v137, -v11
	ds_read2_b64 v[1:4], v128 offset0:79 offset1:80
	v_fmac_f32_e32 v192, v180, v136
	v_fmac_f32_e32 v194, v182, v134
	v_fma_f32 v136, v179, v136, -v9
	v_fma_f32 v134, v181, v134, -v10
	ds_read2_b64 v[9:12], v128 offset0:81 offset1:82
	s_waitcnt vmcnt(41) lgkmcnt(3)
	v_mul_f32_e32 v179, v183, v135
	v_mul_f32_e32 v129, v184, v135
	s_waitcnt vmcnt(40)
	v_mul_f32_e32 v135, v185, v133
	v_mul_f32_e32 v130, v186, v133
	s_waitcnt vmcnt(39) lgkmcnt(2)
	v_mul_f32_e32 v133, v5, v138
	v_fmac_f32_e32 v179, v184, v132
	v_fma_f32 v180, v183, v132, -v129
	s_waitcnt vmcnt(34)
	v_fmac_f32_e32 v135, v186, v145
	v_fma_f32 v145, v185, v145, -v130
	ds_read2_b64 v[129:132], v128 offset0:83 offset1:84
	v_mul_f32_e32 v181, v7, v139
	v_mul_f32_e32 v138, v6, v138
	;; [unrolled: 1-line block ×3, first 2 shown]
	v_fmac_f32_e32 v133, v6, v144
	v_fmac_f32_e32 v181, v8, v142
	v_fma_f32 v138, v5, v144, -v138
	v_fma_f32 v139, v7, v142, -v139
	ds_read2_b64 v[5:8], v128 offset0:85 offset1:86
	s_waitcnt vmcnt(33) lgkmcnt(3)
	v_mul_f32_e32 v142, v1, v143
	v_mul_f32_e32 v143, v2, v143
	s_waitcnt vmcnt(32)
	v_mul_f32_e32 v144, v3, v141
	v_mul_f32_e32 v141, v4, v141
	s_waitcnt vmcnt(31) lgkmcnt(2)
	v_mul_f32_e32 v182, v9, v146
	v_fmac_f32_e32 v142, v2, v140
	v_fma_f32 v140, v1, v140, -v143
	s_waitcnt vmcnt(30)
	v_mul_f32_e32 v143, v11, v147
	v_mul_f32_e32 v147, v12, v147
	s_waitcnt vmcnt(26)
	v_fmac_f32_e32 v144, v4, v154
	v_fma_f32 v141, v3, v154, -v141
	ds_read2_b64 v[1:4], v128 offset0:87 offset1:88
	v_mul_f32_e32 v146, v10, v146
	v_fmac_f32_e32 v143, v12, v151
	v_fma_f32 v147, v11, v151, -v147
	s_waitcnt vmcnt(25) lgkmcnt(2)
	v_mul_f32_e32 v151, v129, v149
	v_mul_f32_e32 v149, v130, v149
	v_fmac_f32_e32 v182, v10, v153
	v_fma_f32 v146, v9, v153, -v146
	ds_read2_b64 v[9:12], v128 offset0:89 offset1:90
	v_fmac_f32_e32 v151, v130, v148
	v_fma_f32 v129, v129, v148, -v149
	s_clause 0x1
	buffer_load_dword v148, off, s[0:3], 0 offset:308
	buffer_load_dword v149, off, s[0:3], 0 offset:316
	s_waitcnt vmcnt(26)
	v_mul_f32_e32 v153, v131, v150
	v_mul_f32_e32 v150, v132, v150
	s_waitcnt vmcnt(25) lgkmcnt(2)
	v_mul_f32_e32 v154, v5, v155
	v_mul_f32_e32 v155, v6, v155
	s_waitcnt vmcnt(21)
	v_fmac_f32_e32 v153, v132, v162
	v_fma_f32 v130, v131, v162, -v150
	s_waitcnt vmcnt(20)
	v_mul_f32_e32 v131, v7, v161
	v_mul_f32_e32 v132, v8, v161
	v_fmac_f32_e32 v154, v6, v160
	v_fma_f32 v150, v5, v160, -v155
	s_clause 0x3
	buffer_load_dword v155, off, s[0:3], 0 offset:328
	buffer_load_dword v160, off, s[0:3], 0 offset:320
	;; [unrolled: 1-line block ×4, first 2 shown]
	v_fmac_f32_e32 v131, v8, v157
	v_fma_f32 v132, v7, v157, -v132
	s_waitcnt vmcnt(23) lgkmcnt(1)
	v_mul_f32_e32 v157, v1, v158
	s_waitcnt vmcnt(22)
	v_mul_f32_e32 v183, v3, v159
	v_mul_f32_e32 v5, v2, v158
	;; [unrolled: 1-line block ×3, first 2 shown]
	s_clause 0x1
	buffer_load_dword v158, off, s[0:3], 0 offset:324
	buffer_load_dword v159, off, s[0:3], 0 offset:332
	s_waitcnt vmcnt(18) lgkmcnt(0)
	v_mul_f32_e32 v186, v11, v167
	v_fmac_f32_e32 v183, v4, v168
	v_fmac_f32_e32 v157, v2, v156
	v_fma_f32 v168, v3, v168, -v6
	v_mul_f32_e32 v6, v12, v167
	v_fma_f32 v156, v1, v156, -v5
	v_mul_f32_e32 v185, v9, v166
	v_mul_f32_e32 v5, v10, v166
	v_fmac_f32_e32 v186, v12, v164
	v_fma_f32 v164, v11, v164, -v6
	v_add_f32_e32 v6, 0, v189
	v_fmac_f32_e32 v185, v10, v165
	v_fma_f32 v165, v9, v165, -v5
	v_add_f32_e32 v5, 0, v187
	buffer_load_dword v184, off, s[0:3], 0 offset:340
	v_add_f32_e32 v6, v6, v170
	ds_read2_b64 v[1:4], v128 offset0:91 offset1:92
	s_clause 0x3
	buffer_load_dword v166, off, s[0:3], 0 offset:360
	buffer_load_dword v167, off, s[0:3], 0 offset:352
	;; [unrolled: 1-line block ×4, first 2 shown]
	v_add_f32_e32 v5, v5, v188
	s_clause 0x2
	buffer_load_dword v188, off, s[0:3], 0 offset:348
	buffer_load_dword v170, off, s[0:3], 0 offset:356
	;; [unrolled: 1-line block ×3, first 2 shown]
	v_add_f32_e32 v6, v6, v193
	v_add_f32_e32 v5, v5, v190
	;; [unrolled: 1-line block ×4, first 2 shown]
	s_clause 0x2
	buffer_load_dword v190, off, s[0:3], 0 offset:372
	buffer_load_dword v191, off, s[0:3], 0 offset:380
	;; [unrolled: 1-line block ×3, first 2 shown]
	v_add_f32_e32 v6, v6, v136
	v_add_f32_e32 v5, v5, v192
	s_clause 0x2
	buffer_load_dword v192, off, s[0:3], 0 offset:396
	buffer_load_dword v196, off, s[0:3], 0 offset:404
	;; [unrolled: 1-line block ×3, first 2 shown]
	s_waitcnt vmcnt(31) lgkmcnt(0)
	v_mul_f32_e32 v137, v1, v163
	v_add_f32_e32 v6, v6, v134
	v_add_f32_e32 v5, v5, v194
	s_clause 0x2
	buffer_load_dword v194, off, s[0:3], 0 offset:420
	buffer_load_dword v198, off, s[0:3], 0 offset:428
	;; [unrolled: 1-line block ×3, first 2 shown]
	v_mul_f32_e32 v7, v2, v163
	v_add_f32_e32 v6, v6, v180
	v_add_f32_e32 v5, v5, v179
	s_clause 0x1
	buffer_load_dword v179, off, s[0:3], 0 offset:444
	buffer_load_dword v180, off, s[0:3], 0 offset:452
	v_fmac_f32_e32 v137, v2, v152
	v_add_f32_e32 v6, v6, v145
	s_clause 0x3
	buffer_load_dword v145, off, s[0:3], 0 offset:392
	buffer_load_dword v200, off, s[0:3], 0 offset:384
	;; [unrolled: 1-line block ×4, first 2 shown]
	v_add_f32_e32 v5, v5, v135
	v_add_f32_e32 v6, v6, v138
	v_fma_f32 v138, v1, v152, -v7
	v_add_f32_e32 v5, v5, v133
	v_add_f32_e32 v6, v6, v139
	;; [unrolled: 1-line block ×3, first 2 shown]
	s_clause 0x3
	buffer_load_dword v181, off, s[0:3], 0 offset:424
	buffer_load_dword v203, off, s[0:3], 0 offset:416
	;; [unrolled: 1-line block ×4, first 2 shown]
	v_add_f32_e32 v6, v6, v140
	v_add_f32_e32 v5, v5, v142
	;; [unrolled: 1-line block ×3, first 2 shown]
	s_waitcnt vmcnt(43)
	v_mul_f32_e32 v141, v3, v177
	v_add_f32_e32 v5, v5, v144
	v_add_f32_e32 v6, v6, v146
	s_waitcnt vmcnt(36)
	v_fmac_f32_e32 v141, v4, v178
	v_add_f32_e32 v5, v5, v182
	s_clause 0x3
	buffer_load_dword v182, off, s[0:3], 0 offset:448
	buffer_load_dword v206, off, s[0:3], 0 offset:440
	;; [unrolled: 1-line block ×4, first 2 shown]
	v_add_f32_e32 v6, v6, v147
	v_add_f32_e32 v5, v5, v143
	;; [unrolled: 1-line block ×4, first 2 shown]
	ds_read2_b64 v[5:8], v128 offset0:93 offset1:94
	v_add_f32_e32 v9, v1, v130
	v_mul_f32_e32 v1, v4, v177
	v_add_f32_e32 v10, v2, v153
	v_add_f32_e32 v129, v9, v150
	v_fma_f32 v142, v3, v178, -v1
	ds_read2_b64 v[1:4], v128 offset0:95 offset1:96
	v_add_f32_e32 v130, v10, v154
	ds_read2_b64 v[9:12], v128 offset0:97 offset1:98
	v_add_f32_e32 v129, v129, v132
	v_add_f32_e32 v130, v130, v131
	;; [unrolled: 1-line block ×3, first 2 shown]
	s_waitcnt lgkmcnt(2)
	v_mul_f32_e32 v132, v6, v175
	v_mul_f32_e32 v143, v5, v175
	;; [unrolled: 1-line block ×3, first 2 shown]
	v_fma_f32 v144, v5, v176, -v132
	v_add_f32_e32 v5, v130, v157
	v_fmac_f32_e32 v143, v6, v176
	v_add_f32_e32 v6, v133, v168
	ds_read2_b64 v[129:132], v128 offset0:99 offset1:100
	s_waitcnt lgkmcnt(2)
	v_mul_f32_e32 v134, v2, v173
	v_add_f32_e32 v5, v5, v183
	v_mul_f32_e32 v150, v1, v173
	v_add_f32_e32 v6, v6, v165
	v_mul_f32_e32 v133, v8, v174
	v_fma_f32 v153, v1, v171, -v134
	v_add_f32_e32 v5, v5, v185
	v_fmac_f32_e32 v150, v2, v171
	v_add_f32_e32 v1, v6, v164
	v_fma_f32 v152, v7, v172, -v133
	v_fmac_f32_e32 v147, v8, v172
	v_add_f32_e32 v2, v5, v186
	ds_read2_b64 v[5:8], v128 offset0:101 offset1:102
	ds_read2_b64 v[133:136], v128 offset0:103 offset1:104
	s_waitcnt vmcnt(38)
	v_mul_f32_e32 v151, v3, v148
	v_mul_f32_e32 v139, v4, v148
	s_waitcnt vmcnt(37) lgkmcnt(3)
	v_mul_f32_e32 v148, v9, v149
	v_mul_f32_e32 v140, v10, v149
	s_waitcnt vmcnt(34)
	v_fmac_f32_e32 v148, v10, v161
	v_add_f32_e32 v10, v1, v138
	v_fma_f32 v154, v9, v161, -v140
	v_add_f32_e32 v9, v2, v137
	s_waitcnt vmcnt(33)
	v_fma_f32 v149, v3, v162, -v139
	v_fmac_f32_e32 v151, v4, v162
	v_add_f32_e32 v10, v10, v142
	s_waitcnt vmcnt(32)
	v_mul_f32_e32 v156, v11, v158
	v_add_f32_e32 v9, v9, v141
	s_waitcnt vmcnt(31) lgkmcnt(2)
	v_mul_f32_e32 v157, v129, v159
	v_mul_f32_e32 v141, v130, v159
	v_add_f32_e32 v10, v10, v144
	v_mul_f32_e32 v142, v12, v158
	v_fmac_f32_e32 v156, v12, v160
	v_fmac_f32_e32 v157, v130, v155
	v_fma_f32 v155, v129, v155, -v141
	v_add_f32_e32 v129, v9, v143
	v_add_f32_e32 v152, v10, v152
	v_fma_f32 v160, v11, v160, -v142
	ds_read2_b64 v[1:4], v128 offset0:105 offset1:106
	ds_read2_b64 v[137:140], v128 offset0:107 offset1:108
	;; [unrolled: 1-line block ×4, first 2 shown]
	v_add_f32_e32 v147, v129, v147
	v_add_f32_e32 v152, v152, v153
	s_waitcnt vmcnt(30)
	v_mul_f32_e32 v158, v131, v184
	v_mul_f32_e32 v159, v132, v184
	v_add_f32_e32 v147, v147, v150
	v_add_f32_e32 v149, v152, v149
	s_waitcnt vmcnt(26)
	v_fmac_f32_e32 v158, v132, v195
	v_fma_f32 v132, v131, v195, -v159
	s_waitcnt vmcnt(25) lgkmcnt(5)
	v_mul_f32_e32 v153, v6, v188
	v_add_f32_e32 v147, v147, v151
	v_add_f32_e32 v149, v149, v154
	v_mul_f32_e32 v159, v5, v188
	s_waitcnt vmcnt(24)
	v_mul_f32_e32 v161, v8, v170
	v_fma_f32 v5, v5, v187, -v153
	v_add_f32_e32 v147, v147, v148
	v_add_f32_e32 v149, v149, v160
	v_mul_f32_e32 v150, v7, v170
	v_fmac_f32_e32 v159, v6, v187
	v_fma_f32 v7, v7, v167, -v161
	v_add_f32_e32 v147, v147, v156
	v_add_f32_e32 v149, v149, v155
	s_waitcnt vmcnt(23) lgkmcnt(4)
	v_mul_f32_e32 v152, v133, v189
	v_fmac_f32_e32 v150, v8, v167
	s_waitcnt vmcnt(22)
	v_mul_f32_e32 v151, v135, v190
	v_add_f32_e32 v147, v147, v157
	v_add_f32_e32 v132, v149, v132
	v_mul_f32_e32 v149, v134, v189
	v_fmac_f32_e32 v152, v134, v166
	s_waitcnt vmcnt(21) lgkmcnt(3)
	v_mul_f32_e32 v162, v1, v191
	v_add_f32_e32 v147, v147, v158
	v_add_f32_e32 v5, v132, v5
	v_mul_f32_e32 v132, v136, v190
	v_fma_f32 v133, v133, v166, -v149
	s_waitcnt vmcnt(20)
	v_mul_f32_e32 v154, v3, v193
	v_add_f32_e32 v8, v147, v159
	v_add_f32_e32 v5, v5, v7
	s_waitcnt vmcnt(8)
	v_fma_f32 v132, v135, v202, -v132
	v_fmac_f32_e32 v151, v136, v202
	v_fmac_f32_e32 v162, v2, v201
	v_add_f32_e32 v7, v8, v150
	v_mul_f32_e32 v8, v2, v191
	v_add_f32_e32 v5, v5, v133
	v_mul_f32_e32 v133, v4, v193
	s_waitcnt lgkmcnt(2)
	v_mul_f32_e32 v148, v137, v192
	v_add_f32_e32 v7, v7, v152
	v_fma_f32 v1, v1, v201, -v8
	v_add_f32_e32 v2, v5, v132
	v_fma_f32 v3, v3, v200, -v133
	v_fmac_f32_e32 v154, v4, v200
	v_add_f32_e32 v5, v7, v151
	v_mul_f32_e32 v7, v138, v192
	v_add_f32_e32 v1, v2, v1
	v_mul_f32_e32 v4, v140, v196
	v_mul_f32_e32 v163, v139, v196
	v_add_f32_e32 v2, v5, v162
	v_fma_f32 v5, v137, v145, -v7
	v_add_f32_e32 v1, v1, v3
	v_fmac_f32_e32 v148, v138, v145
	ds_read2_b64 v[128:131], v128 offset0:113 offset1:114
	v_add_f32_e32 v2, v2, v154
	s_waitcnt lgkmcnt(2)
	v_mul_f32_e32 v3, v10, v197
	s_waitcnt vmcnt(4)
	v_fma_f32 v4, v139, v205, -v4
	v_add_f32_e32 v1, v1, v5
	v_mul_f32_e32 v160, v9, v197
	v_fmac_f32_e32 v163, v140, v205
	v_add_f32_e32 v2, v2, v148
	v_mul_f32_e32 v5, v12, v194
	v_fma_f32 v3, v9, v204, -v3
	v_add_f32_e32 v1, v1, v4
	v_mul_f32_e32 v156, v11, v194
	v_fmac_f32_e32 v160, v10, v204
	v_add_f32_e32 v2, v2, v163
	s_waitcnt lgkmcnt(1)
	v_mul_f32_e32 v4, v142, v198
	v_fma_f32 v5, v11, v203, -v5
	v_add_f32_e32 v1, v1, v3
	v_mul_f32_e32 v164, v141, v198
	v_fmac_f32_e32 v156, v12, v203
	v_add_f32_e32 v2, v2, v160
	v_mul_f32_e32 v3, v144, v199
	v_fma_f32 v4, v141, v181, -v4
	v_add_f32_e32 v1, v1, v5
	v_mul_f32_e32 v155, v143, v199
	v_fmac_f32_e32 v164, v142, v181
	v_add_f32_e32 v2, v2, v156
	s_waitcnt lgkmcnt(0)
	v_mul_f32_e32 v5, v129, v179
	s_waitcnt vmcnt(1)
	v_fma_f32 v3, v143, v207, -v3
	v_add_f32_e32 v1, v1, v4
	v_mul_f32_e32 v157, v128, v179
	v_fmac_f32_e32 v155, v144, v207
	v_add_f32_e32 v2, v2, v164
	v_mul_f32_e32 v4, v131, v180
	v_fma_f32 v5, v128, v206, -v5
	v_add_f32_e32 v1, v1, v3
	v_mul_f32_e32 v6, v130, v180
	v_fmac_f32_e32 v157, v129, v206
	v_add_f32_e32 v2, v2, v155
	v_fma_f32 v3, v130, v182, -v4
	v_add_f32_e32 v1, v1, v5
	v_fmac_f32_e32 v6, v131, v182
	v_add_f32_e32 v2, v2, v157
	v_add_f32_e32 v1, v1, v3
	;; [unrolled: 1-line block ×3, first 2 shown]
	s_waitcnt vmcnt(0)
	v_sub_f32_e32 v1, v146, v1
	v_sub_f32_e32 v2, v169, v2
	buffer_store_dword v1, off, s[0:3], 0 offset:80
	buffer_store_dword v2, off, s[0:3], 0 offset:84
	v_cmpx_lt_u32_e32 9, v0
	s_cbranch_execz .LBB120_337
; %bb.336:
	s_clause 0x1
	buffer_load_dword v1, off, s[0:3], 0 offset:72
	buffer_load_dword v2, off, s[0:3], 0 offset:76
	v_mov_b32_e32 v3, 0
	buffer_store_dword v3, off, s[0:3], 0 offset:72
	buffer_store_dword v3, off, s[0:3], 0 offset:76
	s_waitcnt vmcnt(0)
	ds_write_b64 v127, v[1:2]
.LBB120_337:
	s_or_b32 exec_lo, exec_lo, s4
	s_waitcnt lgkmcnt(0)
	s_waitcnt_vscnt null, 0x0
	s_barrier
	buffer_gl0_inv
	s_clause 0x2c
	buffer_load_dword v11, off, s[0:3], 0 offset:84
	buffer_load_dword v12, off, s[0:3], 0 offset:92
	;; [unrolled: 1-line block ×45, first 2 shown]
	v_mov_b32_e32 v9, 0
	ds_read_b128 v[5:8], v9 offset:544
	ds_read_b128 v[1:4], v9 offset:560
	s_clause 0x9
	buffer_load_dword v176, off, s[0:3], 0 offset:260
	buffer_load_dword v173, off, s[0:3], 0 offset:268
	;; [unrolled: 1-line block ×10, first 2 shown]
	ds_read_b128 v[180:183], v9 offset:576
	ds_read_b128 v[184:187], v9 offset:592
	s_mov_b32 s4, exec_lo
	s_waitcnt vmcnt(54) lgkmcnt(3)
	v_mul_f32_e32 v188, v5, v11
	v_mul_f32_e32 v11, v6, v11
	s_waitcnt vmcnt(53)
	v_mul_f32_e32 v189, v7, v12
	v_mul_f32_e32 v12, v8, v12
	s_waitcnt vmcnt(52) lgkmcnt(2)
	v_mul_f32_e32 v190, v1, v128
	s_waitcnt vmcnt(49)
	v_fmac_f32_e32 v188, v6, v131
	v_fma_f32 v11, v5, v131, -v11
	s_waitcnt vmcnt(48)
	v_mul_f32_e32 v191, v3, v130
	v_mul_f32_e32 v5, v2, v128
	;; [unrolled: 1-line block ×3, first 2 shown]
	v_fmac_f32_e32 v189, v8, v129
	s_waitcnt vmcnt(43) lgkmcnt(1)
	v_mul_f32_e32 v192, v180, v138
	v_mul_f32_e32 v128, v181, v138
	v_fma_f32 v12, v7, v129, -v12
	v_fmac_f32_e32 v190, v2, v10
	v_fmac_f32_e32 v191, v4, v139
	v_fma_f32 v10, v1, v10, -v5
	v_fma_f32 v139, v3, v139, -v6
	ds_read_b128 v[1:4], v9 offset:608
	ds_read_b128 v[5:8], v9 offset:624
	s_waitcnt vmcnt(42)
	v_mul_f32_e32 v138, v182, v137
	v_mul_f32_e32 v129, v183, v137
	s_waitcnt vmcnt(41) lgkmcnt(2)
	v_mul_f32_e32 v137, v184, v135
	v_fmac_f32_e32 v192, v181, v134
	v_fma_f32 v180, v180, v134, -v128
	s_waitcnt vmcnt(40)
	v_mul_f32_e32 v181, v186, v136
	v_mul_f32_e32 v128, v185, v135
	;; [unrolled: 1-line block ×3, first 2 shown]
	v_fmac_f32_e32 v138, v183, v133
	v_fma_f32 v136, v182, v133, -v129
	v_fmac_f32_e32 v137, v185, v132
	s_waitcnt vmcnt(36)
	v_fmac_f32_e32 v181, v187, v147
	v_fma_f32 v182, v184, v132, -v128
	v_fma_f32 v147, v186, v147, -v130
	ds_read_b128 v[128:131], v9 offset:640
	ds_read_b128 v[132:135], v9 offset:656
	s_waitcnt vmcnt(35) lgkmcnt(3)
	v_mul_f32_e32 v183, v1, v145
	s_waitcnt vmcnt(34)
	v_mul_f32_e32 v184, v3, v146
	v_mul_f32_e32 v145, v2, v145
	;; [unrolled: 1-line block ×3, first 2 shown]
	s_waitcnt vmcnt(33) lgkmcnt(2)
	v_mul_f32_e32 v185, v5, v144
	v_mul_f32_e32 v144, v6, v144
	v_fmac_f32_e32 v183, v2, v142
	v_fmac_f32_e32 v184, v4, v141
	v_fma_f32 v142, v1, v142, -v145
	v_fma_f32 v141, v3, v141, -v146
	s_clause 0x1
	buffer_load_dword v145, off, s[0:3], 0 offset:300
	buffer_load_dword v146, off, s[0:3], 0 offset:308
	s_waitcnt vmcnt(34)
	v_mul_f32_e32 v186, v7, v143
	v_mul_f32_e32 v143, v8, v143
	v_fmac_f32_e32 v185, v6, v140
	v_fma_f32 v140, v5, v140, -v144
	ds_read_b128 v[1:4], v9 offset:672
	s_waitcnt vmcnt(29) lgkmcnt(2)
	v_mul_f32_e32 v144, v128, v155
	v_mul_f32_e32 v5, v129, v155
	s_waitcnt vmcnt(28)
	v_mul_f32_e32 v6, v131, v156
	v_fmac_f32_e32 v186, v8, v158
	v_fma_f32 v143, v7, v158, -v143
	v_fmac_f32_e32 v144, v129, v150
	v_fma_f32 v128, v128, v150, -v5
	v_fma_f32 v129, v130, v149, -v6
	ds_read_b128 v[5:8], v9 offset:688
	v_mul_f32_e32 v158, v130, v156
	s_waitcnt vmcnt(27) lgkmcnt(2)
	v_mul_f32_e32 v155, v132, v152
	s_waitcnt vmcnt(26)
	v_mul_f32_e32 v156, v134, v153
	v_mul_f32_e32 v152, v133, v152
	v_mul_f32_e32 v153, v135, v153
	v_fmac_f32_e32 v158, v131, v149
	v_fmac_f32_e32 v155, v133, v148
	s_waitcnt vmcnt(22)
	v_fmac_f32_e32 v156, v135, v171
	v_fma_f32 v130, v132, v148, -v152
	v_fma_f32 v131, v134, v171, -v153
	s_clause 0x5
	buffer_load_dword v148, off, s[0:3], 0 offset:316
	buffer_load_dword v149, off, s[0:3], 0 offset:324
	;; [unrolled: 1-line block ×6, first 2 shown]
	s_waitcnt vmcnt(27) lgkmcnt(1)
	v_mul_f32_e32 v132, v1, v166
	s_waitcnt vmcnt(26)
	v_mul_f32_e32 v133, v3, v167
	v_mul_f32_e32 v134, v2, v166
	;; [unrolled: 1-line block ×3, first 2 shown]
	v_add_f32_e32 v167, 0, v188
	v_fmac_f32_e32 v132, v2, v164
	v_fmac_f32_e32 v133, v4, v160
	v_fma_f32 v134, v1, v164, -v134
	v_fma_f32 v135, v3, v160, -v135
	ds_read_b128 v[1:4], v9 offset:704
	s_waitcnt vmcnt(25) lgkmcnt(1)
	v_mul_f32_e32 v160, v5, v161
	v_mul_f32_e32 v161, v6, v161
	buffer_load_dword v166, off, s[0:3], 0 offset:332
	s_waitcnt vmcnt(25)
	v_mul_f32_e32 v164, v7, v162
	v_mul_f32_e32 v162, v8, v162
	v_fmac_f32_e32 v160, v6, v159
	v_add_f32_e32 v6, 0, v11
	v_add_f32_e32 v11, v167, v189
	v_fma_f32 v159, v5, v159, -v161
	s_waitcnt vmcnt(21)
	v_fmac_f32_e32 v164, v8, v178
	v_fma_f32 v161, v7, v178, -v162
	v_add_f32_e32 v5, v6, v12
	v_add_f32_e32 v11, v11, v190
	s_clause 0x4
	buffer_load_dword v12, off, s[0:3], 0 offset:352
	buffer_load_dword v162, off, s[0:3], 0 offset:344
	;; [unrolled: 1-line block ×5, first 2 shown]
	v_add_f32_e32 v10, v5, v10
	v_add_f32_e32 v11, v11, v191
	ds_read_b128 v[5:8], v9 offset:720
	s_waitcnt vmcnt(25) lgkmcnt(1)
	v_mul_f32_e32 v188, v1, v177
	v_mul_f32_e32 v177, v2, v177
	v_add_f32_e32 v10, v10, v139
	v_add_f32_e32 v11, v11, v192
	s_clause 0x1
	buffer_load_dword v189, off, s[0:3], 0 offset:348
	buffer_load_dword v190, off, s[0:3], 0 offset:356
	v_fmac_f32_e32 v188, v2, v174
	v_fma_f32 v139, v1, v174, -v177
	v_add_f32_e32 v1, v10, v180
	v_add_f32_e32 v2, v11, v138
	buffer_load_dword v191, off, s[0:3], 0 offset:364
	s_waitcnt vmcnt(27)
	v_mul_f32_e32 v174, v3, v172
	v_mul_f32_e32 v10, v4, v172
	v_add_f32_e32 v1, v1, v136
	v_add_f32_e32 v2, v2, v137
	s_clause 0x2
	buffer_load_dword v177, off, s[0:3], 0 offset:372
	buffer_load_dword v180, off, s[0:3], 0 offset:380
	;; [unrolled: 1-line block ×3, first 2 shown]
	v_fmac_f32_e32 v174, v4, v168
	v_fma_f32 v10, v3, v168, -v10
	v_add_f32_e32 v2, v2, v181
	s_clause 0x1
	buffer_load_dword v168, off, s[0:3], 0 offset:396
	buffer_load_dword v192, off, s[0:3], 0 offset:404
	v_add_f32_e32 v1, v1, v182
	s_clause 0x2
	buffer_load_dword v181, off, s[0:3], 0 offset:412
	buffer_load_dword v182, off, s[0:3], 0 offset:420
	;; [unrolled: 1-line block ×3, first 2 shown]
	s_waitcnt vmcnt(34) lgkmcnt(0)
	v_mul_f32_e32 v11, v5, v176
	v_add_f32_e32 v2, v2, v183
	s_clause 0x2
	buffer_load_dword v183, off, s[0:3], 0 offset:436
	buffer_load_dword v194, off, s[0:3], 0 offset:444
	;; [unrolled: 1-line block ×3, first 2 shown]
	v_add_f32_e32 v1, v1, v147
	v_mul_f32_e32 v3, v6, v176
	v_fmac_f32_e32 v11, v6, v151
	v_add_f32_e32 v2, v2, v184
	s_clause 0x3
	buffer_load_dword v184, off, s[0:3], 0 offset:384
	buffer_load_dword v196, off, s[0:3], 0 offset:376
	buffer_load_dword v197, off, s[0:3], 0 offset:368
	buffer_load_dword v198, off, s[0:3], 0 offset:360
	v_add_f32_e32 v1, v1, v142
	v_fma_f32 v136, v5, v151, -v3
	v_add_f32_e32 v2, v2, v185
	v_add_f32_e32 v1, v1, v141
	;; [unrolled: 1-line block ×3, first 2 shown]
	s_clause 0x3
	buffer_load_dword v185, off, s[0:3], 0 offset:416
	buffer_load_dword v186, off, s[0:3], 0 offset:408
	;; [unrolled: 1-line block ×4, first 2 shown]
	v_add_f32_e32 v1, v1, v140
	s_waitcnt vmcnt(44)
	v_mul_f32_e32 v140, v7, v173
	v_add_f32_e32 v2, v2, v144
	v_add_f32_e32 v1, v1, v143
	s_waitcnt vmcnt(37)
	v_fmac_f32_e32 v140, v8, v175
	v_add_f32_e32 v2, v2, v158
	s_clause 0x4
	buffer_load_dword v158, off, s[0:3], 0 offset:448
	buffer_load_dword v201, off, s[0:3], 0 offset:440
	;; [unrolled: 1-line block ×5, first 2 shown]
	v_add_f32_e32 v1, v1, v128
	v_add_f32_e32 v2, v2, v155
	;; [unrolled: 1-line block ×6, first 2 shown]
	v_mul_f32_e32 v5, v8, v173
	v_add_f32_e32 v6, v1, v131
	ds_read_b128 v[1:4], v9 offset:736
	v_add_f32_e32 v132, v128, v133
	v_fma_f32 v141, v7, v175, -v5
	v_add_f32_e32 v129, v6, v134
	ds_read_b128 v[5:8], v9 offset:752
	v_add_f32_e32 v132, v132, v160
	v_add_f32_e32 v133, v129, v135
	ds_read_b128 v[128:131], v9 offset:768
	v_add_f32_e32 v137, v132, v164
	v_add_f32_e32 v133, v133, v159
	s_waitcnt lgkmcnt(2)
	v_mul_f32_e32 v134, v2, v169
	v_mul_f32_e32 v144, v1, v169
	;; [unrolled: 1-line block ×3, first 2 shown]
	v_fma_f32 v147, v1, v170, -v134
	v_add_f32_e32 v1, v133, v161
	v_fmac_f32_e32 v144, v2, v170
	v_add_f32_e32 v2, v137, v188
	s_waitcnt lgkmcnt(1)
	v_mul_f32_e32 v155, v5, v163
	v_mul_f32_e32 v138, v6, v163
	v_add_f32_e32 v1, v1, v139
	ds_read_b128 v[132:135], v9 offset:784
	v_add_f32_e32 v2, v2, v174
	v_fmac_f32_e32 v155, v6, v154
	v_fma_f32 v154, v5, v154, -v138
	v_add_f32_e32 v1, v1, v10
	v_mul_f32_e32 v137, v4, v165
	v_add_f32_e32 v5, v2, v11
	v_fmac_f32_e32 v151, v4, v157
	v_add_f32_e32 v6, v1, v136
	v_fma_f32 v10, v3, v157, -v137
	ds_read_b128 v[1:4], v9 offset:800
	ds_read_b128 v[136:139], v9 offset:816
	s_waitcnt vmcnt(40)
	v_mul_f32_e32 v142, v8, v145
	s_waitcnt vmcnt(39) lgkmcnt(3)
	v_mul_f32_e32 v159, v128, v146
	v_mul_f32_e32 v11, v129, v146
	;; [unrolled: 1-line block ×3, first 2 shown]
	s_waitcnt vmcnt(38)
	v_mul_f32_e32 v160, v130, v148
	s_waitcnt vmcnt(34)
	v_fmac_f32_e32 v159, v129, v153
	v_fma_f32 v153, v128, v153, -v11
	v_add_f32_e32 v11, v6, v141
	v_add_f32_e32 v129, v5, v140
	s_waitcnt vmcnt(33)
	v_fma_f32 v157, v7, v171, -v142
	v_fmac_f32_e32 v156, v8, v171
	v_fmac_f32_e32 v160, v131, v152
	v_add_f32_e32 v11, v11, v147
	v_add_f32_e32 v128, v129, v144
	v_mul_f32_e32 v129, v131, v148
	s_waitcnt lgkmcnt(2)
	v_mul_f32_e32 v148, v132, v149
	v_mul_f32_e32 v144, v133, v149
	v_add_f32_e32 v10, v11, v10
	v_add_f32_e32 v128, v128, v151
	v_fma_f32 v152, v130, v152, -v129
	s_waitcnt vmcnt(32)
	v_mul_f32_e32 v149, v135, v166
	v_fmac_f32_e32 v148, v133, v150
	v_add_f32_e32 v154, v10, v154
	v_add_f32_e32 v155, v128, v155
	v_fma_f32 v150, v132, v150, -v144
	v_mul_f32_e32 v151, v134, v166
	ds_read_b128 v[5:8], v9 offset:832
	ds_read_b128 v[140:143], v9 offset:848
	v_add_f32_e32 v154, v154, v157
	v_add_f32_e32 v155, v155, v156
	s_waitcnt vmcnt(28)
	v_fma_f32 v149, v134, v178, -v149
	s_waitcnt vmcnt(27) lgkmcnt(3)
	v_mul_f32_e32 v161, v2, v187
	v_fmac_f32_e32 v151, v135, v178
	v_add_f32_e32 v153, v154, v153
	v_add_f32_e32 v155, v155, v159
	v_mul_f32_e32 v156, v1, v187
	v_fma_f32 v1, v1, v167, -v161
	ds_read_b128 v[128:131], v9 offset:864
	ds_read_b128 v[144:147], v9 offset:880
	v_add_f32_e32 v152, v153, v152
	v_add_f32_e32 v155, v155, v160
	s_waitcnt vmcnt(26)
	v_mul_f32_e32 v163, v4, v189
	v_mul_f32_e32 v157, v3, v189
	v_fmac_f32_e32 v156, v2, v167
	v_add_f32_e32 v150, v152, v150
	v_add_f32_e32 v148, v155, v148
	s_waitcnt vmcnt(25) lgkmcnt(4)
	v_mul_f32_e32 v159, v136, v190
	v_mul_f32_e32 v161, v137, v190
	v_fma_f32 v3, v3, v162, -v163
	v_add_f32_e32 v149, v150, v149
	v_add_f32_e32 v148, v148, v151
	v_fmac_f32_e32 v157, v4, v162
	s_waitcnt vmcnt(24)
	v_mul_f32_e32 v150, v139, v191
	v_fmac_f32_e32 v159, v137, v12
	v_add_f32_e32 v1, v149, v1
	v_add_f32_e32 v148, v148, v156
	v_fma_f32 v12, v136, v12, -v161
	v_mul_f32_e32 v154, v138, v191
	s_waitcnt vmcnt(23) lgkmcnt(3)
	v_mul_f32_e32 v136, v6, v177
	v_add_f32_e32 v1, v1, v3
	v_add_f32_e32 v3, v148, v157
	v_mul_f32_e32 v2, v5, v177
	s_waitcnt vmcnt(22)
	v_mul_f32_e32 v160, v7, v180
	s_waitcnt vmcnt(21) lgkmcnt(2)
	v_mul_f32_e32 v153, v140, v172
	v_add_f32_e32 v1, v1, v12
	v_add_f32_e32 v3, v3, v159
	v_mul_f32_e32 v12, v8, v180
	s_waitcnt vmcnt(9)
	v_fma_f32 v137, v138, v198, -v150
	v_fmac_f32_e32 v154, v139, v198
	v_fma_f32 v5, v5, v197, -v136
	v_fmac_f32_e32 v2, v6, v197
	v_mul_f32_e32 v6, v141, v172
	v_add_f32_e32 v1, v1, v137
	v_add_f32_e32 v3, v3, v154
	v_fma_f32 v7, v7, v196, -v12
	v_fmac_f32_e32 v160, v8, v196
	v_mul_f32_e32 v4, v142, v168
	v_add_f32_e32 v1, v1, v5
	v_add_f32_e32 v2, v3, v2
	v_mul_f32_e32 v3, v143, v168
	v_fma_f32 v5, v140, v184, -v6
	v_fmac_f32_e32 v153, v141, v184
	v_add_f32_e32 v1, v1, v7
	v_add_f32_e32 v2, v2, v160
	s_waitcnt lgkmcnt(1)
	v_mul_f32_e32 v6, v129, v192
	s_waitcnt vmcnt(5)
	v_fma_f32 v3, v142, v200, -v3
	ds_read_b128 v[132:135], v9 offset:896
	ds_read_b64 v[10:11], v9 offset:912
	v_add_f32_e32 v1, v1, v5
	v_mul_f32_e32 v162, v128, v192
	v_fmac_f32_e32 v4, v143, v200
	v_add_f32_e32 v2, v2, v153
	v_mul_f32_e32 v5, v131, v181
	v_fma_f32 v6, v128, v199, -v6
	v_add_f32_e32 v1, v1, v3
	v_mul_f32_e32 v152, v130, v181
	v_fmac_f32_e32 v162, v129, v199
	v_add_f32_e32 v2, v2, v4
	s_waitcnt lgkmcnt(2)
	v_mul_f32_e32 v3, v145, v182
	v_fma_f32 v4, v130, v186, -v5
	v_add_f32_e32 v1, v1, v6
	v_mul_f32_e32 v155, v144, v182
	v_fmac_f32_e32 v152, v131, v186
	v_add_f32_e32 v2, v2, v162
	v_mul_f32_e32 v5, v147, v193
	v_fma_f32 v3, v144, v185, -v3
	v_add_f32_e32 v1, v1, v4
	v_mul_f32_e32 v163, v146, v193
	v_fmac_f32_e32 v155, v145, v185
	v_add_f32_e32 v2, v2, v152
	s_waitcnt lgkmcnt(1)
	v_mul_f32_e32 v4, v133, v183
	s_waitcnt vmcnt(1)
	v_fma_f32 v5, v146, v203, -v5
	v_add_f32_e32 v1, v1, v3
	v_mul_f32_e32 v151, v132, v183
	v_fmac_f32_e32 v163, v147, v203
	v_add_f32_e32 v2, v2, v155
	v_mul_f32_e32 v3, v135, v194
	v_fma_f32 v4, v132, v202, -v4
	v_add_f32_e32 v1, v1, v5
	v_mul_f32_e32 v164, v134, v194
	v_fmac_f32_e32 v151, v133, v202
	v_add_f32_e32 v2, v2, v163
	s_waitcnt lgkmcnt(0)
	v_mul_f32_e32 v5, v11, v195
	v_fma_f32 v3, v134, v201, -v3
	v_add_f32_e32 v1, v1, v4
	v_mul_f32_e32 v149, v10, v195
	v_fmac_f32_e32 v164, v135, v201
	v_add_f32_e32 v2, v2, v151
	v_fma_f32 v4, v10, v158, -v5
	v_add_f32_e32 v1, v1, v3
	v_fmac_f32_e32 v149, v11, v158
	v_add_f32_e32 v2, v2, v164
	v_add_f32_e32 v1, v1, v4
	;; [unrolled: 1-line block ×3, first 2 shown]
	s_waitcnt vmcnt(0)
	v_sub_f32_e32 v1, v204, v1
	v_sub_f32_e32 v2, v179, v2
	buffer_store_dword v1, off, s[0:3], 0 offset:72
	buffer_store_dword v2, off, s[0:3], 0 offset:76
	v_cmpx_lt_u32_e32 8, v0
	s_cbranch_execz .LBB120_339
; %bb.338:
	s_clause 0x1
	buffer_load_dword v1, off, s[0:3], 0 offset:64
	buffer_load_dword v2, off, s[0:3], 0 offset:68
	buffer_store_dword v9, off, s[0:3], 0 offset:64
	buffer_store_dword v9, off, s[0:3], 0 offset:68
	s_waitcnt vmcnt(0)
	ds_write_b64 v127, v[1:2]
.LBB120_339:
	s_or_b32 exec_lo, exec_lo, s4
	s_waitcnt lgkmcnt(0)
	s_waitcnt_vscnt null, 0x0
	s_barrier
	buffer_gl0_inv
	s_clause 0x33
	buffer_load_dword v162, off, s[0:3], 0 offset:76
	buffer_load_dword v163, off, s[0:3], 0 offset:84
	;; [unrolled: 1-line block ×52, first 2 shown]
	ds_read2_b64 v[171:174], v9 offset0:67 offset1:68
	ds_read2_b64 v[175:178], v9 offset0:69 offset1:70
	;; [unrolled: 1-line block ×3, first 2 shown]
	s_clause 0x1
	buffer_load_dword v168, off, s[0:3], 0 offset:268
	buffer_load_dword v169, off, s[0:3], 0 offset:276
	ds_read2_b64 v[183:186], v9 offset0:73 offset1:74
	s_mov_b32 s4, exec_lo
	s_waitcnt vmcnt(53) lgkmcnt(3)
	v_mul_f32_e32 v187, v171, v162
	v_mul_f32_e32 v188, v172, v162
	s_waitcnt vmcnt(52)
	v_mul_f32_e32 v189, v173, v163
	v_mul_f32_e32 v163, v174, v163
	buffer_load_dword v162, off, s[0:3], 0 offset:68
	s_waitcnt vmcnt(50)
	v_fmac_f32_e32 v187, v172, v7
	v_fma_f32 v188, v171, v7, -v188
	v_fmac_f32_e32 v189, v174, v5
	v_fma_f32 v163, v173, v5, -v163
	ds_read2_b64 v[171:174], v9 offset0:75 offset1:76
	s_waitcnt vmcnt(49) lgkmcnt(3)
	v_mul_f32_e32 v190, v175, v2
	s_waitcnt vmcnt(48)
	v_mul_f32_e32 v191, v177, v3
	v_mul_f32_e32 v2, v176, v2
	;; [unrolled: 1-line block ×3, first 2 shown]
	s_waitcnt vmcnt(47) lgkmcnt(2)
	v_mul_f32_e32 v192, v179, v6
	v_mul_f32_e32 v5, v180, v6
	v_fmac_f32_e32 v190, v176, v1
	v_fma_f32 v193, v175, v1, -v2
	s_waitcnt vmcnt(46)
	v_mul_f32_e32 v194, v181, v4
	v_mul_f32_e32 v6, v182, v4
	s_waitcnt vmcnt(42)
	v_fma_f32 v195, v177, v129, -v3
	ds_read2_b64 v[1:4], v9 offset0:77 offset1:78
	v_fmac_f32_e32 v191, v178, v129
	v_fmac_f32_e32 v192, v180, v128
	v_fma_f32 v179, v179, v128, -v5
	v_fmac_f32_e32 v194, v182, v11
	v_fma_f32 v11, v181, v11, -v6
	ds_read2_b64 v[175:178], v9 offset0:79 offset1:80
	s_waitcnt vmcnt(41) lgkmcnt(3)
	v_mul_f32_e32 v180, v183, v12
	v_mul_f32_e32 v5, v184, v12
	s_waitcnt vmcnt(40)
	v_mul_f32_e32 v12, v185, v10
	v_mul_f32_e32 v6, v186, v10
	s_waitcnt vmcnt(39) lgkmcnt(2)
	v_mul_f32_e32 v10, v171, v130
	v_fmac_f32_e32 v180, v184, v8
	v_fma_f32 v181, v183, v8, -v5
	v_mul_f32_e32 v128, v172, v130
	s_waitcnt vmcnt(38)
	v_mul_f32_e32 v129, v174, v131
	s_waitcnt vmcnt(34)
	v_fmac_f32_e32 v12, v186, v137
	v_fma_f32 v137, v185, v137, -v6
	ds_read2_b64 v[5:8], v9 offset0:81 offset1:82
	v_mul_f32_e32 v182, v173, v131
	v_fmac_f32_e32 v10, v172, v136
	v_fma_f32 v136, v171, v136, -v128
	v_fma_f32 v171, v173, v134, -v129
	ds_read2_b64 v[128:131], v9 offset0:83 offset1:84
	v_fmac_f32_e32 v182, v174, v134
	s_waitcnt vmcnt(33) lgkmcnt(3)
	v_mul_f32_e32 v172, v1, v135
	v_mul_f32_e32 v134, v2, v135
	s_waitcnt vmcnt(32)
	v_mul_f32_e32 v173, v3, v133
	v_mul_f32_e32 v133, v4, v133
	s_waitcnt vmcnt(31) lgkmcnt(2)
	v_mul_f32_e32 v174, v175, v138
	v_fmac_f32_e32 v172, v2, v132
	v_fma_f32 v183, v1, v132, -v134
	v_mul_f32_e32 v132, v176, v138
	s_waitcnt vmcnt(30)
	v_mul_f32_e32 v184, v177, v139
	v_mul_f32_e32 v134, v178, v139
	s_waitcnt vmcnt(26)
	v_fmac_f32_e32 v173, v4, v145
	v_fma_f32 v138, v3, v145, -v133
	ds_read2_b64 v[1:4], v9 offset0:85 offset1:86
	v_fmac_f32_e32 v174, v176, v144
	v_fma_f32 v139, v175, v144, -v132
	s_waitcnt vmcnt(25) lgkmcnt(2)
	v_mul_f32_e32 v144, v5, v143
	v_fmac_f32_e32 v184, v178, v142
	v_fma_f32 v142, v177, v142, -v134
	ds_read2_b64 v[132:135], v9 offset0:87 offset1:88
	v_mul_f32_e32 v143, v6, v143
	s_waitcnt vmcnt(24)
	v_mul_f32_e32 v145, v7, v141
	v_mul_f32_e32 v141, v8, v141
	s_waitcnt vmcnt(23) lgkmcnt(2)
	v_mul_f32_e32 v175, v128, v146
	v_fmac_f32_e32 v144, v6, v140
	v_mul_f32_e32 v6, v129, v146
	v_fma_f32 v5, v5, v140, -v143
	s_waitcnt vmcnt(22)
	v_mul_f32_e32 v140, v130, v147
	v_mul_f32_e32 v143, v131, v147
	s_waitcnt vmcnt(18)
	v_fmac_f32_e32 v145, v8, v154
	v_fma_f32 v7, v7, v154, -v141
	v_fmac_f32_e32 v175, v129, v153
	v_fma_f32 v6, v128, v153, -v6
	s_clause 0x5
	buffer_load_dword v141, off, s[0:3], 0 offset:292
	buffer_load_dword v146, off, s[0:3], 0 offset:296
	;; [unrolled: 1-line block ×6, first 2 shown]
	v_fma_f32 v128, v130, v149, -v143
	s_waitcnt vmcnt(23) lgkmcnt(1)
	v_mul_f32_e32 v129, v1, v150
	s_waitcnt vmcnt(22)
	v_mul_f32_e32 v143, v3, v151
	v_mul_f32_e32 v8, v2, v150
	;; [unrolled: 1-line block ×3, first 2 shown]
	v_fmac_f32_e32 v140, v131, v149
	v_fmac_f32_e32 v129, v2, v148
	s_waitcnt vmcnt(18)
	v_fmac_f32_e32 v143, v4, v161
	v_fma_f32 v131, v1, v148, -v8
	v_fma_f32 v148, v3, v161, -v130
	s_waitcnt vmcnt(17) lgkmcnt(0)
	v_mul_f32_e32 v161, v132, v159
	v_mul_f32_e32 v8, v133, v159
	s_clause 0x1
	buffer_load_dword v149, off, s[0:3], 0 offset:308
	buffer_load_dword v150, off, s[0:3], 0 offset:316
	ds_read2_b64 v[1:4], v9 offset0:89 offset1:90
	buffer_load_dword v151, off, s[0:3], 0 offset:324
	s_waitcnt vmcnt(19)
	v_mul_f32_e32 v177, v134, v160
	v_mul_f32_e32 v130, v135, v160
	v_fmac_f32_e32 v161, v133, v158
	v_fma_f32 v132, v132, v158, -v8
	s_clause 0x5
	buffer_load_dword v158, off, s[0:3], 0 offset:344
	buffer_load_dword v159, off, s[0:3], 0 offset:336
	;; [unrolled: 1-line block ×6, first 2 shown]
	v_fmac_f32_e32 v177, v135, v157
	v_fma_f32 v157, v134, v157, -v130
	v_add_f32_e32 v8, 0, v187
	v_add_f32_e32 v130, 0, v188
	;; [unrolled: 1-line block ×4, first 2 shown]
	buffer_load_dword v163, off, s[0:3], 0 offset:348
	s_waitcnt vmcnt(25) lgkmcnt(0)
	v_mul_f32_e32 v133, v2, v156
	v_add_f32_e32 v8, v8, v190
	v_add_f32_e32 v130, v130, v193
	s_waitcnt vmcnt(24)
	v_mul_f32_e32 v134, v4, v155
	s_clause 0x3
	buffer_load_dword v187, off, s[0:3], 0 offset:356
	buffer_load_dword v188, off, s[0:3], 0 offset:364
	;; [unrolled: 1-line block ×4, first 2 shown]
	v_add_f32_e32 v8, v8, v191
	v_add_f32_e32 v130, v130, v195
	v_mul_f32_e32 v191, v1, v156
	v_mul_f32_e32 v156, v3, v155
	v_add_f32_e32 v8, v8, v192
	v_add_f32_e32 v130, v130, v179
	v_fmac_f32_e32 v191, v2, v152
	v_fma_f32 v152, v1, v152, -v133
	s_clause 0x3
	buffer_load_dword v155, off, s[0:3], 0 offset:388
	buffer_load_dword v179, off, s[0:3], 0 offset:396
	;; [unrolled: 1-line block ×4, first 2 shown]
	v_add_f32_e32 v1, v8, v194
	v_add_f32_e32 v2, v130, v11
	s_waitcnt vmcnt(27)
	v_fmac_f32_e32 v156, v4, v170
	v_fma_f32 v11, v3, v170, -v134
	s_clause 0x1
	buffer_load_dword v170, off, s[0:3], 0 offset:420
	buffer_load_dword v194, off, s[0:3], 0 offset:428
	v_add_f32_e32 v1, v1, v180
	v_add_f32_e32 v2, v2, v181
	s_clause 0x6
	buffer_load_dword v180, off, s[0:3], 0 offset:436
	buffer_load_dword v181, off, s[0:3], 0 offset:444
	;; [unrolled: 1-line block ×7, first 2 shown]
	v_add_f32_e32 v1, v1, v12
	v_add_f32_e32 v2, v2, v137
	;; [unrolled: 1-line block ×6, first 2 shown]
	s_clause 0x3
	buffer_load_dword v171, off, s[0:3], 0 offset:408
	buffer_load_dword v182, off, s[0:3], 0 offset:400
	;; [unrolled: 1-line block ×4, first 2 shown]
	v_add_f32_e32 v1, v1, v172
	v_add_f32_e32 v2, v2, v183
	;; [unrolled: 1-line block ×3, first 2 shown]
	s_clause 0x4
	buffer_load_dword v172, off, s[0:3], 0 offset:440
	buffer_load_dword v173, off, s[0:3], 0 offset:432
	;; [unrolled: 1-line block ×5, first 2 shown]
	v_add_f32_e32 v2, v2, v138
	v_add_f32_e32 v1, v1, v174
	buffer_load_dword v174, off, s[0:3], 0 offset:448
	v_add_f32_e32 v2, v2, v139
	v_add_f32_e32 v1, v1, v184
	;; [unrolled: 1-line block ×5, first 2 shown]
	ds_read2_b64 v[1:4], v9 offset0:91 offset1:92
	v_add_f32_e32 v5, v5, v7
	v_add_f32_e32 v7, v8, v145
	;; [unrolled: 1-line block ×4, first 2 shown]
	ds_read2_b64 v[5:8], v9 offset0:93 offset1:94
	v_add_f32_e32 v10, v10, v128
	v_add_f32_e32 v12, v12, v140
	;; [unrolled: 1-line block ×4, first 2 shown]
	s_waitcnt vmcnt(44) lgkmcnt(1)
	v_mul_f32_e32 v144, v3, v169
	v_mul_f32_e32 v130, v4, v169
	;; [unrolled: 1-line block ×3, first 2 shown]
	v_add_f32_e32 v10, v10, v148
	v_add_f32_e32 v12, v12, v143
	v_mul_f32_e32 v128, v2, v168
	v_fmac_f32_e32 v144, v4, v166
	v_fma_f32 v145, v3, v166, -v130
	v_add_f32_e32 v10, v10, v132
	v_add_f32_e32 v12, v12, v161
	s_waitcnt lgkmcnt(0)
	v_mul_f32_e32 v148, v5, v165
	v_mul_f32_e32 v133, v6, v165
	v_fmac_f32_e32 v142, v2, v167
	v_fma_f32 v140, v1, v167, -v128
	ds_read2_b64 v[1:4], v9 offset0:95 offset1:96
	ds_read2_b64 v[128:131], v9 offset0:97 offset1:98
	v_add_f32_e32 v10, v10, v157
	v_fmac_f32_e32 v148, v6, v164
	v_fma_f32 v164, v5, v164, -v133
	v_add_f32_e32 v12, v12, v177
	v_add_f32_e32 v10, v10, v152
	;; [unrolled: 1-line block ×9, first 2 shown]
	s_waitcnt vmcnt(42)
	v_mul_f32_e32 v166, v7, v141
	v_mul_f32_e32 v134, v8, v141
	s_waitcnt vmcnt(40) lgkmcnt(1)
	v_mul_f32_e32 v157, v1, v147
	v_mul_f32_e32 v136, v2, v147
	s_waitcnt vmcnt(37)
	v_fmac_f32_e32 v166, v8, v176
	v_fma_f32 v165, v7, v176, -v134
	ds_read2_b64 v[5:8], v9 offset0:99 offset1:100
	ds_read2_b64 v[132:135], v9 offset0:101 offset1:102
	v_fmac_f32_e32 v157, v2, v146
	v_fma_f32 v146, v1, v146, -v136
	s_waitcnt vmcnt(36)
	v_mul_f32_e32 v147, v3, v149
	v_mul_f32_e32 v137, v4, v149
	s_waitcnt vmcnt(35) lgkmcnt(2)
	v_mul_f32_e32 v149, v128, v150
	v_mul_f32_e32 v141, v129, v150
	s_waitcnt vmcnt(34)
	v_mul_f32_e32 v12, v131, v151
	v_mul_f32_e32 v152, v130, v151
	v_fmac_f32_e32 v147, v4, v154
	v_fmac_f32_e32 v149, v129, v153
	v_fma_f32 v151, v128, v153, -v141
	s_waitcnt vmcnt(29) lgkmcnt(1)
	v_mul_f32_e32 v145, v5, v185
	v_fma_f32 v153, v130, v178, -v12
	v_mul_f32_e32 v12, v6, v185
	v_fma_f32 v150, v3, v154, -v137
	s_waitcnt vmcnt(28)
	v_mul_f32_e32 v144, v7, v186
	v_fmac_f32_e32 v145, v6, v160
	v_add_f32_e32 v6, v10, v164
	v_mul_f32_e32 v154, v8, v186
	v_add_f32_e32 v10, v11, v148
	v_fmac_f32_e32 v144, v8, v159
	ds_read2_b64 v[1:4], v9 offset0:103 offset1:104
	ds_read2_b64 v[136:139], v9 offset0:105 offset1:106
	v_add_f32_e32 v156, v6, v165
	v_fma_f32 v154, v7, v159, -v154
	v_add_f32_e32 v159, v10, v166
	v_fmac_f32_e32 v152, v131, v178
	v_fma_f32 v148, v5, v160, -v12
	v_add_f32_e32 v146, v156, v146
	s_waitcnt vmcnt(27) lgkmcnt(2)
	v_mul_f32_e32 v156, v133, v163
	v_add_f32_e32 v157, v159, v157
	v_mul_f32_e32 v160, v132, v163
	s_waitcnt vmcnt(26)
	v_mul_f32_e32 v161, v135, v187
	v_add_f32_e32 v146, v146, v150
	v_fma_f32 v132, v132, v158, -v156
	v_add_f32_e32 v147, v157, v147
	v_mul_f32_e32 v159, v134, v187
	v_fmac_f32_e32 v160, v133, v158
	v_add_f32_e32 v146, v146, v151
	ds_read2_b64 v[128:131], v9 offset0:107 offset1:108
	ds_read2_b64 v[140:143], v9 offset0:109 offset1:110
	v_add_f32_e32 v147, v147, v149
	s_waitcnt vmcnt(25) lgkmcnt(3)
	v_mul_f32_e32 v150, v1, v188
	s_waitcnt vmcnt(24)
	v_mul_f32_e32 v157, v3, v189
	v_add_f32_e32 v146, v146, v153
	s_waitcnt vmcnt(23) lgkmcnt(2)
	v_mul_f32_e32 v163, v136, v190
	v_add_f32_e32 v147, v147, v152
	s_waitcnt vmcnt(22)
	v_mul_f32_e32 v151, v138, v155
	s_waitcnt vmcnt(12)
	v_fmac_f32_e32 v157, v4, v197
	v_add_f32_e32 v146, v146, v148
	s_waitcnt vmcnt(10)
	v_fma_f32 v134, v134, v199, -v161
	v_add_f32_e32 v145, v147, v145
	v_fmac_f32_e32 v159, v135, v199
	v_fmac_f32_e32 v150, v2, v198
	v_add_f32_e32 v146, v146, v154
	v_fmac_f32_e32 v163, v137, v196
	v_add_f32_e32 v144, v145, v144
	v_mul_f32_e32 v145, v2, v188
	ds_read2_b64 v[5:8], v9 offset0:111 offset1:112
	ds_read2_b64 v[9:12], v9 offset0:113 offset1:114
	v_add_f32_e32 v132, v146, v132
	s_waitcnt lgkmcnt(3)
	v_mul_f32_e32 v149, v128, v179
	v_add_f32_e32 v135, v144, v160
	v_mul_f32_e32 v144, v4, v189
	v_fma_f32 v1, v1, v198, -v145
	v_add_f32_e32 v2, v132, v134
	v_mul_f32_e32 v134, v137, v190
	v_add_f32_e32 v132, v135, v159
	v_fma_f32 v3, v3, v197, -v144
	v_mul_f32_e32 v4, v139, v155
	v_add_f32_e32 v1, v2, v1
	s_waitcnt vmcnt(6)
	v_fmac_f32_e32 v151, v139, v201
	v_add_f32_e32 v2, v132, v150
	v_fma_f32 v132, v136, v196, -v134
	v_fma_f32 v4, v138, v201, -v4
	v_add_f32_e32 v1, v1, v3
	v_mul_f32_e32 v3, v129, v179
	v_add_f32_e32 v2, v2, v157
	v_mul_f32_e32 v164, v130, v192
	v_fmac_f32_e32 v149, v129, v200
	v_add_f32_e32 v1, v1, v132
	v_mul_f32_e32 v132, v131, v192
	v_add_f32_e32 v2, v2, v163
	v_fma_f32 v3, v128, v200, -v3
	s_waitcnt lgkmcnt(2)
	v_mul_f32_e32 v153, v140, v193
	v_add_f32_e32 v1, v1, v4
	v_mul_f32_e32 v4, v141, v193
	v_add_f32_e32 v2, v2, v151
	v_fma_f32 v128, v130, v182, -v132
	v_fmac_f32_e32 v164, v131, v182
	v_add_f32_e32 v1, v1, v3
	v_mul_f32_e32 v3, v143, v170
	v_add_f32_e32 v2, v2, v149
	v_fma_f32 v4, v140, v171, -v4
	v_mul_f32_e32 v152, v142, v170
	v_add_f32_e32 v1, v1, v128
	v_fmac_f32_e32 v153, v141, v171
	v_add_f32_e32 v2, v2, v164
	s_waitcnt lgkmcnt(1)
	v_mul_f32_e32 v128, v6, v194
	s_waitcnt vmcnt(2)
	v_fma_f32 v3, v142, v202, -v3
	v_add_f32_e32 v1, v1, v4
	v_mul_f32_e32 v165, v5, v194
	v_fmac_f32_e32 v152, v143, v202
	v_add_f32_e32 v2, v2, v153
	v_mul_f32_e32 v4, v8, v180
	v_fma_f32 v5, v5, v183, -v128
	v_add_f32_e32 v1, v1, v3
	v_mul_f32_e32 v148, v7, v180
	v_fmac_f32_e32 v165, v6, v183
	v_add_f32_e32 v2, v2, v152
	s_waitcnt lgkmcnt(0)
	v_mul_f32_e32 v3, v10, v181
	v_fma_f32 v4, v7, v173, -v4
	v_add_f32_e32 v1, v1, v5
	v_mul_f32_e32 v147, v9, v181
	v_fmac_f32_e32 v148, v8, v173
	v_add_f32_e32 v2, v2, v165
	v_mul_f32_e32 v5, v12, v195
	v_fma_f32 v3, v9, v172, -v3
	v_add_f32_e32 v1, v1, v4
	v_mul_f32_e32 v133, v11, v195
	v_fmac_f32_e32 v147, v10, v172
	v_add_f32_e32 v2, v2, v148
	s_waitcnt vmcnt(0)
	v_fma_f32 v4, v11, v174, -v5
	v_add_f32_e32 v1, v1, v3
	v_fmac_f32_e32 v133, v12, v174
	v_add_f32_e32 v2, v2, v147
	v_add_f32_e32 v1, v1, v4
	;; [unrolled: 1-line block ×3, first 2 shown]
	v_sub_f32_e32 v1, v203, v1
	v_sub_f32_e32 v2, v162, v2
	buffer_store_dword v1, off, s[0:3], 0 offset:64
	buffer_store_dword v2, off, s[0:3], 0 offset:68
	v_cmpx_lt_u32_e32 7, v0
	s_cbranch_execz .LBB120_341
; %bb.340:
	s_clause 0x1
	buffer_load_dword v1, off, s[0:3], 0 offset:56
	buffer_load_dword v2, off, s[0:3], 0 offset:60
	v_mov_b32_e32 v3, 0
	buffer_store_dword v3, off, s[0:3], 0 offset:56
	buffer_store_dword v3, off, s[0:3], 0 offset:60
	s_waitcnt vmcnt(0)
	ds_write_b64 v127, v[1:2]
.LBB120_341:
	s_or_b32 exec_lo, exec_lo, s4
	s_waitcnt lgkmcnt(0)
	s_waitcnt_vscnt null, 0x0
	s_barrier
	buffer_gl0_inv
	s_clause 0x33
	buffer_load_dword v11, off, s[0:3], 0 offset:68
	buffer_load_dword v12, off, s[0:3], 0 offset:76
	buffer_load_dword v10, off, s[0:3], 0 offset:80
	buffer_load_dword v131, off, s[0:3], 0 offset:72
	buffer_load_dword v133, off, s[0:3], 0 offset:64
	buffer_load_dword v128, off, s[0:3], 0 offset:84
	buffer_load_dword v129, off, s[0:3], 0 offset:92
	buffer_load_dword v132, off, s[0:3], 0 offset:100
	buffer_load_dword v130, off, s[0:3], 0 offset:108
	buffer_load_dword v134, off, s[0:3], 0 offset:112
	buffer_load_dword v136, off, s[0:3], 0 offset:104
	buffer_load_dword v138, off, s[0:3], 0 offset:96
	buffer_load_dword v139, off, s[0:3], 0 offset:88
	buffer_load_dword v137, off, s[0:3], 0 offset:116
	buffer_load_dword v135, off, s[0:3], 0 offset:124
	buffer_load_dword v140, off, s[0:3], 0 offset:132
	buffer_load_dword v141, off, s[0:3], 0 offset:140
	buffer_load_dword v142, off, s[0:3], 0 offset:144
	buffer_load_dword v144, off, s[0:3], 0 offset:136
	buffer_load_dword v146, off, s[0:3], 0 offset:128
	buffer_load_dword v147, off, s[0:3], 0 offset:120
	buffer_load_dword v145, off, s[0:3], 0 offset:148
	buffer_load_dword v143, off, s[0:3], 0 offset:156
	buffer_load_dword v148, off, s[0:3], 0 offset:164
	buffer_load_dword v149, off, s[0:3], 0 offset:172
	buffer_load_dword v150, off, s[0:3], 0 offset:176
	buffer_load_dword v153, off, s[0:3], 0 offset:168
	buffer_load_dword v155, off, s[0:3], 0 offset:160
	buffer_load_dword v156, off, s[0:3], 0 offset:152
	buffer_load_dword v154, off, s[0:3], 0 offset:180
	buffer_load_dword v152, off, s[0:3], 0 offset:188
	buffer_load_dword v157, off, s[0:3], 0 offset:196
	buffer_load_dword v159, off, s[0:3], 0 offset:204
	buffer_load_dword v161, off, s[0:3], 0 offset:208
	buffer_load_dword v165, off, s[0:3], 0 offset:200
	buffer_load_dword v166, off, s[0:3], 0 offset:192
	buffer_load_dword v167, off, s[0:3], 0 offset:184
	buffer_load_dword v163, off, s[0:3], 0 offset:212
	buffer_load_dword v164, off, s[0:3], 0 offset:220
	buffer_load_dword v168, off, s[0:3], 0 offset:240
	buffer_load_dword v171, off, s[0:3], 0 offset:232
	buffer_load_dword v172, off, s[0:3], 0 offset:224
	buffer_load_dword v175, off, s[0:3], 0 offset:216
	buffer_load_dword v173, off, s[0:3], 0 offset:228
	buffer_load_dword v174, off, s[0:3], 0 offset:236
	buffer_load_dword v170, off, s[0:3], 0 offset:244
	buffer_load_dword v169, off, s[0:3], 0 offset:252
	buffer_load_dword v151, off, s[0:3], 0 offset:272
	buffer_load_dword v158, off, s[0:3], 0 offset:276
	buffer_load_dword v160, off, s[0:3], 0 offset:264
	buffer_load_dword v162, off, s[0:3], 0 offset:256
	buffer_load_dword v176, off, s[0:3], 0 offset:248
	v_mov_b32_e32 v9, 0
	ds_read_b128 v[5:8], v9 offset:528
	ds_read_b128 v[1:4], v9 offset:544
	;; [unrolled: 1-line block ×3, first 2 shown]
	s_clause 0x2
	buffer_load_dword v177, off, s[0:3], 0 offset:260
	buffer_load_dword v178, off, s[0:3], 0 offset:268
	;; [unrolled: 1-line block ×3, first 2 shown]
	ds_read_b128 v[184:187], v9 offset:576
	s_mov_b32 s4, exec_lo
	s_waitcnt vmcnt(54) lgkmcnt(3)
	v_mul_f32_e32 v188, v5, v11
	s_waitcnt vmcnt(53)
	v_mul_f32_e32 v189, v7, v12
	v_mul_f32_e32 v11, v6, v11
	;; [unrolled: 1-line block ×3, first 2 shown]
	s_waitcnt vmcnt(50)
	v_fmac_f32_e32 v188, v6, v133
	v_fmac_f32_e32 v189, v8, v131
	v_fma_f32 v11, v5, v133, -v11
	v_fma_f32 v12, v7, v131, -v12
	ds_read_b128 v[5:8], v9 offset:592
	s_waitcnt vmcnt(49) lgkmcnt(3)
	v_mul_f32_e32 v190, v1, v128
	s_waitcnt vmcnt(48)
	v_mul_f32_e32 v191, v3, v129
	v_mul_f32_e32 v128, v2, v128
	;; [unrolled: 1-line block ×3, first 2 shown]
	s_waitcnt vmcnt(47) lgkmcnt(2)
	v_mul_f32_e32 v192, v180, v132
	v_mul_f32_e32 v131, v181, v132
	v_fmac_f32_e32 v190, v2, v10
	v_fma_f32 v10, v1, v10, -v128
	s_waitcnt vmcnt(46)
	v_mul_f32_e32 v193, v182, v130
	v_mul_f32_e32 v128, v183, v130
	s_waitcnt vmcnt(42)
	v_fmac_f32_e32 v191, v4, v139
	v_fma_f32 v139, v3, v139, -v129
	ds_read_b128 v[1:4], v9 offset:608
	v_fmac_f32_e32 v192, v181, v138
	v_fma_f32 v138, v180, v138, -v131
	v_fmac_f32_e32 v193, v183, v136
	v_fma_f32 v136, v182, v136, -v128
	ds_read_b128 v[128:131], v9 offset:624
	s_waitcnt vmcnt(41) lgkmcnt(3)
	v_mul_f32_e32 v180, v184, v137
	v_mul_f32_e32 v132, v185, v137
	s_waitcnt vmcnt(40)
	v_mul_f32_e32 v137, v186, v135
	v_mul_f32_e32 v133, v187, v135
	s_waitcnt vmcnt(39) lgkmcnt(2)
	v_mul_f32_e32 v181, v5, v140
	v_fmac_f32_e32 v180, v185, v134
	v_fma_f32 v182, v184, v134, -v132
	s_waitcnt vmcnt(38)
	v_mul_f32_e32 v183, v7, v141
	v_mul_f32_e32 v140, v6, v140
	;; [unrolled: 1-line block ×3, first 2 shown]
	s_waitcnt vmcnt(34)
	v_fmac_f32_e32 v137, v187, v147
	v_fma_f32 v147, v186, v147, -v133
	ds_read_b128 v[132:135], v9 offset:640
	v_fmac_f32_e32 v181, v6, v146
	v_fmac_f32_e32 v183, v8, v144
	v_fma_f32 v140, v5, v146, -v140
	v_fma_f32 v141, v7, v144, -v141
	ds_read_b128 v[5:8], v9 offset:656
	s_waitcnt vmcnt(33) lgkmcnt(3)
	v_mul_f32_e32 v144, v1, v145
	v_mul_f32_e32 v145, v2, v145
	s_waitcnt vmcnt(32)
	v_mul_f32_e32 v146, v3, v143
	v_mul_f32_e32 v143, v4, v143
	s_waitcnt vmcnt(31) lgkmcnt(2)
	v_mul_f32_e32 v184, v128, v148
	v_fmac_f32_e32 v144, v2, v142
	v_fma_f32 v142, v1, v142, -v145
	s_waitcnt vmcnt(30)
	v_mul_f32_e32 v145, v130, v149
	v_mul_f32_e32 v149, v131, v149
	;; [unrolled: 1-line block ×3, first 2 shown]
	s_waitcnt vmcnt(26)
	v_fmac_f32_e32 v146, v4, v156
	v_fma_f32 v143, v3, v156, -v143
	v_fmac_f32_e32 v145, v131, v153
	v_fma_f32 v149, v130, v153, -v149
	s_waitcnt vmcnt(25) lgkmcnt(1)
	v_mul_f32_e32 v153, v132, v154
	v_mul_f32_e32 v154, v133, v154
	ds_read_b128 v[1:4], v9 offset:672
	v_fmac_f32_e32 v184, v129, v155
	v_fma_f32 v148, v128, v155, -v148
	s_waitcnt vmcnt(24)
	v_mul_f32_e32 v155, v134, v152
	v_mul_f32_e32 v152, v135, v152
	s_waitcnt vmcnt(23) lgkmcnt(1)
	v_mul_f32_e32 v156, v5, v157
	v_fmac_f32_e32 v153, v133, v150
	v_fma_f32 v132, v132, v150, -v154
	v_mul_f32_e32 v150, v6, v157
	ds_read_b128 v[128:131], v9 offset:688
	s_waitcnt vmcnt(22)
	v_mul_f32_e32 v133, v7, v159
	v_mul_f32_e32 v154, v8, v159
	s_waitcnt vmcnt(18)
	v_fmac_f32_e32 v155, v135, v167
	v_fma_f32 v134, v134, v167, -v152
	v_fmac_f32_e32 v156, v6, v166
	v_fma_f32 v5, v5, v166, -v150
	s_clause 0x5
	buffer_load_dword v135, off, s[0:3], 0 offset:284
	buffer_load_dword v150, off, s[0:3], 0 offset:288
	buffer_load_dword v152, off, s[0:3], 0 offset:292
	buffer_load_dword v157, off, s[0:3], 0 offset:304
	buffer_load_dword v159, off, s[0:3], 0 offset:296
	buffer_load_dword v166, off, s[0:3], 0 offset:280
	v_fmac_f32_e32 v133, v8, v165
	v_fma_f32 v6, v7, v165, -v154
	s_clause 0x1
	buffer_load_dword v154, off, s[0:3], 0 offset:300
	buffer_load_dword v165, off, s[0:3], 0 offset:308
	s_waitcnt vmcnt(25) lgkmcnt(1)
	v_mul_f32_e32 v167, v1, v163
	s_waitcnt vmcnt(24)
	v_mul_f32_e32 v185, v3, v164
	v_mul_f32_e32 v7, v2, v163
	;; [unrolled: 1-line block ×3, first 2 shown]
	buffer_load_dword v163, off, s[0:3], 0 offset:316
	v_fmac_f32_e32 v167, v2, v161
	s_waitcnt vmcnt(21)
	v_fmac_f32_e32 v185, v4, v175
	v_fma_f32 v161, v1, v161, -v7
	v_fma_f32 v164, v3, v175, -v8
	ds_read_b128 v[1:4], v9 offset:704
	s_waitcnt vmcnt(20) lgkmcnt(1)
	v_mul_f32_e32 v175, v128, v173
	s_waitcnt vmcnt(19)
	v_mul_f32_e32 v186, v130, v174
	v_mul_f32_e32 v7, v129, v173
	;; [unrolled: 1-line block ×3, first 2 shown]
	s_clause 0x4
	buffer_load_dword v173, off, s[0:3], 0 offset:336
	buffer_load_dword v174, off, s[0:3], 0 offset:328
	buffer_load_dword v187, off, s[0:3], 0 offset:320
	buffer_load_dword v194, off, s[0:3], 0 offset:312
	buffer_load_dword v195, off, s[0:3], 0 offset:324
	v_fmac_f32_e32 v175, v129, v172
	v_fmac_f32_e32 v186, v131, v171
	v_fma_f32 v172, v128, v172, -v7
	v_add_f32_e32 v7, 0, v188
	v_fma_f32 v171, v130, v171, -v8
	buffer_load_dword v188, off, s[0:3], 0 offset:332
	v_add_f32_e32 v8, 0, v11
	v_add_f32_e32 v7, v7, v189
	buffer_load_dword v189, off, s[0:3], 0 offset:340
	v_add_f32_e32 v8, v8, v12
	v_add_f32_e32 v7, v7, v190
	s_waitcnt vmcnt(25) lgkmcnt(0)
	v_mul_f32_e32 v11, v1, v170
	v_mul_f32_e32 v12, v2, v170
	s_waitcnt vmcnt(24)
	v_mul_f32_e32 v170, v3, v169
	v_mul_f32_e32 v128, v4, v169
	v_fmac_f32_e32 v11, v2, v168
	v_add_f32_e32 v2, v7, v191
	v_fma_f32 v12, v1, v168, -v12
	s_clause 0x2
	buffer_load_dword v168, off, s[0:3], 0 offset:348
	buffer_load_dword v169, off, s[0:3], 0 offset:356
	;; [unrolled: 1-line block ×3, first 2 shown]
	v_add_f32_e32 v1, v8, v10
	buffer_load_dword v191, off, s[0:3], 0 offset:380
	v_add_f32_e32 v2, v2, v192
	s_waitcnt vmcnt(23)
	v_fmac_f32_e32 v170, v4, v176
	v_fma_f32 v10, v3, v176, -v128
	s_clause 0x5
	buffer_load_dword v176, off, s[0:3], 0 offset:372
	buffer_load_dword v192, off, s[0:3], 0 offset:368
	;; [unrolled: 1-line block ×6, first 2 shown]
	v_add_f32_e32 v1, v1, v139
	v_add_f32_e32 v2, v2, v193
	s_clause 0x1
	buffer_load_dword v193, off, s[0:3], 0 offset:396
	buffer_load_dword v200, off, s[0:3], 0 offset:404
	v_add_f32_e32 v1, v1, v138
	v_add_f32_e32 v2, v2, v180
	;; [unrolled: 1-line block ×6, first 2 shown]
	s_clause 0x5
	buffer_load_dword v180, off, s[0:3], 0 offset:412
	buffer_load_dword v182, off, s[0:3], 0 offset:420
	;; [unrolled: 1-line block ×6, first 2 shown]
	v_add_f32_e32 v2, v2, v183
	s_clause 0x3
	buffer_load_dword v183, off, s[0:3], 0 offset:400
	buffer_load_dword v204, off, s[0:3], 0 offset:392
	;; [unrolled: 1-line block ×4, first 2 shown]
	v_add_f32_e32 v1, v1, v147
	v_add_f32_e32 v2, v2, v144
	;; [unrolled: 1-line block ×6, first 2 shown]
	s_clause 0x3
	buffer_load_dword v184, off, s[0:3], 0 offset:432
	buffer_load_dword v207, off, s[0:3], 0 offset:424
	;; [unrolled: 1-line block ×4, first 2 shown]
	v_add_f32_e32 v1, v1, v142
	v_add_f32_e32 v2, v2, v145
	;; [unrolled: 1-line block ×5, first 2 shown]
	s_clause 0x1
	buffer_load_dword v148, off, s[0:3], 0 offset:448
	buffer_load_dword v210, off, s[0:3], 0 offset:440
	v_add_f32_e32 v7, v2, v155
	v_add_f32_e32 v1, v1, v149
	buffer_load_dword v149, off, s[0:3], 0 offset:56
	v_add_f32_e32 v7, v7, v156
	v_add_f32_e32 v1, v1, v132
	;; [unrolled: 1-line block ×4, first 2 shown]
	ds_read_b128 v[1:4], v9 offset:720
	v_add_f32_e32 v128, v128, v167
	v_add_f32_e32 v5, v8, v5
	;; [unrolled: 1-line block ×4, first 2 shown]
	ds_read_b128 v[5:8], v9 offset:736
	v_add_f32_e32 v132, v132, v175
	v_add_f32_e32 v129, v129, v161
	;; [unrolled: 1-line block ×4, first 2 shown]
	s_waitcnt vmcnt(47) lgkmcnt(1)
	v_mul_f32_e32 v136, v1, v177
	s_waitcnt vmcnt(46)
	v_mul_f32_e32 v140, v3, v178
	v_mul_f32_e32 v130, v2, v177
	;; [unrolled: 1-line block ×3, first 2 shown]
	v_add_f32_e32 v133, v133, v172
	v_fmac_f32_e32 v136, v2, v162
	v_fmac_f32_e32 v140, v4, v160
	v_fma_f32 v137, v1, v162, -v130
	v_fma_f32 v141, v3, v160, -v131
	v_add_f32_e32 v139, v133, v171
	ds_read_b128 v[1:4], v9 offset:752
	ds_read_b128 v[128:131], v9 offset:768
	s_waitcnt lgkmcnt(2)
	v_mul_f32_e32 v144, v5, v158
	v_mul_f32_e32 v134, v6, v158
	v_add_f32_e32 v12, v139, v12
	v_add_f32_e32 v11, v138, v11
	v_fmac_f32_e32 v144, v6, v151
	v_fma_f32 v146, v5, v151, -v134
	v_add_f32_e32 v10, v12, v10
	v_add_f32_e32 v11, v11, v170
	;; [unrolled: 1-line block ×8, first 2 shown]
	s_waitcnt vmcnt(44)
	v_mul_f32_e32 v145, v7, v135
	v_mul_f32_e32 v135, v8, v135
	s_waitcnt vmcnt(42) lgkmcnt(1)
	v_mul_f32_e32 v151, v1, v152
	v_mul_f32_e32 v138, v2, v152
	s_waitcnt vmcnt(39)
	v_fmac_f32_e32 v145, v8, v166
	v_fma_f32 v147, v7, v166, -v135
	ds_read_b128 v[5:8], v9 offset:784
	ds_read_b128 v[132:135], v9 offset:800
	s_waitcnt vmcnt(37) lgkmcnt(2)
	v_mul_f32_e32 v153, v128, v165
	v_mul_f32_e32 v142, v129, v165
	;; [unrolled: 1-line block ×3, first 2 shown]
	v_fmac_f32_e32 v151, v2, v150
	v_fma_f32 v150, v1, v150, -v138
	v_fmac_f32_e32 v153, v129, v157
	v_fma_f32 v155, v128, v157, -v142
	v_add_f32_e32 v10, v10, v147
	v_mul_f32_e32 v152, v3, v154
	v_fma_f32 v154, v3, v159, -v139
	s_waitcnt vmcnt(36)
	v_mul_f32_e32 v143, v131, v163
	v_mul_f32_e32 v12, v130, v163
	v_add_f32_e32 v150, v10, v150
	v_fmac_f32_e32 v152, v4, v159
	ds_read_b128 v[1:4], v9 offset:816
	ds_read_b128 v[136:139], v9 offset:832
	s_waitcnt vmcnt(32)
	v_fma_f32 v156, v130, v194, -v143
	v_fmac_f32_e32 v12, v131, v194
	v_add_f32_e32 v150, v150, v154
	s_waitcnt vmcnt(31) lgkmcnt(3)
	v_mul_f32_e32 v157, v5, v195
	v_mul_f32_e32 v144, v6, v195
	ds_read_b128 v[128:131], v9 offset:848
	ds_read_b128 v[140:143], v9 offset:864
	s_waitcnt vmcnt(30)
	v_mul_f32_e32 v146, v8, v188
	v_add_f32_e32 v150, v150, v155
	v_fmac_f32_e32 v157, v6, v187
	v_add_f32_e32 v6, v11, v145
	v_fma_f32 v159, v5, v187, -v144
	v_mul_f32_e32 v158, v7, v188
	v_add_f32_e32 v150, v150, v156
	v_fma_f32 v160, v7, v174, -v146
	v_add_f32_e32 v151, v6, v151
	s_waitcnt vmcnt(29) lgkmcnt(4)
	v_mul_f32_e32 v161, v133, v189
	v_fmac_f32_e32 v158, v8, v174
	v_add_f32_e32 v150, v150, v159
	ds_read_b128 v[5:8], v9 offset:880
	ds_read_b128 v[144:147], v9 offset:896
	ds_read_b64 v[10:11], v9 offset:912
	v_add_f32_e32 v151, v151, v152
	v_mul_f32_e32 v152, v132, v189
	s_waitcnt vmcnt(28)
	v_mul_f32_e32 v162, v135, v168
	v_fma_f32 v132, v132, v173, -v161
	v_add_f32_e32 v150, v150, v160
	v_add_f32_e32 v151, v151, v153
	v_mul_f32_e32 v154, v134, v168
	v_fmac_f32_e32 v152, v133, v173
	s_waitcnt vmcnt(27) lgkmcnt(6)
	v_mul_f32_e32 v153, v1, v169
	v_mul_f32_e32 v161, v2, v169
	v_add_f32_e32 v12, v151, v12
	s_waitcnt vmcnt(20)
	v_fma_f32 v134, v134, v198, -v162
	v_add_f32_e32 v132, v150, v132
	v_fmac_f32_e32 v154, v135, v198
	v_fmac_f32_e32 v153, v2, v197
	v_add_f32_e32 v12, v12, v157
	v_fma_f32 v1, v1, v197, -v161
	v_add_f32_e32 v2, v132, v134
	v_mul_f32_e32 v155, v3, v190
	s_waitcnt lgkmcnt(5)
	v_mul_f32_e32 v132, v137, v176
	v_add_f32_e32 v12, v12, v158
	v_mul_f32_e32 v158, v4, v190
	v_add_f32_e32 v1, v2, v1
	v_mul_f32_e32 v133, v136, v176
	v_fmac_f32_e32 v155, v4, v196
	v_add_f32_e32 v12, v12, v152
	v_fma_f32 v3, v3, v196, -v158
	v_mul_f32_e32 v4, v139, v191
	v_mul_f32_e32 v151, v138, v191
	v_fmac_f32_e32 v133, v137, v192
	v_add_f32_e32 v12, v12, v154
	v_add_f32_e32 v1, v1, v3
	s_waitcnt vmcnt(19) lgkmcnt(4)
	v_mul_f32_e32 v3, v129, v199
	s_waitcnt vmcnt(7)
	v_fma_f32 v4, v138, v206, -v4
	v_mul_f32_e32 v156, v128, v199
	v_add_f32_e32 v2, v12, v153
	v_fma_f32 v12, v136, v192, -v132
	v_fmac_f32_e32 v151, v139, v206
	v_fma_f32 v3, v128, v205, -v3
	v_mul_f32_e32 v135, v130, v193
	v_add_f32_e32 v2, v2, v155
	v_add_f32_e32 v1, v1, v12
	v_mul_f32_e32 v12, v131, v193
	v_fmac_f32_e32 v156, v129, v205
	s_waitcnt lgkmcnt(3)
	v_mul_f32_e32 v162, v140, v200
	v_add_f32_e32 v2, v2, v133
	v_add_f32_e32 v1, v1, v4
	v_mul_f32_e32 v4, v141, v200
	v_fma_f32 v12, v130, v204, -v12
	v_fmac_f32_e32 v135, v131, v204
	v_add_f32_e32 v2, v2, v151
	v_add_f32_e32 v1, v1, v3
	v_mul_f32_e32 v3, v143, v180
	v_fma_f32 v4, v140, v183, -v4
	v_mul_f32_e32 v157, v142, v180
	v_add_f32_e32 v2, v2, v156
	v_add_f32_e32 v1, v1, v12
	v_fmac_f32_e32 v162, v141, v183
	s_waitcnt lgkmcnt(2)
	v_mul_f32_e32 v12, v6, v182
	s_waitcnt vmcnt(3)
	v_fma_f32 v3, v142, v209, -v3
	v_add_f32_e32 v2, v2, v135
	v_add_f32_e32 v1, v1, v4
	v_mul_f32_e32 v159, v5, v182
	v_fmac_f32_e32 v157, v143, v209
	v_mul_f32_e32 v4, v8, v201
	v_add_f32_e32 v2, v2, v162
	v_fma_f32 v5, v5, v208, -v12
	v_add_f32_e32 v1, v1, v3
	v_mul_f32_e32 v163, v7, v201
	v_fmac_f32_e32 v159, v6, v208
	v_add_f32_e32 v2, v2, v157
	s_waitcnt lgkmcnt(1)
	v_mul_f32_e32 v3, v145, v202
	v_fma_f32 v4, v7, v207, -v4
	v_add_f32_e32 v1, v1, v5
	v_mul_f32_e32 v160, v144, v202
	v_fmac_f32_e32 v163, v8, v207
	v_add_f32_e32 v2, v2, v159
	v_mul_f32_e32 v5, v147, v203
	v_fma_f32 v3, v144, v184, -v3
	v_add_f32_e32 v1, v1, v4
	v_mul_f32_e32 v164, v146, v203
	v_fmac_f32_e32 v160, v145, v184
	v_add_f32_e32 v2, v2, v163
	s_waitcnt lgkmcnt(0)
	v_mul_f32_e32 v4, v11, v181
	s_waitcnt vmcnt(1)
	v_fma_f32 v5, v146, v210, -v5
	v_add_f32_e32 v1, v1, v3
	v_mul_f32_e32 v150, v10, v181
	v_fmac_f32_e32 v164, v147, v210
	v_add_f32_e32 v2, v2, v160
	v_fma_f32 v3, v10, v148, -v4
	v_add_f32_e32 v1, v1, v5
	v_fmac_f32_e32 v150, v11, v148
	v_add_f32_e32 v2, v2, v164
	v_add_f32_e32 v1, v1, v3
	;; [unrolled: 1-line block ×3, first 2 shown]
	s_waitcnt vmcnt(0)
	v_sub_f32_e32 v1, v149, v1
	v_sub_f32_e32 v2, v179, v2
	buffer_store_dword v1, off, s[0:3], 0 offset:56
	buffer_store_dword v2, off, s[0:3], 0 offset:60
	v_cmpx_lt_u32_e32 6, v0
	s_cbranch_execz .LBB120_343
; %bb.342:
	s_clause 0x1
	buffer_load_dword v1, off, s[0:3], 0 offset:48
	buffer_load_dword v2, off, s[0:3], 0 offset:52
	buffer_store_dword v9, off, s[0:3], 0 offset:48
	buffer_store_dword v9, off, s[0:3], 0 offset:52
	s_waitcnt vmcnt(0)
	ds_write_b64 v127, v[1:2]
.LBB120_343:
	s_or_b32 exec_lo, exec_lo, s4
	s_waitcnt lgkmcnt(0)
	s_waitcnt_vscnt null, 0x0
	s_barrier
	buffer_gl0_inv
	s_clause 0x35
	buffer_load_dword v1, off, s[0:3], 0 offset:60
	buffer_load_dword v3, off, s[0:3], 0 offset:68
	;; [unrolled: 1-line block ×54, first 2 shown]
	ds_read2_b64 v[172:175], v9 offset0:65 offset1:66
	ds_read2_b64 v[176:179], v9 offset0:67 offset1:68
	;; [unrolled: 1-line block ×4, first 2 shown]
	buffer_load_dword v166, off, s[0:3], 0 offset:52
	s_mov_b32 s4, exec_lo
	s_waitcnt vmcnt(54) lgkmcnt(3)
	v_mul_f32_e32 v188, v172, v1
	v_mul_f32_e32 v1, v173, v1
	s_waitcnt vmcnt(53)
	v_mul_f32_e32 v189, v174, v3
	v_mul_f32_e32 v3, v175, v3
	s_waitcnt vmcnt(52) lgkmcnt(2)
	v_mul_f32_e32 v190, v176, v5
	v_mul_f32_e32 v5, v177, v5
	s_waitcnt vmcnt(49)
	v_fma_f32 v191, v172, v7, -v1
	s_waitcnt vmcnt(48)
	v_mul_f32_e32 v1, v179, v6
	v_fmac_f32_e32 v188, v173, v7
	v_fmac_f32_e32 v189, v175, v4
	v_fma_f32 v193, v174, v4, -v3
	v_fmac_f32_e32 v190, v177, v2
	v_fma_f32 v176, v176, v2, -v5
	s_waitcnt vmcnt(44)
	v_fma_f32 v177, v178, v131, -v1
	ds_read2_b64 v[1:4], v9 offset0:73 offset1:74
	ds_read2_b64 v[172:175], v9 offset0:75 offset1:76
	v_mul_f32_e32 v192, v178, v6
	s_waitcnt vmcnt(43) lgkmcnt(3)
	v_mul_f32_e32 v178, v180, v130
	v_mul_f32_e32 v5, v181, v130
	s_waitcnt vmcnt(42)
	v_mul_f32_e32 v6, v183, v129
	s_waitcnt vmcnt(41) lgkmcnt(2)
	v_mul_f32_e32 v194, v184, v12
	v_fmac_f32_e32 v192, v179, v131
	v_mul_f32_e32 v179, v182, v129
	v_fmac_f32_e32 v178, v181, v11
	v_fma_f32 v11, v180, v11, -v5
	s_waitcnt vmcnt(40)
	v_mul_f32_e32 v180, v186, v128
	v_mul_f32_e32 v5, v185, v12
	;; [unrolled: 1-line block ×3, first 2 shown]
	v_fmac_f32_e32 v179, v183, v10
	v_fma_f32 v10, v182, v10, -v6
	v_fmac_f32_e32 v194, v185, v8
	s_waitcnt vmcnt(36)
	v_fmac_f32_e32 v180, v187, v139
	v_fma_f32 v12, v184, v8, -v5
	v_fma_f32 v139, v186, v139, -v7
	ds_read2_b64 v[5:8], v9 offset0:77 offset1:78
	ds_read2_b64 v[128:131], v9 offset0:79 offset1:80
	s_waitcnt vmcnt(35) lgkmcnt(3)
	v_mul_f32_e32 v181, v1, v138
	v_mul_f32_e32 v138, v2, v138
	s_waitcnt vmcnt(34)
	v_mul_f32_e32 v182, v3, v137
	v_mul_f32_e32 v137, v4, v137
	s_waitcnt vmcnt(33) lgkmcnt(2)
	v_mul_f32_e32 v183, v172, v135
	v_fmac_f32_e32 v181, v2, v134
	v_fma_f32 v138, v1, v134, -v138
	s_waitcnt vmcnt(32)
	v_mul_f32_e32 v184, v174, v136
	v_mul_f32_e32 v1, v173, v135
	v_mul_f32_e32 v2, v175, v136
	v_fmac_f32_e32 v182, v4, v133
	v_fma_f32 v136, v3, v133, -v137
	v_fmac_f32_e32 v183, v173, v132
	s_waitcnt vmcnt(28)
	v_fmac_f32_e32 v184, v175, v146
	v_fma_f32 v137, v172, v132, -v1
	v_fma_f32 v146, v174, v146, -v2
	ds_read2_b64 v[1:4], v9 offset0:81 offset1:82
	ds_read2_b64 v[132:135], v9 offset0:83 offset1:84
	s_waitcnt vmcnt(27) lgkmcnt(3)
	v_mul_f32_e32 v172, v5, v145
	v_mul_f32_e32 v145, v6, v145
	s_waitcnt vmcnt(26)
	v_mul_f32_e32 v173, v7, v144
	v_mul_f32_e32 v144, v8, v144
	s_waitcnt vmcnt(25) lgkmcnt(2)
	v_mul_f32_e32 v174, v128, v143
	v_mul_f32_e32 v143, v129, v143
	v_fmac_f32_e32 v172, v6, v142
	v_fma_f32 v142, v5, v142, -v145
	s_waitcnt vmcnt(24)
	v_mul_f32_e32 v145, v130, v147
	v_mul_f32_e32 v5, v131, v147
	v_fmac_f32_e32 v173, v8, v141
	v_fma_f32 v141, v7, v141, -v144
	v_fmac_f32_e32 v174, v129, v140
	v_fma_f32 v140, v128, v140, -v143
	s_waitcnt vmcnt(20)
	v_fmac_f32_e32 v145, v131, v154
	v_fma_f32 v143, v130, v154, -v5
	ds_read2_b64 v[5:8], v9 offset0:85 offset1:86
	ds_read2_b64 v[128:131], v9 offset0:87 offset1:88
	s_waitcnt vmcnt(19) lgkmcnt(3)
	v_mul_f32_e32 v147, v2, v153
	v_mul_f32_e32 v144, v1, v153
	s_waitcnt vmcnt(18)
	v_mul_f32_e32 v153, v3, v152
	v_mul_f32_e32 v152, v4, v152
	s_waitcnt vmcnt(17) lgkmcnt(2)
	v_mul_f32_e32 v154, v132, v151
	v_fma_f32 v147, v1, v150, -v147
	s_waitcnt vmcnt(16)
	v_mul_f32_e32 v1, v135, v155
	v_mul_f32_e32 v151, v133, v151
	v_fmac_f32_e32 v144, v2, v150
	v_mul_f32_e32 v150, v134, v155
	v_fmac_f32_e32 v153, v4, v149
	v_fma_f32 v149, v3, v149, -v152
	s_clause 0x4
	buffer_load_dword v152, off, s[0:3], 0 offset:276
	buffer_load_dword v155, off, s[0:3], 0 offset:296
	;; [unrolled: 1-line block ×5, first 2 shown]
	v_fmac_f32_e32 v154, v133, v148
	s_waitcnt vmcnt(17)
	v_fma_f32 v133, v134, v163, -v1
	ds_read2_b64 v[1:4], v9 offset0:89 offset1:90
	v_fmac_f32_e32 v150, v135, v163
	v_fma_f32 v132, v132, v148, -v151
	s_waitcnt vmcnt(16) lgkmcnt(2)
	v_mul_f32_e32 v134, v5, v161
	v_mul_f32_e32 v135, v6, v161
	s_waitcnt vmcnt(15)
	v_mul_f32_e32 v148, v7, v160
	v_mul_f32_e32 v151, v8, v160
	buffer_load_dword v160, off, s[0:3], 0 offset:292
	v_fmac_f32_e32 v134, v6, v159
	v_fma_f32 v135, v5, v159, -v135
	buffer_load_dword v159, off, s[0:3], 0 offset:284
	v_fmac_f32_e32 v148, v8, v157
	v_fma_f32 v151, v7, v157, -v151
	s_waitcnt vmcnt(16) lgkmcnt(1)
	v_mul_f32_e32 v157, v128, v158
	v_mul_f32_e32 v5, v129, v158
	s_waitcnt vmcnt(15)
	v_mul_f32_e32 v6, v131, v162
	v_mul_f32_e32 v158, v130, v162
	v_fmac_f32_e32 v157, v129, v156
	v_fma_f32 v156, v128, v156, -v5
	s_waitcnt vmcnt(10)
	v_fma_f32 v161, v130, v171, -v6
	ds_read2_b64 v[5:8], v9 offset0:91 offset1:92
	s_waitcnt vmcnt(9) lgkmcnt(1)
	v_mul_f32_e32 v162, v1, v170
	v_mul_f32_e32 v128, v2, v170
	s_waitcnt vmcnt(8)
	v_mul_f32_e32 v187, v3, v169
	v_fmac_f32_e32 v158, v131, v171
	s_clause 0x2
	buffer_load_dword v163, off, s[0:3], 0 offset:300
	buffer_load_dword v170, off, s[0:3], 0 offset:308
	;; [unrolled: 1-line block ×3, first 2 shown]
	v_fmac_f32_e32 v162, v2, v168
	v_fma_f32 v168, v1, v168, -v128
	v_mul_f32_e32 v1, v4, v169
	v_fmac_f32_e32 v187, v4, v167
	v_add_f32_e32 v2, 0, v191
	s_clause 0x3
	buffer_load_dword v169, off, s[0:3], 0 offset:328
	buffer_load_dword v195, off, s[0:3], 0 offset:320
	;; [unrolled: 1-line block ×4, first 2 shown]
	v_fma_f32 v167, v3, v167, -v1
	v_add_f32_e32 v1, 0, v188
	v_add_f32_e32 v2, v2, v193
	buffer_load_dword v188, off, s[0:3], 0 offset:324
	v_add_f32_e32 v1, v1, v189
	v_add_f32_e32 v2, v2, v176
	s_waitcnt lgkmcnt(0)
	v_mul_f32_e32 v3, v6, v165
	v_add_f32_e32 v1, v1, v190
	s_clause 0x1
	buffer_load_dword v189, off, s[0:3], 0 offset:332
	buffer_load_dword v190, off, s[0:3], 0 offset:340
	v_add_f32_e32 v2, v2, v177
	v_add_f32_e32 v1, v1, v192
	;; [unrolled: 1-line block ×3, first 2 shown]
	v_fma_f32 v11, v5, v164, -v3
	v_add_f32_e32 v1, v1, v178
	s_clause 0x5
	buffer_load_dword v176, off, s[0:3], 0 offset:360
	buffer_load_dword v177, off, s[0:3], 0 offset:352
	;; [unrolled: 1-line block ×6, first 2 shown]
	v_add_f32_e32 v2, v2, v10
	v_add_f32_e32 v1, v1, v179
	buffer_load_dword v179, off, s[0:3], 0 offset:348
	v_mul_f32_e32 v10, v5, v165
	v_add_f32_e32 v2, v2, v12
	v_add_f32_e32 v1, v1, v194
	v_fmac_f32_e32 v10, v6, v164
	v_add_f32_e32 v2, v2, v139
	v_add_f32_e32 v1, v1, v180
	s_clause 0x2
	buffer_load_dword v180, off, s[0:3], 0 offset:372
	buffer_load_dword v194, off, s[0:3], 0 offset:380
	buffer_load_dword v198, off, s[0:3], 0 offset:388
	v_add_f32_e32 v2, v2, v138
	v_add_f32_e32 v1, v1, v181
	s_clause 0x2
	buffer_load_dword v181, off, s[0:3], 0 offset:396
	buffer_load_dword v199, off, s[0:3], 0 offset:404
	buffer_load_dword v200, off, s[0:3], 0 offset:412
	;; [unrolled: 6-line block ×3, first 2 shown]
	buffer_load_dword v203, off, s[0:3], 0 offset:452
	v_add_f32_e32 v2, v2, v137
	v_add_f32_e32 v1, v1, v183
	buffer_load_dword v183, off, s[0:3], 0 offset:444
	v_add_f32_e32 v2, v2, v146
	v_add_f32_e32 v1, v1, v184
	;; [unrolled: 1-line block ×4, first 2 shown]
	s_clause 0x3
	buffer_load_dword v172, off, s[0:3], 0 offset:392
	buffer_load_dword v184, off, s[0:3], 0 offset:384
	;; [unrolled: 1-line block ×4, first 2 shown]
	v_add_f32_e32 v2, v2, v141
	v_add_f32_e32 v1, v1, v173
	;; [unrolled: 1-line block ×4, first 2 shown]
	s_clause 0x7
	buffer_load_dword v173, off, s[0:3], 0 offset:424
	buffer_load_dword v174, off, s[0:3], 0 offset:416
	;; [unrolled: 1-line block ×8, first 2 shown]
	v_add_f32_e32 v2, v2, v143
	v_add_f32_e32 v1, v1, v145
	;; [unrolled: 1-line block ×8, first 2 shown]
	ds_read2_b64 v[1:4], v9 offset0:93 offset1:94
	v_add_f32_e32 v12, v5, v133
	v_add_f32_e32 v128, v6, v150
	;; [unrolled: 1-line block ×4, first 2 shown]
	ds_read2_b64 v[128:131], v9 offset0:97 offset1:98
	v_add_f32_e32 v12, v12, v151
	v_add_f32_e32 v132, v132, v148
	;; [unrolled: 1-line block ×3, first 2 shown]
	s_waitcnt vmcnt(46)
	v_mul_f32_e32 v144, v7, v152
	v_mul_f32_e32 v5, v8, v152
	s_waitcnt vmcnt(42)
	v_fmac_f32_e32 v144, v8, v186
	v_fma_f32 v145, v7, v186, -v5
	ds_read2_b64 v[5:8], v9 offset0:95 offset1:96
	s_waitcnt vmcnt(41) lgkmcnt(2)
	v_mul_f32_e32 v136, v4, v160
	s_waitcnt vmcnt(40)
	v_mul_f32_e32 v133, v2, v159
	v_mul_f32_e32 v146, v1, v159
	v_fma_f32 v151, v3, v175, -v136
	v_fma_f32 v147, v1, v185, -v133
	v_add_f32_e32 v1, v132, v157
	v_fmac_f32_e32 v146, v2, v185
	v_add_f32_e32 v2, v12, v161
	ds_read2_b64 v[132:135], v9 offset0:99 offset1:100
	v_mul_f32_e32 v12, v3, v160
	v_add_f32_e32 v1, v1, v158
	v_add_f32_e32 v2, v2, v168
	s_waitcnt vmcnt(39) lgkmcnt(1)
	v_mul_f32_e32 v137, v6, v163
	v_mul_f32_e32 v148, v5, v163
	v_add_f32_e32 v1, v1, v162
	s_waitcnt vmcnt(37)
	v_mul_f32_e32 v150, v128, v171
	v_fmac_f32_e32 v12, v4, v175
	v_fma_f32 v152, v5, v155, -v137
	v_add_f32_e32 v5, v2, v167
	v_fmac_f32_e32 v148, v6, v155
	v_add_f32_e32 v6, v1, v187
	v_mul_f32_e32 v140, v8, v170
	v_mul_f32_e32 v141, v129, v171
	v_add_f32_e32 v11, v5, v11
	s_waitcnt vmcnt(34)
	v_fmac_f32_e32 v150, v129, v196
	v_add_f32_e32 v10, v6, v10
	v_mul_f32_e32 v149, v7, v170
	s_waitcnt vmcnt(33)
	v_fma_f32 v153, v7, v197, -v140
	v_add_f32_e32 v11, v11, v145
	ds_read2_b64 v[1:4], v9 offset0:101 offset1:102
	ds_read2_b64 v[136:139], v9 offset0:103 offset1:104
	v_add_f32_e32 v10, v10, v144
	v_fmac_f32_e32 v149, v8, v197
	v_fma_f32 v154, v128, v196, -v141
	s_waitcnt vmcnt(31) lgkmcnt(2)
	v_mul_f32_e32 v156, v132, v189
	v_add_f32_e32 v11, v11, v147
	s_waitcnt vmcnt(30)
	v_mul_f32_e32 v157, v134, v190
	v_add_f32_e32 v10, v10, v146
	v_mul_f32_e32 v129, v133, v189
	v_fmac_f32_e32 v156, v133, v169
	v_add_f32_e32 v133, v11, v151
	v_mul_f32_e32 v158, v135, v190
	v_mul_f32_e32 v128, v131, v188
	;; [unrolled: 1-line block ×3, first 2 shown]
	v_fma_f32 v132, v132, v169, -v129
	s_waitcnt vmcnt(26)
	v_fmac_f32_e32 v157, v135, v191
	v_add_f32_e32 v135, v10, v12
	v_add_f32_e32 v133, v133, v152
	v_fma_f32 v159, v130, v195, -v128
	v_fmac_f32_e32 v155, v131, v195
	v_fma_f32 v134, v134, v191, -v158
	v_add_f32_e32 v135, v135, v148
	v_add_f32_e32 v133, v133, v153
	s_waitcnt vmcnt(23) lgkmcnt(1)
	v_mul_f32_e32 v152, v2, v179
	ds_read2_b64 v[5:8], v9 offset0:105 offset1:106
	ds_read2_b64 v[140:143], v9 offset0:107 offset1:108
	v_mul_f32_e32 v151, v1, v179
	v_add_f32_e32 v135, v135, v149
	v_add_f32_e32 v133, v133, v154
	v_mul_f32_e32 v158, v4, v192
	v_fma_f32 v1, v1, v178, -v152
	v_mul_f32_e32 v148, v3, v192
	v_add_f32_e32 v135, v135, v150
	v_add_f32_e32 v133, v133, v159
	v_fmac_f32_e32 v151, v2, v178
	v_fma_f32 v3, v3, v177, -v158
	s_waitcnt lgkmcnt(2)
	v_mul_f32_e32 v153, v136, v193
	v_add_f32_e32 v135, v135, v155
	v_add_f32_e32 v132, v133, v132
	v_fmac_f32_e32 v148, v4, v177
	s_waitcnt vmcnt(22)
	v_mul_f32_e32 v149, v138, v180
	v_fmac_f32_e32 v153, v137, v176
	v_add_f32_e32 v135, v135, v156
	v_add_f32_e32 v132, v132, v134
	ds_read2_b64 v[128:131], v9 offset0:109 offset1:110
	ds_read2_b64 v[144:147], v9 offset0:111 offset1:112
	s_waitcnt vmcnt(21) lgkmcnt(3)
	v_mul_f32_e32 v160, v5, v194
	s_waitcnt vmcnt(20)
	v_mul_f32_e32 v154, v7, v198
	v_add_f32_e32 v134, v135, v157
	v_mul_f32_e32 v135, v137, v193
	v_add_f32_e32 v1, v132, v1
	v_mul_f32_e32 v132, v139, v180
	s_waitcnt vmcnt(19) lgkmcnt(2)
	v_mul_f32_e32 v150, v140, v181
	v_add_f32_e32 v4, v134, v151
	v_fma_f32 v134, v136, v176, -v135
	v_add_f32_e32 v1, v1, v3
	s_waitcnt vmcnt(9)
	v_fmac_f32_e32 v160, v6, v204
	s_waitcnt vmcnt(8)
	v_fma_f32 v132, v138, v205, -v132
	v_add_f32_e32 v3, v4, v148
	v_mul_f32_e32 v4, v6, v194
	v_add_f32_e32 v1, v1, v134
	v_fmac_f32_e32 v149, v139, v205
	v_mul_f32_e32 v134, v8, v198
	v_add_f32_e32 v3, v3, v153
	v_fma_f32 v4, v5, v204, -v4
	v_add_f32_e32 v1, v1, v132
	v_mul_f32_e32 v5, v141, v181
	v_fma_f32 v6, v7, v184, -v134
	v_add_f32_e32 v3, v3, v149
	v_fmac_f32_e32 v154, v8, v184
	v_add_f32_e32 v1, v1, v4
	v_mul_f32_e32 v4, v143, v199
	v_fma_f32 v5, v140, v172, -v5
	v_add_f32_e32 v3, v3, v160
	v_mul_f32_e32 v161, v142, v199
	v_add_f32_e32 v1, v1, v6
	v_fmac_f32_e32 v150, v141, v172
	ds_read2_b64 v[9:12], v9 offset0:113 offset1:114
	v_add_f32_e32 v3, v3, v154
	s_waitcnt lgkmcnt(2)
	v_mul_f32_e32 v6, v129, v200
	s_waitcnt vmcnt(4)
	v_fma_f32 v4, v142, v207, -v4
	v_add_f32_e32 v1, v1, v5
	v_mul_f32_e32 v159, v128, v200
	v_fmac_f32_e32 v161, v143, v207
	v_add_f32_e32 v3, v3, v150
	v_mul_f32_e32 v5, v131, v182
	v_fma_f32 v6, v128, v206, -v6
	v_add_f32_e32 v1, v1, v4
	v_mul_f32_e32 v155, v130, v182
	v_fmac_f32_e32 v159, v129, v206
	v_add_f32_e32 v3, v3, v161
	s_waitcnt lgkmcnt(1)
	v_mul_f32_e32 v4, v145, v201
	v_fma_f32 v5, v130, v174, -v5
	v_add_f32_e32 v1, v1, v6
	v_mul_f32_e32 v162, v144, v201
	v_fmac_f32_e32 v155, v131, v174
	v_add_f32_e32 v3, v3, v159
	v_mul_f32_e32 v6, v147, v202
	v_fma_f32 v4, v144, v173, -v4
	v_add_f32_e32 v1, v1, v5
	v_mul_f32_e32 v133, v146, v202
	v_fmac_f32_e32 v162, v145, v173
	v_add_f32_e32 v3, v3, v155
	s_waitcnt lgkmcnt(0)
	v_mul_f32_e32 v5, v10, v183
	s_waitcnt vmcnt(1)
	v_fma_f32 v6, v146, v210, -v6
	v_add_f32_e32 v1, v1, v4
	v_mul_f32_e32 v156, v9, v183
	v_fmac_f32_e32 v133, v147, v210
	v_add_f32_e32 v3, v3, v162
	v_mul_f32_e32 v4, v12, v203
	v_fma_f32 v5, v9, v209, -v5
	v_add_f32_e32 v1, v1, v6
	v_mul_f32_e32 v2, v11, v203
	v_fmac_f32_e32 v156, v10, v209
	v_add_f32_e32 v3, v3, v133
	v_fma_f32 v4, v11, v208, -v4
	v_add_f32_e32 v1, v1, v5
	v_fmac_f32_e32 v2, v12, v208
	v_add_f32_e32 v3, v3, v156
	v_add_f32_e32 v1, v1, v4
	;; [unrolled: 1-line block ×3, first 2 shown]
	s_waitcnt vmcnt(0)
	v_sub_f32_e32 v1, v211, v1
	v_sub_f32_e32 v2, v166, v2
	buffer_store_dword v1, off, s[0:3], 0 offset:48
	buffer_store_dword v2, off, s[0:3], 0 offset:52
	v_cmpx_lt_u32_e32 5, v0
	s_cbranch_execz .LBB120_345
; %bb.344:
	s_clause 0x1
	buffer_load_dword v1, off, s[0:3], 0 offset:40
	buffer_load_dword v2, off, s[0:3], 0 offset:44
	v_mov_b32_e32 v3, 0
	buffer_store_dword v3, off, s[0:3], 0 offset:40
	buffer_store_dword v3, off, s[0:3], 0 offset:44
	s_waitcnt vmcnt(0)
	ds_write_b64 v127, v[1:2]
.LBB120_345:
	s_or_b32 exec_lo, exec_lo, s4
	s_waitcnt lgkmcnt(0)
	s_waitcnt_vscnt null, 0x0
	s_barrier
	buffer_gl0_inv
	s_clause 0x35
	buffer_load_dword v2, off, s[0:3], 0 offset:52
	buffer_load_dword v4, off, s[0:3], 0 offset:60
	;; [unrolled: 1-line block ×54, first 2 shown]
	v_mov_b32_e32 v1, 0
	ds_read_b128 v[172:175], v1 offset:512
	ds_read_b128 v[176:179], v1 offset:528
	buffer_load_dword v169, off, s[0:3], 0 offset:44
	ds_read_b128 v[180:183], v1 offset:544
	ds_read_b128 v[184:187], v1 offset:560
	s_mov_b32 s4, exec_lo
	s_waitcnt vmcnt(54) lgkmcnt(3)
	v_mul_f32_e32 v188, v172, v2
	v_mul_f32_e32 v2, v173, v2
	s_waitcnt vmcnt(53)
	v_mul_f32_e32 v189, v174, v4
	v_mul_f32_e32 v4, v175, v4
	s_waitcnt vmcnt(52) lgkmcnt(2)
	v_mul_f32_e32 v190, v176, v6
	v_mul_f32_e32 v6, v177, v6
	s_waitcnt vmcnt(49)
	v_fma_f32 v191, v172, v8, -v2
	s_waitcnt vmcnt(48)
	v_mul_f32_e32 v2, v179, v7
	v_fmac_f32_e32 v188, v173, v8
	v_fmac_f32_e32 v189, v175, v5
	v_fma_f32 v193, v174, v5, -v4
	v_fmac_f32_e32 v190, v177, v3
	v_fma_f32 v176, v176, v3, -v6
	s_waitcnt vmcnt(44)
	v_fma_f32 v177, v178, v131, -v2
	ds_read_b128 v[2:5], v1 offset:576
	ds_read_b128 v[172:175], v1 offset:592
	v_mul_f32_e32 v192, v178, v7
	s_waitcnt vmcnt(43) lgkmcnt(3)
	v_mul_f32_e32 v178, v180, v129
	v_mul_f32_e32 v6, v181, v129
	s_waitcnt vmcnt(42)
	v_mul_f32_e32 v7, v183, v130
	s_waitcnt vmcnt(41) lgkmcnt(2)
	v_mul_f32_e32 v194, v184, v128
	v_fmac_f32_e32 v192, v179, v131
	v_mul_f32_e32 v179, v182, v130
	v_mul_f32_e32 v8, v185, v128
	v_fmac_f32_e32 v178, v181, v11
	v_fma_f32 v11, v180, v11, -v6
	s_waitcnt vmcnt(40)
	v_mul_f32_e32 v180, v186, v12
	v_mul_f32_e32 v6, v187, v12
	v_fmac_f32_e32 v179, v183, v10
	v_fma_f32 v10, v182, v10, -v7
	v_fmac_f32_e32 v194, v185, v9
	v_fma_f32 v12, v184, v9, -v8
	s_waitcnt vmcnt(36)
	v_fmac_f32_e32 v180, v187, v139
	v_fma_f32 v139, v186, v139, -v6
	ds_read_b128 v[6:9], v1 offset:608
	ds_read_b128 v[128:131], v1 offset:624
	s_waitcnt vmcnt(35) lgkmcnt(3)
	v_mul_f32_e32 v181, v2, v138
	v_mul_f32_e32 v138, v3, v138
	s_waitcnt vmcnt(34)
	v_mul_f32_e32 v182, v4, v137
	v_mul_f32_e32 v137, v5, v137
	s_waitcnt vmcnt(33) lgkmcnt(2)
	v_mul_f32_e32 v183, v172, v135
	v_fmac_f32_e32 v181, v3, v134
	v_fma_f32 v138, v2, v134, -v138
	s_waitcnt vmcnt(32)
	v_mul_f32_e32 v184, v174, v136
	v_mul_f32_e32 v2, v173, v135
	;; [unrolled: 1-line block ×3, first 2 shown]
	v_fmac_f32_e32 v182, v5, v133
	v_fma_f32 v136, v4, v133, -v137
	v_fmac_f32_e32 v183, v173, v132
	s_waitcnt vmcnt(28)
	v_fmac_f32_e32 v184, v175, v147
	v_fma_f32 v137, v172, v132, -v2
	v_fma_f32 v147, v174, v147, -v3
	ds_read_b128 v[2:5], v1 offset:640
	ds_read_b128 v[132:135], v1 offset:656
	s_waitcnt vmcnt(27) lgkmcnt(3)
	v_mul_f32_e32 v172, v6, v146
	v_mul_f32_e32 v146, v7, v146
	s_waitcnt vmcnt(26)
	v_mul_f32_e32 v173, v8, v145
	v_mul_f32_e32 v145, v9, v145
	s_waitcnt vmcnt(25) lgkmcnt(2)
	v_mul_f32_e32 v174, v128, v144
	v_fmac_f32_e32 v172, v7, v142
	v_fma_f32 v142, v6, v142, -v146
	v_fmac_f32_e32 v173, v9, v141
	v_fma_f32 v141, v8, v141, -v145
	s_clause 0x4
	buffer_load_dword v145, off, s[0:3], 0 offset:268
	buffer_load_dword v146, off, s[0:3], 0 offset:288
	buffer_load_dword v175, off, s[0:3], 0 offset:280
	buffer_load_dword v185, off, s[0:3], 0 offset:272
	buffer_load_dword v186, off, s[0:3], 0 offset:264
	v_mul_f32_e32 v144, v129, v144
	s_waitcnt vmcnt(29)
	v_mul_f32_e32 v6, v131, v143
	v_mul_f32_e32 v187, v130, v143
	v_fmac_f32_e32 v174, v129, v140
	v_fma_f32 v128, v128, v140, -v144
	s_waitcnt vmcnt(24)
	v_fma_f32 v130, v130, v156, -v6
	ds_read_b128 v[6:9], v1 offset:672
	buffer_load_dword v144, off, s[0:3], 0 offset:276
	s_waitcnt lgkmcnt(2)
	v_mul_f32_e32 v129, v2, v148
	v_mul_f32_e32 v140, v3, v148
	v_fmac_f32_e32 v187, v131, v156
	s_waitcnt vmcnt(24)
	v_mul_f32_e32 v131, v4, v154
	v_mul_f32_e32 v143, v5, v154
	v_fmac_f32_e32 v129, v3, v152
	v_fma_f32 v140, v2, v152, -v140
	s_waitcnt vmcnt(23) lgkmcnt(1)
	v_mul_f32_e32 v148, v132, v151
	v_mul_f32_e32 v2, v133, v151
	s_waitcnt vmcnt(22)
	v_mul_f32_e32 v3, v135, v155
	v_fmac_f32_e32 v131, v5, v150
	v_fma_f32 v143, v4, v150, -v143
	s_clause 0x1
	buffer_load_dword v150, off, s[0:3], 0 offset:284
	buffer_load_dword v151, off, s[0:3], 0 offset:292
	v_mul_f32_e32 v152, v134, v155
	v_fmac_f32_e32 v148, v133, v149
	v_fma_f32 v132, v132, v149, -v2
	s_clause 0x1
	buffer_load_dword v149, off, s[0:3], 0 offset:300
	buffer_load_dword v154, off, s[0:3], 0 offset:308
	v_add_f32_e32 v133, 0, v188
	s_waitcnt vmcnt(22)
	v_fma_f32 v134, v134, v163, -v3
	ds_read_b128 v[2:5], v1 offset:688
	v_fmac_f32_e32 v152, v135, v163
	s_waitcnt vmcnt(21) lgkmcnt(1)
	v_mul_f32_e32 v135, v6, v162
	v_mul_f32_e32 v155, v7, v162
	v_add_f32_e32 v133, v133, v189
	v_add_f32_e32 v162, 0, v191
	s_waitcnt vmcnt(20)
	v_mul_f32_e32 v156, v8, v161
	v_mul_f32_e32 v161, v9, v161
	v_fmac_f32_e32 v135, v7, v160
	v_fma_f32 v155, v6, v160, -v155
	v_add_f32_e32 v6, v162, v193
	v_add_f32_e32 v7, v133, v190
	v_fmac_f32_e32 v156, v9, v159
	v_fma_f32 v159, v8, v159, -v161
	s_clause 0x3
	buffer_load_dword v160, off, s[0:3], 0 offset:320
	buffer_load_dword v161, off, s[0:3], 0 offset:312
	;; [unrolled: 1-line block ×4, first 2 shown]
	v_add_f32_e32 v6, v6, v176
	v_add_f32_e32 v133, v7, v192
	s_clause 0x2
	buffer_load_dword v176, off, s[0:3], 0 offset:316
	buffer_load_dword v188, off, s[0:3], 0 offset:324
	;; [unrolled: 1-line block ×3, first 2 shown]
	v_add_f32_e32 v177, v6, v177
	ds_read_b128 v[6:9], v1 offset:704
	v_add_f32_e32 v133, v133, v178
	s_waitcnt vmcnt(26) lgkmcnt(1)
	v_mul_f32_e32 v178, v2, v157
	v_mul_f32_e32 v157, v3, v157
	v_add_f32_e32 v11, v177, v11
	s_waitcnt vmcnt(25)
	v_mul_f32_e32 v177, v4, v158
	v_mul_f32_e32 v158, v5, v158
	v_fmac_f32_e32 v178, v3, v153
	v_add_f32_e32 v3, v133, v179
	v_fma_f32 v133, v2, v153, -v157
	v_add_f32_e32 v2, v11, v10
	s_waitcnt vmcnt(20)
	v_fmac_f32_e32 v177, v5, v171
	v_fma_f32 v153, v4, v171, -v158
	v_add_f32_e32 v10, v3, v194
	s_clause 0x4
	buffer_load_dword v157, off, s[0:3], 0 offset:352
	buffer_load_dword v158, off, s[0:3], 0 offset:344
	;; [unrolled: 1-line block ×5, first 2 shown]
	v_add_f32_e32 v12, v2, v12
	ds_read_b128 v[2:5], v1 offset:720
	v_add_f32_e32 v10, v10, v180
	s_clause 0x1
	buffer_load_dword v180, off, s[0:3], 0 offset:348
	buffer_load_dword v191, off, s[0:3], 0 offset:356
	s_waitcnt vmcnt(26) lgkmcnt(1)
	v_mul_f32_e32 v190, v6, v170
	v_mul_f32_e32 v170, v7, v170
	v_add_f32_e32 v12, v12, v139
	v_add_f32_e32 v10, v10, v181
	buffer_load_dword v181, off, s[0:3], 0 offset:364
	v_fmac_f32_e32 v190, v7, v168
	v_fma_f32 v139, v6, v168, -v170
	s_waitcnt vmcnt(26)
	v_mul_f32_e32 v168, v8, v167
	v_add_f32_e32 v7, v10, v182
	v_mul_f32_e32 v10, v9, v167
	v_add_f32_e32 v6, v12, v138
	s_clause 0x2
	buffer_load_dword v12, off, s[0:3], 0 offset:372
	buffer_load_dword v170, off, s[0:3], 0 offset:380
	;; [unrolled: 1-line block ×3, first 2 shown]
	v_add_f32_e32 v7, v7, v183
	v_fmac_f32_e32 v168, v9, v166
	v_fma_f32 v10, v8, v166, -v10
	s_clause 0x1
	buffer_load_dword v166, off, s[0:3], 0 offset:396
	buffer_load_dword v182, off, s[0:3], 0 offset:404
	v_add_f32_e32 v6, v6, v136
	v_add_f32_e32 v7, v7, v184
	s_clause 0x2
	buffer_load_dword v183, off, s[0:3], 0 offset:412
	buffer_load_dword v184, off, s[0:3], 0 offset:420
	;; [unrolled: 1-line block ×3, first 2 shown]
	s_waitcnt lgkmcnt(0)
	v_mul_f32_e32 v136, v2, v165
	v_mul_f32_e32 v8, v3, v165
	v_add_f32_e32 v6, v6, v137
	v_add_f32_e32 v7, v7, v172
	s_clause 0x2
	buffer_load_dword v172, off, s[0:3], 0 offset:436
	buffer_load_dword v193, off, s[0:3], 0 offset:444
	;; [unrolled: 1-line block ×3, first 2 shown]
	v_fmac_f32_e32 v136, v3, v164
	v_fma_f32 v137, v2, v164, -v8
	v_add_f32_e32 v6, v6, v147
	v_add_f32_e32 v7, v7, v173
	s_clause 0x3
	buffer_load_dword v173, off, s[0:3], 0 offset:384
	buffer_load_dword v195, off, s[0:3], 0 offset:376
	;; [unrolled: 1-line block ×4, first 2 shown]
	v_add_f32_e32 v6, v6, v142
	v_add_f32_e32 v7, v7, v174
	;; [unrolled: 1-line block ×4, first 2 shown]
	s_clause 0x8
	buffer_load_dword v174, off, s[0:3], 0 offset:416
	buffer_load_dword v187, off, s[0:3], 0 offset:408
	;; [unrolled: 1-line block ×9, first 2 shown]
	v_add_f32_e32 v6, v6, v128
	v_add_f32_e32 v7, v7, v129
	;; [unrolled: 1-line block ×11, first 2 shown]
	ds_read_b128 v[6:9], v1 offset:736
	v_add_f32_e32 v132, v128, v156
	v_add_f32_e32 v129, v3, v155
	;; [unrolled: 1-line block ×4, first 2 shown]
	ds_read_b128 v[128:131], v1 offset:768
	v_add_f32_e32 v138, v132, v177
	v_add_f32_e32 v133, v134, v133
	s_waitcnt vmcnt(48)
	v_mul_f32_e32 v140, v4, v145
	v_mul_f32_e32 v2, v5, v145
	s_waitcnt vmcnt(44)
	v_fmac_f32_e32 v140, v5, v186
	v_fma_f32 v141, v4, v186, -v2
	ds_read_b128 v[2:5], v1 offset:752
	s_waitcnt vmcnt(43) lgkmcnt(2)
	v_mul_f32_e32 v135, v7, v144
	v_mul_f32_e32 v145, v6, v144
	v_fma_f32 v144, v6, v185, -v135
	v_add_f32_e32 v6, v133, v153
	v_fmac_f32_e32 v145, v7, v185
	v_add_f32_e32 v7, v138, v190
	ds_read_b128 v[132:135], v1 offset:784
	v_add_f32_e32 v6, v6, v139
	s_waitcnt vmcnt(42)
	v_mul_f32_e32 v147, v8, v150
	v_add_f32_e32 v7, v7, v168
	s_waitcnt vmcnt(41) lgkmcnt(1)
	v_mul_f32_e32 v148, v2, v151
	v_mul_f32_e32 v139, v3, v151
	v_add_f32_e32 v6, v6, v10
	s_waitcnt vmcnt(39)
	v_mul_f32_e32 v143, v129, v154
	v_mul_f32_e32 v138, v9, v150
	v_fmac_f32_e32 v148, v3, v146
	v_mul_f32_e32 v150, v4, v149
	v_add_f32_e32 v3, v6, v137
	v_mul_f32_e32 v142, v5, v149
	v_mul_f32_e32 v149, v128, v154
	v_fma_f32 v151, v2, v146, -v139
	v_add_f32_e32 v2, v7, v136
	v_fma_f32 v10, v8, v175, -v138
	v_fmac_f32_e32 v147, v9, v175
	ds_read_b128 v[6:9], v1 offset:800
	ds_read_b128 v[136:139], v1 offset:816
	s_waitcnt vmcnt(36)
	v_fma_f32 v153, v128, v162, -v143
	v_add_f32_e32 v128, v3, v141
	v_fmac_f32_e32 v149, v129, v162
	v_add_f32_e32 v129, v2, v140
	s_waitcnt vmcnt(35)
	v_fma_f32 v152, v4, v163, -v142
	v_fmac_f32_e32 v150, v5, v163
	v_add_f32_e32 v128, v128, v144
	s_waitcnt vmcnt(34)
	v_mul_f32_e32 v154, v130, v176
	v_add_f32_e32 v129, v129, v145
	v_mul_f32_e32 v145, v131, v176
	s_waitcnt vmcnt(33) lgkmcnt(2)
	v_mul_f32_e32 v155, v132, v188
	v_add_f32_e32 v10, v128, v10
	v_mul_f32_e32 v144, v133, v188
	v_add_f32_e32 v129, v129, v147
	v_fmac_f32_e32 v154, v131, v161
	v_fma_f32 v161, v130, v161, -v145
	v_add_f32_e32 v151, v10, v151
	s_waitcnt vmcnt(32)
	v_mul_f32_e32 v159, v135, v189
	v_add_f32_e32 v148, v129, v148
	v_fmac_f32_e32 v155, v133, v160
	v_fma_f32 v160, v132, v160, -v144
	v_add_f32_e32 v151, v151, v152
	v_mul_f32_e32 v156, v134, v189
	v_add_f32_e32 v148, v148, v150
	s_waitcnt vmcnt(28)
	v_fma_f32 v159, v134, v11, -v159
	s_waitcnt vmcnt(27) lgkmcnt(1)
	v_mul_f32_e32 v162, v7, v179
	v_add_f32_e32 v151, v151, v153
	ds_read_b128 v[2:5], v1 offset:832
	ds_read_b128 v[140:143], v1 offset:848
	v_add_f32_e32 v148, v148, v149
	v_fmac_f32_e32 v156, v135, v11
	v_mul_f32_e32 v150, v6, v179
	v_add_f32_e32 v151, v151, v161
	s_waitcnt vmcnt(26)
	v_mul_f32_e32 v163, v9, v180
	v_add_f32_e32 v148, v148, v154
	v_fma_f32 v6, v6, v171, -v162
	v_mul_f32_e32 v152, v8, v180
	v_add_f32_e32 v151, v151, v160
	v_fmac_f32_e32 v150, v7, v171
	v_add_f32_e32 v148, v148, v155
	s_waitcnt vmcnt(25) lgkmcnt(2)
	v_mul_f32_e32 v162, v137, v191
	v_fma_f32 v8, v8, v158, -v163
	v_add_f32_e32 v151, v151, v159
	v_mul_f32_e32 v149, v136, v191
	v_add_f32_e32 v148, v148, v156
	v_fmac_f32_e32 v152, v9, v158
	s_waitcnt vmcnt(24)
	v_mul_f32_e32 v156, v139, v181
	v_add_f32_e32 v6, v151, v6
	v_fma_f32 v136, v136, v157, -v162
	v_add_f32_e32 v148, v148, v150
	v_mul_f32_e32 v153, v138, v181
	v_fmac_f32_e32 v149, v137, v157
	v_add_f32_e32 v6, v6, v8
	s_waitcnt vmcnt(23) lgkmcnt(1)
	v_mul_f32_e32 v7, v2, v12
	v_add_f32_e32 v8, v148, v152
	v_mul_f32_e32 v12, v3, v12
	ds_read_b128 v[128:131], v1 offset:864
	ds_read_b128 v[144:147], v1 offset:880
	v_add_f32_e32 v6, v6, v136
	s_waitcnt vmcnt(9)
	v_fma_f32 v137, v138, v197, -v156
	v_fmac_f32_e32 v153, v139, v197
	v_add_f32_e32 v8, v8, v149
	v_mul_f32_e32 v136, v5, v170
	v_fmac_f32_e32 v7, v3, v196
	v_fma_f32 v2, v2, v196, -v12
	v_add_f32_e32 v3, v6, v137
	v_mul_f32_e32 v154, v4, v170
	v_add_f32_e32 v6, v8, v153
	s_waitcnt lgkmcnt(2)
	v_mul_f32_e32 v8, v141, v167
	v_fma_f32 v4, v4, v195, -v136
	v_add_f32_e32 v2, v3, v2
	v_mul_f32_e32 v161, v140, v167
	v_fmac_f32_e32 v154, v5, v195
	v_add_f32_e32 v3, v6, v7
	v_mul_f32_e32 v5, v143, v166
	v_fma_f32 v6, v140, v173, -v8
	v_add_f32_e32 v2, v2, v4
	v_mul_f32_e32 v9, v142, v166
	v_fmac_f32_e32 v161, v141, v173
	v_add_f32_e32 v3, v3, v154
	s_waitcnt lgkmcnt(1)
	v_mul_f32_e32 v4, v129, v182
	s_waitcnt vmcnt(5)
	v_fma_f32 v5, v142, v199, -v5
	v_add_f32_e32 v2, v2, v6
	ds_read_b128 v[132:135], v1 offset:896
	ds_read_b64 v[10:11], v1 offset:912
	v_mul_f32_e32 v158, v128, v182
	v_fmac_f32_e32 v9, v143, v199
	v_add_f32_e32 v3, v3, v161
	v_mul_f32_e32 v6, v131, v183
	v_fma_f32 v4, v128, v198, -v4
	v_add_f32_e32 v2, v2, v5
	v_mul_f32_e32 v155, v130, v183
	v_fmac_f32_e32 v158, v129, v198
	v_add_f32_e32 v3, v3, v9
	s_waitcnt lgkmcnt(2)
	v_mul_f32_e32 v5, v145, v184
	v_fma_f32 v6, v130, v187, -v6
	v_add_f32_e32 v2, v2, v4
	v_mul_f32_e32 v160, v144, v184
	v_fmac_f32_e32 v155, v131, v187
	v_add_f32_e32 v3, v3, v158
	v_mul_f32_e32 v4, v147, v192
	v_fma_f32 v5, v144, v174, -v5
	v_add_f32_e32 v2, v2, v6
	v_mul_f32_e32 v163, v146, v192
	v_fmac_f32_e32 v160, v145, v174
	v_add_f32_e32 v3, v3, v155
	s_waitcnt lgkmcnt(1)
	v_mul_f32_e32 v6, v133, v172
	s_waitcnt vmcnt(1)
	v_fma_f32 v4, v146, v203, -v4
	v_add_f32_e32 v2, v2, v5
	v_mul_f32_e32 v159, v132, v172
	v_fmac_f32_e32 v163, v147, v203
	v_add_f32_e32 v3, v3, v160
	v_mul_f32_e32 v5, v135, v193
	v_fma_f32 v6, v132, v202, -v6
	v_add_f32_e32 v2, v2, v4
	v_mul_f32_e32 v164, v134, v193
	v_fmac_f32_e32 v159, v133, v202
	v_add_f32_e32 v3, v3, v163
	s_waitcnt lgkmcnt(0)
	v_mul_f32_e32 v4, v11, v194
	v_fma_f32 v5, v134, v201, -v5
	v_add_f32_e32 v2, v2, v6
	v_mul_f32_e32 v150, v10, v194
	v_fmac_f32_e32 v164, v135, v201
	v_add_f32_e32 v3, v3, v159
	v_fma_f32 v4, v10, v200, -v4
	v_add_f32_e32 v2, v2, v5
	v_fmac_f32_e32 v150, v11, v200
	v_add_f32_e32 v3, v3, v164
	v_add_f32_e32 v2, v2, v4
	;; [unrolled: 1-line block ×3, first 2 shown]
	s_waitcnt vmcnt(0)
	v_sub_f32_e32 v2, v204, v2
	v_sub_f32_e32 v3, v169, v3
	buffer_store_dword v2, off, s[0:3], 0 offset:40
	buffer_store_dword v3, off, s[0:3], 0 offset:44
	v_cmpx_lt_u32_e32 4, v0
	s_cbranch_execz .LBB120_347
; %bb.346:
	s_clause 0x1
	buffer_load_dword v2, off, s[0:3], 0 offset:32
	buffer_load_dword v3, off, s[0:3], 0 offset:36
	buffer_store_dword v1, off, s[0:3], 0 offset:32
	buffer_store_dword v1, off, s[0:3], 0 offset:36
	s_waitcnt vmcnt(0)
	ds_write_b64 v127, v[2:3]
.LBB120_347:
	s_or_b32 exec_lo, exec_lo, s4
	s_waitcnt lgkmcnt(0)
	s_waitcnt_vscnt null, 0x0
	s_barrier
	buffer_gl0_inv
	s_clause 0x3b
	buffer_load_dword v163, off, s[0:3], 0 offset:44
	buffer_load_dword v2, off, s[0:3], 0 offset:56
	buffer_load_dword v4, off, s[0:3], 0 offset:48
	buffer_load_dword v7, off, s[0:3], 0 offset:40
	buffer_load_dword v6, off, s[0:3], 0 offset:52
	buffer_load_dword v5, off, s[0:3], 0 offset:60
	buffer_load_dword v3, off, s[0:3], 0 offset:68
	buffer_load_dword v8, off, s[0:3], 0 offset:88
	buffer_load_dword v10, off, s[0:3], 0 offset:80
	buffer_load_dword v12, off, s[0:3], 0 offset:72
	buffer_load_dword v130, off, s[0:3], 0 offset:64
	buffer_load_dword v129, off, s[0:3], 0 offset:76
	buffer_load_dword v128, off, s[0:3], 0 offset:84
	buffer_load_dword v11, off, s[0:3], 0 offset:92
	buffer_load_dword v9, off, s[0:3], 0 offset:100
	buffer_load_dword v131, off, s[0:3], 0 offset:120
	buffer_load_dword v133, off, s[0:3], 0 offset:112
	buffer_load_dword v135, off, s[0:3], 0 offset:104
	buffer_load_dword v138, off, s[0:3], 0 offset:96
	buffer_load_dword v137, off, s[0:3], 0 offset:108
	buffer_load_dword v136, off, s[0:3], 0 offset:116
	buffer_load_dword v134, off, s[0:3], 0 offset:124
	buffer_load_dword v132, off, s[0:3], 0 offset:132
	buffer_load_dword v139, off, s[0:3], 0 offset:152
	buffer_load_dword v140, off, s[0:3], 0 offset:144
	buffer_load_dword v142, off, s[0:3], 0 offset:136
	buffer_load_dword v145, off, s[0:3], 0 offset:128
	buffer_load_dword v144, off, s[0:3], 0 offset:140
	buffer_load_dword v143, off, s[0:3], 0 offset:148
	buffer_load_dword v141, off, s[0:3], 0 offset:156
	buffer_load_dword v146, off, s[0:3], 0 offset:164
	buffer_load_dword v147, off, s[0:3], 0 offset:184
	buffer_load_dword v148, off, s[0:3], 0 offset:176
	buffer_load_dword v150, off, s[0:3], 0 offset:168
	buffer_load_dword v154, off, s[0:3], 0 offset:160
	buffer_load_dword v152, off, s[0:3], 0 offset:172
	buffer_load_dword v151, off, s[0:3], 0 offset:180
	buffer_load_dword v149, off, s[0:3], 0 offset:188
	buffer_load_dword v153, off, s[0:3], 0 offset:196
	buffer_load_dword v155, off, s[0:3], 0 offset:216
	buffer_load_dword v158, off, s[0:3], 0 offset:208
	buffer_load_dword v159, off, s[0:3], 0 offset:200
	buffer_load_dword v162, off, s[0:3], 0 offset:192
	buffer_load_dword v161, off, s[0:3], 0 offset:204
	buffer_load_dword v160, off, s[0:3], 0 offset:212
	buffer_load_dword v156, off, s[0:3], 0 offset:220
	buffer_load_dword v157, off, s[0:3], 0 offset:228
	buffer_load_dword v164, off, s[0:3], 0 offset:248
	buffer_load_dword v165, off, s[0:3], 0 offset:252
	buffer_load_dword v166, off, s[0:3], 0 offset:240
	buffer_load_dword v168, off, s[0:3], 0 offset:232
	buffer_load_dword v171, off, s[0:3], 0 offset:224
	buffer_load_dword v170, off, s[0:3], 0 offset:236
	buffer_load_dword v169, off, s[0:3], 0 offset:244
	buffer_load_dword v167, off, s[0:3], 0 offset:260
	buffer_load_dword v172, off, s[0:3], 0 offset:280
	buffer_load_dword v173, off, s[0:3], 0 offset:272
	buffer_load_dword v174, off, s[0:3], 0 offset:264
	buffer_load_dword v176, off, s[0:3], 0 offset:256
	buffer_load_dword v175, off, s[0:3], 0 offset:268
	ds_read2_b64 v[177:180], v1 offset0:63 offset1:64
	ds_read2_b64 v[181:184], v1 offset0:65 offset1:66
	;; [unrolled: 1-line block ×3, first 2 shown]
	s_mov_b32 s4, exec_lo
	s_waitcnt vmcnt(59) lgkmcnt(2)
	v_mul_f32_e32 v189, v177, v163
	v_mul_f32_e32 v190, v178, v163
	buffer_load_dword v163, off, s[0:3], 0 offset:36
	s_waitcnt vmcnt(56)
	v_mul_f32_e32 v191, v179, v6
	v_mul_f32_e32 v6, v180, v6
	v_fmac_f32_e32 v189, v178, v7
	v_fma_f32 v190, v177, v7, -v190
	s_waitcnt vmcnt(55) lgkmcnt(1)
	v_mul_f32_e32 v193, v181, v5
	v_fmac_f32_e32 v191, v180, v4
	v_fma_f32 v192, v179, v4, -v6
	v_mul_f32_e32 v177, v182, v5
	ds_read2_b64 v[4:7], v1 offset0:69 offset1:70
	v_fmac_f32_e32 v193, v182, v2
	s_waitcnt vmcnt(49) lgkmcnt(1)
	v_mul_f32_e32 v197, v185, v129
	v_mul_f32_e32 v195, v183, v3
	v_fma_f32 v194, v181, v2, -v177
	v_mul_f32_e32 v2, v184, v3
	ds_read2_b64 v[177:180], v1 offset0:71 offset1:72
	v_fmac_f32_e32 v197, v186, v12
	v_fmac_f32_e32 v195, v184, v130
	v_fma_f32 v196, v183, v130, -v2
	v_mul_f32_e32 v2, v186, v129
	ds_read2_b64 v[181:184], v1 offset0:73 offset1:74
	v_fma_f32 v12, v185, v12, -v2
	s_waitcnt vmcnt(48)
	v_mul_f32_e32 v185, v187, v128
	v_mul_f32_e32 v2, v188, v128
	s_waitcnt vmcnt(47) lgkmcnt(2)
	v_mul_f32_e32 v186, v4, v11
	v_fmac_f32_e32 v185, v188, v10
	v_fma_f32 v10, v187, v10, -v2
	v_mul_f32_e32 v2, v5, v11
	s_waitcnt vmcnt(46)
	v_mul_f32_e32 v187, v6, v9
	v_fmac_f32_e32 v186, v5, v8
	s_waitcnt vmcnt(41) lgkmcnt(1)
	v_mul_f32_e32 v188, v177, v137
	v_fma_f32 v11, v4, v8, -v2
	v_mul_f32_e32 v2, v7, v9
	v_fmac_f32_e32 v187, v7, v138
	v_fmac_f32_e32 v188, v178, v135
	s_waitcnt vmcnt(39) lgkmcnt(0)
	v_mul_f32_e32 v128, v182, v134
	v_fma_f32 v138, v6, v138, -v2
	v_mul_f32_e32 v6, v178, v137
	ds_read2_b64 v[2:5], v1 offset0:75 offset1:76
	v_mul_f32_e32 v137, v179, v136
	v_fma_f32 v135, v177, v135, -v6
	v_mul_f32_e32 v6, v180, v136
	v_fmac_f32_e32 v137, v180, v133
	v_mul_f32_e32 v136, v181, v134
	v_fma_f32 v134, v181, v131, -v128
	s_waitcnt vmcnt(38)
	v_mul_f32_e32 v177, v183, v132
	v_fma_f32 v133, v179, v133, -v6
	ds_read2_b64 v[6:9], v1 offset0:77 offset1:78
	v_mul_f32_e32 v128, v184, v132
	v_fmac_f32_e32 v136, v182, v131
	s_waitcnt vmcnt(34)
	v_fmac_f32_e32 v177, v184, v145
	v_fma_f32 v132, v183, v145, -v128
	ds_read2_b64 v[128:131], v1 offset0:79 offset1:80
	s_waitcnt vmcnt(33) lgkmcnt(2)
	v_mul_f32_e32 v145, v2, v144
	v_mul_f32_e32 v144, v3, v144
	v_fmac_f32_e32 v145, v3, v142
	v_fma_f32 v142, v2, v142, -v144
	s_waitcnt vmcnt(32)
	v_mul_f32_e32 v144, v4, v143
	v_mul_f32_e32 v2, v5, v143
	s_waitcnt vmcnt(31) lgkmcnt(1)
	v_mul_f32_e32 v143, v6, v141
	v_fmac_f32_e32 v144, v5, v140
	v_fma_f32 v140, v4, v140, -v2
	v_mul_f32_e32 v2, v7, v141
	s_waitcnt vmcnt(30)
	v_mul_f32_e32 v141, v8, v146
	v_mul_f32_e32 v146, v9, v146
	v_fmac_f32_e32 v143, v7, v139
	v_fma_f32 v139, v6, v139, -v2
	ds_read2_b64 v[2:5], v1 offset0:81 offset1:82
	s_waitcnt vmcnt(26)
	v_fmac_f32_e32 v141, v9, v154
	v_fma_f32 v146, v8, v154, -v146
	ds_read2_b64 v[6:9], v1 offset0:83 offset1:84
	s_waitcnt vmcnt(25) lgkmcnt(2)
	v_mul_f32_e32 v154, v128, v152
	v_mul_f32_e32 v152, v129, v152
	v_fmac_f32_e32 v154, v129, v150
	s_waitcnt vmcnt(24)
	v_mul_f32_e32 v129, v130, v151
	v_fma_f32 v128, v128, v150, -v152
	v_mul_f32_e32 v150, v131, v151
	buffer_load_dword v152, off, s[0:3], 0 offset:284
	v_fmac_f32_e32 v129, v131, v148
	buffer_load_dword v131, off, s[0:3], 0 offset:276
	v_fma_f32 v130, v130, v148, -v150
	s_waitcnt vmcnt(25) lgkmcnt(1)
	v_mul_f32_e32 v148, v2, v149
	v_mul_f32_e32 v149, v3, v149
	s_waitcnt vmcnt(24)
	v_mul_f32_e32 v150, v4, v153
	v_mul_f32_e32 v151, v5, v153
	v_fmac_f32_e32 v148, v3, v147
	v_fma_f32 v147, v2, v147, -v149
	s_waitcnt vmcnt(20)
	v_fmac_f32_e32 v150, v5, v162
	v_fma_f32 v149, v4, v162, -v151
	ds_read2_b64 v[2:5], v1 offset0:85 offset1:86
	s_waitcnt vmcnt(19) lgkmcnt(1)
	v_mul_f32_e32 v151, v6, v161
	v_mul_f32_e32 v153, v7, v161
	s_waitcnt vmcnt(18)
	v_mul_f32_e32 v161, v8, v160
	v_mul_f32_e32 v160, v9, v160
	buffer_load_dword v162, off, s[0:3], 0 offset:292
	v_fmac_f32_e32 v151, v7, v159
	v_fma_f32 v153, v6, v159, -v153
	v_add_f32_e32 v6, 0, v189
	v_add_f32_e32 v7, 0, v190
	v_fmac_f32_e32 v161, v9, v158
	v_fma_f32 v158, v8, v158, -v160
	s_clause 0x3
	buffer_load_dword v159, off, s[0:3], 0 offset:312
	buffer_load_dword v160, off, s[0:3], 0 offset:304
	;; [unrolled: 1-line block ×4, first 2 shown]
	v_add_f32_e32 v6, v6, v191
	v_add_f32_e32 v7, v7, v192
	s_clause 0x3
	buffer_load_dword v180, off, s[0:3], 0 offset:300
	buffer_load_dword v181, off, s[0:3], 0 offset:308
	;; [unrolled: 1-line block ×4, first 2 shown]
	v_add_f32_e32 v6, v6, v193
	v_add_f32_e32 v7, v7, v194
	s_waitcnt vmcnt(26) lgkmcnt(0)
	v_mul_f32_e32 v184, v2, v156
	v_mul_f32_e32 v8, v3, v156
	s_waitcnt vmcnt(25)
	v_mul_f32_e32 v156, v4, v157
	v_add_f32_e32 v6, v6, v195
	v_add_f32_e32 v7, v7, v196
	v_mul_f32_e32 v9, v5, v157
	v_fmac_f32_e32 v184, v3, v155
	v_fma_f32 v155, v2, v155, -v8
	v_add_f32_e32 v6, v6, v197
	v_add_f32_e32 v7, v7, v12
	s_waitcnt vmcnt(20)
	v_fmac_f32_e32 v156, v5, v171
	v_fma_f32 v157, v4, v171, -v9
	ds_read2_b64 v[2:5], v1 offset0:87 offset1:88
	v_add_f32_e32 v6, v6, v185
	v_add_f32_e32 v7, v7, v10
	s_clause 0x3
	buffer_load_dword v12, off, s[0:3], 0 offset:344
	buffer_load_dword v171, off, s[0:3], 0 offset:336
	;; [unrolled: 1-line block ×4, first 2 shown]
	v_add_f32_e32 v6, v6, v186
	v_add_f32_e32 v10, v7, v11
	s_clause 0x2
	buffer_load_dword v11, off, s[0:3], 0 offset:332
	buffer_load_dword v185, off, s[0:3], 0 offset:340
	;; [unrolled: 1-line block ×3, first 2 shown]
	v_add_f32_e32 v187, v6, v187
	ds_read2_b64 v[6:9], v1 offset0:89 offset1:90
	v_add_f32_e32 v10, v10, v138
	v_add_f32_e32 v187, v187, v188
	;; [unrolled: 1-line block ×3, first 2 shown]
	s_waitcnt vmcnt(26) lgkmcnt(1)
	v_mul_f32_e32 v138, v2, v170
	v_mul_f32_e32 v170, v3, v170
	s_waitcnt vmcnt(25)
	v_mul_f32_e32 v135, v5, v169
	v_mul_f32_e32 v188, v4, v169
	v_fmac_f32_e32 v138, v3, v168
	v_fma_f32 v168, v2, v168, -v170
	v_add_f32_e32 v2, v187, v137
	v_add_f32_e32 v3, v10, v133
	v_fma_f32 v137, v4, v166, -v135
	s_clause 0x3
	buffer_load_dword v10, off, s[0:3], 0 offset:356
	buffer_load_dword v169, off, s[0:3], 0 offset:364
	buffer_load_dword v170, off, s[0:3], 0 offset:372
	buffer_load_dword v187, off, s[0:3], 0 offset:380
	v_fmac_f32_e32 v188, v5, v166
	v_add_f32_e32 v2, v2, v136
	v_add_f32_e32 v3, v3, v134
	s_waitcnt lgkmcnt(0)
	v_mul_f32_e32 v136, v6, v165
	v_mul_f32_e32 v4, v7, v165
	s_clause 0x3
	buffer_load_dword v166, off, s[0:3], 0 offset:388
	buffer_load_dword v191, off, s[0:3], 0 offset:396
	buffer_load_dword v192, off, s[0:3], 0 offset:404
	buffer_load_dword v193, off, s[0:3], 0 offset:412
	v_add_f32_e32 v2, v2, v177
	v_add_f32_e32 v3, v3, v132
	s_clause 0x4
	buffer_load_dword v177, off, s[0:3], 0 offset:420
	buffer_load_dword v194, off, s[0:3], 0 offset:428
	;; [unrolled: 1-line block ×5, first 2 shown]
	v_fmac_f32_e32 v136, v7, v164
	v_add_f32_e32 v2, v2, v145
	v_add_f32_e32 v3, v3, v142
	v_fma_f32 v142, v6, v164, -v4
	s_clause 0x3
	buffer_load_dword v164, off, s[0:3], 0 offset:376
	buffer_load_dword v197, off, s[0:3], 0 offset:368
	;; [unrolled: 1-line block ×4, first 2 shown]
	v_add_f32_e32 v6, v2, v144
	v_add_f32_e32 v2, v3, v140
	v_add_f32_e32 v6, v6, v143
	v_add_f32_e32 v7, v2, v139
	s_waitcnt vmcnt(41)
	v_mul_f32_e32 v2, v9, v167
	v_mul_f32_e32 v139, v8, v167
	v_add_f32_e32 v6, v6, v141
	v_add_f32_e32 v7, v7, v146
	s_waitcnt vmcnt(37)
	v_fma_f32 v140, v8, v176, -v2
	ds_read2_b64 v[2:5], v1 offset0:91 offset1:92
	v_fmac_f32_e32 v139, v9, v176
	s_clause 0x3
	buffer_load_dword v167, off, s[0:3], 0 offset:408
	buffer_load_dword v176, off, s[0:3], 0 offset:400
	;; [unrolled: 1-line block ×4, first 2 shown]
	v_add_f32_e32 v7, v7, v128
	v_add_f32_e32 v6, v6, v154
	;; [unrolled: 1-line block ×4, first 2 shown]
	ds_read2_b64 v[6:9], v1 offset0:93 offset1:94
	v_add_f32_e32 v128, v128, v147
	v_add_f32_e32 v129, v129, v148
	s_waitcnt vmcnt(40) lgkmcnt(1)
	v_mul_f32_e32 v141, v2, v175
	v_mul_f32_e32 v130, v3, v175
	v_fmac_f32_e32 v141, v3, v174
	v_fma_f32 v143, v2, v174, -v130
	v_add_f32_e32 v2, v128, v149
	v_add_f32_e32 v3, v129, v150
	s_clause 0x3
	buffer_load_dword v148, off, s[0:3], 0 offset:440
	buffer_load_dword v149, off, s[0:3], 0 offset:432
	buffer_load_dword v150, off, s[0:3], 0 offset:424
	buffer_load_dword v154, off, s[0:3], 0 offset:416
	v_add_f32_e32 v2, v2, v153
	buffer_load_dword v153, off, s[0:3], 0 offset:448
	v_add_f32_e32 v3, v3, v151
	buffer_load_dword v151, off, s[0:3], 0 offset:32
	v_add_f32_e32 v2, v2, v158
	v_add_f32_e32 v129, v3, v161
	;; [unrolled: 1-line block ×13, first 2 shown]
	s_waitcnt vmcnt(44) lgkmcnt(0)
	v_mul_f32_e32 v146, v6, v152
	v_mul_f32_e32 v134, v7, v152
	s_waitcnt vmcnt(43)
	v_mul_f32_e32 v144, v4, v131
	v_mul_f32_e32 v128, v5, v131
	v_fmac_f32_e32 v146, v7, v172
	v_fma_f32 v152, v6, v172, -v134
	v_fmac_f32_e32 v144, v5, v173
	v_fma_f32 v145, v4, v173, -v128
	ds_read2_b64 v[2:5], v1 offset0:95 offset1:96
	ds_read2_b64 v[128:131], v1 offset0:97 offset1:98
	v_add_f32_e32 v173, v140, v143
	v_add_f32_e32 v145, v173, v145
	s_waitcnt vmcnt(42)
	v_mul_f32_e32 v147, v8, v162
	v_mul_f32_e32 v135, v9, v162
	s_waitcnt vmcnt(38)
	v_fmac_f32_e32 v147, v9, v179
	v_fma_f32 v156, v8, v179, -v135
	ds_read2_b64 v[6:9], v1 offset0:99 offset1:100
	ds_read2_b64 v[132:135], v1 offset0:101 offset1:102
	s_waitcnt vmcnt(36) lgkmcnt(3)
	v_mul_f32_e32 v158, v4, v181
	v_mul_f32_e32 v161, v5, v181
	;; [unrolled: 1-line block ×4, first 2 shown]
	s_waitcnt vmcnt(35) lgkmcnt(2)
	v_mul_f32_e32 v162, v128, v182
	v_fmac_f32_e32 v158, v5, v160
	v_fma_f32 v160, v4, v160, -v161
	v_add_f32_e32 v161, v136, v139
	v_fma_f32 v157, v2, v178, -v157
	v_fmac_f32_e32 v155, v3, v178
	v_mul_f32_e32 v142, v129, v182
	s_waitcnt vmcnt(34)
	v_mul_f32_e32 v172, v131, v183
	v_add_f32_e32 v161, v161, v141
	v_fmac_f32_e32 v162, v129, v159
	v_mul_f32_e32 v168, v130, v183
	v_fma_f32 v159, v128, v159, -v142
	ds_read2_b64 v[2:5], v1 offset0:103 offset1:104
	ds_read2_b64 v[136:139], v1 offset0:105 offset1:106
	v_add_f32_e32 v144, v161, v144
	s_waitcnt vmcnt(30)
	v_fma_f32 v172, v130, v190, -v172
	v_fmac_f32_e32 v168, v131, v190
	v_add_f32_e32 v144, v144, v146
	s_waitcnt vmcnt(29) lgkmcnt(3)
	v_mul_f32_e32 v173, v6, v11
	v_mul_f32_e32 v11, v7, v11
	s_waitcnt vmcnt(28)
	v_mul_f32_e32 v161, v8, v185
	v_mul_f32_e32 v174, v9, v185
	ds_read2_b64 v[128:131], v1 offset0:107 offset1:108
	ds_read2_b64 v[140:143], v1 offset0:109 offset1:110
	v_fmac_f32_e32 v173, v7, v189
	v_add_f32_e32 v7, v145, v152
	v_fmac_f32_e32 v161, v9, v171
	v_fma_f32 v152, v8, v171, -v174
	v_add_f32_e32 v171, v144, v147
	v_fma_f32 v11, v6, v189, -v11
	v_add_f32_e32 v156, v7, v156
	ds_read2_b64 v[6:9], v1 offset0:111 offset1:112
	ds_read2_b64 v[144:147], v1 offset0:113 offset1:114
	s_waitcnt vmcnt(27) lgkmcnt(6)
	v_mul_f32_e32 v1, v132, v186
	v_add_f32_e32 v155, v171, v155
	v_add_f32_e32 v156, v156, v157
	v_mul_f32_e32 v157, v133, v186
	v_fmac_f32_e32 v1, v133, v12
	v_add_f32_e32 v155, v155, v158
	v_add_f32_e32 v156, v156, v160
	s_waitcnt vmcnt(26)
	v_mul_f32_e32 v171, v134, v10
	v_mul_f32_e32 v10, v135, v10
	v_add_f32_e32 v155, v155, v162
	v_fma_f32 v12, v132, v12, -v157
	v_add_f32_e32 v156, v156, v159
	s_waitcnt vmcnt(25) lgkmcnt(5)
	v_mul_f32_e32 v160, v2, v169
	s_waitcnt vmcnt(24)
	v_mul_f32_e32 v158, v4, v170
	v_add_f32_e32 v155, v155, v168
	s_waitcnt vmcnt(23) lgkmcnt(4)
	v_mul_f32_e32 v174, v136, v187
	v_add_f32_e32 v156, v156, v172
	s_waitcnt vmcnt(22)
	v_mul_f32_e32 v159, v138, v166
	s_waitcnt vmcnt(21) lgkmcnt(3)
	v_mul_f32_e32 v162, v128, v191
	v_add_f32_e32 v155, v155, v173
	s_waitcnt vmcnt(20)
	v_mul_f32_e32 v175, v130, v192
	v_add_f32_e32 v11, v156, v11
	s_waitcnt vmcnt(12)
	v_fmac_f32_e32 v158, v5, v197
	s_waitcnt vmcnt(11)
	v_fmac_f32_e32 v160, v3, v198
	v_add_f32_e32 v133, v155, v161
	s_waitcnt vmcnt(10)
	v_fma_f32 v10, v134, v199, -v10
	v_add_f32_e32 v11, v11, v152
	v_mul_f32_e32 v152, v3, v169
	v_fmac_f32_e32 v171, v135, v199
	v_add_f32_e32 v1, v133, v1
	v_fmac_f32_e32 v174, v137, v164
	v_add_f32_e32 v11, v11, v12
	v_mul_f32_e32 v12, v5, v170
	v_fma_f32 v2, v2, v198, -v152
	v_add_f32_e32 v1, v1, v171
	s_waitcnt lgkmcnt(2)
	v_mul_f32_e32 v172, v140, v193
	v_add_f32_e32 v3, v11, v10
	v_mul_f32_e32 v10, v137, v187
	v_fma_f32 v4, v4, v197, -v12
	v_add_f32_e32 v1, v1, v160
	s_waitcnt vmcnt(7)
	v_fmac_f32_e32 v162, v129, v200
	v_add_f32_e32 v2, v3, v2
	v_mul_f32_e32 v3, v139, v166
	v_fma_f32 v5, v136, v164, -v10
	v_add_f32_e32 v1, v1, v158
	s_waitcnt vmcnt(6)
	v_fmac_f32_e32 v159, v139, v201
	v_add_f32_e32 v2, v2, v4
	v_mul_f32_e32 v4, v129, v191
	v_fma_f32 v3, v138, v201, -v3
	v_add_f32_e32 v1, v1, v174
	v_fmac_f32_e32 v175, v131, v176
	v_add_f32_e32 v2, v2, v5
	v_mul_f32_e32 v5, v131, v192
	v_fma_f32 v4, v128, v200, -v4
	v_add_f32_e32 v1, v1, v159
	v_mul_f32_e32 v168, v142, v177
	v_add_f32_e32 v2, v2, v3
	v_mul_f32_e32 v3, v141, v193
	v_fma_f32 v5, v130, v176, -v5
	v_add_f32_e32 v1, v1, v162
	v_fmac_f32_e32 v172, v141, v167
	v_add_f32_e32 v2, v2, v4
	v_mul_f32_e32 v4, v143, v177
	v_fma_f32 v3, v140, v167, -v3
	v_add_f32_e32 v1, v1, v175
	s_waitcnt lgkmcnt(1)
	v_mul_f32_e32 v178, v6, v194
	v_add_f32_e32 v2, v2, v5
	v_mul_f32_e32 v5, v7, v194
	s_waitcnt vmcnt(2)
	v_fma_f32 v4, v142, v154, -v4
	v_fmac_f32_e32 v168, v143, v154
	v_add_f32_e32 v1, v1, v172
	v_add_f32_e32 v2, v2, v3
	v_mul_f32_e32 v3, v9, v195
	v_fma_f32 v5, v6, v150, -v5
	v_mul_f32_e32 v156, v8, v195
	v_fmac_f32_e32 v178, v7, v150
	v_add_f32_e32 v2, v2, v4
	v_add_f32_e32 v1, v1, v168
	s_waitcnt lgkmcnt(0)
	v_mul_f32_e32 v4, v145, v196
	v_fma_f32 v3, v8, v149, -v3
	v_mul_f32_e32 v173, v144, v196
	v_add_f32_e32 v2, v2, v5
	v_fmac_f32_e32 v156, v9, v149
	v_add_f32_e32 v1, v1, v178
	v_mul_f32_e32 v5, v147, v165
	v_fma_f32 v4, v144, v148, -v4
	v_add_f32_e32 v2, v2, v3
	v_mul_f32_e32 v132, v146, v165
	v_fmac_f32_e32 v173, v145, v148
	v_add_f32_e32 v1, v1, v156
	s_waitcnt vmcnt(1)
	v_fma_f32 v3, v146, v153, -v5
	v_add_f32_e32 v2, v2, v4
	v_fmac_f32_e32 v132, v147, v153
	v_add_f32_e32 v1, v1, v173
	v_add_f32_e32 v2, v2, v3
	;; [unrolled: 1-line block ×3, first 2 shown]
	s_waitcnt vmcnt(0)
	v_sub_f32_e32 v2, v151, v2
	v_sub_f32_e32 v1, v163, v1
	buffer_store_dword v2, off, s[0:3], 0 offset:32
	buffer_store_dword v1, off, s[0:3], 0 offset:36
	v_cmpx_lt_u32_e32 3, v0
	s_cbranch_execz .LBB120_349
; %bb.348:
	s_clause 0x1
	buffer_load_dword v1, off, s[0:3], 0 offset:24
	buffer_load_dword v2, off, s[0:3], 0 offset:28
	v_mov_b32_e32 v3, 0
	buffer_store_dword v3, off, s[0:3], 0 offset:24
	buffer_store_dword v3, off, s[0:3], 0 offset:28
	s_waitcnt vmcnt(0)
	ds_write_b64 v127, v[1:2]
.LBB120_349:
	s_or_b32 exec_lo, exec_lo, s4
	s_waitcnt lgkmcnt(0)
	s_waitcnt_vscnt null, 0x0
	s_barrier
	buffer_gl0_inv
	s_clause 0x3b
	buffer_load_dword v163, off, s[0:3], 0 offset:36
	buffer_load_dword v2, off, s[0:3], 0 offset:48
	;; [unrolled: 1-line block ×60, first 2 shown]
	v_mov_b32_e32 v1, 0
	ds_read_b128 v[177:180], v1 offset:496
	ds_read_b128 v[181:184], v1 offset:512
	;; [unrolled: 1-line block ×3, first 2 shown]
	s_mov_b32 s4, exec_lo
	s_waitcnt vmcnt(59) lgkmcnt(2)
	v_mul_f32_e32 v189, v177, v163
	v_mul_f32_e32 v190, v178, v163
	buffer_load_dword v163, off, s[0:3], 0 offset:28
	s_waitcnt vmcnt(56)
	v_mul_f32_e32 v191, v179, v6
	v_mul_f32_e32 v6, v180, v6
	v_fmac_f32_e32 v189, v178, v7
	v_fma_f32 v190, v177, v7, -v190
	s_waitcnt vmcnt(55) lgkmcnt(1)
	v_mul_f32_e32 v193, v181, v5
	v_fmac_f32_e32 v191, v180, v4
	v_fma_f32 v192, v179, v4, -v6
	v_mul_f32_e32 v177, v182, v5
	ds_read_b128 v[4:7], v1 offset:544
	v_fmac_f32_e32 v193, v182, v2
	s_waitcnt vmcnt(49) lgkmcnt(1)
	v_mul_f32_e32 v197, v185, v129
	v_mul_f32_e32 v195, v183, v3
	v_fma_f32 v194, v181, v2, -v177
	v_mul_f32_e32 v2, v184, v3
	ds_read_b128 v[177:180], v1 offset:560
	v_fmac_f32_e32 v197, v186, v12
	v_fmac_f32_e32 v195, v184, v130
	v_fma_f32 v196, v183, v130, -v2
	v_mul_f32_e32 v2, v186, v129
	ds_read_b128 v[181:184], v1 offset:576
	v_fma_f32 v12, v185, v12, -v2
	s_waitcnt vmcnt(48)
	v_mul_f32_e32 v185, v187, v128
	v_mul_f32_e32 v2, v188, v128
	s_waitcnt vmcnt(47) lgkmcnt(2)
	v_mul_f32_e32 v186, v4, v11
	v_fmac_f32_e32 v185, v188, v10
	v_fma_f32 v10, v187, v10, -v2
	v_mul_f32_e32 v2, v5, v11
	s_waitcnt vmcnt(46)
	v_mul_f32_e32 v187, v6, v9
	v_fmac_f32_e32 v186, v5, v8
	s_waitcnt vmcnt(41) lgkmcnt(1)
	v_mul_f32_e32 v188, v177, v137
	v_fma_f32 v11, v4, v8, -v2
	v_mul_f32_e32 v2, v7, v9
	v_fmac_f32_e32 v187, v7, v138
	v_fmac_f32_e32 v188, v178, v135
	s_waitcnt vmcnt(39) lgkmcnt(0)
	v_mul_f32_e32 v128, v182, v134
	v_fma_f32 v138, v6, v138, -v2
	v_mul_f32_e32 v6, v178, v137
	ds_read_b128 v[2:5], v1 offset:592
	v_mul_f32_e32 v137, v179, v136
	v_fma_f32 v135, v177, v135, -v6
	v_mul_f32_e32 v6, v180, v136
	v_fmac_f32_e32 v137, v180, v133
	v_mul_f32_e32 v136, v181, v134
	v_fma_f32 v134, v181, v131, -v128
	s_waitcnt vmcnt(38)
	v_mul_f32_e32 v177, v183, v132
	v_fma_f32 v133, v179, v133, -v6
	ds_read_b128 v[6:9], v1 offset:608
	v_mul_f32_e32 v128, v184, v132
	v_fmac_f32_e32 v136, v182, v131
	s_waitcnt vmcnt(34)
	v_fmac_f32_e32 v177, v184, v145
	v_fma_f32 v132, v183, v145, -v128
	ds_read_b128 v[128:131], v1 offset:624
	s_waitcnt vmcnt(33) lgkmcnt(2)
	v_mul_f32_e32 v145, v2, v144
	v_mul_f32_e32 v144, v3, v144
	v_fmac_f32_e32 v145, v3, v142
	v_fma_f32 v142, v2, v142, -v144
	s_waitcnt vmcnt(32)
	v_mul_f32_e32 v144, v4, v143
	v_mul_f32_e32 v2, v5, v143
	s_waitcnt vmcnt(31) lgkmcnt(1)
	v_mul_f32_e32 v143, v6, v141
	v_fmac_f32_e32 v144, v5, v140
	v_fma_f32 v140, v4, v140, -v2
	v_mul_f32_e32 v2, v7, v141
	s_waitcnt vmcnt(30)
	v_mul_f32_e32 v141, v8, v146
	v_mul_f32_e32 v146, v9, v146
	v_fmac_f32_e32 v143, v7, v139
	v_fma_f32 v139, v6, v139, -v2
	ds_read_b128 v[2:5], v1 offset:640
	s_waitcnt vmcnt(26)
	v_fmac_f32_e32 v141, v9, v154
	v_fma_f32 v146, v8, v154, -v146
	ds_read_b128 v[6:9], v1 offset:656
	s_waitcnt vmcnt(25) lgkmcnt(2)
	v_mul_f32_e32 v154, v128, v152
	v_mul_f32_e32 v152, v129, v152
	v_fmac_f32_e32 v154, v129, v150
	v_fma_f32 v128, v128, v150, -v152
	s_waitcnt vmcnt(24)
	v_mul_f32_e32 v129, v130, v151
	v_mul_f32_e32 v150, v131, v151
	buffer_load_dword v152, off, s[0:3], 0 offset:276
	v_fmac_f32_e32 v129, v131, v148
	v_fma_f32 v130, v130, v148, -v150
	buffer_load_dword v131, off, s[0:3], 0 offset:268
	s_waitcnt vmcnt(25) lgkmcnt(1)
	v_mul_f32_e32 v148, v2, v149
	v_mul_f32_e32 v149, v3, v149
	s_waitcnt vmcnt(24)
	v_mul_f32_e32 v150, v4, v153
	v_mul_f32_e32 v151, v5, v153
	v_fmac_f32_e32 v148, v3, v147
	v_fma_f32 v147, v2, v147, -v149
	s_waitcnt vmcnt(20)
	v_fmac_f32_e32 v150, v5, v162
	v_fma_f32 v149, v4, v162, -v151
	ds_read_b128 v[2:5], v1 offset:672
	s_waitcnt vmcnt(19) lgkmcnt(1)
	v_mul_f32_e32 v151, v6, v161
	v_mul_f32_e32 v153, v7, v161
	s_waitcnt vmcnt(18)
	v_mul_f32_e32 v161, v8, v160
	v_mul_f32_e32 v160, v9, v160
	buffer_load_dword v162, off, s[0:3], 0 offset:284
	v_fmac_f32_e32 v151, v7, v159
	v_fma_f32 v153, v6, v159, -v153
	v_add_f32_e32 v6, 0, v189
	v_add_f32_e32 v7, 0, v190
	v_fmac_f32_e32 v161, v9, v158
	v_fma_f32 v158, v8, v158, -v160
	s_clause 0x3
	buffer_load_dword v159, off, s[0:3], 0 offset:304
	buffer_load_dword v160, off, s[0:3], 0 offset:296
	;; [unrolled: 1-line block ×4, first 2 shown]
	v_add_f32_e32 v6, v6, v191
	v_add_f32_e32 v7, v7, v192
	s_clause 0x3
	buffer_load_dword v180, off, s[0:3], 0 offset:292
	buffer_load_dword v181, off, s[0:3], 0 offset:300
	buffer_load_dword v182, off, s[0:3], 0 offset:308
	buffer_load_dword v183, off, s[0:3], 0 offset:316
	v_add_f32_e32 v6, v6, v193
	v_add_f32_e32 v7, v7, v194
	s_waitcnt vmcnt(26) lgkmcnt(0)
	v_mul_f32_e32 v184, v2, v156
	v_mul_f32_e32 v8, v3, v156
	s_waitcnt vmcnt(25)
	v_mul_f32_e32 v156, v4, v157
	v_add_f32_e32 v6, v6, v195
	v_add_f32_e32 v7, v7, v196
	v_mul_f32_e32 v9, v5, v157
	v_fmac_f32_e32 v184, v3, v155
	v_fma_f32 v155, v2, v155, -v8
	v_add_f32_e32 v6, v6, v197
	v_add_f32_e32 v7, v7, v12
	s_waitcnt vmcnt(20)
	v_fmac_f32_e32 v156, v5, v171
	v_fma_f32 v157, v4, v171, -v9
	ds_read_b128 v[2:5], v1 offset:688
	v_add_f32_e32 v6, v6, v185
	v_add_f32_e32 v7, v7, v10
	s_clause 0x3
	buffer_load_dword v12, off, s[0:3], 0 offset:336
	buffer_load_dword v171, off, s[0:3], 0 offset:328
	;; [unrolled: 1-line block ×4, first 2 shown]
	v_add_f32_e32 v6, v6, v186
	v_add_f32_e32 v10, v7, v11
	s_clause 0x2
	buffer_load_dword v11, off, s[0:3], 0 offset:324
	buffer_load_dword v185, off, s[0:3], 0 offset:332
	;; [unrolled: 1-line block ×3, first 2 shown]
	v_add_f32_e32 v187, v6, v187
	v_add_f32_e32 v10, v10, v138
	ds_read_b128 v[6:9], v1 offset:704
	v_add_f32_e32 v187, v187, v188
	s_waitcnt vmcnt(26) lgkmcnt(1)
	v_mul_f32_e32 v138, v2, v169
	v_mul_f32_e32 v169, v3, v169
	s_waitcnt vmcnt(25)
	v_mul_f32_e32 v188, v4, v168
	v_mul_f32_e32 v168, v5, v168
	v_fmac_f32_e32 v138, v3, v167
	v_add_f32_e32 v3, v10, v135
	v_add_f32_e32 v10, v187, v137
	v_fma_f32 v135, v2, v167, -v169
	v_fmac_f32_e32 v188, v5, v166
	v_fma_f32 v137, v4, v166, -v168
	v_add_f32_e32 v2, v3, v133
	v_add_f32_e32 v3, v10, v136
	s_clause 0x7
	buffer_load_dword v166, off, s[0:3], 0 offset:348
	buffer_load_dword v167, off, s[0:3], 0 offset:356
	buffer_load_dword v168, off, s[0:3], 0 offset:364
	buffer_load_dword v169, off, s[0:3], 0 offset:372
	buffer_load_dword v187, off, s[0:3], 0 offset:368
	buffer_load_dword v191, off, s[0:3], 0 offset:360
	buffer_load_dword v192, off, s[0:3], 0 offset:352
	buffer_load_dword v193, off, s[0:3], 0 offset:344
	s_waitcnt lgkmcnt(0)
	v_mul_f32_e32 v4, v7, v165
	v_mul_f32_e32 v10, v6, v165
	v_add_f32_e32 v2, v2, v134
	v_add_f32_e32 v3, v3, v177
	s_clause 0x1
	buffer_load_dword v177, off, s[0:3], 0 offset:380
	buffer_load_dword v194, off, s[0:3], 0 offset:388
	v_fma_f32 v136, v6, v164, -v4
	s_clause 0x1
	buffer_load_dword v165, off, s[0:3], 0 offset:396
	buffer_load_dword v195, off, s[0:3], 0 offset:404
	v_add_f32_e32 v2, v2, v132
	v_add_f32_e32 v3, v3, v145
	v_fmac_f32_e32 v10, v7, v164
	s_clause 0x4
	buffer_load_dword v164, off, s[0:3], 0 offset:412
	buffer_load_dword v196, off, s[0:3], 0 offset:420
	;; [unrolled: 1-line block ×5, first 2 shown]
	v_add_f32_e32 v2, v2, v142
	v_add_f32_e32 v3, v3, v144
	;; [unrolled: 1-line block ×4, first 2 shown]
	s_waitcnt vmcnt(41)
	v_mul_f32_e32 v3, v9, v170
	v_mul_f32_e32 v140, v8, v170
	buffer_load_dword v170, off, s[0:3], 0 offset:452
	v_add_f32_e32 v7, v2, v139
	v_add_f32_e32 v6, v6, v141
	s_waitcnt vmcnt(38)
	v_fma_f32 v139, v8, v176, -v3
	ds_read_b128 v[2:5], v1 offset:720
	v_fmac_f32_e32 v140, v9, v176
	v_add_f32_e32 v7, v7, v146
	v_add_f32_e32 v6, v6, v154
	s_clause 0x3
	buffer_load_dword v154, off, s[0:3], 0 offset:400
	buffer_load_dword v176, off, s[0:3], 0 offset:392
	;; [unrolled: 1-line block ×4, first 2 shown]
	v_add_f32_e32 v7, v7, v128
	v_add_f32_e32 v6, v6, v129
	;; [unrolled: 1-line block ×4, first 2 shown]
	ds_read_b128 v[6:9], v1 offset:736
	v_add_f32_e32 v128, v128, v147
	v_add_f32_e32 v129, v129, v150
	s_waitcnt vmcnt(41) lgkmcnt(1)
	v_mul_f32_e32 v141, v2, v175
	v_mul_f32_e32 v130, v3, v175
	v_fmac_f32_e32 v141, v3, v174
	v_fma_f32 v142, v2, v174, -v130
	v_add_f32_e32 v2, v128, v149
	v_add_f32_e32 v3, v129, v151
	s_clause 0x3
	buffer_load_dword v148, off, s[0:3], 0 offset:432
	buffer_load_dword v149, off, s[0:3], 0 offset:424
	;; [unrolled: 1-line block ×4, first 2 shown]
	v_add_f32_e32 v2, v2, v153
	v_add_f32_e32 v3, v3, v161
	s_clause 0x1
	buffer_load_dword v153, off, s[0:3], 0 offset:448
	buffer_load_dword v161, off, s[0:3], 0 offset:440
	v_add_f32_e32 v2, v2, v158
	buffer_load_dword v158, off, s[0:3], 0 offset:24
	v_add_f32_e32 v3, v3, v184
	v_add_f32_e32 v129, v2, v155
	;; [unrolled: 1-line block ×14, first 2 shown]
	s_waitcnt vmcnt(46) lgkmcnt(0)
	v_mul_f32_e32 v145, v6, v152
	v_mul_f32_e32 v134, v7, v152
	s_waitcnt vmcnt(45)
	v_mul_f32_e32 v143, v4, v131
	v_mul_f32_e32 v128, v5, v131
	v_fmac_f32_e32 v145, v7, v172
	v_fma_f32 v147, v6, v172, -v134
	v_fmac_f32_e32 v143, v5, v173
	v_fma_f32 v144, v4, v173, -v128
	ds_read_b128 v[2:5], v1 offset:752
	ds_read_b128 v[128:131], v1 offset:768
	v_add_f32_e32 v10, v10, v143
	v_add_f32_e32 v144, v141, v144
	;; [unrolled: 1-line block ×3, first 2 shown]
	s_waitcnt vmcnt(44)
	v_mul_f32_e32 v146, v8, v162
	v_mul_f32_e32 v135, v9, v162
	v_add_f32_e32 v144, v144, v147
	s_waitcnt vmcnt(40)
	v_fmac_f32_e32 v146, v9, v179
	v_fma_f32 v152, v8, v179, -v135
	ds_read_b128 v[6:9], v1 offset:784
	ds_read_b128 v[132:135], v1 offset:800
	s_waitcnt vmcnt(39) lgkmcnt(3)
	v_mul_f32_e32 v138, v3, v180
	v_mul_f32_e32 v155, v2, v180
	s_waitcnt vmcnt(38)
	v_mul_f32_e32 v156, v4, v181
	v_mul_f32_e32 v137, v5, v181
	s_waitcnt vmcnt(37) lgkmcnt(2)
	v_mul_f32_e32 v157, v128, v182
	v_fma_f32 v172, v2, v178, -v138
	v_fmac_f32_e32 v155, v3, v178
	v_mul_f32_e32 v140, v129, v182
	v_fmac_f32_e32 v156, v5, v160
	v_fma_f32 v160, v4, v160, -v137
	s_waitcnt vmcnt(36)
	v_mul_f32_e32 v142, v131, v183
	v_fmac_f32_e32 v157, v129, v159
	v_fma_f32 v159, v128, v159, -v140
	v_mul_f32_e32 v162, v130, v183
	ds_read_b128 v[2:5], v1 offset:816
	ds_read_b128 v[136:139], v1 offset:832
	s_waitcnt vmcnt(32)
	v_fma_f32 v173, v130, v190, -v142
	v_fmac_f32_e32 v162, v131, v190
	ds_read_b128 v[128:131], v1 offset:848
	ds_read_b128 v[140:143], v1 offset:864
	s_waitcnt vmcnt(31) lgkmcnt(5)
	v_mul_f32_e32 v174, v6, v11
	v_mul_f32_e32 v11, v7, v11
	s_waitcnt vmcnt(30)
	v_mul_f32_e32 v175, v8, v185
	v_mul_f32_e32 v145, v9, v185
	s_waitcnt vmcnt(29) lgkmcnt(4)
	v_mul_f32_e32 v178, v133, v186
	v_fmac_f32_e32 v174, v7, v189
	v_add_f32_e32 v7, v10, v146
	v_add_f32_e32 v10, v144, v152
	v_fma_f32 v152, v6, v189, -v11
	v_fmac_f32_e32 v175, v9, v171
	v_fma_f32 v171, v8, v171, -v145
	v_add_f32_e32 v155, v7, v155
	v_add_f32_e32 v172, v10, v172
	ds_read_b128 v[6:9], v1 offset:880
	ds_read_b128 v[144:147], v1 offset:896
	ds_read_b64 v[10:11], v1 offset:912
	v_add_f32_e32 v155, v155, v156
	v_add_f32_e32 v160, v172, v160
	v_mul_f32_e32 v156, v132, v186
	s_waitcnt vmcnt(28)
	v_mul_f32_e32 v172, v134, v166
	v_add_f32_e32 v155, v155, v157
	v_add_f32_e32 v159, v160, v159
	v_fmac_f32_e32 v156, v133, v12
	v_mul_f32_e32 v166, v135, v166
	v_fma_f32 v12, v132, v12, -v178
	v_add_f32_e32 v133, v155, v162
	v_add_f32_e32 v159, v159, v173
	s_waitcnt vmcnt(27) lgkmcnt(6)
	v_mul_f32_e32 v157, v2, v167
	v_mul_f32_e32 v167, v3, v167
	s_waitcnt vmcnt(21)
	v_fma_f32 v134, v134, v193, -v166
	v_add_f32_e32 v133, v133, v174
	v_add_f32_e32 v152, v159, v152
	v_fmac_f32_e32 v172, v135, v193
	v_mul_f32_e32 v160, v4, v168
	v_mul_f32_e32 v168, v5, v168
	v_add_f32_e32 v133, v133, v175
	v_add_f32_e32 v152, v152, v171
	v_fmac_f32_e32 v157, v3, v192
	v_fma_f32 v2, v2, v192, -v167
	v_fma_f32 v4, v4, v191, -v168
	v_add_f32_e32 v133, v133, v156
	v_add_f32_e32 v12, v152, v12
	s_waitcnt lgkmcnt(5)
	v_mul_f32_e32 v132, v136, v169
	v_fmac_f32_e32 v160, v5, v191
	s_waitcnt vmcnt(20)
	v_mul_f32_e32 v5, v139, v177
	v_mul_f32_e32 v155, v138, v177
	v_add_f32_e32 v3, v12, v134
	v_add_f32_e32 v12, v133, v172
	v_mul_f32_e32 v133, v137, v169
	v_fmac_f32_e32 v132, v137, v187
	s_waitcnt vmcnt(19) lgkmcnt(4)
	v_mul_f32_e32 v162, v128, v194
	v_add_f32_e32 v2, v3, v2
	v_add_f32_e32 v3, v12, v157
	v_fma_f32 v12, v136, v187, -v133
	s_waitcnt vmcnt(18)
	v_mul_f32_e32 v135, v130, v165
	s_waitcnt vmcnt(8)
	v_fmac_f32_e32 v162, v129, v200
	v_add_f32_e32 v2, v2, v4
	v_add_f32_e32 v3, v3, v160
	v_mul_f32_e32 v4, v129, v194
	s_waitcnt vmcnt(7)
	v_fma_f32 v5, v138, v201, -v5
	v_fmac_f32_e32 v155, v139, v201
	v_add_f32_e32 v2, v2, v12
	v_add_f32_e32 v3, v3, v132
	v_mul_f32_e32 v12, v131, v165
	v_fma_f32 v4, v128, v200, -v4
	s_waitcnt lgkmcnt(3)
	v_mul_f32_e32 v166, v140, v195
	v_add_f32_e32 v2, v2, v5
	v_add_f32_e32 v3, v3, v155
	v_mul_f32_e32 v5, v141, v195
	v_fma_f32 v12, v130, v176, -v12
	v_fmac_f32_e32 v135, v131, v176
	v_add_f32_e32 v2, v2, v4
	v_add_f32_e32 v3, v3, v162
	v_mul_f32_e32 v4, v143, v164
	v_fma_f32 v5, v140, v154, -v5
	v_mul_f32_e32 v159, v142, v164
	v_add_f32_e32 v2, v2, v12
	v_fmac_f32_e32 v166, v141, v154
	v_add_f32_e32 v3, v3, v135
	s_waitcnt lgkmcnt(2)
	v_mul_f32_e32 v12, v7, v196
	v_mul_f32_e32 v173, v6, v196
	s_waitcnt vmcnt(3)
	v_fma_f32 v4, v142, v151, -v4
	v_add_f32_e32 v2, v2, v5
	v_fmac_f32_e32 v159, v143, v151
	v_add_f32_e32 v3, v3, v166
	v_mul_f32_e32 v5, v9, v197
	v_fma_f32 v6, v6, v150, -v12
	v_add_f32_e32 v2, v2, v4
	v_mul_f32_e32 v174, v8, v197
	v_fmac_f32_e32 v173, v7, v150
	v_add_f32_e32 v3, v3, v159
	s_waitcnt lgkmcnt(1)
	v_mul_f32_e32 v4, v145, v198
	v_fma_f32 v5, v8, v149, -v5
	v_add_f32_e32 v2, v2, v6
	v_mul_f32_e32 v171, v144, v198
	v_fmac_f32_e32 v174, v9, v149
	v_add_f32_e32 v3, v3, v173
	v_mul_f32_e32 v6, v147, v199
	v_fma_f32 v4, v144, v148, -v4
	v_add_f32_e32 v2, v2, v5
	v_mul_f32_e32 v175, v146, v199
	v_fmac_f32_e32 v171, v145, v148
	v_add_f32_e32 v3, v3, v174
	s_waitcnt lgkmcnt(0)
	v_mul_f32_e32 v5, v11, v170
	s_waitcnt vmcnt(1)
	v_fma_f32 v6, v146, v161, -v6
	v_add_f32_e32 v2, v2, v4
	v_mul_f32_e32 v152, v10, v170
	v_fmac_f32_e32 v175, v147, v161
	v_add_f32_e32 v3, v3, v171
	v_fma_f32 v4, v10, v153, -v5
	v_add_f32_e32 v2, v2, v6
	v_fmac_f32_e32 v152, v11, v153
	v_add_f32_e32 v3, v3, v175
	v_add_f32_e32 v2, v2, v4
	;; [unrolled: 1-line block ×3, first 2 shown]
	s_waitcnt vmcnt(0)
	v_sub_f32_e32 v2, v158, v2
	v_sub_f32_e32 v3, v163, v3
	buffer_store_dword v2, off, s[0:3], 0 offset:24
	buffer_store_dword v3, off, s[0:3], 0 offset:28
	v_cmpx_lt_u32_e32 2, v0
	s_cbranch_execz .LBB120_351
; %bb.350:
	s_clause 0x1
	buffer_load_dword v2, off, s[0:3], 0 offset:16
	buffer_load_dword v3, off, s[0:3], 0 offset:20
	buffer_store_dword v1, off, s[0:3], 0 offset:16
	buffer_store_dword v1, off, s[0:3], 0 offset:20
	s_waitcnt vmcnt(0)
	ds_write_b64 v127, v[2:3]
.LBB120_351:
	s_or_b32 exec_lo, exec_lo, s4
	s_waitcnt lgkmcnt(0)
	s_waitcnt_vscnt null, 0x0
	s_barrier
	buffer_gl0_inv
	s_clause 0x3c
	buffer_load_dword v9, off, s[0:3], 0 offset:28
	buffer_load_dword v10, off, s[0:3], 0 offset:36
	;; [unrolled: 1-line block ×61, first 2 shown]
	ds_read2_b64 v[173:176], v1 offset0:61 offset1:62
	ds_read2_b64 v[177:180], v1 offset0:63 offset1:64
	buffer_load_dword v188, off, s[0:3], 0 offset:20
	s_mov_b32 s4, exec_lo
	s_waitcnt vmcnt(61) lgkmcnt(1)
	v_mul_f32_e32 v186, v173, v9
	v_mul_f32_e32 v9, v174, v9
	s_waitcnt vmcnt(60)
	v_mul_f32_e32 v187, v175, v10
	v_mul_f32_e32 v10, v176, v10
	s_waitcnt vmcnt(57)
	v_fmac_f32_e32 v186, v174, v6
	v_fma_f32 v189, v173, v6, -v9
	v_fmac_f32_e32 v187, v176, v5
	v_fma_f32 v190, v175, v5, -v10
	ds_read2_b64 v[173:176], v1 offset0:65 offset1:66
	s_waitcnt vmcnt(56) lgkmcnt(1)
	v_mul_f32_e32 v191, v177, v4
	v_mul_f32_e32 v4, v178, v4
	s_waitcnt vmcnt(55)
	v_mul_f32_e32 v192, v179, v3
	v_mul_f32_e32 v3, v180, v3
	v_fmac_f32_e32 v191, v178, v2
	v_fma_f32 v177, v177, v2, -v4
	s_waitcnt vmcnt(51)
	v_fmac_f32_e32 v192, v180, v163
	v_fma_f32 v163, v179, v163, -v3
	ds_read2_b64 v[2:5], v1 offset0:67 offset1:68
	s_waitcnt vmcnt(50) lgkmcnt(1)
	v_mul_f32_e32 v178, v173, v162
	v_mul_f32_e32 v6, v174, v162
	s_waitcnt vmcnt(49)
	v_mul_f32_e32 v162, v175, v160
	v_mul_f32_e32 v9, v176, v160
	v_fmac_f32_e32 v178, v174, v156
	v_fma_f32 v156, v173, v156, -v6
	v_fmac_f32_e32 v162, v176, v149
	v_fma_f32 v149, v175, v149, -v9
	ds_read2_b64 v[173:176], v1 offset0:69 offset1:70
	s_waitcnt vmcnt(48) lgkmcnt(1)
	v_mul_f32_e32 v179, v2, v154
	v_mul_f32_e32 v6, v3, v154
	s_waitcnt vmcnt(47)
	v_mul_f32_e32 v180, v4, v152
	v_mul_f32_e32 v9, v5, v152
	v_fmac_f32_e32 v179, v3, v135
	v_fma_f32 v135, v2, v135, -v6
	s_waitcnt vmcnt(43)
	v_fmac_f32_e32 v180, v5, v161
	v_fma_f32 v193, v4, v161, -v9
	ds_read2_b64 v[2:5], v1 offset0:71 offset1:72
	s_waitcnt vmcnt(42) lgkmcnt(1)
	v_mul_f32_e32 v194, v173, v159
	v_mul_f32_e32 v6, v174, v159
	s_waitcnt vmcnt(41)
	v_mul_f32_e32 v195, v175, v158
	v_mul_f32_e32 v9, v176, v158
	ds_read2_b64 v[158:161], v1 offset0:73 offset1:74
	v_fmac_f32_e32 v194, v174, v150
	v_fma_f32 v150, v173, v150, -v6
	v_fmac_f32_e32 v195, v176, v144
	v_fma_f32 v173, v175, v144, -v9
	s_waitcnt vmcnt(40) lgkmcnt(1)
	v_mul_f32_e32 v174, v2, v148
	v_mul_f32_e32 v6, v3, v148
	s_waitcnt vmcnt(39)
	v_mul_f32_e32 v148, v4, v146
	v_mul_f32_e32 v9, v5, v146
	v_fmac_f32_e32 v174, v3, v131
	v_fma_f32 v131, v2, v131, -v6
	s_waitcnt vmcnt(35)
	v_fmac_f32_e32 v148, v5, v157
	v_fma_f32 v157, v4, v157, -v9
	ds_read2_b64 v[2:5], v1 offset0:75 offset1:76
	s_waitcnt vmcnt(34) lgkmcnt(1)
	v_mul_f32_e32 v175, v158, v155
	v_mul_f32_e32 v6, v159, v155
	s_waitcnt vmcnt(33)
	v_mul_f32_e32 v176, v160, v153
	v_mul_f32_e32 v9, v161, v153
	ds_read2_b64 v[152:155], v1 offset0:77 offset1:78
	v_fmac_f32_e32 v175, v159, v142
	v_fma_f32 v142, v158, v142, -v6
	v_fmac_f32_e32 v176, v161, v137
	v_fma_f32 v137, v160, v137, -v9
	;; [unrolled: 23-line block ×3, first 2 shown]
	s_waitcnt vmcnt(24) lgkmcnt(1)
	v_mul_f32_e32 v152, v2, v134
	v_mul_f32_e32 v6, v3, v134
	s_waitcnt vmcnt(23)
	v_mul_f32_e32 v134, v4, v133
	v_mul_f32_e32 v9, v5, v133
	v_fmac_f32_e32 v152, v3, v8
	v_fma_f32 v133, v2, v8, -v6
	s_waitcnt vmcnt(19)
	v_fmac_f32_e32 v134, v5, v143
	v_fma_f32 v143, v4, v143, -v9
	ds_read2_b64 v[2:5], v1 offset0:83 offset1:84
	s_waitcnt vmcnt(18) lgkmcnt(1)
	v_mul_f32_e32 v153, v144, v140
	v_mul_f32_e32 v6, v145, v140
	s_waitcnt vmcnt(17)
	v_mul_f32_e32 v140, v146, v138
	v_mul_f32_e32 v8, v147, v138
	v_fmac_f32_e32 v153, v145, v130
	v_fma_f32 v130, v144, v130, -v6
	v_fmac_f32_e32 v140, v147, v12
	v_fma_f32 v12, v146, v12, -v8
	ds_read2_b64 v[8:11], v1 offset0:85 offset1:86
	s_waitcnt vmcnt(16) lgkmcnt(1)
	v_mul_f32_e32 v138, v2, v129
	v_mul_f32_e32 v6, v3, v129
	s_waitcnt vmcnt(15)
	v_mul_f32_e32 v129, v4, v128
	v_mul_f32_e32 v128, v5, v128
	v_fmac_f32_e32 v138, v3, v7
	v_fma_f32 v144, v2, v7, -v6
	s_waitcnt vmcnt(11)
	v_fmac_f32_e32 v129, v5, v172
	v_fma_f32 v128, v4, v172, -v128
	ds_read2_b64 v[2:5], v1 offset0:87 offset1:88
	s_waitcnt vmcnt(10) lgkmcnt(1)
	v_mul_f32_e32 v145, v8, v171
	v_mul_f32_e32 v6, v9, v171
	s_waitcnt vmcnt(9)
	v_mul_f32_e32 v7, v11, v170
	v_mul_f32_e32 v146, v10, v170
	buffer_load_dword v170, off, s[0:3], 0 offset:276
	v_fmac_f32_e32 v145, v9, v169
	v_fma_f32 v147, v8, v169, -v6
	v_fma_f32 v10, v10, v166, -v7
	ds_read2_b64 v[6:9], v1 offset0:89 offset1:90
	v_fmac_f32_e32 v146, v11, v166
	buffer_load_dword v11, off, s[0:3], 0 offset:268
	s_waitcnt vmcnt(10) lgkmcnt(1)
	v_mul_f32_e32 v154, v2, v168
	v_mul_f32_e32 v155, v3, v168
	s_waitcnt vmcnt(9)
	v_mul_f32_e32 v161, v4, v167
	v_mul_f32_e32 v166, v5, v167
	v_fmac_f32_e32 v154, v3, v165
	v_fma_f32 v155, v2, v165, -v155
	s_waitcnt vmcnt(5)
	v_fmac_f32_e32 v161, v5, v183
	v_fma_f32 v165, v4, v183, -v166
	ds_read2_b64 v[2:5], v1 offset0:91 offset1:92
	s_waitcnt vmcnt(4) lgkmcnt(1)
	v_mul_f32_e32 v166, v6, v184
	v_mul_f32_e32 v167, v7, v184
	s_waitcnt vmcnt(3)
	v_mul_f32_e32 v168, v8, v185
	v_mul_f32_e32 v169, v9, v185
	v_fmac_f32_e32 v166, v7, v182
	v_fma_f32 v167, v6, v182, -v167
	v_fmac_f32_e32 v168, v9, v181
	v_fma_f32 v169, v8, v181, -v169
	s_clause 0x4
	buffer_load_dword v171, off, s[0:3], 0 offset:296
	buffer_load_dword v172, off, s[0:3], 0 offset:288
	;; [unrolled: 1-line block ×5, first 2 shown]
	v_add_f32_e32 v7, 0, v186
	v_add_f32_e32 v6, 0, v189
	s_clause 0x1
	buffer_load_dword v184, off, s[0:3], 0 offset:292
	buffer_load_dword v185, off, s[0:3], 0 offset:300
	v_add_f32_e32 v7, v7, v187
	v_add_f32_e32 v6, v6, v190
	v_add_f32_e32 v7, v7, v191
	v_add_f32_e32 v6, v6, v177
	s_clause 0x1
	buffer_load_dword v177, off, s[0:3], 0 offset:308
	buffer_load_dword v186, off, s[0:3], 0 offset:316
	v_add_f32_e32 v7, v7, v192
	v_add_f32_e32 v6, v6, v163
	;; [unrolled: 1-line block ×4, first 2 shown]
	s_clause 0x3
	buffer_load_dword v156, off, s[0:3], 0 offset:328
	buffer_load_dword v163, off, s[0:3], 0 offset:320
	;; [unrolled: 1-line block ×4, first 2 shown]
	v_add_f32_e32 v7, v7, v162
	v_add_f32_e32 v6, v6, v149
	s_clause 0x2
	buffer_load_dword v149, off, s[0:3], 0 offset:324
	buffer_load_dword v162, off, s[0:3], 0 offset:332
	;; [unrolled: 1-line block ×3, first 2 shown]
	v_add_f32_e32 v7, v7, v179
	v_add_f32_e32 v6, v6, v135
	;; [unrolled: 1-line block ×6, first 2 shown]
	s_clause 0x4
	buffer_load_dword v150, off, s[0:3], 0 offset:360
	buffer_load_dword v179, off, s[0:3], 0 offset:352
	;; [unrolled: 1-line block ×5, first 2 shown]
	v_add_f32_e32 v7, v7, v195
	v_add_f32_e32 v6, v6, v173
	buffer_load_dword v173, off, s[0:3], 0 offset:348
	v_add_f32_e32 v7, v7, v174
	v_add_f32_e32 v6, v6, v131
	buffer_load_dword v174, off, s[0:3], 0 offset:364
	v_add_f32_e32 v7, v7, v148
	v_add_f32_e32 v6, v6, v157
	s_clause 0x4
	buffer_load_dword v157, off, s[0:3], 0 offset:372
	buffer_load_dword v192, off, s[0:3], 0 offset:380
	;; [unrolled: 1-line block ×5, first 2 shown]
	v_add_f32_e32 v7, v7, v175
	v_add_f32_e32 v6, v6, v142
	s_clause 0x3
	buffer_load_dword v175, off, s[0:3], 0 offset:412
	buffer_load_dword v195, off, s[0:3], 0 offset:420
	;; [unrolled: 1-line block ×4, first 2 shown]
	v_add_f32_e32 v7, v7, v176
	v_add_f32_e32 v6, v6, v137
	buffer_load_dword v176, off, s[0:3], 0 offset:436
	v_add_f32_e32 v7, v7, v158
	v_add_f32_e32 v6, v6, v139
	buffer_load_dword v158, off, s[0:3], 0 offset:452
	v_add_f32_e32 v7, v7, v141
	v_add_f32_e32 v6, v6, v151
	;; [unrolled: 1-line block ×3, first 2 shown]
	s_clause 0x3
	buffer_load_dword v151, off, s[0:3], 0 offset:392
	buffer_load_dword v159, off, s[0:3], 0 offset:384
	;; [unrolled: 1-line block ×4, first 2 shown]
	v_add_f32_e32 v6, v6, v136
	v_add_f32_e32 v7, v7, v160
	;; [unrolled: 1-line block ×4, first 2 shown]
	s_clause 0x6
	buffer_load_dword v152, off, s[0:3], 0 offset:424
	buffer_load_dword v160, off, s[0:3], 0 offset:416
	;; [unrolled: 1-line block ×7, first 2 shown]
	v_add_f32_e32 v6, v6, v133
	v_add_f32_e32 v7, v7, v134
	;; [unrolled: 1-line block ×4, first 2 shown]
	buffer_load_dword v153, off, s[0:3], 0 offset:16
	v_add_f32_e32 v6, v6, v130
	v_add_f32_e32 v7, v7, v140
	;; [unrolled: 1-line block ×3, first 2 shown]
	s_waitcnt vmcnt(46) lgkmcnt(0)
	v_mul_f32_e32 v12, v2, v11
	v_mul_f32_e32 v8, v3, v11
	v_fmac_f32_e32 v12, v3, v164
	v_fma_f32 v11, v2, v164, -v8
	v_add_f32_e32 v2, v6, v144
	v_add_f32_e32 v3, v7, v138
	ds_read2_b64 v[6:9], v1 offset0:93 offset1:94
	v_mul_f32_e32 v144, v4, v170
	v_add_f32_e32 v128, v2, v128
	v_mul_f32_e32 v2, v5, v170
	v_add_f32_e32 v129, v3, v129
	v_add_f32_e32 v132, v128, v147
	;; [unrolled: 1-line block ×3, first 2 shown]
	ds_read2_b64 v[128:131], v1 offset0:97 offset1:98
	v_add_f32_e32 v10, v132, v10
	v_add_f32_e32 v133, v133, v146
	s_waitcnt vmcnt(42)
	v_fmac_f32_e32 v144, v5, v182
	v_fma_f32 v164, v4, v182, -v2
	ds_read2_b64 v[2:5], v1 offset0:95 offset1:96
	s_waitcnt vmcnt(41) lgkmcnt(2)
	v_mul_f32_e32 v132, v7, v183
	v_mul_f32_e32 v145, v6, v183
	v_add_f32_e32 v10, v10, v155
	s_waitcnt vmcnt(40)
	v_mul_f32_e32 v136, v9, v184
	v_fma_f32 v146, v6, v181, -v132
	v_add_f32_e32 v6, v133, v154
	v_fmac_f32_e32 v145, v7, v181
	v_add_f32_e32 v7, v10, v165
	v_mul_f32_e32 v10, v8, v184
	ds_read2_b64 v[132:135], v1 offset0:99 offset1:100
	v_add_f32_e32 v6, v6, v161
	v_fma_f32 v147, v8, v172, -v136
	v_add_f32_e32 v7, v7, v167
	v_fmac_f32_e32 v10, v9, v172
	s_waitcnt vmcnt(37) lgkmcnt(2)
	v_mul_f32_e32 v141, v129, v186
	v_add_f32_e32 v6, v6, v166
	v_mul_f32_e32 v161, v128, v186
	s_waitcnt lgkmcnt(1)
	v_mul_f32_e32 v137, v3, v185
	v_mul_f32_e32 v154, v2, v185
	;; [unrolled: 1-line block ×4, first 2 shown]
	s_waitcnt vmcnt(34)
	v_fma_f32 v167, v128, v187, -v141
	v_fma_f32 v165, v2, v171, -v137
	v_add_f32_e32 v2, v7, v169
	v_fmac_f32_e32 v154, v3, v171
	v_add_f32_e32 v3, v6, v168
	s_waitcnt vmcnt(33)
	v_fma_f32 v166, v4, v189, -v140
	ds_read2_b64 v[6:9], v1 offset0:101 offset1:102
	ds_read2_b64 v[136:139], v1 offset0:103 offset1:104
	v_add_f32_e32 v11, v2, v11
	v_fmac_f32_e32 v155, v5, v189
	v_add_f32_e32 v12, v3, v12
	s_waitcnt vmcnt(32)
	v_mul_f32_e32 v128, v131, v149
	v_fmac_f32_e32 v161, v129, v187
	v_add_f32_e32 v11, v11, v164
	v_mul_f32_e32 v164, v130, v149
	v_add_f32_e32 v12, v12, v144
	s_waitcnt vmcnt(31) lgkmcnt(2)
	v_mul_f32_e32 v149, v132, v162
	v_mul_f32_e32 v129, v133, v162
	v_add_f32_e32 v11, v11, v146
	v_fmac_f32_e32 v164, v131, v163
	v_add_f32_e32 v12, v12, v145
	v_fma_f32 v163, v130, v163, -v128
	s_waitcnt vmcnt(30)
	v_mul_f32_e32 v162, v135, v178
	v_add_f32_e32 v11, v11, v147
	v_fmac_f32_e32 v149, v133, v156
	v_add_f32_e32 v10, v12, v10
	v_fma_f32 v156, v132, v156, -v129
	v_mul_f32_e32 v168, v134, v178
	v_add_f32_e32 v11, v11, v165
	s_waitcnt vmcnt(26)
	v_fma_f32 v162, v134, v190, -v162
	v_add_f32_e32 v10, v10, v154
	s_waitcnt vmcnt(24) lgkmcnt(1)
	v_mul_f32_e32 v12, v7, v173
	ds_read2_b64 v[2:5], v1 offset0:105 offset1:106
	ds_read2_b64 v[140:143], v1 offset0:107 offset1:108
	v_add_f32_e32 v11, v11, v166
	ds_read2_b64 v[128:131], v1 offset0:109 offset1:110
	ds_read2_b64 v[144:147], v1 offset0:111 offset1:112
	v_add_f32_e32 v10, v10, v155
	v_fmac_f32_e32 v168, v135, v190
	ds_read2_b64 v[132:135], v1 offset0:113 offset1:114
	v_add_f32_e32 v11, v11, v167
	v_mul_f32_e32 v1, v6, v173
	v_add_f32_e32 v10, v10, v161
	v_mul_f32_e32 v165, v9, v191
	v_fma_f32 v6, v6, v180, -v12
	v_add_f32_e32 v11, v11, v163
	v_mul_f32_e32 v154, v8, v191
	v_add_f32_e32 v10, v10, v164
	v_fmac_f32_e32 v1, v7, v180
	s_waitcnt vmcnt(23) lgkmcnt(5)
	v_mul_f32_e32 v12, v137, v174
	v_add_f32_e32 v11, v11, v156
	v_fma_f32 v8, v8, v179, -v165
	v_add_f32_e32 v10, v10, v149
	v_mul_f32_e32 v166, v136, v174
	v_fmac_f32_e32 v154, v9, v179
	v_add_f32_e32 v11, v11, v162
	s_waitcnt vmcnt(22)
	v_mul_f32_e32 v9, v139, v157
	v_add_f32_e32 v10, v10, v168
	v_mul_f32_e32 v155, v138, v157
	v_fmac_f32_e32 v166, v137, v150
	v_add_f32_e32 v6, v11, v6
	s_waitcnt vmcnt(21) lgkmcnt(4)
	v_mul_f32_e32 v169, v2, v192
	v_add_f32_e32 v1, v10, v1
	v_fma_f32 v10, v136, v150, -v12
	s_waitcnt vmcnt(8)
	v_fma_f32 v9, v138, v199, -v9
	v_add_f32_e32 v6, v6, v8
	v_mul_f32_e32 v8, v3, v192
	v_add_f32_e32 v1, v1, v154
	v_fmac_f32_e32 v155, v139, v199
	v_fmac_f32_e32 v169, v3, v198
	v_add_f32_e32 v6, v6, v10
	v_mul_f32_e32 v10, v5, v148
	v_add_f32_e32 v1, v1, v166
	v_fma_f32 v2, v2, v198, -v8
	v_mul_f32_e32 v167, v4, v148
	v_add_f32_e32 v3, v6, v9
	s_waitcnt lgkmcnt(3)
	v_mul_f32_e32 v6, v141, v193
	v_add_f32_e32 v1, v1, v155
	v_fma_f32 v4, v4, v159, -v10
	v_mul_f32_e32 v161, v140, v193
	v_add_f32_e32 v2, v3, v2
	v_fmac_f32_e32 v167, v5, v159
	v_add_f32_e32 v1, v1, v169
	v_mul_f32_e32 v3, v143, v194
	v_fma_f32 v5, v140, v151, -v6
	v_add_f32_e32 v2, v2, v4
	v_mul_f32_e32 v170, v142, v194
	v_fmac_f32_e32 v161, v141, v151
	v_add_f32_e32 v1, v1, v167
	s_waitcnt lgkmcnt(2)
	v_mul_f32_e32 v4, v129, v175
	s_waitcnt vmcnt(4)
	v_fma_f32 v3, v142, v201, -v3
	v_add_f32_e32 v2, v2, v5
	v_mul_f32_e32 v163, v128, v175
	v_fmac_f32_e32 v170, v143, v201
	v_add_f32_e32 v1, v1, v161
	v_mul_f32_e32 v5, v131, v195
	v_fma_f32 v4, v128, v200, -v4
	v_add_f32_e32 v2, v2, v3
	v_mul_f32_e32 v164, v130, v195
	v_fmac_f32_e32 v163, v129, v200
	v_add_f32_e32 v1, v1, v170
	s_waitcnt lgkmcnt(1)
	v_mul_f32_e32 v3, v145, v196
	v_fma_f32 v5, v130, v160, -v5
	v_add_f32_e32 v2, v2, v4
	v_mul_f32_e32 v171, v144, v196
	v_fmac_f32_e32 v164, v131, v160
	v_add_f32_e32 v1, v1, v163
	v_mul_f32_e32 v4, v147, v176
	v_fma_f32 v3, v144, v152, -v3
	v_add_f32_e32 v2, v2, v5
	v_mul_f32_e32 v156, v146, v176
	v_fmac_f32_e32 v171, v145, v152
	v_add_f32_e32 v1, v1, v164
	s_waitcnt lgkmcnt(0)
	v_mul_f32_e32 v5, v133, v197
	s_waitcnt vmcnt(1)
	v_fma_f32 v4, v146, v204, -v4
	v_add_f32_e32 v2, v2, v3
	v_mul_f32_e32 v149, v132, v197
	v_fmac_f32_e32 v156, v147, v204
	v_add_f32_e32 v1, v1, v171
	v_mul_f32_e32 v3, v135, v158
	v_fma_f32 v5, v132, v203, -v5
	v_add_f32_e32 v2, v2, v4
	v_mul_f32_e32 v7, v134, v158
	v_fmac_f32_e32 v149, v133, v203
	v_add_f32_e32 v1, v1, v156
	v_fma_f32 v3, v134, v202, -v3
	v_add_f32_e32 v2, v2, v5
	v_fmac_f32_e32 v7, v135, v202
	v_add_f32_e32 v1, v1, v149
	v_add_f32_e32 v2, v2, v3
	;; [unrolled: 1-line block ×3, first 2 shown]
	s_waitcnt vmcnt(0)
	v_sub_f32_e32 v2, v153, v2
	v_sub_f32_e32 v1, v188, v1
	buffer_store_dword v2, off, s[0:3], 0 offset:16
	buffer_store_dword v1, off, s[0:3], 0 offset:20
	v_cmpx_lt_u32_e32 1, v0
	s_cbranch_execz .LBB120_353
; %bb.352:
	s_clause 0x1
	buffer_load_dword v1, off, s[0:3], 0 offset:8
	buffer_load_dword v2, off, s[0:3], 0 offset:12
	v_mov_b32_e32 v3, 0
	buffer_store_dword v3, off, s[0:3], 0 offset:8
	buffer_store_dword v3, off, s[0:3], 0 offset:12
	s_waitcnt vmcnt(0)
	ds_write_b64 v127, v[1:2]
.LBB120_353:
	s_or_b32 exec_lo, exec_lo, s4
	s_waitcnt lgkmcnt(0)
	s_waitcnt_vscnt null, 0x0
	s_barrier
	buffer_gl0_inv
	s_clause 0x3c
	buffer_load_dword v2, off, s[0:3], 0 offset:20
	buffer_load_dword v3, off, s[0:3], 0 offset:28
	;; [unrolled: 1-line block ×61, first 2 shown]
	v_mov_b32_e32 v1, 0
	ds_read_b128 v[176:179], v1 offset:480
	ds_read_b128 v[180:183], v1 offset:496
	buffer_load_dword v174, off, s[0:3], 0 offset:12
	s_mov_b32 s4, exec_lo
	s_waitcnt vmcnt(61) lgkmcnt(1)
	v_mul_f32_e32 v187, v176, v2
	v_mul_f32_e32 v2, v177, v2
	s_waitcnt vmcnt(60)
	v_mul_f32_e32 v188, v178, v3
	v_mul_f32_e32 v3, v179, v3
	s_waitcnt vmcnt(59) lgkmcnt(0)
	v_mul_f32_e32 v189, v180, v4
	v_mul_f32_e32 v190, v181, v4
	s_waitcnt vmcnt(58)
	v_mul_f32_e32 v191, v182, v5
	v_mul_f32_e32 v192, v183, v5
	s_waitcnt vmcnt(55)
	v_fmac_f32_e32 v187, v177, v8
	v_fma_f32 v8, v176, v8, -v2
	v_fmac_f32_e32 v188, v179, v7
	v_fma_f32 v7, v178, v7, -v3
	ds_read_b128 v[2:5], v1 offset:512
	ds_read_b128 v[176:179], v1 offset:528
	v_fmac_f32_e32 v189, v181, v6
	v_fma_f32 v6, v180, v6, -v190
	s_waitcnt vmcnt(51)
	v_fma_f32 v180, v182, v158, -v192
	v_fmac_f32_e32 v191, v183, v158
	v_add_f32_e32 v8, 0, v8
	v_add_f32_e32 v7, v8, v7
	v_add_f32_e32 v6, v7, v6
	s_waitcnt vmcnt(50) lgkmcnt(1)
	v_mul_f32_e32 v181, v2, v155
	v_mul_f32_e32 v155, v3, v155
	s_waitcnt vmcnt(49)
	v_mul_f32_e32 v182, v4, v153
	v_mul_f32_e32 v153, v5, v153
	s_waitcnt vmcnt(48) lgkmcnt(0)
	v_mul_f32_e32 v183, v176, v150
	v_fmac_f32_e32 v181, v3, v137
	v_fma_f32 v137, v2, v137, -v155
	v_fmac_f32_e32 v182, v5, v133
	v_fma_f32 v153, v4, v133, -v153
	ds_read_b128 v[2:5], v1 offset:544
	v_mul_f32_e32 v150, v177, v150
	s_waitcnt vmcnt(47)
	v_mul_f32_e32 v190, v178, v148
	v_mul_f32_e32 v148, v179, v148
	v_fmac_f32_e32 v183, v177, v128
	v_fma_f32 v128, v176, v128, -v150
	s_waitcnt vmcnt(43)
	v_fmac_f32_e32 v190, v179, v163
	v_fma_f32 v155, v178, v163, -v148
	ds_read_b128 v[176:179], v1 offset:560
	s_waitcnt vmcnt(42) lgkmcnt(1)
	v_mul_f32_e32 v163, v2, v162
	v_mul_f32_e32 v133, v3, v162
	s_waitcnt vmcnt(41)
	v_mul_f32_e32 v162, v4, v161
	v_mul_f32_e32 v148, v5, v161
	v_fmac_f32_e32 v163, v3, v143
	v_fma_f32 v143, v2, v143, -v133
	v_fmac_f32_e32 v162, v5, v140
	v_fma_f32 v140, v4, v140, -v148
	ds_read_b128 v[2:5], v1 offset:576
	s_waitcnt vmcnt(40) lgkmcnt(1)
	v_mul_f32_e32 v161, v176, v159
	s_waitcnt vmcnt(39)
	v_mul_f32_e32 v192, v178, v157
	v_mul_f32_e32 v157, v179, v157
	v_mul_f32_e32 v150, v177, v159
	v_fmac_f32_e32 v161, v177, v134
	s_waitcnt vmcnt(35)
	v_fmac_f32_e32 v192, v179, v160
	v_fma_f32 v177, v178, v160, -v157
	ds_read_b128 v[157:160], v1 offset:592
	v_fma_f32 v176, v176, v134, -v150
	s_waitcnt vmcnt(34) lgkmcnt(1)
	v_mul_f32_e32 v178, v2, v156
	v_mul_f32_e32 v133, v3, v156
	s_waitcnt vmcnt(33)
	v_mul_f32_e32 v156, v4, v154
	v_mul_f32_e32 v134, v5, v154
	v_fmac_f32_e32 v178, v3, v138
	v_fma_f32 v138, v2, v138, -v133
	v_fmac_f32_e32 v156, v5, v135
	v_fma_f32 v193, v4, v135, -v134
	ds_read_b128 v[2:5], v1 offset:608
	s_waitcnt vmcnt(32) lgkmcnt(1)
	v_mul_f32_e32 v154, v157, v151
	v_mul_f32_e32 v148, v158, v151
	s_waitcnt vmcnt(31)
	v_mul_f32_e32 v179, v159, v149
	v_mul_f32_e32 v149, v160, v149
	v_fmac_f32_e32 v154, v158, v129
	v_fma_f32 v129, v157, v129, -v148
	s_waitcnt vmcnt(27)
	v_fmac_f32_e32 v179, v160, v152
	v_fma_f32 v152, v159, v152, -v149
	ds_read_b128 v[148:151], v1 offset:624
	s_waitcnt vmcnt(26) lgkmcnt(1)
	v_mul_f32_e32 v157, v2, v147
	v_mul_f32_e32 v133, v3, v147
	s_waitcnt vmcnt(25)
	v_mul_f32_e32 v147, v4, v146
	v_mul_f32_e32 v134, v5, v146
	v_fmac_f32_e32 v157, v3, v132
	v_fma_f32 v158, v2, v132, -v133
	v_fmac_f32_e32 v147, v5, v130
	v_fma_f32 v130, v4, v130, -v134
	ds_read_b128 v[2:5], v1 offset:640
	s_waitcnt vmcnt(24) lgkmcnt(1)
	v_mul_f32_e32 v146, v148, v144
	v_mul_f32_e32 v135, v149, v144
	s_waitcnt vmcnt(23)
	v_mul_f32_e32 v144, v150, v142
	v_mul_f32_e32 v142, v151, v142
	v_fmac_f32_e32 v146, v149, v10
	v_fma_f32 v10, v148, v10, -v135
	ds_read_b128 v[132:135], v1 offset:656
	s_waitcnt vmcnt(19)
	v_fmac_f32_e32 v144, v151, v145
	v_fma_f32 v142, v150, v145, -v142
	buffer_load_dword v145, off, s[0:3], 0 offset:260
	s_waitcnt vmcnt(18) lgkmcnt(1)
	v_mul_f32_e32 v149, v4, v139
	v_mul_f32_e32 v139, v5, v139
	;; [unrolled: 1-line block ×4, first 2 shown]
	v_fmac_f32_e32 v149, v5, v11
	v_fma_f32 v11, v4, v11, -v139
	s_clause 0x4
	buffer_load_dword v139, off, s[0:3], 0 offset:268
	buffer_load_dword v151, off, s[0:3], 0 offset:288
	;; [unrolled: 1-line block ×5, first 2 shown]
	s_waitcnt vmcnt(22) lgkmcnt(0)
	v_mul_f32_e32 v150, v132, v136
	v_mul_f32_e32 v136, v133, v136
	v_fmac_f32_e32 v148, v3, v131
	v_fma_f32 v131, v2, v131, -v141
	s_waitcnt vmcnt(21)
	v_mul_f32_e32 v2, v135, v12
	v_mul_f32_e32 v141, v134, v12
	v_fmac_f32_e32 v150, v133, v9
	v_fma_f32 v12, v132, v9, -v136
	v_add_f32_e32 v9, 0, v187
	s_waitcnt vmcnt(17)
	v_fma_f32 v132, v134, v172, -v2
	ds_read_b128 v[2:5], v1 offset:672
	buffer_load_dword v133, off, s[0:3], 0 offset:276
	v_add_f32_e32 v134, v6, v180
	v_add_f32_e32 v8, v9, v188
	v_fmac_f32_e32 v141, v135, v172
	s_clause 0x2
	buffer_load_dword v136, off, s[0:3], 0 offset:284
	buffer_load_dword v172, off, s[0:3], 0 offset:292
	;; [unrolled: 1-line block ×3, first 2 shown]
	v_add_f32_e32 v134, v134, v137
	v_add_f32_e32 v7, v8, v189
	;; [unrolled: 1-line block ×4, first 2 shown]
	ds_read_b128 v[6:9], v1 offset:688
	buffer_load_dword v153, off, s[0:3], 0 offset:308
	v_add_f32_e32 v135, v135, v181
	s_waitcnt vmcnt(21) lgkmcnt(1)
	v_mul_f32_e32 v137, v2, v171
	v_mul_f32_e32 v171, v3, v171
	s_waitcnt vmcnt(20)
	v_mul_f32_e32 v181, v4, v170
	v_mul_f32_e32 v170, v5, v170
	v_fmac_f32_e32 v137, v3, v169
	v_fma_f32 v169, v2, v169, -v171
	v_add_f32_e32 v2, v135, v182
	v_fmac_f32_e32 v181, v5, v168
	v_fma_f32 v168, v4, v168, -v170
	s_clause 0x3
	buffer_load_dword v170, off, s[0:3], 0 offset:320
	buffer_load_dword v171, off, s[0:3], 0 offset:312
	;; [unrolled: 1-line block ×4, first 2 shown]
	v_add_f32_e32 v3, v134, v128
	v_add_f32_e32 v2, v2, v183
	s_waitcnt vmcnt(23) lgkmcnt(0)
	v_mul_f32_e32 v135, v6, v166
	v_add_f32_e32 v128, v3, v155
	s_clause 0x2
	buffer_load_dword v155, off, s[0:3], 0 offset:316
	buffer_load_dword v183, off, s[0:3], 0 offset:324
	;; [unrolled: 1-line block ×3, first 2 shown]
	v_add_f32_e32 v134, v2, v190
	ds_read_b128 v[2:5], v1 offset:704
	v_fmac_f32_e32 v135, v7, v164
	v_add_f32_e32 v128, v128, v143
	v_mul_f32_e32 v143, v7, v166
	v_add_f32_e32 v134, v134, v163
	s_waitcnt vmcnt(25)
	v_mul_f32_e32 v163, v8, v165
	v_mul_f32_e32 v165, v9, v165
	v_add_f32_e32 v7, v128, v140
	v_fma_f32 v140, v6, v164, -v143
	v_add_f32_e32 v6, v134, v162
	s_waitcnt vmcnt(21)
	v_fmac_f32_e32 v163, v9, v185
	v_fma_f32 v143, v8, v185, -v165
	v_add_f32_e32 v128, v7, v176
	s_clause 0x4
	buffer_load_dword v162, off, s[0:3], 0 offset:352
	buffer_load_dword v164, off, s[0:3], 0 offset:344
	;; [unrolled: 1-line block ×5, first 2 shown]
	v_add_f32_e32 v134, v6, v161
	ds_read_b128 v[6:9], v1 offset:720
	v_add_f32_e32 v128, v128, v177
	v_add_f32_e32 v134, v134, v192
	s_waitcnt vmcnt(25) lgkmcnt(1)
	v_mul_f32_e32 v177, v3, v186
	v_mul_f32_e32 v161, v2, v186
	v_add_f32_e32 v128, v128, v138
	s_clause 0x2
	buffer_load_dword v185, off, s[0:3], 0 offset:348
	buffer_load_dword v186, off, s[0:3], 0 offset:356
	;; [unrolled: 1-line block ×3, first 2 shown]
	v_fma_f32 v138, v2, v184, -v177
	v_add_f32_e32 v2, v134, v178
	v_fmac_f32_e32 v161, v3, v184
	v_add_f32_e32 v3, v128, v193
	s_waitcnt vmcnt(27)
	v_mul_f32_e32 v177, v4, v175
	s_clause 0x1
	buffer_load_dword v178, off, s[0:3], 0 offset:372
	buffer_load_dword v184, off, s[0:3], 0 offset:380
	v_add_f32_e32 v2, v2, v156
	v_mul_f32_e32 v128, v5, v175
	v_add_f32_e32 v3, v3, v129
	s_clause 0x2
	buffer_load_dword v156, off, s[0:3], 0 offset:388
	buffer_load_dword v175, off, s[0:3], 0 offset:396
	;; [unrolled: 1-line block ×3, first 2 shown]
	v_add_f32_e32 v2, v2, v154
	v_fmac_f32_e32 v177, v5, v173
	v_add_f32_e32 v3, v3, v152
	s_clause 0x2
	buffer_load_dword v152, off, s[0:3], 0 offset:412
	buffer_load_dword v154, off, s[0:3], 0 offset:420
	;; [unrolled: 1-line block ×3, first 2 shown]
	v_fma_f32 v173, v4, v173, -v128
	v_add_f32_e32 v2, v2, v179
	v_add_f32_e32 v3, v3, v158
	s_clause 0x2
	buffer_load_dword v158, off, s[0:3], 0 offset:436
	buffer_load_dword v179, off, s[0:3], 0 offset:444
	;; [unrolled: 1-line block ×3, first 2 shown]
	v_add_f32_e32 v2, v2, v157
	s_clause 0x7
	buffer_load_dword v157, off, s[0:3], 0 offset:384
	buffer_load_dword v193, off, s[0:3], 0 offset:376
	buffer_load_dword v195, off, s[0:3], 0 offset:368
	buffer_load_dword v196, off, s[0:3], 0 offset:360
	buffer_load_dword v197, off, s[0:3], 0 offset:416
	buffer_load_dword v198, off, s[0:3], 0 offset:408
	buffer_load_dword v199, off, s[0:3], 0 offset:400
	buffer_load_dword v200, off, s[0:3], 0 offset:392
	v_add_f32_e32 v3, v3, v130
	v_add_f32_e32 v2, v2, v147
	;; [unrolled: 1-line block ×8, first 2 shown]
	s_clause 0x3
	buffer_load_dword v148, off, s[0:3], 0 offset:448
	buffer_load_dword v201, off, s[0:3], 0 offset:440
	buffer_load_dword v202, off, s[0:3], 0 offset:432
	buffer_load_dword v203, off, s[0:3], 0 offset:424
	v_add_f32_e32 v3, v3, v11
	v_add_f32_e32 v2, v2, v149
	buffer_load_dword v149, off, s[0:3], 0 offset:8
	v_add_f32_e32 v3, v3, v12
	v_add_f32_e32 v2, v2, v150
	s_waitcnt vmcnt(49) lgkmcnt(0)
	v_mul_f32_e32 v10, v6, v145
	v_mul_f32_e32 v4, v7, v145
	v_fmac_f32_e32 v10, v7, v167
	v_fma_f32 v11, v6, v167, -v4
	v_add_f32_e32 v6, v3, v132
	v_add_f32_e32 v7, v2, v141
	ds_read_b128 v[2:5], v1 offset:736
	v_add_f32_e32 v12, v6, v169
	s_waitcnt vmcnt(48)
	v_mul_f32_e32 v141, v8, v139
	v_mul_f32_e32 v6, v9, v139
	v_add_f32_e32 v128, v7, v137
	v_add_f32_e32 v12, v12, v168
	s_waitcnt vmcnt(44)
	v_fmac_f32_e32 v141, v9, v194
	v_fma_f32 v142, v8, v194, -v6
	ds_read_b128 v[6:9], v1 offset:752
	v_add_f32_e32 v132, v128, v181
	v_add_f32_e32 v12, v12, v140
	ds_read_b128 v[128:131], v1 offset:768
	v_add_f32_e32 v132, v132, v135
	v_add_f32_e32 v12, v12, v143
	s_waitcnt vmcnt(43) lgkmcnt(2)
	v_mul_f32_e32 v144, v2, v133
	v_mul_f32_e32 v133, v3, v133
	v_fmac_f32_e32 v144, v3, v160
	v_fma_f32 v145, v2, v160, -v133
	v_add_f32_e32 v2, v132, v163
	v_add_f32_e32 v3, v12, v138
	ds_read_b128 v[132:135], v1 offset:784
	s_waitcnt vmcnt(42)
	v_mul_f32_e32 v12, v4, v136
	s_waitcnt vmcnt(41) lgkmcnt(2)
	v_mul_f32_e32 v137, v7, v172
	v_add_f32_e32 v2, v2, v161
	v_add_f32_e32 v3, v3, v173
	v_mul_f32_e32 v150, v6, v172
	v_mul_f32_e32 v136, v5, v136
	v_fma_f32 v147, v6, v151, -v137
	v_add_f32_e32 v2, v2, v177
	v_add_f32_e32 v6, v3, v11
	v_fmac_f32_e32 v150, v7, v151
	s_waitcnt vmcnt(39) lgkmcnt(1)
	v_mul_f32_e32 v161, v128, v153
	v_fma_f32 v146, v4, v159, -v136
	v_add_f32_e32 v7, v2, v10
	v_mul_f32_e32 v10, v129, v153
	v_add_f32_e32 v11, v6, v142
	v_fmac_f32_e32 v12, v5, v159
	v_mul_f32_e32 v140, v9, v180
	v_mul_f32_e32 v160, v8, v180
	s_waitcnt vmcnt(36)
	v_fma_f32 v153, v128, v182, -v10
	v_add_f32_e32 v10, v7, v141
	v_add_f32_e32 v11, v11, v145
	s_waitcnt vmcnt(35)
	v_fma_f32 v151, v8, v187, -v140
	ds_read_b128 v[2:5], v1 offset:800
	ds_read_b128 v[136:139], v1 offset:816
	v_fmac_f32_e32 v160, v9, v187
	v_add_f32_e32 v10, v10, v144
	v_add_f32_e32 v11, v11, v146
	s_waitcnt vmcnt(34)
	v_mul_f32_e32 v128, v131, v155
	v_fmac_f32_e32 v161, v129, v182
	v_mul_f32_e32 v159, v130, v155
	v_add_f32_e32 v10, v10, v12
	v_add_f32_e32 v12, v11, v147
	s_waitcnt vmcnt(33) lgkmcnt(2)
	v_mul_f32_e32 v129, v133, v183
	v_fma_f32 v168, v130, v171, -v128
	v_mul_f32_e32 v155, v132, v183
	v_add_f32_e32 v150, v10, v150
	v_add_f32_e32 v12, v12, v151
	v_fmac_f32_e32 v159, v131, v171
	s_waitcnt vmcnt(32)
	v_mul_f32_e32 v163, v134, v188
	v_mul_f32_e32 v167, v135, v188
	v_add_f32_e32 v150, v150, v160
	v_add_f32_e32 v12, v12, v153
	v_fma_f32 v169, v132, v170, -v129
	v_fmac_f32_e32 v155, v133, v170
	s_waitcnt vmcnt(28)
	v_fmac_f32_e32 v163, v135, v166
	v_add_f32_e32 v150, v150, v161
	v_add_f32_e32 v12, v12, v168
	v_fma_f32 v166, v134, v166, -v167
	s_waitcnt vmcnt(27) lgkmcnt(1)
	v_mul_f32_e32 v167, v3, v176
	ds_read_b128 v[6:9], v1 offset:832
	ds_read_b128 v[140:143], v1 offset:848
	v_add_f32_e32 v150, v150, v159
	v_add_f32_e32 v12, v12, v169
	v_mul_f32_e32 v151, v2, v176
	s_waitcnt vmcnt(26)
	v_mul_f32_e32 v170, v5, v185
	v_fma_f32 v2, v2, v165, -v167
	v_add_f32_e32 v150, v150, v155
	v_add_f32_e32 v12, v12, v166
	v_mul_f32_e32 v160, v4, v185
	v_fmac_f32_e32 v151, v3, v165
	s_waitcnt vmcnt(25) lgkmcnt(2)
	v_mul_f32_e32 v167, v137, v186
	v_add_f32_e32 v150, v150, v163
	v_fma_f32 v4, v4, v164, -v170
	v_add_f32_e32 v2, v12, v2
	v_mul_f32_e32 v153, v136, v186
	v_fmac_f32_e32 v160, v5, v164
	v_add_f32_e32 v12, v150, v151
	s_waitcnt vmcnt(24)
	v_mul_f32_e32 v163, v139, v189
	v_fma_f32 v136, v136, v162, -v167
	v_add_f32_e32 v2, v2, v4
	v_mul_f32_e32 v161, v138, v189
	v_fmac_f32_e32 v153, v137, v162
	v_add_f32_e32 v4, v12, v160
	s_waitcnt vmcnt(23) lgkmcnt(1)
	v_mul_f32_e32 v12, v7, v178
	v_add_f32_e32 v2, v2, v136
	ds_read_b128 v[128:131], v1 offset:864
	ds_read_b128 v[144:147], v1 offset:880
	s_waitcnt vmcnt(9)
	v_fma_f32 v137, v138, v196, -v163
	v_mul_f32_e32 v3, v6, v178
	v_fmac_f32_e32 v161, v139, v196
	v_add_f32_e32 v4, v4, v153
	v_mul_f32_e32 v136, v9, v184
	v_fma_f32 v6, v6, v195, -v12
	v_add_f32_e32 v2, v2, v137
	v_mul_f32_e32 v165, v8, v184
	v_fmac_f32_e32 v3, v7, v195
	v_add_f32_e32 v4, v4, v161
	s_waitcnt lgkmcnt(2)
	v_mul_f32_e32 v7, v141, v156
	v_fma_f32 v8, v8, v193, -v136
	v_add_f32_e32 v2, v2, v6
	v_mul_f32_e32 v159, v140, v156
	v_fmac_f32_e32 v165, v9, v193
	v_add_f32_e32 v3, v4, v3
	v_mul_f32_e32 v4, v143, v175
	v_fma_f32 v6, v140, v157, -v7
	v_add_f32_e32 v2, v2, v8
	v_mul_f32_e32 v5, v142, v175
	v_fmac_f32_e32 v159, v141, v157
	v_add_f32_e32 v3, v3, v165
	s_waitcnt lgkmcnt(1)
	v_mul_f32_e32 v7, v129, v190
	s_waitcnt vmcnt(5)
	v_fma_f32 v4, v142, v200, -v4
	v_add_f32_e32 v2, v2, v6
	ds_read_b128 v[132:135], v1 offset:896
	ds_read_b64 v[10:11], v1 offset:912
	v_mul_f32_e32 v164, v128, v190
	v_fmac_f32_e32 v5, v143, v200
	v_add_f32_e32 v3, v3, v159
	v_mul_f32_e32 v6, v131, v152
	v_fma_f32 v7, v128, v199, -v7
	v_add_f32_e32 v2, v2, v4
	v_mul_f32_e32 v155, v130, v152
	v_fmac_f32_e32 v164, v129, v199
	v_add_f32_e32 v3, v3, v5
	s_waitcnt lgkmcnt(2)
	v_mul_f32_e32 v4, v145, v154
	v_fma_f32 v5, v130, v198, -v6
	v_add_f32_e32 v2, v2, v7
	v_mul_f32_e32 v168, v144, v154
	v_fmac_f32_e32 v155, v131, v198
	v_add_f32_e32 v3, v3, v164
	v_mul_f32_e32 v6, v147, v191
	v_fma_f32 v4, v144, v197, -v4
	v_add_f32_e32 v2, v2, v5
	v_mul_f32_e32 v169, v146, v191
	v_fmac_f32_e32 v168, v145, v197
	v_add_f32_e32 v3, v3, v155
	s_waitcnt lgkmcnt(1)
	v_mul_f32_e32 v5, v133, v158
	s_waitcnt vmcnt(1)
	v_fma_f32 v6, v146, v203, -v6
	v_add_f32_e32 v2, v2, v4
	v_mul_f32_e32 v166, v132, v158
	v_fmac_f32_e32 v169, v147, v203
	v_add_f32_e32 v3, v3, v168
	v_mul_f32_e32 v4, v135, v179
	v_fma_f32 v5, v132, v202, -v5
	v_add_f32_e32 v2, v2, v6
	v_mul_f32_e32 v170, v134, v179
	v_fmac_f32_e32 v166, v133, v202
	v_add_f32_e32 v3, v3, v169
	s_waitcnt lgkmcnt(0)
	v_mul_f32_e32 v6, v11, v192
	v_fma_f32 v4, v134, v201, -v4
	v_add_f32_e32 v2, v2, v5
	v_mul_f32_e32 v150, v10, v192
	v_fmac_f32_e32 v170, v135, v201
	v_add_f32_e32 v3, v3, v166
	v_fma_f32 v5, v10, v148, -v6
	v_add_f32_e32 v2, v2, v4
	v_fmac_f32_e32 v150, v11, v148
	v_add_f32_e32 v3, v3, v170
	v_add_f32_e32 v2, v2, v5
	;; [unrolled: 1-line block ×3, first 2 shown]
	s_waitcnt vmcnt(0)
	v_sub_f32_e32 v2, v149, v2
	v_sub_f32_e32 v3, v174, v3
	buffer_store_dword v2, off, s[0:3], 0 offset:8
	buffer_store_dword v3, off, s[0:3], 0 offset:12
	v_cmpx_ne_u32_e32 0, v0
	s_cbranch_execz .LBB120_355
; %bb.354:
	s_clause 0x1
	buffer_load_dword v2, off, s[0:3], 0
	buffer_load_dword v3, off, s[0:3], 0 offset:4
	buffer_store_dword v1, off, s[0:3], 0
	buffer_store_dword v1, off, s[0:3], 0 offset:4
	s_waitcnt vmcnt(0)
	ds_write_b64 v127, v[2:3]
.LBB120_355:
	s_or_b32 exec_lo, exec_lo, s4
	s_waitcnt lgkmcnt(0)
	s_waitcnt_vscnt null, 0x0
	s_barrier
	buffer_gl0_inv
	s_clause 0x34
	buffer_load_dword v163, off, s[0:3], 0 offset:12
	buffer_load_dword v164, off, s[0:3], 0 offset:20
	;; [unrolled: 1-line block ×53, first 2 shown]
	ds_read2_b64 v[170:173], v1 offset0:59 offset1:60
	ds_read2_b64 v[174:177], v1 offset0:61 offset1:62
	;; [unrolled: 1-line block ×4, first 2 shown]
	buffer_load_dword v161, off, s[0:3], 0 offset:220
	s_and_b32 vcc_lo, exec_lo, s16
	s_waitcnt vmcnt(53) lgkmcnt(3)
	v_mul_f32_e32 v168, v170, v163
	v_mul_f32_e32 v186, v171, v163
	s_waitcnt vmcnt(52)
	v_mul_f32_e32 v163, v172, v164
	v_mul_f32_e32 v187, v173, v164
	s_waitcnt vmcnt(49)
	v_fmac_f32_e32 v168, v171, v5
	v_fma_f32 v186, v170, v5, -v186
	v_fmac_f32_e32 v163, v173, v4
	v_fma_f32 v187, v172, v4, -v187
	ds_read2_b64 v[170:173], v1 offset0:67 offset1:68
	s_waitcnt vmcnt(48) lgkmcnt(3)
	v_mul_f32_e32 v188, v174, v3
	v_mul_f32_e32 v3, v175, v3
	s_waitcnt vmcnt(47)
	v_mul_f32_e32 v189, v176, v2
	v_mul_f32_e32 v2, v177, v2
	s_waitcnt vmcnt(46) lgkmcnt(2)
	v_mul_f32_e32 v190, v178, v7
	v_fmac_f32_e32 v188, v175, v0
	v_fma_f32 v0, v174, v0, -v3
	s_waitcnt vmcnt(41)
	v_fmac_f32_e32 v189, v177, v128
	v_fma_f32 v128, v176, v128, -v2
	ds_read2_b64 v[2:5], v1 offset0:69 offset1:70
	ds_read2_b64 v[174:177], v1 offset0:71 offset1:72
	v_mul_f32_e32 v7, v179, v7
	v_mul_f32_e32 v191, v180, v6
	v_mul_f32_e32 v6, v181, v6
	v_fmac_f32_e32 v190, v179, v12
	s_clause 0x1
	buffer_load_dword v179, off, s[0:3], 0 offset:228
	buffer_load_dword v164, off, s[0:3], 0 offset:4
	v_fma_f32 v12, v178, v12, -v7
	v_fmac_f32_e32 v191, v181, v10
	v_fma_f32 v10, v180, v10, -v6
	s_waitcnt vmcnt(42) lgkmcnt(3)
	v_mul_f32_e32 v178, v182, v11
	v_mul_f32_e32 v6, v183, v11
	s_waitcnt vmcnt(41)
	v_mul_f32_e32 v11, v184, v9
	v_mul_f32_e32 v7, v185, v9
	s_waitcnt vmcnt(36) lgkmcnt(2)
	v_mul_f32_e32 v181, v170, v158
	v_fmac_f32_e32 v178, v183, v8
	v_fma_f32 v180, v182, v8, -v6
	v_fmac_f32_e32 v11, v185, v159
	v_fma_f32 v159, v184, v159, -v7
	ds_read2_b64 v[6:9], v1 offset0:73 offset1:74
	v_mul_f32_e32 v158, v171, v158
	s_waitcnt vmcnt(35)
	v_mul_f32_e32 v182, v172, v157
	v_mul_f32_e32 v157, v173, v157
	s_waitcnt vmcnt(34) lgkmcnt(2)
	v_mul_f32_e32 v183, v2, v156
	v_mul_f32_e32 v156, v3, v156
	v_fmac_f32_e32 v181, v171, v151
	v_fma_f32 v158, v170, v151, -v158
	s_waitcnt vmcnt(33)
	v_mul_f32_e32 v170, v4, v155
	v_mul_f32_e32 v151, v5, v155
	v_fmac_f32_e32 v182, v173, v146
	v_fma_f32 v146, v172, v146, -v157
	s_waitcnt vmcnt(32) lgkmcnt(1)
	v_mul_f32_e32 v155, v174, v152
	v_mul_f32_e32 v157, v175, v152
	s_waitcnt vmcnt(31)
	v_mul_f32_e32 v171, v176, v153
	v_mul_f32_e32 v172, v177, v153
	v_fmac_f32_e32 v183, v3, v139
	v_fma_f32 v156, v2, v139, -v156
	s_waitcnt vmcnt(27)
	v_fmac_f32_e32 v170, v5, v154
	v_fma_f32 v173, v4, v154, -v151
	ds_read2_b64 v[2:5], v1 offset0:75 offset1:76
	ds_read2_b64 v[151:154], v1 offset0:77 offset1:78
	v_fmac_f32_e32 v155, v175, v150
	v_fma_f32 v150, v174, v150, -v157
	v_fmac_f32_e32 v171, v177, v147
	v_fma_f32 v147, v176, v147, -v172
	s_clause 0x3
	buffer_load_dword v157, off, s[0:3], 0 offset:248
	buffer_load_dword v172, off, s[0:3], 0 offset:240
	;; [unrolled: 1-line block ×4, first 2 shown]
	s_waitcnt vmcnt(30) lgkmcnt(2)
	v_mul_f32_e32 v176, v6, v143
	v_mul_f32_e32 v139, v7, v143
	s_waitcnt vmcnt(29)
	v_mul_f32_e32 v143, v8, v141
	v_mul_f32_e32 v141, v9, v141
	v_fmac_f32_e32 v176, v7, v133
	v_fma_f32 v133, v6, v133, -v139
	s_waitcnt vmcnt(25)
	v_fmac_f32_e32 v143, v9, v149
	v_fma_f32 v149, v8, v149, -v141
	ds_read2_b64 v[6:9], v1 offset0:79 offset1:80
	s_clause 0x1
	buffer_load_dword v185, off, s[0:3], 0 offset:236
	buffer_load_dword v192, off, s[0:3], 0 offset:244
	s_waitcnt vmcnt(26) lgkmcnt(2)
	v_mul_f32_e32 v177, v2, v148
	v_mul_f32_e32 v139, v3, v148
	s_waitcnt vmcnt(25)
	v_mul_f32_e32 v148, v4, v145
	v_mul_f32_e32 v141, v5, v145
	s_waitcnt vmcnt(24) lgkmcnt(1)
	v_mul_f32_e32 v145, v151, v144
	v_mul_f32_e32 v144, v152, v144
	s_waitcnt vmcnt(23)
	v_mul_f32_e32 v193, v153, v136
	v_mul_f32_e32 v136, v154, v136
	v_fmac_f32_e32 v177, v3, v138
	v_fma_f32 v184, v2, v138, -v139
	v_fmac_f32_e32 v148, v5, v134
	v_fma_f32 v134, v4, v134, -v141
	ds_read2_b64 v[2:5], v1 offset0:81 offset1:82
	v_fmac_f32_e32 v145, v152, v129
	v_fma_f32 v129, v151, v129, -v144
	s_waitcnt vmcnt(19)
	v_fmac_f32_e32 v193, v154, v142
	v_fma_f32 v136, v153, v142, -v136
	s_waitcnt vmcnt(18) lgkmcnt(1)
	v_mul_f32_e32 v142, v6, v140
	v_mul_f32_e32 v144, v7, v140
	ds_read2_b64 v[138:141], v1 offset0:83 offset1:84
	buffer_load_dword v154, off, s[0:3], 0 offset:260
	v_fmac_f32_e32 v142, v7, v135
	v_fma_f32 v135, v6, v135, -v144
	s_waitcnt vmcnt(18)
	v_mul_f32_e32 v144, v8, v137
	v_mul_f32_e32 v6, v9, v137
	buffer_load_dword v137, off, s[0:3], 0 offset:252
	v_fmac_f32_e32 v144, v9, v130
	v_fma_f32 v130, v8, v130, -v6
	s_waitcnt vmcnt(18) lgkmcnt(1)
	v_mul_f32_e32 v151, v2, v132
	v_mul_f32_e32 v6, v3, v132
	s_waitcnt vmcnt(17)
	v_mul_f32_e32 v7, v5, v131
	v_mul_f32_e32 v132, v4, v131
	v_fmac_f32_e32 v151, v3, v127
	v_fma_f32 v127, v2, v127, -v6
	s_waitcnt vmcnt(13)
	v_fma_f32 v131, v4, v169, -v7
	s_waitcnt vmcnt(12) lgkmcnt(0)
	v_mul_f32_e32 v152, v138, v167
	v_mul_f32_e32 v6, v139, v167
	s_waitcnt vmcnt(11)
	v_mul_f32_e32 v153, v140, v166
	v_mul_f32_e32 v7, v141, v166
	v_fmac_f32_e32 v132, v5, v169
	ds_read2_b64 v[2:5], v1 offset0:85 offset1:86
	v_fmac_f32_e32 v152, v139, v165
	v_fma_f32 v138, v138, v165, -v6
	v_fmac_f32_e32 v153, v141, v162
	v_fma_f32 v139, v140, v162, -v7
	s_clause 0x5
	buffer_load_dword v140, off, s[0:3], 0 offset:280
	buffer_load_dword v141, off, s[0:3], 0 offset:272
	buffer_load_dword v162, off, s[0:3], 0 offset:264
	buffer_load_dword v165, off, s[0:3], 0 offset:256
	buffer_load_dword v166, off, s[0:3], 0 offset:268
	buffer_load_dword v167, off, s[0:3], 0 offset:276
	v_add_f32_e32 v7, 0, v186
	v_add_f32_e32 v6, 0, v168
	v_add_f32_e32 v7, v7, v187
	v_add_f32_e32 v6, v6, v163
	s_clause 0x1
	buffer_load_dword v163, off, s[0:3], 0 offset:284
	buffer_load_dword v168, off, s[0:3], 0 offset:292
	v_add_f32_e32 v0, v7, v0
	v_add_f32_e32 v6, v6, v188
	s_clause 0x3
	buffer_load_dword v169, off, s[0:3], 0 offset:312
	buffer_load_dword v186, off, s[0:3], 0 offset:304
	;; [unrolled: 1-line block ×4, first 2 shown]
	s_waitcnt vmcnt(22) lgkmcnt(0)
	v_mul_f32_e32 v7, v3, v161
	v_add_f32_e32 v0, v0, v128
	v_add_f32_e32 v6, v6, v189
	v_fma_f32 v128, v2, v160, -v7
	v_add_f32_e32 v0, v0, v12
	v_add_f32_e32 v6, v6, v190
	s_clause 0x2
	buffer_load_dword v12, off, s[0:3], 0 offset:300
	buffer_load_dword v189, off, s[0:3], 0 offset:308
	;; [unrolled: 1-line block ×3, first 2 shown]
	v_add_f32_e32 v0, v0, v10
	v_add_f32_e32 v6, v6, v191
	v_mul_f32_e32 v191, v2, v161
	buffer_load_dword v10, off, s[0:3], 0 offset:324
	v_add_f32_e32 v0, v0, v180
	v_add_f32_e32 v6, v6, v178
	v_fmac_f32_e32 v191, v3, v160
	v_add_f32_e32 v0, v0, v159
	v_add_f32_e32 v6, v6, v11
	;; [unrolled: 1-line block ×23, first 2 shown]
	s_waitcnt vmcnt(25)
	v_mul_f32_e32 v161, v4, v179
	v_mul_f32_e32 v8, v5, v179
	v_add_f32_e32 v179, v6, v183
	v_add_f32_e32 v170, v179, v170
	s_waitcnt vmcnt(20)
	v_fmac_f32_e32 v161, v5, v175
	v_fma_f32 v159, v4, v175, -v8
	ds_read2_b64 v[2:5], v1 offset0:87 offset1:88
	s_clause 0x6
	buffer_load_dword v11, off, s[0:3], 0 offset:344
	buffer_load_dword v158, off, s[0:3], 0 offset:336
	;; [unrolled: 1-line block ×7, first 2 shown]
	ds_read2_b64 v[6:9], v1 offset0:89 offset1:90
	v_add_f32_e32 v0, v0, v159
	s_waitcnt vmcnt(26) lgkmcnt(1)
	v_mul_f32_e32 v173, v2, v185
	v_mul_f32_e32 v180, v3, v185
	s_waitcnt vmcnt(25)
	v_mul_f32_e32 v179, v4, v192
	v_mul_f32_e32 v150, v5, v192
	v_fmac_f32_e32 v173, v3, v174
	v_fma_f32 v174, v2, v174, -v180
	v_add_f32_e32 v2, v170, v155
	s_clause 0x3
	buffer_load_dword v147, off, s[0:3], 0 offset:356
	buffer_load_dword v155, off, s[0:3], 0 offset:364
	;; [unrolled: 1-line block ×4, first 2 shown]
	v_fmac_f32_e32 v179, v5, v172
	v_fma_f32 v150, v4, v172, -v150
	v_add_f32_e32 v0, v0, v174
	v_add_f32_e32 v2, v2, v171
	s_clause 0x3
	buffer_load_dword v171, off, s[0:3], 0 offset:388
	buffer_load_dword v172, off, s[0:3], 0 offset:396
	;; [unrolled: 1-line block ×4, first 2 shown]
	v_add_f32_e32 v0, v0, v150
	v_add_f32_e32 v2, v2, v176
	s_waitcnt vmcnt(31) lgkmcnt(0)
	v_mul_f32_e32 v192, v6, v137
	v_mul_f32_e32 v3, v7, v137
	s_clause 0x4
	buffer_load_dword v149, off, s[0:3], 0 offset:420
	buffer_load_dword v176, off, s[0:3], 0 offset:428
	;; [unrolled: 1-line block ×5, first 2 shown]
	v_add_f32_e32 v2, v2, v143
	v_fmac_f32_e32 v192, v7, v157
	v_fma_f32 v137, v6, v157, -v3
	v_mul_f32_e32 v143, v8, v154
	v_add_f32_e32 v2, v2, v177
	s_clause 0x3
	buffer_load_dword v157, off, s[0:3], 0 offset:376
	buffer_load_dword v177, off, s[0:3], 0 offset:368
	;; [unrolled: 1-line block ×4, first 2 shown]
	v_add_f32_e32 v0, v0, v137
	v_add_f32_e32 v6, v2, v148
	v_mul_f32_e32 v2, v9, v154
	v_add_f32_e32 v6, v6, v145
	s_waitcnt vmcnt(36)
	v_fma_f32 v148, v8, v165, -v2
	ds_read2_b64 v[2:5], v1 offset0:91 offset1:92
	v_fmac_f32_e32 v143, v9, v165
	v_add_f32_e32 v6, v6, v193
	s_clause 0x3
	buffer_load_dword v154, off, s[0:3], 0 offset:408
	buffer_load_dword v165, off, s[0:3], 0 offset:400
	buffer_load_dword v193, off, s[0:3], 0 offset:392
	buffer_load_dword v196, off, s[0:3], 0 offset:384
	v_add_f32_e32 v0, v0, v148
	v_add_f32_e32 v129, v6, v142
	ds_read2_b64 v[6:9], v1 offset0:93 offset1:94
	v_add_f32_e32 v129, v129, v144
	s_waitcnt vmcnt(39) lgkmcnt(1)
	v_mul_f32_e32 v144, v2, v166
	v_mul_f32_e32 v130, v3, v166
	s_waitcnt vmcnt(38)
	v_mul_f32_e32 v145, v4, v167
	v_fmac_f32_e32 v144, v3, v162
	v_fma_f32 v142, v2, v162, -v130
	v_add_f32_e32 v2, v129, v151
	s_clause 0x5
	buffer_load_dword v151, off, s[0:3], 0 offset:440
	buffer_load_dword v162, off, s[0:3], 0 offset:432
	buffer_load_dword v166, off, s[0:3], 0 offset:424
	buffer_load_dword v197, off, s[0:3], 0 offset:416
	buffer_load_dword v198, off, s[0:3], 0 offset:448
	buffer_load_dword v199, off, s[0:3], 0
	v_mul_f32_e32 v3, v5, v167
	v_add_f32_e32 v2, v2, v132
	v_fmac_f32_e32 v145, v5, v141
	ds_read2_b64 v[127:130], v1 offset0:97 offset1:98
	s_waitcnt vmcnt(43) lgkmcnt(1)
	v_mul_f32_e32 v132, v7, v163
	s_waitcnt vmcnt(42)
	v_mul_f32_e32 v159, v8, v168
	v_add_f32_e32 v2, v2, v152
	v_fma_f32 v152, v4, v141, -v3
	v_mul_f32_e32 v133, v9, v168
	v_add_f32_e32 v0, v0, v142
	s_waitcnt vmcnt(38)
	v_fmac_f32_e32 v159, v9, v188
	v_add_f32_e32 v131, v2, v153
	ds_read2_b64 v[2:5], v1 offset0:95 offset1:96
	v_mul_f32_e32 v153, v6, v163
	v_fma_f32 v163, v6, v140, -v132
	v_add_f32_e32 v0, v0, v152
	v_add_f32_e32 v131, v131, v191
	v_fmac_f32_e32 v153, v7, v140
	v_add_f32_e32 v0, v0, v163
	v_add_f32_e32 v135, v131, v161
	v_fma_f32 v161, v8, v188, -v133
	ds_read2_b64 v[6:9], v1 offset0:99 offset1:100
	ds_read2_b64 v[131:134], v1 offset0:101 offset1:102
	s_waitcnt vmcnt(35) lgkmcnt(3)
	v_mul_f32_e32 v168, v127, v190
	v_mul_f32_e32 v139, v128, v190
	v_add_f32_e32 v135, v135, v173
	s_waitcnt vmcnt(34)
	v_mul_f32_e32 v173, v129, v10
	v_mul_f32_e32 v10, v130, v10
	v_fmac_f32_e32 v168, v128, v169
	v_fma_f32 v148, v127, v169, -v139
	v_add_f32_e32 v135, v135, v179
	s_waitcnt lgkmcnt(2)
	v_mul_f32_e32 v167, v2, v12
	v_mul_f32_e32 v12, v3, v12
	;; [unrolled: 1-line block ×4, first 2 shown]
	v_add_f32_e32 v140, v135, v192
	v_add_f32_e32 v0, v0, v161
	v_fma_f32 v12, v2, v187, -v12
	v_fmac_f32_e32 v167, v3, v187
	v_fmac_f32_e32 v150, v5, v186
	v_add_f32_e32 v143, v140, v143
	v_fma_f32 v174, v4, v186, -v136
	ds_read2_b64 v[2:5], v1 offset0:103 offset1:104
	ds_read2_b64 v[135:138], v1 offset0:105 offset1:106
	v_add_f32_e32 v0, v0, v12
	v_add_f32_e32 v143, v143, v144
	;; [unrolled: 1-line block ×6, first 2 shown]
	s_waitcnt vmcnt(29) lgkmcnt(3)
	v_mul_f32_e32 v169, v6, v146
	s_waitcnt vmcnt(28)
	v_mul_f32_e32 v152, v8, v156
	v_mul_f32_e32 v144, v7, v146
	;; [unrolled: 1-line block ×3, first 2 shown]
	v_fmac_f32_e32 v173, v130, v175
	v_fma_f32 v10, v129, v175, -v10
	ds_read2_b64 v[127:130], v1 offset0:107 offset1:108
	ds_read2_b64 v[139:142], v1 offset0:109 offset1:110
	v_fmac_f32_e32 v169, v7, v160
	v_fma_f32 v156, v6, v160, -v144
	v_fmac_f32_e32 v152, v9, v158
	v_fma_f32 v158, v8, v158, -v146
	ds_read2_b64 v[6:9], v1 offset0:111 offset1:112
	ds_read2_b64 v[143:146], v1 offset0:113 offset1:114
	v_add_f32_e32 v1, v153, v159
	v_add_f32_e32 v0, v0, v10
	s_waitcnt vmcnt(27) lgkmcnt(6)
	v_mul_f32_e32 v153, v131, v178
	v_mul_f32_e32 v159, v132, v178
	v_add_f32_e32 v1, v1, v167
	v_add_f32_e32 v0, v0, v156
	v_fmac_f32_e32 v153, v132, v11
	v_fma_f32 v11, v131, v11, -v159
	v_add_f32_e32 v1, v1, v150
	v_add_f32_e32 v0, v0, v158
	s_waitcnt vmcnt(26)
	v_mul_f32_e32 v12, v133, v147
	v_mul_f32_e32 v147, v134, v147
	v_add_f32_e32 v1, v1, v168
	s_waitcnt vmcnt(25) lgkmcnt(5)
	v_mul_f32_e32 v131, v3, v155
	v_add_f32_e32 v0, v0, v11
	v_mul_f32_e32 v160, v2, v155
	s_waitcnt vmcnt(24)
	v_mul_f32_e32 v11, v5, v170
	v_add_f32_e32 v1, v1, v173
	v_mul_f32_e32 v161, v4, v170
	s_waitcnt vmcnt(23) lgkmcnt(4)
	v_mul_f32_e32 v150, v135, v180
	s_waitcnt vmcnt(22)
	v_mul_f32_e32 v163, v137, v171
	s_waitcnt vmcnt(21) lgkmcnt(3)
	v_mul_f32_e32 v148, v127, v172
	v_add_f32_e32 v1, v1, v169
	s_waitcnt vmcnt(20)
	v_mul_f32_e32 v167, v129, v181
	s_waitcnt vmcnt(19) lgkmcnt(2)
	v_mul_f32_e32 v168, v139, v182
	s_waitcnt vmcnt(18)
	v_mul_f32_e32 v10, v141, v149
	s_waitcnt vmcnt(17) lgkmcnt(1)
	v_mul_f32_e32 v173, v6, v176
	v_add_f32_e32 v1, v1, v152
	s_waitcnt vmcnt(16)
	v_mul_f32_e32 v174, v8, v183
	s_waitcnt vmcnt(15) lgkmcnt(0)
	v_mul_f32_e32 v156, v143, v185
	s_waitcnt vmcnt(13)
	v_fmac_f32_e32 v150, v136, v157
	s_waitcnt vmcnt(12)
	v_fma_f32 v4, v4, v177, -v11
	v_add_f32_e32 v1, v1, v153
	s_waitcnt vmcnt(10)
	v_fma_f32 v132, v133, v195, -v147
	v_fmac_f32_e32 v12, v134, v195
	v_fma_f32 v2, v2, v194, -v131
	v_fmac_f32_e32 v160, v3, v194
	v_mul_f32_e32 v3, v136, v180
	v_add_f32_e32 v0, v0, v132
	v_add_f32_e32 v1, v1, v12
	v_fmac_f32_e32 v161, v5, v177
	v_mul_f32_e32 v169, v145, v184
	v_fma_f32 v3, v135, v157, -v3
	v_add_f32_e32 v0, v0, v2
	v_add_f32_e32 v1, v1, v160
	v_mul_f32_e32 v2, v138, v171
	s_waitcnt vmcnt(9)
	v_fmac_f32_e32 v168, v140, v154
	s_waitcnt vmcnt(8)
	v_fmac_f32_e32 v167, v130, v165
	v_add_f32_e32 v0, v0, v4
	v_add_f32_e32 v1, v1, v161
	v_mul_f32_e32 v4, v128, v172
	s_waitcnt vmcnt(6)
	v_fma_f32 v2, v137, v196, -v2
	v_fmac_f32_e32 v163, v138, v196
	v_add_f32_e32 v0, v0, v3
	v_add_f32_e32 v1, v1, v150
	v_mul_f32_e32 v3, v130, v181
	v_fma_f32 v4, v127, v193, -v4
	v_fmac_f32_e32 v148, v128, v193
	v_add_f32_e32 v0, v0, v2
	v_add_f32_e32 v1, v1, v163
	v_mul_f32_e32 v2, v140, v182
	v_fma_f32 v3, v129, v165, -v3
	v_add_f32_e32 v0, v0, v4
	v_add_f32_e32 v1, v1, v148
	v_mul_f32_e32 v4, v142, v149
	v_fma_f32 v2, v139, v154, -v2
	v_add_f32_e32 v0, v0, v3
	v_add_f32_e32 v1, v1, v167
	v_mul_f32_e32 v3, v7, v176
	s_waitcnt vmcnt(5)
	v_fmac_f32_e32 v156, v144, v151
	s_waitcnt vmcnt(4)
	v_fmac_f32_e32 v174, v9, v162
	v_add_f32_e32 v0, v0, v2
	s_waitcnt vmcnt(2)
	v_fma_f32 v4, v141, v197, -v4
	v_fmac_f32_e32 v10, v142, v197
	v_add_f32_e32 v1, v1, v168
	v_mul_f32_e32 v2, v9, v183
	v_fma_f32 v3, v6, v166, -v3
	v_add_f32_e32 v0, v0, v4
	v_fmac_f32_e32 v173, v7, v166
	v_add_f32_e32 v1, v1, v10
	v_mul_f32_e32 v4, v144, v185
	v_fma_f32 v2, v8, v162, -v2
	v_add_f32_e32 v0, v0, v3
	v_mul_f32_e32 v3, v146, v184
	v_add_f32_e32 v1, v1, v173
	v_fma_f32 v4, v143, v151, -v4
	s_waitcnt vmcnt(1)
	v_fmac_f32_e32 v169, v146, v198
	v_add_f32_e32 v0, v0, v2
	v_fma_f32 v2, v145, v198, -v3
	v_add_f32_e32 v1, v1, v174
	v_add_f32_e32 v0, v0, v4
	;; [unrolled: 1-line block ×5, first 2 shown]
	s_waitcnt vmcnt(0)
	v_sub_f32_e32 v0, v199, v0
	v_sub_f32_e32 v1, v164, v1
	buffer_store_dword v0, off, s[0:3], 0
	buffer_store_dword v1, off, s[0:3], 0 offset:4
	s_cbranch_vccz .LBB120_468
; %bb.356:
	v_mov_b32_e32 v0, 0
	global_load_dword v1, v0, s[12:13] offset:220
	s_waitcnt vmcnt(0)
	v_add_nc_u32_e32 v1, -1, v1
	v_cmp_ne_u32_e32 vcc_lo, 55, v1
	s_cbranch_vccz .LBB120_358
; %bb.357:
	v_lshlrev_b32_e32 v1, 3, v1
	s_clause 0x3
	buffer_load_dword v2, v1, s[0:3], 0 offen
	buffer_load_dword v3, v1, s[0:3], 0 offen offset:4
	buffer_load_dword v4, off, s[0:3], 0 offset:440
	buffer_load_dword v5, off, s[0:3], 0 offset:444
	s_waitcnt vmcnt(3)
	buffer_store_dword v2, off, s[0:3], 0 offset:440
	s_waitcnt vmcnt(2)
	buffer_store_dword v3, off, s[0:3], 0 offset:444
	s_waitcnt vmcnt(1)
	buffer_store_dword v4, v1, s[0:3], 0 offen
	s_waitcnt vmcnt(0)
	buffer_store_dword v5, v1, s[0:3], 0 offen offset:4
.LBB120_358:
	global_load_dword v0, v0, s[12:13] offset:216
	s_waitcnt vmcnt(0)
	v_add_nc_u32_e32 v0, -1, v0
	v_cmp_eq_u32_e32 vcc_lo, 54, v0
	s_cbranch_vccnz .LBB120_360
; %bb.359:
	v_lshlrev_b32_e32 v0, 3, v0
	s_clause 0x3
	buffer_load_dword v1, v0, s[0:3], 0 offen
	buffer_load_dword v2, v0, s[0:3], 0 offen offset:4
	buffer_load_dword v3, off, s[0:3], 0 offset:436
	buffer_load_dword v4, off, s[0:3], 0 offset:432
	s_waitcnt vmcnt(3)
	buffer_store_dword v1, off, s[0:3], 0 offset:432
	s_waitcnt vmcnt(2)
	buffer_store_dword v2, off, s[0:3], 0 offset:436
	s_waitcnt vmcnt(1)
	buffer_store_dword v3, v0, s[0:3], 0 offen offset:4
	s_waitcnt vmcnt(0)
	buffer_store_dword v4, v0, s[0:3], 0 offen
.LBB120_360:
	v_mov_b32_e32 v0, 0
	global_load_dword v1, v0, s[12:13] offset:212
	s_waitcnt vmcnt(0)
	v_add_nc_u32_e32 v1, -1, v1
	v_cmp_eq_u32_e32 vcc_lo, 53, v1
	s_cbranch_vccnz .LBB120_362
; %bb.361:
	v_lshlrev_b32_e32 v1, 3, v1
	s_clause 0x3
	buffer_load_dword v2, v1, s[0:3], 0 offen
	buffer_load_dword v3, v1, s[0:3], 0 offen offset:4
	buffer_load_dword v4, off, s[0:3], 0 offset:424
	buffer_load_dword v5, off, s[0:3], 0 offset:428
	s_waitcnt vmcnt(3)
	buffer_store_dword v2, off, s[0:3], 0 offset:424
	s_waitcnt vmcnt(2)
	buffer_store_dword v3, off, s[0:3], 0 offset:428
	s_waitcnt vmcnt(1)
	buffer_store_dword v4, v1, s[0:3], 0 offen
	s_waitcnt vmcnt(0)
	buffer_store_dword v5, v1, s[0:3], 0 offen offset:4
.LBB120_362:
	global_load_dword v0, v0, s[12:13] offset:208
	s_waitcnt vmcnt(0)
	v_add_nc_u32_e32 v0, -1, v0
	v_cmp_eq_u32_e32 vcc_lo, 52, v0
	s_cbranch_vccnz .LBB120_364
; %bb.363:
	v_lshlrev_b32_e32 v0, 3, v0
	s_clause 0x3
	buffer_load_dword v1, v0, s[0:3], 0 offen
	buffer_load_dword v2, v0, s[0:3], 0 offen offset:4
	buffer_load_dword v3, off, s[0:3], 0 offset:420
	buffer_load_dword v4, off, s[0:3], 0 offset:416
	s_waitcnt vmcnt(3)
	buffer_store_dword v1, off, s[0:3], 0 offset:416
	s_waitcnt vmcnt(2)
	buffer_store_dword v2, off, s[0:3], 0 offset:420
	s_waitcnt vmcnt(1)
	buffer_store_dword v3, v0, s[0:3], 0 offen offset:4
	s_waitcnt vmcnt(0)
	buffer_store_dword v4, v0, s[0:3], 0 offen
.LBB120_364:
	v_mov_b32_e32 v0, 0
	global_load_dword v1, v0, s[12:13] offset:204
	s_waitcnt vmcnt(0)
	v_add_nc_u32_e32 v1, -1, v1
	v_cmp_eq_u32_e32 vcc_lo, 51, v1
	s_cbranch_vccnz .LBB120_366
; %bb.365:
	v_lshlrev_b32_e32 v1, 3, v1
	s_clause 0x3
	buffer_load_dword v2, v1, s[0:3], 0 offen
	buffer_load_dword v3, v1, s[0:3], 0 offen offset:4
	buffer_load_dword v4, off, s[0:3], 0 offset:408
	buffer_load_dword v5, off, s[0:3], 0 offset:412
	s_waitcnt vmcnt(3)
	buffer_store_dword v2, off, s[0:3], 0 offset:408
	s_waitcnt vmcnt(2)
	buffer_store_dword v3, off, s[0:3], 0 offset:412
	s_waitcnt vmcnt(1)
	buffer_store_dword v4, v1, s[0:3], 0 offen
	s_waitcnt vmcnt(0)
	buffer_store_dword v5, v1, s[0:3], 0 offen offset:4
.LBB120_366:
	;; [unrolled: 43-line block ×27, first 2 shown]
	global_load_dword v0, v0, s[12:13]
	s_waitcnt vmcnt(0)
	v_add_nc_u32_e32 v0, -1, v0
	v_cmp_eq_u32_e32 vcc_lo, 0, v0
	s_cbranch_vccnz .LBB120_468
; %bb.467:
	v_lshlrev_b32_e32 v0, 3, v0
	s_clause 0x3
	buffer_load_dword v1, v0, s[0:3], 0 offen
	buffer_load_dword v2, v0, s[0:3], 0 offen offset:4
	buffer_load_dword v3, off, s[0:3], 0 offset:4
	buffer_load_dword v4, off, s[0:3], 0
	s_waitcnt vmcnt(3)
	buffer_store_dword v1, off, s[0:3], 0
	s_waitcnt vmcnt(2)
	buffer_store_dword v2, off, s[0:3], 0 offset:4
	s_waitcnt vmcnt(1)
	buffer_store_dword v3, v0, s[0:3], 0 offen offset:4
	s_waitcnt vmcnt(0)
	buffer_store_dword v4, v0, s[0:3], 0 offen
.LBB120_468:
	s_clause 0x1
	buffer_load_dword v0, off, s[0:3], 0
	buffer_load_dword v1, off, s[0:3], 0 offset:4
	s_waitcnt vmcnt(0)
	flat_store_dwordx2 v[13:14], v[0:1]
	s_clause 0x1
	buffer_load_dword v0, off, s[0:3], 0 offset:8
	buffer_load_dword v1, off, s[0:3], 0 offset:12
	s_waitcnt vmcnt(0)
	flat_store_dwordx2 v[15:16], v[0:1]
	s_clause 0x1
	buffer_load_dword v0, off, s[0:3], 0 offset:16
	;; [unrolled: 5-line block ×56, first 2 shown]
	buffer_load_dword v1, off, s[0:3], 0 offset:452
	s_waitcnt vmcnt(0)
	flat_store_dwordx2 v[125:126], v[0:1]
	s_endpgm
	.section	.rodata,"a",@progbits
	.p2align	6, 0x0
	.amdhsa_kernel _ZN9rocsolver6v33100L18getri_kernel_smallILi57E19rocblas_complex_numIfEPKPS3_EEvT1_iilPiilS8_bb
		.amdhsa_group_segment_fixed_size 920
		.amdhsa_private_segment_fixed_size 464
		.amdhsa_kernarg_size 60
		.amdhsa_user_sgpr_count 6
		.amdhsa_user_sgpr_private_segment_buffer 1
		.amdhsa_user_sgpr_dispatch_ptr 0
		.amdhsa_user_sgpr_queue_ptr 0
		.amdhsa_user_sgpr_kernarg_segment_ptr 1
		.amdhsa_user_sgpr_dispatch_id 0
		.amdhsa_user_sgpr_flat_scratch_init 0
		.amdhsa_user_sgpr_private_segment_size 0
		.amdhsa_wavefront_size32 1
		.amdhsa_uses_dynamic_stack 0
		.amdhsa_system_sgpr_private_segment_wavefront_offset 1
		.amdhsa_system_sgpr_workgroup_id_x 1
		.amdhsa_system_sgpr_workgroup_id_y 0
		.amdhsa_system_sgpr_workgroup_id_z 0
		.amdhsa_system_sgpr_workgroup_info 0
		.amdhsa_system_vgpr_workitem_id 0
		.amdhsa_next_free_vgpr 254
		.amdhsa_next_free_sgpr 20
		.amdhsa_reserve_vcc 1
		.amdhsa_reserve_flat_scratch 0
		.amdhsa_float_round_mode_32 0
		.amdhsa_float_round_mode_16_64 0
		.amdhsa_float_denorm_mode_32 3
		.amdhsa_float_denorm_mode_16_64 3
		.amdhsa_dx10_clamp 1
		.amdhsa_ieee_mode 1
		.amdhsa_fp16_overflow 0
		.amdhsa_workgroup_processor_mode 1
		.amdhsa_memory_ordered 1
		.amdhsa_forward_progress 1
		.amdhsa_shared_vgpr_count 0
		.amdhsa_exception_fp_ieee_invalid_op 0
		.amdhsa_exception_fp_denorm_src 0
		.amdhsa_exception_fp_ieee_div_zero 0
		.amdhsa_exception_fp_ieee_overflow 0
		.amdhsa_exception_fp_ieee_underflow 0
		.amdhsa_exception_fp_ieee_inexact 0
		.amdhsa_exception_int_div_zero 0
	.end_amdhsa_kernel
	.section	.text._ZN9rocsolver6v33100L18getri_kernel_smallILi57E19rocblas_complex_numIfEPKPS3_EEvT1_iilPiilS8_bb,"axG",@progbits,_ZN9rocsolver6v33100L18getri_kernel_smallILi57E19rocblas_complex_numIfEPKPS3_EEvT1_iilPiilS8_bb,comdat
.Lfunc_end120:
	.size	_ZN9rocsolver6v33100L18getri_kernel_smallILi57E19rocblas_complex_numIfEPKPS3_EEvT1_iilPiilS8_bb, .Lfunc_end120-_ZN9rocsolver6v33100L18getri_kernel_smallILi57E19rocblas_complex_numIfEPKPS3_EEvT1_iilPiilS8_bb
                                        ; -- End function
	.set _ZN9rocsolver6v33100L18getri_kernel_smallILi57E19rocblas_complex_numIfEPKPS3_EEvT1_iilPiilS8_bb.num_vgpr, 254
	.set _ZN9rocsolver6v33100L18getri_kernel_smallILi57E19rocblas_complex_numIfEPKPS3_EEvT1_iilPiilS8_bb.num_agpr, 0
	.set _ZN9rocsolver6v33100L18getri_kernel_smallILi57E19rocblas_complex_numIfEPKPS3_EEvT1_iilPiilS8_bb.numbered_sgpr, 20
	.set _ZN9rocsolver6v33100L18getri_kernel_smallILi57E19rocblas_complex_numIfEPKPS3_EEvT1_iilPiilS8_bb.num_named_barrier, 0
	.set _ZN9rocsolver6v33100L18getri_kernel_smallILi57E19rocblas_complex_numIfEPKPS3_EEvT1_iilPiilS8_bb.private_seg_size, 464
	.set _ZN9rocsolver6v33100L18getri_kernel_smallILi57E19rocblas_complex_numIfEPKPS3_EEvT1_iilPiilS8_bb.uses_vcc, 1
	.set _ZN9rocsolver6v33100L18getri_kernel_smallILi57E19rocblas_complex_numIfEPKPS3_EEvT1_iilPiilS8_bb.uses_flat_scratch, 0
	.set _ZN9rocsolver6v33100L18getri_kernel_smallILi57E19rocblas_complex_numIfEPKPS3_EEvT1_iilPiilS8_bb.has_dyn_sized_stack, 0
	.set _ZN9rocsolver6v33100L18getri_kernel_smallILi57E19rocblas_complex_numIfEPKPS3_EEvT1_iilPiilS8_bb.has_recursion, 0
	.set _ZN9rocsolver6v33100L18getri_kernel_smallILi57E19rocblas_complex_numIfEPKPS3_EEvT1_iilPiilS8_bb.has_indirect_call, 0
	.section	.AMDGPU.csdata,"",@progbits
; Kernel info:
; codeLenInByte = 120888
; TotalNumSgprs: 22
; NumVgprs: 254
; ScratchSize: 464
; MemoryBound: 0
; FloatMode: 240
; IeeeMode: 1
; LDSByteSize: 920 bytes/workgroup (compile time only)
; SGPRBlocks: 0
; VGPRBlocks: 31
; NumSGPRsForWavesPerEU: 22
; NumVGPRsForWavesPerEU: 254
; Occupancy: 4
; WaveLimiterHint : 1
; COMPUTE_PGM_RSRC2:SCRATCH_EN: 1
; COMPUTE_PGM_RSRC2:USER_SGPR: 6
; COMPUTE_PGM_RSRC2:TRAP_HANDLER: 0
; COMPUTE_PGM_RSRC2:TGID_X_EN: 1
; COMPUTE_PGM_RSRC2:TGID_Y_EN: 0
; COMPUTE_PGM_RSRC2:TGID_Z_EN: 0
; COMPUTE_PGM_RSRC2:TIDIG_COMP_CNT: 0
	.section	.text._ZN9rocsolver6v33100L18getri_kernel_smallILi58E19rocblas_complex_numIfEPKPS3_EEvT1_iilPiilS8_bb,"axG",@progbits,_ZN9rocsolver6v33100L18getri_kernel_smallILi58E19rocblas_complex_numIfEPKPS3_EEvT1_iilPiilS8_bb,comdat
	.globl	_ZN9rocsolver6v33100L18getri_kernel_smallILi58E19rocblas_complex_numIfEPKPS3_EEvT1_iilPiilS8_bb ; -- Begin function _ZN9rocsolver6v33100L18getri_kernel_smallILi58E19rocblas_complex_numIfEPKPS3_EEvT1_iilPiilS8_bb
	.p2align	8
	.type	_ZN9rocsolver6v33100L18getri_kernel_smallILi58E19rocblas_complex_numIfEPKPS3_EEvT1_iilPiilS8_bb,@function
_ZN9rocsolver6v33100L18getri_kernel_smallILi58E19rocblas_complex_numIfEPKPS3_EEvT1_iilPiilS8_bb: ; @_ZN9rocsolver6v33100L18getri_kernel_smallILi58E19rocblas_complex_numIfEPKPS3_EEvT1_iilPiilS8_bb
; %bb.0:
	s_add_u32 s0, s0, s7
	s_addc_u32 s1, s1, 0
	s_mov_b32 s7, exec_lo
	v_cmpx_gt_u32_e32 58, v0
	s_cbranch_execz .LBB121_246
; %bb.1:
	s_clause 0x2
	s_load_dword s17, s[4:5], 0x38
	s_load_dwordx2 s[12:13], s[4:5], 0x0
	s_load_dwordx4 s[8:11], s[4:5], 0x28
	s_waitcnt lgkmcnt(0)
	s_bitcmp1_b32 s17, 8
	s_cselect_b32 s16, -1, 0
	s_ashr_i32 s7, s6, 31
	s_lshl_b64 s[14:15], s[6:7], 3
	s_add_u32 s12, s12, s14
	s_addc_u32 s13, s13, s15
	s_load_dwordx2 s[14:15], s[12:13], 0x0
	s_bfe_u32 s12, s17, 0x10008
	s_cmp_eq_u32 s12, 0
                                        ; implicit-def: $sgpr12_sgpr13
	s_cbranch_scc1 .LBB121_3
; %bb.2:
	s_clause 0x1
	s_load_dword s12, s[4:5], 0x20
	s_load_dwordx2 s[18:19], s[4:5], 0x18
	s_mul_i32 s13, s8, s7
	s_mul_hi_u32 s17, s8, s6
	s_mul_i32 s9, s9, s6
	s_add_i32 s13, s17, s13
	s_mul_i32 s8, s8, s6
	s_add_i32 s9, s13, s9
	s_lshl_b64 s[8:9], s[8:9], 2
	s_waitcnt lgkmcnt(0)
	s_ashr_i32 s13, s12, 31
	s_add_u32 s17, s18, s8
	s_addc_u32 s18, s19, s9
	s_lshl_b64 s[8:9], s[12:13], 2
	s_add_u32 s12, s17, s8
	s_addc_u32 s13, s18, s9
.LBB121_3:
	s_clause 0x1
	s_load_dwordx2 s[8:9], s[4:5], 0x8
	s_load_dword s17, s[4:5], 0x38
	v_lshlrev_b32_e32 v3, 3, v0
	s_waitcnt lgkmcnt(0)
	s_ashr_i32 s5, s8, 31
	s_mov_b32 s4, s8
	v_add3_u32 v4, s9, s9, v0
	s_lshl_b64 s[4:5], s[4:5], 3
	s_add_u32 s4, s14, s4
	s_addc_u32 s5, s15, s5
	v_add_co_u32 v13, s8, s4, v3
	v_add_co_ci_u32_e64 v14, null, s5, 0, s8
	s_mov_b32 s14, s9
	s_ashr_i32 s15, s9, 31
	v_ashrrev_i32_e32 v5, 31, v4
	flat_load_dwordx2 v[1:2], v[13:14]
	s_lshl_b64 s[14:15], s[14:15], 3
	s_bitcmp0_b32 s17, 0
	v_add_co_u32 v15, vcc_lo, v13, s14
	v_add_co_ci_u32_e64 v16, null, s15, v14, vcc_lo
	v_lshlrev_b64 v[5:6], 3, v[4:5]
	v_add_nc_u32_e32 v4, s9, v4
	s_waitcnt vmcnt(0) lgkmcnt(0)
	buffer_store_dword v2, off, s[0:3], 0 offset:4
	buffer_store_dword v1, off, s[0:3], 0
	flat_load_dwordx2 v[1:2], v[15:16]
	v_add_co_u32 v17, vcc_lo, s4, v5
	v_add_co_ci_u32_e64 v18, null, s5, v6, vcc_lo
	v_ashrrev_i32_e32 v5, 31, v4
	s_waitcnt vmcnt(0) lgkmcnt(0)
	buffer_store_dword v2, off, s[0:3], 0 offset:12
	buffer_store_dword v1, off, s[0:3], 0 offset:8
	flat_load_dwordx2 v[1:2], v[17:18]
	v_lshlrev_b64 v[5:6], 3, v[4:5]
	v_add_nc_u32_e32 v4, s9, v4
	s_waitcnt vmcnt(0) lgkmcnt(0)
	buffer_store_dword v2, off, s[0:3], 0 offset:20
	buffer_store_dword v1, off, s[0:3], 0 offset:16
	v_add_co_u32 v19, vcc_lo, s4, v5
	v_add_co_ci_u32_e64 v20, null, s5, v6, vcc_lo
	v_ashrrev_i32_e32 v5, 31, v4
	flat_load_dwordx2 v[1:2], v[19:20]
	s_waitcnt vmcnt(0) lgkmcnt(0)
	buffer_store_dword v2, off, s[0:3], 0 offset:28
	buffer_store_dword v1, off, s[0:3], 0 offset:24
	v_lshlrev_b64 v[5:6], 3, v[4:5]
	v_add_nc_u32_e32 v4, s9, v4
	v_add_co_u32 v21, vcc_lo, s4, v5
	v_add_co_ci_u32_e64 v22, null, s5, v6, vcc_lo
	v_ashrrev_i32_e32 v5, 31, v4
	flat_load_dwordx2 v[1:2], v[21:22]
	s_waitcnt vmcnt(0) lgkmcnt(0)
	buffer_store_dword v2, off, s[0:3], 0 offset:36
	buffer_store_dword v1, off, s[0:3], 0 offset:32
	v_lshlrev_b64 v[5:6], 3, v[4:5]
	v_add_nc_u32_e32 v4, s9, v4
	;; [unrolled: 9-line block ×53, first 2 shown]
	v_add_co_u32 v125, vcc_lo, s4, v5
	v_add_co_ci_u32_e64 v126, null, s5, v6, vcc_lo
	v_ashrrev_i32_e32 v5, 31, v4
	flat_load_dwordx2 v[1:2], v[125:126]
	s_waitcnt vmcnt(0) lgkmcnt(0)
	buffer_store_dword v2, off, s[0:3], 0 offset:452
	buffer_store_dword v1, off, s[0:3], 0 offset:448
	v_lshlrev_b64 v[4:5], 3, v[4:5]
	v_add_co_u32 v127, vcc_lo, s4, v4
	v_add_co_ci_u32_e64 v128, null, s5, v5, vcc_lo
	s_mov_b32 s5, -1
	flat_load_dwordx2 v[1:2], v[127:128]
	s_waitcnt vmcnt(0) lgkmcnt(0)
	buffer_store_dword v2, off, s[0:3], 0 offset:460
	buffer_store_dword v1, off, s[0:3], 0 offset:456
	s_cbranch_scc1 .LBB121_244
; %bb.4:
	v_cmp_eq_u32_e64 s4, 0, v0
	s_and_saveexec_b32 s5, s4
; %bb.5:
	v_mov_b32_e32 v1, 0
	ds_write_b32 v1, v1 offset:928
; %bb.6:
	s_or_b32 exec_lo, exec_lo, s5
	v_lshl_add_u32 v5, v0, 3, 0
	s_waitcnt lgkmcnt(0)
	s_waitcnt_vscnt null, 0x0
	s_barrier
	buffer_gl0_inv
	s_clause 0x1
	buffer_load_dword v1, v5, s[0:3], 0 offen
	buffer_load_dword v2, v5, s[0:3], 0 offen offset:4
	s_waitcnt vmcnt(1)
	v_cmp_eq_f32_e32 vcc_lo, 0, v1
	s_waitcnt vmcnt(0)
	v_cmp_eq_f32_e64 s5, 0, v2
	s_and_b32 s5, vcc_lo, s5
	s_and_saveexec_b32 s8, s5
	s_cbranch_execz .LBB121_10
; %bb.7:
	v_mov_b32_e32 v1, 0
	s_mov_b32 s9, 0
	ds_read_b32 v2, v1 offset:928
	s_waitcnt lgkmcnt(0)
	v_readfirstlane_b32 s5, v2
	v_add_nc_u32_e32 v2, 1, v0
	s_cmp_eq_u32 s5, 0
	v_cmp_gt_i32_e32 vcc_lo, s5, v2
	s_cselect_b32 s14, -1, 0
	s_or_b32 s14, s14, vcc_lo
	s_and_b32 exec_lo, exec_lo, s14
	s_cbranch_execz .LBB121_10
; %bb.8:
	v_mov_b32_e32 v4, s5
.LBB121_9:                              ; =>This Inner Loop Header: Depth=1
	ds_cmpst_rtn_b32 v4, v1, v4, v2 offset:928
	s_waitcnt lgkmcnt(0)
	v_cmp_ne_u32_e32 vcc_lo, 0, v4
	v_cmp_le_i32_e64 s5, v4, v2
	s_and_b32 s5, vcc_lo, s5
	s_and_b32 s5, exec_lo, s5
	s_or_b32 s9, s5, s9
	s_andn2_b32 exec_lo, exec_lo, s9
	s_cbranch_execnz .LBB121_9
.LBB121_10:
	s_or_b32 exec_lo, exec_lo, s8
	v_mov_b32_e32 v1, 0
	s_barrier
	buffer_gl0_inv
	ds_read_b32 v2, v1 offset:928
	s_and_saveexec_b32 s5, s4
	s_cbranch_execz .LBB121_12
; %bb.11:
	s_lshl_b64 s[8:9], s[6:7], 2
	s_add_u32 s8, s10, s8
	s_addc_u32 s9, s11, s9
	s_waitcnt lgkmcnt(0)
	global_store_dword v1, v2, s[8:9]
.LBB121_12:
	s_or_b32 exec_lo, exec_lo, s5
	s_waitcnt lgkmcnt(0)
	v_cmp_ne_u32_e32 vcc_lo, 0, v2
	s_mov_b32 s5, 0
	s_cbranch_vccnz .LBB121_244
; %bb.13:
	s_clause 0x1
	buffer_load_dword v2, v5, s[0:3], 0 offen
	buffer_load_dword v4, v5, s[0:3], 0 offen offset:4
                                        ; implicit-def: $vgpr7
                                        ; implicit-def: $vgpr6
                                        ; implicit-def: $vgpr1
	s_waitcnt vmcnt(0)
	v_cmp_ngt_f32_e64 s5, |v2|, |v4|
	s_and_saveexec_b32 s8, s5
	s_xor_b32 s5, exec_lo, s8
	s_cbranch_execz .LBB121_15
; %bb.14:
	v_div_scale_f32 v1, null, v4, v4, v2
	v_div_scale_f32 v8, vcc_lo, v2, v4, v2
	v_rcp_f32_e32 v6, v1
	v_fma_f32 v7, -v1, v6, 1.0
	v_fmac_f32_e32 v6, v7, v6
	v_mul_f32_e32 v7, v8, v6
	v_fma_f32 v9, -v1, v7, v8
	v_fmac_f32_e32 v7, v9, v6
	v_fma_f32 v1, -v1, v7, v8
	v_div_fmas_f32 v1, v1, v6, v7
	v_div_fixup_f32 v1, v1, v4, v2
	v_fmac_f32_e32 v4, v2, v1
	v_div_scale_f32 v2, null, v4, v4, 1.0
	v_rcp_f32_e32 v6, v2
	v_fma_f32 v7, -v2, v6, 1.0
	v_fmac_f32_e32 v6, v7, v6
	v_div_scale_f32 v7, vcc_lo, 1.0, v4, 1.0
	v_mul_f32_e32 v8, v7, v6
	v_fma_f32 v9, -v2, v8, v7
	v_fmac_f32_e32 v8, v9, v6
	v_fma_f32 v2, -v2, v8, v7
	v_div_fmas_f32 v2, v2, v6, v8
	v_div_fixup_f32 v2, v2, v4, 1.0
                                        ; implicit-def: $vgpr4
	v_mul_f32_e32 v7, v1, v2
	v_xor_b32_e32 v6, 0x80000000, v2
                                        ; implicit-def: $vgpr2
	v_xor_b32_e32 v1, 0x80000000, v7
.LBB121_15:
	s_andn2_saveexec_b32 s5, s5
	s_cbranch_execz .LBB121_17
; %bb.16:
	v_div_scale_f32 v1, null, v2, v2, v4
	v_div_scale_f32 v8, vcc_lo, v4, v2, v4
	v_rcp_f32_e32 v6, v1
	v_fma_f32 v7, -v1, v6, 1.0
	v_fmac_f32_e32 v6, v7, v6
	v_mul_f32_e32 v7, v8, v6
	v_fma_f32 v9, -v1, v7, v8
	v_fmac_f32_e32 v7, v9, v6
	v_fma_f32 v1, -v1, v7, v8
	v_div_fmas_f32 v1, v1, v6, v7
	v_div_fixup_f32 v6, v1, v2, v4
	v_fmac_f32_e32 v2, v4, v6
	v_div_scale_f32 v1, null, v2, v2, 1.0
	v_div_scale_f32 v8, vcc_lo, 1.0, v2, 1.0
	v_rcp_f32_e32 v4, v1
	v_fma_f32 v7, -v1, v4, 1.0
	v_fmac_f32_e32 v4, v7, v4
	v_mul_f32_e32 v7, v8, v4
	v_fma_f32 v9, -v1, v7, v8
	v_fmac_f32_e32 v7, v9, v4
	v_fma_f32 v1, -v1, v7, v8
	v_div_fmas_f32 v1, v1, v4, v7
	v_div_fixup_f32 v7, v1, v2, 1.0
	v_xor_b32_e32 v1, 0x80000000, v7
	v_mul_f32_e64 v6, v6, -v7
.LBB121_17:
	s_or_b32 exec_lo, exec_lo, s5
	buffer_store_dword v7, v5, s[0:3], 0 offen
	buffer_store_dword v6, v5, s[0:3], 0 offen offset:4
	s_clause 0x1
	buffer_load_dword v8, off, s[0:3], 0 offset:12
	buffer_load_dword v7, off, s[0:3], 0 offset:8
	v_xor_b32_e32 v2, 0x80000000, v6
	v_add_nc_u32_e32 v4, 0x1d0, v3
	s_waitcnt vmcnt(0)
	ds_write2_b64 v3, v[1:2], v[7:8] offset1:58
	s_waitcnt lgkmcnt(0)
	s_waitcnt_vscnt null, 0x0
	s_barrier
	buffer_gl0_inv
	s_and_saveexec_b32 s5, s4
	s_cbranch_execz .LBB121_19
; %bb.18:
	s_clause 0x1
	buffer_load_dword v8, v5, s[0:3], 0 offen offset:4
	buffer_load_dword v9, v5, s[0:3], 0 offen
	ds_read_b64 v[1:2], v4
	v_mov_b32_e32 v6, 0
	ds_read_b64 v[6:7], v6 offset:8
	s_waitcnt vmcnt(1) lgkmcnt(1)
	v_mul_f32_e32 v10, v1, v8
	v_mul_f32_e32 v8, v2, v8
	s_waitcnt vmcnt(0)
	v_fmac_f32_e32 v10, v2, v9
	v_fma_f32 v1, v1, v9, -v8
	v_add_f32_e32 v2, 0, v10
	v_add_f32_e32 v1, 0, v1
	s_waitcnt lgkmcnt(0)
	v_mul_f32_e32 v8, v2, v7
	v_mul_f32_e32 v7, v1, v7
	v_fma_f32 v1, v1, v6, -v8
	v_fmac_f32_e32 v7, v2, v6
	buffer_store_dword v1, off, s[0:3], 0 offset:8
	buffer_store_dword v7, off, s[0:3], 0 offset:12
.LBB121_19:
	s_or_b32 exec_lo, exec_lo, s5
	s_waitcnt_vscnt null, 0x0
	s_barrier
	buffer_gl0_inv
	s_clause 0x1
	buffer_load_dword v1, off, s[0:3], 0 offset:16
	buffer_load_dword v2, off, s[0:3], 0 offset:20
	s_mov_b32 s5, exec_lo
	s_waitcnt vmcnt(0)
	ds_write_b64 v4, v[1:2]
	s_waitcnt lgkmcnt(0)
	s_barrier
	buffer_gl0_inv
	v_cmpx_gt_u32_e32 2, v0
	s_cbranch_execz .LBB121_23
; %bb.20:
	s_clause 0x1
	buffer_load_dword v6, v5, s[0:3], 0 offen offset:4
	buffer_load_dword v5, v5, s[0:3], 0 offen
	ds_read_b64 v[1:2], v4
	s_waitcnt vmcnt(1) lgkmcnt(0)
	v_mul_f32_e32 v7, v2, v6
	v_mul_f32_e32 v6, v1, v6
	s_waitcnt vmcnt(0)
	v_fma_f32 v1, v1, v5, -v7
	v_fmac_f32_e32 v6, v2, v5
	v_add_f32_e32 v2, 0, v1
	v_add_f32_e32 v1, 0, v6
	s_and_saveexec_b32 s8, s4
	s_cbranch_execz .LBB121_22
; %bb.21:
	s_clause 0x1
	buffer_load_dword v7, off, s[0:3], 0 offset:12
	buffer_load_dword v8, off, s[0:3], 0 offset:8
	v_mov_b32_e32 v5, 0
	ds_read_b64 v[5:6], v5 offset:472
	s_waitcnt vmcnt(1) lgkmcnt(0)
	v_mul_f32_e32 v9, v5, v7
	v_mul_f32_e32 v7, v6, v7
	s_waitcnt vmcnt(0)
	v_fmac_f32_e32 v9, v6, v8
	v_fma_f32 v5, v5, v8, -v7
	v_add_f32_e32 v1, v1, v9
	v_add_f32_e32 v2, v2, v5
.LBB121_22:
	s_or_b32 exec_lo, exec_lo, s8
	v_mov_b32_e32 v5, 0
	ds_read_b64 v[5:6], v5 offset:16
	s_waitcnt lgkmcnt(0)
	v_mul_f32_e32 v7, v1, v6
	v_mul_f32_e32 v6, v2, v6
	v_fma_f32 v2, v2, v5, -v7
	v_fmac_f32_e32 v6, v1, v5
	buffer_store_dword v2, off, s[0:3], 0 offset:16
	buffer_store_dword v6, off, s[0:3], 0 offset:20
.LBB121_23:
	s_or_b32 exec_lo, exec_lo, s5
	s_waitcnt_vscnt null, 0x0
	s_barrier
	buffer_gl0_inv
	s_clause 0x1
	buffer_load_dword v5, off, s[0:3], 0 offset:24
	buffer_load_dword v6, off, s[0:3], 0 offset:28
	v_add_nc_u32_e32 v1, -1, v0
	s_mov_b32 s4, exec_lo
	s_waitcnt vmcnt(0)
	ds_write_b64 v4, v[5:6]
	s_waitcnt lgkmcnt(0)
	s_barrier
	buffer_gl0_inv
	v_cmpx_gt_u32_e32 3, v0
	s_cbranch_execz .LBB121_27
; %bb.24:
	v_add_nc_u32_e32 v5, -1, v0
	v_add_nc_u32_e32 v6, 0x1d0, v3
	v_mov_b32_e32 v7, v3
	v_mov_b32_e32 v2, 0
	;; [unrolled: 1-line block ×3, first 2 shown]
	s_mov_b32 s5, 0
	.p2align	6
.LBB121_25:                             ; =>This Inner Loop Header: Depth=1
	s_clause 0x1
	buffer_load_dword v11, v7, s[0:3], 0 offen offset:4
	buffer_load_dword v12, v7, s[0:3], 0 offen
	ds_read_b64 v[9:10], v6
	v_add_nc_u32_e32 v5, 1, v5
	v_add_nc_u32_e32 v6, 8, v6
	;; [unrolled: 1-line block ×3, first 2 shown]
	v_cmp_lt_u32_e32 vcc_lo, 1, v5
	s_or_b32 s5, vcc_lo, s5
	s_waitcnt vmcnt(1) lgkmcnt(0)
	v_mul_f32_e32 v129, v10, v11
	v_mul_f32_e32 v11, v9, v11
	s_waitcnt vmcnt(0)
	v_fma_f32 v9, v9, v12, -v129
	v_fmac_f32_e32 v11, v10, v12
	v_add_f32_e32 v8, v8, v9
	v_add_f32_e32 v2, v2, v11
	s_andn2_b32 exec_lo, exec_lo, s5
	s_cbranch_execnz .LBB121_25
; %bb.26:
	s_or_b32 exec_lo, exec_lo, s5
	v_mov_b32_e32 v5, 0
	ds_read_b64 v[5:6], v5 offset:24
	s_waitcnt lgkmcnt(0)
	v_mul_f32_e32 v7, v2, v6
	v_mul_f32_e32 v6, v8, v6
	v_fma_f32 v7, v8, v5, -v7
	v_fmac_f32_e32 v6, v2, v5
	buffer_store_dword v7, off, s[0:3], 0 offset:24
	buffer_store_dword v6, off, s[0:3], 0 offset:28
.LBB121_27:
	s_or_b32 exec_lo, exec_lo, s4
	s_waitcnt_vscnt null, 0x0
	s_barrier
	buffer_gl0_inv
	s_clause 0x1
	buffer_load_dword v5, off, s[0:3], 0 offset:32
	buffer_load_dword v6, off, s[0:3], 0 offset:36
	s_mov_b32 s4, exec_lo
	s_waitcnt vmcnt(0)
	ds_write_b64 v4, v[5:6]
	s_waitcnt lgkmcnt(0)
	s_barrier
	buffer_gl0_inv
	v_cmpx_gt_u32_e32 4, v0
	s_cbranch_execz .LBB121_31
; %bb.28:
	v_add_nc_u32_e32 v5, -1, v0
	v_add_nc_u32_e32 v6, 0x1d0, v3
	v_mov_b32_e32 v7, v3
	v_mov_b32_e32 v2, 0
	;; [unrolled: 1-line block ×3, first 2 shown]
	s_mov_b32 s5, 0
	.p2align	6
.LBB121_29:                             ; =>This Inner Loop Header: Depth=1
	s_clause 0x1
	buffer_load_dword v11, v7, s[0:3], 0 offen offset:4
	buffer_load_dword v12, v7, s[0:3], 0 offen
	ds_read_b64 v[9:10], v6
	v_add_nc_u32_e32 v5, 1, v5
	v_add_nc_u32_e32 v6, 8, v6
	v_add_nc_u32_e32 v7, 8, v7
	v_cmp_lt_u32_e32 vcc_lo, 2, v5
	s_or_b32 s5, vcc_lo, s5
	s_waitcnt vmcnt(1) lgkmcnt(0)
	v_mul_f32_e32 v129, v10, v11
	v_mul_f32_e32 v11, v9, v11
	s_waitcnt vmcnt(0)
	v_fma_f32 v9, v9, v12, -v129
	v_fmac_f32_e32 v11, v10, v12
	v_add_f32_e32 v8, v8, v9
	v_add_f32_e32 v2, v2, v11
	s_andn2_b32 exec_lo, exec_lo, s5
	s_cbranch_execnz .LBB121_29
; %bb.30:
	s_or_b32 exec_lo, exec_lo, s5
	v_mov_b32_e32 v5, 0
	ds_read_b64 v[5:6], v5 offset:32
	s_waitcnt lgkmcnt(0)
	v_mul_f32_e32 v7, v2, v6
	v_mul_f32_e32 v6, v8, v6
	v_fma_f32 v7, v8, v5, -v7
	v_fmac_f32_e32 v6, v2, v5
	buffer_store_dword v7, off, s[0:3], 0 offset:32
	buffer_store_dword v6, off, s[0:3], 0 offset:36
.LBB121_31:
	s_or_b32 exec_lo, exec_lo, s4
	s_waitcnt_vscnt null, 0x0
	s_barrier
	buffer_gl0_inv
	s_clause 0x1
	buffer_load_dword v5, off, s[0:3], 0 offset:40
	buffer_load_dword v6, off, s[0:3], 0 offset:44
	s_mov_b32 s4, exec_lo
	s_waitcnt vmcnt(0)
	ds_write_b64 v4, v[5:6]
	s_waitcnt lgkmcnt(0)
	s_barrier
	buffer_gl0_inv
	v_cmpx_gt_u32_e32 5, v0
	s_cbranch_execz .LBB121_35
; %bb.32:
	v_add_nc_u32_e32 v5, -1, v0
	v_add_nc_u32_e32 v6, 0x1d0, v3
	v_mov_b32_e32 v7, v3
	v_mov_b32_e32 v2, 0
	;; [unrolled: 1-line block ×3, first 2 shown]
	s_mov_b32 s5, 0
	.p2align	6
.LBB121_33:                             ; =>This Inner Loop Header: Depth=1
	s_clause 0x1
	buffer_load_dword v11, v7, s[0:3], 0 offen offset:4
	buffer_load_dword v12, v7, s[0:3], 0 offen
	ds_read_b64 v[9:10], v6
	v_add_nc_u32_e32 v5, 1, v5
	v_add_nc_u32_e32 v6, 8, v6
	;; [unrolled: 1-line block ×3, first 2 shown]
	v_cmp_lt_u32_e32 vcc_lo, 3, v5
	s_or_b32 s5, vcc_lo, s5
	s_waitcnt vmcnt(1) lgkmcnt(0)
	v_mul_f32_e32 v129, v10, v11
	v_mul_f32_e32 v11, v9, v11
	s_waitcnt vmcnt(0)
	v_fma_f32 v9, v9, v12, -v129
	v_fmac_f32_e32 v11, v10, v12
	v_add_f32_e32 v8, v8, v9
	v_add_f32_e32 v2, v2, v11
	s_andn2_b32 exec_lo, exec_lo, s5
	s_cbranch_execnz .LBB121_33
; %bb.34:
	s_or_b32 exec_lo, exec_lo, s5
	v_mov_b32_e32 v5, 0
	ds_read_b64 v[5:6], v5 offset:40
	s_waitcnt lgkmcnt(0)
	v_mul_f32_e32 v7, v2, v6
	v_mul_f32_e32 v6, v8, v6
	v_fma_f32 v7, v8, v5, -v7
	v_fmac_f32_e32 v6, v2, v5
	buffer_store_dword v7, off, s[0:3], 0 offset:40
	buffer_store_dword v6, off, s[0:3], 0 offset:44
.LBB121_35:
	s_or_b32 exec_lo, exec_lo, s4
	s_waitcnt_vscnt null, 0x0
	s_barrier
	buffer_gl0_inv
	s_clause 0x1
	buffer_load_dword v5, off, s[0:3], 0 offset:48
	buffer_load_dword v6, off, s[0:3], 0 offset:52
	s_mov_b32 s4, exec_lo
	s_waitcnt vmcnt(0)
	ds_write_b64 v4, v[5:6]
	s_waitcnt lgkmcnt(0)
	s_barrier
	buffer_gl0_inv
	v_cmpx_gt_u32_e32 6, v0
	s_cbranch_execz .LBB121_39
; %bb.36:
	v_add_nc_u32_e32 v5, -1, v0
	v_add_nc_u32_e32 v6, 0x1d0, v3
	v_mov_b32_e32 v7, v3
	v_mov_b32_e32 v2, 0
	;; [unrolled: 1-line block ×3, first 2 shown]
	s_mov_b32 s5, 0
	.p2align	6
.LBB121_37:                             ; =>This Inner Loop Header: Depth=1
	s_clause 0x1
	buffer_load_dword v11, v7, s[0:3], 0 offen offset:4
	buffer_load_dword v12, v7, s[0:3], 0 offen
	ds_read_b64 v[9:10], v6
	v_add_nc_u32_e32 v5, 1, v5
	v_add_nc_u32_e32 v6, 8, v6
	;; [unrolled: 1-line block ×3, first 2 shown]
	v_cmp_lt_u32_e32 vcc_lo, 4, v5
	s_or_b32 s5, vcc_lo, s5
	s_waitcnt vmcnt(1) lgkmcnt(0)
	v_mul_f32_e32 v129, v10, v11
	v_mul_f32_e32 v11, v9, v11
	s_waitcnt vmcnt(0)
	v_fma_f32 v9, v9, v12, -v129
	v_fmac_f32_e32 v11, v10, v12
	v_add_f32_e32 v8, v8, v9
	v_add_f32_e32 v2, v2, v11
	s_andn2_b32 exec_lo, exec_lo, s5
	s_cbranch_execnz .LBB121_37
; %bb.38:
	s_or_b32 exec_lo, exec_lo, s5
	v_mov_b32_e32 v5, 0
	ds_read_b64 v[5:6], v5 offset:48
	s_waitcnt lgkmcnt(0)
	v_mul_f32_e32 v7, v2, v6
	v_mul_f32_e32 v6, v8, v6
	v_fma_f32 v7, v8, v5, -v7
	v_fmac_f32_e32 v6, v2, v5
	buffer_store_dword v7, off, s[0:3], 0 offset:48
	buffer_store_dword v6, off, s[0:3], 0 offset:52
.LBB121_39:
	s_or_b32 exec_lo, exec_lo, s4
	s_waitcnt_vscnt null, 0x0
	s_barrier
	buffer_gl0_inv
	s_clause 0x1
	buffer_load_dword v5, off, s[0:3], 0 offset:56
	buffer_load_dword v6, off, s[0:3], 0 offset:60
	s_mov_b32 s4, exec_lo
	s_waitcnt vmcnt(0)
	ds_write_b64 v4, v[5:6]
	s_waitcnt lgkmcnt(0)
	s_barrier
	buffer_gl0_inv
	v_cmpx_gt_u32_e32 7, v0
	s_cbranch_execz .LBB121_43
; %bb.40:
	v_add_nc_u32_e32 v5, -1, v0
	v_add_nc_u32_e32 v6, 0x1d0, v3
	v_mov_b32_e32 v7, v3
	v_mov_b32_e32 v2, 0
	;; [unrolled: 1-line block ×3, first 2 shown]
	s_mov_b32 s5, 0
	.p2align	6
.LBB121_41:                             ; =>This Inner Loop Header: Depth=1
	s_clause 0x1
	buffer_load_dword v11, v7, s[0:3], 0 offen offset:4
	buffer_load_dword v12, v7, s[0:3], 0 offen
	ds_read_b64 v[9:10], v6
	v_add_nc_u32_e32 v5, 1, v5
	v_add_nc_u32_e32 v6, 8, v6
	;; [unrolled: 1-line block ×3, first 2 shown]
	v_cmp_lt_u32_e32 vcc_lo, 5, v5
	s_or_b32 s5, vcc_lo, s5
	s_waitcnt vmcnt(1) lgkmcnt(0)
	v_mul_f32_e32 v129, v10, v11
	v_mul_f32_e32 v11, v9, v11
	s_waitcnt vmcnt(0)
	v_fma_f32 v9, v9, v12, -v129
	v_fmac_f32_e32 v11, v10, v12
	v_add_f32_e32 v8, v8, v9
	v_add_f32_e32 v2, v2, v11
	s_andn2_b32 exec_lo, exec_lo, s5
	s_cbranch_execnz .LBB121_41
; %bb.42:
	s_or_b32 exec_lo, exec_lo, s5
	v_mov_b32_e32 v5, 0
	ds_read_b64 v[5:6], v5 offset:56
	s_waitcnt lgkmcnt(0)
	v_mul_f32_e32 v7, v2, v6
	v_mul_f32_e32 v6, v8, v6
	v_fma_f32 v7, v8, v5, -v7
	v_fmac_f32_e32 v6, v2, v5
	buffer_store_dword v7, off, s[0:3], 0 offset:56
	buffer_store_dword v6, off, s[0:3], 0 offset:60
.LBB121_43:
	s_or_b32 exec_lo, exec_lo, s4
	s_waitcnt_vscnt null, 0x0
	s_barrier
	buffer_gl0_inv
	s_clause 0x1
	buffer_load_dword v5, off, s[0:3], 0 offset:64
	buffer_load_dword v6, off, s[0:3], 0 offset:68
	s_mov_b32 s4, exec_lo
	s_waitcnt vmcnt(0)
	ds_write_b64 v4, v[5:6]
	s_waitcnt lgkmcnt(0)
	s_barrier
	buffer_gl0_inv
	v_cmpx_gt_u32_e32 8, v0
	s_cbranch_execz .LBB121_47
; %bb.44:
	v_add_nc_u32_e32 v5, -1, v0
	v_add_nc_u32_e32 v6, 0x1d0, v3
	v_mov_b32_e32 v7, v3
	v_mov_b32_e32 v2, 0
	;; [unrolled: 1-line block ×3, first 2 shown]
	s_mov_b32 s5, 0
	.p2align	6
.LBB121_45:                             ; =>This Inner Loop Header: Depth=1
	s_clause 0x1
	buffer_load_dword v11, v7, s[0:3], 0 offen offset:4
	buffer_load_dword v12, v7, s[0:3], 0 offen
	ds_read_b64 v[9:10], v6
	v_add_nc_u32_e32 v5, 1, v5
	v_add_nc_u32_e32 v6, 8, v6
	;; [unrolled: 1-line block ×3, first 2 shown]
	v_cmp_lt_u32_e32 vcc_lo, 6, v5
	s_or_b32 s5, vcc_lo, s5
	s_waitcnt vmcnt(1) lgkmcnt(0)
	v_mul_f32_e32 v129, v10, v11
	v_mul_f32_e32 v11, v9, v11
	s_waitcnt vmcnt(0)
	v_fma_f32 v9, v9, v12, -v129
	v_fmac_f32_e32 v11, v10, v12
	v_add_f32_e32 v8, v8, v9
	v_add_f32_e32 v2, v2, v11
	s_andn2_b32 exec_lo, exec_lo, s5
	s_cbranch_execnz .LBB121_45
; %bb.46:
	s_or_b32 exec_lo, exec_lo, s5
	v_mov_b32_e32 v5, 0
	ds_read_b64 v[5:6], v5 offset:64
	s_waitcnt lgkmcnt(0)
	v_mul_f32_e32 v7, v2, v6
	v_mul_f32_e32 v6, v8, v6
	v_fma_f32 v7, v8, v5, -v7
	v_fmac_f32_e32 v6, v2, v5
	buffer_store_dword v7, off, s[0:3], 0 offset:64
	buffer_store_dword v6, off, s[0:3], 0 offset:68
.LBB121_47:
	s_or_b32 exec_lo, exec_lo, s4
	s_waitcnt_vscnt null, 0x0
	s_barrier
	buffer_gl0_inv
	s_clause 0x1
	buffer_load_dword v5, off, s[0:3], 0 offset:72
	buffer_load_dword v6, off, s[0:3], 0 offset:76
	s_mov_b32 s4, exec_lo
	s_waitcnt vmcnt(0)
	ds_write_b64 v4, v[5:6]
	s_waitcnt lgkmcnt(0)
	s_barrier
	buffer_gl0_inv
	v_cmpx_gt_u32_e32 9, v0
	s_cbranch_execz .LBB121_51
; %bb.48:
	v_add_nc_u32_e32 v5, -1, v0
	v_add_nc_u32_e32 v6, 0x1d0, v3
	v_mov_b32_e32 v7, v3
	v_mov_b32_e32 v2, 0
	;; [unrolled: 1-line block ×3, first 2 shown]
	s_mov_b32 s5, 0
	.p2align	6
.LBB121_49:                             ; =>This Inner Loop Header: Depth=1
	s_clause 0x1
	buffer_load_dword v11, v7, s[0:3], 0 offen offset:4
	buffer_load_dword v12, v7, s[0:3], 0 offen
	ds_read_b64 v[9:10], v6
	v_add_nc_u32_e32 v5, 1, v5
	v_add_nc_u32_e32 v6, 8, v6
	;; [unrolled: 1-line block ×3, first 2 shown]
	v_cmp_lt_u32_e32 vcc_lo, 7, v5
	s_or_b32 s5, vcc_lo, s5
	s_waitcnt vmcnt(1) lgkmcnt(0)
	v_mul_f32_e32 v129, v10, v11
	v_mul_f32_e32 v11, v9, v11
	s_waitcnt vmcnt(0)
	v_fma_f32 v9, v9, v12, -v129
	v_fmac_f32_e32 v11, v10, v12
	v_add_f32_e32 v8, v8, v9
	v_add_f32_e32 v2, v2, v11
	s_andn2_b32 exec_lo, exec_lo, s5
	s_cbranch_execnz .LBB121_49
; %bb.50:
	s_or_b32 exec_lo, exec_lo, s5
	v_mov_b32_e32 v5, 0
	ds_read_b64 v[5:6], v5 offset:72
	s_waitcnt lgkmcnt(0)
	v_mul_f32_e32 v7, v2, v6
	v_mul_f32_e32 v6, v8, v6
	v_fma_f32 v7, v8, v5, -v7
	v_fmac_f32_e32 v6, v2, v5
	buffer_store_dword v7, off, s[0:3], 0 offset:72
	buffer_store_dword v6, off, s[0:3], 0 offset:76
.LBB121_51:
	s_or_b32 exec_lo, exec_lo, s4
	s_waitcnt_vscnt null, 0x0
	s_barrier
	buffer_gl0_inv
	s_clause 0x1
	buffer_load_dword v5, off, s[0:3], 0 offset:80
	buffer_load_dword v6, off, s[0:3], 0 offset:84
	s_mov_b32 s4, exec_lo
	s_waitcnt vmcnt(0)
	ds_write_b64 v4, v[5:6]
	s_waitcnt lgkmcnt(0)
	s_barrier
	buffer_gl0_inv
	v_cmpx_gt_u32_e32 10, v0
	s_cbranch_execz .LBB121_55
; %bb.52:
	v_add_nc_u32_e32 v5, -1, v0
	v_add_nc_u32_e32 v6, 0x1d0, v3
	v_mov_b32_e32 v7, v3
	v_mov_b32_e32 v2, 0
	;; [unrolled: 1-line block ×3, first 2 shown]
	s_mov_b32 s5, 0
	.p2align	6
.LBB121_53:                             ; =>This Inner Loop Header: Depth=1
	s_clause 0x1
	buffer_load_dword v11, v7, s[0:3], 0 offen offset:4
	buffer_load_dword v12, v7, s[0:3], 0 offen
	ds_read_b64 v[9:10], v6
	v_add_nc_u32_e32 v5, 1, v5
	v_add_nc_u32_e32 v6, 8, v6
	;; [unrolled: 1-line block ×3, first 2 shown]
	v_cmp_lt_u32_e32 vcc_lo, 8, v5
	s_or_b32 s5, vcc_lo, s5
	s_waitcnt vmcnt(1) lgkmcnt(0)
	v_mul_f32_e32 v129, v10, v11
	v_mul_f32_e32 v11, v9, v11
	s_waitcnt vmcnt(0)
	v_fma_f32 v9, v9, v12, -v129
	v_fmac_f32_e32 v11, v10, v12
	v_add_f32_e32 v8, v8, v9
	v_add_f32_e32 v2, v2, v11
	s_andn2_b32 exec_lo, exec_lo, s5
	s_cbranch_execnz .LBB121_53
; %bb.54:
	s_or_b32 exec_lo, exec_lo, s5
	v_mov_b32_e32 v5, 0
	ds_read_b64 v[5:6], v5 offset:80
	s_waitcnt lgkmcnt(0)
	v_mul_f32_e32 v7, v2, v6
	v_mul_f32_e32 v6, v8, v6
	v_fma_f32 v7, v8, v5, -v7
	v_fmac_f32_e32 v6, v2, v5
	buffer_store_dword v7, off, s[0:3], 0 offset:80
	buffer_store_dword v6, off, s[0:3], 0 offset:84
.LBB121_55:
	s_or_b32 exec_lo, exec_lo, s4
	s_waitcnt_vscnt null, 0x0
	s_barrier
	buffer_gl0_inv
	s_clause 0x1
	buffer_load_dword v5, off, s[0:3], 0 offset:88
	buffer_load_dword v6, off, s[0:3], 0 offset:92
	s_mov_b32 s4, exec_lo
	s_waitcnt vmcnt(0)
	ds_write_b64 v4, v[5:6]
	s_waitcnt lgkmcnt(0)
	s_barrier
	buffer_gl0_inv
	v_cmpx_gt_u32_e32 11, v0
	s_cbranch_execz .LBB121_59
; %bb.56:
	v_add_nc_u32_e32 v5, -1, v0
	v_add_nc_u32_e32 v6, 0x1d0, v3
	v_mov_b32_e32 v7, v3
	v_mov_b32_e32 v2, 0
	;; [unrolled: 1-line block ×3, first 2 shown]
	s_mov_b32 s5, 0
	.p2align	6
.LBB121_57:                             ; =>This Inner Loop Header: Depth=1
	s_clause 0x1
	buffer_load_dword v11, v7, s[0:3], 0 offen offset:4
	buffer_load_dword v12, v7, s[0:3], 0 offen
	ds_read_b64 v[9:10], v6
	v_add_nc_u32_e32 v5, 1, v5
	v_add_nc_u32_e32 v6, 8, v6
	;; [unrolled: 1-line block ×3, first 2 shown]
	v_cmp_lt_u32_e32 vcc_lo, 9, v5
	s_or_b32 s5, vcc_lo, s5
	s_waitcnt vmcnt(1) lgkmcnt(0)
	v_mul_f32_e32 v129, v10, v11
	v_mul_f32_e32 v11, v9, v11
	s_waitcnt vmcnt(0)
	v_fma_f32 v9, v9, v12, -v129
	v_fmac_f32_e32 v11, v10, v12
	v_add_f32_e32 v8, v8, v9
	v_add_f32_e32 v2, v2, v11
	s_andn2_b32 exec_lo, exec_lo, s5
	s_cbranch_execnz .LBB121_57
; %bb.58:
	s_or_b32 exec_lo, exec_lo, s5
	v_mov_b32_e32 v5, 0
	ds_read_b64 v[5:6], v5 offset:88
	s_waitcnt lgkmcnt(0)
	v_mul_f32_e32 v7, v2, v6
	v_mul_f32_e32 v6, v8, v6
	v_fma_f32 v7, v8, v5, -v7
	v_fmac_f32_e32 v6, v2, v5
	buffer_store_dword v7, off, s[0:3], 0 offset:88
	buffer_store_dword v6, off, s[0:3], 0 offset:92
.LBB121_59:
	s_or_b32 exec_lo, exec_lo, s4
	s_waitcnt_vscnt null, 0x0
	s_barrier
	buffer_gl0_inv
	s_clause 0x1
	buffer_load_dword v5, off, s[0:3], 0 offset:96
	buffer_load_dword v6, off, s[0:3], 0 offset:100
	s_mov_b32 s4, exec_lo
	s_waitcnt vmcnt(0)
	ds_write_b64 v4, v[5:6]
	s_waitcnt lgkmcnt(0)
	s_barrier
	buffer_gl0_inv
	v_cmpx_gt_u32_e32 12, v0
	s_cbranch_execz .LBB121_63
; %bb.60:
	v_add_nc_u32_e32 v5, -1, v0
	v_add_nc_u32_e32 v6, 0x1d0, v3
	v_mov_b32_e32 v7, v3
	v_mov_b32_e32 v2, 0
	;; [unrolled: 1-line block ×3, first 2 shown]
	s_mov_b32 s5, 0
	.p2align	6
.LBB121_61:                             ; =>This Inner Loop Header: Depth=1
	s_clause 0x1
	buffer_load_dword v11, v7, s[0:3], 0 offen offset:4
	buffer_load_dword v12, v7, s[0:3], 0 offen
	ds_read_b64 v[9:10], v6
	v_add_nc_u32_e32 v5, 1, v5
	v_add_nc_u32_e32 v6, 8, v6
	;; [unrolled: 1-line block ×3, first 2 shown]
	v_cmp_lt_u32_e32 vcc_lo, 10, v5
	s_or_b32 s5, vcc_lo, s5
	s_waitcnt vmcnt(1) lgkmcnt(0)
	v_mul_f32_e32 v129, v10, v11
	v_mul_f32_e32 v11, v9, v11
	s_waitcnt vmcnt(0)
	v_fma_f32 v9, v9, v12, -v129
	v_fmac_f32_e32 v11, v10, v12
	v_add_f32_e32 v8, v8, v9
	v_add_f32_e32 v2, v2, v11
	s_andn2_b32 exec_lo, exec_lo, s5
	s_cbranch_execnz .LBB121_61
; %bb.62:
	s_or_b32 exec_lo, exec_lo, s5
	v_mov_b32_e32 v5, 0
	ds_read_b64 v[5:6], v5 offset:96
	s_waitcnt lgkmcnt(0)
	v_mul_f32_e32 v7, v2, v6
	v_mul_f32_e32 v6, v8, v6
	v_fma_f32 v7, v8, v5, -v7
	v_fmac_f32_e32 v6, v2, v5
	buffer_store_dword v7, off, s[0:3], 0 offset:96
	buffer_store_dword v6, off, s[0:3], 0 offset:100
.LBB121_63:
	s_or_b32 exec_lo, exec_lo, s4
	s_waitcnt_vscnt null, 0x0
	s_barrier
	buffer_gl0_inv
	s_clause 0x1
	buffer_load_dword v5, off, s[0:3], 0 offset:104
	buffer_load_dword v6, off, s[0:3], 0 offset:108
	s_mov_b32 s4, exec_lo
	s_waitcnt vmcnt(0)
	ds_write_b64 v4, v[5:6]
	s_waitcnt lgkmcnt(0)
	s_barrier
	buffer_gl0_inv
	v_cmpx_gt_u32_e32 13, v0
	s_cbranch_execz .LBB121_67
; %bb.64:
	v_add_nc_u32_e32 v5, -1, v0
	v_add_nc_u32_e32 v6, 0x1d0, v3
	v_mov_b32_e32 v7, v3
	v_mov_b32_e32 v2, 0
	;; [unrolled: 1-line block ×3, first 2 shown]
	s_mov_b32 s5, 0
	.p2align	6
.LBB121_65:                             ; =>This Inner Loop Header: Depth=1
	s_clause 0x1
	buffer_load_dword v11, v7, s[0:3], 0 offen offset:4
	buffer_load_dword v12, v7, s[0:3], 0 offen
	ds_read_b64 v[9:10], v6
	v_add_nc_u32_e32 v5, 1, v5
	v_add_nc_u32_e32 v6, 8, v6
	v_add_nc_u32_e32 v7, 8, v7
	v_cmp_lt_u32_e32 vcc_lo, 11, v5
	s_or_b32 s5, vcc_lo, s5
	s_waitcnt vmcnt(1) lgkmcnt(0)
	v_mul_f32_e32 v129, v10, v11
	v_mul_f32_e32 v11, v9, v11
	s_waitcnt vmcnt(0)
	v_fma_f32 v9, v9, v12, -v129
	v_fmac_f32_e32 v11, v10, v12
	v_add_f32_e32 v8, v8, v9
	v_add_f32_e32 v2, v2, v11
	s_andn2_b32 exec_lo, exec_lo, s5
	s_cbranch_execnz .LBB121_65
; %bb.66:
	s_or_b32 exec_lo, exec_lo, s5
	v_mov_b32_e32 v5, 0
	ds_read_b64 v[5:6], v5 offset:104
	s_waitcnt lgkmcnt(0)
	v_mul_f32_e32 v7, v2, v6
	v_mul_f32_e32 v6, v8, v6
	v_fma_f32 v7, v8, v5, -v7
	v_fmac_f32_e32 v6, v2, v5
	buffer_store_dword v7, off, s[0:3], 0 offset:104
	buffer_store_dword v6, off, s[0:3], 0 offset:108
.LBB121_67:
	s_or_b32 exec_lo, exec_lo, s4
	s_waitcnt_vscnt null, 0x0
	s_barrier
	buffer_gl0_inv
	s_clause 0x1
	buffer_load_dword v5, off, s[0:3], 0 offset:112
	buffer_load_dword v6, off, s[0:3], 0 offset:116
	s_mov_b32 s4, exec_lo
	s_waitcnt vmcnt(0)
	ds_write_b64 v4, v[5:6]
	s_waitcnt lgkmcnt(0)
	s_barrier
	buffer_gl0_inv
	v_cmpx_gt_u32_e32 14, v0
	s_cbranch_execz .LBB121_71
; %bb.68:
	v_add_nc_u32_e32 v5, -1, v0
	v_add_nc_u32_e32 v6, 0x1d0, v3
	v_mov_b32_e32 v7, v3
	v_mov_b32_e32 v2, 0
	;; [unrolled: 1-line block ×3, first 2 shown]
	s_mov_b32 s5, 0
	.p2align	6
.LBB121_69:                             ; =>This Inner Loop Header: Depth=1
	s_clause 0x1
	buffer_load_dword v11, v7, s[0:3], 0 offen offset:4
	buffer_load_dword v12, v7, s[0:3], 0 offen
	ds_read_b64 v[9:10], v6
	v_add_nc_u32_e32 v5, 1, v5
	v_add_nc_u32_e32 v6, 8, v6
	;; [unrolled: 1-line block ×3, first 2 shown]
	v_cmp_lt_u32_e32 vcc_lo, 12, v5
	s_or_b32 s5, vcc_lo, s5
	s_waitcnt vmcnt(1) lgkmcnt(0)
	v_mul_f32_e32 v129, v10, v11
	v_mul_f32_e32 v11, v9, v11
	s_waitcnt vmcnt(0)
	v_fma_f32 v9, v9, v12, -v129
	v_fmac_f32_e32 v11, v10, v12
	v_add_f32_e32 v8, v8, v9
	v_add_f32_e32 v2, v2, v11
	s_andn2_b32 exec_lo, exec_lo, s5
	s_cbranch_execnz .LBB121_69
; %bb.70:
	s_or_b32 exec_lo, exec_lo, s5
	v_mov_b32_e32 v5, 0
	ds_read_b64 v[5:6], v5 offset:112
	s_waitcnt lgkmcnt(0)
	v_mul_f32_e32 v7, v2, v6
	v_mul_f32_e32 v6, v8, v6
	v_fma_f32 v7, v8, v5, -v7
	v_fmac_f32_e32 v6, v2, v5
	buffer_store_dword v7, off, s[0:3], 0 offset:112
	buffer_store_dword v6, off, s[0:3], 0 offset:116
.LBB121_71:
	s_or_b32 exec_lo, exec_lo, s4
	s_waitcnt_vscnt null, 0x0
	s_barrier
	buffer_gl0_inv
	s_clause 0x1
	buffer_load_dword v5, off, s[0:3], 0 offset:120
	buffer_load_dword v6, off, s[0:3], 0 offset:124
	s_mov_b32 s4, exec_lo
	s_waitcnt vmcnt(0)
	ds_write_b64 v4, v[5:6]
	s_waitcnt lgkmcnt(0)
	s_barrier
	buffer_gl0_inv
	v_cmpx_gt_u32_e32 15, v0
	s_cbranch_execz .LBB121_75
; %bb.72:
	v_add_nc_u32_e32 v5, -1, v0
	v_add_nc_u32_e32 v6, 0x1d0, v3
	v_mov_b32_e32 v7, v3
	v_mov_b32_e32 v2, 0
	;; [unrolled: 1-line block ×3, first 2 shown]
	s_mov_b32 s5, 0
	.p2align	6
.LBB121_73:                             ; =>This Inner Loop Header: Depth=1
	s_clause 0x1
	buffer_load_dword v11, v7, s[0:3], 0 offen offset:4
	buffer_load_dword v12, v7, s[0:3], 0 offen
	ds_read_b64 v[9:10], v6
	v_add_nc_u32_e32 v5, 1, v5
	v_add_nc_u32_e32 v6, 8, v6
	;; [unrolled: 1-line block ×3, first 2 shown]
	v_cmp_lt_u32_e32 vcc_lo, 13, v5
	s_or_b32 s5, vcc_lo, s5
	s_waitcnt vmcnt(1) lgkmcnt(0)
	v_mul_f32_e32 v129, v10, v11
	v_mul_f32_e32 v11, v9, v11
	s_waitcnt vmcnt(0)
	v_fma_f32 v9, v9, v12, -v129
	v_fmac_f32_e32 v11, v10, v12
	v_add_f32_e32 v8, v8, v9
	v_add_f32_e32 v2, v2, v11
	s_andn2_b32 exec_lo, exec_lo, s5
	s_cbranch_execnz .LBB121_73
; %bb.74:
	s_or_b32 exec_lo, exec_lo, s5
	v_mov_b32_e32 v5, 0
	ds_read_b64 v[5:6], v5 offset:120
	s_waitcnt lgkmcnt(0)
	v_mul_f32_e32 v7, v2, v6
	v_mul_f32_e32 v6, v8, v6
	v_fma_f32 v7, v8, v5, -v7
	v_fmac_f32_e32 v6, v2, v5
	buffer_store_dword v7, off, s[0:3], 0 offset:120
	buffer_store_dword v6, off, s[0:3], 0 offset:124
.LBB121_75:
	s_or_b32 exec_lo, exec_lo, s4
	s_waitcnt_vscnt null, 0x0
	s_barrier
	buffer_gl0_inv
	s_clause 0x1
	buffer_load_dword v5, off, s[0:3], 0 offset:128
	buffer_load_dword v6, off, s[0:3], 0 offset:132
	s_mov_b32 s4, exec_lo
	s_waitcnt vmcnt(0)
	ds_write_b64 v4, v[5:6]
	s_waitcnt lgkmcnt(0)
	s_barrier
	buffer_gl0_inv
	v_cmpx_gt_u32_e32 16, v0
	s_cbranch_execz .LBB121_79
; %bb.76:
	v_add_nc_u32_e32 v5, -1, v0
	v_add_nc_u32_e32 v6, 0x1d0, v3
	v_mov_b32_e32 v7, v3
	v_mov_b32_e32 v2, 0
	;; [unrolled: 1-line block ×3, first 2 shown]
	s_mov_b32 s5, 0
	.p2align	6
.LBB121_77:                             ; =>This Inner Loop Header: Depth=1
	s_clause 0x1
	buffer_load_dword v11, v7, s[0:3], 0 offen offset:4
	buffer_load_dword v12, v7, s[0:3], 0 offen
	ds_read_b64 v[9:10], v6
	v_add_nc_u32_e32 v5, 1, v5
	v_add_nc_u32_e32 v6, 8, v6
	;; [unrolled: 1-line block ×3, first 2 shown]
	v_cmp_lt_u32_e32 vcc_lo, 14, v5
	s_or_b32 s5, vcc_lo, s5
	s_waitcnt vmcnt(1) lgkmcnt(0)
	v_mul_f32_e32 v129, v10, v11
	v_mul_f32_e32 v11, v9, v11
	s_waitcnt vmcnt(0)
	v_fma_f32 v9, v9, v12, -v129
	v_fmac_f32_e32 v11, v10, v12
	v_add_f32_e32 v8, v8, v9
	v_add_f32_e32 v2, v2, v11
	s_andn2_b32 exec_lo, exec_lo, s5
	s_cbranch_execnz .LBB121_77
; %bb.78:
	s_or_b32 exec_lo, exec_lo, s5
	v_mov_b32_e32 v5, 0
	ds_read_b64 v[5:6], v5 offset:128
	s_waitcnt lgkmcnt(0)
	v_mul_f32_e32 v7, v2, v6
	v_mul_f32_e32 v6, v8, v6
	v_fma_f32 v7, v8, v5, -v7
	v_fmac_f32_e32 v6, v2, v5
	buffer_store_dword v7, off, s[0:3], 0 offset:128
	buffer_store_dword v6, off, s[0:3], 0 offset:132
.LBB121_79:
	s_or_b32 exec_lo, exec_lo, s4
	s_waitcnt_vscnt null, 0x0
	s_barrier
	buffer_gl0_inv
	s_clause 0x1
	buffer_load_dword v5, off, s[0:3], 0 offset:136
	buffer_load_dword v6, off, s[0:3], 0 offset:140
	s_mov_b32 s4, exec_lo
	s_waitcnt vmcnt(0)
	ds_write_b64 v4, v[5:6]
	s_waitcnt lgkmcnt(0)
	s_barrier
	buffer_gl0_inv
	v_cmpx_gt_u32_e32 17, v0
	s_cbranch_execz .LBB121_83
; %bb.80:
	v_add_nc_u32_e32 v5, -1, v0
	v_add_nc_u32_e32 v6, 0x1d0, v3
	v_mov_b32_e32 v7, v3
	v_mov_b32_e32 v2, 0
	;; [unrolled: 1-line block ×3, first 2 shown]
	s_mov_b32 s5, 0
	.p2align	6
.LBB121_81:                             ; =>This Inner Loop Header: Depth=1
	s_clause 0x1
	buffer_load_dword v11, v7, s[0:3], 0 offen offset:4
	buffer_load_dword v12, v7, s[0:3], 0 offen
	ds_read_b64 v[9:10], v6
	v_add_nc_u32_e32 v5, 1, v5
	v_add_nc_u32_e32 v6, 8, v6
	;; [unrolled: 1-line block ×3, first 2 shown]
	v_cmp_lt_u32_e32 vcc_lo, 15, v5
	s_or_b32 s5, vcc_lo, s5
	s_waitcnt vmcnt(1) lgkmcnt(0)
	v_mul_f32_e32 v129, v10, v11
	v_mul_f32_e32 v11, v9, v11
	s_waitcnt vmcnt(0)
	v_fma_f32 v9, v9, v12, -v129
	v_fmac_f32_e32 v11, v10, v12
	v_add_f32_e32 v8, v8, v9
	v_add_f32_e32 v2, v2, v11
	s_andn2_b32 exec_lo, exec_lo, s5
	s_cbranch_execnz .LBB121_81
; %bb.82:
	s_or_b32 exec_lo, exec_lo, s5
	v_mov_b32_e32 v5, 0
	ds_read_b64 v[5:6], v5 offset:136
	s_waitcnt lgkmcnt(0)
	v_mul_f32_e32 v7, v2, v6
	v_mul_f32_e32 v6, v8, v6
	v_fma_f32 v7, v8, v5, -v7
	v_fmac_f32_e32 v6, v2, v5
	buffer_store_dword v7, off, s[0:3], 0 offset:136
	buffer_store_dword v6, off, s[0:3], 0 offset:140
.LBB121_83:
	s_or_b32 exec_lo, exec_lo, s4
	s_waitcnt_vscnt null, 0x0
	s_barrier
	buffer_gl0_inv
	s_clause 0x1
	buffer_load_dword v5, off, s[0:3], 0 offset:144
	buffer_load_dword v6, off, s[0:3], 0 offset:148
	s_mov_b32 s4, exec_lo
	s_waitcnt vmcnt(0)
	ds_write_b64 v4, v[5:6]
	s_waitcnt lgkmcnt(0)
	s_barrier
	buffer_gl0_inv
	v_cmpx_gt_u32_e32 18, v0
	s_cbranch_execz .LBB121_87
; %bb.84:
	v_add_nc_u32_e32 v5, -1, v0
	v_add_nc_u32_e32 v6, 0x1d0, v3
	v_mov_b32_e32 v7, v3
	v_mov_b32_e32 v2, 0
	;; [unrolled: 1-line block ×3, first 2 shown]
	s_mov_b32 s5, 0
	.p2align	6
.LBB121_85:                             ; =>This Inner Loop Header: Depth=1
	s_clause 0x1
	buffer_load_dword v11, v7, s[0:3], 0 offen offset:4
	buffer_load_dword v12, v7, s[0:3], 0 offen
	ds_read_b64 v[9:10], v6
	v_add_nc_u32_e32 v5, 1, v5
	v_add_nc_u32_e32 v6, 8, v6
	;; [unrolled: 1-line block ×3, first 2 shown]
	v_cmp_lt_u32_e32 vcc_lo, 16, v5
	s_or_b32 s5, vcc_lo, s5
	s_waitcnt vmcnt(1) lgkmcnt(0)
	v_mul_f32_e32 v129, v10, v11
	v_mul_f32_e32 v11, v9, v11
	s_waitcnt vmcnt(0)
	v_fma_f32 v9, v9, v12, -v129
	v_fmac_f32_e32 v11, v10, v12
	v_add_f32_e32 v8, v8, v9
	v_add_f32_e32 v2, v2, v11
	s_andn2_b32 exec_lo, exec_lo, s5
	s_cbranch_execnz .LBB121_85
; %bb.86:
	s_or_b32 exec_lo, exec_lo, s5
	v_mov_b32_e32 v5, 0
	ds_read_b64 v[5:6], v5 offset:144
	s_waitcnt lgkmcnt(0)
	v_mul_f32_e32 v7, v2, v6
	v_mul_f32_e32 v6, v8, v6
	v_fma_f32 v7, v8, v5, -v7
	v_fmac_f32_e32 v6, v2, v5
	buffer_store_dword v7, off, s[0:3], 0 offset:144
	buffer_store_dword v6, off, s[0:3], 0 offset:148
.LBB121_87:
	s_or_b32 exec_lo, exec_lo, s4
	s_waitcnt_vscnt null, 0x0
	s_barrier
	buffer_gl0_inv
	s_clause 0x1
	buffer_load_dword v5, off, s[0:3], 0 offset:152
	buffer_load_dword v6, off, s[0:3], 0 offset:156
	s_mov_b32 s4, exec_lo
	s_waitcnt vmcnt(0)
	ds_write_b64 v4, v[5:6]
	s_waitcnt lgkmcnt(0)
	s_barrier
	buffer_gl0_inv
	v_cmpx_gt_u32_e32 19, v0
	s_cbranch_execz .LBB121_91
; %bb.88:
	v_add_nc_u32_e32 v5, -1, v0
	v_add_nc_u32_e32 v6, 0x1d0, v3
	v_mov_b32_e32 v7, v3
	v_mov_b32_e32 v2, 0
	;; [unrolled: 1-line block ×3, first 2 shown]
	s_mov_b32 s5, 0
	.p2align	6
.LBB121_89:                             ; =>This Inner Loop Header: Depth=1
	s_clause 0x1
	buffer_load_dword v11, v7, s[0:3], 0 offen offset:4
	buffer_load_dword v12, v7, s[0:3], 0 offen
	ds_read_b64 v[9:10], v6
	v_add_nc_u32_e32 v5, 1, v5
	v_add_nc_u32_e32 v6, 8, v6
	;; [unrolled: 1-line block ×3, first 2 shown]
	v_cmp_lt_u32_e32 vcc_lo, 17, v5
	s_or_b32 s5, vcc_lo, s5
	s_waitcnt vmcnt(1) lgkmcnt(0)
	v_mul_f32_e32 v129, v10, v11
	v_mul_f32_e32 v11, v9, v11
	s_waitcnt vmcnt(0)
	v_fma_f32 v9, v9, v12, -v129
	v_fmac_f32_e32 v11, v10, v12
	v_add_f32_e32 v8, v8, v9
	v_add_f32_e32 v2, v2, v11
	s_andn2_b32 exec_lo, exec_lo, s5
	s_cbranch_execnz .LBB121_89
; %bb.90:
	s_or_b32 exec_lo, exec_lo, s5
	v_mov_b32_e32 v5, 0
	ds_read_b64 v[5:6], v5 offset:152
	s_waitcnt lgkmcnt(0)
	v_mul_f32_e32 v7, v2, v6
	v_mul_f32_e32 v6, v8, v6
	v_fma_f32 v7, v8, v5, -v7
	v_fmac_f32_e32 v6, v2, v5
	buffer_store_dword v7, off, s[0:3], 0 offset:152
	buffer_store_dword v6, off, s[0:3], 0 offset:156
.LBB121_91:
	s_or_b32 exec_lo, exec_lo, s4
	s_waitcnt_vscnt null, 0x0
	s_barrier
	buffer_gl0_inv
	s_clause 0x1
	buffer_load_dword v5, off, s[0:3], 0 offset:160
	buffer_load_dword v6, off, s[0:3], 0 offset:164
	s_mov_b32 s4, exec_lo
	s_waitcnt vmcnt(0)
	ds_write_b64 v4, v[5:6]
	s_waitcnt lgkmcnt(0)
	s_barrier
	buffer_gl0_inv
	v_cmpx_gt_u32_e32 20, v0
	s_cbranch_execz .LBB121_95
; %bb.92:
	v_add_nc_u32_e32 v5, -1, v0
	v_add_nc_u32_e32 v6, 0x1d0, v3
	v_mov_b32_e32 v7, v3
	v_mov_b32_e32 v2, 0
	;; [unrolled: 1-line block ×3, first 2 shown]
	s_mov_b32 s5, 0
	.p2align	6
.LBB121_93:                             ; =>This Inner Loop Header: Depth=1
	s_clause 0x1
	buffer_load_dword v11, v7, s[0:3], 0 offen offset:4
	buffer_load_dword v12, v7, s[0:3], 0 offen
	ds_read_b64 v[9:10], v6
	v_add_nc_u32_e32 v5, 1, v5
	v_add_nc_u32_e32 v6, 8, v6
	;; [unrolled: 1-line block ×3, first 2 shown]
	v_cmp_lt_u32_e32 vcc_lo, 18, v5
	s_or_b32 s5, vcc_lo, s5
	s_waitcnt vmcnt(1) lgkmcnt(0)
	v_mul_f32_e32 v129, v10, v11
	v_mul_f32_e32 v11, v9, v11
	s_waitcnt vmcnt(0)
	v_fma_f32 v9, v9, v12, -v129
	v_fmac_f32_e32 v11, v10, v12
	v_add_f32_e32 v8, v8, v9
	v_add_f32_e32 v2, v2, v11
	s_andn2_b32 exec_lo, exec_lo, s5
	s_cbranch_execnz .LBB121_93
; %bb.94:
	s_or_b32 exec_lo, exec_lo, s5
	v_mov_b32_e32 v5, 0
	ds_read_b64 v[5:6], v5 offset:160
	s_waitcnt lgkmcnt(0)
	v_mul_f32_e32 v7, v2, v6
	v_mul_f32_e32 v6, v8, v6
	v_fma_f32 v7, v8, v5, -v7
	v_fmac_f32_e32 v6, v2, v5
	buffer_store_dword v7, off, s[0:3], 0 offset:160
	buffer_store_dword v6, off, s[0:3], 0 offset:164
.LBB121_95:
	s_or_b32 exec_lo, exec_lo, s4
	s_waitcnt_vscnt null, 0x0
	s_barrier
	buffer_gl0_inv
	s_clause 0x1
	buffer_load_dword v5, off, s[0:3], 0 offset:168
	buffer_load_dword v6, off, s[0:3], 0 offset:172
	s_mov_b32 s4, exec_lo
	s_waitcnt vmcnt(0)
	ds_write_b64 v4, v[5:6]
	s_waitcnt lgkmcnt(0)
	s_barrier
	buffer_gl0_inv
	v_cmpx_gt_u32_e32 21, v0
	s_cbranch_execz .LBB121_99
; %bb.96:
	v_add_nc_u32_e32 v5, -1, v0
	v_add_nc_u32_e32 v6, 0x1d0, v3
	v_mov_b32_e32 v7, v3
	v_mov_b32_e32 v2, 0
	;; [unrolled: 1-line block ×3, first 2 shown]
	s_mov_b32 s5, 0
	.p2align	6
.LBB121_97:                             ; =>This Inner Loop Header: Depth=1
	s_clause 0x1
	buffer_load_dword v11, v7, s[0:3], 0 offen offset:4
	buffer_load_dword v12, v7, s[0:3], 0 offen
	ds_read_b64 v[9:10], v6
	v_add_nc_u32_e32 v5, 1, v5
	v_add_nc_u32_e32 v6, 8, v6
	;; [unrolled: 1-line block ×3, first 2 shown]
	v_cmp_lt_u32_e32 vcc_lo, 19, v5
	s_or_b32 s5, vcc_lo, s5
	s_waitcnt vmcnt(1) lgkmcnt(0)
	v_mul_f32_e32 v129, v10, v11
	v_mul_f32_e32 v11, v9, v11
	s_waitcnt vmcnt(0)
	v_fma_f32 v9, v9, v12, -v129
	v_fmac_f32_e32 v11, v10, v12
	v_add_f32_e32 v8, v8, v9
	v_add_f32_e32 v2, v2, v11
	s_andn2_b32 exec_lo, exec_lo, s5
	s_cbranch_execnz .LBB121_97
; %bb.98:
	s_or_b32 exec_lo, exec_lo, s5
	v_mov_b32_e32 v5, 0
	ds_read_b64 v[5:6], v5 offset:168
	s_waitcnt lgkmcnt(0)
	v_mul_f32_e32 v7, v2, v6
	v_mul_f32_e32 v6, v8, v6
	v_fma_f32 v7, v8, v5, -v7
	v_fmac_f32_e32 v6, v2, v5
	buffer_store_dword v7, off, s[0:3], 0 offset:168
	buffer_store_dword v6, off, s[0:3], 0 offset:172
.LBB121_99:
	s_or_b32 exec_lo, exec_lo, s4
	s_waitcnt_vscnt null, 0x0
	s_barrier
	buffer_gl0_inv
	s_clause 0x1
	buffer_load_dword v5, off, s[0:3], 0 offset:176
	buffer_load_dword v6, off, s[0:3], 0 offset:180
	s_mov_b32 s4, exec_lo
	s_waitcnt vmcnt(0)
	ds_write_b64 v4, v[5:6]
	s_waitcnt lgkmcnt(0)
	s_barrier
	buffer_gl0_inv
	v_cmpx_gt_u32_e32 22, v0
	s_cbranch_execz .LBB121_103
; %bb.100:
	v_add_nc_u32_e32 v5, -1, v0
	v_add_nc_u32_e32 v6, 0x1d0, v3
	v_mov_b32_e32 v7, v3
	v_mov_b32_e32 v2, 0
	;; [unrolled: 1-line block ×3, first 2 shown]
	s_mov_b32 s5, 0
	.p2align	6
.LBB121_101:                            ; =>This Inner Loop Header: Depth=1
	s_clause 0x1
	buffer_load_dword v11, v7, s[0:3], 0 offen offset:4
	buffer_load_dword v12, v7, s[0:3], 0 offen
	ds_read_b64 v[9:10], v6
	v_add_nc_u32_e32 v5, 1, v5
	v_add_nc_u32_e32 v6, 8, v6
	;; [unrolled: 1-line block ×3, first 2 shown]
	v_cmp_lt_u32_e32 vcc_lo, 20, v5
	s_or_b32 s5, vcc_lo, s5
	s_waitcnt vmcnt(1) lgkmcnt(0)
	v_mul_f32_e32 v129, v10, v11
	v_mul_f32_e32 v11, v9, v11
	s_waitcnt vmcnt(0)
	v_fma_f32 v9, v9, v12, -v129
	v_fmac_f32_e32 v11, v10, v12
	v_add_f32_e32 v8, v8, v9
	v_add_f32_e32 v2, v2, v11
	s_andn2_b32 exec_lo, exec_lo, s5
	s_cbranch_execnz .LBB121_101
; %bb.102:
	s_or_b32 exec_lo, exec_lo, s5
	v_mov_b32_e32 v5, 0
	ds_read_b64 v[5:6], v5 offset:176
	s_waitcnt lgkmcnt(0)
	v_mul_f32_e32 v7, v2, v6
	v_mul_f32_e32 v6, v8, v6
	v_fma_f32 v7, v8, v5, -v7
	v_fmac_f32_e32 v6, v2, v5
	buffer_store_dword v7, off, s[0:3], 0 offset:176
	buffer_store_dword v6, off, s[0:3], 0 offset:180
.LBB121_103:
	s_or_b32 exec_lo, exec_lo, s4
	s_waitcnt_vscnt null, 0x0
	s_barrier
	buffer_gl0_inv
	s_clause 0x1
	buffer_load_dword v5, off, s[0:3], 0 offset:184
	buffer_load_dword v6, off, s[0:3], 0 offset:188
	s_mov_b32 s4, exec_lo
	s_waitcnt vmcnt(0)
	ds_write_b64 v4, v[5:6]
	s_waitcnt lgkmcnt(0)
	s_barrier
	buffer_gl0_inv
	v_cmpx_gt_u32_e32 23, v0
	s_cbranch_execz .LBB121_107
; %bb.104:
	v_add_nc_u32_e32 v5, -1, v0
	v_add_nc_u32_e32 v6, 0x1d0, v3
	v_mov_b32_e32 v7, v3
	v_mov_b32_e32 v2, 0
	;; [unrolled: 1-line block ×3, first 2 shown]
	s_mov_b32 s5, 0
	.p2align	6
.LBB121_105:                            ; =>This Inner Loop Header: Depth=1
	s_clause 0x1
	buffer_load_dword v11, v7, s[0:3], 0 offen offset:4
	buffer_load_dword v12, v7, s[0:3], 0 offen
	ds_read_b64 v[9:10], v6
	v_add_nc_u32_e32 v5, 1, v5
	v_add_nc_u32_e32 v6, 8, v6
	v_add_nc_u32_e32 v7, 8, v7
	v_cmp_lt_u32_e32 vcc_lo, 21, v5
	s_or_b32 s5, vcc_lo, s5
	s_waitcnt vmcnt(1) lgkmcnt(0)
	v_mul_f32_e32 v129, v10, v11
	v_mul_f32_e32 v11, v9, v11
	s_waitcnt vmcnt(0)
	v_fma_f32 v9, v9, v12, -v129
	v_fmac_f32_e32 v11, v10, v12
	v_add_f32_e32 v8, v8, v9
	v_add_f32_e32 v2, v2, v11
	s_andn2_b32 exec_lo, exec_lo, s5
	s_cbranch_execnz .LBB121_105
; %bb.106:
	s_or_b32 exec_lo, exec_lo, s5
	v_mov_b32_e32 v5, 0
	ds_read_b64 v[5:6], v5 offset:184
	s_waitcnt lgkmcnt(0)
	v_mul_f32_e32 v7, v2, v6
	v_mul_f32_e32 v6, v8, v6
	v_fma_f32 v7, v8, v5, -v7
	v_fmac_f32_e32 v6, v2, v5
	buffer_store_dword v7, off, s[0:3], 0 offset:184
	buffer_store_dword v6, off, s[0:3], 0 offset:188
.LBB121_107:
	s_or_b32 exec_lo, exec_lo, s4
	s_waitcnt_vscnt null, 0x0
	s_barrier
	buffer_gl0_inv
	s_clause 0x1
	buffer_load_dword v5, off, s[0:3], 0 offset:192
	buffer_load_dword v6, off, s[0:3], 0 offset:196
	s_mov_b32 s4, exec_lo
	s_waitcnt vmcnt(0)
	ds_write_b64 v4, v[5:6]
	s_waitcnt lgkmcnt(0)
	s_barrier
	buffer_gl0_inv
	v_cmpx_gt_u32_e32 24, v0
	s_cbranch_execz .LBB121_111
; %bb.108:
	v_add_nc_u32_e32 v5, -1, v0
	v_add_nc_u32_e32 v6, 0x1d0, v3
	v_mov_b32_e32 v7, v3
	v_mov_b32_e32 v2, 0
	;; [unrolled: 1-line block ×3, first 2 shown]
	s_mov_b32 s5, 0
	.p2align	6
.LBB121_109:                            ; =>This Inner Loop Header: Depth=1
	s_clause 0x1
	buffer_load_dword v11, v7, s[0:3], 0 offen offset:4
	buffer_load_dword v12, v7, s[0:3], 0 offen
	ds_read_b64 v[9:10], v6
	v_add_nc_u32_e32 v5, 1, v5
	v_add_nc_u32_e32 v6, 8, v6
	;; [unrolled: 1-line block ×3, first 2 shown]
	v_cmp_lt_u32_e32 vcc_lo, 22, v5
	s_or_b32 s5, vcc_lo, s5
	s_waitcnt vmcnt(1) lgkmcnt(0)
	v_mul_f32_e32 v129, v10, v11
	v_mul_f32_e32 v11, v9, v11
	s_waitcnt vmcnt(0)
	v_fma_f32 v9, v9, v12, -v129
	v_fmac_f32_e32 v11, v10, v12
	v_add_f32_e32 v8, v8, v9
	v_add_f32_e32 v2, v2, v11
	s_andn2_b32 exec_lo, exec_lo, s5
	s_cbranch_execnz .LBB121_109
; %bb.110:
	s_or_b32 exec_lo, exec_lo, s5
	v_mov_b32_e32 v5, 0
	ds_read_b64 v[5:6], v5 offset:192
	s_waitcnt lgkmcnt(0)
	v_mul_f32_e32 v7, v2, v6
	v_mul_f32_e32 v6, v8, v6
	v_fma_f32 v7, v8, v5, -v7
	v_fmac_f32_e32 v6, v2, v5
	buffer_store_dword v7, off, s[0:3], 0 offset:192
	buffer_store_dword v6, off, s[0:3], 0 offset:196
.LBB121_111:
	s_or_b32 exec_lo, exec_lo, s4
	s_waitcnt_vscnt null, 0x0
	s_barrier
	buffer_gl0_inv
	s_clause 0x1
	buffer_load_dword v5, off, s[0:3], 0 offset:200
	buffer_load_dword v6, off, s[0:3], 0 offset:204
	s_mov_b32 s4, exec_lo
	s_waitcnt vmcnt(0)
	ds_write_b64 v4, v[5:6]
	s_waitcnt lgkmcnt(0)
	s_barrier
	buffer_gl0_inv
	v_cmpx_gt_u32_e32 25, v0
	s_cbranch_execz .LBB121_115
; %bb.112:
	v_add_nc_u32_e32 v5, -1, v0
	v_add_nc_u32_e32 v6, 0x1d0, v3
	v_mov_b32_e32 v7, v3
	v_mov_b32_e32 v2, 0
	;; [unrolled: 1-line block ×3, first 2 shown]
	s_mov_b32 s5, 0
	.p2align	6
.LBB121_113:                            ; =>This Inner Loop Header: Depth=1
	s_clause 0x1
	buffer_load_dword v11, v7, s[0:3], 0 offen offset:4
	buffer_load_dword v12, v7, s[0:3], 0 offen
	ds_read_b64 v[9:10], v6
	v_add_nc_u32_e32 v5, 1, v5
	v_add_nc_u32_e32 v6, 8, v6
	;; [unrolled: 1-line block ×3, first 2 shown]
	v_cmp_lt_u32_e32 vcc_lo, 23, v5
	s_or_b32 s5, vcc_lo, s5
	s_waitcnt vmcnt(1) lgkmcnt(0)
	v_mul_f32_e32 v129, v10, v11
	v_mul_f32_e32 v11, v9, v11
	s_waitcnt vmcnt(0)
	v_fma_f32 v9, v9, v12, -v129
	v_fmac_f32_e32 v11, v10, v12
	v_add_f32_e32 v8, v8, v9
	v_add_f32_e32 v2, v2, v11
	s_andn2_b32 exec_lo, exec_lo, s5
	s_cbranch_execnz .LBB121_113
; %bb.114:
	s_or_b32 exec_lo, exec_lo, s5
	v_mov_b32_e32 v5, 0
	ds_read_b64 v[5:6], v5 offset:200
	s_waitcnt lgkmcnt(0)
	v_mul_f32_e32 v7, v2, v6
	v_mul_f32_e32 v6, v8, v6
	v_fma_f32 v7, v8, v5, -v7
	v_fmac_f32_e32 v6, v2, v5
	buffer_store_dword v7, off, s[0:3], 0 offset:200
	buffer_store_dword v6, off, s[0:3], 0 offset:204
.LBB121_115:
	s_or_b32 exec_lo, exec_lo, s4
	s_waitcnt_vscnt null, 0x0
	s_barrier
	buffer_gl0_inv
	s_clause 0x1
	buffer_load_dword v5, off, s[0:3], 0 offset:208
	buffer_load_dword v6, off, s[0:3], 0 offset:212
	s_mov_b32 s4, exec_lo
	s_waitcnt vmcnt(0)
	ds_write_b64 v4, v[5:6]
	s_waitcnt lgkmcnt(0)
	s_barrier
	buffer_gl0_inv
	v_cmpx_gt_u32_e32 26, v0
	s_cbranch_execz .LBB121_119
; %bb.116:
	v_add_nc_u32_e32 v5, -1, v0
	v_add_nc_u32_e32 v6, 0x1d0, v3
	v_mov_b32_e32 v7, v3
	v_mov_b32_e32 v2, 0
	;; [unrolled: 1-line block ×3, first 2 shown]
	s_mov_b32 s5, 0
	.p2align	6
.LBB121_117:                            ; =>This Inner Loop Header: Depth=1
	s_clause 0x1
	buffer_load_dword v11, v7, s[0:3], 0 offen offset:4
	buffer_load_dword v12, v7, s[0:3], 0 offen
	ds_read_b64 v[9:10], v6
	v_add_nc_u32_e32 v5, 1, v5
	v_add_nc_u32_e32 v6, 8, v6
	;; [unrolled: 1-line block ×3, first 2 shown]
	v_cmp_lt_u32_e32 vcc_lo, 24, v5
	s_or_b32 s5, vcc_lo, s5
	s_waitcnt vmcnt(1) lgkmcnt(0)
	v_mul_f32_e32 v129, v10, v11
	v_mul_f32_e32 v11, v9, v11
	s_waitcnt vmcnt(0)
	v_fma_f32 v9, v9, v12, -v129
	v_fmac_f32_e32 v11, v10, v12
	v_add_f32_e32 v8, v8, v9
	v_add_f32_e32 v2, v2, v11
	s_andn2_b32 exec_lo, exec_lo, s5
	s_cbranch_execnz .LBB121_117
; %bb.118:
	s_or_b32 exec_lo, exec_lo, s5
	v_mov_b32_e32 v5, 0
	ds_read_b64 v[5:6], v5 offset:208
	s_waitcnt lgkmcnt(0)
	v_mul_f32_e32 v7, v2, v6
	v_mul_f32_e32 v6, v8, v6
	v_fma_f32 v7, v8, v5, -v7
	v_fmac_f32_e32 v6, v2, v5
	buffer_store_dword v7, off, s[0:3], 0 offset:208
	buffer_store_dword v6, off, s[0:3], 0 offset:212
.LBB121_119:
	s_or_b32 exec_lo, exec_lo, s4
	s_waitcnt_vscnt null, 0x0
	s_barrier
	buffer_gl0_inv
	s_clause 0x1
	buffer_load_dword v5, off, s[0:3], 0 offset:216
	buffer_load_dword v6, off, s[0:3], 0 offset:220
	s_mov_b32 s4, exec_lo
	s_waitcnt vmcnt(0)
	ds_write_b64 v4, v[5:6]
	s_waitcnt lgkmcnt(0)
	s_barrier
	buffer_gl0_inv
	v_cmpx_gt_u32_e32 27, v0
	s_cbranch_execz .LBB121_123
; %bb.120:
	v_add_nc_u32_e32 v5, -1, v0
	v_add_nc_u32_e32 v6, 0x1d0, v3
	v_mov_b32_e32 v7, v3
	v_mov_b32_e32 v2, 0
	;; [unrolled: 1-line block ×3, first 2 shown]
	s_mov_b32 s5, 0
	.p2align	6
.LBB121_121:                            ; =>This Inner Loop Header: Depth=1
	s_clause 0x1
	buffer_load_dword v11, v7, s[0:3], 0 offen offset:4
	buffer_load_dword v12, v7, s[0:3], 0 offen
	ds_read_b64 v[9:10], v6
	v_add_nc_u32_e32 v5, 1, v5
	v_add_nc_u32_e32 v6, 8, v6
	;; [unrolled: 1-line block ×3, first 2 shown]
	v_cmp_lt_u32_e32 vcc_lo, 25, v5
	s_or_b32 s5, vcc_lo, s5
	s_waitcnt vmcnt(1) lgkmcnt(0)
	v_mul_f32_e32 v129, v10, v11
	v_mul_f32_e32 v11, v9, v11
	s_waitcnt vmcnt(0)
	v_fma_f32 v9, v9, v12, -v129
	v_fmac_f32_e32 v11, v10, v12
	v_add_f32_e32 v8, v8, v9
	v_add_f32_e32 v2, v2, v11
	s_andn2_b32 exec_lo, exec_lo, s5
	s_cbranch_execnz .LBB121_121
; %bb.122:
	s_or_b32 exec_lo, exec_lo, s5
	v_mov_b32_e32 v5, 0
	ds_read_b64 v[5:6], v5 offset:216
	s_waitcnt lgkmcnt(0)
	v_mul_f32_e32 v7, v2, v6
	v_mul_f32_e32 v6, v8, v6
	v_fma_f32 v7, v8, v5, -v7
	v_fmac_f32_e32 v6, v2, v5
	buffer_store_dword v7, off, s[0:3], 0 offset:216
	buffer_store_dword v6, off, s[0:3], 0 offset:220
.LBB121_123:
	s_or_b32 exec_lo, exec_lo, s4
	s_waitcnt_vscnt null, 0x0
	s_barrier
	buffer_gl0_inv
	s_clause 0x1
	buffer_load_dword v5, off, s[0:3], 0 offset:224
	buffer_load_dword v6, off, s[0:3], 0 offset:228
	s_mov_b32 s4, exec_lo
	s_waitcnt vmcnt(0)
	ds_write_b64 v4, v[5:6]
	s_waitcnt lgkmcnt(0)
	s_barrier
	buffer_gl0_inv
	v_cmpx_gt_u32_e32 28, v0
	s_cbranch_execz .LBB121_127
; %bb.124:
	v_add_nc_u32_e32 v5, -1, v0
	v_add_nc_u32_e32 v6, 0x1d0, v3
	v_mov_b32_e32 v7, v3
	v_mov_b32_e32 v2, 0
	;; [unrolled: 1-line block ×3, first 2 shown]
	s_mov_b32 s5, 0
	.p2align	6
.LBB121_125:                            ; =>This Inner Loop Header: Depth=1
	s_clause 0x1
	buffer_load_dword v11, v7, s[0:3], 0 offen offset:4
	buffer_load_dword v12, v7, s[0:3], 0 offen
	ds_read_b64 v[9:10], v6
	v_add_nc_u32_e32 v5, 1, v5
	v_add_nc_u32_e32 v6, 8, v6
	;; [unrolled: 1-line block ×3, first 2 shown]
	v_cmp_lt_u32_e32 vcc_lo, 26, v5
	s_or_b32 s5, vcc_lo, s5
	s_waitcnt vmcnt(1) lgkmcnt(0)
	v_mul_f32_e32 v129, v10, v11
	v_mul_f32_e32 v11, v9, v11
	s_waitcnt vmcnt(0)
	v_fma_f32 v9, v9, v12, -v129
	v_fmac_f32_e32 v11, v10, v12
	v_add_f32_e32 v8, v8, v9
	v_add_f32_e32 v2, v2, v11
	s_andn2_b32 exec_lo, exec_lo, s5
	s_cbranch_execnz .LBB121_125
; %bb.126:
	s_or_b32 exec_lo, exec_lo, s5
	v_mov_b32_e32 v5, 0
	ds_read_b64 v[5:6], v5 offset:224
	s_waitcnt lgkmcnt(0)
	v_mul_f32_e32 v7, v2, v6
	v_mul_f32_e32 v6, v8, v6
	v_fma_f32 v7, v8, v5, -v7
	v_fmac_f32_e32 v6, v2, v5
	buffer_store_dword v7, off, s[0:3], 0 offset:224
	buffer_store_dword v6, off, s[0:3], 0 offset:228
.LBB121_127:
	s_or_b32 exec_lo, exec_lo, s4
	s_waitcnt_vscnt null, 0x0
	s_barrier
	buffer_gl0_inv
	s_clause 0x1
	buffer_load_dword v5, off, s[0:3], 0 offset:232
	buffer_load_dword v6, off, s[0:3], 0 offset:236
	s_mov_b32 s4, exec_lo
	s_waitcnt vmcnt(0)
	ds_write_b64 v4, v[5:6]
	s_waitcnt lgkmcnt(0)
	s_barrier
	buffer_gl0_inv
	v_cmpx_gt_u32_e32 29, v0
	s_cbranch_execz .LBB121_131
; %bb.128:
	v_add_nc_u32_e32 v5, -1, v0
	v_add_nc_u32_e32 v6, 0x1d0, v3
	v_mov_b32_e32 v7, v3
	v_mov_b32_e32 v2, 0
	v_mov_b32_e32 v8, 0
	s_mov_b32 s5, 0
	.p2align	6
.LBB121_129:                            ; =>This Inner Loop Header: Depth=1
	s_clause 0x1
	buffer_load_dword v11, v7, s[0:3], 0 offen offset:4
	buffer_load_dword v12, v7, s[0:3], 0 offen
	ds_read_b64 v[9:10], v6
	v_add_nc_u32_e32 v5, 1, v5
	v_add_nc_u32_e32 v6, 8, v6
	;; [unrolled: 1-line block ×3, first 2 shown]
	v_cmp_lt_u32_e32 vcc_lo, 27, v5
	s_or_b32 s5, vcc_lo, s5
	s_waitcnt vmcnt(1) lgkmcnt(0)
	v_mul_f32_e32 v129, v10, v11
	v_mul_f32_e32 v11, v9, v11
	s_waitcnt vmcnt(0)
	v_fma_f32 v9, v9, v12, -v129
	v_fmac_f32_e32 v11, v10, v12
	v_add_f32_e32 v8, v8, v9
	v_add_f32_e32 v2, v2, v11
	s_andn2_b32 exec_lo, exec_lo, s5
	s_cbranch_execnz .LBB121_129
; %bb.130:
	s_or_b32 exec_lo, exec_lo, s5
	v_mov_b32_e32 v5, 0
	ds_read_b64 v[5:6], v5 offset:232
	s_waitcnt lgkmcnt(0)
	v_mul_f32_e32 v7, v2, v6
	v_mul_f32_e32 v6, v8, v6
	v_fma_f32 v7, v8, v5, -v7
	v_fmac_f32_e32 v6, v2, v5
	buffer_store_dword v7, off, s[0:3], 0 offset:232
	buffer_store_dword v6, off, s[0:3], 0 offset:236
.LBB121_131:
	s_or_b32 exec_lo, exec_lo, s4
	s_waitcnt_vscnt null, 0x0
	s_barrier
	buffer_gl0_inv
	s_clause 0x1
	buffer_load_dword v5, off, s[0:3], 0 offset:240
	buffer_load_dword v6, off, s[0:3], 0 offset:244
	s_mov_b32 s4, exec_lo
	s_waitcnt vmcnt(0)
	ds_write_b64 v4, v[5:6]
	s_waitcnt lgkmcnt(0)
	s_barrier
	buffer_gl0_inv
	v_cmpx_gt_u32_e32 30, v0
	s_cbranch_execz .LBB121_135
; %bb.132:
	v_add_nc_u32_e32 v5, -1, v0
	v_add_nc_u32_e32 v6, 0x1d0, v3
	v_mov_b32_e32 v7, v3
	v_mov_b32_e32 v2, 0
	;; [unrolled: 1-line block ×3, first 2 shown]
	s_mov_b32 s5, 0
	.p2align	6
.LBB121_133:                            ; =>This Inner Loop Header: Depth=1
	s_clause 0x1
	buffer_load_dword v11, v7, s[0:3], 0 offen offset:4
	buffer_load_dword v12, v7, s[0:3], 0 offen
	ds_read_b64 v[9:10], v6
	v_add_nc_u32_e32 v5, 1, v5
	v_add_nc_u32_e32 v6, 8, v6
	;; [unrolled: 1-line block ×3, first 2 shown]
	v_cmp_lt_u32_e32 vcc_lo, 28, v5
	s_or_b32 s5, vcc_lo, s5
	s_waitcnt vmcnt(1) lgkmcnt(0)
	v_mul_f32_e32 v129, v10, v11
	v_mul_f32_e32 v11, v9, v11
	s_waitcnt vmcnt(0)
	v_fma_f32 v9, v9, v12, -v129
	v_fmac_f32_e32 v11, v10, v12
	v_add_f32_e32 v8, v8, v9
	v_add_f32_e32 v2, v2, v11
	s_andn2_b32 exec_lo, exec_lo, s5
	s_cbranch_execnz .LBB121_133
; %bb.134:
	s_or_b32 exec_lo, exec_lo, s5
	v_mov_b32_e32 v5, 0
	ds_read_b64 v[5:6], v5 offset:240
	s_waitcnt lgkmcnt(0)
	v_mul_f32_e32 v7, v2, v6
	v_mul_f32_e32 v6, v8, v6
	v_fma_f32 v7, v8, v5, -v7
	v_fmac_f32_e32 v6, v2, v5
	buffer_store_dword v7, off, s[0:3], 0 offset:240
	buffer_store_dword v6, off, s[0:3], 0 offset:244
.LBB121_135:
	s_or_b32 exec_lo, exec_lo, s4
	s_waitcnt_vscnt null, 0x0
	s_barrier
	buffer_gl0_inv
	s_clause 0x1
	buffer_load_dword v5, off, s[0:3], 0 offset:248
	buffer_load_dword v6, off, s[0:3], 0 offset:252
	s_mov_b32 s4, exec_lo
	s_waitcnt vmcnt(0)
	ds_write_b64 v4, v[5:6]
	s_waitcnt lgkmcnt(0)
	s_barrier
	buffer_gl0_inv
	v_cmpx_gt_u32_e32 31, v0
	s_cbranch_execz .LBB121_139
; %bb.136:
	v_add_nc_u32_e32 v5, -1, v0
	v_add_nc_u32_e32 v6, 0x1d0, v3
	v_mov_b32_e32 v7, v3
	v_mov_b32_e32 v2, 0
	;; [unrolled: 1-line block ×3, first 2 shown]
	s_mov_b32 s5, 0
	.p2align	6
.LBB121_137:                            ; =>This Inner Loop Header: Depth=1
	s_clause 0x1
	buffer_load_dword v11, v7, s[0:3], 0 offen offset:4
	buffer_load_dword v12, v7, s[0:3], 0 offen
	ds_read_b64 v[9:10], v6
	v_add_nc_u32_e32 v5, 1, v5
	v_add_nc_u32_e32 v6, 8, v6
	;; [unrolled: 1-line block ×3, first 2 shown]
	v_cmp_lt_u32_e32 vcc_lo, 29, v5
	s_or_b32 s5, vcc_lo, s5
	s_waitcnt vmcnt(1) lgkmcnt(0)
	v_mul_f32_e32 v129, v10, v11
	v_mul_f32_e32 v11, v9, v11
	s_waitcnt vmcnt(0)
	v_fma_f32 v9, v9, v12, -v129
	v_fmac_f32_e32 v11, v10, v12
	v_add_f32_e32 v8, v8, v9
	v_add_f32_e32 v2, v2, v11
	s_andn2_b32 exec_lo, exec_lo, s5
	s_cbranch_execnz .LBB121_137
; %bb.138:
	s_or_b32 exec_lo, exec_lo, s5
	v_mov_b32_e32 v5, 0
	ds_read_b64 v[5:6], v5 offset:248
	s_waitcnt lgkmcnt(0)
	v_mul_f32_e32 v7, v2, v6
	v_mul_f32_e32 v6, v8, v6
	v_fma_f32 v7, v8, v5, -v7
	v_fmac_f32_e32 v6, v2, v5
	buffer_store_dword v7, off, s[0:3], 0 offset:248
	buffer_store_dword v6, off, s[0:3], 0 offset:252
.LBB121_139:
	s_or_b32 exec_lo, exec_lo, s4
	s_waitcnt_vscnt null, 0x0
	s_barrier
	buffer_gl0_inv
	s_clause 0x1
	buffer_load_dword v5, off, s[0:3], 0 offset:256
	buffer_load_dword v6, off, s[0:3], 0 offset:260
	s_mov_b32 s4, exec_lo
	s_waitcnt vmcnt(0)
	ds_write_b64 v4, v[5:6]
	s_waitcnt lgkmcnt(0)
	s_barrier
	buffer_gl0_inv
	v_cmpx_gt_u32_e32 32, v0
	s_cbranch_execz .LBB121_143
; %bb.140:
	v_add_nc_u32_e32 v5, -1, v0
	v_add_nc_u32_e32 v6, 0x1d0, v3
	v_mov_b32_e32 v7, v3
	v_mov_b32_e32 v2, 0
	;; [unrolled: 1-line block ×3, first 2 shown]
	s_mov_b32 s5, 0
	.p2align	6
.LBB121_141:                            ; =>This Inner Loop Header: Depth=1
	s_clause 0x1
	buffer_load_dword v11, v7, s[0:3], 0 offen offset:4
	buffer_load_dword v12, v7, s[0:3], 0 offen
	ds_read_b64 v[9:10], v6
	v_add_nc_u32_e32 v5, 1, v5
	v_add_nc_u32_e32 v6, 8, v6
	;; [unrolled: 1-line block ×3, first 2 shown]
	v_cmp_lt_u32_e32 vcc_lo, 30, v5
	s_or_b32 s5, vcc_lo, s5
	s_waitcnt vmcnt(1) lgkmcnt(0)
	v_mul_f32_e32 v129, v10, v11
	v_mul_f32_e32 v11, v9, v11
	s_waitcnt vmcnt(0)
	v_fma_f32 v9, v9, v12, -v129
	v_fmac_f32_e32 v11, v10, v12
	v_add_f32_e32 v8, v8, v9
	v_add_f32_e32 v2, v2, v11
	s_andn2_b32 exec_lo, exec_lo, s5
	s_cbranch_execnz .LBB121_141
; %bb.142:
	s_or_b32 exec_lo, exec_lo, s5
	v_mov_b32_e32 v5, 0
	ds_read_b64 v[5:6], v5 offset:256
	s_waitcnt lgkmcnt(0)
	v_mul_f32_e32 v7, v2, v6
	v_mul_f32_e32 v6, v8, v6
	v_fma_f32 v7, v8, v5, -v7
	v_fmac_f32_e32 v6, v2, v5
	buffer_store_dword v7, off, s[0:3], 0 offset:256
	buffer_store_dword v6, off, s[0:3], 0 offset:260
.LBB121_143:
	s_or_b32 exec_lo, exec_lo, s4
	s_waitcnt_vscnt null, 0x0
	s_barrier
	buffer_gl0_inv
	s_clause 0x1
	buffer_load_dword v5, off, s[0:3], 0 offset:264
	buffer_load_dword v6, off, s[0:3], 0 offset:268
	s_mov_b32 s4, exec_lo
	s_waitcnt vmcnt(0)
	ds_write_b64 v4, v[5:6]
	s_waitcnt lgkmcnt(0)
	s_barrier
	buffer_gl0_inv
	v_cmpx_gt_u32_e32 33, v0
	s_cbranch_execz .LBB121_147
; %bb.144:
	v_add_nc_u32_e32 v5, -1, v0
	v_add_nc_u32_e32 v6, 0x1d0, v3
	v_mov_b32_e32 v7, v3
	v_mov_b32_e32 v2, 0
	;; [unrolled: 1-line block ×3, first 2 shown]
	s_mov_b32 s5, 0
	.p2align	6
.LBB121_145:                            ; =>This Inner Loop Header: Depth=1
	s_clause 0x1
	buffer_load_dword v11, v7, s[0:3], 0 offen offset:4
	buffer_load_dword v12, v7, s[0:3], 0 offen
	ds_read_b64 v[9:10], v6
	v_add_nc_u32_e32 v5, 1, v5
	v_add_nc_u32_e32 v6, 8, v6
	;; [unrolled: 1-line block ×3, first 2 shown]
	v_cmp_lt_u32_e32 vcc_lo, 31, v5
	s_or_b32 s5, vcc_lo, s5
	s_waitcnt vmcnt(1) lgkmcnt(0)
	v_mul_f32_e32 v129, v10, v11
	v_mul_f32_e32 v11, v9, v11
	s_waitcnt vmcnt(0)
	v_fma_f32 v9, v9, v12, -v129
	v_fmac_f32_e32 v11, v10, v12
	v_add_f32_e32 v8, v8, v9
	v_add_f32_e32 v2, v2, v11
	s_andn2_b32 exec_lo, exec_lo, s5
	s_cbranch_execnz .LBB121_145
; %bb.146:
	s_or_b32 exec_lo, exec_lo, s5
	v_mov_b32_e32 v5, 0
	ds_read_b64 v[5:6], v5 offset:264
	s_waitcnt lgkmcnt(0)
	v_mul_f32_e32 v7, v2, v6
	v_mul_f32_e32 v6, v8, v6
	v_fma_f32 v7, v8, v5, -v7
	v_fmac_f32_e32 v6, v2, v5
	buffer_store_dword v7, off, s[0:3], 0 offset:264
	buffer_store_dword v6, off, s[0:3], 0 offset:268
.LBB121_147:
	s_or_b32 exec_lo, exec_lo, s4
	s_waitcnt_vscnt null, 0x0
	s_barrier
	buffer_gl0_inv
	s_clause 0x1
	buffer_load_dword v5, off, s[0:3], 0 offset:272
	buffer_load_dword v6, off, s[0:3], 0 offset:276
	s_mov_b32 s4, exec_lo
	s_waitcnt vmcnt(0)
	ds_write_b64 v4, v[5:6]
	s_waitcnt lgkmcnt(0)
	s_barrier
	buffer_gl0_inv
	v_cmpx_gt_u32_e32 34, v0
	s_cbranch_execz .LBB121_151
; %bb.148:
	v_add_nc_u32_e32 v5, -1, v0
	v_add_nc_u32_e32 v6, 0x1d0, v3
	v_mov_b32_e32 v7, v3
	v_mov_b32_e32 v2, 0
	;; [unrolled: 1-line block ×3, first 2 shown]
	s_mov_b32 s5, 0
	.p2align	6
.LBB121_149:                            ; =>This Inner Loop Header: Depth=1
	s_clause 0x1
	buffer_load_dword v11, v7, s[0:3], 0 offen offset:4
	buffer_load_dword v12, v7, s[0:3], 0 offen
	ds_read_b64 v[9:10], v6
	v_add_nc_u32_e32 v5, 1, v5
	v_add_nc_u32_e32 v6, 8, v6
	;; [unrolled: 1-line block ×3, first 2 shown]
	v_cmp_lt_u32_e32 vcc_lo, 32, v5
	s_or_b32 s5, vcc_lo, s5
	s_waitcnt vmcnt(1) lgkmcnt(0)
	v_mul_f32_e32 v129, v10, v11
	v_mul_f32_e32 v11, v9, v11
	s_waitcnt vmcnt(0)
	v_fma_f32 v9, v9, v12, -v129
	v_fmac_f32_e32 v11, v10, v12
	v_add_f32_e32 v8, v8, v9
	v_add_f32_e32 v2, v2, v11
	s_andn2_b32 exec_lo, exec_lo, s5
	s_cbranch_execnz .LBB121_149
; %bb.150:
	s_or_b32 exec_lo, exec_lo, s5
	v_mov_b32_e32 v5, 0
	ds_read_b64 v[5:6], v5 offset:272
	s_waitcnt lgkmcnt(0)
	v_mul_f32_e32 v7, v2, v6
	v_mul_f32_e32 v6, v8, v6
	v_fma_f32 v7, v8, v5, -v7
	v_fmac_f32_e32 v6, v2, v5
	buffer_store_dword v7, off, s[0:3], 0 offset:272
	buffer_store_dword v6, off, s[0:3], 0 offset:276
.LBB121_151:
	s_or_b32 exec_lo, exec_lo, s4
	s_waitcnt_vscnt null, 0x0
	s_barrier
	buffer_gl0_inv
	s_clause 0x1
	buffer_load_dword v5, off, s[0:3], 0 offset:280
	buffer_load_dword v6, off, s[0:3], 0 offset:284
	s_mov_b32 s4, exec_lo
	s_waitcnt vmcnt(0)
	ds_write_b64 v4, v[5:6]
	s_waitcnt lgkmcnt(0)
	s_barrier
	buffer_gl0_inv
	v_cmpx_gt_u32_e32 35, v0
	s_cbranch_execz .LBB121_155
; %bb.152:
	v_add_nc_u32_e32 v5, -1, v0
	v_add_nc_u32_e32 v6, 0x1d0, v3
	v_mov_b32_e32 v7, v3
	v_mov_b32_e32 v2, 0
	;; [unrolled: 1-line block ×3, first 2 shown]
	s_mov_b32 s5, 0
	.p2align	6
.LBB121_153:                            ; =>This Inner Loop Header: Depth=1
	s_clause 0x1
	buffer_load_dword v11, v7, s[0:3], 0 offen offset:4
	buffer_load_dword v12, v7, s[0:3], 0 offen
	ds_read_b64 v[9:10], v6
	v_add_nc_u32_e32 v5, 1, v5
	v_add_nc_u32_e32 v6, 8, v6
	;; [unrolled: 1-line block ×3, first 2 shown]
	v_cmp_lt_u32_e32 vcc_lo, 33, v5
	s_or_b32 s5, vcc_lo, s5
	s_waitcnt vmcnt(1) lgkmcnt(0)
	v_mul_f32_e32 v129, v10, v11
	v_mul_f32_e32 v11, v9, v11
	s_waitcnt vmcnt(0)
	v_fma_f32 v9, v9, v12, -v129
	v_fmac_f32_e32 v11, v10, v12
	v_add_f32_e32 v8, v8, v9
	v_add_f32_e32 v2, v2, v11
	s_andn2_b32 exec_lo, exec_lo, s5
	s_cbranch_execnz .LBB121_153
; %bb.154:
	s_or_b32 exec_lo, exec_lo, s5
	v_mov_b32_e32 v5, 0
	ds_read_b64 v[5:6], v5 offset:280
	s_waitcnt lgkmcnt(0)
	v_mul_f32_e32 v7, v2, v6
	v_mul_f32_e32 v6, v8, v6
	v_fma_f32 v7, v8, v5, -v7
	v_fmac_f32_e32 v6, v2, v5
	buffer_store_dword v7, off, s[0:3], 0 offset:280
	buffer_store_dword v6, off, s[0:3], 0 offset:284
.LBB121_155:
	s_or_b32 exec_lo, exec_lo, s4
	s_waitcnt_vscnt null, 0x0
	s_barrier
	buffer_gl0_inv
	s_clause 0x1
	buffer_load_dword v5, off, s[0:3], 0 offset:288
	buffer_load_dword v6, off, s[0:3], 0 offset:292
	s_mov_b32 s4, exec_lo
	s_waitcnt vmcnt(0)
	ds_write_b64 v4, v[5:6]
	s_waitcnt lgkmcnt(0)
	s_barrier
	buffer_gl0_inv
	v_cmpx_gt_u32_e32 36, v0
	s_cbranch_execz .LBB121_159
; %bb.156:
	v_add_nc_u32_e32 v5, -1, v0
	v_add_nc_u32_e32 v6, 0x1d0, v3
	v_mov_b32_e32 v7, v3
	v_mov_b32_e32 v2, 0
	;; [unrolled: 1-line block ×3, first 2 shown]
	s_mov_b32 s5, 0
	.p2align	6
.LBB121_157:                            ; =>This Inner Loop Header: Depth=1
	s_clause 0x1
	buffer_load_dword v11, v7, s[0:3], 0 offen offset:4
	buffer_load_dword v12, v7, s[0:3], 0 offen
	ds_read_b64 v[9:10], v6
	v_add_nc_u32_e32 v5, 1, v5
	v_add_nc_u32_e32 v6, 8, v6
	;; [unrolled: 1-line block ×3, first 2 shown]
	v_cmp_lt_u32_e32 vcc_lo, 34, v5
	s_or_b32 s5, vcc_lo, s5
	s_waitcnt vmcnt(1) lgkmcnt(0)
	v_mul_f32_e32 v129, v10, v11
	v_mul_f32_e32 v11, v9, v11
	s_waitcnt vmcnt(0)
	v_fma_f32 v9, v9, v12, -v129
	v_fmac_f32_e32 v11, v10, v12
	v_add_f32_e32 v8, v8, v9
	v_add_f32_e32 v2, v2, v11
	s_andn2_b32 exec_lo, exec_lo, s5
	s_cbranch_execnz .LBB121_157
; %bb.158:
	s_or_b32 exec_lo, exec_lo, s5
	v_mov_b32_e32 v5, 0
	ds_read_b64 v[5:6], v5 offset:288
	s_waitcnt lgkmcnt(0)
	v_mul_f32_e32 v7, v2, v6
	v_mul_f32_e32 v6, v8, v6
	v_fma_f32 v7, v8, v5, -v7
	v_fmac_f32_e32 v6, v2, v5
	buffer_store_dword v7, off, s[0:3], 0 offset:288
	buffer_store_dword v6, off, s[0:3], 0 offset:292
.LBB121_159:
	s_or_b32 exec_lo, exec_lo, s4
	s_waitcnt_vscnt null, 0x0
	s_barrier
	buffer_gl0_inv
	s_clause 0x1
	buffer_load_dword v5, off, s[0:3], 0 offset:296
	buffer_load_dword v6, off, s[0:3], 0 offset:300
	s_mov_b32 s4, exec_lo
	s_waitcnt vmcnt(0)
	ds_write_b64 v4, v[5:6]
	s_waitcnt lgkmcnt(0)
	s_barrier
	buffer_gl0_inv
	v_cmpx_gt_u32_e32 37, v0
	s_cbranch_execz .LBB121_163
; %bb.160:
	v_add_nc_u32_e32 v5, -1, v0
	v_add_nc_u32_e32 v6, 0x1d0, v3
	v_mov_b32_e32 v7, v3
	v_mov_b32_e32 v2, 0
	;; [unrolled: 1-line block ×3, first 2 shown]
	s_mov_b32 s5, 0
	.p2align	6
.LBB121_161:                            ; =>This Inner Loop Header: Depth=1
	s_clause 0x1
	buffer_load_dword v11, v7, s[0:3], 0 offen offset:4
	buffer_load_dword v12, v7, s[0:3], 0 offen
	ds_read_b64 v[9:10], v6
	v_add_nc_u32_e32 v5, 1, v5
	v_add_nc_u32_e32 v6, 8, v6
	;; [unrolled: 1-line block ×3, first 2 shown]
	v_cmp_lt_u32_e32 vcc_lo, 35, v5
	s_or_b32 s5, vcc_lo, s5
	s_waitcnt vmcnt(1) lgkmcnt(0)
	v_mul_f32_e32 v129, v10, v11
	v_mul_f32_e32 v11, v9, v11
	s_waitcnt vmcnt(0)
	v_fma_f32 v9, v9, v12, -v129
	v_fmac_f32_e32 v11, v10, v12
	v_add_f32_e32 v8, v8, v9
	v_add_f32_e32 v2, v2, v11
	s_andn2_b32 exec_lo, exec_lo, s5
	s_cbranch_execnz .LBB121_161
; %bb.162:
	s_or_b32 exec_lo, exec_lo, s5
	v_mov_b32_e32 v5, 0
	ds_read_b64 v[5:6], v5 offset:296
	s_waitcnt lgkmcnt(0)
	v_mul_f32_e32 v7, v2, v6
	v_mul_f32_e32 v6, v8, v6
	v_fma_f32 v7, v8, v5, -v7
	v_fmac_f32_e32 v6, v2, v5
	buffer_store_dword v7, off, s[0:3], 0 offset:296
	buffer_store_dword v6, off, s[0:3], 0 offset:300
.LBB121_163:
	s_or_b32 exec_lo, exec_lo, s4
	s_waitcnt_vscnt null, 0x0
	s_barrier
	buffer_gl0_inv
	s_clause 0x1
	buffer_load_dword v5, off, s[0:3], 0 offset:304
	buffer_load_dword v6, off, s[0:3], 0 offset:308
	s_mov_b32 s4, exec_lo
	s_waitcnt vmcnt(0)
	ds_write_b64 v4, v[5:6]
	s_waitcnt lgkmcnt(0)
	s_barrier
	buffer_gl0_inv
	v_cmpx_gt_u32_e32 38, v0
	s_cbranch_execz .LBB121_167
; %bb.164:
	v_add_nc_u32_e32 v5, -1, v0
	v_add_nc_u32_e32 v6, 0x1d0, v3
	v_mov_b32_e32 v7, v3
	v_mov_b32_e32 v2, 0
	v_mov_b32_e32 v8, 0
	s_mov_b32 s5, 0
	.p2align	6
.LBB121_165:                            ; =>This Inner Loop Header: Depth=1
	s_clause 0x1
	buffer_load_dword v11, v7, s[0:3], 0 offen offset:4
	buffer_load_dword v12, v7, s[0:3], 0 offen
	ds_read_b64 v[9:10], v6
	v_add_nc_u32_e32 v5, 1, v5
	v_add_nc_u32_e32 v6, 8, v6
	v_add_nc_u32_e32 v7, 8, v7
	v_cmp_lt_u32_e32 vcc_lo, 36, v5
	s_or_b32 s5, vcc_lo, s5
	s_waitcnt vmcnt(1) lgkmcnt(0)
	v_mul_f32_e32 v129, v10, v11
	v_mul_f32_e32 v11, v9, v11
	s_waitcnt vmcnt(0)
	v_fma_f32 v9, v9, v12, -v129
	v_fmac_f32_e32 v11, v10, v12
	v_add_f32_e32 v8, v8, v9
	v_add_f32_e32 v2, v2, v11
	s_andn2_b32 exec_lo, exec_lo, s5
	s_cbranch_execnz .LBB121_165
; %bb.166:
	s_or_b32 exec_lo, exec_lo, s5
	v_mov_b32_e32 v5, 0
	ds_read_b64 v[5:6], v5 offset:304
	s_waitcnt lgkmcnt(0)
	v_mul_f32_e32 v7, v2, v6
	v_mul_f32_e32 v6, v8, v6
	v_fma_f32 v7, v8, v5, -v7
	v_fmac_f32_e32 v6, v2, v5
	buffer_store_dword v7, off, s[0:3], 0 offset:304
	buffer_store_dword v6, off, s[0:3], 0 offset:308
.LBB121_167:
	s_or_b32 exec_lo, exec_lo, s4
	s_waitcnt_vscnt null, 0x0
	s_barrier
	buffer_gl0_inv
	s_clause 0x1
	buffer_load_dword v5, off, s[0:3], 0 offset:312
	buffer_load_dword v6, off, s[0:3], 0 offset:316
	s_mov_b32 s4, exec_lo
	s_waitcnt vmcnt(0)
	ds_write_b64 v4, v[5:6]
	s_waitcnt lgkmcnt(0)
	s_barrier
	buffer_gl0_inv
	v_cmpx_gt_u32_e32 39, v0
	s_cbranch_execz .LBB121_171
; %bb.168:
	v_add_nc_u32_e32 v5, -1, v0
	v_add_nc_u32_e32 v6, 0x1d0, v3
	v_mov_b32_e32 v7, v3
	v_mov_b32_e32 v2, 0
	v_mov_b32_e32 v8, 0
	s_mov_b32 s5, 0
	.p2align	6
.LBB121_169:                            ; =>This Inner Loop Header: Depth=1
	s_clause 0x1
	buffer_load_dword v11, v7, s[0:3], 0 offen offset:4
	buffer_load_dword v12, v7, s[0:3], 0 offen
	ds_read_b64 v[9:10], v6
	v_add_nc_u32_e32 v5, 1, v5
	v_add_nc_u32_e32 v6, 8, v6
	;; [unrolled: 1-line block ×3, first 2 shown]
	v_cmp_lt_u32_e32 vcc_lo, 37, v5
	s_or_b32 s5, vcc_lo, s5
	s_waitcnt vmcnt(1) lgkmcnt(0)
	v_mul_f32_e32 v129, v10, v11
	v_mul_f32_e32 v11, v9, v11
	s_waitcnt vmcnt(0)
	v_fma_f32 v9, v9, v12, -v129
	v_fmac_f32_e32 v11, v10, v12
	v_add_f32_e32 v8, v8, v9
	v_add_f32_e32 v2, v2, v11
	s_andn2_b32 exec_lo, exec_lo, s5
	s_cbranch_execnz .LBB121_169
; %bb.170:
	s_or_b32 exec_lo, exec_lo, s5
	v_mov_b32_e32 v5, 0
	ds_read_b64 v[5:6], v5 offset:312
	s_waitcnt lgkmcnt(0)
	v_mul_f32_e32 v7, v2, v6
	v_mul_f32_e32 v6, v8, v6
	v_fma_f32 v7, v8, v5, -v7
	v_fmac_f32_e32 v6, v2, v5
	buffer_store_dword v7, off, s[0:3], 0 offset:312
	buffer_store_dword v6, off, s[0:3], 0 offset:316
.LBB121_171:
	s_or_b32 exec_lo, exec_lo, s4
	s_waitcnt_vscnt null, 0x0
	s_barrier
	buffer_gl0_inv
	s_clause 0x1
	buffer_load_dword v5, off, s[0:3], 0 offset:320
	buffer_load_dword v6, off, s[0:3], 0 offset:324
	s_mov_b32 s4, exec_lo
	s_waitcnt vmcnt(0)
	ds_write_b64 v4, v[5:6]
	s_waitcnt lgkmcnt(0)
	s_barrier
	buffer_gl0_inv
	v_cmpx_gt_u32_e32 40, v0
	s_cbranch_execz .LBB121_175
; %bb.172:
	v_add_nc_u32_e32 v5, -1, v0
	v_add_nc_u32_e32 v6, 0x1d0, v3
	v_mov_b32_e32 v7, v3
	v_mov_b32_e32 v2, 0
	;; [unrolled: 1-line block ×3, first 2 shown]
	s_mov_b32 s5, 0
	.p2align	6
.LBB121_173:                            ; =>This Inner Loop Header: Depth=1
	s_clause 0x1
	buffer_load_dword v11, v7, s[0:3], 0 offen offset:4
	buffer_load_dword v12, v7, s[0:3], 0 offen
	ds_read_b64 v[9:10], v6
	v_add_nc_u32_e32 v5, 1, v5
	v_add_nc_u32_e32 v6, 8, v6
	;; [unrolled: 1-line block ×3, first 2 shown]
	v_cmp_lt_u32_e32 vcc_lo, 38, v5
	s_or_b32 s5, vcc_lo, s5
	s_waitcnt vmcnt(1) lgkmcnt(0)
	v_mul_f32_e32 v129, v10, v11
	v_mul_f32_e32 v11, v9, v11
	s_waitcnt vmcnt(0)
	v_fma_f32 v9, v9, v12, -v129
	v_fmac_f32_e32 v11, v10, v12
	v_add_f32_e32 v8, v8, v9
	v_add_f32_e32 v2, v2, v11
	s_andn2_b32 exec_lo, exec_lo, s5
	s_cbranch_execnz .LBB121_173
; %bb.174:
	s_or_b32 exec_lo, exec_lo, s5
	v_mov_b32_e32 v5, 0
	ds_read_b64 v[5:6], v5 offset:320
	s_waitcnt lgkmcnt(0)
	v_mul_f32_e32 v7, v2, v6
	v_mul_f32_e32 v6, v8, v6
	v_fma_f32 v7, v8, v5, -v7
	v_fmac_f32_e32 v6, v2, v5
	buffer_store_dword v7, off, s[0:3], 0 offset:320
	buffer_store_dword v6, off, s[0:3], 0 offset:324
.LBB121_175:
	s_or_b32 exec_lo, exec_lo, s4
	s_waitcnt_vscnt null, 0x0
	s_barrier
	buffer_gl0_inv
	s_clause 0x1
	buffer_load_dword v5, off, s[0:3], 0 offset:328
	buffer_load_dword v6, off, s[0:3], 0 offset:332
	s_mov_b32 s4, exec_lo
	s_waitcnt vmcnt(0)
	ds_write_b64 v4, v[5:6]
	s_waitcnt lgkmcnt(0)
	s_barrier
	buffer_gl0_inv
	v_cmpx_gt_u32_e32 41, v0
	s_cbranch_execz .LBB121_179
; %bb.176:
	v_add_nc_u32_e32 v5, -1, v0
	v_add_nc_u32_e32 v6, 0x1d0, v3
	v_mov_b32_e32 v7, v3
	v_mov_b32_e32 v2, 0
	;; [unrolled: 1-line block ×3, first 2 shown]
	s_mov_b32 s5, 0
	.p2align	6
.LBB121_177:                            ; =>This Inner Loop Header: Depth=1
	s_clause 0x1
	buffer_load_dword v11, v7, s[0:3], 0 offen offset:4
	buffer_load_dword v12, v7, s[0:3], 0 offen
	ds_read_b64 v[9:10], v6
	v_add_nc_u32_e32 v5, 1, v5
	v_add_nc_u32_e32 v6, 8, v6
	;; [unrolled: 1-line block ×3, first 2 shown]
	v_cmp_lt_u32_e32 vcc_lo, 39, v5
	s_or_b32 s5, vcc_lo, s5
	s_waitcnt vmcnt(1) lgkmcnt(0)
	v_mul_f32_e32 v129, v10, v11
	v_mul_f32_e32 v11, v9, v11
	s_waitcnt vmcnt(0)
	v_fma_f32 v9, v9, v12, -v129
	v_fmac_f32_e32 v11, v10, v12
	v_add_f32_e32 v8, v8, v9
	v_add_f32_e32 v2, v2, v11
	s_andn2_b32 exec_lo, exec_lo, s5
	s_cbranch_execnz .LBB121_177
; %bb.178:
	s_or_b32 exec_lo, exec_lo, s5
	v_mov_b32_e32 v5, 0
	ds_read_b64 v[5:6], v5 offset:328
	s_waitcnt lgkmcnt(0)
	v_mul_f32_e32 v7, v2, v6
	v_mul_f32_e32 v6, v8, v6
	v_fma_f32 v7, v8, v5, -v7
	v_fmac_f32_e32 v6, v2, v5
	buffer_store_dword v7, off, s[0:3], 0 offset:328
	buffer_store_dword v6, off, s[0:3], 0 offset:332
.LBB121_179:
	s_or_b32 exec_lo, exec_lo, s4
	s_waitcnt_vscnt null, 0x0
	s_barrier
	buffer_gl0_inv
	s_clause 0x1
	buffer_load_dword v5, off, s[0:3], 0 offset:336
	buffer_load_dword v6, off, s[0:3], 0 offset:340
	s_mov_b32 s4, exec_lo
	s_waitcnt vmcnt(0)
	ds_write_b64 v4, v[5:6]
	s_waitcnt lgkmcnt(0)
	s_barrier
	buffer_gl0_inv
	v_cmpx_gt_u32_e32 42, v0
	s_cbranch_execz .LBB121_183
; %bb.180:
	v_add_nc_u32_e32 v5, -1, v0
	v_add_nc_u32_e32 v6, 0x1d0, v3
	v_mov_b32_e32 v7, v3
	v_mov_b32_e32 v2, 0
	;; [unrolled: 1-line block ×3, first 2 shown]
	s_mov_b32 s5, 0
	.p2align	6
.LBB121_181:                            ; =>This Inner Loop Header: Depth=1
	s_clause 0x1
	buffer_load_dword v11, v7, s[0:3], 0 offen offset:4
	buffer_load_dword v12, v7, s[0:3], 0 offen
	ds_read_b64 v[9:10], v6
	v_add_nc_u32_e32 v5, 1, v5
	v_add_nc_u32_e32 v6, 8, v6
	;; [unrolled: 1-line block ×3, first 2 shown]
	v_cmp_lt_u32_e32 vcc_lo, 40, v5
	s_or_b32 s5, vcc_lo, s5
	s_waitcnt vmcnt(1) lgkmcnt(0)
	v_mul_f32_e32 v129, v10, v11
	v_mul_f32_e32 v11, v9, v11
	s_waitcnt vmcnt(0)
	v_fma_f32 v9, v9, v12, -v129
	v_fmac_f32_e32 v11, v10, v12
	v_add_f32_e32 v8, v8, v9
	v_add_f32_e32 v2, v2, v11
	s_andn2_b32 exec_lo, exec_lo, s5
	s_cbranch_execnz .LBB121_181
; %bb.182:
	s_or_b32 exec_lo, exec_lo, s5
	v_mov_b32_e32 v5, 0
	ds_read_b64 v[5:6], v5 offset:336
	s_waitcnt lgkmcnt(0)
	v_mul_f32_e32 v7, v2, v6
	v_mul_f32_e32 v6, v8, v6
	v_fma_f32 v7, v8, v5, -v7
	v_fmac_f32_e32 v6, v2, v5
	buffer_store_dword v7, off, s[0:3], 0 offset:336
	buffer_store_dword v6, off, s[0:3], 0 offset:340
.LBB121_183:
	s_or_b32 exec_lo, exec_lo, s4
	s_waitcnt_vscnt null, 0x0
	s_barrier
	buffer_gl0_inv
	s_clause 0x1
	buffer_load_dword v5, off, s[0:3], 0 offset:344
	buffer_load_dword v6, off, s[0:3], 0 offset:348
	s_mov_b32 s4, exec_lo
	s_waitcnt vmcnt(0)
	ds_write_b64 v4, v[5:6]
	s_waitcnt lgkmcnt(0)
	s_barrier
	buffer_gl0_inv
	v_cmpx_gt_u32_e32 43, v0
	s_cbranch_execz .LBB121_187
; %bb.184:
	v_add_nc_u32_e32 v5, -1, v0
	v_add_nc_u32_e32 v6, 0x1d0, v3
	v_mov_b32_e32 v7, v3
	v_mov_b32_e32 v2, 0
	;; [unrolled: 1-line block ×3, first 2 shown]
	s_mov_b32 s5, 0
	.p2align	6
.LBB121_185:                            ; =>This Inner Loop Header: Depth=1
	s_clause 0x1
	buffer_load_dword v11, v7, s[0:3], 0 offen offset:4
	buffer_load_dword v12, v7, s[0:3], 0 offen
	ds_read_b64 v[9:10], v6
	v_add_nc_u32_e32 v5, 1, v5
	v_add_nc_u32_e32 v6, 8, v6
	;; [unrolled: 1-line block ×3, first 2 shown]
	v_cmp_lt_u32_e32 vcc_lo, 41, v5
	s_or_b32 s5, vcc_lo, s5
	s_waitcnt vmcnt(1) lgkmcnt(0)
	v_mul_f32_e32 v129, v10, v11
	v_mul_f32_e32 v11, v9, v11
	s_waitcnt vmcnt(0)
	v_fma_f32 v9, v9, v12, -v129
	v_fmac_f32_e32 v11, v10, v12
	v_add_f32_e32 v8, v8, v9
	v_add_f32_e32 v2, v2, v11
	s_andn2_b32 exec_lo, exec_lo, s5
	s_cbranch_execnz .LBB121_185
; %bb.186:
	s_or_b32 exec_lo, exec_lo, s5
	v_mov_b32_e32 v5, 0
	ds_read_b64 v[5:6], v5 offset:344
	s_waitcnt lgkmcnt(0)
	v_mul_f32_e32 v7, v2, v6
	v_mul_f32_e32 v6, v8, v6
	v_fma_f32 v7, v8, v5, -v7
	v_fmac_f32_e32 v6, v2, v5
	buffer_store_dword v7, off, s[0:3], 0 offset:344
	buffer_store_dword v6, off, s[0:3], 0 offset:348
.LBB121_187:
	s_or_b32 exec_lo, exec_lo, s4
	s_waitcnt_vscnt null, 0x0
	s_barrier
	buffer_gl0_inv
	s_clause 0x1
	buffer_load_dword v5, off, s[0:3], 0 offset:352
	buffer_load_dword v6, off, s[0:3], 0 offset:356
	s_mov_b32 s4, exec_lo
	s_waitcnt vmcnt(0)
	ds_write_b64 v4, v[5:6]
	s_waitcnt lgkmcnt(0)
	s_barrier
	buffer_gl0_inv
	v_cmpx_gt_u32_e32 44, v0
	s_cbranch_execz .LBB121_191
; %bb.188:
	v_add_nc_u32_e32 v5, -1, v0
	v_add_nc_u32_e32 v6, 0x1d0, v3
	v_mov_b32_e32 v7, v3
	v_mov_b32_e32 v2, 0
	;; [unrolled: 1-line block ×3, first 2 shown]
	s_mov_b32 s5, 0
	.p2align	6
.LBB121_189:                            ; =>This Inner Loop Header: Depth=1
	s_clause 0x1
	buffer_load_dword v11, v7, s[0:3], 0 offen offset:4
	buffer_load_dword v12, v7, s[0:3], 0 offen
	ds_read_b64 v[9:10], v6
	v_add_nc_u32_e32 v5, 1, v5
	v_add_nc_u32_e32 v6, 8, v6
	;; [unrolled: 1-line block ×3, first 2 shown]
	v_cmp_lt_u32_e32 vcc_lo, 42, v5
	s_or_b32 s5, vcc_lo, s5
	s_waitcnt vmcnt(1) lgkmcnt(0)
	v_mul_f32_e32 v129, v10, v11
	v_mul_f32_e32 v11, v9, v11
	s_waitcnt vmcnt(0)
	v_fma_f32 v9, v9, v12, -v129
	v_fmac_f32_e32 v11, v10, v12
	v_add_f32_e32 v8, v8, v9
	v_add_f32_e32 v2, v2, v11
	s_andn2_b32 exec_lo, exec_lo, s5
	s_cbranch_execnz .LBB121_189
; %bb.190:
	s_or_b32 exec_lo, exec_lo, s5
	v_mov_b32_e32 v5, 0
	ds_read_b64 v[5:6], v5 offset:352
	s_waitcnt lgkmcnt(0)
	v_mul_f32_e32 v7, v2, v6
	v_mul_f32_e32 v6, v8, v6
	v_fma_f32 v7, v8, v5, -v7
	v_fmac_f32_e32 v6, v2, v5
	buffer_store_dword v7, off, s[0:3], 0 offset:352
	buffer_store_dword v6, off, s[0:3], 0 offset:356
.LBB121_191:
	s_or_b32 exec_lo, exec_lo, s4
	s_waitcnt_vscnt null, 0x0
	s_barrier
	buffer_gl0_inv
	s_clause 0x1
	buffer_load_dword v5, off, s[0:3], 0 offset:360
	buffer_load_dword v6, off, s[0:3], 0 offset:364
	s_mov_b32 s4, exec_lo
	s_waitcnt vmcnt(0)
	ds_write_b64 v4, v[5:6]
	s_waitcnt lgkmcnt(0)
	s_barrier
	buffer_gl0_inv
	v_cmpx_gt_u32_e32 45, v0
	s_cbranch_execz .LBB121_195
; %bb.192:
	v_add_nc_u32_e32 v5, -1, v0
	v_add_nc_u32_e32 v6, 0x1d0, v3
	v_mov_b32_e32 v7, v3
	v_mov_b32_e32 v2, 0
	;; [unrolled: 1-line block ×3, first 2 shown]
	s_mov_b32 s5, 0
	.p2align	6
.LBB121_193:                            ; =>This Inner Loop Header: Depth=1
	s_clause 0x1
	buffer_load_dword v11, v7, s[0:3], 0 offen offset:4
	buffer_load_dword v12, v7, s[0:3], 0 offen
	ds_read_b64 v[9:10], v6
	v_add_nc_u32_e32 v5, 1, v5
	v_add_nc_u32_e32 v6, 8, v6
	;; [unrolled: 1-line block ×3, first 2 shown]
	v_cmp_lt_u32_e32 vcc_lo, 43, v5
	s_or_b32 s5, vcc_lo, s5
	s_waitcnt vmcnt(1) lgkmcnt(0)
	v_mul_f32_e32 v129, v10, v11
	v_mul_f32_e32 v11, v9, v11
	s_waitcnt vmcnt(0)
	v_fma_f32 v9, v9, v12, -v129
	v_fmac_f32_e32 v11, v10, v12
	v_add_f32_e32 v8, v8, v9
	v_add_f32_e32 v2, v2, v11
	s_andn2_b32 exec_lo, exec_lo, s5
	s_cbranch_execnz .LBB121_193
; %bb.194:
	s_or_b32 exec_lo, exec_lo, s5
	v_mov_b32_e32 v5, 0
	ds_read_b64 v[5:6], v5 offset:360
	s_waitcnt lgkmcnt(0)
	v_mul_f32_e32 v7, v2, v6
	v_mul_f32_e32 v6, v8, v6
	v_fma_f32 v7, v8, v5, -v7
	v_fmac_f32_e32 v6, v2, v5
	buffer_store_dword v7, off, s[0:3], 0 offset:360
	buffer_store_dword v6, off, s[0:3], 0 offset:364
.LBB121_195:
	s_or_b32 exec_lo, exec_lo, s4
	s_waitcnt_vscnt null, 0x0
	s_barrier
	buffer_gl0_inv
	s_clause 0x1
	buffer_load_dword v5, off, s[0:3], 0 offset:368
	buffer_load_dword v6, off, s[0:3], 0 offset:372
	s_mov_b32 s4, exec_lo
	s_waitcnt vmcnt(0)
	ds_write_b64 v4, v[5:6]
	s_waitcnt lgkmcnt(0)
	s_barrier
	buffer_gl0_inv
	v_cmpx_gt_u32_e32 46, v0
	s_cbranch_execz .LBB121_199
; %bb.196:
	v_add_nc_u32_e32 v5, -1, v0
	v_add_nc_u32_e32 v6, 0x1d0, v3
	v_mov_b32_e32 v7, v3
	v_mov_b32_e32 v2, 0
	;; [unrolled: 1-line block ×3, first 2 shown]
	s_mov_b32 s5, 0
	.p2align	6
.LBB121_197:                            ; =>This Inner Loop Header: Depth=1
	s_clause 0x1
	buffer_load_dword v11, v7, s[0:3], 0 offen offset:4
	buffer_load_dword v12, v7, s[0:3], 0 offen
	ds_read_b64 v[9:10], v6
	v_add_nc_u32_e32 v5, 1, v5
	v_add_nc_u32_e32 v6, 8, v6
	;; [unrolled: 1-line block ×3, first 2 shown]
	v_cmp_lt_u32_e32 vcc_lo, 44, v5
	s_or_b32 s5, vcc_lo, s5
	s_waitcnt vmcnt(1) lgkmcnt(0)
	v_mul_f32_e32 v129, v10, v11
	v_mul_f32_e32 v11, v9, v11
	s_waitcnt vmcnt(0)
	v_fma_f32 v9, v9, v12, -v129
	v_fmac_f32_e32 v11, v10, v12
	v_add_f32_e32 v8, v8, v9
	v_add_f32_e32 v2, v2, v11
	s_andn2_b32 exec_lo, exec_lo, s5
	s_cbranch_execnz .LBB121_197
; %bb.198:
	s_or_b32 exec_lo, exec_lo, s5
	v_mov_b32_e32 v5, 0
	ds_read_b64 v[5:6], v5 offset:368
	s_waitcnt lgkmcnt(0)
	v_mul_f32_e32 v7, v2, v6
	v_mul_f32_e32 v6, v8, v6
	v_fma_f32 v7, v8, v5, -v7
	v_fmac_f32_e32 v6, v2, v5
	buffer_store_dword v7, off, s[0:3], 0 offset:368
	buffer_store_dword v6, off, s[0:3], 0 offset:372
.LBB121_199:
	s_or_b32 exec_lo, exec_lo, s4
	s_waitcnt_vscnt null, 0x0
	s_barrier
	buffer_gl0_inv
	s_clause 0x1
	buffer_load_dword v5, off, s[0:3], 0 offset:376
	buffer_load_dword v6, off, s[0:3], 0 offset:380
	s_mov_b32 s4, exec_lo
	s_waitcnt vmcnt(0)
	ds_write_b64 v4, v[5:6]
	s_waitcnt lgkmcnt(0)
	s_barrier
	buffer_gl0_inv
	v_cmpx_gt_u32_e32 47, v0
	s_cbranch_execz .LBB121_203
; %bb.200:
	v_add_nc_u32_e32 v5, -1, v0
	v_add_nc_u32_e32 v6, 0x1d0, v3
	v_mov_b32_e32 v7, v3
	v_mov_b32_e32 v2, 0
	;; [unrolled: 1-line block ×3, first 2 shown]
	s_mov_b32 s5, 0
	.p2align	6
.LBB121_201:                            ; =>This Inner Loop Header: Depth=1
	s_clause 0x1
	buffer_load_dword v11, v7, s[0:3], 0 offen offset:4
	buffer_load_dword v12, v7, s[0:3], 0 offen
	ds_read_b64 v[9:10], v6
	v_add_nc_u32_e32 v5, 1, v5
	v_add_nc_u32_e32 v6, 8, v6
	;; [unrolled: 1-line block ×3, first 2 shown]
	v_cmp_lt_u32_e32 vcc_lo, 45, v5
	s_or_b32 s5, vcc_lo, s5
	s_waitcnt vmcnt(1) lgkmcnt(0)
	v_mul_f32_e32 v129, v10, v11
	v_mul_f32_e32 v11, v9, v11
	s_waitcnt vmcnt(0)
	v_fma_f32 v9, v9, v12, -v129
	v_fmac_f32_e32 v11, v10, v12
	v_add_f32_e32 v8, v8, v9
	v_add_f32_e32 v2, v2, v11
	s_andn2_b32 exec_lo, exec_lo, s5
	s_cbranch_execnz .LBB121_201
; %bb.202:
	s_or_b32 exec_lo, exec_lo, s5
	v_mov_b32_e32 v5, 0
	ds_read_b64 v[5:6], v5 offset:376
	s_waitcnt lgkmcnt(0)
	v_mul_f32_e32 v7, v2, v6
	v_mul_f32_e32 v6, v8, v6
	v_fma_f32 v7, v8, v5, -v7
	v_fmac_f32_e32 v6, v2, v5
	buffer_store_dword v7, off, s[0:3], 0 offset:376
	buffer_store_dword v6, off, s[0:3], 0 offset:380
.LBB121_203:
	s_or_b32 exec_lo, exec_lo, s4
	s_waitcnt_vscnt null, 0x0
	s_barrier
	buffer_gl0_inv
	s_clause 0x1
	buffer_load_dword v5, off, s[0:3], 0 offset:384
	buffer_load_dword v6, off, s[0:3], 0 offset:388
	s_mov_b32 s4, exec_lo
	s_waitcnt vmcnt(0)
	ds_write_b64 v4, v[5:6]
	s_waitcnt lgkmcnt(0)
	s_barrier
	buffer_gl0_inv
	v_cmpx_gt_u32_e32 48, v0
	s_cbranch_execz .LBB121_207
; %bb.204:
	v_add_nc_u32_e32 v5, -1, v0
	v_add_nc_u32_e32 v6, 0x1d0, v3
	v_mov_b32_e32 v7, v3
	v_mov_b32_e32 v2, 0
	;; [unrolled: 1-line block ×3, first 2 shown]
	s_mov_b32 s5, 0
	.p2align	6
.LBB121_205:                            ; =>This Inner Loop Header: Depth=1
	s_clause 0x1
	buffer_load_dword v11, v7, s[0:3], 0 offen offset:4
	buffer_load_dword v12, v7, s[0:3], 0 offen
	ds_read_b64 v[9:10], v6
	v_add_nc_u32_e32 v5, 1, v5
	v_add_nc_u32_e32 v6, 8, v6
	;; [unrolled: 1-line block ×3, first 2 shown]
	v_cmp_lt_u32_e32 vcc_lo, 46, v5
	s_or_b32 s5, vcc_lo, s5
	s_waitcnt vmcnt(1) lgkmcnt(0)
	v_mul_f32_e32 v129, v10, v11
	v_mul_f32_e32 v11, v9, v11
	s_waitcnt vmcnt(0)
	v_fma_f32 v9, v9, v12, -v129
	v_fmac_f32_e32 v11, v10, v12
	v_add_f32_e32 v8, v8, v9
	v_add_f32_e32 v2, v2, v11
	s_andn2_b32 exec_lo, exec_lo, s5
	s_cbranch_execnz .LBB121_205
; %bb.206:
	s_or_b32 exec_lo, exec_lo, s5
	v_mov_b32_e32 v5, 0
	ds_read_b64 v[5:6], v5 offset:384
	s_waitcnt lgkmcnt(0)
	v_mul_f32_e32 v7, v2, v6
	v_mul_f32_e32 v6, v8, v6
	v_fma_f32 v7, v8, v5, -v7
	v_fmac_f32_e32 v6, v2, v5
	buffer_store_dword v7, off, s[0:3], 0 offset:384
	buffer_store_dword v6, off, s[0:3], 0 offset:388
.LBB121_207:
	s_or_b32 exec_lo, exec_lo, s4
	s_waitcnt_vscnt null, 0x0
	s_barrier
	buffer_gl0_inv
	s_clause 0x1
	buffer_load_dword v5, off, s[0:3], 0 offset:392
	buffer_load_dword v6, off, s[0:3], 0 offset:396
	s_mov_b32 s4, exec_lo
	s_waitcnt vmcnt(0)
	ds_write_b64 v4, v[5:6]
	s_waitcnt lgkmcnt(0)
	s_barrier
	buffer_gl0_inv
	v_cmpx_gt_u32_e32 49, v0
	s_cbranch_execz .LBB121_211
; %bb.208:
	v_add_nc_u32_e32 v5, -1, v0
	v_add_nc_u32_e32 v6, 0x1d0, v3
	v_mov_b32_e32 v7, v3
	v_mov_b32_e32 v2, 0
	;; [unrolled: 1-line block ×3, first 2 shown]
	s_mov_b32 s5, 0
	.p2align	6
.LBB121_209:                            ; =>This Inner Loop Header: Depth=1
	s_clause 0x1
	buffer_load_dword v11, v7, s[0:3], 0 offen offset:4
	buffer_load_dword v12, v7, s[0:3], 0 offen
	ds_read_b64 v[9:10], v6
	v_add_nc_u32_e32 v5, 1, v5
	v_add_nc_u32_e32 v6, 8, v6
	;; [unrolled: 1-line block ×3, first 2 shown]
	v_cmp_lt_u32_e32 vcc_lo, 47, v5
	s_or_b32 s5, vcc_lo, s5
	s_waitcnt vmcnt(1) lgkmcnt(0)
	v_mul_f32_e32 v129, v10, v11
	v_mul_f32_e32 v11, v9, v11
	s_waitcnt vmcnt(0)
	v_fma_f32 v9, v9, v12, -v129
	v_fmac_f32_e32 v11, v10, v12
	v_add_f32_e32 v8, v8, v9
	v_add_f32_e32 v2, v2, v11
	s_andn2_b32 exec_lo, exec_lo, s5
	s_cbranch_execnz .LBB121_209
; %bb.210:
	s_or_b32 exec_lo, exec_lo, s5
	v_mov_b32_e32 v5, 0
	ds_read_b64 v[5:6], v5 offset:392
	s_waitcnt lgkmcnt(0)
	v_mul_f32_e32 v7, v2, v6
	v_mul_f32_e32 v6, v8, v6
	v_fma_f32 v7, v8, v5, -v7
	v_fmac_f32_e32 v6, v2, v5
	buffer_store_dword v7, off, s[0:3], 0 offset:392
	buffer_store_dword v6, off, s[0:3], 0 offset:396
.LBB121_211:
	s_or_b32 exec_lo, exec_lo, s4
	s_waitcnt_vscnt null, 0x0
	s_barrier
	buffer_gl0_inv
	s_clause 0x1
	buffer_load_dword v5, off, s[0:3], 0 offset:400
	buffer_load_dword v6, off, s[0:3], 0 offset:404
	s_mov_b32 s4, exec_lo
	s_waitcnt vmcnt(0)
	ds_write_b64 v4, v[5:6]
	s_waitcnt lgkmcnt(0)
	s_barrier
	buffer_gl0_inv
	v_cmpx_gt_u32_e32 50, v0
	s_cbranch_execz .LBB121_215
; %bb.212:
	v_add_nc_u32_e32 v5, -1, v0
	v_add_nc_u32_e32 v6, 0x1d0, v3
	v_mov_b32_e32 v7, v3
	v_mov_b32_e32 v2, 0
	;; [unrolled: 1-line block ×3, first 2 shown]
	s_mov_b32 s5, 0
	.p2align	6
.LBB121_213:                            ; =>This Inner Loop Header: Depth=1
	s_clause 0x1
	buffer_load_dword v11, v7, s[0:3], 0 offen offset:4
	buffer_load_dword v12, v7, s[0:3], 0 offen
	ds_read_b64 v[9:10], v6
	v_add_nc_u32_e32 v5, 1, v5
	v_add_nc_u32_e32 v6, 8, v6
	;; [unrolled: 1-line block ×3, first 2 shown]
	v_cmp_lt_u32_e32 vcc_lo, 48, v5
	s_or_b32 s5, vcc_lo, s5
	s_waitcnt vmcnt(1) lgkmcnt(0)
	v_mul_f32_e32 v129, v10, v11
	v_mul_f32_e32 v11, v9, v11
	s_waitcnt vmcnt(0)
	v_fma_f32 v9, v9, v12, -v129
	v_fmac_f32_e32 v11, v10, v12
	v_add_f32_e32 v8, v8, v9
	v_add_f32_e32 v2, v2, v11
	s_andn2_b32 exec_lo, exec_lo, s5
	s_cbranch_execnz .LBB121_213
; %bb.214:
	s_or_b32 exec_lo, exec_lo, s5
	v_mov_b32_e32 v5, 0
	ds_read_b64 v[5:6], v5 offset:400
	s_waitcnt lgkmcnt(0)
	v_mul_f32_e32 v7, v2, v6
	v_mul_f32_e32 v6, v8, v6
	v_fma_f32 v7, v8, v5, -v7
	v_fmac_f32_e32 v6, v2, v5
	buffer_store_dword v7, off, s[0:3], 0 offset:400
	buffer_store_dword v6, off, s[0:3], 0 offset:404
.LBB121_215:
	s_or_b32 exec_lo, exec_lo, s4
	s_waitcnt_vscnt null, 0x0
	s_barrier
	buffer_gl0_inv
	s_clause 0x1
	buffer_load_dword v5, off, s[0:3], 0 offset:408
	buffer_load_dword v6, off, s[0:3], 0 offset:412
	s_mov_b32 s4, exec_lo
	s_waitcnt vmcnt(0)
	ds_write_b64 v4, v[5:6]
	s_waitcnt lgkmcnt(0)
	s_barrier
	buffer_gl0_inv
	v_cmpx_gt_u32_e32 51, v0
	s_cbranch_execz .LBB121_219
; %bb.216:
	v_add_nc_u32_e32 v5, -1, v0
	v_add_nc_u32_e32 v6, 0x1d0, v3
	v_mov_b32_e32 v7, v3
	v_mov_b32_e32 v2, 0
	;; [unrolled: 1-line block ×3, first 2 shown]
	s_mov_b32 s5, 0
	.p2align	6
.LBB121_217:                            ; =>This Inner Loop Header: Depth=1
	s_clause 0x1
	buffer_load_dword v11, v7, s[0:3], 0 offen offset:4
	buffer_load_dword v12, v7, s[0:3], 0 offen
	ds_read_b64 v[9:10], v6
	v_add_nc_u32_e32 v5, 1, v5
	v_add_nc_u32_e32 v6, 8, v6
	;; [unrolled: 1-line block ×3, first 2 shown]
	v_cmp_lt_u32_e32 vcc_lo, 49, v5
	s_or_b32 s5, vcc_lo, s5
	s_waitcnt vmcnt(1) lgkmcnt(0)
	v_mul_f32_e32 v129, v10, v11
	v_mul_f32_e32 v11, v9, v11
	s_waitcnt vmcnt(0)
	v_fma_f32 v9, v9, v12, -v129
	v_fmac_f32_e32 v11, v10, v12
	v_add_f32_e32 v8, v8, v9
	v_add_f32_e32 v2, v2, v11
	s_andn2_b32 exec_lo, exec_lo, s5
	s_cbranch_execnz .LBB121_217
; %bb.218:
	s_or_b32 exec_lo, exec_lo, s5
	v_mov_b32_e32 v5, 0
	ds_read_b64 v[5:6], v5 offset:408
	s_waitcnt lgkmcnt(0)
	v_mul_f32_e32 v7, v2, v6
	v_mul_f32_e32 v6, v8, v6
	v_fma_f32 v7, v8, v5, -v7
	v_fmac_f32_e32 v6, v2, v5
	buffer_store_dword v7, off, s[0:3], 0 offset:408
	buffer_store_dword v6, off, s[0:3], 0 offset:412
.LBB121_219:
	s_or_b32 exec_lo, exec_lo, s4
	s_waitcnt_vscnt null, 0x0
	s_barrier
	buffer_gl0_inv
	s_clause 0x1
	buffer_load_dword v5, off, s[0:3], 0 offset:416
	buffer_load_dword v6, off, s[0:3], 0 offset:420
	s_mov_b32 s4, exec_lo
	s_waitcnt vmcnt(0)
	ds_write_b64 v4, v[5:6]
	s_waitcnt lgkmcnt(0)
	s_barrier
	buffer_gl0_inv
	v_cmpx_gt_u32_e32 52, v0
	s_cbranch_execz .LBB121_223
; %bb.220:
	v_add_nc_u32_e32 v5, -1, v0
	v_add_nc_u32_e32 v6, 0x1d0, v3
	v_mov_b32_e32 v7, v3
	v_mov_b32_e32 v2, 0
	;; [unrolled: 1-line block ×3, first 2 shown]
	s_mov_b32 s5, 0
	.p2align	6
.LBB121_221:                            ; =>This Inner Loop Header: Depth=1
	s_clause 0x1
	buffer_load_dword v11, v7, s[0:3], 0 offen offset:4
	buffer_load_dword v12, v7, s[0:3], 0 offen
	ds_read_b64 v[9:10], v6
	v_add_nc_u32_e32 v5, 1, v5
	v_add_nc_u32_e32 v6, 8, v6
	;; [unrolled: 1-line block ×3, first 2 shown]
	v_cmp_lt_u32_e32 vcc_lo, 50, v5
	s_or_b32 s5, vcc_lo, s5
	s_waitcnt vmcnt(1) lgkmcnt(0)
	v_mul_f32_e32 v129, v10, v11
	v_mul_f32_e32 v11, v9, v11
	s_waitcnt vmcnt(0)
	v_fma_f32 v9, v9, v12, -v129
	v_fmac_f32_e32 v11, v10, v12
	v_add_f32_e32 v8, v8, v9
	v_add_f32_e32 v2, v2, v11
	s_andn2_b32 exec_lo, exec_lo, s5
	s_cbranch_execnz .LBB121_221
; %bb.222:
	s_or_b32 exec_lo, exec_lo, s5
	v_mov_b32_e32 v5, 0
	ds_read_b64 v[5:6], v5 offset:416
	s_waitcnt lgkmcnt(0)
	v_mul_f32_e32 v7, v2, v6
	v_mul_f32_e32 v6, v8, v6
	v_fma_f32 v7, v8, v5, -v7
	v_fmac_f32_e32 v6, v2, v5
	buffer_store_dword v7, off, s[0:3], 0 offset:416
	buffer_store_dword v6, off, s[0:3], 0 offset:420
.LBB121_223:
	s_or_b32 exec_lo, exec_lo, s4
	s_waitcnt_vscnt null, 0x0
	s_barrier
	buffer_gl0_inv
	s_clause 0x1
	buffer_load_dword v5, off, s[0:3], 0 offset:424
	buffer_load_dword v6, off, s[0:3], 0 offset:428
	s_mov_b32 s4, exec_lo
	s_waitcnt vmcnt(0)
	ds_write_b64 v4, v[5:6]
	s_waitcnt lgkmcnt(0)
	s_barrier
	buffer_gl0_inv
	v_cmpx_gt_u32_e32 53, v0
	s_cbranch_execz .LBB121_227
; %bb.224:
	v_add_nc_u32_e32 v5, -1, v0
	v_add_nc_u32_e32 v6, 0x1d0, v3
	v_mov_b32_e32 v7, v3
	v_mov_b32_e32 v2, 0
	;; [unrolled: 1-line block ×3, first 2 shown]
	s_mov_b32 s5, 0
	.p2align	6
.LBB121_225:                            ; =>This Inner Loop Header: Depth=1
	s_clause 0x1
	buffer_load_dword v11, v7, s[0:3], 0 offen offset:4
	buffer_load_dword v12, v7, s[0:3], 0 offen
	ds_read_b64 v[9:10], v6
	v_add_nc_u32_e32 v5, 1, v5
	v_add_nc_u32_e32 v6, 8, v6
	;; [unrolled: 1-line block ×3, first 2 shown]
	v_cmp_lt_u32_e32 vcc_lo, 51, v5
	s_or_b32 s5, vcc_lo, s5
	s_waitcnt vmcnt(1) lgkmcnt(0)
	v_mul_f32_e32 v129, v10, v11
	v_mul_f32_e32 v11, v9, v11
	s_waitcnt vmcnt(0)
	v_fma_f32 v9, v9, v12, -v129
	v_fmac_f32_e32 v11, v10, v12
	v_add_f32_e32 v8, v8, v9
	v_add_f32_e32 v2, v2, v11
	s_andn2_b32 exec_lo, exec_lo, s5
	s_cbranch_execnz .LBB121_225
; %bb.226:
	s_or_b32 exec_lo, exec_lo, s5
	v_mov_b32_e32 v5, 0
	ds_read_b64 v[5:6], v5 offset:424
	s_waitcnt lgkmcnt(0)
	v_mul_f32_e32 v7, v2, v6
	v_mul_f32_e32 v6, v8, v6
	v_fma_f32 v7, v8, v5, -v7
	v_fmac_f32_e32 v6, v2, v5
	buffer_store_dword v7, off, s[0:3], 0 offset:424
	buffer_store_dword v6, off, s[0:3], 0 offset:428
.LBB121_227:
	s_or_b32 exec_lo, exec_lo, s4
	s_waitcnt_vscnt null, 0x0
	s_barrier
	buffer_gl0_inv
	s_clause 0x1
	buffer_load_dword v5, off, s[0:3], 0 offset:432
	buffer_load_dword v6, off, s[0:3], 0 offset:436
	s_mov_b32 s4, exec_lo
	s_waitcnt vmcnt(0)
	ds_write_b64 v4, v[5:6]
	s_waitcnt lgkmcnt(0)
	s_barrier
	buffer_gl0_inv
	v_cmpx_gt_u32_e32 54, v0
	s_cbranch_execz .LBB121_231
; %bb.228:
	v_add_nc_u32_e32 v5, -1, v0
	v_add_nc_u32_e32 v6, 0x1d0, v3
	v_mov_b32_e32 v7, v3
	v_mov_b32_e32 v2, 0
	;; [unrolled: 1-line block ×3, first 2 shown]
	s_mov_b32 s5, 0
	.p2align	6
.LBB121_229:                            ; =>This Inner Loop Header: Depth=1
	s_clause 0x1
	buffer_load_dword v11, v7, s[0:3], 0 offen offset:4
	buffer_load_dword v12, v7, s[0:3], 0 offen
	ds_read_b64 v[9:10], v6
	v_add_nc_u32_e32 v5, 1, v5
	v_add_nc_u32_e32 v6, 8, v6
	;; [unrolled: 1-line block ×3, first 2 shown]
	v_cmp_lt_u32_e32 vcc_lo, 52, v5
	s_or_b32 s5, vcc_lo, s5
	s_waitcnt vmcnt(1) lgkmcnt(0)
	v_mul_f32_e32 v129, v10, v11
	v_mul_f32_e32 v11, v9, v11
	s_waitcnt vmcnt(0)
	v_fma_f32 v9, v9, v12, -v129
	v_fmac_f32_e32 v11, v10, v12
	v_add_f32_e32 v8, v8, v9
	v_add_f32_e32 v2, v2, v11
	s_andn2_b32 exec_lo, exec_lo, s5
	s_cbranch_execnz .LBB121_229
; %bb.230:
	s_or_b32 exec_lo, exec_lo, s5
	v_mov_b32_e32 v5, 0
	ds_read_b64 v[5:6], v5 offset:432
	s_waitcnt lgkmcnt(0)
	v_mul_f32_e32 v7, v2, v6
	v_mul_f32_e32 v6, v8, v6
	v_fma_f32 v7, v8, v5, -v7
	v_fmac_f32_e32 v6, v2, v5
	buffer_store_dword v7, off, s[0:3], 0 offset:432
	buffer_store_dword v6, off, s[0:3], 0 offset:436
.LBB121_231:
	s_or_b32 exec_lo, exec_lo, s4
	s_waitcnt_vscnt null, 0x0
	s_barrier
	buffer_gl0_inv
	s_clause 0x1
	buffer_load_dword v5, off, s[0:3], 0 offset:440
	buffer_load_dword v6, off, s[0:3], 0 offset:444
	s_mov_b32 s4, exec_lo
	s_waitcnt vmcnt(0)
	ds_write_b64 v4, v[5:6]
	s_waitcnt lgkmcnt(0)
	s_barrier
	buffer_gl0_inv
	v_cmpx_gt_u32_e32 55, v0
	s_cbranch_execz .LBB121_235
; %bb.232:
	v_add_nc_u32_e32 v5, -1, v0
	v_add_nc_u32_e32 v6, 0x1d0, v3
	v_mov_b32_e32 v7, v3
	v_mov_b32_e32 v2, 0
	;; [unrolled: 1-line block ×3, first 2 shown]
	s_mov_b32 s5, 0
	.p2align	6
.LBB121_233:                            ; =>This Inner Loop Header: Depth=1
	s_clause 0x1
	buffer_load_dword v11, v7, s[0:3], 0 offen offset:4
	buffer_load_dword v12, v7, s[0:3], 0 offen
	ds_read_b64 v[9:10], v6
	v_add_nc_u32_e32 v5, 1, v5
	v_add_nc_u32_e32 v6, 8, v6
	v_add_nc_u32_e32 v7, 8, v7
	v_cmp_lt_u32_e32 vcc_lo, 53, v5
	s_or_b32 s5, vcc_lo, s5
	s_waitcnt vmcnt(1) lgkmcnt(0)
	v_mul_f32_e32 v129, v10, v11
	v_mul_f32_e32 v11, v9, v11
	s_waitcnt vmcnt(0)
	v_fma_f32 v9, v9, v12, -v129
	v_fmac_f32_e32 v11, v10, v12
	v_add_f32_e32 v8, v8, v9
	v_add_f32_e32 v2, v2, v11
	s_andn2_b32 exec_lo, exec_lo, s5
	s_cbranch_execnz .LBB121_233
; %bb.234:
	s_or_b32 exec_lo, exec_lo, s5
	v_mov_b32_e32 v5, 0
	ds_read_b64 v[5:6], v5 offset:440
	s_waitcnt lgkmcnt(0)
	v_mul_f32_e32 v7, v2, v6
	v_mul_f32_e32 v6, v8, v6
	v_fma_f32 v7, v8, v5, -v7
	v_fmac_f32_e32 v6, v2, v5
	buffer_store_dword v7, off, s[0:3], 0 offset:440
	buffer_store_dword v6, off, s[0:3], 0 offset:444
.LBB121_235:
	s_or_b32 exec_lo, exec_lo, s4
	s_waitcnt_vscnt null, 0x0
	s_barrier
	buffer_gl0_inv
	s_clause 0x1
	buffer_load_dword v5, off, s[0:3], 0 offset:448
	buffer_load_dword v6, off, s[0:3], 0 offset:452
	s_mov_b32 s4, exec_lo
	s_waitcnt vmcnt(0)
	ds_write_b64 v4, v[5:6]
	s_waitcnt lgkmcnt(0)
	s_barrier
	buffer_gl0_inv
	v_cmpx_gt_u32_e32 56, v0
	s_cbranch_execz .LBB121_239
; %bb.236:
	v_add_nc_u32_e32 v5, -1, v0
	v_add_nc_u32_e32 v6, 0x1d0, v3
	v_mov_b32_e32 v7, v3
	v_mov_b32_e32 v2, 0
	;; [unrolled: 1-line block ×3, first 2 shown]
	s_mov_b32 s5, 0
	.p2align	6
.LBB121_237:                            ; =>This Inner Loop Header: Depth=1
	s_clause 0x1
	buffer_load_dword v11, v7, s[0:3], 0 offen offset:4
	buffer_load_dword v12, v7, s[0:3], 0 offen
	ds_read_b64 v[9:10], v6
	v_add_nc_u32_e32 v5, 1, v5
	v_add_nc_u32_e32 v6, 8, v6
	;; [unrolled: 1-line block ×3, first 2 shown]
	v_cmp_lt_u32_e32 vcc_lo, 54, v5
	s_or_b32 s5, vcc_lo, s5
	s_waitcnt vmcnt(1) lgkmcnt(0)
	v_mul_f32_e32 v129, v10, v11
	v_mul_f32_e32 v11, v9, v11
	s_waitcnt vmcnt(0)
	v_fma_f32 v9, v9, v12, -v129
	v_fmac_f32_e32 v11, v10, v12
	v_add_f32_e32 v8, v8, v9
	v_add_f32_e32 v2, v2, v11
	s_andn2_b32 exec_lo, exec_lo, s5
	s_cbranch_execnz .LBB121_237
; %bb.238:
	s_or_b32 exec_lo, exec_lo, s5
	v_mov_b32_e32 v5, 0
	ds_read_b64 v[5:6], v5 offset:448
	s_waitcnt lgkmcnt(0)
	v_mul_f32_e32 v7, v2, v6
	v_mul_f32_e32 v6, v8, v6
	v_fma_f32 v7, v8, v5, -v7
	v_fmac_f32_e32 v6, v2, v5
	buffer_store_dword v7, off, s[0:3], 0 offset:448
	buffer_store_dword v6, off, s[0:3], 0 offset:452
.LBB121_239:
	s_or_b32 exec_lo, exec_lo, s4
	s_waitcnt_vscnt null, 0x0
	s_barrier
	buffer_gl0_inv
	s_clause 0x1
	buffer_load_dword v5, off, s[0:3], 0 offset:456
	buffer_load_dword v6, off, s[0:3], 0 offset:460
	s_mov_b32 s4, exec_lo
	s_waitcnt vmcnt(0)
	ds_write_b64 v4, v[5:6]
	s_waitcnt lgkmcnt(0)
	s_barrier
	buffer_gl0_inv
	v_cmpx_ne_u32_e32 57, v0
	s_cbranch_execz .LBB121_243
; %bb.240:
	v_mov_b32_e32 v2, 0
	v_mov_b32_e32 v5, 0
	s_mov_b32 s5, 0
	.p2align	6
.LBB121_241:                            ; =>This Inner Loop Header: Depth=1
	s_clause 0x1
	buffer_load_dword v8, v3, s[0:3], 0 offen offset:4
	buffer_load_dword v9, v3, s[0:3], 0 offen
	ds_read_b64 v[6:7], v4
	v_add_nc_u32_e32 v1, 1, v1
	v_add_nc_u32_e32 v4, 8, v4
	;; [unrolled: 1-line block ×3, first 2 shown]
	v_cmp_lt_u32_e32 vcc_lo, 55, v1
	s_or_b32 s5, vcc_lo, s5
	s_waitcnt vmcnt(1) lgkmcnt(0)
	v_mul_f32_e32 v10, v7, v8
	v_mul_f32_e32 v8, v6, v8
	s_waitcnt vmcnt(0)
	v_fma_f32 v6, v6, v9, -v10
	v_fmac_f32_e32 v8, v7, v9
	v_add_f32_e32 v5, v5, v6
	v_add_f32_e32 v2, v2, v8
	s_andn2_b32 exec_lo, exec_lo, s5
	s_cbranch_execnz .LBB121_241
; %bb.242:
	s_or_b32 exec_lo, exec_lo, s5
	v_mov_b32_e32 v1, 0
	ds_read_b64 v[3:4], v1 offset:456
	s_waitcnt lgkmcnt(0)
	v_mul_f32_e32 v1, v2, v4
	v_mul_f32_e32 v4, v5, v4
	v_fma_f32 v1, v5, v3, -v1
	v_fmac_f32_e32 v4, v2, v3
	buffer_store_dword v1, off, s[0:3], 0 offset:456
	buffer_store_dword v4, off, s[0:3], 0 offset:460
.LBB121_243:
	s_or_b32 exec_lo, exec_lo, s4
	s_mov_b32 s5, -1
	s_waitcnt_vscnt null, 0x0
	s_barrier
	buffer_gl0_inv
.LBB121_244:
	s_and_b32 vcc_lo, exec_lo, s5
	s_cbranch_vccz .LBB121_246
; %bb.245:
	s_lshl_b64 s[4:5], s[6:7], 2
	v_mov_b32_e32 v1, 0
	s_add_u32 s4, s10, s4
	s_addc_u32 s5, s11, s5
	global_load_dword v1, v1, s[4:5]
	s_waitcnt vmcnt(0)
	v_cmp_ne_u32_e32 vcc_lo, 0, v1
	s_cbranch_vccz .LBB121_247
.LBB121_246:
	s_endpgm
.LBB121_247:
	v_lshl_add_u32 v129, v0, 3, 0x1d0
	s_mov_b32 s4, exec_lo
	v_cmpx_eq_u32_e32 57, v0
	s_cbranch_execz .LBB121_249
; %bb.248:
	s_clause 0x1
	buffer_load_dword v1, off, s[0:3], 0 offset:448
	buffer_load_dword v2, off, s[0:3], 0 offset:452
	v_mov_b32_e32 v3, 0
	buffer_store_dword v3, off, s[0:3], 0 offset:448
	buffer_store_dword v3, off, s[0:3], 0 offset:452
	s_waitcnt vmcnt(0)
	ds_write_b64 v129, v[1:2]
.LBB121_249:
	s_or_b32 exec_lo, exec_lo, s4
	s_waitcnt lgkmcnt(0)
	s_waitcnt_vscnt null, 0x0
	s_barrier
	buffer_gl0_inv
	s_clause 0x3
	buffer_load_dword v4, off, s[0:3], 0 offset:460
	buffer_load_dword v5, off, s[0:3], 0 offset:456
	;; [unrolled: 1-line block ×4, first 2 shown]
	v_mov_b32_e32 v1, 0
	s_mov_b32 s4, exec_lo
	ds_read_b64 v[2:3], v1 offset:920
	s_waitcnt vmcnt(3) lgkmcnt(0)
	v_mul_f32_e32 v8, v3, v4
	v_mul_f32_e32 v4, v2, v4
	s_waitcnt vmcnt(2)
	v_fma_f32 v2, v2, v5, -v8
	v_fmac_f32_e32 v4, v3, v5
	v_add_f32_e32 v2, 0, v2
	v_add_f32_e32 v3, 0, v4
	s_waitcnt vmcnt(1)
	v_sub_f32_e32 v2, v6, v2
	s_waitcnt vmcnt(0)
	v_sub_f32_e32 v3, v7, v3
	buffer_store_dword v2, off, s[0:3], 0 offset:448
	buffer_store_dword v3, off, s[0:3], 0 offset:452
	v_cmpx_lt_u32_e32 55, v0
	s_cbranch_execz .LBB121_251
; %bb.250:
	s_clause 0x1
	buffer_load_dword v2, off, s[0:3], 0 offset:440
	buffer_load_dword v3, off, s[0:3], 0 offset:444
	buffer_store_dword v1, off, s[0:3], 0 offset:440
	buffer_store_dword v1, off, s[0:3], 0 offset:444
	s_waitcnt vmcnt(0)
	ds_write_b64 v129, v[2:3]
.LBB121_251:
	s_or_b32 exec_lo, exec_lo, s4
	s_waitcnt lgkmcnt(0)
	s_waitcnt_vscnt null, 0x0
	s_barrier
	buffer_gl0_inv
	s_clause 0x5
	buffer_load_dword v5, off, s[0:3], 0 offset:452
	buffer_load_dword v6, off, s[0:3], 0 offset:460
	;; [unrolled: 1-line block ×6, first 2 shown]
	ds_read_b128 v[1:4], v1 offset:912
	s_mov_b32 s4, exec_lo
	s_waitcnt vmcnt(5) lgkmcnt(0)
	v_mul_f32_e32 v11, v2, v5
	v_mul_f32_e32 v5, v1, v5
	s_waitcnt vmcnt(4)
	v_mul_f32_e32 v12, v3, v6
	v_mul_f32_e32 v6, v4, v6
	s_waitcnt vmcnt(3)
	v_fma_f32 v1, v1, v7, -v11
	v_fmac_f32_e32 v5, v2, v7
	s_waitcnt vmcnt(2)
	v_fmac_f32_e32 v12, v4, v8
	v_fma_f32 v2, v3, v8, -v6
	v_add_f32_e32 v1, 0, v1
	v_add_f32_e32 v3, 0, v5
	;; [unrolled: 1-line block ×4, first 2 shown]
	s_waitcnt vmcnt(1)
	v_sub_f32_e32 v1, v9, v1
	s_waitcnt vmcnt(0)
	v_sub_f32_e32 v2, v10, v2
	buffer_store_dword v1, off, s[0:3], 0 offset:440
	buffer_store_dword v2, off, s[0:3], 0 offset:444
	v_cmpx_lt_u32_e32 54, v0
	s_cbranch_execz .LBB121_253
; %bb.252:
	s_clause 0x1
	buffer_load_dword v1, off, s[0:3], 0 offset:432
	buffer_load_dword v2, off, s[0:3], 0 offset:436
	v_mov_b32_e32 v3, 0
	buffer_store_dword v3, off, s[0:3], 0 offset:432
	buffer_store_dword v3, off, s[0:3], 0 offset:436
	s_waitcnt vmcnt(0)
	ds_write_b64 v129, v[1:2]
.LBB121_253:
	s_or_b32 exec_lo, exec_lo, s4
	s_waitcnt lgkmcnt(0)
	s_waitcnt_vscnt null, 0x0
	s_barrier
	buffer_gl0_inv
	s_clause 0x7
	buffer_load_dword v8, off, s[0:3], 0 offset:444
	buffer_load_dword v9, off, s[0:3], 0 offset:452
	;; [unrolled: 1-line block ×8, first 2 shown]
	v_mov_b32_e32 v1, 0
	ds_read2_b64 v[2:5], v1 offset0:113 offset1:114
	ds_read_b64 v[6:7], v1 offset:920
	s_mov_b32 s4, exec_lo
	s_waitcnt vmcnt(7) lgkmcnt(1)
	v_mul_f32_e32 v133, v3, v8
	v_mul_f32_e32 v8, v2, v8
	s_waitcnt vmcnt(6)
	v_mul_f32_e32 v134, v4, v9
	v_mul_f32_e32 v9, v5, v9
	s_waitcnt vmcnt(5) lgkmcnt(0)
	v_mul_f32_e32 v135, v6, v10
	s_waitcnt vmcnt(4)
	v_fma_f32 v2, v2, v11, -v133
	v_fmac_f32_e32 v8, v3, v11
	v_mul_f32_e32 v3, v7, v10
	s_waitcnt vmcnt(3)
	v_fma_f32 v4, v4, v12, -v9
	v_fmac_f32_e32 v134, v5, v12
	v_add_f32_e32 v2, 0, v2
	v_add_f32_e32 v5, 0, v8
	s_waitcnt vmcnt(2)
	v_fma_f32 v3, v6, v130, -v3
	v_fmac_f32_e32 v135, v7, v130
	v_add_f32_e32 v2, v2, v4
	v_add_f32_e32 v4, v5, v134
	;; [unrolled: 1-line block ×4, first 2 shown]
	s_waitcnt vmcnt(1)
	v_sub_f32_e32 v2, v131, v2
	s_waitcnt vmcnt(0)
	v_sub_f32_e32 v3, v132, v3
	buffer_store_dword v2, off, s[0:3], 0 offset:432
	buffer_store_dword v3, off, s[0:3], 0 offset:436
	v_cmpx_lt_u32_e32 53, v0
	s_cbranch_execz .LBB121_255
; %bb.254:
	s_clause 0x1
	buffer_load_dword v2, off, s[0:3], 0 offset:424
	buffer_load_dword v3, off, s[0:3], 0 offset:428
	buffer_store_dword v1, off, s[0:3], 0 offset:424
	buffer_store_dword v1, off, s[0:3], 0 offset:428
	s_waitcnt vmcnt(0)
	ds_write_b64 v129, v[2:3]
.LBB121_255:
	s_or_b32 exec_lo, exec_lo, s4
	s_waitcnt lgkmcnt(0)
	s_waitcnt_vscnt null, 0x0
	s_barrier
	buffer_gl0_inv
	s_clause 0x9
	buffer_load_dword v10, off, s[0:3], 0 offset:436
	buffer_load_dword v11, off, s[0:3], 0 offset:444
	;; [unrolled: 1-line block ×10, first 2 shown]
	ds_read_b128 v[2:5], v1 offset:896
	ds_read_b128 v[6:9], v1 offset:912
	s_mov_b32 s4, exec_lo
	s_waitcnt vmcnt(9) lgkmcnt(1)
	v_mul_f32_e32 v1, v2, v10
	v_mul_f32_e32 v10, v3, v10
	s_waitcnt vmcnt(8)
	v_mul_f32_e32 v137, v4, v11
	v_mul_f32_e32 v11, v5, v11
	s_waitcnt vmcnt(7) lgkmcnt(0)
	v_mul_f32_e32 v138, v6, v12
	s_waitcnt vmcnt(5)
	v_fmac_f32_e32 v1, v3, v131
	v_fma_f32 v2, v2, v131, -v10
	v_mul_f32_e32 v3, v7, v12
	s_waitcnt vmcnt(4)
	v_fma_f32 v4, v4, v132, -v11
	v_fmac_f32_e32 v137, v5, v132
	v_add_f32_e32 v1, 0, v1
	v_add_f32_e32 v2, 0, v2
	v_mul_f32_e32 v5, v9, v130
	s_waitcnt vmcnt(3)
	v_fma_f32 v3, v6, v133, -v3
	v_mul_f32_e32 v139, v8, v130
	v_fmac_f32_e32 v138, v7, v133
	v_add_f32_e32 v2, v2, v4
	v_add_f32_e32 v1, v1, v137
	s_waitcnt vmcnt(2)
	v_fma_f32 v4, v8, v134, -v5
	v_fmac_f32_e32 v139, v9, v134
	v_add_f32_e32 v2, v2, v3
	v_add_f32_e32 v1, v1, v138
	v_add_f32_e32 v2, v2, v4
	v_add_f32_e32 v1, v1, v139
	s_waitcnt vmcnt(1)
	v_sub_f32_e32 v2, v135, v2
	s_waitcnt vmcnt(0)
	v_sub_f32_e32 v1, v136, v1
	buffer_store_dword v2, off, s[0:3], 0 offset:424
	buffer_store_dword v1, off, s[0:3], 0 offset:428
	v_cmpx_lt_u32_e32 52, v0
	s_cbranch_execz .LBB121_257
; %bb.256:
	s_clause 0x1
	buffer_load_dword v1, off, s[0:3], 0 offset:416
	buffer_load_dword v2, off, s[0:3], 0 offset:420
	v_mov_b32_e32 v3, 0
	buffer_store_dword v3, off, s[0:3], 0 offset:416
	buffer_store_dword v3, off, s[0:3], 0 offset:420
	s_waitcnt vmcnt(0)
	ds_write_b64 v129, v[1:2]
.LBB121_257:
	s_or_b32 exec_lo, exec_lo, s4
	s_waitcnt lgkmcnt(0)
	s_waitcnt_vscnt null, 0x0
	s_barrier
	buffer_gl0_inv
	s_clause 0xb
	buffer_load_dword v12, off, s[0:3], 0 offset:428
	buffer_load_dword v130, off, s[0:3], 0 offset:436
	buffer_load_dword v131, off, s[0:3], 0 offset:444
	buffer_load_dword v132, off, s[0:3], 0 offset:452
	buffer_load_dword v133, off, s[0:3], 0 offset:460
	buffer_load_dword v134, off, s[0:3], 0 offset:424
	buffer_load_dword v135, off, s[0:3], 0 offset:432
	buffer_load_dword v136, off, s[0:3], 0 offset:440
	buffer_load_dword v137, off, s[0:3], 0 offset:448
	buffer_load_dword v138, off, s[0:3], 0 offset:456
	buffer_load_dword v139, off, s[0:3], 0 offset:416
	buffer_load_dword v140, off, s[0:3], 0 offset:420
	v_mov_b32_e32 v1, 0
	ds_read2_b64 v[2:5], v1 offset0:111 offset1:112
	ds_read2_b64 v[6:9], v1 offset0:113 offset1:114
	ds_read_b64 v[10:11], v1 offset:920
	s_mov_b32 s4, exec_lo
	s_waitcnt vmcnt(11) lgkmcnt(2)
	v_mul_f32_e32 v141, v2, v12
	v_mul_f32_e32 v12, v3, v12
	s_waitcnt vmcnt(10)
	v_mul_f32_e32 v142, v4, v130
	v_mul_f32_e32 v130, v5, v130
	s_waitcnt vmcnt(9) lgkmcnt(1)
	v_mul_f32_e32 v143, v6, v131
	s_waitcnt vmcnt(6)
	v_fmac_f32_e32 v141, v3, v134
	v_fma_f32 v2, v2, v134, -v12
	v_mul_f32_e32 v3, v7, v131
	s_waitcnt vmcnt(5)
	v_fma_f32 v4, v4, v135, -v130
	v_fmac_f32_e32 v142, v5, v135
	v_add_f32_e32 v5, 0, v141
	v_add_f32_e32 v2, 0, v2
	v_mul_f32_e32 v12, v9, v132
	s_waitcnt vmcnt(4)
	v_fma_f32 v3, v6, v136, -v3
	v_mul_f32_e32 v144, v8, v132
	v_fmac_f32_e32 v143, v7, v136
	v_add_f32_e32 v2, v2, v4
	v_add_f32_e32 v4, v5, v142
	s_waitcnt lgkmcnt(0)
	v_mul_f32_e32 v5, v11, v133
	s_waitcnt vmcnt(3)
	v_fma_f32 v6, v8, v137, -v12
	v_mul_f32_e32 v145, v10, v133
	v_add_f32_e32 v2, v2, v3
	v_fmac_f32_e32 v144, v9, v137
	v_add_f32_e32 v3, v4, v143
	s_waitcnt vmcnt(2)
	v_fma_f32 v4, v10, v138, -v5
	v_fmac_f32_e32 v145, v11, v138
	v_add_f32_e32 v2, v2, v6
	v_add_f32_e32 v3, v3, v144
	;; [unrolled: 1-line block ×4, first 2 shown]
	s_waitcnt vmcnt(1)
	v_sub_f32_e32 v2, v139, v2
	s_waitcnt vmcnt(0)
	v_sub_f32_e32 v3, v140, v3
	buffer_store_dword v2, off, s[0:3], 0 offset:416
	buffer_store_dword v3, off, s[0:3], 0 offset:420
	v_cmpx_lt_u32_e32 51, v0
	s_cbranch_execz .LBB121_259
; %bb.258:
	s_clause 0x1
	buffer_load_dword v2, off, s[0:3], 0 offset:408
	buffer_load_dword v3, off, s[0:3], 0 offset:412
	buffer_store_dword v1, off, s[0:3], 0 offset:408
	buffer_store_dword v1, off, s[0:3], 0 offset:412
	s_waitcnt vmcnt(0)
	ds_write_b64 v129, v[2:3]
.LBB121_259:
	s_or_b32 exec_lo, exec_lo, s4
	s_waitcnt lgkmcnt(0)
	s_waitcnt_vscnt null, 0x0
	s_barrier
	buffer_gl0_inv
	s_clause 0xd
	buffer_load_dword v10, off, s[0:3], 0 offset:420
	buffer_load_dword v11, off, s[0:3], 0 offset:428
	;; [unrolled: 1-line block ×14, first 2 shown]
	ds_read_b128 v[2:5], v1 offset:880
	ds_read_b128 v[6:9], v1 offset:896
	;; [unrolled: 1-line block ×3, first 2 shown]
	s_mov_b32 s4, exec_lo
	s_waitcnt vmcnt(13) lgkmcnt(2)
	v_mul_f32_e32 v1, v2, v10
	v_mul_f32_e32 v10, v3, v10
	s_waitcnt vmcnt(12)
	v_mul_f32_e32 v145, v4, v11
	v_mul_f32_e32 v11, v5, v11
	s_waitcnt vmcnt(11) lgkmcnt(1)
	v_mul_f32_e32 v146, v6, v12
	s_waitcnt vmcnt(10)
	v_mul_f32_e32 v147, v8, v134
	s_waitcnt vmcnt(7)
	v_fma_f32 v2, v2, v137, -v10
	v_fmac_f32_e32 v1, v3, v137
	v_mul_f32_e32 v3, v7, v12
	s_waitcnt vmcnt(6)
	v_fma_f32 v4, v4, v138, -v11
	v_fmac_f32_e32 v145, v5, v138
	v_add_f32_e32 v2, 0, v2
	v_add_f32_e32 v1, 0, v1
	v_mul_f32_e32 v5, v9, v134
	s_waitcnt vmcnt(5)
	v_fma_f32 v3, v6, v139, -v3
	v_fmac_f32_e32 v146, v7, v139
	v_add_f32_e32 v2, v2, v4
	v_add_f32_e32 v1, v1, v145
	s_waitcnt lgkmcnt(0)
	v_mul_f32_e32 v4, v131, v135
	s_waitcnt vmcnt(4)
	v_fma_f32 v5, v8, v140, -v5
	v_mul_f32_e32 v148, v130, v135
	v_add_f32_e32 v2, v2, v3
	v_fmac_f32_e32 v147, v9, v140
	v_add_f32_e32 v1, v1, v146
	v_mul_f32_e32 v3, v133, v136
	s_waitcnt vmcnt(3)
	v_fma_f32 v4, v130, v141, -v4
	v_add_f32_e32 v2, v2, v5
	v_mul_f32_e32 v149, v132, v136
	v_fmac_f32_e32 v148, v131, v141
	v_add_f32_e32 v1, v1, v147
	s_waitcnt vmcnt(2)
	v_fma_f32 v3, v132, v142, -v3
	v_add_f32_e32 v2, v2, v4
	v_fmac_f32_e32 v149, v133, v142
	v_add_f32_e32 v1, v1, v148
	v_add_f32_e32 v2, v2, v3
	;; [unrolled: 1-line block ×3, first 2 shown]
	s_waitcnt vmcnt(1)
	v_sub_f32_e32 v2, v143, v2
	s_waitcnt vmcnt(0)
	v_sub_f32_e32 v1, v144, v1
	buffer_store_dword v2, off, s[0:3], 0 offset:408
	buffer_store_dword v1, off, s[0:3], 0 offset:412
	v_cmpx_lt_u32_e32 50, v0
	s_cbranch_execz .LBB121_261
; %bb.260:
	s_clause 0x1
	buffer_load_dword v1, off, s[0:3], 0 offset:400
	buffer_load_dword v2, off, s[0:3], 0 offset:404
	v_mov_b32_e32 v3, 0
	buffer_store_dword v3, off, s[0:3], 0 offset:400
	buffer_store_dword v3, off, s[0:3], 0 offset:404
	s_waitcnt vmcnt(0)
	ds_write_b64 v129, v[1:2]
.LBB121_261:
	s_or_b32 exec_lo, exec_lo, s4
	s_waitcnt lgkmcnt(0)
	s_waitcnt_vscnt null, 0x0
	s_barrier
	buffer_gl0_inv
	s_clause 0xf
	buffer_load_dword v12, off, s[0:3], 0 offset:412
	buffer_load_dword v134, off, s[0:3], 0 offset:420
	;; [unrolled: 1-line block ×16, first 2 shown]
	v_mov_b32_e32 v1, 0
	ds_read2_b64 v[2:5], v1 offset0:109 offset1:110
	ds_read2_b64 v[6:9], v1 offset0:111 offset1:112
	;; [unrolled: 1-line block ×3, first 2 shown]
	ds_read_b64 v[10:11], v1 offset:920
	s_mov_b32 s4, exec_lo
	s_waitcnt vmcnt(15) lgkmcnt(3)
	v_mul_f32_e32 v149, v2, v12
	v_mul_f32_e32 v12, v3, v12
	s_waitcnt vmcnt(14)
	v_mul_f32_e32 v150, v4, v134
	v_mul_f32_e32 v134, v5, v134
	s_waitcnt vmcnt(13) lgkmcnt(2)
	v_mul_f32_e32 v151, v6, v135
	s_waitcnt vmcnt(12)
	v_mul_f32_e32 v152, v8, v136
	s_waitcnt vmcnt(11) lgkmcnt(1)
	v_mul_f32_e32 v153, v130, v137
	s_waitcnt vmcnt(8)
	v_fma_f32 v2, v2, v140, -v12
	v_fmac_f32_e32 v149, v3, v140
	v_mul_f32_e32 v3, v7, v135
	s_waitcnt vmcnt(7)
	v_fma_f32 v4, v4, v141, -v134
	v_fmac_f32_e32 v150, v5, v141
	v_add_f32_e32 v2, 0, v2
	v_add_f32_e32 v5, 0, v149
	v_mul_f32_e32 v12, v9, v136
	s_waitcnt vmcnt(6)
	v_fma_f32 v3, v6, v142, -v3
	v_fmac_f32_e32 v151, v7, v142
	v_add_f32_e32 v2, v2, v4
	v_add_f32_e32 v4, v5, v150
	;; [unrolled: 6-line block ×3, first 2 shown]
	v_mul_f32_e32 v4, v133, v138
	s_waitcnt vmcnt(4)
	v_fma_f32 v5, v130, v144, -v5
	v_mul_f32_e32 v154, v132, v138
	v_add_f32_e32 v2, v2, v6
	v_fmac_f32_e32 v153, v131, v144
	v_add_f32_e32 v3, v3, v152
	s_waitcnt lgkmcnt(0)
	v_mul_f32_e32 v6, v11, v139
	s_waitcnt vmcnt(3)
	v_fma_f32 v4, v132, v145, -v4
	v_add_f32_e32 v2, v2, v5
	v_mul_f32_e32 v155, v10, v139
	v_fmac_f32_e32 v154, v133, v145
	v_add_f32_e32 v3, v3, v153
	s_waitcnt vmcnt(2)
	v_fma_f32 v5, v10, v146, -v6
	v_add_f32_e32 v2, v2, v4
	v_fmac_f32_e32 v155, v11, v146
	v_add_f32_e32 v3, v3, v154
	v_add_f32_e32 v2, v2, v5
	;; [unrolled: 1-line block ×3, first 2 shown]
	s_waitcnt vmcnt(1)
	v_sub_f32_e32 v2, v147, v2
	s_waitcnt vmcnt(0)
	v_sub_f32_e32 v3, v148, v3
	buffer_store_dword v2, off, s[0:3], 0 offset:400
	buffer_store_dword v3, off, s[0:3], 0 offset:404
	v_cmpx_lt_u32_e32 49, v0
	s_cbranch_execz .LBB121_263
; %bb.262:
	s_clause 0x1
	buffer_load_dword v2, off, s[0:3], 0 offset:392
	buffer_load_dword v3, off, s[0:3], 0 offset:396
	buffer_store_dword v1, off, s[0:3], 0 offset:392
	buffer_store_dword v1, off, s[0:3], 0 offset:396
	s_waitcnt vmcnt(0)
	ds_write_b64 v129, v[2:3]
.LBB121_263:
	s_or_b32 exec_lo, exec_lo, s4
	s_waitcnt lgkmcnt(0)
	s_waitcnt_vscnt null, 0x0
	s_barrier
	buffer_gl0_inv
	s_clause 0x11
	buffer_load_dword v10, off, s[0:3], 0 offset:404
	buffer_load_dword v11, off, s[0:3], 0 offset:412
	;; [unrolled: 1-line block ×18, first 2 shown]
	ds_read_b128 v[2:5], v1 offset:864
	ds_read_b128 v[6:9], v1 offset:880
	;; [unrolled: 1-line block ×4, first 2 shown]
	s_mov_b32 s4, exec_lo
	s_waitcnt vmcnt(17) lgkmcnt(3)
	v_mul_f32_e32 v1, v2, v10
	v_mul_f32_e32 v10, v3, v10
	s_waitcnt vmcnt(16)
	v_mul_f32_e32 v153, v4, v11
	v_mul_f32_e32 v11, v5, v11
	s_waitcnt vmcnt(15) lgkmcnt(2)
	v_mul_f32_e32 v154, v6, v12
	s_waitcnt vmcnt(14)
	v_mul_f32_e32 v155, v8, v138
	s_waitcnt vmcnt(13) lgkmcnt(1)
	v_mul_f32_e32 v156, v130, v139
	s_waitcnt vmcnt(12)
	v_mul_f32_e32 v157, v132, v140
	s_waitcnt vmcnt(9)
	v_fma_f32 v2, v2, v143, -v10
	v_fmac_f32_e32 v1, v3, v143
	v_mul_f32_e32 v3, v7, v12
	s_waitcnt vmcnt(8)
	v_fma_f32 v4, v4, v144, -v11
	v_fmac_f32_e32 v153, v5, v144
	v_add_f32_e32 v2, 0, v2
	v_add_f32_e32 v1, 0, v1
	v_mul_f32_e32 v5, v9, v138
	s_waitcnt vmcnt(7)
	v_fma_f32 v3, v6, v145, -v3
	v_fmac_f32_e32 v154, v7, v145
	v_add_f32_e32 v2, v2, v4
	v_add_f32_e32 v1, v1, v153
	;; [unrolled: 6-line block ×4, first 2 shown]
	s_waitcnt lgkmcnt(0)
	v_mul_f32_e32 v5, v135, v141
	s_waitcnt vmcnt(4)
	v_fma_f32 v3, v132, v148, -v3
	v_mul_f32_e32 v158, v134, v141
	v_add_f32_e32 v2, v2, v4
	v_fmac_f32_e32 v157, v133, v148
	v_add_f32_e32 v1, v1, v156
	v_mul_f32_e32 v4, v137, v142
	s_waitcnt vmcnt(3)
	v_fma_f32 v5, v134, v149, -v5
	v_add_f32_e32 v2, v2, v3
	v_mul_f32_e32 v159, v136, v142
	v_fmac_f32_e32 v158, v135, v149
	v_add_f32_e32 v1, v1, v157
	s_waitcnt vmcnt(2)
	v_fma_f32 v3, v136, v150, -v4
	v_add_f32_e32 v2, v2, v5
	v_fmac_f32_e32 v159, v137, v150
	v_add_f32_e32 v1, v1, v158
	v_add_f32_e32 v2, v2, v3
	;; [unrolled: 1-line block ×3, first 2 shown]
	s_waitcnt vmcnt(1)
	v_sub_f32_e32 v2, v151, v2
	s_waitcnt vmcnt(0)
	v_sub_f32_e32 v1, v152, v1
	buffer_store_dword v2, off, s[0:3], 0 offset:392
	buffer_store_dword v1, off, s[0:3], 0 offset:396
	v_cmpx_lt_u32_e32 48, v0
	s_cbranch_execz .LBB121_265
; %bb.264:
	s_clause 0x1
	buffer_load_dword v1, off, s[0:3], 0 offset:384
	buffer_load_dword v2, off, s[0:3], 0 offset:388
	v_mov_b32_e32 v3, 0
	buffer_store_dword v3, off, s[0:3], 0 offset:384
	buffer_store_dword v3, off, s[0:3], 0 offset:388
	s_waitcnt vmcnt(0)
	ds_write_b64 v129, v[1:2]
.LBB121_265:
	s_or_b32 exec_lo, exec_lo, s4
	s_waitcnt lgkmcnt(0)
	s_waitcnt_vscnt null, 0x0
	s_barrier
	buffer_gl0_inv
	s_clause 0x13
	buffer_load_dword v12, off, s[0:3], 0 offset:396
	buffer_load_dword v138, off, s[0:3], 0 offset:404
	;; [unrolled: 1-line block ×20, first 2 shown]
	v_mov_b32_e32 v1, 0
	ds_read2_b64 v[2:5], v1 offset0:107 offset1:108
	ds_read2_b64 v[6:9], v1 offset0:109 offset1:110
	;; [unrolled: 1-line block ×4, first 2 shown]
	ds_read_b64 v[10:11], v1 offset:920
	s_mov_b32 s4, exec_lo
	s_waitcnt vmcnt(19) lgkmcnt(4)
	v_mul_f32_e32 v157, v2, v12
	v_mul_f32_e32 v12, v3, v12
	s_waitcnt vmcnt(18)
	v_mul_f32_e32 v158, v4, v138
	v_mul_f32_e32 v138, v5, v138
	s_waitcnt vmcnt(17) lgkmcnt(3)
	v_mul_f32_e32 v159, v6, v139
	s_waitcnt vmcnt(16)
	v_mul_f32_e32 v160, v8, v140
	s_waitcnt vmcnt(15) lgkmcnt(2)
	v_mul_f32_e32 v161, v130, v141
	s_waitcnt vmcnt(14)
	;; [unrolled: 4-line block ×3, first 2 shown]
	v_fma_f32 v2, v2, v146, -v12
	v_fmac_f32_e32 v157, v3, v146
	v_mul_f32_e32 v3, v7, v139
	s_waitcnt vmcnt(9)
	v_fma_f32 v4, v4, v147, -v138
	v_fmac_f32_e32 v158, v5, v147
	v_add_f32_e32 v2, 0, v2
	v_add_f32_e32 v5, 0, v157
	v_mul_f32_e32 v12, v9, v140
	s_waitcnt vmcnt(8)
	v_fma_f32 v3, v6, v148, -v3
	v_fmac_f32_e32 v159, v7, v148
	v_add_f32_e32 v2, v2, v4
	v_add_f32_e32 v4, v5, v158
	v_mul_f32_e32 v5, v131, v141
	s_waitcnt vmcnt(7)
	v_fma_f32 v6, v8, v149, -v12
	v_fmac_f32_e32 v160, v9, v149
	v_add_f32_e32 v2, v2, v3
	v_add_f32_e32 v3, v4, v159
	v_mul_f32_e32 v4, v133, v142
	s_waitcnt vmcnt(6)
	v_fma_f32 v5, v130, v150, -v5
	v_fmac_f32_e32 v161, v131, v150
	v_add_f32_e32 v2, v2, v6
	v_add_f32_e32 v3, v3, v160
	v_mul_f32_e32 v6, v135, v143
	s_waitcnt vmcnt(5)
	v_fma_f32 v4, v132, v151, -v4
	v_fmac_f32_e32 v162, v133, v151
	v_add_f32_e32 v2, v2, v5
	v_add_f32_e32 v3, v3, v161
	v_mul_f32_e32 v5, v137, v144
	s_waitcnt vmcnt(4)
	v_fma_f32 v6, v134, v152, -v6
	v_mul_f32_e32 v164, v136, v144
	v_add_f32_e32 v2, v2, v4
	v_fmac_f32_e32 v163, v135, v152
	v_add_f32_e32 v3, v3, v162
	s_waitcnt lgkmcnt(0)
	v_mul_f32_e32 v4, v11, v145
	s_waitcnt vmcnt(3)
	v_fma_f32 v5, v136, v153, -v5
	v_add_f32_e32 v2, v2, v6
	v_mul_f32_e32 v165, v10, v145
	v_fmac_f32_e32 v164, v137, v153
	v_add_f32_e32 v3, v3, v163
	s_waitcnt vmcnt(2)
	v_fma_f32 v4, v10, v154, -v4
	v_add_f32_e32 v2, v2, v5
	v_fmac_f32_e32 v165, v11, v154
	v_add_f32_e32 v3, v3, v164
	v_add_f32_e32 v2, v2, v4
	;; [unrolled: 1-line block ×3, first 2 shown]
	s_waitcnt vmcnt(1)
	v_sub_f32_e32 v2, v155, v2
	s_waitcnt vmcnt(0)
	v_sub_f32_e32 v3, v156, v3
	buffer_store_dword v2, off, s[0:3], 0 offset:384
	buffer_store_dword v3, off, s[0:3], 0 offset:388
	v_cmpx_lt_u32_e32 47, v0
	s_cbranch_execz .LBB121_267
; %bb.266:
	s_clause 0x1
	buffer_load_dword v2, off, s[0:3], 0 offset:376
	buffer_load_dword v3, off, s[0:3], 0 offset:380
	buffer_store_dword v1, off, s[0:3], 0 offset:376
	buffer_store_dword v1, off, s[0:3], 0 offset:380
	s_waitcnt vmcnt(0)
	ds_write_b64 v129, v[2:3]
.LBB121_267:
	s_or_b32 exec_lo, exec_lo, s4
	s_waitcnt lgkmcnt(0)
	s_waitcnt_vscnt null, 0x0
	s_barrier
	buffer_gl0_inv
	s_clause 0x15
	buffer_load_dword v10, off, s[0:3], 0 offset:388
	buffer_load_dword v11, off, s[0:3], 0 offset:396
	;; [unrolled: 1-line block ×22, first 2 shown]
	ds_read_b128 v[2:5], v1 offset:848
	ds_read_b128 v[6:9], v1 offset:864
	;; [unrolled: 1-line block ×5, first 2 shown]
	s_mov_b32 s4, exec_lo
	s_waitcnt vmcnt(21) lgkmcnt(4)
	v_mul_f32_e32 v1, v2, v10
	v_mul_f32_e32 v10, v3, v10
	s_waitcnt vmcnt(20)
	v_mul_f32_e32 v161, v4, v11
	v_mul_f32_e32 v11, v5, v11
	s_waitcnt vmcnt(19) lgkmcnt(3)
	v_mul_f32_e32 v162, v6, v12
	s_waitcnt vmcnt(18)
	v_mul_f32_e32 v163, v8, v142
	s_waitcnt vmcnt(17) lgkmcnt(2)
	v_mul_f32_e32 v164, v130, v143
	s_waitcnt vmcnt(16)
	;; [unrolled: 4-line block ×3, first 2 shown]
	v_mul_f32_e32 v167, v136, v146
	s_waitcnt vmcnt(11)
	v_fma_f32 v2, v2, v149, -v10
	v_fmac_f32_e32 v1, v3, v149
	v_mul_f32_e32 v3, v7, v12
	s_waitcnt vmcnt(10)
	v_fma_f32 v4, v4, v150, -v11
	v_fmac_f32_e32 v161, v5, v150
	v_add_f32_e32 v2, 0, v2
	v_add_f32_e32 v1, 0, v1
	v_mul_f32_e32 v5, v9, v142
	s_waitcnt vmcnt(9)
	v_fma_f32 v3, v6, v151, -v3
	v_fmac_f32_e32 v162, v7, v151
	v_add_f32_e32 v2, v2, v4
	v_add_f32_e32 v1, v1, v161
	;; [unrolled: 6-line block ×6, first 2 shown]
	s_waitcnt lgkmcnt(0)
	v_mul_f32_e32 v3, v139, v147
	s_waitcnt vmcnt(4)
	v_fma_f32 v4, v136, v156, -v4
	v_mul_f32_e32 v168, v138, v147
	v_add_f32_e32 v2, v2, v5
	v_fmac_f32_e32 v167, v137, v156
	v_add_f32_e32 v1, v1, v166
	v_mul_f32_e32 v5, v141, v148
	s_waitcnt vmcnt(3)
	v_fma_f32 v3, v138, v157, -v3
	v_add_f32_e32 v2, v2, v4
	v_mul_f32_e32 v169, v140, v148
	v_fmac_f32_e32 v168, v139, v157
	v_add_f32_e32 v1, v1, v167
	s_waitcnt vmcnt(2)
	v_fma_f32 v4, v140, v158, -v5
	v_add_f32_e32 v2, v2, v3
	v_fmac_f32_e32 v169, v141, v158
	v_add_f32_e32 v1, v1, v168
	v_add_f32_e32 v2, v2, v4
	;; [unrolled: 1-line block ×3, first 2 shown]
	s_waitcnt vmcnt(1)
	v_sub_f32_e32 v2, v159, v2
	s_waitcnt vmcnt(0)
	v_sub_f32_e32 v1, v160, v1
	buffer_store_dword v2, off, s[0:3], 0 offset:376
	buffer_store_dword v1, off, s[0:3], 0 offset:380
	v_cmpx_lt_u32_e32 46, v0
	s_cbranch_execz .LBB121_269
; %bb.268:
	s_clause 0x1
	buffer_load_dword v1, off, s[0:3], 0 offset:368
	buffer_load_dword v2, off, s[0:3], 0 offset:372
	v_mov_b32_e32 v3, 0
	buffer_store_dword v3, off, s[0:3], 0 offset:368
	buffer_store_dword v3, off, s[0:3], 0 offset:372
	s_waitcnt vmcnt(0)
	ds_write_b64 v129, v[1:2]
.LBB121_269:
	s_or_b32 exec_lo, exec_lo, s4
	s_waitcnt lgkmcnt(0)
	s_waitcnt_vscnt null, 0x0
	s_barrier
	buffer_gl0_inv
	s_clause 0x17
	buffer_load_dword v12, off, s[0:3], 0 offset:380
	buffer_load_dword v142, off, s[0:3], 0 offset:388
	;; [unrolled: 1-line block ×24, first 2 shown]
	v_mov_b32_e32 v1, 0
	ds_read2_b64 v[2:5], v1 offset0:105 offset1:106
	ds_read2_b64 v[6:9], v1 offset0:107 offset1:108
	;; [unrolled: 1-line block ×5, first 2 shown]
	ds_read_b64 v[10:11], v1 offset:920
	s_mov_b32 s4, exec_lo
	s_waitcnt vmcnt(23) lgkmcnt(5)
	v_mul_f32_e32 v165, v2, v12
	v_mul_f32_e32 v12, v3, v12
	s_waitcnt vmcnt(22)
	v_mul_f32_e32 v166, v4, v142
	v_mul_f32_e32 v142, v5, v142
	s_waitcnt vmcnt(21) lgkmcnt(4)
	v_mul_f32_e32 v167, v6, v143
	s_waitcnt vmcnt(20)
	v_mul_f32_e32 v168, v8, v144
	s_waitcnt vmcnt(19) lgkmcnt(3)
	v_mul_f32_e32 v169, v130, v145
	s_waitcnt vmcnt(18)
	v_mul_f32_e32 v170, v132, v146
	s_waitcnt vmcnt(17) lgkmcnt(2)
	v_mul_f32_e32 v171, v134, v147
	s_waitcnt vmcnt(16)
	v_mul_f32_e32 v172, v136, v148
	s_waitcnt vmcnt(15) lgkmcnt(1)
	v_mul_f32_e32 v173, v138, v149
	s_waitcnt vmcnt(12)
	v_fma_f32 v2, v2, v152, -v12
	v_fmac_f32_e32 v165, v3, v152
	v_mul_f32_e32 v3, v7, v143
	s_waitcnt vmcnt(11)
	v_fma_f32 v4, v4, v153, -v142
	v_fmac_f32_e32 v166, v5, v153
	v_add_f32_e32 v2, 0, v2
	v_add_f32_e32 v5, 0, v165
	v_mul_f32_e32 v12, v9, v144
	s_waitcnt vmcnt(10)
	v_fma_f32 v3, v6, v154, -v3
	v_fmac_f32_e32 v167, v7, v154
	v_add_f32_e32 v2, v2, v4
	v_add_f32_e32 v4, v5, v166
	;; [unrolled: 6-line block ×7, first 2 shown]
	v_mul_f32_e32 v6, v141, v150
	s_waitcnt vmcnt(4)
	v_fma_f32 v4, v138, v160, -v4
	v_mul_f32_e32 v174, v140, v150
	v_add_f32_e32 v2, v2, v5
	v_fmac_f32_e32 v173, v139, v160
	v_add_f32_e32 v3, v3, v172
	s_waitcnt lgkmcnt(0)
	v_mul_f32_e32 v5, v11, v151
	s_waitcnt vmcnt(3)
	v_fma_f32 v6, v140, v161, -v6
	v_add_f32_e32 v2, v2, v4
	v_mul_f32_e32 v175, v10, v151
	v_fmac_f32_e32 v174, v141, v161
	v_add_f32_e32 v3, v3, v173
	s_waitcnt vmcnt(2)
	v_fma_f32 v4, v10, v162, -v5
	v_add_f32_e32 v2, v2, v6
	v_fmac_f32_e32 v175, v11, v162
	v_add_f32_e32 v3, v3, v174
	v_add_f32_e32 v2, v2, v4
	;; [unrolled: 1-line block ×3, first 2 shown]
	s_waitcnt vmcnt(1)
	v_sub_f32_e32 v2, v163, v2
	s_waitcnt vmcnt(0)
	v_sub_f32_e32 v3, v164, v3
	buffer_store_dword v2, off, s[0:3], 0 offset:368
	buffer_store_dword v3, off, s[0:3], 0 offset:372
	v_cmpx_lt_u32_e32 45, v0
	s_cbranch_execz .LBB121_271
; %bb.270:
	s_clause 0x1
	buffer_load_dword v2, off, s[0:3], 0 offset:360
	buffer_load_dword v3, off, s[0:3], 0 offset:364
	buffer_store_dword v1, off, s[0:3], 0 offset:360
	buffer_store_dword v1, off, s[0:3], 0 offset:364
	s_waitcnt vmcnt(0)
	ds_write_b64 v129, v[2:3]
.LBB121_271:
	s_or_b32 exec_lo, exec_lo, s4
	s_waitcnt lgkmcnt(0)
	s_waitcnt_vscnt null, 0x0
	s_barrier
	buffer_gl0_inv
	s_clause 0x19
	buffer_load_dword v10, off, s[0:3], 0 offset:372
	buffer_load_dword v11, off, s[0:3], 0 offset:380
	;; [unrolled: 1-line block ×26, first 2 shown]
	ds_read_b128 v[2:5], v1 offset:832
	ds_read_b128 v[6:9], v1 offset:848
	;; [unrolled: 1-line block ×6, first 2 shown]
	s_mov_b32 s4, exec_lo
	s_waitcnt vmcnt(25) lgkmcnt(5)
	v_mul_f32_e32 v1, v2, v10
	v_mul_f32_e32 v10, v3, v10
	s_waitcnt vmcnt(24)
	v_mul_f32_e32 v169, v4, v11
	v_mul_f32_e32 v11, v5, v11
	s_waitcnt vmcnt(23) lgkmcnt(4)
	v_mul_f32_e32 v170, v6, v12
	s_waitcnt vmcnt(22)
	v_mul_f32_e32 v171, v8, v146
	s_waitcnt vmcnt(21) lgkmcnt(3)
	v_mul_f32_e32 v172, v130, v147
	s_waitcnt vmcnt(20)
	;; [unrolled: 4-line block ×4, first 2 shown]
	v_mul_f32_e32 v177, v140, v152
	s_waitcnt vmcnt(13)
	v_fma_f32 v2, v2, v155, -v10
	v_fmac_f32_e32 v1, v3, v155
	v_mul_f32_e32 v3, v7, v12
	s_waitcnt vmcnt(12)
	v_fma_f32 v4, v4, v156, -v11
	v_fmac_f32_e32 v169, v5, v156
	v_add_f32_e32 v2, 0, v2
	v_add_f32_e32 v1, 0, v1
	v_mul_f32_e32 v5, v9, v146
	s_waitcnt vmcnt(11)
	v_fma_f32 v3, v6, v157, -v3
	v_fmac_f32_e32 v170, v7, v157
	v_add_f32_e32 v2, v2, v4
	v_add_f32_e32 v1, v1, v169
	;; [unrolled: 6-line block ×8, first 2 shown]
	s_waitcnt lgkmcnt(0)
	v_mul_f32_e32 v4, v143, v153
	s_waitcnt vmcnt(4)
	v_fma_f32 v5, v140, v164, -v5
	v_mul_f32_e32 v178, v142, v153
	v_add_f32_e32 v2, v2, v3
	v_fmac_f32_e32 v177, v141, v164
	v_add_f32_e32 v1, v1, v176
	v_mul_f32_e32 v3, v145, v154
	s_waitcnt vmcnt(3)
	v_fma_f32 v4, v142, v165, -v4
	v_add_f32_e32 v2, v2, v5
	v_mul_f32_e32 v179, v144, v154
	v_fmac_f32_e32 v178, v143, v165
	v_add_f32_e32 v1, v1, v177
	s_waitcnt vmcnt(2)
	v_fma_f32 v3, v144, v166, -v3
	v_add_f32_e32 v2, v2, v4
	v_fmac_f32_e32 v179, v145, v166
	v_add_f32_e32 v1, v1, v178
	v_add_f32_e32 v2, v2, v3
	;; [unrolled: 1-line block ×3, first 2 shown]
	s_waitcnt vmcnt(1)
	v_sub_f32_e32 v2, v167, v2
	s_waitcnt vmcnt(0)
	v_sub_f32_e32 v1, v168, v1
	buffer_store_dword v2, off, s[0:3], 0 offset:360
	buffer_store_dword v1, off, s[0:3], 0 offset:364
	v_cmpx_lt_u32_e32 44, v0
	s_cbranch_execz .LBB121_273
; %bb.272:
	s_clause 0x1
	buffer_load_dword v1, off, s[0:3], 0 offset:352
	buffer_load_dword v2, off, s[0:3], 0 offset:356
	v_mov_b32_e32 v3, 0
	buffer_store_dword v3, off, s[0:3], 0 offset:352
	buffer_store_dword v3, off, s[0:3], 0 offset:356
	s_waitcnt vmcnt(0)
	ds_write_b64 v129, v[1:2]
.LBB121_273:
	s_or_b32 exec_lo, exec_lo, s4
	s_waitcnt lgkmcnt(0)
	s_waitcnt_vscnt null, 0x0
	s_barrier
	buffer_gl0_inv
	s_clause 0x1b
	buffer_load_dword v12, off, s[0:3], 0 offset:364
	buffer_load_dword v146, off, s[0:3], 0 offset:372
	;; [unrolled: 1-line block ×28, first 2 shown]
	v_mov_b32_e32 v1, 0
	ds_read2_b64 v[2:5], v1 offset0:103 offset1:104
	ds_read2_b64 v[6:9], v1 offset0:105 offset1:106
	;; [unrolled: 1-line block ×6, first 2 shown]
	ds_read_b64 v[10:11], v1 offset:920
	s_mov_b32 s4, exec_lo
	s_waitcnt vmcnt(27) lgkmcnt(6)
	v_mul_f32_e32 v173, v2, v12
	v_mul_f32_e32 v12, v3, v12
	s_waitcnt vmcnt(26)
	v_mul_f32_e32 v174, v4, v146
	v_mul_f32_e32 v146, v5, v146
	s_waitcnt vmcnt(25) lgkmcnt(5)
	v_mul_f32_e32 v175, v6, v147
	s_waitcnt vmcnt(24)
	v_mul_f32_e32 v176, v8, v148
	s_waitcnt vmcnt(23) lgkmcnt(4)
	v_mul_f32_e32 v177, v130, v149
	s_waitcnt vmcnt(22)
	;; [unrolled: 4-line block ×5, first 2 shown]
	v_fma_f32 v2, v2, v158, -v12
	v_fmac_f32_e32 v173, v3, v158
	v_mul_f32_e32 v3, v7, v147
	s_waitcnt vmcnt(13)
	v_fma_f32 v4, v4, v159, -v146
	v_fmac_f32_e32 v174, v5, v159
	v_add_f32_e32 v2, 0, v2
	v_add_f32_e32 v5, 0, v173
	v_mul_f32_e32 v12, v9, v148
	s_waitcnt vmcnt(12)
	v_fma_f32 v3, v6, v160, -v3
	v_fmac_f32_e32 v175, v7, v160
	v_add_f32_e32 v2, v2, v4
	v_add_f32_e32 v4, v5, v174
	;; [unrolled: 6-line block ×9, first 2 shown]
	v_mul_f32_e32 v4, v145, v156
	s_waitcnt vmcnt(4)
	v_fma_f32 v5, v142, v168, -v5
	v_mul_f32_e32 v184, v144, v156
	v_add_f32_e32 v2, v2, v6
	v_fmac_f32_e32 v183, v143, v168
	v_add_f32_e32 v3, v3, v182
	s_waitcnt lgkmcnt(0)
	v_mul_f32_e32 v6, v11, v157
	s_waitcnt vmcnt(3)
	v_fma_f32 v4, v144, v169, -v4
	v_add_f32_e32 v2, v2, v5
	v_mul_f32_e32 v185, v10, v157
	v_fmac_f32_e32 v184, v145, v169
	v_add_f32_e32 v3, v3, v183
	s_waitcnt vmcnt(2)
	v_fma_f32 v5, v10, v170, -v6
	v_add_f32_e32 v2, v2, v4
	v_fmac_f32_e32 v185, v11, v170
	v_add_f32_e32 v3, v3, v184
	v_add_f32_e32 v2, v2, v5
	;; [unrolled: 1-line block ×3, first 2 shown]
	s_waitcnt vmcnt(1)
	v_sub_f32_e32 v2, v171, v2
	s_waitcnt vmcnt(0)
	v_sub_f32_e32 v3, v172, v3
	buffer_store_dword v2, off, s[0:3], 0 offset:352
	buffer_store_dword v3, off, s[0:3], 0 offset:356
	v_cmpx_lt_u32_e32 43, v0
	s_cbranch_execz .LBB121_275
; %bb.274:
	s_clause 0x1
	buffer_load_dword v2, off, s[0:3], 0 offset:344
	buffer_load_dword v3, off, s[0:3], 0 offset:348
	buffer_store_dword v1, off, s[0:3], 0 offset:344
	buffer_store_dword v1, off, s[0:3], 0 offset:348
	s_waitcnt vmcnt(0)
	ds_write_b64 v129, v[2:3]
.LBB121_275:
	s_or_b32 exec_lo, exec_lo, s4
	s_waitcnt lgkmcnt(0)
	s_waitcnt_vscnt null, 0x0
	s_barrier
	buffer_gl0_inv
	s_clause 0x1d
	buffer_load_dword v10, off, s[0:3], 0 offset:356
	buffer_load_dword v11, off, s[0:3], 0 offset:364
	;; [unrolled: 1-line block ×30, first 2 shown]
	ds_read_b128 v[2:5], v1 offset:816
	ds_read_b128 v[6:9], v1 offset:832
	;; [unrolled: 1-line block ×7, first 2 shown]
	s_mov_b32 s4, exec_lo
	s_waitcnt vmcnt(29) lgkmcnt(6)
	v_mul_f32_e32 v1, v2, v10
	v_mul_f32_e32 v10, v3, v10
	s_waitcnt vmcnt(28)
	v_mul_f32_e32 v177, v4, v11
	v_mul_f32_e32 v11, v5, v11
	s_waitcnt vmcnt(27) lgkmcnt(5)
	v_mul_f32_e32 v178, v6, v12
	s_waitcnt vmcnt(26)
	v_mul_f32_e32 v179, v8, v150
	s_waitcnt vmcnt(25) lgkmcnt(4)
	v_mul_f32_e32 v180, v130, v151
	s_waitcnt vmcnt(24)
	;; [unrolled: 4-line block ×5, first 2 shown]
	v_mul_f32_e32 v187, v144, v158
	s_waitcnt vmcnt(15)
	v_fma_f32 v2, v2, v161, -v10
	v_fmac_f32_e32 v1, v3, v161
	v_mul_f32_e32 v3, v7, v12
	s_waitcnt vmcnt(14)
	v_fma_f32 v4, v4, v162, -v11
	v_fmac_f32_e32 v177, v5, v162
	v_add_f32_e32 v2, 0, v2
	v_add_f32_e32 v1, 0, v1
	v_mul_f32_e32 v5, v9, v150
	s_waitcnt vmcnt(13)
	v_fma_f32 v3, v6, v163, -v3
	v_fmac_f32_e32 v178, v7, v163
	v_add_f32_e32 v2, v2, v4
	v_add_f32_e32 v1, v1, v177
	;; [unrolled: 6-line block ×10, first 2 shown]
	s_waitcnt lgkmcnt(0)
	v_mul_f32_e32 v5, v147, v159
	s_waitcnt vmcnt(4)
	v_fma_f32 v3, v144, v172, -v3
	v_mul_f32_e32 v188, v146, v159
	v_add_f32_e32 v2, v2, v4
	v_fmac_f32_e32 v187, v145, v172
	v_add_f32_e32 v1, v1, v186
	v_mul_f32_e32 v4, v149, v160
	s_waitcnt vmcnt(3)
	v_fma_f32 v5, v146, v173, -v5
	v_add_f32_e32 v2, v2, v3
	v_mul_f32_e32 v189, v148, v160
	v_fmac_f32_e32 v188, v147, v173
	v_add_f32_e32 v1, v1, v187
	s_waitcnt vmcnt(2)
	v_fma_f32 v3, v148, v174, -v4
	v_add_f32_e32 v2, v2, v5
	v_fmac_f32_e32 v189, v149, v174
	v_add_f32_e32 v1, v1, v188
	v_add_f32_e32 v2, v2, v3
	;; [unrolled: 1-line block ×3, first 2 shown]
	s_waitcnt vmcnt(1)
	v_sub_f32_e32 v2, v175, v2
	s_waitcnt vmcnt(0)
	v_sub_f32_e32 v1, v176, v1
	buffer_store_dword v2, off, s[0:3], 0 offset:344
	buffer_store_dword v1, off, s[0:3], 0 offset:348
	v_cmpx_lt_u32_e32 42, v0
	s_cbranch_execz .LBB121_277
; %bb.276:
	s_clause 0x1
	buffer_load_dword v1, off, s[0:3], 0 offset:336
	buffer_load_dword v2, off, s[0:3], 0 offset:340
	v_mov_b32_e32 v3, 0
	buffer_store_dword v3, off, s[0:3], 0 offset:336
	buffer_store_dword v3, off, s[0:3], 0 offset:340
	s_waitcnt vmcnt(0)
	ds_write_b64 v129, v[1:2]
.LBB121_277:
	s_or_b32 exec_lo, exec_lo, s4
	s_waitcnt lgkmcnt(0)
	s_waitcnt_vscnt null, 0x0
	s_barrier
	buffer_gl0_inv
	s_clause 0x1f
	buffer_load_dword v12, off, s[0:3], 0 offset:348
	buffer_load_dword v150, off, s[0:3], 0 offset:356
	;; [unrolled: 1-line block ×32, first 2 shown]
	v_mov_b32_e32 v1, 0
	ds_read2_b64 v[2:5], v1 offset0:101 offset1:102
	ds_read2_b64 v[6:9], v1 offset0:103 offset1:104
	;; [unrolled: 1-line block ×7, first 2 shown]
	ds_read_b64 v[10:11], v1 offset:920
	s_mov_b32 s4, exec_lo
	s_waitcnt vmcnt(31) lgkmcnt(7)
	v_mul_f32_e32 v181, v2, v12
	v_mul_f32_e32 v12, v3, v12
	s_waitcnt vmcnt(30)
	v_mul_f32_e32 v182, v4, v150
	v_mul_f32_e32 v150, v5, v150
	s_waitcnt vmcnt(29) lgkmcnt(6)
	v_mul_f32_e32 v183, v6, v151
	s_waitcnt vmcnt(28)
	v_mul_f32_e32 v184, v8, v152
	s_waitcnt vmcnt(27) lgkmcnt(5)
	v_mul_f32_e32 v185, v130, v153
	s_waitcnt vmcnt(26)
	;; [unrolled: 4-line block ×6, first 2 shown]
	v_fma_f32 v2, v2, v164, -v12
	v_fmac_f32_e32 v181, v3, v164
	v_mul_f32_e32 v3, v7, v151
	s_waitcnt vmcnt(15)
	v_fma_f32 v4, v4, v165, -v150
	v_fmac_f32_e32 v182, v5, v165
	v_add_f32_e32 v2, 0, v2
	v_add_f32_e32 v5, 0, v181
	v_mul_f32_e32 v12, v9, v152
	s_waitcnt vmcnt(14)
	v_fma_f32 v3, v6, v166, -v3
	v_fmac_f32_e32 v183, v7, v166
	v_add_f32_e32 v2, v2, v4
	v_add_f32_e32 v4, v5, v182
	;; [unrolled: 6-line block ×11, first 2 shown]
	v_mul_f32_e32 v5, v149, v162
	s_waitcnt vmcnt(4)
	v_fma_f32 v6, v146, v176, -v6
	v_mul_f32_e32 v194, v148, v162
	v_add_f32_e32 v2, v2, v4
	v_fmac_f32_e32 v193, v147, v176
	v_add_f32_e32 v3, v3, v192
	s_waitcnt lgkmcnt(0)
	v_mul_f32_e32 v4, v11, v163
	s_waitcnt vmcnt(3)
	v_fma_f32 v5, v148, v177, -v5
	v_add_f32_e32 v2, v2, v6
	v_mul_f32_e32 v195, v10, v163
	v_fmac_f32_e32 v194, v149, v177
	v_add_f32_e32 v3, v3, v193
	s_waitcnt vmcnt(2)
	v_fma_f32 v4, v10, v178, -v4
	v_add_f32_e32 v2, v2, v5
	v_fmac_f32_e32 v195, v11, v178
	v_add_f32_e32 v3, v3, v194
	v_add_f32_e32 v2, v2, v4
	;; [unrolled: 1-line block ×3, first 2 shown]
	s_waitcnt vmcnt(1)
	v_sub_f32_e32 v2, v179, v2
	s_waitcnt vmcnt(0)
	v_sub_f32_e32 v3, v180, v3
	buffer_store_dword v2, off, s[0:3], 0 offset:336
	buffer_store_dword v3, off, s[0:3], 0 offset:340
	v_cmpx_lt_u32_e32 41, v0
	s_cbranch_execz .LBB121_279
; %bb.278:
	s_clause 0x1
	buffer_load_dword v2, off, s[0:3], 0 offset:328
	buffer_load_dword v3, off, s[0:3], 0 offset:332
	buffer_store_dword v1, off, s[0:3], 0 offset:328
	buffer_store_dword v1, off, s[0:3], 0 offset:332
	s_waitcnt vmcnt(0)
	ds_write_b64 v129, v[2:3]
.LBB121_279:
	s_or_b32 exec_lo, exec_lo, s4
	s_waitcnt lgkmcnt(0)
	s_waitcnt_vscnt null, 0x0
	s_barrier
	buffer_gl0_inv
	s_clause 0x21
	buffer_load_dword v10, off, s[0:3], 0 offset:340
	buffer_load_dword v11, off, s[0:3], 0 offset:348
	;; [unrolled: 1-line block ×34, first 2 shown]
	ds_read_b128 v[2:5], v1 offset:800
	ds_read_b128 v[6:9], v1 offset:816
	;; [unrolled: 1-line block ×8, first 2 shown]
	s_mov_b32 s4, exec_lo
	s_waitcnt vmcnt(33) lgkmcnt(7)
	v_mul_f32_e32 v1, v2, v10
	v_mul_f32_e32 v10, v3, v10
	s_waitcnt vmcnt(32)
	v_mul_f32_e32 v185, v4, v11
	v_mul_f32_e32 v11, v5, v11
	s_waitcnt vmcnt(31) lgkmcnt(6)
	v_mul_f32_e32 v186, v6, v12
	s_waitcnt vmcnt(30)
	v_mul_f32_e32 v187, v8, v154
	s_waitcnt vmcnt(29) lgkmcnt(5)
	v_mul_f32_e32 v188, v130, v155
	s_waitcnt vmcnt(28)
	;; [unrolled: 4-line block ×6, first 2 shown]
	v_mul_f32_e32 v197, v148, v164
	s_waitcnt vmcnt(17)
	v_fma_f32 v2, v2, v167, -v10
	v_fmac_f32_e32 v1, v3, v167
	v_mul_f32_e32 v3, v7, v12
	s_waitcnt vmcnt(16)
	v_fma_f32 v4, v4, v168, -v11
	v_fmac_f32_e32 v185, v5, v168
	v_add_f32_e32 v2, 0, v2
	v_add_f32_e32 v1, 0, v1
	v_mul_f32_e32 v5, v9, v154
	s_waitcnt vmcnt(15)
	v_fma_f32 v3, v6, v169, -v3
	v_fmac_f32_e32 v186, v7, v169
	v_add_f32_e32 v2, v2, v4
	v_add_f32_e32 v1, v1, v185
	;; [unrolled: 6-line block ×12, first 2 shown]
	s_waitcnt lgkmcnt(0)
	v_mul_f32_e32 v3, v151, v165
	s_waitcnt vmcnt(4)
	v_fma_f32 v4, v148, v180, -v4
	v_mul_f32_e32 v198, v150, v165
	v_add_f32_e32 v2, v2, v5
	v_fmac_f32_e32 v197, v149, v180
	v_add_f32_e32 v1, v1, v196
	v_mul_f32_e32 v5, v153, v166
	s_waitcnt vmcnt(3)
	v_fma_f32 v3, v150, v181, -v3
	v_add_f32_e32 v2, v2, v4
	v_mul_f32_e32 v199, v152, v166
	v_fmac_f32_e32 v198, v151, v181
	v_add_f32_e32 v1, v1, v197
	s_waitcnt vmcnt(2)
	v_fma_f32 v4, v152, v182, -v5
	v_add_f32_e32 v2, v2, v3
	v_fmac_f32_e32 v199, v153, v182
	v_add_f32_e32 v1, v1, v198
	v_add_f32_e32 v2, v2, v4
	;; [unrolled: 1-line block ×3, first 2 shown]
	s_waitcnt vmcnt(1)
	v_sub_f32_e32 v2, v183, v2
	s_waitcnt vmcnt(0)
	v_sub_f32_e32 v1, v184, v1
	buffer_store_dword v2, off, s[0:3], 0 offset:328
	buffer_store_dword v1, off, s[0:3], 0 offset:332
	v_cmpx_lt_u32_e32 40, v0
	s_cbranch_execz .LBB121_281
; %bb.280:
	s_clause 0x1
	buffer_load_dword v1, off, s[0:3], 0 offset:320
	buffer_load_dword v2, off, s[0:3], 0 offset:324
	v_mov_b32_e32 v3, 0
	buffer_store_dword v3, off, s[0:3], 0 offset:320
	buffer_store_dword v3, off, s[0:3], 0 offset:324
	s_waitcnt vmcnt(0)
	ds_write_b64 v129, v[1:2]
.LBB121_281:
	s_or_b32 exec_lo, exec_lo, s4
	s_waitcnt lgkmcnt(0)
	s_waitcnt_vscnt null, 0x0
	s_barrier
	buffer_gl0_inv
	s_clause 0x23
	buffer_load_dword v12, off, s[0:3], 0 offset:332
	buffer_load_dword v154, off, s[0:3], 0 offset:340
	;; [unrolled: 1-line block ×36, first 2 shown]
	v_mov_b32_e32 v1, 0
	ds_read2_b64 v[2:5], v1 offset0:99 offset1:100
	ds_read2_b64 v[6:9], v1 offset0:101 offset1:102
	;; [unrolled: 1-line block ×8, first 2 shown]
	ds_read_b64 v[10:11], v1 offset:920
	s_mov_b32 s4, exec_lo
	s_waitcnt vmcnt(35) lgkmcnt(8)
	v_mul_f32_e32 v189, v2, v12
	v_mul_f32_e32 v12, v3, v12
	s_waitcnt vmcnt(34)
	v_mul_f32_e32 v190, v4, v154
	v_mul_f32_e32 v154, v5, v154
	s_waitcnt vmcnt(33) lgkmcnt(7)
	v_mul_f32_e32 v191, v6, v155
	s_waitcnt vmcnt(32)
	v_mul_f32_e32 v192, v8, v156
	s_waitcnt vmcnt(31) lgkmcnt(6)
	v_mul_f32_e32 v193, v130, v157
	s_waitcnt vmcnt(30)
	;; [unrolled: 4-line block ×7, first 2 shown]
	v_fma_f32 v2, v2, v170, -v12
	v_fmac_f32_e32 v189, v3, v170
	v_mul_f32_e32 v3, v7, v155
	s_waitcnt vmcnt(17)
	v_fma_f32 v4, v4, v171, -v154
	v_fmac_f32_e32 v190, v5, v171
	v_add_f32_e32 v2, 0, v2
	v_add_f32_e32 v5, 0, v189
	v_mul_f32_e32 v12, v9, v156
	s_waitcnt vmcnt(16)
	v_fma_f32 v3, v6, v172, -v3
	v_fmac_f32_e32 v191, v7, v172
	v_add_f32_e32 v2, v2, v4
	v_add_f32_e32 v4, v5, v190
	;; [unrolled: 6-line block ×13, first 2 shown]
	v_mul_f32_e32 v6, v153, v168
	s_waitcnt vmcnt(4)
	v_fma_f32 v4, v150, v184, -v4
	v_mul_f32_e32 v204, v152, v168
	v_add_f32_e32 v2, v2, v5
	v_fmac_f32_e32 v203, v151, v184
	v_add_f32_e32 v3, v3, v202
	s_waitcnt lgkmcnt(0)
	v_mul_f32_e32 v5, v11, v169
	s_waitcnt vmcnt(3)
	v_fma_f32 v6, v152, v185, -v6
	v_add_f32_e32 v2, v2, v4
	v_mul_f32_e32 v205, v10, v169
	v_fmac_f32_e32 v204, v153, v185
	v_add_f32_e32 v3, v3, v203
	s_waitcnt vmcnt(2)
	v_fma_f32 v4, v10, v186, -v5
	v_add_f32_e32 v2, v2, v6
	v_fmac_f32_e32 v205, v11, v186
	v_add_f32_e32 v3, v3, v204
	v_add_f32_e32 v2, v2, v4
	;; [unrolled: 1-line block ×3, first 2 shown]
	s_waitcnt vmcnt(1)
	v_sub_f32_e32 v2, v187, v2
	s_waitcnt vmcnt(0)
	v_sub_f32_e32 v3, v188, v3
	buffer_store_dword v2, off, s[0:3], 0 offset:320
	buffer_store_dword v3, off, s[0:3], 0 offset:324
	v_cmpx_lt_u32_e32 39, v0
	s_cbranch_execz .LBB121_283
; %bb.282:
	s_clause 0x1
	buffer_load_dword v2, off, s[0:3], 0 offset:312
	buffer_load_dword v3, off, s[0:3], 0 offset:316
	buffer_store_dword v1, off, s[0:3], 0 offset:312
	buffer_store_dword v1, off, s[0:3], 0 offset:316
	s_waitcnt vmcnt(0)
	ds_write_b64 v129, v[2:3]
.LBB121_283:
	s_or_b32 exec_lo, exec_lo, s4
	s_waitcnt lgkmcnt(0)
	s_waitcnt_vscnt null, 0x0
	s_barrier
	buffer_gl0_inv
	s_clause 0x25
	buffer_load_dword v10, off, s[0:3], 0 offset:324
	buffer_load_dword v11, off, s[0:3], 0 offset:332
	;; [unrolled: 1-line block ×38, first 2 shown]
	ds_read_b128 v[2:5], v1 offset:784
	ds_read_b128 v[6:9], v1 offset:800
	;; [unrolled: 1-line block ×9, first 2 shown]
	s_mov_b32 s4, exec_lo
	s_waitcnt vmcnt(37) lgkmcnt(8)
	v_mul_f32_e32 v1, v2, v10
	v_mul_f32_e32 v10, v3, v10
	s_waitcnt vmcnt(36)
	v_mul_f32_e32 v193, v4, v11
	v_mul_f32_e32 v11, v5, v11
	s_waitcnt vmcnt(35) lgkmcnt(7)
	v_mul_f32_e32 v194, v6, v12
	s_waitcnt vmcnt(34)
	v_mul_f32_e32 v195, v8, v158
	s_waitcnt vmcnt(33) lgkmcnt(6)
	v_mul_f32_e32 v196, v130, v159
	s_waitcnt vmcnt(32)
	;; [unrolled: 4-line block ×7, first 2 shown]
	v_mul_f32_e32 v207, v152, v170
	s_waitcnt vmcnt(19)
	v_fma_f32 v2, v2, v173, -v10
	v_fmac_f32_e32 v1, v3, v173
	v_mul_f32_e32 v3, v7, v12
	s_waitcnt vmcnt(18)
	v_fma_f32 v4, v4, v174, -v11
	v_fmac_f32_e32 v193, v5, v174
	v_add_f32_e32 v2, 0, v2
	v_add_f32_e32 v1, 0, v1
	v_mul_f32_e32 v5, v9, v158
	s_waitcnt vmcnt(17)
	v_fma_f32 v3, v6, v175, -v3
	v_fmac_f32_e32 v194, v7, v175
	v_add_f32_e32 v2, v2, v4
	v_add_f32_e32 v1, v1, v193
	v_mul_f32_e32 v4, v131, v159
	s_waitcnt vmcnt(16)
	v_fma_f32 v5, v8, v176, -v5
	v_fmac_f32_e32 v195, v9, v176
	v_add_f32_e32 v2, v2, v3
	v_add_f32_e32 v1, v1, v194
	v_mul_f32_e32 v3, v133, v160
	s_waitcnt vmcnt(15)
	v_fma_f32 v4, v130, v177, -v4
	v_fmac_f32_e32 v196, v131, v177
	v_add_f32_e32 v2, v2, v5
	v_add_f32_e32 v1, v1, v195
	v_mul_f32_e32 v5, v135, v161
	s_waitcnt vmcnt(14)
	v_fma_f32 v3, v132, v178, -v3
	v_fmac_f32_e32 v197, v133, v178
	v_add_f32_e32 v2, v2, v4
	v_add_f32_e32 v1, v1, v196
	v_mul_f32_e32 v4, v137, v162
	s_waitcnt vmcnt(13)
	v_fma_f32 v5, v134, v179, -v5
	v_fmac_f32_e32 v198, v135, v179
	v_add_f32_e32 v2, v2, v3
	v_add_f32_e32 v1, v1, v197
	v_mul_f32_e32 v3, v139, v163
	s_waitcnt vmcnt(12)
	v_fma_f32 v4, v136, v180, -v4
	v_fmac_f32_e32 v199, v137, v180
	v_add_f32_e32 v2, v2, v5
	v_add_f32_e32 v1, v1, v198
	v_mul_f32_e32 v5, v141, v164
	s_waitcnt vmcnt(11)
	v_fma_f32 v3, v138, v181, -v3
	v_fmac_f32_e32 v200, v139, v181
	v_add_f32_e32 v2, v2, v4
	v_add_f32_e32 v1, v1, v199
	v_mul_f32_e32 v4, v143, v165
	s_waitcnt vmcnt(10)
	v_fma_f32 v5, v140, v182, -v5
	v_fmac_f32_e32 v201, v141, v182
	v_add_f32_e32 v2, v2, v3
	v_add_f32_e32 v1, v1, v200
	v_mul_f32_e32 v3, v145, v166
	s_waitcnt vmcnt(9)
	v_fma_f32 v4, v142, v183, -v4
	v_fmac_f32_e32 v202, v143, v183
	v_add_f32_e32 v2, v2, v5
	v_add_f32_e32 v1, v1, v201
	v_mul_f32_e32 v5, v147, v167
	s_waitcnt vmcnt(8)
	v_fma_f32 v3, v144, v184, -v3
	v_fmac_f32_e32 v203, v145, v184
	v_add_f32_e32 v2, v2, v4
	v_add_f32_e32 v1, v1, v202
	v_mul_f32_e32 v4, v149, v168
	s_waitcnt vmcnt(7)
	v_fma_f32 v5, v146, v185, -v5
	v_fmac_f32_e32 v204, v147, v185
	v_add_f32_e32 v2, v2, v3
	v_add_f32_e32 v1, v1, v203
	v_mul_f32_e32 v3, v151, v169
	s_waitcnt vmcnt(6)
	v_fma_f32 v4, v148, v186, -v4
	v_fmac_f32_e32 v205, v149, v186
	v_add_f32_e32 v2, v2, v5
	v_add_f32_e32 v1, v1, v204
	v_mul_f32_e32 v5, v153, v170
	s_waitcnt vmcnt(5)
	v_fma_f32 v3, v150, v187, -v3
	v_fmac_f32_e32 v206, v151, v187
	v_add_f32_e32 v2, v2, v4
	v_add_f32_e32 v1, v1, v205
	s_waitcnt lgkmcnt(0)
	v_mul_f32_e32 v4, v155, v171
	s_waitcnt vmcnt(4)
	v_fma_f32 v5, v152, v188, -v5
	v_mul_f32_e32 v208, v154, v171
	v_add_f32_e32 v2, v2, v3
	v_fmac_f32_e32 v207, v153, v188
	v_add_f32_e32 v1, v1, v206
	v_mul_f32_e32 v3, v157, v172
	s_waitcnt vmcnt(3)
	v_fma_f32 v4, v154, v189, -v4
	v_add_f32_e32 v2, v2, v5
	v_mul_f32_e32 v209, v156, v172
	v_fmac_f32_e32 v208, v155, v189
	v_add_f32_e32 v1, v1, v207
	s_waitcnt vmcnt(2)
	v_fma_f32 v3, v156, v190, -v3
	v_add_f32_e32 v2, v2, v4
	v_fmac_f32_e32 v209, v157, v190
	v_add_f32_e32 v1, v1, v208
	v_add_f32_e32 v2, v2, v3
	;; [unrolled: 1-line block ×3, first 2 shown]
	s_waitcnt vmcnt(1)
	v_sub_f32_e32 v2, v191, v2
	s_waitcnt vmcnt(0)
	v_sub_f32_e32 v1, v192, v1
	buffer_store_dword v2, off, s[0:3], 0 offset:312
	buffer_store_dword v1, off, s[0:3], 0 offset:316
	v_cmpx_lt_u32_e32 38, v0
	s_cbranch_execz .LBB121_285
; %bb.284:
	s_clause 0x1
	buffer_load_dword v1, off, s[0:3], 0 offset:304
	buffer_load_dword v2, off, s[0:3], 0 offset:308
	v_mov_b32_e32 v3, 0
	buffer_store_dword v3, off, s[0:3], 0 offset:304
	buffer_store_dword v3, off, s[0:3], 0 offset:308
	s_waitcnt vmcnt(0)
	ds_write_b64 v129, v[1:2]
.LBB121_285:
	s_or_b32 exec_lo, exec_lo, s4
	s_waitcnt lgkmcnt(0)
	s_waitcnt_vscnt null, 0x0
	s_barrier
	buffer_gl0_inv
	s_clause 0x27
	buffer_load_dword v12, off, s[0:3], 0 offset:316
	buffer_load_dword v158, off, s[0:3], 0 offset:324
	;; [unrolled: 1-line block ×40, first 2 shown]
	v_mov_b32_e32 v1, 0
	ds_read2_b64 v[2:5], v1 offset0:97 offset1:98
	ds_read2_b64 v[6:9], v1 offset0:99 offset1:100
	;; [unrolled: 1-line block ×9, first 2 shown]
	ds_read_b64 v[10:11], v1 offset:920
	s_mov_b32 s4, exec_lo
	s_waitcnt vmcnt(39) lgkmcnt(9)
	v_mul_f32_e32 v197, v2, v12
	v_mul_f32_e32 v12, v3, v12
	s_waitcnt vmcnt(38)
	v_mul_f32_e32 v198, v4, v158
	v_mul_f32_e32 v158, v5, v158
	s_waitcnt vmcnt(37) lgkmcnt(8)
	v_mul_f32_e32 v199, v6, v159
	s_waitcnt vmcnt(36)
	v_mul_f32_e32 v200, v8, v160
	s_waitcnt vmcnt(35) lgkmcnt(7)
	v_mul_f32_e32 v201, v130, v161
	s_waitcnt vmcnt(34)
	;; [unrolled: 4-line block ×8, first 2 shown]
	v_fma_f32 v2, v2, v176, -v12
	v_fmac_f32_e32 v197, v3, v176
	v_mul_f32_e32 v3, v7, v159
	s_waitcnt vmcnt(19)
	v_fma_f32 v4, v4, v177, -v158
	v_fmac_f32_e32 v198, v5, v177
	v_add_f32_e32 v2, 0, v2
	v_add_f32_e32 v5, 0, v197
	v_mul_f32_e32 v12, v9, v160
	s_waitcnt vmcnt(18)
	v_fma_f32 v3, v6, v178, -v3
	v_fmac_f32_e32 v199, v7, v178
	v_add_f32_e32 v2, v2, v4
	v_add_f32_e32 v4, v5, v198
	;; [unrolled: 6-line block ×15, first 2 shown]
	v_mul_f32_e32 v4, v157, v174
	s_waitcnt vmcnt(4)
	v_fma_f32 v5, v154, v192, -v5
	v_mul_f32_e32 v214, v156, v174
	v_add_f32_e32 v2, v2, v6
	v_fmac_f32_e32 v213, v155, v192
	v_add_f32_e32 v3, v3, v212
	s_waitcnt lgkmcnt(0)
	v_mul_f32_e32 v6, v11, v175
	s_waitcnt vmcnt(3)
	v_fma_f32 v4, v156, v193, -v4
	v_add_f32_e32 v2, v2, v5
	v_mul_f32_e32 v215, v10, v175
	v_fmac_f32_e32 v214, v157, v193
	v_add_f32_e32 v3, v3, v213
	s_waitcnt vmcnt(2)
	v_fma_f32 v5, v10, v194, -v6
	v_add_f32_e32 v2, v2, v4
	v_fmac_f32_e32 v215, v11, v194
	v_add_f32_e32 v3, v3, v214
	v_add_f32_e32 v2, v2, v5
	;; [unrolled: 1-line block ×3, first 2 shown]
	s_waitcnt vmcnt(1)
	v_sub_f32_e32 v2, v195, v2
	s_waitcnt vmcnt(0)
	v_sub_f32_e32 v3, v196, v3
	buffer_store_dword v2, off, s[0:3], 0 offset:304
	buffer_store_dword v3, off, s[0:3], 0 offset:308
	v_cmpx_lt_u32_e32 37, v0
	s_cbranch_execz .LBB121_287
; %bb.286:
	s_clause 0x1
	buffer_load_dword v2, off, s[0:3], 0 offset:296
	buffer_load_dword v3, off, s[0:3], 0 offset:300
	buffer_store_dword v1, off, s[0:3], 0 offset:296
	buffer_store_dword v1, off, s[0:3], 0 offset:300
	s_waitcnt vmcnt(0)
	ds_write_b64 v129, v[2:3]
.LBB121_287:
	s_or_b32 exec_lo, exec_lo, s4
	s_waitcnt lgkmcnt(0)
	s_waitcnt_vscnt null, 0x0
	s_barrier
	buffer_gl0_inv
	s_clause 0x29
	buffer_load_dword v10, off, s[0:3], 0 offset:308
	buffer_load_dword v11, off, s[0:3], 0 offset:316
	;; [unrolled: 1-line block ×42, first 2 shown]
	ds_read_b128 v[2:5], v1 offset:768
	ds_read_b128 v[6:9], v1 offset:784
	;; [unrolled: 1-line block ×10, first 2 shown]
	s_mov_b32 s4, exec_lo
	s_waitcnt vmcnt(41) lgkmcnt(9)
	v_mul_f32_e32 v1, v2, v10
	v_mul_f32_e32 v10, v3, v10
	s_waitcnt vmcnt(40)
	v_mul_f32_e32 v201, v4, v11
	v_mul_f32_e32 v11, v5, v11
	s_waitcnt vmcnt(39) lgkmcnt(8)
	v_mul_f32_e32 v202, v6, v12
	s_waitcnt vmcnt(38)
	v_mul_f32_e32 v203, v8, v162
	s_waitcnt vmcnt(37) lgkmcnt(7)
	v_mul_f32_e32 v204, v130, v163
	s_waitcnt vmcnt(36)
	;; [unrolled: 4-line block ×8, first 2 shown]
	v_mul_f32_e32 v217, v156, v176
	s_waitcnt vmcnt(21)
	v_fma_f32 v2, v2, v179, -v10
	v_fmac_f32_e32 v1, v3, v179
	v_mul_f32_e32 v3, v7, v12
	s_waitcnt vmcnt(20)
	v_fma_f32 v4, v4, v180, -v11
	v_fmac_f32_e32 v201, v5, v180
	v_add_f32_e32 v2, 0, v2
	v_add_f32_e32 v1, 0, v1
	v_mul_f32_e32 v5, v9, v162
	s_waitcnt vmcnt(19)
	v_fma_f32 v3, v6, v181, -v3
	v_fmac_f32_e32 v202, v7, v181
	v_add_f32_e32 v2, v2, v4
	v_add_f32_e32 v1, v1, v201
	;; [unrolled: 6-line block ×16, first 2 shown]
	s_waitcnt lgkmcnt(0)
	v_mul_f32_e32 v5, v159, v177
	s_waitcnt vmcnt(4)
	v_fma_f32 v3, v156, v196, -v3
	v_mul_f32_e32 v218, v158, v177
	v_add_f32_e32 v2, v2, v4
	v_fmac_f32_e32 v217, v157, v196
	v_add_f32_e32 v1, v1, v216
	v_mul_f32_e32 v4, v161, v178
	s_waitcnt vmcnt(3)
	v_fma_f32 v5, v158, v197, -v5
	v_add_f32_e32 v2, v2, v3
	v_mul_f32_e32 v219, v160, v178
	v_fmac_f32_e32 v218, v159, v197
	v_add_f32_e32 v1, v1, v217
	s_waitcnt vmcnt(2)
	v_fma_f32 v3, v160, v198, -v4
	v_add_f32_e32 v2, v2, v5
	v_fmac_f32_e32 v219, v161, v198
	v_add_f32_e32 v1, v1, v218
	v_add_f32_e32 v2, v2, v3
	v_add_f32_e32 v1, v1, v219
	s_waitcnt vmcnt(1)
	v_sub_f32_e32 v2, v199, v2
	s_waitcnt vmcnt(0)
	v_sub_f32_e32 v1, v200, v1
	buffer_store_dword v2, off, s[0:3], 0 offset:296
	buffer_store_dword v1, off, s[0:3], 0 offset:300
	v_cmpx_lt_u32_e32 36, v0
	s_cbranch_execz .LBB121_289
; %bb.288:
	s_clause 0x1
	buffer_load_dword v1, off, s[0:3], 0 offset:288
	buffer_load_dword v2, off, s[0:3], 0 offset:292
	v_mov_b32_e32 v3, 0
	buffer_store_dword v3, off, s[0:3], 0 offset:288
	buffer_store_dword v3, off, s[0:3], 0 offset:292
	s_waitcnt vmcnt(0)
	ds_write_b64 v129, v[1:2]
.LBB121_289:
	s_or_b32 exec_lo, exec_lo, s4
	s_waitcnt lgkmcnt(0)
	s_waitcnt_vscnt null, 0x0
	s_barrier
	buffer_gl0_inv
	s_clause 0x2b
	buffer_load_dword v12, off, s[0:3], 0 offset:300
	buffer_load_dword v162, off, s[0:3], 0 offset:308
	;; [unrolled: 1-line block ×44, first 2 shown]
	v_mov_b32_e32 v1, 0
	ds_read2_b64 v[2:5], v1 offset0:95 offset1:96
	ds_read2_b64 v[6:9], v1 offset0:97 offset1:98
	;; [unrolled: 1-line block ×10, first 2 shown]
	ds_read_b64 v[10:11], v1 offset:920
	s_mov_b32 s4, exec_lo
	s_waitcnt vmcnt(43) lgkmcnt(10)
	v_mul_f32_e32 v205, v2, v12
	v_mul_f32_e32 v12, v3, v12
	s_waitcnt vmcnt(42)
	v_mul_f32_e32 v206, v4, v162
	v_mul_f32_e32 v162, v5, v162
	s_waitcnt vmcnt(41) lgkmcnt(9)
	v_mul_f32_e32 v207, v6, v163
	s_waitcnt vmcnt(40)
	v_mul_f32_e32 v208, v8, v164
	s_waitcnt vmcnt(39) lgkmcnt(8)
	v_mul_f32_e32 v209, v130, v165
	s_waitcnt vmcnt(38)
	;; [unrolled: 4-line block ×9, first 2 shown]
	v_fma_f32 v2, v2, v182, -v12
	v_fmac_f32_e32 v205, v3, v182
	v_mul_f32_e32 v3, v7, v163
	s_waitcnt vmcnt(21)
	v_fma_f32 v4, v4, v183, -v162
	v_fmac_f32_e32 v206, v5, v183
	v_add_f32_e32 v2, 0, v2
	v_add_f32_e32 v5, 0, v205
	v_mul_f32_e32 v12, v9, v164
	s_waitcnt vmcnt(20)
	v_fma_f32 v3, v6, v184, -v3
	v_fmac_f32_e32 v207, v7, v184
	v_add_f32_e32 v2, v2, v4
	v_add_f32_e32 v4, v5, v206
	;; [unrolled: 6-line block ×17, first 2 shown]
	v_mul_f32_e32 v5, v161, v180
	s_waitcnt vmcnt(4)
	v_fma_f32 v6, v158, v200, -v6
	v_mul_f32_e32 v224, v160, v180
	v_add_f32_e32 v2, v2, v4
	v_fmac_f32_e32 v223, v159, v200
	v_add_f32_e32 v3, v3, v222
	s_waitcnt lgkmcnt(0)
	v_mul_f32_e32 v4, v11, v181
	s_waitcnt vmcnt(3)
	v_fma_f32 v5, v160, v201, -v5
	v_add_f32_e32 v2, v2, v6
	v_mul_f32_e32 v225, v10, v181
	v_fmac_f32_e32 v224, v161, v201
	v_add_f32_e32 v3, v3, v223
	s_waitcnt vmcnt(2)
	v_fma_f32 v4, v10, v202, -v4
	v_add_f32_e32 v2, v2, v5
	v_fmac_f32_e32 v225, v11, v202
	v_add_f32_e32 v3, v3, v224
	v_add_f32_e32 v2, v2, v4
	v_add_f32_e32 v3, v3, v225
	s_waitcnt vmcnt(1)
	v_sub_f32_e32 v2, v203, v2
	s_waitcnt vmcnt(0)
	v_sub_f32_e32 v3, v204, v3
	buffer_store_dword v2, off, s[0:3], 0 offset:288
	buffer_store_dword v3, off, s[0:3], 0 offset:292
	v_cmpx_lt_u32_e32 35, v0
	s_cbranch_execz .LBB121_291
; %bb.290:
	s_clause 0x1
	buffer_load_dword v2, off, s[0:3], 0 offset:280
	buffer_load_dword v3, off, s[0:3], 0 offset:284
	buffer_store_dword v1, off, s[0:3], 0 offset:280
	buffer_store_dword v1, off, s[0:3], 0 offset:284
	s_waitcnt vmcnt(0)
	ds_write_b64 v129, v[2:3]
.LBB121_291:
	s_or_b32 exec_lo, exec_lo, s4
	s_waitcnt lgkmcnt(0)
	s_waitcnt_vscnt null, 0x0
	s_barrier
	buffer_gl0_inv
	s_clause 0x2d
	buffer_load_dword v10, off, s[0:3], 0 offset:292
	buffer_load_dword v11, off, s[0:3], 0 offset:300
	;; [unrolled: 1-line block ×46, first 2 shown]
	ds_read_b128 v[2:5], v1 offset:752
	ds_read_b128 v[6:9], v1 offset:768
	;; [unrolled: 1-line block ×11, first 2 shown]
	s_mov_b32 s4, exec_lo
	s_waitcnt vmcnt(45) lgkmcnt(10)
	v_mul_f32_e32 v1, v2, v10
	v_mul_f32_e32 v10, v3, v10
	s_waitcnt vmcnt(44)
	v_mul_f32_e32 v209, v4, v11
	v_mul_f32_e32 v11, v5, v11
	s_waitcnt vmcnt(43) lgkmcnt(9)
	v_mul_f32_e32 v210, v6, v12
	s_waitcnt vmcnt(42)
	v_mul_f32_e32 v211, v8, v166
	s_waitcnt vmcnt(41) lgkmcnt(8)
	v_mul_f32_e32 v212, v130, v167
	s_waitcnt vmcnt(40)
	;; [unrolled: 4-line block ×9, first 2 shown]
	v_mul_f32_e32 v227, v160, v182
	s_waitcnt vmcnt(23)
	v_fma_f32 v2, v2, v185, -v10
	v_fmac_f32_e32 v1, v3, v185
	v_mul_f32_e32 v3, v7, v12
	s_waitcnt vmcnt(22)
	v_fma_f32 v4, v4, v186, -v11
	v_fmac_f32_e32 v209, v5, v186
	v_add_f32_e32 v2, 0, v2
	v_add_f32_e32 v1, 0, v1
	v_mul_f32_e32 v5, v9, v166
	s_waitcnt vmcnt(21)
	v_fma_f32 v3, v6, v187, -v3
	v_fmac_f32_e32 v210, v7, v187
	v_add_f32_e32 v2, v2, v4
	v_add_f32_e32 v1, v1, v209
	;; [unrolled: 6-line block ×18, first 2 shown]
	s_waitcnt lgkmcnt(0)
	v_mul_f32_e32 v3, v163, v183
	s_waitcnt vmcnt(4)
	v_fma_f32 v4, v160, v204, -v4
	v_mul_f32_e32 v228, v162, v183
	v_add_f32_e32 v2, v2, v5
	v_fmac_f32_e32 v227, v161, v204
	v_add_f32_e32 v1, v1, v226
	v_mul_f32_e32 v5, v165, v184
	s_waitcnt vmcnt(3)
	v_fma_f32 v3, v162, v205, -v3
	v_add_f32_e32 v2, v2, v4
	v_mul_f32_e32 v229, v164, v184
	v_fmac_f32_e32 v228, v163, v205
	v_add_f32_e32 v1, v1, v227
	s_waitcnt vmcnt(2)
	v_fma_f32 v4, v164, v206, -v5
	v_add_f32_e32 v2, v2, v3
	v_fmac_f32_e32 v229, v165, v206
	v_add_f32_e32 v1, v1, v228
	v_add_f32_e32 v2, v2, v4
	;; [unrolled: 1-line block ×3, first 2 shown]
	s_waitcnt vmcnt(1)
	v_sub_f32_e32 v2, v207, v2
	s_waitcnt vmcnt(0)
	v_sub_f32_e32 v1, v208, v1
	buffer_store_dword v2, off, s[0:3], 0 offset:280
	buffer_store_dword v1, off, s[0:3], 0 offset:284
	v_cmpx_lt_u32_e32 34, v0
	s_cbranch_execz .LBB121_293
; %bb.292:
	s_clause 0x1
	buffer_load_dword v1, off, s[0:3], 0 offset:272
	buffer_load_dword v2, off, s[0:3], 0 offset:276
	v_mov_b32_e32 v3, 0
	buffer_store_dword v3, off, s[0:3], 0 offset:272
	buffer_store_dword v3, off, s[0:3], 0 offset:276
	s_waitcnt vmcnt(0)
	ds_write_b64 v129, v[1:2]
.LBB121_293:
	s_or_b32 exec_lo, exec_lo, s4
	s_waitcnt lgkmcnt(0)
	s_waitcnt_vscnt null, 0x0
	s_barrier
	buffer_gl0_inv
	s_clause 0x2f
	buffer_load_dword v12, off, s[0:3], 0 offset:284
	buffer_load_dword v166, off, s[0:3], 0 offset:292
	;; [unrolled: 1-line block ×48, first 2 shown]
	v_mov_b32_e32 v1, 0
	ds_read2_b64 v[2:5], v1 offset0:93 offset1:94
	ds_read2_b64 v[6:9], v1 offset0:95 offset1:96
	;; [unrolled: 1-line block ×11, first 2 shown]
	ds_read_b64 v[10:11], v1 offset:920
	s_mov_b32 s4, exec_lo
	s_waitcnt vmcnt(47) lgkmcnt(11)
	v_mul_f32_e32 v213, v2, v12
	v_mul_f32_e32 v12, v3, v12
	s_waitcnt vmcnt(46)
	v_mul_f32_e32 v214, v4, v166
	v_mul_f32_e32 v166, v5, v166
	s_waitcnt vmcnt(45) lgkmcnt(10)
	v_mul_f32_e32 v215, v6, v167
	s_waitcnt vmcnt(44)
	v_mul_f32_e32 v216, v8, v168
	s_waitcnt vmcnt(43) lgkmcnt(9)
	v_mul_f32_e32 v217, v130, v169
	s_waitcnt vmcnt(42)
	;; [unrolled: 4-line block ×10, first 2 shown]
	v_fma_f32 v2, v2, v188, -v12
	v_fmac_f32_e32 v213, v3, v188
	v_mul_f32_e32 v3, v7, v167
	s_waitcnt vmcnt(23)
	v_fma_f32 v4, v4, v189, -v166
	v_fmac_f32_e32 v214, v5, v189
	v_add_f32_e32 v2, 0, v2
	v_add_f32_e32 v5, 0, v213
	v_mul_f32_e32 v12, v9, v168
	s_waitcnt vmcnt(22)
	v_fma_f32 v3, v6, v190, -v3
	v_fmac_f32_e32 v215, v7, v190
	v_add_f32_e32 v2, v2, v4
	v_add_f32_e32 v4, v5, v214
	;; [unrolled: 6-line block ×19, first 2 shown]
	v_mul_f32_e32 v6, v165, v186
	s_waitcnt vmcnt(4)
	v_fma_f32 v4, v162, v208, -v4
	v_mul_f32_e32 v234, v164, v186
	v_add_f32_e32 v2, v2, v5
	v_fmac_f32_e32 v233, v163, v208
	v_add_f32_e32 v3, v3, v232
	s_waitcnt lgkmcnt(0)
	v_mul_f32_e32 v5, v11, v187
	s_waitcnt vmcnt(3)
	v_fma_f32 v6, v164, v209, -v6
	v_add_f32_e32 v2, v2, v4
	v_mul_f32_e32 v235, v10, v187
	v_fmac_f32_e32 v234, v165, v209
	v_add_f32_e32 v3, v3, v233
	s_waitcnt vmcnt(2)
	v_fma_f32 v4, v10, v210, -v5
	v_add_f32_e32 v2, v2, v6
	v_fmac_f32_e32 v235, v11, v210
	v_add_f32_e32 v3, v3, v234
	v_add_f32_e32 v2, v2, v4
	;; [unrolled: 1-line block ×3, first 2 shown]
	s_waitcnt vmcnt(1)
	v_sub_f32_e32 v2, v211, v2
	s_waitcnt vmcnt(0)
	v_sub_f32_e32 v3, v212, v3
	buffer_store_dword v2, off, s[0:3], 0 offset:272
	buffer_store_dword v3, off, s[0:3], 0 offset:276
	v_cmpx_lt_u32_e32 33, v0
	s_cbranch_execz .LBB121_295
; %bb.294:
	s_clause 0x1
	buffer_load_dword v2, off, s[0:3], 0 offset:264
	buffer_load_dword v3, off, s[0:3], 0 offset:268
	buffer_store_dword v1, off, s[0:3], 0 offset:264
	buffer_store_dword v1, off, s[0:3], 0 offset:268
	s_waitcnt vmcnt(0)
	ds_write_b64 v129, v[2:3]
.LBB121_295:
	s_or_b32 exec_lo, exec_lo, s4
	s_waitcnt lgkmcnt(0)
	s_waitcnt_vscnt null, 0x0
	s_barrier
	buffer_gl0_inv
	s_clause 0x31
	buffer_load_dword v10, off, s[0:3], 0 offset:276
	buffer_load_dword v11, off, s[0:3], 0 offset:284
	;; [unrolled: 1-line block ×50, first 2 shown]
	ds_read_b128 v[2:5], v1 offset:736
	ds_read_b128 v[6:9], v1 offset:752
	;; [unrolled: 1-line block ×12, first 2 shown]
	s_mov_b32 s4, exec_lo
	s_waitcnt vmcnt(49) lgkmcnt(11)
	v_mul_f32_e32 v1, v2, v10
	v_mul_f32_e32 v10, v3, v10
	s_waitcnt vmcnt(48)
	v_mul_f32_e32 v217, v4, v11
	v_mul_f32_e32 v11, v5, v11
	s_waitcnt vmcnt(47) lgkmcnt(10)
	v_mul_f32_e32 v218, v6, v12
	s_waitcnt vmcnt(46)
	v_mul_f32_e32 v219, v8, v170
	s_waitcnt vmcnt(45) lgkmcnt(9)
	v_mul_f32_e32 v220, v130, v171
	s_waitcnt vmcnt(44)
	;; [unrolled: 4-line block ×10, first 2 shown]
	v_mul_f32_e32 v237, v164, v188
	s_waitcnt vmcnt(25)
	v_fma_f32 v2, v2, v191, -v10
	v_fmac_f32_e32 v1, v3, v191
	v_mul_f32_e32 v3, v7, v12
	s_waitcnt vmcnt(24)
	v_fma_f32 v4, v4, v192, -v11
	v_fmac_f32_e32 v217, v5, v192
	v_add_f32_e32 v2, 0, v2
	v_add_f32_e32 v1, 0, v1
	v_mul_f32_e32 v5, v9, v170
	s_waitcnt vmcnt(23)
	v_fma_f32 v3, v6, v193, -v3
	v_fmac_f32_e32 v218, v7, v193
	v_add_f32_e32 v2, v2, v4
	v_add_f32_e32 v1, v1, v217
	;; [unrolled: 6-line block ×20, first 2 shown]
	s_waitcnt lgkmcnt(0)
	v_mul_f32_e32 v4, v167, v189
	s_waitcnt vmcnt(4)
	v_fma_f32 v5, v164, v212, -v5
	v_mul_f32_e32 v238, v166, v189
	v_add_f32_e32 v2, v2, v3
	v_fmac_f32_e32 v237, v165, v212
	v_add_f32_e32 v1, v1, v236
	v_mul_f32_e32 v3, v169, v190
	s_waitcnt vmcnt(3)
	v_fma_f32 v4, v166, v213, -v4
	v_add_f32_e32 v2, v2, v5
	v_mul_f32_e32 v239, v168, v190
	v_fmac_f32_e32 v238, v167, v213
	v_add_f32_e32 v1, v1, v237
	s_waitcnt vmcnt(2)
	v_fma_f32 v3, v168, v214, -v3
	v_add_f32_e32 v2, v2, v4
	v_fmac_f32_e32 v239, v169, v214
	v_add_f32_e32 v1, v1, v238
	v_add_f32_e32 v2, v2, v3
	;; [unrolled: 1-line block ×3, first 2 shown]
	s_waitcnt vmcnt(1)
	v_sub_f32_e32 v2, v215, v2
	s_waitcnt vmcnt(0)
	v_sub_f32_e32 v1, v216, v1
	buffer_store_dword v2, off, s[0:3], 0 offset:264
	buffer_store_dword v1, off, s[0:3], 0 offset:268
	v_cmpx_lt_u32_e32 32, v0
	s_cbranch_execz .LBB121_297
; %bb.296:
	s_clause 0x1
	buffer_load_dword v1, off, s[0:3], 0 offset:256
	buffer_load_dword v2, off, s[0:3], 0 offset:260
	v_mov_b32_e32 v3, 0
	buffer_store_dword v3, off, s[0:3], 0 offset:256
	buffer_store_dword v3, off, s[0:3], 0 offset:260
	s_waitcnt vmcnt(0)
	ds_write_b64 v129, v[1:2]
.LBB121_297:
	s_or_b32 exec_lo, exec_lo, s4
	s_waitcnt lgkmcnt(0)
	s_waitcnt_vscnt null, 0x0
	s_barrier
	buffer_gl0_inv
	s_clause 0x33
	buffer_load_dword v12, off, s[0:3], 0 offset:268
	buffer_load_dword v170, off, s[0:3], 0 offset:276
	;; [unrolled: 1-line block ×52, first 2 shown]
	v_mov_b32_e32 v1, 0
	ds_read2_b64 v[2:5], v1 offset0:91 offset1:92
	ds_read2_b64 v[6:9], v1 offset0:93 offset1:94
	;; [unrolled: 1-line block ×12, first 2 shown]
	ds_read_b64 v[10:11], v1 offset:920
	s_mov_b32 s4, exec_lo
	s_waitcnt vmcnt(51) lgkmcnt(12)
	v_mul_f32_e32 v221, v2, v12
	v_mul_f32_e32 v12, v3, v12
	s_waitcnt vmcnt(50)
	v_mul_f32_e32 v222, v4, v170
	v_mul_f32_e32 v170, v5, v170
	s_waitcnt vmcnt(49) lgkmcnt(11)
	v_mul_f32_e32 v223, v6, v171
	s_waitcnt vmcnt(48)
	v_mul_f32_e32 v224, v8, v172
	s_waitcnt vmcnt(47) lgkmcnt(10)
	v_mul_f32_e32 v225, v130, v173
	s_waitcnt vmcnt(46)
	;; [unrolled: 4-line block ×11, first 2 shown]
	v_fma_f32 v2, v2, v194, -v12
	v_fmac_f32_e32 v221, v3, v194
	v_mul_f32_e32 v3, v7, v171
	s_waitcnt vmcnt(25)
	v_fma_f32 v4, v4, v195, -v170
	v_fmac_f32_e32 v222, v5, v195
	v_add_f32_e32 v2, 0, v2
	v_add_f32_e32 v5, 0, v221
	v_mul_f32_e32 v12, v9, v172
	s_waitcnt vmcnt(24)
	v_fma_f32 v3, v6, v196, -v3
	v_fmac_f32_e32 v223, v7, v196
	v_add_f32_e32 v2, v2, v4
	v_add_f32_e32 v4, v5, v222
	;; [unrolled: 6-line block ×21, first 2 shown]
	v_mul_f32_e32 v4, v169, v192
	s_waitcnt vmcnt(4)
	v_fma_f32 v5, v166, v216, -v5
	v_mul_f32_e32 v244, v168, v192
	v_add_f32_e32 v2, v2, v6
	v_fmac_f32_e32 v243, v167, v216
	v_add_f32_e32 v3, v3, v242
	s_waitcnt lgkmcnt(0)
	v_mul_f32_e32 v6, v11, v193
	s_waitcnt vmcnt(3)
	v_fma_f32 v4, v168, v217, -v4
	v_add_f32_e32 v2, v2, v5
	v_mul_f32_e32 v245, v10, v193
	v_fmac_f32_e32 v244, v169, v217
	v_add_f32_e32 v3, v3, v243
	s_waitcnt vmcnt(2)
	v_fma_f32 v5, v10, v218, -v6
	v_add_f32_e32 v2, v2, v4
	v_fmac_f32_e32 v245, v11, v218
	v_add_f32_e32 v3, v3, v244
	v_add_f32_e32 v2, v2, v5
	;; [unrolled: 1-line block ×3, first 2 shown]
	s_waitcnt vmcnt(1)
	v_sub_f32_e32 v2, v219, v2
	s_waitcnt vmcnt(0)
	v_sub_f32_e32 v3, v220, v3
	buffer_store_dword v2, off, s[0:3], 0 offset:256
	buffer_store_dword v3, off, s[0:3], 0 offset:260
	v_cmpx_lt_u32_e32 31, v0
	s_cbranch_execz .LBB121_299
; %bb.298:
	s_clause 0x1
	buffer_load_dword v2, off, s[0:3], 0 offset:248
	buffer_load_dword v3, off, s[0:3], 0 offset:252
	buffer_store_dword v1, off, s[0:3], 0 offset:248
	buffer_store_dword v1, off, s[0:3], 0 offset:252
	s_waitcnt vmcnt(0)
	ds_write_b64 v129, v[2:3]
.LBB121_299:
	s_or_b32 exec_lo, exec_lo, s4
	s_waitcnt lgkmcnt(0)
	s_waitcnt_vscnt null, 0x0
	s_barrier
	buffer_gl0_inv
	s_clause 0x35
	buffer_load_dword v10, off, s[0:3], 0 offset:260
	buffer_load_dword v11, off, s[0:3], 0 offset:268
	;; [unrolled: 1-line block ×54, first 2 shown]
	ds_read_b128 v[2:5], v1 offset:720
	ds_read_b128 v[6:9], v1 offset:736
	;; [unrolled: 1-line block ×13, first 2 shown]
	s_mov_b32 s4, exec_lo
	s_waitcnt vmcnt(53) lgkmcnt(12)
	v_mul_f32_e32 v1, v2, v10
	v_mul_f32_e32 v10, v3, v10
	s_waitcnt vmcnt(52)
	v_mul_f32_e32 v225, v4, v11
	v_mul_f32_e32 v11, v5, v11
	s_waitcnt vmcnt(51) lgkmcnt(11)
	v_mul_f32_e32 v226, v6, v12
	s_waitcnt vmcnt(50)
	v_mul_f32_e32 v227, v8, v174
	s_waitcnt vmcnt(49) lgkmcnt(10)
	v_mul_f32_e32 v228, v130, v175
	s_waitcnt vmcnt(48)
	;; [unrolled: 4-line block ×11, first 2 shown]
	v_mul_f32_e32 v247, v168, v194
	s_waitcnt vmcnt(27)
	v_fma_f32 v2, v2, v197, -v10
	v_fmac_f32_e32 v1, v3, v197
	v_mul_f32_e32 v3, v7, v12
	s_waitcnt vmcnt(26)
	v_fma_f32 v4, v4, v198, -v11
	v_fmac_f32_e32 v225, v5, v198
	v_add_f32_e32 v2, 0, v2
	v_add_f32_e32 v1, 0, v1
	v_mul_f32_e32 v5, v9, v174
	s_waitcnt vmcnt(25)
	v_fma_f32 v3, v6, v199, -v3
	v_fmac_f32_e32 v226, v7, v199
	v_add_f32_e32 v2, v2, v4
	v_add_f32_e32 v1, v1, v225
	;; [unrolled: 6-line block ×22, first 2 shown]
	s_waitcnt lgkmcnt(0)
	v_mul_f32_e32 v5, v171, v195
	s_waitcnt vmcnt(4)
	v_fma_f32 v3, v168, v220, -v3
	v_mul_f32_e32 v248, v170, v195
	v_add_f32_e32 v2, v2, v4
	v_fmac_f32_e32 v247, v169, v220
	v_add_f32_e32 v1, v1, v246
	v_mul_f32_e32 v4, v173, v196
	s_waitcnt vmcnt(3)
	v_fma_f32 v5, v170, v221, -v5
	v_add_f32_e32 v2, v2, v3
	v_mul_f32_e32 v249, v172, v196
	v_fmac_f32_e32 v248, v171, v221
	v_add_f32_e32 v1, v1, v247
	s_waitcnt vmcnt(2)
	v_fma_f32 v3, v172, v222, -v4
	v_add_f32_e32 v2, v2, v5
	v_fmac_f32_e32 v249, v173, v222
	v_add_f32_e32 v1, v1, v248
	v_add_f32_e32 v2, v2, v3
	;; [unrolled: 1-line block ×3, first 2 shown]
	s_waitcnt vmcnt(1)
	v_sub_f32_e32 v2, v223, v2
	s_waitcnt vmcnt(0)
	v_sub_f32_e32 v1, v224, v1
	buffer_store_dword v2, off, s[0:3], 0 offset:248
	buffer_store_dword v1, off, s[0:3], 0 offset:252
	v_cmpx_lt_u32_e32 30, v0
	s_cbranch_execz .LBB121_301
; %bb.300:
	s_clause 0x1
	buffer_load_dword v1, off, s[0:3], 0 offset:240
	buffer_load_dword v2, off, s[0:3], 0 offset:244
	v_mov_b32_e32 v3, 0
	buffer_store_dword v3, off, s[0:3], 0 offset:240
	buffer_store_dword v3, off, s[0:3], 0 offset:244
	s_waitcnt vmcnt(0)
	ds_write_b64 v129, v[1:2]
.LBB121_301:
	s_or_b32 exec_lo, exec_lo, s4
	s_waitcnt lgkmcnt(0)
	s_waitcnt_vscnt null, 0x0
	s_barrier
	buffer_gl0_inv
	s_clause 0x37
	buffer_load_dword v143, off, s[0:3], 0 offset:252
	buffer_load_dword v147, off, s[0:3], 0 offset:260
	;; [unrolled: 1-line block ×56, first 2 shown]
	v_mov_b32_e32 v1, 0
	ds_read2_b64 v[131:134], v1 offset0:89 offset1:90
	ds_read2_b64 v[135:138], v1 offset0:91 offset1:92
	;; [unrolled: 1-line block ×3, first 2 shown]
	s_mov_b32 s4, exec_lo
	s_waitcnt vmcnt(55) lgkmcnt(2)
	v_mul_f32_e32 v190, v131, v143
	v_mul_f32_e32 v191, v132, v143
	ds_read2_b64 v[143:146], v1 offset0:95 offset1:96
	s_waitcnt vmcnt(54)
	v_mul_f32_e32 v192, v133, v147
	v_mul_f32_e32 v147, v134, v147
	s_waitcnt vmcnt(51)
	v_fmac_f32_e32 v190, v132, v150
	v_fma_f32 v150, v131, v150, -v191
	s_waitcnt vmcnt(50) lgkmcnt(2)
	v_mul_f32_e32 v191, v135, v151
	v_fmac_f32_e32 v192, v134, v149
	v_fma_f32 v147, v133, v149, -v147
	s_waitcnt vmcnt(49)
	v_mul_f32_e32 v193, v137, v152
	v_mul_f32_e32 v149, v136, v151
	;; [unrolled: 1-line block ×3, first 2 shown]
	ds_read2_b64 v[131:134], v1 offset0:97 offset1:98
	v_fmac_f32_e32 v191, v136, v148
	s_waitcnt vmcnt(45)
	v_fmac_f32_e32 v193, v138, v156
	v_fma_f32 v148, v135, v148, -v149
	v_fma_f32 v151, v137, v156, -v151
	s_waitcnt vmcnt(44) lgkmcnt(2)
	v_mul_f32_e32 v156, v139, v157
	v_mul_f32_e32 v149, v140, v157
	ds_read2_b64 v[135:138], v1 offset0:99 offset1:100
	s_waitcnt vmcnt(43)
	v_mul_f32_e32 v157, v141, v158
	v_mul_f32_e32 v152, v142, v158
	v_add_f32_e32 v158, 0, v190
	v_fmac_f32_e32 v156, v140, v155
	v_fma_f32 v155, v139, v155, -v149
	v_add_f32_e32 v139, 0, v150
	s_waitcnt vmcnt(42) lgkmcnt(2)
	v_mul_f32_e32 v190, v143, v159
	v_add_f32_e32 v140, v158, v192
	v_mul_f32_e32 v149, v144, v159
	s_waitcnt vmcnt(41)
	v_mul_f32_e32 v192, v145, v160
	v_add_f32_e32 v139, v139, v147
	v_mul_f32_e32 v158, v146, v160
	s_waitcnt vmcnt(40) lgkmcnt(1)
	v_mul_f32_e32 v194, v131, v161
	v_fma_f32 v159, v141, v154, -v152
	v_fmac_f32_e32 v190, v144, v153
	v_fma_f32 v160, v143, v153, -v149
	v_add_f32_e32 v143, v140, v191
	v_add_f32_e32 v144, v139, v148
	v_mul_f32_e32 v152, v132, v161
	s_waitcnt vmcnt(37)
	v_fmac_f32_e32 v194, v132, v164
	s_waitcnt vmcnt(36)
	v_fmac_f32_e32 v192, v146, v165
	v_add_f32_e32 v132, v143, v193
	v_fma_f32 v161, v145, v165, -v158
	v_fma_f32 v164, v131, v164, -v152
	v_add_f32_e32 v131, v144, v151
	s_waitcnt vmcnt(35)
	v_mul_f32_e32 v165, v133, v166
	v_add_f32_e32 v132, v132, v156
	v_mul_f32_e32 v156, v134, v166
	s_waitcnt vmcnt(34) lgkmcnt(0)
	v_mul_f32_e32 v166, v135, v167
	v_add_f32_e32 v131, v131, v155
	v_mul_f32_e32 v155, v136, v167
	v_fmac_f32_e32 v157, v142, v154
	s_waitcnt vmcnt(33)
	v_mul_f32_e32 v191, v137, v168
	v_mul_f32_e32 v167, v138, v168
	v_fmac_f32_e32 v166, v136, v162
	v_fma_f32 v162, v135, v162, -v155
	v_add_f32_e32 v135, v131, v159
	v_add_f32_e32 v132, v132, v157
	s_waitcnt vmcnt(29)
	v_fmac_f32_e32 v191, v138, v172
	v_fma_f32 v167, v137, v172, -v167
	ds_read2_b64 v[139:142], v1 offset0:101 offset1:102
	ds_read2_b64 v[147:150], v1 offset0:103 offset1:104
	v_add_f32_e32 v172, v135, v160
	v_add_f32_e32 v168, v132, v190
	v_fmac_f32_e32 v165, v134, v163
	v_fma_f32 v163, v133, v163, -v156
	ds_read2_b64 v[143:146], v1 offset0:105 offset1:106
	ds_read2_b64 v[151:154], v1 offset0:107 offset1:108
	v_add_f32_e32 v161, v172, v161
	v_add_f32_e32 v168, v168, v192
	ds_read2_b64 v[131:134], v1 offset0:109 offset1:110
	ds_read2_b64 v[155:158], v1 offset0:111 offset1:112
	;; [unrolled: 1-line block ×3, first 2 shown]
	ds_read_b64 v[159:160], v1 offset:920
	v_add_f32_e32 v161, v161, v164
	v_add_f32_e32 v168, v168, v194
	v_add_f32_e32 v161, v161, v163
	v_add_f32_e32 v165, v168, v165
	s_waitcnt vmcnt(28) lgkmcnt(7)
	v_mul_f32_e32 v190, v139, v173
	v_mul_f32_e32 v173, v140, v173
	v_add_f32_e32 v161, v161, v162
	v_add_f32_e32 v162, v165, v166
	s_waitcnt vmcnt(27)
	v_mul_f32_e32 v172, v141, v174
	v_mul_f32_e32 v174, v142, v174
	v_fma_f32 v139, v139, v171, -v173
	v_add_f32_e32 v161, v161, v167
	v_fmac_f32_e32 v190, v140, v171
	v_add_f32_e32 v162, v162, v191
	s_waitcnt vmcnt(26) lgkmcnt(6)
	v_mul_f32_e32 v171, v148, v175
	v_fma_f32 v141, v141, v170, -v174
	v_add_f32_e32 v139, v161, v139
	v_mul_f32_e32 v192, v147, v175
	v_fmac_f32_e32 v172, v142, v170
	v_add_f32_e32 v161, v162, v190
	s_waitcnt vmcnt(25)
	v_mul_f32_e32 v167, v150, v176
	v_fma_f32 v147, v147, v169, -v171
	v_add_f32_e32 v139, v139, v141
	v_mul_f32_e32 v164, v149, v176
	v_fmac_f32_e32 v192, v148, v169
	v_add_f32_e32 v141, v161, v172
	s_waitcnt vmcnt(24) lgkmcnt(5)
	v_mul_f32_e32 v148, v144, v177
	s_waitcnt vmcnt(10)
	v_fma_f32 v149, v149, v183, -v167
	v_add_f32_e32 v139, v139, v147
	v_mul_f32_e32 v140, v143, v177
	v_fmac_f32_e32 v164, v150, v183
	v_add_f32_e32 v141, v141, v192
	v_mul_f32_e32 v147, v146, v178
	v_fma_f32 v143, v143, v182, -v148
	v_add_f32_e32 v139, v139, v149
	v_mul_f32_e32 v168, v145, v178
	v_fmac_f32_e32 v140, v144, v182
	v_add_f32_e32 v141, v141, v164
	s_waitcnt lgkmcnt(4)
	v_mul_f32_e32 v144, v152, v179
	v_fma_f32 v145, v145, v181, -v147
	v_add_f32_e32 v139, v139, v143
	v_mul_f32_e32 v163, v151, v179
	v_fmac_f32_e32 v168, v146, v181
	v_add_f32_e32 v140, v141, v140
	v_mul_f32_e32 v142, v153, v130
	v_mul_f32_e32 v130, v154, v130
	v_fma_f32 v141, v151, v180, -v144
	v_add_f32_e32 v139, v139, v145
	v_fmac_f32_e32 v163, v152, v180
	v_add_f32_e32 v140, v140, v168
	s_waitcnt lgkmcnt(3)
	v_mul_f32_e32 v170, v131, v11
	v_mul_f32_e32 v11, v132, v11
	s_waitcnt vmcnt(6)
	v_fma_f32 v130, v153, v187, -v130
	v_add_f32_e32 v139, v139, v141
	v_fmac_f32_e32 v142, v154, v187
	v_add_f32_e32 v140, v140, v163
	v_mul_f32_e32 v165, v133, v10
	v_mul_f32_e32 v10, v134, v10
	v_fma_f32 v11, v131, v186, -v11
	v_add_f32_e32 v130, v139, v130
	v_fmac_f32_e32 v170, v132, v186
	v_add_f32_e32 v131, v140, v142
	s_waitcnt lgkmcnt(2)
	v_mul_f32_e32 v166, v155, v9
	v_mul_f32_e32 v9, v156, v9
	v_fma_f32 v10, v133, v185, -v10
	v_add_f32_e32 v11, v130, v11
	v_fmac_f32_e32 v165, v134, v185
	v_add_f32_e32 v130, v131, v170
	v_mul_f32_e32 v173, v157, v7
	v_mul_f32_e32 v7, v158, v7
	v_fma_f32 v9, v155, v184, -v9
	v_add_f32_e32 v10, v11, v10
	v_fmac_f32_e32 v166, v156, v184
	v_add_f32_e32 v11, v130, v165
	s_waitcnt lgkmcnt(1)
	v_mul_f32_e32 v174, v135, v6
	v_mul_f32_e32 v6, v136, v6
	s_waitcnt vmcnt(2)
	v_fma_f32 v7, v157, v189, -v7
	v_add_f32_e32 v9, v10, v9
	v_fmac_f32_e32 v173, v158, v189
	v_add_f32_e32 v10, v11, v166
	v_mul_f32_e32 v175, v137, v2
	v_mul_f32_e32 v2, v138, v2
	v_fma_f32 v6, v135, v188, -v6
	v_add_f32_e32 v7, v9, v7
	v_fmac_f32_e32 v174, v136, v188
	v_add_f32_e32 v9, v10, v173
	s_waitcnt lgkmcnt(0)
	v_mul_f32_e32 v162, v159, v3
	v_mul_f32_e32 v3, v160, v3
	v_fma_f32 v2, v137, v12, -v2
	v_add_f32_e32 v6, v7, v6
	v_fmac_f32_e32 v175, v138, v12
	v_add_f32_e32 v7, v9, v174
	v_fma_f32 v3, v159, v8, -v3
	v_fmac_f32_e32 v162, v160, v8
	v_add_f32_e32 v2, v6, v2
	v_add_f32_e32 v6, v7, v175
	;; [unrolled: 1-line block ×4, first 2 shown]
	s_waitcnt vmcnt(1)
	v_sub_f32_e32 v2, v4, v2
	s_waitcnt vmcnt(0)
	v_sub_f32_e32 v3, v5, v3
	buffer_store_dword v2, off, s[0:3], 0 offset:240
	buffer_store_dword v3, off, s[0:3], 0 offset:244
	v_cmpx_lt_u32_e32 29, v0
	s_cbranch_execz .LBB121_303
; %bb.302:
	s_clause 0x1
	buffer_load_dword v2, off, s[0:3], 0 offset:232
	buffer_load_dword v3, off, s[0:3], 0 offset:236
	buffer_store_dword v1, off, s[0:3], 0 offset:232
	buffer_store_dword v1, off, s[0:3], 0 offset:236
	s_waitcnt vmcnt(0)
	ds_write_b64 v129, v[2:3]
.LBB121_303:
	s_or_b32 exec_lo, exec_lo, s4
	s_waitcnt lgkmcnt(0)
	s_waitcnt_vscnt null, 0x0
	s_barrier
	buffer_gl0_inv
	s_clause 0x39
	buffer_load_dword v149, off, s[0:3], 0 offset:244
	buffer_load_dword v150, off, s[0:3], 0 offset:252
	buffer_load_dword v151, off, s[0:3], 0 offset:256
	buffer_load_dword v152, off, s[0:3], 0 offset:248
	buffer_load_dword v153, off, s[0:3], 0 offset:240
	buffer_load_dword v154, off, s[0:3], 0 offset:260
	buffer_load_dword v155, off, s[0:3], 0 offset:268
	buffer_load_dword v156, off, s[0:3], 0 offset:276
	buffer_load_dword v157, off, s[0:3], 0 offset:284
	buffer_load_dword v158, off, s[0:3], 0 offset:288
	buffer_load_dword v159, off, s[0:3], 0 offset:280
	buffer_load_dword v160, off, s[0:3], 0 offset:272
	buffer_load_dword v161, off, s[0:3], 0 offset:264
	buffer_load_dword v162, off, s[0:3], 0 offset:292
	buffer_load_dword v163, off, s[0:3], 0 offset:300
	buffer_load_dword v164, off, s[0:3], 0 offset:320
	buffer_load_dword v165, off, s[0:3], 0 offset:312
	buffer_load_dword v166, off, s[0:3], 0 offset:304
	buffer_load_dword v167, off, s[0:3], 0 offset:296
	buffer_load_dword v168, off, s[0:3], 0 offset:308
	buffer_load_dword v169, off, s[0:3], 0 offset:316
	buffer_load_dword v170, off, s[0:3], 0 offset:324
	buffer_load_dword v171, off, s[0:3], 0 offset:332
	buffer_load_dword v12, off, s[0:3], 0 offset:352
	buffer_load_dword v172, off, s[0:3], 0 offset:344
	buffer_load_dword v173, off, s[0:3], 0 offset:336
	buffer_load_dword v174, off, s[0:3], 0 offset:328
	buffer_load_dword v175, off, s[0:3], 0 offset:340
	buffer_load_dword v176, off, s[0:3], 0 offset:348
	buffer_load_dword v177, off, s[0:3], 0 offset:356
	buffer_load_dword v178, off, s[0:3], 0 offset:364
	buffer_load_dword v135, off, s[0:3], 0 offset:372
	buffer_load_dword v134, off, s[0:3], 0 offset:380
	buffer_load_dword v133, off, s[0:3], 0 offset:388
	buffer_load_dword v132, off, s[0:3], 0 offset:396
	buffer_load_dword v130, off, s[0:3], 0 offset:404
	buffer_load_dword v11, off, s[0:3], 0 offset:412
	buffer_load_dword v10, off, s[0:3], 0 offset:420
	buffer_load_dword v8, off, s[0:3], 0 offset:428
	buffer_load_dword v7, off, s[0:3], 0 offset:436
	buffer_load_dword v6, off, s[0:3], 0 offset:444
	buffer_load_dword v5, off, s[0:3], 0 offset:452
	buffer_load_dword v2, off, s[0:3], 0 offset:460
	buffer_load_dword v179, off, s[0:3], 0 offset:384
	buffer_load_dword v180, off, s[0:3], 0 offset:376
	buffer_load_dword v181, off, s[0:3], 0 offset:368
	buffer_load_dword v182, off, s[0:3], 0 offset:360
	buffer_load_dword v183, off, s[0:3], 0 offset:416
	buffer_load_dword v184, off, s[0:3], 0 offset:408
	buffer_load_dword v185, off, s[0:3], 0 offset:400
	buffer_load_dword v186, off, s[0:3], 0 offset:392
	buffer_load_dword v131, off, s[0:3], 0 offset:448
	buffer_load_dword v136, off, s[0:3], 0 offset:440
	buffer_load_dword v187, off, s[0:3], 0 offset:432
	buffer_load_dword v188, off, s[0:3], 0 offset:424
	buffer_load_dword v9, off, s[0:3], 0 offset:456
	buffer_load_dword v3, off, s[0:3], 0 offset:232
	buffer_load_dword v4, off, s[0:3], 0 offset:236
	ds_read_b128 v[137:140], v1 offset:704
	ds_read_b128 v[141:144], v1 offset:720
	;; [unrolled: 1-line block ×3, first 2 shown]
	s_mov_b32 s4, exec_lo
	s_waitcnt vmcnt(57) lgkmcnt(2)
	v_mul_f32_e32 v189, v137, v149
	v_mul_f32_e32 v149, v138, v149
	s_waitcnt vmcnt(56)
	v_mul_f32_e32 v190, v139, v150
	v_mul_f32_e32 v150, v140, v150
	s_waitcnt vmcnt(53)
	v_fmac_f32_e32 v189, v138, v153
	v_fma_f32 v149, v137, v153, -v149
	v_fmac_f32_e32 v190, v140, v152
	v_fma_f32 v153, v139, v152, -v150
	ds_read_b128 v[137:140], v1 offset:752
	s_waitcnt vmcnt(52) lgkmcnt(2)
	v_mul_f32_e32 v191, v141, v154
	v_mul_f32_e32 v150, v142, v154
	s_waitcnt vmcnt(51)
	v_mul_f32_e32 v154, v143, v155
	v_mul_f32_e32 v152, v144, v155
	s_waitcnt vmcnt(50) lgkmcnt(1)
	v_mul_f32_e32 v192, v145, v156
	v_mul_f32_e32 v155, v146, v156
	s_waitcnt vmcnt(49)
	v_mul_f32_e32 v193, v147, v157
	v_mul_f32_e32 v156, v148, v157
	v_fmac_f32_e32 v191, v142, v151
	v_fma_f32 v157, v141, v151, -v150
	s_waitcnt vmcnt(45)
	v_fmac_f32_e32 v154, v144, v161
	v_fma_f32 v161, v143, v161, -v152
	ds_read_b128 v[141:144], v1 offset:768
	v_fmac_f32_e32 v192, v146, v160
	v_fma_f32 v160, v145, v160, -v155
	v_fmac_f32_e32 v193, v148, v159
	v_fma_f32 v194, v147, v159, -v156
	ds_read_b128 v[145:148], v1 offset:784
	v_add_f32_e32 v155, 0, v149
	s_waitcnt vmcnt(44) lgkmcnt(2)
	v_mul_f32_e32 v195, v137, v162
	v_mul_f32_e32 v150, v138, v162
	s_waitcnt vmcnt(43)
	v_mul_f32_e32 v162, v139, v163
	v_mul_f32_e32 v151, v140, v163
	v_add_f32_e32 v156, 0, v189
	v_add_f32_e32 v153, v155, v153
	v_fmac_f32_e32 v195, v138, v158
	v_fma_f32 v163, v137, v158, -v150
	s_waitcnt vmcnt(39)
	v_fmac_f32_e32 v162, v140, v167
	v_fma_f32 v167, v139, v167, -v151
	ds_read_b128 v[137:140], v1 offset:800
	ds_read_b128 v[149:152], v1 offset:816
	v_add_f32_e32 v156, v156, v190
	v_add_f32_e32 v153, v153, v157
	s_waitcnt vmcnt(38) lgkmcnt(3)
	v_mul_f32_e32 v189, v141, v168
	v_mul_f32_e32 v155, v142, v168
	s_waitcnt vmcnt(37)
	v_mul_f32_e32 v168, v143, v169
	v_mul_f32_e32 v158, v144, v169
	v_add_f32_e32 v156, v156, v191
	s_waitcnt vmcnt(36) lgkmcnt(2)
	v_mul_f32_e32 v169, v145, v170
	v_mul_f32_e32 v157, v146, v170
	v_fmac_f32_e32 v168, v144, v165
	v_fma_f32 v165, v143, v165, -v158
	v_add_f32_e32 v158, v153, v161
	v_add_f32_e32 v159, v156, v154
	s_waitcnt vmcnt(35)
	v_mul_f32_e32 v161, v148, v171
	v_mul_f32_e32 v190, v147, v171
	v_fmac_f32_e32 v169, v146, v164
	v_fma_f32 v170, v145, v164, -v157
	v_add_f32_e32 v164, v158, v160
	s_waitcnt vmcnt(31)
	v_fma_f32 v171, v147, v174, -v161
	v_add_f32_e32 v161, v159, v192
	v_fmac_f32_e32 v190, v148, v174
	s_waitcnt vmcnt(30) lgkmcnt(1)
	v_mul_f32_e32 v174, v137, v175
	v_add_f32_e32 v164, v164, v194
	v_mul_f32_e32 v175, v138, v175
	v_add_f32_e32 v161, v161, v193
	v_fmac_f32_e32 v189, v142, v166
	v_fmac_f32_e32 v174, v138, v173
	v_add_f32_e32 v138, v164, v163
	v_fma_f32 v166, v141, v166, -v155
	v_add_f32_e32 v161, v161, v195
	v_fma_f32 v173, v137, v173, -v175
	ds_read_b128 v[141:144], v1 offset:832
	ds_read_b128 v[153:156], v1 offset:848
	v_add_f32_e32 v167, v138, v167
	s_waitcnt vmcnt(29)
	v_mul_f32_e32 v191, v139, v176
	v_add_f32_e32 v175, v161, v162
	v_mul_f32_e32 v176, v140, v176
	ds_read_b128 v[145:148], v1 offset:864
	ds_read_b128 v[157:160], v1 offset:880
	v_add_f32_e32 v166, v167, v166
	v_fmac_f32_e32 v191, v140, v172
	v_add_f32_e32 v175, v175, v189
	v_fma_f32 v172, v139, v172, -v176
	ds_read_b128 v[137:140], v1 offset:896
	ds_read_b128 v[161:164], v1 offset:912
	v_add_f32_e32 v165, v166, v165
	s_waitcnt vmcnt(28) lgkmcnt(6)
	v_mul_f32_e32 v1, v149, v177
	v_add_f32_e32 v168, v175, v168
	v_mul_f32_e32 v167, v150, v177
	s_waitcnt vmcnt(27)
	v_mul_f32_e32 v177, v152, v178
	v_add_f32_e32 v165, v165, v170
	v_fmac_f32_e32 v1, v150, v12
	v_add_f32_e32 v168, v168, v169
	v_fma_f32 v12, v149, v12, -v167
	v_mul_f32_e32 v176, v151, v178
	v_add_f32_e32 v165, v165, v171
	s_waitcnt vmcnt(26) lgkmcnt(5)
	v_mul_f32_e32 v166, v141, v135
	v_add_f32_e32 v168, v168, v190
	v_mul_f32_e32 v135, v142, v135
	s_waitcnt vmcnt(11)
	v_fma_f32 v151, v151, v182, -v177
	v_add_f32_e32 v165, v165, v173
	v_fmac_f32_e32 v176, v152, v182
	v_add_f32_e32 v168, v168, v174
	v_mul_f32_e32 v175, v143, v134
	v_mul_f32_e32 v134, v144, v134
	v_add_f32_e32 v150, v165, v172
	v_fma_f32 v135, v141, v181, -v135
	v_add_f32_e32 v165, v168, v191
	v_fmac_f32_e32 v166, v142, v181
	s_waitcnt lgkmcnt(4)
	v_mul_f32_e32 v178, v153, v133
	v_add_f32_e32 v12, v150, v12
	v_mul_f32_e32 v133, v154, v133
	v_add_f32_e32 v1, v165, v1
	v_fma_f32 v134, v143, v180, -v134
	v_fmac_f32_e32 v175, v144, v180
	v_add_f32_e32 v12, v12, v151
	v_mul_f32_e32 v170, v155, v132
	v_add_f32_e32 v1, v1, v176
	v_mul_f32_e32 v132, v156, v132
	v_fma_f32 v133, v153, v179, -v133
	v_add_f32_e32 v12, v12, v135
	v_fmac_f32_e32 v178, v154, v179
	v_add_f32_e32 v1, v1, v166
	s_waitcnt lgkmcnt(3)
	v_mul_f32_e32 v169, v145, v130
	v_mul_f32_e32 v130, v146, v130
	v_add_f32_e32 v12, v12, v134
	s_waitcnt vmcnt(7)
	v_fma_f32 v132, v155, v186, -v132
	v_add_f32_e32 v1, v1, v175
	v_fmac_f32_e32 v170, v156, v186
	v_mul_f32_e32 v189, v147, v11
	v_add_f32_e32 v12, v12, v133
	v_mul_f32_e32 v11, v148, v11
	v_add_f32_e32 v1, v1, v178
	v_fma_f32 v130, v145, v185, -v130
	v_fmac_f32_e32 v169, v146, v185
	v_add_f32_e32 v12, v12, v132
	s_waitcnt lgkmcnt(2)
	v_mul_f32_e32 v171, v157, v10
	v_add_f32_e32 v1, v1, v170
	v_mul_f32_e32 v10, v158, v10
	v_fma_f32 v11, v147, v184, -v11
	v_add_f32_e32 v12, v12, v130
	v_fmac_f32_e32 v189, v148, v184
	v_add_f32_e32 v1, v1, v169
	v_mul_f32_e32 v190, v159, v8
	v_mul_f32_e32 v8, v160, v8
	v_fma_f32 v10, v157, v183, -v10
	v_add_f32_e32 v11, v12, v11
	v_fmac_f32_e32 v171, v158, v183
	v_add_f32_e32 v1, v1, v189
	s_waitcnt lgkmcnt(1)
	v_mul_f32_e32 v192, v137, v7
	v_mul_f32_e32 v7, v138, v7
	s_waitcnt vmcnt(3)
	v_fma_f32 v8, v159, v188, -v8
	v_add_f32_e32 v10, v11, v10
	v_fmac_f32_e32 v190, v160, v188
	v_add_f32_e32 v1, v1, v171
	v_mul_f32_e32 v173, v139, v6
	v_mul_f32_e32 v6, v140, v6
	v_fma_f32 v7, v137, v187, -v7
	v_add_f32_e32 v8, v10, v8
	v_fmac_f32_e32 v192, v138, v187
	v_add_f32_e32 v1, v1, v190
	s_waitcnt lgkmcnt(0)
	v_mul_f32_e32 v174, v161, v5
	v_mul_f32_e32 v5, v162, v5
	v_fma_f32 v6, v139, v136, -v6
	v_add_f32_e32 v7, v8, v7
	v_fmac_f32_e32 v173, v140, v136
	v_add_f32_e32 v1, v1, v192
	v_mul_f32_e32 v149, v163, v2
	v_mul_f32_e32 v2, v164, v2
	v_fma_f32 v5, v161, v131, -v5
	v_add_f32_e32 v6, v7, v6
	v_fmac_f32_e32 v174, v162, v131
	v_add_f32_e32 v1, v1, v173
	s_waitcnt vmcnt(2)
	v_fma_f32 v2, v163, v9, -v2
	v_fmac_f32_e32 v149, v164, v9
	v_add_f32_e32 v5, v6, v5
	v_add_f32_e32 v1, v1, v174
	;; [unrolled: 1-line block ×4, first 2 shown]
	s_waitcnt vmcnt(1)
	v_sub_f32_e32 v2, v3, v2
	s_waitcnt vmcnt(0)
	v_sub_f32_e32 v1, v4, v1
	buffer_store_dword v2, off, s[0:3], 0 offset:232
	buffer_store_dword v1, off, s[0:3], 0 offset:236
	v_cmpx_lt_u32_e32 28, v0
	s_cbranch_execz .LBB121_305
; %bb.304:
	s_clause 0x1
	buffer_load_dword v1, off, s[0:3], 0 offset:224
	buffer_load_dword v2, off, s[0:3], 0 offset:228
	v_mov_b32_e32 v3, 0
	buffer_store_dword v3, off, s[0:3], 0 offset:224
	buffer_store_dword v3, off, s[0:3], 0 offset:228
	s_waitcnt vmcnt(0)
	ds_write_b64 v129, v[1:2]
.LBB121_305:
	s_or_b32 exec_lo, exec_lo, s4
	s_waitcnt lgkmcnt(0)
	s_waitcnt_vscnt null, 0x0
	s_barrier
	buffer_gl0_inv
	s_clause 0x3b
	buffer_load_dword v161, off, s[0:3], 0 offset:236
	buffer_load_dword v162, off, s[0:3], 0 offset:244
	;; [unrolled: 1-line block ×60, first 2 shown]
	v_mov_b32_e32 v1, 0
	ds_read2_b64 v[149:152], v1 offset0:87 offset1:88
	ds_read2_b64 v[153:156], v1 offset0:89 offset1:90
	;; [unrolled: 1-line block ×3, first 2 shown]
	s_mov_b32 s4, exec_lo
	s_waitcnt vmcnt(59) lgkmcnt(2)
	v_mul_f32_e32 v191, v149, v161
	s_waitcnt vmcnt(58)
	v_mul_f32_e32 v192, v151, v162
	v_mul_f32_e32 v161, v150, v161
	v_mul_f32_e32 v162, v152, v162
	s_waitcnt vmcnt(55)
	v_fmac_f32_e32 v191, v150, v164
	v_fmac_f32_e32 v192, v152, v163
	v_fma_f32 v161, v149, v164, -v161
	v_fma_f32 v162, v151, v163, -v162
	ds_read2_b64 v[149:152], v1 offset0:93 offset1:94
	s_waitcnt vmcnt(54) lgkmcnt(2)
	v_mul_f32_e32 v193, v153, v145
	v_mul_f32_e32 v145, v154, v145
	s_waitcnt vmcnt(53)
	v_mul_f32_e32 v194, v155, v144
	v_mul_f32_e32 v144, v156, v144
	s_waitcnt vmcnt(47) lgkmcnt(1)
	v_mul_f32_e32 v163, v160, v168
	v_fmac_f32_e32 v193, v154, v140
	v_fma_f32 v140, v153, v140, -v145
	v_fmac_f32_e32 v194, v156, v167
	v_fma_f32 v144, v155, v167, -v144
	ds_read2_b64 v[153:156], v1 offset0:95 offset1:96
	v_mul_f32_e32 v195, v159, v168
	v_mul_f32_e32 v145, v157, v142
	;; [unrolled: 1-line block ×3, first 2 shown]
	v_fma_f32 v196, v159, v165, -v163
	v_fmac_f32_e32 v195, v160, v165
	v_add_f32_e32 v165, 0, v191
	v_fmac_f32_e32 v145, v158, v166
	v_fma_f32 v142, v157, v166, -v142
	s_waitcnt vmcnt(46) lgkmcnt(1)
	v_mul_f32_e32 v197, v149, v169
	v_mul_f32_e32 v163, v150, v169
	ds_read2_b64 v[157:160], v1 offset0:97 offset1:98
	v_add_f32_e32 v165, v165, v192
	s_waitcnt vmcnt(45)
	v_mul_f32_e32 v198, v151, v170
	v_fmac_f32_e32 v197, v150, v147
	v_add_f32_e32 v150, 0, v161
	v_mul_f32_e32 v164, v152, v170
	v_add_f32_e32 v165, v165, v193
	s_waitcnt vmcnt(41)
	v_fmac_f32_e32 v198, v152, v173
	v_fma_f32 v147, v149, v147, -v163
	v_add_f32_e32 v166, v150, v162
	v_fma_f32 v173, v151, v173, -v164
	v_add_f32_e32 v165, v165, v194
	ds_read2_b64 v[149:152], v1 offset0:99 offset1:100
	ds_read2_b64 v[161:164], v1 offset0:101 offset1:102
	s_waitcnt vmcnt(40) lgkmcnt(3)
	v_mul_f32_e32 v191, v153, v174
	v_add_f32_e32 v140, v166, v140
	v_mul_f32_e32 v166, v154, v174
	v_add_f32_e32 v145, v165, v145
	s_waitcnt vmcnt(39)
	v_mul_f32_e32 v167, v156, v175
	v_mul_f32_e32 v192, v155, v175
	v_add_f32_e32 v140, v140, v144
	s_waitcnt vmcnt(37) lgkmcnt(2)
	v_mul_f32_e32 v144, v159, v141
	v_mul_f32_e32 v141, v160, v141
	v_fma_f32 v174, v153, v172, -v166
	v_fmac_f32_e32 v191, v154, v172
	v_add_f32_e32 v140, v140, v142
	v_add_f32_e32 v142, v145, v195
	s_waitcnt vmcnt(33)
	v_fma_f32 v145, v159, v179, -v141
	v_mul_f32_e32 v193, v157, v176
	v_mul_f32_e32 v169, v158, v176
	v_add_f32_e32 v140, v140, v196
	v_add_f32_e32 v141, v142, v197
	v_fma_f32 v194, v155, v171, -v167
	s_waitcnt vmcnt(32) lgkmcnt(1)
	v_mul_f32_e32 v142, v149, v180
	v_mul_f32_e32 v175, v150, v180
	v_add_f32_e32 v140, v140, v147
	v_add_f32_e32 v141, v141, v198
	v_fmac_f32_e32 v192, v156, v171
	v_fmac_f32_e32 v144, v160, v179
	v_fmac_f32_e32 v193, v158, v137
	v_add_f32_e32 v140, v140, v173
	v_add_f32_e32 v179, v141, v191
	v_fma_f32 v137, v157, v137, -v169
	ds_read2_b64 v[153:156], v1 offset0:103 offset1:104
	ds_read2_b64 v[165:168], v1 offset0:105 offset1:106
	s_waitcnt vmcnt(31)
	v_mul_f32_e32 v147, v151, v181
	v_add_f32_e32 v180, v140, v174
	v_add_f32_e32 v179, v179, v192
	v_mul_f32_e32 v176, v152, v181
	v_fmac_f32_e32 v142, v150, v178
	v_fma_f32 v178, v149, v178, -v175
	v_add_f32_e32 v180, v180, v194
	v_add_f32_e32 v179, v179, v193
	v_fmac_f32_e32 v147, v152, v177
	v_fma_f32 v177, v151, v177, -v176
	s_waitcnt vmcnt(30) lgkmcnt(2)
	v_mul_f32_e32 v181, v161, v135
	v_add_f32_e32 v137, v180, v137
	v_add_f32_e32 v144, v179, v144
	v_mul_f32_e32 v135, v162, v135
	s_waitcnt vmcnt(29)
	v_mul_f32_e32 v191, v163, v136
	v_mul_f32_e32 v136, v164, v136
	v_add_f32_e32 v137, v137, v145
	v_add_f32_e32 v142, v144, v142
	v_fmac_f32_e32 v181, v162, v131
	v_fma_f32 v131, v161, v131, -v135
	s_waitcnt vmcnt(28) lgkmcnt(1)
	v_mul_f32_e32 v192, v153, v132
	v_add_f32_e32 v137, v137, v178
	v_add_f32_e32 v142, v142, v147
	v_mul_f32_e32 v132, v154, v132
	s_waitcnt vmcnt(20)
	v_fma_f32 v136, v163, v185, -v136
	ds_read2_b64 v[157:160], v1 offset0:107 offset1:108
	ds_read2_b64 v[169:172], v1 offset0:109 offset1:110
	v_add_f32_e32 v137, v137, v177
	v_fmac_f32_e32 v191, v164, v185
	v_mul_f32_e32 v180, v155, v10
	v_mul_f32_e32 v10, v156, v10
	v_fma_f32 v132, v153, v184, -v132
	v_add_f32_e32 v131, v137, v131
	v_add_f32_e32 v137, v142, v181
	v_fmac_f32_e32 v192, v154, v184
	s_waitcnt lgkmcnt(2)
	v_mul_f32_e32 v135, v165, v8
	v_mul_f32_e32 v8, v166, v8
	v_add_f32_e32 v131, v131, v136
	v_add_f32_e32 v136, v137, v191
	v_fma_f32 v10, v155, v183, -v10
	v_fmac_f32_e32 v180, v156, v183
	v_mul_f32_e32 v161, v167, v6
	v_add_f32_e32 v131, v131, v132
	v_add_f32_e32 v132, v136, v192
	v_mul_f32_e32 v6, v168, v6
	v_fma_f32 v8, v165, v182, -v8
	v_fmac_f32_e32 v135, v166, v182
	v_add_f32_e32 v10, v131, v10
	v_add_f32_e32 v131, v132, v180
	s_waitcnt lgkmcnt(1)
	v_mul_f32_e32 v145, v157, v5
	v_mul_f32_e32 v5, v158, v5
	s_waitcnt vmcnt(8)
	v_fma_f32 v6, v167, v190, -v6
	v_add_f32_e32 v8, v10, v8
	v_fmac_f32_e32 v161, v168, v190
	v_add_f32_e32 v10, v131, v135
	ds_read2_b64 v[149:152], v1 offset0:111 offset1:112
	ds_read2_b64 v[173:176], v1 offset0:113 offset1:114
	ds_read_b64 v[140:141], v1 offset:920
	v_mul_f32_e32 v131, v160, v186
	v_fma_f32 v5, v157, v189, -v5
	v_add_f32_e32 v6, v8, v6
	v_mul_f32_e32 v162, v159, v186
	v_fmac_f32_e32 v145, v158, v189
	v_add_f32_e32 v8, v10, v161
	s_waitcnt lgkmcnt(3)
	v_mul_f32_e32 v10, v170, v187
	v_fma_f32 v131, v159, v188, -v131
	v_add_f32_e32 v5, v6, v5
	v_mul_f32_e32 v163, v169, v187
	v_fmac_f32_e32 v162, v160, v188
	v_add_f32_e32 v6, v8, v145
	v_mul_f32_e32 v8, v172, v143
	v_fma_f32 v10, v169, v148, -v10
	v_add_f32_e32 v5, v5, v131
	v_mul_f32_e32 v144, v171, v143
	v_fmac_f32_e32 v163, v170, v148
	v_add_f32_e32 v6, v6, v162
	s_waitcnt lgkmcnt(2)
	v_mul_f32_e32 v131, v150, v138
	s_waitcnt vmcnt(4)
	v_fma_f32 v8, v171, v146, -v8
	v_add_f32_e32 v5, v5, v10
	v_mul_f32_e32 v164, v149, v138
	v_fmac_f32_e32 v144, v172, v146
	v_add_f32_e32 v6, v6, v163
	v_mul_f32_e32 v10, v152, v134
	v_fma_f32 v131, v149, v139, -v131
	v_add_f32_e32 v5, v5, v8
	v_mul_f32_e32 v178, v151, v134
	v_fmac_f32_e32 v164, v150, v139
	v_add_f32_e32 v6, v6, v144
	s_waitcnt lgkmcnt(1)
	v_mul_f32_e32 v8, v174, v130
	v_fma_f32 v10, v151, v133, -v10
	v_add_f32_e32 v5, v5, v131
	v_mul_f32_e32 v147, v173, v130
	v_fmac_f32_e32 v178, v152, v133
	v_add_f32_e32 v6, v6, v164
	v_mul_f32_e32 v177, v175, v9
	v_mul_f32_e32 v9, v176, v9
	v_fma_f32 v8, v173, v12, -v8
	v_add_f32_e32 v5, v5, v10
	v_fmac_f32_e32 v147, v174, v12
	v_add_f32_e32 v6, v6, v178
	s_waitcnt lgkmcnt(0)
	v_mul_f32_e32 v142, v140, v4
	v_mul_f32_e32 v4, v141, v4
	s_waitcnt vmcnt(2)
	v_fma_f32 v9, v175, v11, -v9
	v_add_f32_e32 v5, v5, v8
	v_fmac_f32_e32 v177, v176, v11
	v_add_f32_e32 v6, v6, v147
	v_fma_f32 v4, v140, v7, -v4
	v_fmac_f32_e32 v142, v141, v7
	v_add_f32_e32 v5, v5, v9
	v_add_f32_e32 v6, v6, v177
	;; [unrolled: 1-line block ×4, first 2 shown]
	s_waitcnt vmcnt(1)
	v_sub_f32_e32 v2, v2, v4
	s_waitcnt vmcnt(0)
	v_sub_f32_e32 v3, v3, v5
	buffer_store_dword v2, off, s[0:3], 0 offset:224
	buffer_store_dword v3, off, s[0:3], 0 offset:228
	v_cmpx_lt_u32_e32 27, v0
	s_cbranch_execz .LBB121_307
; %bb.306:
	s_clause 0x1
	buffer_load_dword v2, off, s[0:3], 0 offset:216
	buffer_load_dword v3, off, s[0:3], 0 offset:220
	buffer_store_dword v1, off, s[0:3], 0 offset:216
	buffer_store_dword v1, off, s[0:3], 0 offset:220
	s_waitcnt vmcnt(0)
	ds_write_b64 v129, v[2:3]
.LBB121_307:
	s_or_b32 exec_lo, exec_lo, s4
	s_waitcnt lgkmcnt(0)
	s_waitcnt_vscnt null, 0x0
	s_barrier
	buffer_gl0_inv
	s_clause 0x3d
	buffer_load_dword v159, off, s[0:3], 0 offset:228
	buffer_load_dword v160, off, s[0:3], 0 offset:236
	;; [unrolled: 1-line block ×62, first 2 shown]
	ds_read_b128 v[151:154], v1 offset:688
	ds_read_b128 v[155:158], v1 offset:704
	s_mov_b32 s4, exec_lo
	s_waitcnt vmcnt(61) lgkmcnt(1)
	v_mul_f32_e32 v170, v151, v159
	s_waitcnt vmcnt(60)
	v_mul_f32_e32 v190, v153, v160
	v_mul_f32_e32 v159, v152, v159
	;; [unrolled: 1-line block ×3, first 2 shown]
	s_waitcnt vmcnt(57)
	v_fmac_f32_e32 v170, v152, v162
	v_fmac_f32_e32 v190, v154, v161
	v_fma_f32 v159, v151, v162, -v159
	v_fma_f32 v191, v153, v161, -v160
	ds_read_b128 v[151:154], v1 offset:720
	s_waitcnt vmcnt(56) lgkmcnt(1)
	v_mul_f32_e32 v192, v155, v163
	v_mul_f32_e32 v160, v156, v163
	s_waitcnt vmcnt(55)
	v_mul_f32_e32 v193, v157, v164
	v_mul_f32_e32 v161, v158, v164
	v_fmac_f32_e32 v192, v156, v148
	v_fma_f32 v148, v155, v148, -v160
	s_waitcnt vmcnt(51)
	v_fmac_f32_e32 v193, v158, v165
	v_fma_f32 v194, v157, v165, -v161
	ds_read_b128 v[155:158], v1 offset:736
	s_waitcnt vmcnt(49) lgkmcnt(1)
	v_mul_f32_e32 v196, v153, v143
	v_mul_f32_e32 v143, v154, v143
	;; [unrolled: 1-line block ×4, first 2 shown]
	v_fmac_f32_e32 v196, v154, v138
	v_fma_f32 v138, v153, v138, -v143
	v_fmac_f32_e32 v195, v152, v139
	v_fma_f32 v139, v151, v139, -v144
	ds_read_b128 v[151:154], v1 offset:752
	s_waitcnt vmcnt(48) lgkmcnt(1)
	v_mul_f32_e32 v197, v155, v11
	v_mul_f32_e32 v11, v156, v11
	s_waitcnt vmcnt(47)
	v_mul_f32_e32 v198, v157, v166
	v_mul_f32_e32 v143, v158, v166
	v_add_f32_e32 v144, 0, v170
	v_fmac_f32_e32 v197, v156, v7
	v_fma_f32 v7, v155, v7, -v11
	s_waitcnt vmcnt(43)
	v_fmac_f32_e32 v198, v158, v167
	v_fma_f32 v11, v157, v167, -v143
	ds_read_b128 v[155:158], v1 offset:768
	v_add_f32_e32 v143, 0, v159
	v_add_f32_e32 v144, v144, v190
	ds_read_b128 v[159:162], v1 offset:784
	ds_read_b128 v[163:166], v1 offset:800
	v_add_f32_e32 v143, v143, v191
	v_add_f32_e32 v144, v144, v192
	s_waitcnt vmcnt(42) lgkmcnt(3)
	v_mul_f32_e32 v191, v151, v150
	v_add_f32_e32 v143, v143, v148
	v_add_f32_e32 v144, v144, v193
	v_mul_f32_e32 v150, v152, v150
	s_waitcnt vmcnt(41)
	v_mul_f32_e32 v190, v153, v142
	v_mul_f32_e32 v142, v154, v142
	v_add_f32_e32 v143, v143, v194
	v_fmac_f32_e32 v191, v152, v145
	v_fma_f32 v148, v151, v145, -v150
	v_fmac_f32_e32 v190, v154, v9
	s_waitcnt vmcnt(40) lgkmcnt(2)
	v_mul_f32_e32 v192, v155, v140
	v_mul_f32_e32 v140, v156, v140
	v_add_f32_e32 v139, v143, v139
	v_add_f32_e32 v143, v144, v195
	s_waitcnt vmcnt(39)
	v_mul_f32_e32 v193, v157, v146
	v_fmac_f32_e32 v192, v156, v8
	v_fma_f32 v140, v155, v8, -v140
	v_add_f32_e32 v8, v139, v138
	v_add_f32_e32 v138, v143, v196
	v_mul_f32_e32 v146, v158, v146
	s_waitcnt vmcnt(38) lgkmcnt(1)
	v_mul_f32_e32 v194, v159, v134
	v_mul_f32_e32 v134, v160, v134
	v_add_f32_e32 v7, v8, v7
	v_add_f32_e32 v8, v138, v197
	v_fma_f32 v9, v153, v9, -v142
	s_waitcnt vmcnt(32) lgkmcnt(0)
	v_mul_f32_e32 v138, v163, v132
	v_mul_f32_e32 v132, v164, v132
	v_add_f32_e32 v7, v7, v11
	v_add_f32_e32 v8, v8, v198
	v_mul_f32_e32 v11, v161, v135
	v_fmac_f32_e32 v193, v158, v169
	v_fma_f32 v139, v157, v169, -v146
	v_add_f32_e32 v7, v7, v148
	v_fma_f32 v146, v159, v168, -v134
	s_waitcnt vmcnt(31)
	v_mul_f32_e32 v158, v166, v133
	v_add_f32_e32 v159, v8, v191
	v_mul_f32_e32 v134, v162, v135
	v_fmac_f32_e32 v11, v162, v12
	v_fma_f32 v162, v163, v10, -v132
	v_add_f32_e32 v163, v7, v9
	v_mul_f32_e32 v148, v165, v133
	v_fmac_f32_e32 v138, v164, v10
	s_waitcnt vmcnt(27)
	v_fma_f32 v164, v165, v174, -v158
	v_add_f32_e32 v165, v159, v190
	v_add_f32_e32 v140, v163, v140
	ds_read_b128 v[142:145], v1 offset:816
	ds_read_b128 v[150:153], v1 offset:832
	v_fmac_f32_e32 v194, v160, v168
	v_fma_f32 v12, v161, v12, -v134
	v_add_f32_e32 v165, v165, v192
	v_add_f32_e32 v139, v140, v139
	ds_read_b128 v[154:157], v1 offset:848
	ds_read_b128 v[167:170], v1 offset:864
	;; [unrolled: 1-line block ×4, first 2 shown]
	v_fmac_f32_e32 v148, v166, v174
	v_add_f32_e32 v165, v165, v193
	v_add_f32_e32 v139, v139, v146
	ds_read_b128 v[158:161], v1 offset:912
	v_add_f32_e32 v165, v165, v194
	v_add_f32_e32 v12, v139, v12
	;; [unrolled: 1-line block ×3, first 2 shown]
	s_waitcnt vmcnt(26) lgkmcnt(6)
	v_mul_f32_e32 v163, v143, v175
	v_add_f32_e32 v12, v12, v162
	v_mul_f32_e32 v1, v142, v175
	s_waitcnt vmcnt(25)
	v_mul_f32_e32 v174, v145, v176
	v_add_f32_e32 v11, v11, v138
	v_fma_f32 v142, v142, v173, -v163
	v_add_f32_e32 v12, v12, v164
	v_mul_f32_e32 v166, v144, v176
	v_fmac_f32_e32 v1, v143, v173
	v_add_f32_e32 v11, v11, v148
	s_waitcnt vmcnt(24) lgkmcnt(5)
	v_mul_f32_e32 v148, v151, v177
	v_fma_f32 v144, v144, v172, -v174
	v_add_f32_e32 v12, v12, v142
	v_mul_f32_e32 v140, v150, v177
	v_fmac_f32_e32 v166, v145, v172
	v_add_f32_e32 v1, v11, v1
	s_waitcnt vmcnt(23)
	v_mul_f32_e32 v11, v153, v178
	v_fma_f32 v142, v150, v171, -v148
	v_add_f32_e32 v12, v12, v144
	v_mul_f32_e32 v175, v152, v178
	v_fmac_f32_e32 v140, v151, v171
	v_add_f32_e32 v1, v1, v166
	s_waitcnt vmcnt(22) lgkmcnt(4)
	v_mul_f32_e32 v144, v155, v179
	s_waitcnt vmcnt(9)
	v_fma_f32 v11, v152, v184, -v11
	v_add_f32_e32 v12, v12, v142
	v_mul_f32_e32 v176, v154, v179
	v_fmac_f32_e32 v175, v153, v184
	v_add_f32_e32 v1, v1, v140
	v_mul_f32_e32 v140, v157, v180
	v_fma_f32 v142, v154, v183, -v144
	v_add_f32_e32 v11, v12, v11
	v_mul_f32_e32 v146, v156, v180
	v_fmac_f32_e32 v176, v155, v183
	v_add_f32_e32 v1, v1, v175
	s_waitcnt lgkmcnt(3)
	v_mul_f32_e32 v12, v168, v181
	v_fma_f32 v140, v156, v182, -v140
	v_add_f32_e32 v11, v11, v142
	v_mul_f32_e32 v190, v167, v181
	v_fmac_f32_e32 v146, v157, v182
	v_add_f32_e32 v1, v1, v176
	v_mul_f32_e32 v191, v169, v141
	v_mul_f32_e32 v141, v170, v141
	v_fma_f32 v12, v167, v149, -v12
	v_add_f32_e32 v11, v11, v140
	v_fmac_f32_e32 v190, v168, v149
	v_add_f32_e32 v1, v1, v146
	s_waitcnt lgkmcnt(2)
	v_mul_f32_e32 v139, v7, v136
	v_mul_f32_e32 v136, v8, v136
	s_waitcnt vmcnt(5)
	v_fma_f32 v140, v169, v147, -v141
	v_add_f32_e32 v11, v11, v12
	v_fmac_f32_e32 v191, v170, v147
	v_add_f32_e32 v1, v1, v190
	v_mul_f32_e32 v12, v10, v130
	v_fmac_f32_e32 v139, v8, v137
	v_fma_f32 v7, v7, v137, -v136
	v_add_f32_e32 v8, v11, v140
	v_mul_f32_e32 v165, v9, v130
	v_add_f32_e32 v1, v1, v191
	s_waitcnt lgkmcnt(1)
	v_mul_f32_e32 v192, v132, v6
	v_mul_f32_e32 v6, v133, v6
	v_fma_f32 v9, v9, v131, -v12
	v_add_f32_e32 v7, v8, v7
	v_fmac_f32_e32 v165, v10, v131
	v_add_f32_e32 v1, v1, v139
	v_mul_f32_e32 v162, v134, v4
	v_mul_f32_e32 v4, v135, v4
	v_fmac_f32_e32 v192, v133, v5
	v_fma_f32 v5, v132, v5, -v6
	v_add_f32_e32 v6, v7, v9
	v_add_f32_e32 v1, v1, v165
	s_waitcnt lgkmcnt(0)
	v_mul_f32_e32 v138, v158, v3
	v_mul_f32_e32 v3, v159, v3
	s_waitcnt vmcnt(2)
	v_fma_f32 v4, v134, v187, -v4
	v_add_f32_e32 v5, v6, v5
	v_fmac_f32_e32 v162, v135, v187
	v_add_f32_e32 v1, v1, v192
	v_mul_f32_e32 v143, v160, v2
	v_mul_f32_e32 v2, v161, v2
	v_fma_f32 v3, v158, v186, -v3
	v_add_f32_e32 v4, v5, v4
	v_fmac_f32_e32 v138, v159, v186
	v_add_f32_e32 v1, v1, v162
	v_fma_f32 v2, v160, v185, -v2
	v_fmac_f32_e32 v143, v161, v185
	v_add_f32_e32 v3, v4, v3
	v_add_f32_e32 v1, v1, v138
	;; [unrolled: 1-line block ×4, first 2 shown]
	s_waitcnt vmcnt(1)
	v_sub_f32_e32 v2, v188, v2
	s_waitcnt vmcnt(0)
	v_sub_f32_e32 v1, v189, v1
	buffer_store_dword v2, off, s[0:3], 0 offset:216
	buffer_store_dword v1, off, s[0:3], 0 offset:220
	v_cmpx_lt_u32_e32 26, v0
	s_cbranch_execz .LBB121_309
; %bb.308:
	s_clause 0x1
	buffer_load_dword v1, off, s[0:3], 0 offset:208
	buffer_load_dword v2, off, s[0:3], 0 offset:212
	v_mov_b32_e32 v3, 0
	buffer_store_dword v3, off, s[0:3], 0 offset:208
	buffer_store_dword v3, off, s[0:3], 0 offset:212
	s_waitcnt vmcnt(0)
	ds_write_b64 v129, v[1:2]
.LBB121_309:
	s_or_b32 exec_lo, exec_lo, s4
	s_waitcnt lgkmcnt(0)
	s_waitcnt_vscnt null, 0x0
	s_barrier
	buffer_gl0_inv
	s_clause 0x3e
	buffer_load_dword v7, off, s[0:3], 0 offset:220
	buffer_load_dword v8, off, s[0:3], 0 offset:228
	;; [unrolled: 1-line block ×64, first 2 shown]
	v_mov_b32_e32 v1, 0
	ds_read2_b64 v[169:172], v1 offset0:85 offset1:86
	ds_read2_b64 v[173:176], v1 offset0:87 offset1:88
	s_mov_b32 s4, exec_lo
	ds_read2_b64 v[181:184], v1 offset0:99 offset1:100
	s_waitcnt vmcnt(62) lgkmcnt(2)
	v_mul_f32_e32 v177, v169, v7
	v_mul_f32_e32 v178, v171, v8
	;; [unrolled: 1-line block ×4, first 2 shown]
	s_waitcnt vmcnt(59)
	v_fmac_f32_e32 v177, v170, v133
	v_fmac_f32_e32 v178, v172, v132
	v_fma_f32 v7, v169, v133, -v7
	v_fma_f32 v8, v171, v132, -v8
	ds_read2_b64 v[169:172], v1 offset0:89 offset1:90
	s_waitcnt vmcnt(58) lgkmcnt(2)
	v_mul_f32_e32 v132, v173, v11
	s_waitcnt vmcnt(57)
	v_mul_f32_e32 v133, v175, v12
	v_mul_f32_e32 v11, v174, v11
	;; [unrolled: 1-line block ×3, first 2 shown]
	v_add_f32_e32 v7, 0, v7
	v_fmac_f32_e32 v132, v174, v5
	s_waitcnt vmcnt(53)
	v_fmac_f32_e32 v133, v176, v159
	v_fma_f32 v5, v173, v5, -v11
	v_fma_f32 v11, v175, v159, -v12
	ds_read2_b64 v[173:176], v1 offset0:91 offset1:92
	v_add_f32_e32 v7, v7, v8
	v_add_f32_e32 v5, v7, v5
	s_waitcnt vmcnt(51) lgkmcnt(1)
	v_mul_f32_e32 v159, v171, v157
	v_mul_f32_e32 v157, v172, v157
	;; [unrolled: 1-line block ×4, first 2 shown]
	v_add_f32_e32 v5, v5, v11
	v_fmac_f32_e32 v159, v172, v150
	v_fma_f32 v150, v171, v150, -v157
	v_fmac_f32_e32 v12, v170, v154
	v_fma_f32 v154, v169, v154, -v158
	ds_read2_b64 v[169:172], v1 offset0:93 offset1:94
	s_waitcnt vmcnt(50) lgkmcnt(1)
	v_mul_f32_e32 v157, v173, v153
	v_mul_f32_e32 v153, v174, v153
	s_waitcnt vmcnt(49)
	v_mul_f32_e32 v199, v175, v151
	v_mul_f32_e32 v151, v176, v151
	v_add_f32_e32 v5, v5, v154
	v_fmac_f32_e32 v157, v174, v144
	v_fma_f32 v144, v173, v144, -v153
	v_add_f32_e32 v153, 0, v177
	s_waitcnt vmcnt(45)
	v_fmac_f32_e32 v199, v176, v167
	v_fma_f32 v151, v175, v167, -v151
	ds_read2_b64 v[173:176], v1 offset0:95 offset1:96
	v_add_f32_e32 v5, v5, v150
	v_add_f32_e32 v153, v153, v178
	ds_read2_b64 v[177:180], v1 offset0:97 offset1:98
	v_add_f32_e32 v5, v5, v144
	v_add_f32_e32 v8, v153, v132
	s_waitcnt vmcnt(44) lgkmcnt(2)
	v_mul_f32_e32 v153, v170, v165
	v_mul_f32_e32 v132, v169, v165
	v_add_f32_e32 v5, v5, v151
	v_add_f32_e32 v7, v8, v133
	s_waitcnt vmcnt(43)
	v_mul_f32_e32 v11, v171, v161
	v_fma_f32 v8, v169, v162, -v153
	v_fmac_f32_e32 v132, v170, v162
	v_add_f32_e32 v7, v7, v12
	v_mul_f32_e32 v12, v172, v161
	v_add_f32_e32 v5, v5, v8
	s_waitcnt vmcnt(42) lgkmcnt(1)
	v_mul_f32_e32 v133, v173, v160
	v_mul_f32_e32 v153, v174, v160
	v_add_f32_e32 v7, v7, v159
	v_fma_f32 v12, v171, v142, -v12
	v_fmac_f32_e32 v11, v172, v142
	s_waitcnt vmcnt(41)
	v_mul_f32_e32 v161, v176, v163
	v_fmac_f32_e32 v133, v174, v140
	v_add_f32_e32 v7, v7, v157
	v_fma_f32 v140, v173, v140, -v153
	v_add_f32_e32 v5, v5, v12
	v_mul_f32_e32 v154, v175, v163
	s_waitcnt vmcnt(40) lgkmcnt(0)
	v_mul_f32_e32 v142, v178, v152
	v_add_f32_e32 v7, v7, v199
	s_waitcnt vmcnt(36)
	v_fma_f32 v161, v175, v168, -v161
	v_add_f32_e32 v5, v5, v140
	v_mul_f32_e32 v162, v177, v152
	ds_read2_b64 v[157:160], v1 offset0:101 offset1:102
	ds_read2_b64 v[169:172], v1 offset0:103 offset1:104
	v_add_f32_e32 v7, v7, v132
	v_fmac_f32_e32 v154, v176, v168
	v_fma_f32 v163, v177, v166, -v142
	s_waitcnt vmcnt(35)
	v_mul_f32_e32 v142, v180, v155
	v_add_f32_e32 v5, v5, v161
	v_add_f32_e32 v7, v7, v11
	v_fmac_f32_e32 v162, v178, v166
	v_mul_f32_e32 v132, v179, v155
	s_waitcnt vmcnt(34)
	v_mul_f32_e32 v155, v181, v148
	s_waitcnt vmcnt(33)
	v_mul_f32_e32 v11, v183, v149
	v_add_f32_e32 v12, v7, v133
	v_mul_f32_e32 v8, v182, v148
	v_mul_f32_e32 v148, v184, v149
	v_fma_f32 v149, v179, v145, -v142
	v_add_f32_e32 v5, v5, v163
	v_add_f32_e32 v12, v12, v154
	v_fmac_f32_e32 v132, v180, v145
	v_fma_f32 v181, v181, v143, -v8
	v_fmac_f32_e32 v155, v182, v143
	v_add_f32_e32 v5, v5, v149
	v_add_f32_e32 v12, v12, v162
	s_waitcnt vmcnt(28)
	v_fma_f32 v133, v183, v156, -v148
	s_waitcnt vmcnt(27) lgkmcnt(1)
	v_mul_f32_e32 v140, v157, v146
	v_mul_f32_e32 v146, v158, v146
	v_add_f32_e32 v5, v5, v181
	v_add_f32_e32 v12, v12, v132
	ds_read2_b64 v[150:153], v1 offset0:105 offset1:106
	ds_read2_b64 v[165:168], v1 offset0:107 offset1:108
	v_fmac_f32_e32 v11, v184, v156
	s_waitcnt vmcnt(26)
	v_mul_f32_e32 v148, v159, v147
	v_mul_f32_e32 v147, v160, v147
	v_add_f32_e32 v12, v12, v155
	v_fmac_f32_e32 v140, v158, v141
	v_fma_f32 v141, v157, v141, -v146
	v_add_f32_e32 v5, v5, v133
	s_waitcnt lgkmcnt(2)
	v_mul_f32_e32 v154, v169, v139
	v_add_f32_e32 v11, v12, v11
	v_mul_f32_e32 v139, v170, v139
	v_fmac_f32_e32 v148, v160, v138
	v_fma_f32 v138, v159, v138, -v147
	v_add_f32_e32 v5, v5, v141
	v_add_f32_e32 v11, v11, v140
	s_waitcnt vmcnt(25)
	v_mul_f32_e32 v12, v172, v137
	v_fmac_f32_e32 v154, v170, v2
	v_fma_f32 v2, v169, v2, -v139
	v_add_f32_e32 v5, v5, v138
	v_mul_f32_e32 v156, v171, v137
	v_add_f32_e32 v11, v11, v148
	s_waitcnt vmcnt(24) lgkmcnt(1)
	v_mul_f32_e32 v146, v150, v136
	v_mul_f32_e32 v136, v151, v136
	s_waitcnt vmcnt(13)
	v_fma_f32 v12, v171, v185, -v12
	v_add_f32_e32 v2, v5, v2
	ds_read2_b64 v[142:145], v1 offset0:109 offset1:110
	ds_read2_b64 v[173:176], v1 offset0:111 offset1:112
	v_fmac_f32_e32 v156, v172, v185
	v_add_f32_e32 v5, v11, v154
	v_mul_f32_e32 v132, v152, v134
	v_mul_f32_e32 v11, v153, v134
	s_waitcnt vmcnt(10)
	v_fma_f32 v134, v150, v188, -v136
	v_add_f32_e32 v2, v2, v12
	v_fmac_f32_e32 v146, v151, v188
	v_add_f32_e32 v5, v5, v156
	s_waitcnt lgkmcnt(2)
	v_mul_f32_e32 v12, v166, v135
	v_fma_f32 v11, v152, v187, -v11
	v_add_f32_e32 v2, v2, v134
	v_mul_f32_e32 v149, v165, v135
	v_fmac_f32_e32 v132, v153, v187
	v_add_f32_e32 v5, v5, v146
	v_mul_f32_e32 v147, v167, v131
	v_mul_f32_e32 v131, v168, v131
	v_fma_f32 v12, v165, v186, -v12
	v_add_f32_e32 v2, v2, v11
	v_fmac_f32_e32 v149, v166, v186
	v_add_f32_e32 v5, v5, v132
	s_waitcnt lgkmcnt(1)
	v_mul_f32_e32 v157, v142, v130
	v_mul_f32_e32 v11, v143, v130
	s_waitcnt vmcnt(6)
	v_fma_f32 v130, v167, v192, -v131
	v_add_f32_e32 v2, v2, v12
	ds_read2_b64 v[177:180], v1 offset0:113 offset1:114
	ds_read_b64 v[7:8], v1 offset:920
	v_fmac_f32_e32 v147, v168, v192
	v_add_f32_e32 v5, v5, v149
	v_mul_f32_e32 v155, v144, v10
	v_mul_f32_e32 v10, v145, v10
	v_fma_f32 v11, v142, v191, -v11
	v_add_f32_e32 v2, v2, v130
	v_fmac_f32_e32 v157, v143, v191
	v_add_f32_e32 v5, v5, v147
	s_waitcnt lgkmcnt(2)
	v_mul_f32_e32 v158, v173, v9
	v_mul_f32_e32 v9, v174, v9
	v_fma_f32 v10, v144, v190, -v10
	v_add_f32_e32 v2, v2, v11
	v_fmac_f32_e32 v155, v145, v190
	v_add_f32_e32 v5, v5, v157
	v_mul_f32_e32 v159, v175, v6
	v_mul_f32_e32 v6, v176, v6
	v_fma_f32 v9, v173, v189, -v9
	v_add_f32_e32 v2, v2, v10
	v_fmac_f32_e32 v158, v174, v189
	v_add_f32_e32 v5, v5, v155
	s_waitcnt lgkmcnt(1)
	v_mul_f32_e32 v133, v177, v4
	v_mul_f32_e32 v4, v178, v4
	s_waitcnt vmcnt(2)
	v_fma_f32 v6, v175, v196, -v6
	v_add_f32_e32 v2, v2, v9
	v_fmac_f32_e32 v159, v176, v196
	v_add_f32_e32 v5, v5, v158
	v_mul_f32_e32 v137, v179, v3
	v_mul_f32_e32 v3, v180, v3
	v_fma_f32 v4, v177, v195, -v4
	v_add_f32_e32 v2, v2, v6
	v_fmac_f32_e32 v133, v178, v195
	v_add_f32_e32 v5, v5, v159
	s_waitcnt lgkmcnt(0)
	v_mul_f32_e32 v6, v8, v164
	v_fma_f32 v3, v179, v194, -v3
	v_add_f32_e32 v2, v2, v4
	v_mul_f32_e32 v140, v7, v164
	v_fmac_f32_e32 v137, v180, v194
	v_add_f32_e32 v4, v5, v133
	v_fma_f32 v5, v7, v193, -v6
	v_add_f32_e32 v2, v2, v3
	v_fmac_f32_e32 v140, v8, v193
	v_add_f32_e32 v3, v4, v137
	v_add_f32_e32 v2, v2, v5
	;; [unrolled: 1-line block ×3, first 2 shown]
	s_waitcnt vmcnt(1)
	v_sub_f32_e32 v2, v197, v2
	s_waitcnt vmcnt(0)
	v_sub_f32_e32 v3, v198, v3
	buffer_store_dword v2, off, s[0:3], 0 offset:208
	buffer_store_dword v3, off, s[0:3], 0 offset:212
	v_cmpx_lt_u32_e32 25, v0
	s_cbranch_execz .LBB121_311
; %bb.310:
	s_clause 0x1
	buffer_load_dword v2, off, s[0:3], 0 offset:200
	buffer_load_dword v3, off, s[0:3], 0 offset:204
	buffer_store_dword v1, off, s[0:3], 0 offset:200
	buffer_store_dword v1, off, s[0:3], 0 offset:204
	s_waitcnt vmcnt(0)
	ds_write_b64 v129, v[2:3]
.LBB121_311:
	s_or_b32 exec_lo, exec_lo, s4
	s_waitcnt lgkmcnt(0)
	s_waitcnt_vscnt null, 0x0
	s_barrier
	buffer_gl0_inv
	s_clause 0x31
	buffer_load_dword v131, off, s[0:3], 0 offset:212
	buffer_load_dword v4, off, s[0:3], 0 offset:220
	;; [unrolled: 1-line block ×50, first 2 shown]
	ds_read_b128 v[163:166], v1 offset:672
	s_clause 0x1
	buffer_load_dword v181, off, s[0:3], 0 offset:460
	buffer_load_dword v182, off, s[0:3], 0 offset:360
	ds_read_b128 v[167:170], v1 offset:688
	s_clause 0x2
	buffer_load_dword v183, off, s[0:3], 0 offset:384
	buffer_load_dword v184, off, s[0:3], 0 offset:376
	;; [unrolled: 1-line block ×3, first 2 shown]
	ds_read_b128 v[171:174], v1 offset:704
	s_clause 0x4
	buffer_load_dword v186, off, s[0:3], 0 offset:416
	buffer_load_dword v187, off, s[0:3], 0 offset:408
	;; [unrolled: 1-line block ×5, first 2 shown]
	s_mov_b32 s4, exec_lo
	s_waitcnt vmcnt(59) lgkmcnt(2)
	v_mul_f32_e32 v190, v163, v131
	v_mul_f32_e32 v131, v164, v131
	s_waitcnt vmcnt(58)
	v_mul_f32_e32 v192, v165, v4
	v_mul_f32_e32 v4, v166, v4
	s_waitcnt vmcnt(55)
	v_fmac_f32_e32 v190, v164, v9
	v_fma_f32 v9, v163, v9, -v131
	v_fmac_f32_e32 v192, v166, v6
	v_fma_f32 v193, v165, v6, -v4
	ds_read_b128 v[163:166], v1 offset:720
	s_clause 0x3
	buffer_load_dword v196, off, s[0:3], 0 offset:448
	buffer_load_dword v197, off, s[0:3], 0 offset:440
	;; [unrolled: 1-line block ×4, first 2 shown]
	s_waitcnt vmcnt(57) lgkmcnt(2)
	v_mul_f32_e32 v194, v169, v7
	v_mul_f32_e32 v4, v170, v7
	s_waitcnt vmcnt(51) lgkmcnt(1)
	v_mul_f32_e32 v195, v173, v141
	buffer_load_dword v201, off, s[0:3], 0 offset:200
	v_mul_f32_e32 v131, v167, v8
	v_fmac_f32_e32 v194, v170, v142
	v_fma_f32 v142, v169, v142, -v4
	v_mul_f32_e32 v4, v174, v141
	v_fmac_f32_e32 v195, v174, v136
	buffer_load_dword v174, off, s[0:3], 0 offset:456
	v_mul_f32_e32 v8, v168, v8
	v_fmac_f32_e32 v131, v168, v3
	v_fma_f32 v7, v167, v3, -v8
	v_mul_f32_e32 v3, v172, v5
	v_mul_f32_e32 v8, v171, v5
	v_fma_f32 v141, v171, v139, -v3
	v_fma_f32 v171, v173, v136, -v4
	ds_read_b128 v[3:6], v1 offset:736
	v_fmac_f32_e32 v8, v172, v139
	s_waitcnt vmcnt(52) lgkmcnt(1)
	v_mul_f32_e32 v172, v163, v138
	v_mul_f32_e32 v136, v164, v138
	s_waitcnt vmcnt(51)
	v_mul_f32_e32 v173, v165, v137
	v_mul_f32_e32 v137, v166, v137
	v_fmac_f32_e32 v172, v164, v133
	v_fma_f32 v133, v163, v133, -v136
	s_waitcnt vmcnt(47)
	v_fmac_f32_e32 v173, v166, v159
	v_fma_f32 v159, v165, v159, -v137
	ds_read_b128 v[136:139], v1 offset:752
	ds_read_b128 v[163:166], v1 offset:784
	s_waitcnt vmcnt(46) lgkmcnt(2)
	v_mul_f32_e32 v200, v3, v158
	v_mul_f32_e32 v158, v4, v158
	v_fmac_f32_e32 v200, v4, v156
	v_fma_f32 v156, v3, v156, -v158
	v_add_f32_e32 v3, 0, v9
	v_add_f32_e32 v4, 0, v190
	s_waitcnt vmcnt(45)
	v_mul_f32_e32 v9, v5, v154
	v_mul_f32_e32 v154, v6, v154
	v_add_f32_e32 v3, v3, v193
	v_add_f32_e32 v158, v4, v192
	v_fmac_f32_e32 v9, v6, v152
	v_fma_f32 v190, v5, v152, -v154
	s_waitcnt vmcnt(44) lgkmcnt(1)
	v_mul_f32_e32 v192, v136, v148
	v_add_f32_e32 v7, v3, v7
	v_add_f32_e32 v131, v158, v131
	ds_read_b128 v[3:6], v1 offset:768
	v_fmac_f32_e32 v192, v137, v143
	v_add_f32_e32 v7, v7, v142
	v_add_f32_e32 v131, v131, v194
	v_mul_f32_e32 v142, v137, v148
	s_waitcnt vmcnt(43)
	v_mul_f32_e32 v148, v138, v146
	v_mul_f32_e32 v146, v139, v146
	v_add_f32_e32 v7, v7, v141
	v_add_f32_e32 v8, v131, v8
	v_fma_f32 v193, v136, v143, -v142
	s_waitcnt vmcnt(39)
	v_fmac_f32_e32 v148, v139, v161
	v_fma_f32 v146, v138, v161, -v146
	v_add_f32_e32 v7, v7, v171
	v_add_f32_e32 v8, v8, v195
	ds_read_b128 v[136:139], v1 offset:800
	ds_read_b128 v[167:170], v1 offset:816
	s_waitcnt vmcnt(36) lgkmcnt(3)
	v_mul_f32_e32 v143, v164, v153
	s_waitcnt vmcnt(35)
	v_mul_f32_e32 v171, v165, v140
	v_add_f32_e32 v7, v7, v133
	v_add_f32_e32 v8, v8, v172
	s_waitcnt lgkmcnt(2)
	v_mul_f32_e32 v141, v4, v157
	v_mul_f32_e32 v131, v3, v157
	;; [unrolled: 1-line block ×3, first 2 shown]
	v_add_f32_e32 v7, v7, v159
	v_add_f32_e32 v8, v8, v173
	v_fma_f32 v172, v3, v151, -v141
	v_mul_f32_e32 v161, v5, v155
	v_fmac_f32_e32 v131, v4, v151
	v_add_f32_e32 v7, v7, v156
	v_add_f32_e32 v8, v8, v200
	v_fma_f32 v194, v5, v147, -v142
	v_mul_f32_e32 v133, v163, v153
	v_fmac_f32_e32 v161, v6, v147
	v_add_f32_e32 v7, v7, v190
	v_add_f32_e32 v8, v8, v9
	v_mul_f32_e32 v140, v166, v140
	v_fma_f32 v159, v163, v135, -v143
	v_fmac_f32_e32 v133, v164, v135
	v_add_f32_e32 v7, v7, v193
	v_add_f32_e32 v8, v8, v192
	s_waitcnt vmcnt(30)
	v_fmac_f32_e32 v171, v166, v160
	v_fma_f32 v160, v165, v160, -v140
	s_waitcnt vmcnt(28) lgkmcnt(1)
	v_mul_f32_e32 v9, v138, v150
	v_add_f32_e32 v7, v7, v146
	v_add_f32_e32 v8, v8, v148
	v_mul_f32_e32 v135, v137, v149
	ds_read_b128 v[3:6], v1 offset:832
	ds_read_b128 v[151:154], v1 offset:848
	v_mul_f32_e32 v163, v136, v149
	v_add_f32_e32 v7, v7, v172
	v_add_f32_e32 v8, v8, v131
	v_mul_f32_e32 v147, v139, v150
	v_fmac_f32_e32 v9, v139, v144
	v_fma_f32 v139, v136, v145, -v135
	v_add_f32_e32 v7, v7, v194
	v_add_f32_e32 v8, v8, v161
	v_fmac_f32_e32 v163, v137, v145
	ds_read_b128 v[140:143], v1 offset:864
	ds_read_b128 v[155:158], v1 offset:880
	v_fma_f32 v149, v138, v144, -v147
	v_add_f32_e32 v7, v7, v159
	v_add_f32_e32 v8, v8, v133
	ds_read_b128 v[135:138], v1 offset:896
	ds_read_b128 v[144:147], v1 offset:912
	s_waitcnt lgkmcnt(6)
	v_mul_f32_e32 v1, v167, v132
	v_mul_f32_e32 v132, v168, v132
	v_add_f32_e32 v7, v7, v160
	v_add_f32_e32 v8, v8, v171
	s_waitcnt vmcnt(27)
	v_mul_f32_e32 v131, v169, v134
	v_mul_f32_e32 v134, v170, v134
	v_fmac_f32_e32 v1, v168, v2
	v_add_f32_e32 v7, v7, v139
	v_add_f32_e32 v8, v8, v163
	v_fma_f32 v2, v167, v2, -v132
	s_waitcnt vmcnt(26) lgkmcnt(5)
	v_mul_f32_e32 v148, v3, v130
	s_waitcnt vmcnt(14)
	v_fmac_f32_e32 v131, v170, v182
	v_add_f32_e32 v7, v7, v149
	v_add_f32_e32 v8, v8, v9
	v_mul_f32_e32 v9, v4, v130
	v_fma_f32 v130, v169, v182, -v134
	v_mul_f32_e32 v150, v5, v12
	v_add_f32_e32 v2, v7, v2
	v_add_f32_e32 v1, v8, v1
	v_mul_f32_e32 v7, v6, v12
	s_waitcnt vmcnt(11)
	v_fma_f32 v3, v3, v185, -v9
	v_fmac_f32_e32 v148, v4, v185
	v_add_f32_e32 v2, v2, v130
	v_add_f32_e32 v1, v1, v131
	s_waitcnt lgkmcnt(4)
	v_mul_f32_e32 v4, v152, v11
	v_fma_f32 v5, v5, v184, -v7
	v_mul_f32_e32 v161, v151, v11
	v_add_f32_e32 v2, v2, v3
	v_fmac_f32_e32 v150, v6, v184
	v_add_f32_e32 v1, v1, v148
	v_mul_f32_e32 v3, v154, v10
	v_fma_f32 v4, v151, v183, -v4
	v_add_f32_e32 v2, v2, v5
	v_mul_f32_e32 v159, v153, v10
	v_fmac_f32_e32 v161, v152, v183
	v_add_f32_e32 v1, v1, v150
	s_waitcnt lgkmcnt(3)
	v_mul_f32_e32 v5, v141, v175
	s_waitcnt vmcnt(7)
	v_fma_f32 v3, v153, v189, -v3
	v_add_f32_e32 v2, v2, v4
	v_mul_f32_e32 v133, v140, v175
	v_fmac_f32_e32 v159, v154, v189
	v_add_f32_e32 v1, v1, v161
	v_mul_f32_e32 v4, v143, v176
	v_fma_f32 v5, v140, v188, -v5
	v_add_f32_e32 v2, v2, v3
	v_mul_f32_e32 v164, v142, v176
	v_fmac_f32_e32 v133, v141, v188
	v_add_f32_e32 v1, v1, v159
	s_waitcnt lgkmcnt(2)
	v_mul_f32_e32 v3, v156, v177
	v_fma_f32 v4, v142, v187, -v4
	v_add_f32_e32 v2, v2, v5
	v_mul_f32_e32 v160, v155, v177
	v_fmac_f32_e32 v164, v143, v187
	v_add_f32_e32 v1, v1, v133
	v_mul_f32_e32 v5, v158, v178
	v_fma_f32 v3, v155, v186, -v3
	v_add_f32_e32 v2, v2, v4
	v_mul_f32_e32 v165, v157, v178
	v_fmac_f32_e32 v160, v156, v186
	v_add_f32_e32 v1, v1, v164
	s_waitcnt lgkmcnt(1)
	v_mul_f32_e32 v4, v136, v179
	v_add_f32_e32 v2, v2, v3
	v_mul_f32_e32 v166, v135, v179
	v_mul_f32_e32 v3, v138, v180
	v_add_f32_e32 v1, v1, v160
	v_mul_f32_e32 v139, v137, v180
	s_waitcnt lgkmcnt(0)
	v_mul_f32_e32 v163, v144, v162
	v_mul_f32_e32 v132, v146, v181
	s_waitcnt vmcnt(5)
	v_fmac_f32_e32 v163, v145, v196
	s_waitcnt vmcnt(4)
	v_fma_f32 v3, v137, v197, -v3
	s_waitcnt vmcnt(3)
	v_fma_f32 v4, v135, v198, -v4
	;; [unrolled: 2-line block ×3, first 2 shown]
	v_fmac_f32_e32 v165, v158, v199
	v_fmac_f32_e32 v166, v136, v198
	;; [unrolled: 1-line block ×3, first 2 shown]
	v_add_f32_e32 v2, v2, v5
	v_add_f32_e32 v1, v1, v165
	v_mul_f32_e32 v5, v145, v162
	v_add_f32_e32 v2, v2, v4
	v_add_f32_e32 v1, v1, v166
	v_mul_f32_e32 v4, v147, v181
	v_fma_f32 v5, v144, v196, -v5
	s_waitcnt vmcnt(0)
	v_fmac_f32_e32 v132, v147, v174
	v_add_f32_e32 v2, v2, v3
	v_add_f32_e32 v1, v1, v139
	v_fma_f32 v3, v146, v174, -v4
	v_add_f32_e32 v2, v2, v5
	v_add_f32_e32 v1, v1, v163
	;; [unrolled: 1-line block ×4, first 2 shown]
	v_sub_f32_e32 v2, v201, v2
	v_sub_f32_e32 v1, v191, v1
	buffer_store_dword v2, off, s[0:3], 0 offset:200
	buffer_store_dword v1, off, s[0:3], 0 offset:204
	v_cmpx_lt_u32_e32 24, v0
	s_cbranch_execz .LBB121_313
; %bb.312:
	s_clause 0x1
	buffer_load_dword v1, off, s[0:3], 0 offset:192
	buffer_load_dword v2, off, s[0:3], 0 offset:196
	v_mov_b32_e32 v3, 0
	buffer_store_dword v3, off, s[0:3], 0 offset:192
	buffer_store_dword v3, off, s[0:3], 0 offset:196
	s_waitcnt vmcnt(0)
	ds_write_b64 v129, v[1:2]
.LBB121_313:
	s_or_b32 exec_lo, exec_lo, s4
	s_waitcnt lgkmcnt(0)
	s_waitcnt_vscnt null, 0x0
	s_barrier
	buffer_gl0_inv
	s_clause 0x26
	buffer_load_dword v3, off, s[0:3], 0 offset:204
	buffer_load_dword v4, off, s[0:3], 0 offset:212
	;; [unrolled: 1-line block ×39, first 2 shown]
	v_mov_b32_e32 v1, 0
	s_clause 0x2
	buffer_load_dword v134, off, s[0:3], 0 offset:364
	buffer_load_dword v132, off, s[0:3], 0 offset:372
	;; [unrolled: 1-line block ×3, first 2 shown]
	s_mov_b32 s4, exec_lo
	ds_read2_b64 v[167:170], v1 offset0:83 offset1:84
	s_clause 0x1
	buffer_load_dword v11, off, s[0:3], 0 offset:388
	buffer_load_dword v10, off, s[0:3], 0 offset:396
	ds_read2_b64 v[171:174], v1 offset0:85 offset1:86
	s_clause 0xc
	buffer_load_dword v151, off, s[0:3], 0 offset:352
	buffer_load_dword v8, off, s[0:3], 0 offset:404
	;; [unrolled: 1-line block ×13, first 2 shown]
	ds_read2_b64 v[175:178], v1 offset0:87 offset1:88
	s_waitcnt vmcnt(56) lgkmcnt(2)
	v_mul_f32_e32 v188, v167, v3
	v_mul_f32_e32 v3, v168, v3
	s_waitcnt vmcnt(55)
	v_mul_f32_e32 v189, v169, v4
	v_mul_f32_e32 v4, v170, v4
	s_waitcnt vmcnt(54) lgkmcnt(1)
	v_mul_f32_e32 v190, v171, v6
	v_mul_f32_e32 v6, v172, v6
	s_waitcnt vmcnt(51)
	v_fmac_f32_e32 v188, v168, v12
	v_fma_f32 v3, v167, v12, -v3
	v_fmac_f32_e32 v189, v170, v9
	v_fma_f32 v4, v169, v9, -v4
	ds_read2_b64 v[167:170], v1 offset0:89 offset1:90
	v_fmac_f32_e32 v190, v172, v2
	v_fma_f32 v2, v171, v2, -v6
	s_clause 0x3
	buffer_load_dword v6, off, s[0:3], 0 offset:408
	buffer_load_dword v12, off, s[0:3], 0 offset:400
	buffer_load_dword v191, off, s[0:3], 0 offset:392
	buffer_load_dword v192, off, s[0:3], 0 offset:384
	s_waitcnt vmcnt(54)
	v_mul_f32_e32 v9, v173, v7
	v_mul_f32_e32 v7, v174, v7
	s_waitcnt vmcnt(48) lgkmcnt(1)
	v_mul_f32_e32 v193, v177, v146
	v_mul_f32_e32 v146, v178, v146
	v_add_f32_e32 v3, 0, v3
	v_fmac_f32_e32 v9, v174, v148
	v_fma_f32 v7, v173, v148, -v7
	v_mul_f32_e32 v148, v175, v147
	ds_read2_b64 v[171:174], v1 offset0:91 offset1:92
	v_mul_f32_e32 v147, v176, v147
	v_fmac_f32_e32 v193, v178, v141
	v_fma_f32 v146, v177, v141, -v146
	v_fmac_f32_e32 v148, v176, v143
	s_clause 0x3
	buffer_load_dword v176, off, s[0:3], 0 offset:440
	buffer_load_dword v177, off, s[0:3], 0 offset:432
	;; [unrolled: 1-line block ×4, first 2 shown]
	v_fma_f32 v147, v175, v143, -v147
	v_add_f32_e32 v3, v3, v4
	s_waitcnt vmcnt(51) lgkmcnt(1)
	v_mul_f32_e32 v175, v167, v142
	v_mul_f32_e32 v141, v168, v142
	s_waitcnt vmcnt(50)
	v_mul_f32_e32 v195, v169, v140
	v_mul_f32_e32 v140, v170, v140
	v_add_f32_e32 v2, v3, v2
	v_fmac_f32_e32 v175, v168, v137
	v_fma_f32 v137, v167, v137, -v141
	v_add_f32_e32 v167, 0, v188
	s_waitcnt vmcnt(46)
	v_fmac_f32_e32 v195, v170, v164
	v_fma_f32 v164, v169, v164, -v140
	ds_read2_b64 v[140:143], v1 offset0:93 offset1:94
	v_add_f32_e32 v2, v2, v7
	s_waitcnt vmcnt(45) lgkmcnt(1)
	v_mul_f32_e32 v196, v171, v163
	v_mul_f32_e32 v163, v172, v163
	v_add_f32_e32 v2, v2, v147
	v_fmac_f32_e32 v196, v172, v161
	v_fma_f32 v161, v171, v161, -v163
	v_add_f32_e32 v163, v167, v189
	s_clause 0x2
	buffer_load_dword v188, off, s[0:3], 0 offset:456
	buffer_load_dword v189, off, s[0:3], 0 offset:448
	;; [unrolled: 1-line block ×3, first 2 shown]
	v_add_f32_e32 v2, v2, v146
	ds_read2_b64 v[167:170], v1 offset0:95 offset1:96
	v_add_f32_e32 v163, v163, v190
	s_waitcnt vmcnt(47)
	v_mul_f32_e32 v190, v173, v158
	v_mul_f32_e32 v158, v174, v158
	v_add_f32_e32 v2, v2, v137
	v_add_f32_e32 v9, v163, v9
	v_fmac_f32_e32 v190, v174, v155
	v_fma_f32 v3, v173, v155, -v158
	ds_read2_b64 v[171:174], v1 offset0:97 offset1:98
	v_add_f32_e32 v2, v2, v164
	v_add_f32_e32 v7, v9, v148
	s_waitcnt vmcnt(46) lgkmcnt(2)
	v_mul_f32_e32 v9, v140, v153
	v_mul_f32_e32 v148, v141, v153
	s_waitcnt vmcnt(45)
	v_mul_f32_e32 v197, v142, v152
	v_mul_f32_e32 v147, v143, v152
	v_add_f32_e32 v7, v7, v193
	v_add_f32_e32 v2, v2, v161
	v_fmac_f32_e32 v9, v141, v149
	v_fma_f32 v198, v140, v149, -v148
	s_waitcnt vmcnt(41)
	v_fmac_f32_e32 v197, v143, v165
	v_add_f32_e32 v7, v7, v175
	v_fma_f32 v165, v142, v165, -v147
	ds_read2_b64 v[140:143], v1 offset0:99 offset1:100
	ds_read2_b64 v[146:149], v1 offset0:101 offset1:102
	v_add_f32_e32 v2, v2, v3
	s_waitcnt vmcnt(40) lgkmcnt(3)
	v_mul_f32_e32 v175, v167, v160
	v_add_f32_e32 v7, v7, v195
	v_mul_f32_e32 v152, v168, v160
	s_waitcnt vmcnt(39)
	v_mul_f32_e32 v137, v170, v159
	v_add_f32_e32 v2, v2, v198
	v_mul_f32_e32 v193, v169, v159
	v_add_f32_e32 v7, v7, v196
	s_waitcnt vmcnt(38) lgkmcnt(2)
	v_mul_f32_e32 v195, v171, v157
	v_fmac_f32_e32 v175, v168, v156
	v_fma_f32 v199, v167, v156, -v152
	v_fma_f32 v200, v169, v154, -v137
	v_add_f32_e32 v7, v7, v190
	s_waitcnt vmcnt(37)
	v_mul_f32_e32 v137, v174, v144
	v_add_f32_e32 v2, v2, v165
	v_mul_f32_e32 v160, v172, v157
	v_fmac_f32_e32 v193, v170, v154
	v_add_f32_e32 v3, v7, v9
	v_fmac_f32_e32 v195, v172, v139
	s_waitcnt vmcnt(31)
	v_fma_f32 v172, v173, v162, -v137
	s_waitcnt lgkmcnt(1)
	v_mul_f32_e32 v7, v140, v138
	s_waitcnt vmcnt(30)
	v_mul_f32_e32 v9, v142, v150
	v_add_f32_e32 v3, v3, v197
	v_mul_f32_e32 v137, v141, v138
	v_mul_f32_e32 v138, v143, v150
	v_add_f32_e32 v165, v2, v199
	v_mul_f32_e32 v164, v173, v144
	v_add_f32_e32 v150, v3, v175
	v_fma_f32 v171, v171, v139, -v160
	s_waitcnt lgkmcnt(0)
	v_mul_f32_e32 v173, v146, v133
	v_add_f32_e32 v165, v165, v200
	v_fmac_f32_e32 v164, v174, v162
	v_add_f32_e32 v150, v150, v193
	v_mul_f32_e32 v133, v147, v133
	ds_read2_b64 v[152:155], v1 offset0:103 offset1:104
	ds_read2_b64 v[156:159], v1 offset0:105 offset1:106
	v_add_f32_e32 v165, v165, v171
	v_fmac_f32_e32 v7, v141, v135
	v_add_f32_e32 v150, v150, v195
	v_fma_f32 v135, v140, v135, -v137
	v_fmac_f32_e32 v173, v147, v131
	v_fma_f32 v131, v146, v131, -v133
	v_fmac_f32_e32 v9, v143, v145
	v_add_f32_e32 v146, v150, v164
	v_add_f32_e32 v150, v165, v172
	v_fma_f32 v145, v142, v145, -v138
	s_waitcnt vmcnt(29)
	v_mul_f32_e32 v174, v148, v136
	v_mul_f32_e32 v136, v149, v136
	v_add_f32_e32 v7, v146, v7
	v_add_f32_e32 v135, v150, v135
	ds_read2_b64 v[160:163], v1 offset0:107 offset1:108
	ds_read2_b64 v[167:170], v1 offset0:109 offset1:110
	s_waitcnt vmcnt(23)
	v_fmac_f32_e32 v174, v149, v151
	v_fma_f32 v136, v148, v151, -v136
	v_add_f32_e32 v7, v7, v9
	v_add_f32_e32 v135, v135, v145
	s_waitcnt lgkmcnt(3)
	v_mul_f32_e32 v175, v152, v134
	v_mul_f32_e32 v134, v153, v134
	;; [unrolled: 1-line block ×3, first 2 shown]
	v_add_f32_e32 v7, v7, v173
	v_add_f32_e32 v131, v135, v131
	v_mul_f32_e32 v171, v154, v132
	s_waitcnt vmcnt(14)
	v_fma_f32 v134, v152, v184, -v134
	v_fmac_f32_e32 v175, v153, v184
	v_add_f32_e32 v7, v7, v174
	v_add_f32_e32 v131, v131, v136
	s_waitcnt lgkmcnt(2)
	v_mul_f32_e32 v133, v156, v130
	v_mul_f32_e32 v130, v157, v130
	s_waitcnt vmcnt(13)
	v_fma_f32 v9, v154, v185, -v9
	v_fmac_f32_e32 v171, v155, v185
	v_add_f32_e32 v131, v131, v134
	v_add_f32_e32 v7, v7, v175
	v_mul_f32_e32 v147, v158, v11
	v_mul_f32_e32 v11, v159, v11
	s_waitcnt vmcnt(12)
	v_fma_f32 v130, v156, v186, -v130
	v_add_f32_e32 v9, v131, v9
	v_fmac_f32_e32 v133, v157, v186
	v_add_f32_e32 v7, v7, v171
	s_waitcnt lgkmcnt(1)
	v_mul_f32_e32 v164, v160, v10
	v_mul_f32_e32 v10, v161, v10
	v_add_f32_e32 v9, v9, v130
	ds_read2_b64 v[137:140], v1 offset0:111 offset1:112
	ds_read2_b64 v[141:144], v1 offset0:113 offset1:114
	ds_read_b64 v[2:3], v1 offset:920
	v_add_f32_e32 v7, v7, v133
	v_mul_f32_e32 v148, v162, v8
	v_mul_f32_e32 v8, v163, v8
	s_waitcnt lgkmcnt(3)
	v_mul_f32_e32 v149, v167, v5
	v_mul_f32_e32 v5, v168, v5
	;; [unrolled: 1-line block ×3, first 2 shown]
	s_waitcnt lgkmcnt(2)
	v_mul_f32_e32 v150, v137, v179
	v_mul_f32_e32 v151, v139, v180
	s_waitcnt lgkmcnt(1)
	v_mul_f32_e32 v132, v141, v181
	v_mul_f32_e32 v145, v143, v182
	s_waitcnt lgkmcnt(0)
	v_mul_f32_e32 v135, v2, v183
	s_waitcnt vmcnt(10)
	v_fmac_f32_e32 v149, v168, v6
	s_waitcnt vmcnt(9)
	v_fma_f32 v8, v162, v12, -v8
	s_waitcnt vmcnt(8)
	v_fma_f32 v10, v160, v191, -v10
	;; [unrolled: 2-line block ×3, first 2 shown]
	v_fmac_f32_e32 v147, v159, v192
	v_fmac_f32_e32 v164, v161, v191
	v_fmac_f32_e32 v148, v163, v12
	v_fma_f32 v5, v167, v6, -v5
	v_add_f32_e32 v9, v9, v11
	v_add_f32_e32 v7, v7, v147
	;; [unrolled: 1-line block ×4, first 2 shown]
	v_mul_f32_e32 v10, v170, v166
	s_waitcnt vmcnt(4)
	v_fmac_f32_e32 v150, v138, v178
	s_waitcnt vmcnt(3)
	v_fmac_f32_e32 v146, v170, v194
	v_add_f32_e32 v6, v9, v8
	v_add_f32_e32 v7, v7, v148
	v_mul_f32_e32 v8, v138, v179
	v_fma_f32 v9, v169, v194, -v10
	v_fmac_f32_e32 v151, v140, v177
	v_add_f32_e32 v5, v6, v5
	v_add_f32_e32 v6, v7, v149
	v_mul_f32_e32 v7, v140, v180
	v_fma_f32 v8, v137, v178, -v8
	;; [unrolled: 5-line block ×3, first 2 shown]
	v_add_f32_e32 v5, v5, v8
	v_add_f32_e32 v6, v6, v150
	v_mul_f32_e32 v8, v144, v182
	v_fma_f32 v9, v141, v176, -v9
	v_add_f32_e32 v5, v5, v7
	v_add_f32_e32 v6, v6, v151
	v_mul_f32_e32 v7, v3, v183
	s_waitcnt vmcnt(1)
	v_fma_f32 v8, v143, v189, -v8
	v_fmac_f32_e32 v145, v144, v189
	v_add_f32_e32 v5, v5, v9
	v_add_f32_e32 v6, v6, v132
	v_fmac_f32_e32 v135, v3, v188
	v_fma_f32 v2, v2, v188, -v7
	v_add_f32_e32 v3, v5, v8
	v_add_f32_e32 v5, v6, v145
	;; [unrolled: 1-line block ×4, first 2 shown]
	s_waitcnt vmcnt(0)
	v_sub_f32_e32 v2, v4, v2
	v_sub_f32_e32 v3, v187, v3
	buffer_store_dword v2, off, s[0:3], 0 offset:192
	buffer_store_dword v3, off, s[0:3], 0 offset:196
	v_cmpx_lt_u32_e32 23, v0
	s_cbranch_execz .LBB121_315
; %bb.314:
	s_clause 0x1
	buffer_load_dword v2, off, s[0:3], 0 offset:184
	buffer_load_dword v3, off, s[0:3], 0 offset:188
	buffer_store_dword v1, off, s[0:3], 0 offset:184
	buffer_store_dword v1, off, s[0:3], 0 offset:188
	s_waitcnt vmcnt(0)
	ds_write_b64 v129, v[2:3]
.LBB121_315:
	s_or_b32 exec_lo, exec_lo, s4
	s_waitcnt lgkmcnt(0)
	s_waitcnt_vscnt null, 0x0
	s_barrier
	buffer_gl0_inv
	s_clause 0x24
	buffer_load_dword v10, off, s[0:3], 0 offset:196
	buffer_load_dword v11, off, s[0:3], 0 offset:204
	buffer_load_dword v12, off, s[0:3], 0 offset:208
	buffer_load_dword v142, off, s[0:3], 0 offset:200
	buffer_load_dword v143, off, s[0:3], 0 offset:192
	buffer_load_dword v144, off, s[0:3], 0 offset:212
	buffer_load_dword v145, off, s[0:3], 0 offset:220
	buffer_load_dword v146, off, s[0:3], 0 offset:240
	buffer_load_dword v147, off, s[0:3], 0 offset:232
	buffer_load_dword v148, off, s[0:3], 0 offset:224
	buffer_load_dword v149, off, s[0:3], 0 offset:216
	buffer_load_dword v150, off, s[0:3], 0 offset:228
	buffer_load_dword v151, off, s[0:3], 0 offset:236
	buffer_load_dword v152, off, s[0:3], 0 offset:244
	buffer_load_dword v153, off, s[0:3], 0 offset:252
	buffer_load_dword v154, off, s[0:3], 0 offset:272
	buffer_load_dword v155, off, s[0:3], 0 offset:264
	buffer_load_dword v156, off, s[0:3], 0 offset:256
	buffer_load_dword v157, off, s[0:3], 0 offset:248
	buffer_load_dword v158, off, s[0:3], 0 offset:260
	buffer_load_dword v159, off, s[0:3], 0 offset:268
	buffer_load_dword v160, off, s[0:3], 0 offset:276
	buffer_load_dword v161, off, s[0:3], 0 offset:284
	buffer_load_dword v162, off, s[0:3], 0 offset:304
	buffer_load_dword v163, off, s[0:3], 0 offset:296
	buffer_load_dword v164, off, s[0:3], 0 offset:288
	buffer_load_dword v165, off, s[0:3], 0 offset:280
	buffer_load_dword v166, off, s[0:3], 0 offset:292
	buffer_load_dword v167, off, s[0:3], 0 offset:300
	buffer_load_dword v168, off, s[0:3], 0 offset:308
	buffer_load_dword v169, off, s[0:3], 0 offset:316
	buffer_load_dword v170, off, s[0:3], 0 offset:324
	buffer_load_dword v171, off, s[0:3], 0 offset:336
	buffer_load_dword v172, off, s[0:3], 0 offset:328
	buffer_load_dword v173, off, s[0:3], 0 offset:320
	buffer_load_dword v174, off, s[0:3], 0 offset:312
	buffer_load_dword v175, off, s[0:3], 0 offset:332
	ds_read_b128 v[2:5], v1 offset:656
	s_clause 0x1
	buffer_load_dword v176, off, s[0:3], 0 offset:340
	buffer_load_dword v177, off, s[0:3], 0 offset:348
	ds_read_b128 v[6:9], v1 offset:672
	s_clause 0xa
	buffer_load_dword v178, off, s[0:3], 0 offset:356
	buffer_load_dword v179, off, s[0:3], 0 offset:364
	;; [unrolled: 1-line block ×11, first 2 shown]
	ds_read_b128 v[130:133], v1 offset:688
	ds_read_b128 v[134:137], v1 offset:704
	;; [unrolled: 1-line block ×3, first 2 shown]
	s_clause 0x7
	buffer_load_dword v191, off, s[0:3], 0 offset:188
	buffer_load_dword v192, off, s[0:3], 0 offset:412
	;; [unrolled: 1-line block ×8, first 2 shown]
	s_mov_b32 s4, exec_lo
	s_waitcnt vmcnt(57) lgkmcnt(4)
	v_mul_f32_e32 v189, v3, v10
	v_mul_f32_e32 v10, v2, v10
	s_waitcnt vmcnt(56)
	v_mul_f32_e32 v190, v4, v11
	v_mul_f32_e32 v11, v5, v11
	s_waitcnt vmcnt(53)
	v_fma_f32 v189, v2, v143, -v189
	v_fmac_f32_e32 v10, v3, v143
	v_fmac_f32_e32 v190, v5, v142
	v_fma_f32 v11, v4, v142, -v11
	s_waitcnt vmcnt(52) lgkmcnt(3)
	v_mul_f32_e32 v142, v6, v144
	v_mul_f32_e32 v2, v7, v144
	s_waitcnt vmcnt(51)
	v_mul_f32_e32 v3, v9, v145
	v_mul_f32_e32 v143, v8, v145
	s_waitcnt vmcnt(46) lgkmcnt(2)
	v_mul_f32_e32 v144, v130, v150
	v_fmac_f32_e32 v142, v7, v12
	v_fma_f32 v6, v6, v12, -v2
	v_fma_f32 v12, v8, v149, -v3
	v_mul_f32_e32 v2, v131, v150
	s_waitcnt vmcnt(45)
	v_mul_f32_e32 v145, v132, v151
	v_mul_f32_e32 v3, v133, v151
	s_clause 0x3
	buffer_load_dword v150, off, s[0:3], 0 offset:400
	buffer_load_dword v151, off, s[0:3], 0 offset:392
	;; [unrolled: 1-line block ×4, first 2 shown]
	v_fmac_f32_e32 v143, v9, v149
	v_fmac_f32_e32 v144, v131, v148
	v_fma_f32 v130, v130, v148, -v2
	v_fmac_f32_e32 v145, v133, v147
	v_fma_f32 v147, v132, v147, -v3
	s_waitcnt vmcnt(48) lgkmcnt(1)
	v_mul_f32_e32 v148, v134, v152
	v_mul_f32_e32 v2, v135, v152
	s_waitcnt vmcnt(47)
	v_mul_f32_e32 v149, v136, v153
	v_mul_f32_e32 v3, v137, v153
	s_waitcnt vmcnt(42) lgkmcnt(0)
	v_mul_f32_e32 v152, v138, v158
	v_mul_f32_e32 v7, v139, v158
	s_waitcnt vmcnt(41)
	v_mul_f32_e32 v153, v140, v159
	v_mul_f32_e32 v8, v141, v159
	v_fmac_f32_e32 v148, v135, v146
	v_fma_f32 v134, v134, v146, -v2
	v_fmac_f32_e32 v149, v137, v157
	v_fma_f32 v146, v136, v157, -v3
	ds_read_b128 v[2:5], v1 offset:736
	v_fmac_f32_e32 v152, v139, v156
	v_fma_f32 v138, v138, v156, -v7
	v_fmac_f32_e32 v153, v141, v155
	v_fma_f32 v139, v140, v155, -v8
	s_clause 0x7
	buffer_load_dword v155, off, s[0:3], 0 offset:432
	buffer_load_dword v156, off, s[0:3], 0 offset:424
	;; [unrolled: 1-line block ×8, first 2 shown]
	v_add_f32_e32 v7, 0, v189
	v_add_f32_e32 v8, 0, v10
	;; [unrolled: 1-line block ×4, first 2 shown]
	s_waitcnt vmcnt(48) lgkmcnt(0)
	v_mul_f32_e32 v10, v2, v160
	v_mul_f32_e32 v9, v3, v160
	v_fmac_f32_e32 v10, v3, v154
	v_fma_f32 v11, v2, v154, -v9
	v_add_f32_e32 v2, v7, v6
	v_add_f32_e32 v3, v8, v142
	ds_read_b128 v[6:9], v1 offset:752
	s_waitcnt vmcnt(47)
	v_mul_f32_e32 v154, v4, v161
	v_add_f32_e32 v12, v2, v12
	v_mul_f32_e32 v2, v5, v161
	v_add_f32_e32 v131, v3, v143
	s_waitcnt vmcnt(43)
	v_fmac_f32_e32 v154, v5, v165
	v_add_f32_e32 v12, v12, v130
	v_fma_f32 v160, v4, v165, -v2
	ds_read_b128 v[2:5], v1 offset:768
	v_add_f32_e32 v135, v131, v144
	ds_read_b128 v[130:133], v1 offset:784
	v_add_f32_e32 v12, v12, v147
	v_add_f32_e32 v135, v135, v145
	;; [unrolled: 1-line block ×3, first 2 shown]
	s_waitcnt vmcnt(42) lgkmcnt(2)
	v_mul_f32_e32 v136, v7, v166
	v_mul_f32_e32 v147, v6, v166
	s_waitcnt vmcnt(41)
	v_mul_f32_e32 v140, v9, v167
	v_fma_f32 v161, v6, v164, -v136
	v_add_f32_e32 v6, v135, v148
	v_fmac_f32_e32 v147, v7, v164
	v_add_f32_e32 v7, v12, v146
	v_mul_f32_e32 v12, v8, v167
	s_waitcnt vmcnt(40) lgkmcnt(1)
	v_mul_f32_e32 v164, v2, v168
	v_add_f32_e32 v6, v6, v149
	v_mul_f32_e32 v141, v3, v168
	v_add_f32_e32 v7, v7, v138
	ds_read_b128 v[134:137], v1 offset:800
	v_fmac_f32_e32 v164, v3, v162
	v_add_f32_e32 v6, v6, v152
	v_fma_f32 v162, v2, v162, -v141
	v_add_f32_e32 v2, v7, v139
	v_fma_f32 v146, v8, v163, -v140
	v_fmac_f32_e32 v12, v9, v163
	v_add_f32_e32 v3, v6, v153
	s_waitcnt vmcnt(39)
	v_mul_f32_e32 v142, v5, v169
	v_add_f32_e32 v11, v2, v11
	v_mul_f32_e32 v165, v4, v169
	s_waitcnt vmcnt(38) lgkmcnt(1)
	v_mul_f32_e32 v143, v131, v170
	v_add_f32_e32 v10, v3, v10
	s_waitcnt vmcnt(34)
	v_fma_f32 v153, v4, v174, -v142
	v_add_f32_e32 v11, v11, v160
	v_mul_f32_e32 v152, v130, v170
	ds_read_b128 v[6:9], v1 offset:816
	ds_read_b128 v[138:141], v1 offset:832
	v_add_f32_e32 v10, v10, v154
	v_fmac_f32_e32 v165, v5, v174
	v_add_f32_e32 v11, v11, v161
	v_fma_f32 v163, v130, v173, -v143
	s_waitcnt vmcnt(33)
	v_mul_f32_e32 v130, v133, v175
	v_add_f32_e32 v10, v10, v147
	v_fmac_f32_e32 v152, v131, v173
	v_add_f32_e32 v11, v11, v146
	v_mul_f32_e32 v160, v132, v175
	s_waitcnt vmcnt(32) lgkmcnt(2)
	v_mul_f32_e32 v131, v135, v176
	v_add_f32_e32 v10, v10, v12
	v_fma_f32 v167, v132, v172, -v130
	v_add_f32_e32 v11, v11, v162
	v_mul_f32_e32 v154, v134, v176
	v_fmac_f32_e32 v160, v133, v172
	v_add_f32_e32 v10, v10, v164
	s_waitcnt vmcnt(31)
	v_mul_f32_e32 v166, v137, v177
	v_add_f32_e32 v11, v11, v153
	v_fma_f32 v168, v134, v171, -v131
	v_mul_f32_e32 v161, v136, v177
	v_add_f32_e32 v10, v10, v165
	v_fmac_f32_e32 v154, v135, v171
	v_add_f32_e32 v11, v11, v163
	s_waitcnt vmcnt(24)
	v_fma_f32 v166, v136, v184, -v166
	s_waitcnt lgkmcnt(1)
	v_mul_f32_e32 v12, v7, v178
	v_add_f32_e32 v10, v10, v152
	ds_read_b128 v[2:5], v1 offset:848
	ds_read_b128 v[142:145], v1 offset:864
	v_add_f32_e32 v11, v11, v167
	ds_read_b128 v[130:133], v1 offset:880
	ds_read_b128 v[146:149], v1 offset:896
	v_fmac_f32_e32 v161, v137, v184
	v_add_f32_e32 v10, v10, v160
	ds_read_b128 v[134:137], v1 offset:912
	v_add_f32_e32 v11, v11, v168
	v_mul_f32_e32 v1, v6, v178
	v_mul_f32_e32 v164, v9, v179
	v_add_f32_e32 v10, v10, v154
	v_fma_f32 v6, v6, v183, -v12
	v_add_f32_e32 v11, v11, v166
	v_mul_f32_e32 v162, v8, v179
	v_fmac_f32_e32 v1, v7, v183
	v_add_f32_e32 v10, v10, v161
	s_waitcnt lgkmcnt(5)
	v_mul_f32_e32 v12, v139, v180
	v_fma_f32 v8, v8, v182, -v164
	v_add_f32_e32 v6, v11, v6
	v_mul_f32_e32 v153, v138, v180
	v_fmac_f32_e32 v162, v9, v182
	v_add_f32_e32 v1, v10, v1
	s_waitcnt vmcnt(23)
	v_mul_f32_e32 v9, v141, v185
	v_fma_f32 v10, v138, v181, -v12
	v_add_f32_e32 v6, v6, v8
	v_mul_f32_e32 v165, v140, v185
	v_fmac_f32_e32 v153, v139, v181
	v_add_f32_e32 v1, v1, v162
	s_waitcnt vmcnt(22) lgkmcnt(4)
	v_mul_f32_e32 v169, v2, v186
	v_mul_f32_e32 v8, v3, v186
	v_add_f32_e32 v6, v6, v10
	s_waitcnt vmcnt(21)
	v_mul_f32_e32 v10, v5, v187
	v_add_f32_e32 v1, v1, v153
	v_mul_f32_e32 v163, v4, v187
	s_waitcnt vmcnt(20) lgkmcnt(3)
	v_mul_f32_e32 v152, v142, v188
	s_waitcnt vmcnt(18)
	v_mul_f32_e32 v170, v144, v192
	s_waitcnt vmcnt(17) lgkmcnt(2)
	v_mul_f32_e32 v167, v130, v193
	s_waitcnt vmcnt(16)
	;; [unrolled: 4-line block ×4, first 2 shown]
	v_mul_f32_e32 v7, v136, v198
	s_waitcnt vmcnt(11)
	v_fmac_f32_e32 v152, v143, v150
	s_waitcnt vmcnt(10)
	v_fma_f32 v4, v4, v151, -v10
	s_waitcnt vmcnt(9)
	v_fmac_f32_e32 v169, v3, v199
	s_waitcnt vmcnt(8)
	v_fma_f32 v9, v140, v200, -v9
	v_fmac_f32_e32 v165, v141, v200
	v_fma_f32 v2, v2, v199, -v8
	v_fmac_f32_e32 v163, v5, v151
	v_add_f32_e32 v3, v6, v9
	v_add_f32_e32 v1, v1, v165
	v_mul_f32_e32 v6, v143, v188
	v_add_f32_e32 v2, v3, v2
	v_add_f32_e32 v1, v1, v169
	v_mul_f32_e32 v3, v145, v192
	v_fma_f32 v5, v142, v150, -v6
	v_add_f32_e32 v2, v2, v4
	v_add_f32_e32 v1, v1, v163
	v_mul_f32_e32 v4, v131, v193
	s_waitcnt vmcnt(5)
	v_fmac_f32_e32 v167, v131, v157
	s_waitcnt vmcnt(4)
	v_fma_f32 v3, v144, v158, -v3
	v_add_f32_e32 v2, v2, v5
	v_fmac_f32_e32 v170, v145, v158
	v_add_f32_e32 v1, v1, v152
	v_mul_f32_e32 v5, v133, v194
	v_fma_f32 v4, v130, v157, -v4
	v_add_f32_e32 v2, v2, v3
	v_mul_f32_e32 v3, v147, v195
	v_add_f32_e32 v1, v1, v170
	v_fma_f32 v5, v132, v156, -v5
	v_fmac_f32_e32 v160, v133, v156
	v_add_f32_e32 v2, v2, v4
	v_mul_f32_e32 v4, v149, v196
	v_add_f32_e32 v1, v1, v167
	v_fma_f32 v3, v146, v155, -v3
	v_fmac_f32_e32 v171, v147, v155
	v_add_f32_e32 v2, v2, v5
	v_mul_f32_e32 v5, v135, v197
	v_add_f32_e32 v1, v1, v160
	s_waitcnt vmcnt(1)
	v_fma_f32 v4, v148, v202, -v4
	v_fmac_f32_e32 v168, v149, v202
	v_add_f32_e32 v2, v2, v3
	v_mul_f32_e32 v3, v137, v198
	v_add_f32_e32 v1, v1, v171
	v_fma_f32 v5, v134, v201, -v5
	v_fmac_f32_e32 v154, v135, v201
	v_add_f32_e32 v2, v2, v4
	v_fma_f32 v3, v136, v159, -v3
	v_add_f32_e32 v1, v1, v168
	v_fmac_f32_e32 v7, v137, v159
	v_add_f32_e32 v2, v2, v5
	v_add_f32_e32 v1, v1, v154
	;; [unrolled: 1-line block ×4, first 2 shown]
	s_waitcnt vmcnt(0)
	v_sub_f32_e32 v2, v203, v2
	v_sub_f32_e32 v1, v191, v1
	buffer_store_dword v2, off, s[0:3], 0 offset:184
	buffer_store_dword v1, off, s[0:3], 0 offset:188
	v_cmpx_lt_u32_e32 22, v0
	s_cbranch_execz .LBB121_317
; %bb.316:
	s_clause 0x1
	buffer_load_dword v1, off, s[0:3], 0 offset:176
	buffer_load_dword v2, off, s[0:3], 0 offset:180
	v_mov_b32_e32 v3, 0
	buffer_store_dword v3, off, s[0:3], 0 offset:176
	buffer_store_dword v3, off, s[0:3], 0 offset:180
	s_waitcnt vmcnt(0)
	ds_write_b64 v129, v[1:2]
.LBB121_317:
	s_or_b32 exec_lo, exec_lo, s4
	s_waitcnt lgkmcnt(0)
	s_waitcnt_vscnt null, 0x0
	s_barrier
	buffer_gl0_inv
	s_clause 0x23
	buffer_load_dword v2, off, s[0:3], 0 offset:188
	buffer_load_dword v3, off, s[0:3], 0 offset:196
	;; [unrolled: 1-line block ×36, first 2 shown]
	v_mov_b32_e32 v1, 0
	s_clause 0x1
	buffer_load_dword v171, off, s[0:3], 0 offset:324
	buffer_load_dword v172, off, s[0:3], 0 offset:332
	s_mov_b32 s4, exec_lo
	ds_read2_b64 v[4:7], v1 offset0:81 offset1:82
	s_clause 0x7
	buffer_load_dword v173, off, s[0:3], 0 offset:340
	buffer_load_dword v174, off, s[0:3], 0 offset:348
	;; [unrolled: 1-line block ×8, first 2 shown]
	ds_read2_b64 v[8:11], v1 offset0:83 offset1:84
	s_clause 0x3
	buffer_load_dword v181, off, s[0:3], 0 offset:372
	buffer_load_dword v182, off, s[0:3], 0 offset:380
	;; [unrolled: 1-line block ×4, first 2 shown]
	ds_read2_b64 v[130:133], v1 offset0:85 offset1:86
	s_clause 0x4
	buffer_load_dword v185, off, s[0:3], 0 offset:404
	buffer_load_dword v186, off, s[0:3], 0 offset:412
	;; [unrolled: 1-line block ×5, first 2 shown]
	ds_read2_b64 v[134:137], v1 offset0:87 offset1:88
	s_waitcnt vmcnt(54) lgkmcnt(3)
	v_mul_f32_e32 v190, v5, v2
	v_mul_f32_e32 v191, v4, v2
	s_waitcnt vmcnt(53)
	v_mul_f32_e32 v192, v6, v3
	v_mul_f32_e32 v2, v7, v3
	s_waitcnt vmcnt(50)
	v_fma_f32 v190, v4, v139, -v190
	v_fmac_f32_e32 v191, v5, v139
	v_fmac_f32_e32 v192, v7, v138
	v_fma_f32 v138, v6, v138, -v2
	ds_read2_b64 v[2:5], v1 offset0:89 offset1:90
	s_waitcnt vmcnt(49) lgkmcnt(3)
	v_mul_f32_e32 v139, v8, v140
	v_mul_f32_e32 v6, v9, v140
	s_clause 0x7
	buffer_load_dword v194, off, s[0:3], 0 offset:436
	buffer_load_dword v195, off, s[0:3], 0 offset:444
	;; [unrolled: 1-line block ×8, first 2 shown]
	s_waitcnt vmcnt(56)
	v_mul_f32_e32 v140, v10, v141
	v_mul_f32_e32 v7, v11, v141
	s_waitcnt vmcnt(55) lgkmcnt(2)
	v_mul_f32_e32 v141, v130, v142
	v_mul_f32_e32 v142, v131, v142
	v_fmac_f32_e32 v139, v9, v12
	v_fma_f32 v12, v8, v12, -v6
	s_waitcnt vmcnt(54)
	v_mul_f32_e32 v6, v133, v143
	v_mul_f32_e32 v193, v132, v143
	s_waitcnt vmcnt(50)
	v_fmac_f32_e32 v140, v11, v147
	v_fma_f32 v11, v130, v146, -v142
	s_waitcnt vmcnt(49) lgkmcnt(1)
	v_mul_f32_e32 v142, v134, v148
	v_fma_f32 v130, v132, v145, -v6
	v_mul_f32_e32 v6, v135, v148
	v_fma_f32 v10, v10, v147, -v7
	v_fmac_f32_e32 v141, v131, v146
	v_fmac_f32_e32 v193, v133, v145
	s_waitcnt vmcnt(48)
	v_mul_f32_e32 v143, v136, v149
	v_mul_f32_e32 v7, v137, v149
	v_fmac_f32_e32 v142, v135, v144
	v_fma_f32 v134, v134, v144, -v6
	s_waitcnt vmcnt(43) lgkmcnt(0)
	v_mul_f32_e32 v144, v2, v154
	v_mul_f32_e32 v131, v3, v154
	s_waitcnt vmcnt(42)
	v_mul_f32_e32 v145, v4, v155
	v_mul_f32_e32 v132, v5, v155
	v_fmac_f32_e32 v143, v137, v153
	v_fma_f32 v135, v136, v153, -v7
	ds_read2_b64 v[6:9], v1 offset0:91 offset1:92
	v_fmac_f32_e32 v144, v3, v152
	v_fma_f32 v146, v2, v152, -v131
	v_fmac_f32_e32 v145, v5, v151
	v_fma_f32 v147, v4, v151, -v132
	s_clause 0x3
	buffer_load_dword v151, off, s[0:3], 0 offset:424
	buffer_load_dword v152, off, s[0:3], 0 offset:416
	;; [unrolled: 1-line block ×4, first 2 shown]
	v_add_f32_e32 v2, 0, v190
	s_clause 0x3
	buffer_load_dword v155, off, s[0:3], 0 offset:456
	buffer_load_dword v190, off, s[0:3], 0 offset:448
	;; [unrolled: 1-line block ×4, first 2 shown]
	v_add_f32_e32 v3, 0, v191
	buffer_load_dword v191, off, s[0:3], 0 offset:176
	v_add_f32_e32 v2, v2, v138
	v_add_f32_e32 v3, v3, v192
	;; [unrolled: 1-line block ×4, first 2 shown]
	s_waitcnt vmcnt(50) lgkmcnt(0)
	v_mul_f32_e32 v12, v6, v156
	v_mul_f32_e32 v4, v7, v156
	v_fmac_f32_e32 v12, v7, v150
	v_fma_f32 v138, v6, v150, -v4
	v_add_f32_e32 v6, v2, v10
	v_add_f32_e32 v7, v3, v140
	ds_read2_b64 v[2:5], v1 offset0:93 offset1:94
	v_add_f32_e32 v10, v6, v11
	s_waitcnt vmcnt(49)
	v_mul_f32_e32 v11, v8, v157
	v_mul_f32_e32 v6, v9, v157
	v_add_f32_e32 v131, v7, v141
	v_add_f32_e32 v10, v10, v130
	s_waitcnt vmcnt(45)
	v_fmac_f32_e32 v11, v9, v161
	v_fma_f32 v148, v8, v161, -v6
	ds_read2_b64 v[6:9], v1 offset0:95 offset1:96
	v_add_f32_e32 v136, v131, v193
	ds_read2_b64 v[130:133], v1 offset0:97 offset1:98
	v_add_f32_e32 v10, v10, v134
	v_add_f32_e32 v136, v136, v142
	v_add_f32_e32 v10, v10, v135
	s_waitcnt vmcnt(44) lgkmcnt(2)
	v_mul_f32_e32 v134, v3, v162
	v_mul_f32_e32 v149, v2, v162
	s_waitcnt vmcnt(43)
	v_mul_f32_e32 v139, v5, v163
	v_fma_f32 v150, v2, v160, -v134
	v_add_f32_e32 v2, v136, v143
	v_fmac_f32_e32 v149, v3, v160
	v_add_f32_e32 v3, v10, v146
	ds_read2_b64 v[134:137], v1 offset0:99 offset1:100
	v_mul_f32_e32 v10, v4, v163
	v_add_f32_e32 v2, v2, v144
	s_waitcnt vmcnt(42) lgkmcnt(2)
	v_mul_f32_e32 v140, v7, v164
	v_add_f32_e32 v3, v3, v147
	v_mul_f32_e32 v156, v6, v164
	s_waitcnt vmcnt(40) lgkmcnt(1)
	v_mul_f32_e32 v160, v130, v166
	v_add_f32_e32 v2, v2, v145
	v_fma_f32 v147, v6, v158, -v140
	v_add_f32_e32 v6, v3, v138
	v_fmac_f32_e32 v156, v7, v158
	s_waitcnt vmcnt(37)
	v_fmac_f32_e32 v160, v131, v169
	v_add_f32_e32 v7, v2, v12
	v_mul_f32_e32 v12, v131, v166
	v_add_f32_e32 v131, v6, v148
	v_fma_f32 v146, v4, v159, -v139
	v_fmac_f32_e32 v10, v5, v159
	v_add_f32_e32 v11, v7, v11
	v_fma_f32 v12, v130, v169, -v12
	v_add_f32_e32 v130, v131, v150
	v_mul_f32_e32 v142, v9, v165
	v_mul_f32_e32 v157, v8, v165
	v_add_f32_e32 v11, v11, v149
	ds_read2_b64 v[2:5], v1 offset0:101 offset1:102
	ds_read2_b64 v[138:141], v1 offset0:103 offset1:104
	v_add_f32_e32 v130, v130, v146
	s_waitcnt vmcnt(36)
	v_fma_f32 v158, v8, v170, -v142
	v_fmac_f32_e32 v157, v9, v170
	v_add_f32_e32 v10, v11, v10
	s_waitcnt vmcnt(35)
	v_mul_f32_e32 v131, v133, v171
	v_add_f32_e32 v165, v130, v147
	v_mul_f32_e32 v150, v132, v171
	s_waitcnt vmcnt(34) lgkmcnt(2)
	v_mul_f32_e32 v146, v135, v172
	v_add_f32_e32 v156, v10, v156
	v_fma_f32 v163, v132, v168, -v131
	v_add_f32_e32 v158, v165, v158
	v_mul_f32_e32 v159, v134, v172
	v_fmac_f32_e32 v150, v133, v168
	v_add_f32_e32 v156, v156, v157
	s_waitcnt vmcnt(33)
	v_mul_f32_e32 v162, v137, v173
	v_add_f32_e32 v12, v158, v12
	v_fma_f32 v164, v134, v167, -v146
	v_mul_f32_e32 v161, v136, v173
	v_add_f32_e32 v156, v156, v160
	v_fmac_f32_e32 v159, v135, v167
	v_add_f32_e32 v12, v12, v163
	s_waitcnt vmcnt(26)
	v_fma_f32 v162, v136, v180, -v162
	s_waitcnt lgkmcnt(1)
	v_mul_f32_e32 v166, v3, v174
	v_add_f32_e32 v150, v156, v150
	ds_read2_b64 v[6:9], v1 offset0:105 offset1:106
	ds_read2_b64 v[142:145], v1 offset0:107 offset1:108
	v_add_f32_e32 v12, v12, v164
	v_fmac_f32_e32 v161, v137, v180
	v_mul_f32_e32 v165, v2, v174
	v_add_f32_e32 v150, v150, v159
	v_mul_f32_e32 v167, v5, v175
	v_fma_f32 v2, v2, v179, -v166
	v_add_f32_e32 v12, v12, v162
	v_mul_f32_e32 v157, v4, v175
	v_fmac_f32_e32 v165, v3, v179
	v_add_f32_e32 v150, v150, v161
	s_waitcnt lgkmcnt(2)
	v_mul_f32_e32 v166, v139, v176
	v_fma_f32 v4, v4, v178, -v167
	v_add_f32_e32 v2, v12, v2
	v_mul_f32_e32 v158, v138, v176
	v_fmac_f32_e32 v157, v5, v178
	v_add_f32_e32 v12, v150, v165
	s_waitcnt vmcnt(25)
	v_mul_f32_e32 v161, v141, v181
	v_fma_f32 v138, v138, v177, -v166
	v_add_f32_e32 v2, v2, v4
	v_mul_f32_e32 v160, v140, v181
	v_fmac_f32_e32 v158, v139, v177
	v_add_f32_e32 v4, v12, v157
	s_waitcnt vmcnt(24) lgkmcnt(1)
	v_mul_f32_e32 v12, v7, v182
	v_add_f32_e32 v2, v2, v138
	ds_read2_b64 v[130:133], v1 offset0:109 offset1:110
	ds_read2_b64 v[146:149], v1 offset0:111 offset1:112
	v_mul_f32_e32 v3, v6, v182
	v_add_f32_e32 v4, v4, v158
	s_waitcnt vmcnt(23)
	v_mul_f32_e32 v138, v9, v183
	v_mul_f32_e32 v163, v8, v183
	s_waitcnt vmcnt(22) lgkmcnt(2)
	v_mul_f32_e32 v156, v142, v184
	s_waitcnt vmcnt(21)
	v_mul_f32_e32 v5, v144, v185
	ds_read2_b64 v[134:137], v1 offset0:113 offset1:114
	ds_read_b64 v[10:11], v1 offset:920
	s_waitcnt vmcnt(20) lgkmcnt(3)
	v_mul_f32_e32 v167, v130, v186
	s_waitcnt vmcnt(19)
	v_mul_f32_e32 v159, v132, v187
	s_waitcnt vmcnt(18) lgkmcnt(2)
	v_mul_f32_e32 v164, v146, v188
	s_waitcnt vmcnt(16)
	v_mul_f32_e32 v168, v148, v194
	s_waitcnt vmcnt(12)
	v_fmac_f32_e32 v156, v143, v198
	s_waitcnt vmcnt(11)
	v_fma_f32 v8, v8, v199, -v138
	s_waitcnt vmcnt(10)
	v_fma_f32 v6, v6, v200, -v12
	;; [unrolled: 2-line block ×3, first 2 shown]
	v_fmac_f32_e32 v160, v141, v201
	v_fmac_f32_e32 v3, v7, v200
	v_mul_f32_e32 v7, v143, v184
	v_fmac_f32_e32 v163, v9, v199
	v_add_f32_e32 v2, v2, v139
	v_add_f32_e32 v4, v4, v160
	s_waitcnt lgkmcnt(1)
	v_mul_f32_e32 v162, v134, v195
	v_mul_f32_e32 v169, v136, v196
	s_waitcnt lgkmcnt(0)
	v_mul_f32_e32 v150, v10, v197
	v_add_f32_e32 v2, v2, v6
	v_add_f32_e32 v3, v4, v3
	v_mul_f32_e32 v4, v145, v185
	v_fma_f32 v6, v142, v198, -v7
	v_mul_f32_e32 v7, v131, v186
	v_add_f32_e32 v2, v2, v8
	v_add_f32_e32 v3, v3, v163
	;; [unrolled: 1-line block ×4, first 2 shown]
	v_mul_f32_e32 v6, v133, v187
	s_waitcnt vmcnt(8)
	v_fmac_f32_e32 v164, v147, v151
	s_waitcnt vmcnt(7)
	v_fmac_f32_e32 v159, v133, v152
	s_waitcnt vmcnt(6)
	v_fma_f32 v7, v130, v153, -v7
	s_waitcnt vmcnt(5)
	v_fma_f32 v4, v144, v154, -v4
	v_fmac_f32_e32 v5, v145, v154
	v_fmac_f32_e32 v167, v131, v153
	s_waitcnt vmcnt(1)
	v_fmac_f32_e32 v168, v149, v203
	v_fmac_f32_e32 v162, v135, v202
	v_add_f32_e32 v2, v2, v4
	v_add_f32_e32 v3, v3, v5
	v_mul_f32_e32 v4, v147, v188
	v_fma_f32 v5, v132, v152, -v6
	v_mul_f32_e32 v6, v149, v194
	v_add_f32_e32 v2, v2, v7
	v_add_f32_e32 v3, v3, v167
	v_fma_f32 v4, v146, v151, -v4
	v_fmac_f32_e32 v169, v137, v190
	v_fma_f32 v6, v148, v203, -v6
	v_add_f32_e32 v2, v2, v5
	v_add_f32_e32 v3, v3, v159
	v_mul_f32_e32 v5, v135, v195
	v_fmac_f32_e32 v150, v11, v155
	v_add_f32_e32 v2, v2, v4
	v_add_f32_e32 v3, v3, v164
	v_mul_f32_e32 v4, v137, v196
	v_fma_f32 v5, v134, v202, -v5
	v_add_f32_e32 v2, v2, v6
	v_add_f32_e32 v3, v3, v168
	v_mul_f32_e32 v6, v11, v197
	v_fma_f32 v4, v136, v190, -v4
	v_add_f32_e32 v2, v2, v5
	v_add_f32_e32 v3, v3, v162
	v_fma_f32 v5, v10, v155, -v6
	v_add_f32_e32 v2, v2, v4
	v_add_f32_e32 v3, v3, v169
	;; [unrolled: 1-line block ×4, first 2 shown]
	s_waitcnt vmcnt(0)
	v_sub_f32_e32 v2, v191, v2
	v_sub_f32_e32 v3, v189, v3
	buffer_store_dword v2, off, s[0:3], 0 offset:176
	buffer_store_dword v3, off, s[0:3], 0 offset:180
	v_cmpx_lt_u32_e32 21, v0
	s_cbranch_execz .LBB121_319
; %bb.318:
	s_clause 0x1
	buffer_load_dword v2, off, s[0:3], 0 offset:168
	buffer_load_dword v3, off, s[0:3], 0 offset:172
	buffer_store_dword v1, off, s[0:3], 0 offset:168
	buffer_store_dword v1, off, s[0:3], 0 offset:172
	s_waitcnt vmcnt(0)
	ds_write_b64 v129, v[2:3]
.LBB121_319:
	s_or_b32 exec_lo, exec_lo, s4
	s_waitcnt lgkmcnt(0)
	s_waitcnt_vscnt null, 0x0
	s_barrier
	buffer_gl0_inv
	s_clause 0x23
	buffer_load_dword v138, off, s[0:3], 0 offset:180
	buffer_load_dword v139, off, s[0:3], 0 offset:188
	;; [unrolled: 1-line block ×36, first 2 shown]
	ds_read_b128 v[5:8], v1 offset:640
	s_clause 0x2
	buffer_load_dword v174, off, s[0:3], 0 offset:316
	buffer_load_dword v175, off, s[0:3], 0 offset:324
	;; [unrolled: 1-line block ×3, first 2 shown]
	ds_read_b128 v[9:12], v1 offset:656
	s_clause 0x3
	buffer_load_dword v177, off, s[0:3], 0 offset:364
	buffer_load_dword v4, off, s[0:3], 0 offset:372
	;; [unrolled: 1-line block ×4, first 2 shown]
	ds_read_b128 v[130:133], v1 offset:672
	s_clause 0x6
	buffer_load_dword v178, off, s[0:3], 0 offset:340
	buffer_load_dword v179, off, s[0:3], 0 offset:348
	;; [unrolled: 1-line block ×7, first 2 shown]
	ds_read_b128 v[134:137], v1 offset:688
	buffer_load_dword v188, off, s[0:3], 0 offset:172
	s_mov_b32 s4, exec_lo
	s_waitcnt vmcnt(50) lgkmcnt(3)
	v_mul_f32_e32 v185, v6, v138
	v_mul_f32_e32 v186, v5, v138
	s_waitcnt vmcnt(49)
	v_mul_f32_e32 v187, v7, v139
	v_mul_f32_e32 v138, v8, v139
	s_waitcnt vmcnt(46)
	v_fma_f32 v185, v5, v141, -v185
	v_fmac_f32_e32 v186, v6, v141
	v_fmac_f32_e32 v187, v8, v140
	v_fma_f32 v189, v7, v140, -v138
	ds_read_b128 v[5:8], v1 offset:704
	ds_read_b128 v[138:141], v1 offset:720
	s_waitcnt vmcnt(45) lgkmcnt(4)
	v_mul_f32_e32 v190, v9, v143
	v_mul_f32_e32 v143, v10, v143
	s_waitcnt vmcnt(43) lgkmcnt(3)
	v_mul_f32_e32 v192, v130, v145
	v_mul_f32_e32 v145, v131, v145
	;; [unrolled: 1-line block ×3, first 2 shown]
	v_fmac_f32_e32 v190, v10, v142
	v_fma_f32 v142, v9, v142, -v143
	s_waitcnt vmcnt(42)
	v_mul_f32_e32 v9, v133, v146
	v_mul_f32_e32 v144, v12, v144
	;; [unrolled: 1-line block ×3, first 2 shown]
	s_waitcnt vmcnt(39)
	v_fmac_f32_e32 v192, v131, v149
	v_fma_f32 v130, v130, v149, -v145
	v_fma_f32 v131, v132, v148, -v9
	s_waitcnt vmcnt(37) lgkmcnt(2)
	v_mul_f32_e32 v132, v134, v151
	v_mul_f32_e32 v9, v135, v151
	s_waitcnt vmcnt(36)
	v_mul_f32_e32 v145, v136, v152
	v_mul_f32_e32 v10, v137, v152
	v_fmac_f32_e32 v191, v12, v150
	v_fma_f32 v144, v11, v150, -v144
	s_clause 0x3
	buffer_load_dword v150, off, s[0:3], 0 offset:396
	buffer_load_dword v193, off, s[0:3], 0 offset:404
	;; [unrolled: 1-line block ×4, first 2 shown]
	v_fmac_f32_e32 v143, v133, v148
	s_clause 0x4
	buffer_load_dword v196, off, s[0:3], 0 offset:428
	buffer_load_dword v197, off, s[0:3], 0 offset:436
	;; [unrolled: 1-line block ×5, first 2 shown]
	v_fmac_f32_e32 v132, v135, v147
	v_fma_f32 v133, v134, v147, -v9
	s_waitcnt vmcnt(44) lgkmcnt(1)
	v_mul_f32_e32 v134, v5, v153
	v_mul_f32_e32 v9, v6, v153
	s_waitcnt vmcnt(40)
	v_fmac_f32_e32 v145, v137, v157
	v_fma_f32 v135, v136, v157, -v10
	s_waitcnt vmcnt(39)
	v_mul_f32_e32 v146, v7, v158
	v_mul_f32_e32 v10, v8, v158
	s_clause 0x3
	buffer_load_dword v152, off, s[0:3], 0 offset:384
	buffer_load_dword v153, off, s[0:3], 0 offset:376
	;; [unrolled: 1-line block ×4, first 2 shown]
	v_fmac_f32_e32 v134, v6, v156
	v_fma_f32 v136, v5, v156, -v9
	v_fmac_f32_e32 v146, v8, v155
	v_fma_f32 v147, v7, v155, -v10
	ds_read_b128 v[5:8], v1 offset:736
	s_waitcnt vmcnt(42) lgkmcnt(1)
	v_mul_f32_e32 v148, v138, v159
	v_mul_f32_e32 v9, v139, v159
	s_waitcnt vmcnt(41)
	v_mul_f32_e32 v149, v140, v160
	v_mul_f32_e32 v10, v141, v160
	v_fmac_f32_e32 v148, v139, v154
	v_fma_f32 v138, v138, v154, -v9
	s_clause 0x3
	buffer_load_dword v154, off, s[0:3], 0 offset:416
	buffer_load_dword v155, off, s[0:3], 0 offset:408
	;; [unrolled: 1-line block ×4, first 2 shown]
	v_add_f32_e32 v9, 0, v185
	s_waitcnt vmcnt(41)
	v_fmac_f32_e32 v149, v141, v164
	v_fma_f32 v139, v140, v164, -v10
	v_add_f32_e32 v10, 0, v186
	v_add_f32_e32 v137, v9, v189
	;; [unrolled: 1-line block ×3, first 2 shown]
	ds_read_b128 v[9:12], v1 offset:752
	v_add_f32_e32 v137, v137, v142
	s_waitcnt vmcnt(40) lgkmcnt(1)
	v_mul_f32_e32 v142, v5, v165
	v_mul_f32_e32 v141, v6, v165
	v_add_f32_e32 v140, v140, v190
	s_waitcnt vmcnt(39)
	v_mul_f32_e32 v189, v7, v166
	v_fmac_f32_e32 v142, v6, v163
	v_fma_f32 v160, v5, v163, -v141
	s_clause 0x5
	buffer_load_dword v163, off, s[0:3], 0 offset:448
	buffer_load_dword v164, off, s[0:3], 0 offset:440
	;; [unrolled: 1-line block ×6, first 2 shown]
	v_add_f32_e32 v5, v137, v144
	v_add_f32_e32 v6, v140, v191
	v_fmac_f32_e32 v189, v8, v162
	v_add_f32_e32 v5, v5, v130
	v_add_f32_e32 v6, v6, v192
	v_mul_f32_e32 v130, v8, v166
	s_waitcnt vmcnt(43) lgkmcnt(0)
	v_mul_f32_e32 v141, v12, v168
	v_mul_f32_e32 v166, v9, v167
	v_add_f32_e32 v5, v5, v131
	v_add_f32_e32 v131, v6, v143
	v_fma_f32 v162, v7, v162, -v130
	v_fmac_f32_e32 v166, v10, v161
	v_add_f32_e32 v137, v5, v133
	ds_read_b128 v[5:8], v1 offset:768
	v_add_f32_e32 v140, v131, v132
	ds_read_b128 v[130:133], v1 offset:784
	v_add_f32_e32 v135, v137, v135
	v_mul_f32_e32 v137, v10, v167
	v_add_f32_e32 v140, v140, v145
	v_mul_f32_e32 v167, v11, v168
	s_waitcnt vmcnt(39)
	v_fma_f32 v168, v11, v172, -v141
	v_add_f32_e32 v143, v135, v136
	v_fma_f32 v161, v9, v161, -v137
	v_add_f32_e32 v140, v140, v134
	v_fmac_f32_e32 v167, v12, v172
	ds_read_b128 v[9:12], v1 offset:800
	ds_read_b128 v[134:137], v1 offset:816
	v_add_f32_e32 v141, v143, v147
	v_add_f32_e32 v140, v140, v146
	;; [unrolled: 1-line block ×3, first 2 shown]
	s_waitcnt vmcnt(38) lgkmcnt(3)
	v_mul_f32_e32 v172, v5, v173
	v_mul_f32_e32 v143, v6, v173
	s_waitcnt vmcnt(37)
	v_mul_f32_e32 v173, v7, v174
	v_mul_f32_e32 v144, v8, v174
	v_add_f32_e32 v140, v140, v148
	v_fmac_f32_e32 v172, v6, v171
	v_fma_f32 v171, v5, v171, -v143
	v_add_f32_e32 v143, v138, v139
	v_fmac_f32_e32 v173, v8, v170
	v_fma_f32 v170, v7, v170, -v144
	v_add_f32_e32 v144, v140, v149
	s_waitcnt vmcnt(35) lgkmcnt(2)
	v_mul_f32_e32 v146, v133, v176
	v_add_f32_e32 v147, v143, v160
	s_waitcnt vmcnt(30) lgkmcnt(1)
	v_mul_f32_e32 v148, v10, v178
	v_mul_f32_e32 v174, v130, v175
	;; [unrolled: 1-line block ×3, first 2 shown]
	s_waitcnt vmcnt(24)
	v_fma_f32 v160, v132, v184, -v146
	v_add_f32_e32 v146, v144, v142
	v_add_f32_e32 v147, v147, v162
	v_mul_f32_e32 v162, v9, v178
	v_fmac_f32_e32 v174, v131, v169
	v_fma_f32 v169, v130, v169, -v145
	v_add_f32_e32 v146, v146, v189
	v_mul_f32_e32 v175, v132, v176
	v_fmac_f32_e32 v162, v10, v183
	v_add_f32_e32 v10, v147, v161
	ds_read_b128 v[5:8], v1 offset:832
	ds_read_b128 v[138:141], v1 offset:848
	v_add_f32_e32 v146, v146, v166
	v_fmac_f32_e32 v175, v133, v184
	v_mul_f32_e32 v149, v12, v179
	v_add_f32_e32 v168, v10, v168
	v_fma_f32 v161, v9, v183, -v148
	v_add_f32_e32 v167, v146, v167
	v_mul_f32_e32 v176, v11, v179
	v_fma_f32 v166, v11, v182, -v149
	v_add_f32_e32 v168, v168, v171
	s_waitcnt lgkmcnt(2)
	v_mul_f32_e32 v171, v135, v180
	v_add_f32_e32 v167, v167, v172
	ds_read_b128 v[130:133], v1 offset:864
	ds_read_b128 v[142:145], v1 offset:880
	v_fmac_f32_e32 v176, v12, v182
	v_add_f32_e32 v168, v168, v170
	ds_read_b128 v[9:12], v1 offset:896
	ds_read_b128 v[146:149], v1 offset:912
	v_add_f32_e32 v167, v167, v173
	v_mul_f32_e32 v1, v134, v180
	v_mul_f32_e32 v172, v136, v177
	v_add_f32_e32 v168, v168, v169
	v_mul_f32_e32 v177, v137, v177
	v_add_f32_e32 v167, v167, v174
	v_fma_f32 v134, v134, v181, -v171
	v_fmac_f32_e32 v1, v135, v181
	v_add_f32_e32 v160, v168, v160
	s_waitcnt lgkmcnt(5)
	v_mul_f32_e32 v170, v5, v4
	v_add_f32_e32 v167, v167, v175
	v_mul_f32_e32 v4, v6, v4
	v_mul_f32_e32 v173, v7, v3
	v_add_f32_e32 v160, v160, v161
	v_mul_f32_e32 v3, v8, v3
	v_add_f32_e32 v162, v167, v162
	s_waitcnt lgkmcnt(4)
	v_mul_f32_e32 v178, v138, v2
	v_mul_f32_e32 v2, v139, v2
	v_add_f32_e32 v160, v160, v166
	v_add_f32_e32 v162, v162, v176
	;; [unrolled: 1-line block ×4, first 2 shown]
	s_waitcnt vmcnt(22)
	v_mul_f32_e32 v169, v140, v150
	s_waitcnt vmcnt(21) lgkmcnt(3)
	v_mul_f32_e32 v174, v130, v193
	s_waitcnt vmcnt(20)
	v_mul_f32_e32 v179, v132, v194
	s_waitcnt vmcnt(19) lgkmcnt(2)
	v_mul_f32_e32 v168, v142, v195
	;; [unrolled: 4-line block ×4, first 2 shown]
	s_waitcnt vmcnt(14)
	v_mul_f32_e32 v135, v148, v151
	s_waitcnt vmcnt(13)
	v_fma_f32 v2, v138, v152, -v2
	s_waitcnt vmcnt(12)
	v_fma_f32 v3, v7, v153, -v3
	;; [unrolled: 2-line block ×4, first 2 shown]
	v_fmac_f32_e32 v172, v137, v158
	v_fmac_f32_e32 v170, v6, v157
	;; [unrolled: 1-line block ×4, first 2 shown]
	v_add_f32_e32 v5, v134, v136
	v_add_f32_e32 v1, v1, v172
	;; [unrolled: 1-line block ×4, first 2 shown]
	v_mul_f32_e32 v5, v141, v150
	s_waitcnt vmcnt(6)
	v_fmac_f32_e32 v169, v141, v159
	v_fmac_f32_e32 v174, v131, v156
	v_add_f32_e32 v3, v4, v3
	v_add_f32_e32 v1, v1, v173
	v_mul_f32_e32 v4, v131, v193
	v_fma_f32 v5, v140, v159, -v5
	v_fmac_f32_e32 v179, v133, v155
	v_add_f32_e32 v2, v3, v2
	v_add_f32_e32 v1, v1, v178
	v_mul_f32_e32 v3, v133, v194
	v_fma_f32 v4, v130, v156, -v4
	;; [unrolled: 5-line block ×3, first 2 shown]
	s_waitcnt vmcnt(5)
	v_fmac_f32_e32 v167, v147, v163
	v_add_f32_e32 v2, v2, v4
	v_add_f32_e32 v1, v1, v174
	v_mul_f32_e32 v4, v145, v196
	v_fma_f32 v5, v142, v154, -v5
	s_waitcnt vmcnt(2)
	v_fmac_f32_e32 v175, v145, v185
	v_add_f32_e32 v2, v2, v3
	v_add_f32_e32 v1, v1, v179
	v_mul_f32_e32 v3, v10, v197
	v_fma_f32 v4, v144, v185, -v4
	v_fmac_f32_e32 v180, v10, v165
	v_add_f32_e32 v2, v2, v5
	v_add_f32_e32 v1, v1, v168
	v_mul_f32_e32 v5, v12, v198
	v_fma_f32 v3, v9, v165, -v3
	;; [unrolled: 5-line block ×3, first 2 shown]
	s_waitcnt vmcnt(1)
	v_fmac_f32_e32 v135, v149, v186
	v_add_f32_e32 v2, v2, v3
	v_add_f32_e32 v1, v1, v180
	v_mul_f32_e32 v3, v149, v151
	v_fma_f32 v4, v146, v163, -v4
	v_add_f32_e32 v2, v2, v5
	v_add_f32_e32 v1, v1, v161
	v_fma_f32 v3, v148, v186, -v3
	v_add_f32_e32 v2, v2, v4
	v_add_f32_e32 v1, v1, v167
	;; [unrolled: 1-line block ×4, first 2 shown]
	s_waitcnt vmcnt(0)
	v_sub_f32_e32 v2, v187, v2
	v_sub_f32_e32 v1, v188, v1
	buffer_store_dword v2, off, s[0:3], 0 offset:168
	buffer_store_dword v1, off, s[0:3], 0 offset:172
	v_cmpx_lt_u32_e32 20, v0
	s_cbranch_execz .LBB121_321
; %bb.320:
	s_clause 0x1
	buffer_load_dword v1, off, s[0:3], 0 offset:160
	buffer_load_dword v2, off, s[0:3], 0 offset:164
	v_mov_b32_e32 v3, 0
	buffer_store_dword v3, off, s[0:3], 0 offset:160
	buffer_store_dword v3, off, s[0:3], 0 offset:164
	s_waitcnt vmcnt(0)
	ds_write_b64 v129, v[1:2]
.LBB121_321:
	s_or_b32 exec_lo, exec_lo, s4
	s_waitcnt lgkmcnt(0)
	s_waitcnt_vscnt null, 0x0
	s_barrier
	buffer_gl0_inv
	s_clause 0x25
	buffer_load_dword v2, off, s[0:3], 0 offset:172
	buffer_load_dword v3, off, s[0:3], 0 offset:180
	;; [unrolled: 1-line block ×38, first 2 shown]
	v_mov_b32_e32 v1, 0
	ds_read2_b64 v[4:7], v1 offset0:79 offset1:80
	ds_read2_b64 v[8:11], v1 offset0:81 offset1:82
	s_clause 0x10
	buffer_load_dword v173, off, s[0:3], 0 offset:324
	buffer_load_dword v174, off, s[0:3], 0 offset:332
	;; [unrolled: 1-line block ×17, first 2 shown]
	ds_read2_b64 v[130:133], v1 offset0:83 offset1:84
	ds_read2_b64 v[134:137], v1 offset0:85 offset1:86
	s_mov_b32 s4, exec_lo
	s_waitcnt vmcnt(54) lgkmcnt(3)
	v_mul_f32_e32 v190, v5, v2
	v_mul_f32_e32 v191, v4, v2
	s_waitcnt vmcnt(53)
	v_mul_f32_e32 v192, v6, v3
	v_mul_f32_e32 v2, v7, v3
	s_waitcnt vmcnt(52) lgkmcnt(2)
	v_mul_f32_e32 v193, v8, v12
	v_mul_f32_e32 v3, v9, v12
	s_waitcnt vmcnt(49)
	v_fma_f32 v12, v4, v140, -v190
	s_waitcnt vmcnt(48)
	v_mul_f32_e32 v4, v11, v141
	v_fmac_f32_e32 v191, v5, v140
	v_mul_f32_e32 v140, v10, v141
	v_fmac_f32_e32 v192, v7, v139
	v_fma_f32 v139, v6, v139, -v2
	v_fmac_f32_e32 v193, v9, v138
	v_fma_f32 v138, v8, v138, -v3
	s_waitcnt vmcnt(44)
	v_fma_f32 v10, v10, v145, -v4
	ds_read2_b64 v[2:5], v1 offset0:87 offset1:88
	ds_read2_b64 v[6:9], v1 offset0:89 offset1:90
	v_fmac_f32_e32 v140, v11, v145
	s_waitcnt vmcnt(43) lgkmcnt(3)
	v_mul_f32_e32 v11, v130, v146
	v_mul_f32_e32 v141, v131, v146
	s_waitcnt vmcnt(42)
	v_mul_f32_e32 v145, v132, v147
	v_mul_f32_e32 v146, v133, v147
	s_waitcnt vmcnt(41) lgkmcnt(2)
	v_mul_f32_e32 v147, v134, v148
	v_mul_f32_e32 v148, v135, v148
	v_fmac_f32_e32 v11, v131, v144
	v_fma_f32 v130, v130, v144, -v141
	s_waitcnt vmcnt(40)
	v_mul_f32_e32 v131, v136, v149
	v_mul_f32_e32 v141, v137, v149
	v_fmac_f32_e32 v145, v133, v143
	v_fma_f32 v132, v132, v143, -v146
	v_fmac_f32_e32 v147, v135, v142
	v_fma_f32 v133, v134, v142, -v148
	s_waitcnt vmcnt(36)
	v_fmac_f32_e32 v131, v137, v153
	v_fma_f32 v134, v136, v153, -v141
	s_clause 0x3
	buffer_load_dword v190, off, s[0:3], 0 offset:388
	buffer_load_dword v194, off, s[0:3], 0 offset:396
	buffer_load_dword v195, off, s[0:3], 0 offset:404
	buffer_load_dword v196, off, s[0:3], 0 offset:412
	s_waitcnt vmcnt(39) lgkmcnt(1)
	v_mul_f32_e32 v135, v2, v154
	v_mul_f32_e32 v136, v3, v154
	s_waitcnt vmcnt(38)
	v_mul_f32_e32 v137, v4, v155
	v_mul_f32_e32 v141, v5, v155
	s_waitcnt vmcnt(37) lgkmcnt(0)
	v_mul_f32_e32 v143, v7, v156
	s_clause 0x3
	buffer_load_dword v153, off, s[0:3], 0 offset:420
	buffer_load_dword v197, off, s[0:3], 0 offset:428
	;; [unrolled: 1-line block ×4, first 2 shown]
	v_fmac_f32_e32 v135, v3, v152
	v_fma_f32 v136, v2, v152, -v136
	v_mul_f32_e32 v142, v6, v156
	v_fmac_f32_e32 v137, v5, v151
	v_fma_f32 v141, v4, v151, -v141
	ds_read2_b64 v[2:5], v1 offset0:91 offset1:92
	v_fma_f32 v143, v6, v150, -v143
	s_waitcnt vmcnt(40)
	v_mul_f32_e32 v6, v9, v157
	s_clause 0x1
	buffer_load_dword v154, off, s[0:3], 0 offset:452
	buffer_load_dword v151, off, s[0:3], 0 offset:460
	v_fmac_f32_e32 v142, v7, v150
	v_mul_f32_e32 v144, v8, v157
	s_waitcnt vmcnt(38)
	v_fma_f32 v146, v8, v161, -v6
	v_add_f32_e32 v6, 0, v12
	s_clause 0x3
	buffer_load_dword v12, off, s[0:3], 0 offset:408
	buffer_load_dword v150, off, s[0:3], 0 offset:400
	;; [unrolled: 1-line block ×4, first 2 shown]
	v_add_f32_e32 v7, 0, v191
	v_fmac_f32_e32 v144, v9, v161
	v_add_f32_e32 v6, v6, v139
	v_add_f32_e32 v139, v7, v192
	v_add_f32_e32 v138, v6, v138
	ds_read2_b64 v[6:9], v1 offset0:93 offset1:94
	s_waitcnt vmcnt(41) lgkmcnt(1)
	v_mul_f32_e32 v148, v2, v162
	v_mul_f32_e32 v149, v3, v162
	v_add_f32_e32 v139, v139, v193
	v_add_f32_e32 v10, v138, v10
	v_fmac_f32_e32 v148, v3, v160
	v_fma_f32 v138, v2, v160, -v149
	s_clause 0x6
	buffer_load_dword v156, off, s[0:3], 0 offset:440
	buffer_load_dword v157, off, s[0:3], 0 offset:432
	buffer_load_dword v160, off, s[0:3], 0 offset:424
	buffer_load_dword v161, off, s[0:3], 0 offset:416
	buffer_load_dword v162, off, s[0:3], 0 offset:456
	buffer_load_dword v191, off, s[0:3], 0 offset:448
	buffer_load_dword v192, off, s[0:3], 0 offset:160
	v_add_f32_e32 v2, v139, v140
	v_add_f32_e32 v3, v10, v130
	s_waitcnt vmcnt(47)
	v_mul_f32_e32 v10, v4, v163
	v_add_f32_e32 v2, v2, v11
	v_add_f32_e32 v3, v3, v132
	v_mul_f32_e32 v11, v5, v163
	v_fmac_f32_e32 v10, v5, v159
	s_waitcnt vmcnt(45) lgkmcnt(0)
	v_mul_f32_e32 v149, v8, v165
	v_add_f32_e32 v2, v2, v145
	v_add_f32_e32 v3, v3, v133
	v_fma_f32 v11, v4, v159, -v11
	s_waitcnt vmcnt(41)
	v_fmac_f32_e32 v149, v9, v169
	v_add_f32_e32 v130, v2, v147
	v_add_f32_e32 v134, v3, v134
	ds_read2_b64 v[2:5], v1 offset0:95 offset1:96
	v_mul_f32_e32 v147, v6, v164
	v_add_f32_e32 v139, v130, v131
	v_add_f32_e32 v134, v134, v136
	v_mul_f32_e32 v136, v7, v164
	ds_read2_b64 v[130:133], v1 offset0:97 offset1:98
	v_fmac_f32_e32 v147, v7, v158
	v_add_f32_e32 v135, v139, v135
	v_mul_f32_e32 v139, v9, v165
	v_add_f32_e32 v140, v134, v141
	v_fma_f32 v158, v6, v158, -v136
	v_fma_f32 v159, v8, v169, -v139
	v_add_f32_e32 v139, v135, v137
	v_add_f32_e32 v140, v140, v143
	ds_read2_b64 v[6:9], v1 offset0:99 offset1:100
	ds_read2_b64 v[134:137], v1 offset0:101 offset1:102
	v_add_f32_e32 v139, v139, v142
	s_waitcnt vmcnt(39) lgkmcnt(3)
	v_mul_f32_e32 v164, v4, v171
	v_mul_f32_e32 v142, v5, v171
	v_add_f32_e32 v140, v140, v146
	v_mul_f32_e32 v141, v3, v170
	v_add_f32_e32 v139, v139, v144
	v_fmac_f32_e32 v164, v5, v167
	v_fma_f32 v167, v4, v167, -v142
	v_add_f32_e32 v142, v140, v138
	v_mul_f32_e32 v163, v2, v170
	v_add_f32_e32 v144, v139, v148
	v_fma_f32 v146, v2, v168, -v141
	s_waitcnt vmcnt(38) lgkmcnt(2)
	v_mul_f32_e32 v165, v130, v172
	v_add_f32_e32 v11, v142, v11
	v_fmac_f32_e32 v163, v3, v168
	v_add_f32_e32 v10, v144, v10
	v_mul_f32_e32 v143, v131, v172
	s_waitcnt vmcnt(37)
	v_mul_f32_e32 v145, v133, v173
	v_add_f32_e32 v11, v11, v158
	s_waitcnt vmcnt(36) lgkmcnt(1)
	v_mul_f32_e32 v158, v6, v174
	v_add_f32_e32 v10, v10, v147
	v_mul_f32_e32 v147, v7, v174
	v_fmac_f32_e32 v165, v131, v166
	v_fma_f32 v166, v130, v166, -v143
	s_waitcnt vmcnt(31)
	v_fmac_f32_e32 v158, v7, v179
	v_add_f32_e32 v7, v11, v159
	v_add_f32_e32 v10, v10, v149
	v_mul_f32_e32 v169, v132, v173
	s_waitcnt vmcnt(30)
	v_fma_f32 v168, v132, v180, -v145
	ds_read2_b64 v[2:5], v1 offset0:103 offset1:104
	ds_read2_b64 v[138:141], v1 offset0:105 offset1:106
	v_add_f32_e32 v172, v7, v146
	v_add_f32_e32 v163, v10, v163
	v_fmac_f32_e32 v169, v133, v180
	v_mul_f32_e32 v148, v9, v175
	v_fma_f32 v159, v6, v179, -v147
	v_add_f32_e32 v167, v172, v167
	v_add_f32_e32 v163, v163, v164
	v_mul_f32_e32 v170, v8, v175
	v_fma_f32 v171, v8, v178, -v148
	s_waitcnt lgkmcnt(2)
	v_mul_f32_e32 v173, v135, v176
	v_add_f32_e32 v166, v167, v166
	v_add_f32_e32 v163, v163, v165
	v_fmac_f32_e32 v170, v9, v178
	v_mul_f32_e32 v172, v134, v176
	s_waitcnt vmcnt(29)
	v_mul_f32_e32 v174, v137, v181
	v_add_f32_e32 v166, v166, v168
	v_add_f32_e32 v163, v163, v169
	v_fma_f32 v134, v134, v177, -v173
	v_mul_f32_e32 v164, v136, v181
	v_fmac_f32_e32 v172, v135, v177
	v_add_f32_e32 v159, v166, v159
	v_add_f32_e32 v158, v163, v158
	s_waitcnt vmcnt(28) lgkmcnt(1)
	v_mul_f32_e32 v167, v2, v182
	v_mul_f32_e32 v173, v3, v182
	s_waitcnt vmcnt(22)
	v_fma_f32 v136, v136, v188, -v174
	v_add_f32_e32 v159, v159, v171
	v_add_f32_e32 v158, v158, v170
	ds_read2_b64 v[130:133], v1 offset0:107 offset1:108
	ds_read2_b64 v[142:145], v1 offset0:109 offset1:110
	v_fmac_f32_e32 v164, v137, v188
	v_mul_f32_e32 v170, v5, v183
	v_add_f32_e32 v134, v159, v134
	v_add_f32_e32 v158, v158, v172
	v_fmac_f32_e32 v167, v3, v187
	v_fma_f32 v2, v2, v187, -v173
	v_mul_f32_e32 v165, v4, v183
	v_add_f32_e32 v3, v134, v136
	v_add_f32_e32 v134, v158, v164
	s_waitcnt lgkmcnt(2)
	v_mul_f32_e32 v136, v139, v184
	v_fma_f32 v4, v4, v186, -v170
	v_mul_f32_e32 v135, v138, v184
	v_add_f32_e32 v2, v3, v2
	v_fmac_f32_e32 v165, v5, v186
	v_add_f32_e32 v3, v134, v167
	v_fma_f32 v134, v138, v185, -v136
	v_fmac_f32_e32 v135, v139, v185
	v_add_f32_e32 v2, v2, v4
	ds_read2_b64 v[6:9], v1 offset0:111 offset1:112
	ds_read2_b64 v[146:149], v1 offset0:113 offset1:114
	ds_read_b64 v[10:11], v1 offset:920
	v_add_f32_e32 v3, v3, v165
	v_add_f32_e32 v2, v2, v134
	;; [unrolled: 1-line block ×3, first 2 shown]
	s_waitcnt vmcnt(20)
	v_mul_f32_e32 v5, v141, v190
	v_mul_f32_e32 v168, v140, v190
	s_waitcnt vmcnt(19) lgkmcnt(4)
	v_mul_f32_e32 v4, v131, v194
	v_mul_f32_e32 v169, v130, v194
	s_waitcnt vmcnt(18)
	v_mul_f32_e32 v134, v133, v195
	v_mul_f32_e32 v137, v132, v195
	s_waitcnt vmcnt(17) lgkmcnt(3)
	v_mul_f32_e32 v174, v142, v196
	s_waitcnt vmcnt(16)
	v_mul_f32_e32 v163, v144, v153
	s_waitcnt vmcnt(15) lgkmcnt(2)
	v_mul_f32_e32 v166, v6, v197
	s_waitcnt vmcnt(14)
	;; [unrolled: 4-line block ×4, first 2 shown]
	v_fmac_f32_e32 v174, v143, v12
	s_waitcnt vmcnt(9)
	v_fmac_f32_e32 v137, v133, v150
	s_waitcnt vmcnt(8)
	v_fma_f32 v4, v130, v152, -v4
	s_waitcnt vmcnt(7)
	v_fma_f32 v5, v140, v155, -v5
	v_fmac_f32_e32 v168, v141, v155
	v_fmac_f32_e32 v169, v131, v152
	v_fma_f32 v130, v132, v150, -v134
	v_add_f32_e32 v2, v2, v5
	v_add_f32_e32 v3, v3, v168
	v_mul_f32_e32 v5, v143, v196
	v_add_f32_e32 v2, v2, v4
	v_add_f32_e32 v3, v3, v169
	v_mul_f32_e32 v4, v145, v153
	v_fma_f32 v5, v142, v12, -v5
	v_mul_f32_e32 v12, v7, v197
	v_add_f32_e32 v2, v2, v130
	v_add_f32_e32 v3, v3, v137
	s_waitcnt vmcnt(4)
	v_fmac_f32_e32 v166, v7, v160
	s_waitcnt vmcnt(3)
	v_fma_f32 v4, v144, v161, -v4
	v_fmac_f32_e32 v163, v145, v161
	v_add_f32_e32 v2, v2, v5
	v_add_f32_e32 v3, v3, v174
	v_mul_f32_e32 v5, v9, v198
	v_fma_f32 v6, v6, v160, -v12
	v_fmac_f32_e32 v175, v9, v157
	v_add_f32_e32 v2, v2, v4
	v_add_f32_e32 v3, v3, v163
	v_mul_f32_e32 v4, v147, v199
	;; [unrolled: 5-line block ×3, first 2 shown]
	v_fma_f32 v4, v146, v156, -v4
	s_waitcnt vmcnt(1)
	v_fmac_f32_e32 v176, v149, v191
	v_add_f32_e32 v2, v2, v5
	v_add_f32_e32 v3, v3, v175
	v_mul_f32_e32 v5, v11, v151
	v_fma_f32 v6, v148, v191, -v6
	v_fmac_f32_e32 v159, v11, v162
	v_add_f32_e32 v2, v2, v4
	v_add_f32_e32 v3, v3, v171
	v_fma_f32 v4, v10, v162, -v5
	v_add_f32_e32 v2, v2, v6
	v_add_f32_e32 v3, v3, v176
	;; [unrolled: 1-line block ×4, first 2 shown]
	s_waitcnt vmcnt(0)
	v_sub_f32_e32 v2, v192, v2
	v_sub_f32_e32 v3, v189, v3
	buffer_store_dword v2, off, s[0:3], 0 offset:160
	buffer_store_dword v3, off, s[0:3], 0 offset:164
	v_cmpx_lt_u32_e32 19, v0
	s_cbranch_execz .LBB121_323
; %bb.322:
	s_clause 0x1
	buffer_load_dword v2, off, s[0:3], 0 offset:152
	buffer_load_dword v3, off, s[0:3], 0 offset:156
	buffer_store_dword v1, off, s[0:3], 0 offset:152
	buffer_store_dword v1, off, s[0:3], 0 offset:156
	s_waitcnt vmcnt(0)
	ds_write_b64 v129, v[2:3]
.LBB121_323:
	s_or_b32 exec_lo, exec_lo, s4
	s_waitcnt lgkmcnt(0)
	s_waitcnt_vscnt null, 0x0
	s_barrier
	buffer_gl0_inv
	s_clause 0x1e
	buffer_load_dword v2, off, s[0:3], 0 offset:164
	buffer_load_dword v3, off, s[0:3], 0 offset:172
	;; [unrolled: 1-line block ×31, first 2 shown]
	ds_read_b128 v[4:7], v1 offset:624
	s_clause 0x3
	buffer_load_dword v174, off, s[0:3], 0 offset:304
	buffer_load_dword v175, off, s[0:3], 0 offset:296
	;; [unrolled: 1-line block ×4, first 2 shown]
	ds_read_b128 v[8:11], v1 offset:640
	s_clause 0xa
	buffer_load_dword v178, off, s[0:3], 0 offset:292
	buffer_load_dword v179, off, s[0:3], 0 offset:300
	;; [unrolled: 1-line block ×11, first 2 shown]
	ds_read_b128 v[130:133], v1 offset:656
	ds_read_b128 v[134:137], v1 offset:672
	;; [unrolled: 1-line block ×4, first 2 shown]
	buffer_load_dword v189, off, s[0:3], 0 offset:156
	s_mov_b32 s4, exec_lo
	s_waitcnt vmcnt(46) lgkmcnt(5)
	v_mul_f32_e32 v190, v5, v2
	v_mul_f32_e32 v191, v4, v2
	s_waitcnt vmcnt(45)
	v_mul_f32_e32 v192, v6, v3
	v_mul_f32_e32 v2, v7, v3
	s_waitcnt vmcnt(44) lgkmcnt(4)
	v_mul_f32_e32 v193, v8, v12
	v_mul_f32_e32 v3, v9, v12
	s_waitcnt vmcnt(41)
	v_fma_f32 v12, v4, v148, -v190
	v_fmac_f32_e32 v191, v5, v148
	s_waitcnt vmcnt(40)
	v_mul_f32_e32 v148, v10, v149
	v_mul_f32_e32 v4, v11, v149
	v_fmac_f32_e32 v192, v7, v147
	s_waitcnt vmcnt(35) lgkmcnt(3)
	v_mul_f32_e32 v149, v131, v154
	v_fma_f32 v147, v6, v147, -v2
	v_fmac_f32_e32 v148, v11, v153
	v_mul_f32_e32 v11, v130, v154
	v_fma_f32 v10, v10, v153, -v4
	s_waitcnt vmcnt(34)
	v_mul_f32_e32 v153, v132, v155
	v_mul_f32_e32 v154, v133, v155
	s_waitcnt vmcnt(33) lgkmcnt(2)
	v_mul_f32_e32 v155, v134, v156
	v_mul_f32_e32 v156, v135, v156
	v_fmac_f32_e32 v11, v131, v152
	v_fma_f32 v130, v130, v152, -v149
	s_waitcnt vmcnt(32)
	v_mul_f32_e32 v131, v136, v157
	v_mul_f32_e32 v149, v137, v157
	v_fmac_f32_e32 v193, v9, v146
	v_fma_f32 v146, v8, v146, -v3
	ds_read_b128 v[2:5], v1 offset:720
	ds_read_b128 v[6:9], v1 offset:736
	v_fmac_f32_e32 v153, v133, v151
	v_fma_f32 v132, v132, v151, -v154
	v_fmac_f32_e32 v155, v135, v150
	v_fma_f32 v133, v134, v150, -v156
	s_waitcnt vmcnt(28)
	v_fmac_f32_e32 v131, v137, v161
	v_fma_f32 v134, v136, v161, -v149
	s_clause 0x7
	buffer_load_dword v149, off, s[0:3], 0 offset:348
	buffer_load_dword v150, off, s[0:3], 0 offset:356
	;; [unrolled: 1-line block ×8, first 2 shown]
	s_waitcnt vmcnt(35) lgkmcnt(3)
	v_mul_f32_e32 v135, v138, v162
	v_mul_f32_e32 v136, v139, v162
	s_waitcnt vmcnt(34)
	v_mul_f32_e32 v137, v140, v163
	v_mul_f32_e32 v162, v141, v163
	s_waitcnt vmcnt(33) lgkmcnt(2)
	v_mul_f32_e32 v163, v142, v164
	v_mul_f32_e32 v164, v143, v164
	v_fmac_f32_e32 v135, v139, v160
	v_fma_f32 v136, v138, v160, -v136
	s_waitcnt vmcnt(32)
	v_mul_f32_e32 v138, v144, v165
	v_mul_f32_e32 v139, v145, v165
	v_fmac_f32_e32 v137, v141, v159
	v_fmac_f32_e32 v163, v143, v158
	v_fma_f32 v141, v142, v158, -v164
	s_waitcnt vmcnt(28)
	v_fmac_f32_e32 v138, v145, v169
	v_fma_f32 v139, v144, v169, -v139
	s_waitcnt vmcnt(27) lgkmcnt(1)
	v_mul_f32_e32 v142, v2, v170
	v_mul_f32_e32 v143, v3, v170
	s_waitcnt vmcnt(26)
	v_mul_f32_e32 v144, v4, v171
	v_mul_f32_e32 v145, v5, v171
	v_fma_f32 v140, v140, v159, -v162
	s_clause 0x8
	buffer_load_dword v159, off, s[0:3], 0 offset:380
	buffer_load_dword v160, off, s[0:3], 0 offset:388
	;; [unrolled: 1-line block ×9, first 2 shown]
	v_fmac_f32_e32 v142, v3, v168
	v_fma_f32 v143, v2, v168, -v143
	buffer_load_dword v168, off, s[0:3], 0 offset:452
	v_fmac_f32_e32 v144, v5, v167
	v_fma_f32 v145, v4, v167, -v145
	s_clause 0x4
	buffer_load_dword v167, off, s[0:3], 0 offset:460
	buffer_load_dword v171, off, s[0:3], 0 offset:400
	;; [unrolled: 1-line block ×5, first 2 shown]
	v_add_f32_e32 v3, 0, v191
	v_add_f32_e32 v2, 0, v12
	s_waitcnt vmcnt(40) lgkmcnt(0)
	v_mul_f32_e32 v4, v7, v172
	v_add_f32_e32 v3, v3, v192
	v_add_f32_e32 v2, v2, v147
	v_fma_f32 v147, v6, v166, -v4
	v_add_f32_e32 v3, v3, v193
	s_clause 0x3
	buffer_load_dword v12, off, s[0:3], 0 offset:432
	buffer_load_dword v191, off, s[0:3], 0 offset:424
	buffer_load_dword v192, off, s[0:3], 0 offset:416
	buffer_load_dword v193, off, s[0:3], 0 offset:408
	v_add_f32_e32 v2, v2, v146
	v_mul_f32_e32 v146, v6, v172
	v_add_f32_e32 v3, v3, v148
	s_waitcnt vmcnt(43)
	v_mul_f32_e32 v148, v8, v173
	v_add_f32_e32 v2, v2, v10
	s_clause 0x2
	buffer_load_dword v10, off, s[0:3], 0 offset:456
	buffer_load_dword v197, off, s[0:3], 0 offset:448
	;; [unrolled: 1-line block ×3, first 2 shown]
	v_fmac_f32_e32 v146, v7, v166
	v_add_f32_e32 v3, v3, v11
	buffer_load_dword v11, off, s[0:3], 0 offset:152
	v_add_f32_e32 v2, v2, v130
	s_waitcnt vmcnt(43)
	v_fmac_f32_e32 v148, v9, v177
	v_add_f32_e32 v3, v3, v153
	v_add_f32_e32 v2, v2, v132
	;; [unrolled: 1-line block ×4, first 2 shown]
	ds_read_b128 v[2:5], v1 offset:752
	v_add_f32_e32 v131, v7, v131
	v_add_f32_e32 v130, v6, v134
	v_mul_f32_e32 v6, v9, v173
	v_add_f32_e32 v135, v131, v135
	v_add_f32_e32 v134, v130, v136
	v_fma_f32 v153, v8, v177, -v6
	ds_read_b128 v[6:9], v1 offset:768
	ds_read_b128 v[130:133], v1 offset:784
	v_add_f32_e32 v135, v135, v137
	v_add_f32_e32 v134, v134, v140
	;; [unrolled: 1-line block ×3, first 2 shown]
	s_waitcnt vmcnt(42) lgkmcnt(2)
	v_mul_f32_e32 v136, v3, v178
	v_mul_f32_e32 v155, v2, v178
	v_fma_f32 v166, v2, v176, -v136
	v_add_f32_e32 v2, v135, v163
	v_fmac_f32_e32 v155, v3, v176
	v_add_f32_e32 v3, v140, v139
	ds_read_b128 v[134:137], v1 offset:800
	s_waitcnt vmcnt(41)
	v_mul_f32_e32 v163, v4, v179
	v_add_f32_e32 v2, v2, v138
	s_waitcnt vmcnt(40) lgkmcnt(2)
	v_mul_f32_e32 v172, v6, v180
	v_mul_f32_e32 v138, v7, v180
	v_add_f32_e32 v3, v3, v143
	s_waitcnt vmcnt(38) lgkmcnt(1)
	v_mul_f32_e32 v176, v130, v182
	v_add_f32_e32 v2, v2, v142
	v_fmac_f32_e32 v172, v7, v174
	v_fma_f32 v174, v6, v174, -v138
	v_add_f32_e32 v6, v3, v145
	v_mul_f32_e32 v142, v131, v182
	v_add_f32_e32 v7, v2, v144
	s_waitcnt vmcnt(33)
	v_fmac_f32_e32 v176, v131, v187
	v_mul_f32_e32 v139, v5, v179
	v_add_f32_e32 v131, v6, v147
	v_fma_f32 v178, v130, v187, -v142
	v_add_f32_e32 v130, v7, v146
	v_fmac_f32_e32 v163, v5, v175
	v_fma_f32 v175, v4, v175, -v139
	v_add_f32_e32 v131, v131, v153
	s_waitcnt lgkmcnt(0)
	v_mul_f32_e32 v147, v135, v184
	v_add_f32_e32 v130, v130, v148
	v_mul_f32_e32 v179, v134, v184
	v_mul_f32_e32 v143, v9, v181
	v_add_f32_e32 v131, v131, v166
	v_fma_f32 v182, v134, v185, -v147
	v_add_f32_e32 v134, v130, v155
	v_mul_f32_e32 v173, v8, v181
	s_waitcnt vmcnt(32)
	v_fma_f32 v177, v8, v188, -v143
	v_add_f32_e32 v155, v131, v175
	ds_read_b128 v[2:5], v1 offset:816
	ds_read_b128 v[138:141], v1 offset:832
	v_add_f32_e32 v163, v134, v163
	v_fmac_f32_e32 v173, v9, v188
	v_mul_f32_e32 v146, v133, v183
	v_add_f32_e32 v155, v155, v174
	v_mul_f32_e32 v153, v132, v183
	v_add_f32_e32 v163, v163, v172
	v_fmac_f32_e32 v179, v135, v185
	v_fma_f32 v181, v132, v186, -v146
	v_add_f32_e32 v155, v155, v177
	v_fmac_f32_e32 v153, v133, v186
	v_add_f32_e32 v163, v163, v173
	ds_read_b128 v[6:9], v1 offset:848
	ds_read_b128 v[142:145], v1 offset:864
	v_add_f32_e32 v155, v155, v178
	v_add_f32_e32 v163, v163, v176
	;; [unrolled: 1-line block ×6, first 2 shown]
	s_waitcnt vmcnt(30)
	v_mul_f32_e32 v166, v136, v149
	v_mul_f32_e32 v180, v137, v149
	ds_read_b128 v[130:133], v1 offset:880
	ds_read_b128 v[146:149], v1 offset:896
	s_waitcnt vmcnt(28) lgkmcnt(5)
	v_mul_f32_e32 v172, v4, v151
	v_mul_f32_e32 v151, v5, v151
	s_waitcnt vmcnt(27) lgkmcnt(4)
	v_mul_f32_e32 v174, v138, v152
	v_mul_f32_e32 v152, v139, v152
	s_waitcnt vmcnt(23)
	v_fmac_f32_e32 v166, v137, v161
	v_fma_f32 v161, v136, v161, -v180
	ds_read_b128 v[134:137], v1 offset:912
	v_mul_f32_e32 v1, v2, v150
	v_mul_f32_e32 v150, v3, v150
	v_add_f32_e32 v153, v153, v166
	v_fma_f32 v4, v4, v156, -v151
	v_fmac_f32_e32 v172, v5, v156
	v_fmac_f32_e32 v1, v3, v157
	v_fma_f32 v2, v2, v157, -v150
	v_add_f32_e32 v150, v155, v161
	v_fma_f32 v138, v138, v154, -v152
	v_fmac_f32_e32 v174, v139, v154
	v_add_f32_e32 v1, v153, v1
	v_add_f32_e32 v2, v150, v2
	s_waitcnt vmcnt(22)
	v_mul_f32_e32 v5, v141, v159
	v_mul_f32_e32 v173, v140, v159
	v_add_f32_e32 v2, v2, v4
	v_add_f32_e32 v1, v1, v172
	s_waitcnt vmcnt(21) lgkmcnt(4)
	v_mul_f32_e32 v4, v7, v160
	v_mul_f32_e32 v175, v6, v160
	s_waitcnt vmcnt(20)
	v_mul_f32_e32 v177, v8, v162
	v_add_f32_e32 v2, v2, v138
	v_add_f32_e32 v1, v1, v174
	v_mul_f32_e32 v138, v9, v162
	s_waitcnt vmcnt(9)
	v_fma_f32 v4, v6, v195, -v4
	s_waitcnt vmcnt(8)
	v_fma_f32 v5, v140, v196, -v5
	v_fmac_f32_e32 v173, v141, v196
	v_fmac_f32_e32 v175, v7, v195
	v_fma_f32 v6, v8, v194, -v138
	s_waitcnt lgkmcnt(3)
	v_mul_f32_e32 v176, v142, v165
	v_add_f32_e32 v2, v2, v5
	v_add_f32_e32 v1, v1, v173
	v_mul_f32_e32 v5, v143, v165
	v_fmac_f32_e32 v177, v9, v194
	v_mul_f32_e32 v178, v144, v158
	v_add_f32_e32 v2, v2, v4
	v_add_f32_e32 v1, v1, v175
	v_mul_f32_e32 v4, v145, v158
	v_fma_f32 v5, v142, v171, -v5
	v_fmac_f32_e32 v176, v143, v171
	v_add_f32_e32 v2, v2, v6
	v_add_f32_e32 v1, v1, v177
	s_waitcnt lgkmcnt(2)
	v_mul_f32_e32 v6, v131, v164
	s_waitcnt vmcnt(4)
	v_fma_f32 v4, v144, v193, -v4
	v_mul_f32_e32 v180, v130, v164
	v_add_f32_e32 v2, v2, v5
	v_fmac_f32_e32 v178, v145, v193
	v_add_f32_e32 v1, v1, v176
	v_mul_f32_e32 v5, v133, v169
	v_fma_f32 v6, v130, v192, -v6
	v_add_f32_e32 v2, v2, v4
	v_mul_f32_e32 v163, v132, v169
	v_fmac_f32_e32 v180, v131, v192
	v_add_f32_e32 v1, v1, v178
	s_waitcnt lgkmcnt(1)
	v_mul_f32_e32 v4, v147, v190
	v_fma_f32 v5, v132, v191, -v5
	v_add_f32_e32 v2, v2, v6
	v_mul_f32_e32 v181, v146, v190
	v_fmac_f32_e32 v163, v133, v191
	v_add_f32_e32 v1, v1, v180
	v_mul_f32_e32 v6, v149, v170
	v_fma_f32 v4, v146, v12, -v4
	v_add_f32_e32 v2, v2, v5
	v_mul_f32_e32 v182, v148, v170
	v_fmac_f32_e32 v181, v147, v12
	v_add_f32_e32 v1, v1, v163
	s_waitcnt lgkmcnt(0)
	v_mul_f32_e32 v5, v135, v168
	s_waitcnt vmcnt(1)
	v_fma_f32 v6, v148, v198, -v6
	v_add_f32_e32 v2, v2, v4
	v_mul_f32_e32 v179, v134, v168
	v_fmac_f32_e32 v182, v149, v198
	v_add_f32_e32 v1, v1, v181
	v_mul_f32_e32 v4, v137, v167
	v_fma_f32 v5, v134, v197, -v5
	v_add_f32_e32 v2, v2, v6
	v_mul_f32_e32 v3, v136, v167
	v_fmac_f32_e32 v179, v135, v197
	v_add_f32_e32 v1, v1, v182
	v_fma_f32 v4, v136, v10, -v4
	v_add_f32_e32 v2, v2, v5
	v_fmac_f32_e32 v3, v137, v10
	v_add_f32_e32 v1, v1, v179
	v_add_f32_e32 v2, v2, v4
	;; [unrolled: 1-line block ×3, first 2 shown]
	s_waitcnt vmcnt(0)
	v_sub_f32_e32 v2, v11, v2
	v_sub_f32_e32 v1, v189, v1
	buffer_store_dword v2, off, s[0:3], 0 offset:152
	buffer_store_dword v1, off, s[0:3], 0 offset:156
	v_cmpx_lt_u32_e32 18, v0
	s_cbranch_execz .LBB121_325
; %bb.324:
	s_clause 0x1
	buffer_load_dword v1, off, s[0:3], 0 offset:144
	buffer_load_dword v2, off, s[0:3], 0 offset:148
	v_mov_b32_e32 v3, 0
	buffer_store_dword v3, off, s[0:3], 0 offset:144
	buffer_store_dword v3, off, s[0:3], 0 offset:148
	s_waitcnt vmcnt(0)
	ds_write_b64 v129, v[1:2]
.LBB121_325:
	s_or_b32 exec_lo, exec_lo, s4
	s_waitcnt lgkmcnt(0)
	s_waitcnt_vscnt null, 0x0
	s_barrier
	buffer_gl0_inv
	s_clause 0x25
	buffer_load_dword v2, off, s[0:3], 0 offset:156
	buffer_load_dword v3, off, s[0:3], 0 offset:164
	;; [unrolled: 1-line block ×38, first 2 shown]
	v_mov_b32_e32 v1, 0
	ds_read2_b64 v[4:7], v1 offset0:77 offset1:78
	ds_read2_b64 v[8:11], v1 offset0:79 offset1:80
	s_clause 0x10
	buffer_load_dword v173, off, s[0:3], 0 offset:308
	buffer_load_dword v174, off, s[0:3], 0 offset:316
	;; [unrolled: 1-line block ×17, first 2 shown]
	ds_read2_b64 v[130:133], v1 offset0:81 offset1:82
	ds_read2_b64 v[134:137], v1 offset0:83 offset1:84
	s_mov_b32 s4, exec_lo
	s_waitcnt vmcnt(54) lgkmcnt(3)
	v_mul_f32_e32 v190, v5, v2
	v_mul_f32_e32 v191, v4, v2
	s_waitcnt vmcnt(53)
	v_mul_f32_e32 v192, v6, v3
	v_mul_f32_e32 v2, v7, v3
	s_waitcnt vmcnt(52) lgkmcnt(2)
	v_mul_f32_e32 v193, v8, v12
	v_mul_f32_e32 v3, v9, v12
	s_waitcnt vmcnt(49)
	v_fma_f32 v12, v4, v140, -v190
	v_fmac_f32_e32 v191, v5, v140
	s_waitcnt vmcnt(48)
	v_mul_f32_e32 v140, v10, v141
	v_mul_f32_e32 v4, v11, v141
	v_fmac_f32_e32 v192, v7, v139
	s_waitcnt vmcnt(43) lgkmcnt(1)
	v_mul_f32_e32 v141, v131, v146
	v_fma_f32 v139, v6, v139, -v2
	v_fmac_f32_e32 v193, v9, v138
	v_fma_f32 v138, v8, v138, -v3
	v_fmac_f32_e32 v140, v11, v145
	v_fma_f32 v10, v10, v145, -v4
	ds_read2_b64 v[2:5], v1 offset0:85 offset1:86
	ds_read2_b64 v[6:9], v1 offset0:87 offset1:88
	v_mul_f32_e32 v11, v130, v146
	s_waitcnt vmcnt(42)
	v_mul_f32_e32 v145, v132, v147
	v_mul_f32_e32 v146, v133, v147
	s_waitcnt vmcnt(41) lgkmcnt(2)
	v_mul_f32_e32 v147, v134, v148
	v_fma_f32 v141, v130, v144, -v141
	s_waitcnt vmcnt(40)
	v_mul_f32_e32 v130, v137, v149
	v_mul_f32_e32 v148, v135, v148
	v_fmac_f32_e32 v11, v131, v144
	v_fmac_f32_e32 v145, v133, v143
	v_fma_f32 v143, v132, v143, -v146
	s_clause 0x3
	buffer_load_dword v190, off, s[0:3], 0 offset:372
	buffer_load_dword v194, off, s[0:3], 0 offset:380
	;; [unrolled: 1-line block ×4, first 2 shown]
	v_fmac_f32_e32 v147, v135, v142
	s_waitcnt vmcnt(40)
	v_fma_f32 v135, v136, v153, -v130
	ds_read2_b64 v[130:133], v1 offset0:89 offset1:90
	v_mul_f32_e32 v144, v136, v149
	v_fma_f32 v134, v134, v142, -v148
	s_waitcnt vmcnt(39) lgkmcnt(2)
	v_mul_f32_e32 v136, v2, v154
	v_fmac_f32_e32 v144, v137, v153
	v_mul_f32_e32 v137, v3, v154
	s_waitcnt vmcnt(37) lgkmcnt(1)
	v_mul_f32_e32 v149, v7, v156
	v_mul_f32_e32 v142, v4, v155
	;; [unrolled: 1-line block ×4, first 2 shown]
	v_fmac_f32_e32 v136, v3, v152
	v_fma_f32 v137, v2, v152, -v137
	s_waitcnt vmcnt(36)
	v_mul_f32_e32 v152, v8, v157
	v_mul_f32_e32 v2, v9, v157
	v_fma_f32 v149, v6, v150, -v149
	v_fmac_f32_e32 v142, v5, v151
	v_fma_f32 v146, v4, v151, -v146
	s_clause 0x3
	buffer_load_dword v151, off, s[0:3], 0 offset:404
	buffer_load_dword v153, off, s[0:3], 0 offset:412
	;; [unrolled: 1-line block ×4, first 2 shown]
	s_waitcnt vmcnt(35) lgkmcnt(0)
	v_mul_f32_e32 v156, v130, v162
	v_mul_f32_e32 v6, v131, v162
	v_fmac_f32_e32 v148, v7, v150
	v_fmac_f32_e32 v152, v9, v161
	v_fma_f32 v150, v8, v161, -v2
	ds_read2_b64 v[2:5], v1 offset0:91 offset1:92
	s_waitcnt vmcnt(34)
	v_mul_f32_e32 v157, v132, v163
	v_mul_f32_e32 v7, v133, v163
	buffer_load_dword v161, off, s[0:3], 0 offset:436
	v_fmac_f32_e32 v156, v131, v160
	v_fma_f32 v160, v130, v160, -v6
	v_add_f32_e32 v6, 0, v12
	s_clause 0x6
	buffer_load_dword v12, off, s[0:3], 0 offset:444
	buffer_load_dword v162, off, s[0:3], 0 offset:452
	;; [unrolled: 1-line block ×7, first 2 shown]
	v_fmac_f32_e32 v157, v133, v159
	v_fma_f32 v159, v132, v159, -v7
	v_add_f32_e32 v7, 0, v191
	v_add_f32_e32 v6, v6, v139
	;; [unrolled: 1-line block ×4, first 2 shown]
	s_waitcnt vmcnt(41) lgkmcnt(0)
	v_mul_f32_e32 v8, v3, v164
	v_add_f32_e32 v7, v7, v193
	s_clause 0x8
	buffer_load_dword v191, off, s[0:3], 0 offset:424
	buffer_load_dword v192, off, s[0:3], 0 offset:416
	;; [unrolled: 1-line block ×9, first 2 shown]
	v_add_f32_e32 v6, v6, v10
	v_add_f32_e32 v7, v7, v140
	v_mul_f32_e32 v10, v2, v164
	v_add_f32_e32 v6, v6, v141
	v_add_f32_e32 v7, v7, v11
	v_fmac_f32_e32 v10, v3, v158
	v_fma_f32 v11, v2, v158, -v8
	v_add_f32_e32 v6, v6, v143
	v_add_f32_e32 v7, v7, v145
	s_waitcnt vmcnt(49)
	v_mul_f32_e32 v143, v4, v165
	v_add_f32_e32 v6, v6, v134
	v_add_f32_e32 v7, v7, v147
	s_waitcnt vmcnt(45)
	v_fmac_f32_e32 v143, v5, v169
	v_add_f32_e32 v2, v6, v135
	v_add_f32_e32 v3, v7, v144
	ds_read2_b64 v[6:9], v1 offset0:93 offset1:94
	v_add_f32_e32 v130, v2, v137
	v_mul_f32_e32 v2, v5, v165
	v_add_f32_e32 v131, v3, v136
	v_add_f32_e32 v134, v130, v146
	v_fma_f32 v144, v4, v169, -v2
	ds_read2_b64 v[2:5], v1 offset0:95 offset1:96
	v_add_f32_e32 v135, v131, v142
	ds_read2_b64 v[130:133], v1 offset0:97 offset1:98
	v_add_f32_e32 v134, v134, v149
	v_add_f32_e32 v135, v135, v148
	;; [unrolled: 1-line block ×3, first 2 shown]
	s_waitcnt vmcnt(44) lgkmcnt(2)
	v_mul_f32_e32 v136, v7, v170
	v_mul_f32_e32 v146, v6, v170
	s_waitcnt vmcnt(43)
	v_mul_f32_e32 v148, v8, v171
	v_fma_f32 v147, v6, v168, -v136
	v_add_f32_e32 v6, v135, v152
	v_fmac_f32_e32 v146, v7, v168
	v_add_f32_e32 v7, v138, v160
	ds_read2_b64 v[134:137], v1 offset0:99 offset1:100
	s_waitcnt vmcnt(42) lgkmcnt(2)
	v_mul_f32_e32 v139, v3, v172
	v_add_f32_e32 v6, v6, v156
	v_mul_f32_e32 v150, v2, v172
	v_add_f32_e32 v7, v7, v159
	v_mul_f32_e32 v138, v9, v171
	v_fmac_f32_e32 v148, v9, v167
	v_add_f32_e32 v6, v6, v157
	v_fma_f32 v157, v2, v166, -v139
	v_add_f32_e32 v2, v7, v11
	v_fmac_f32_e32 v150, v3, v166
	v_fma_f32 v149, v8, v167, -v138
	v_add_f32_e32 v3, v6, v10
	s_waitcnt vmcnt(40) lgkmcnt(1)
	v_mul_f32_e32 v10, v131, v174
	v_add_f32_e32 v11, v2, v144
	v_mul_f32_e32 v142, v5, v173
	v_mul_f32_e32 v152, v4, v173
	;; [unrolled: 1-line block ×3, first 2 shown]
	s_waitcnt vmcnt(35)
	v_fma_f32 v159, v130, v179, -v10
	v_add_f32_e32 v10, v3, v143
	v_add_f32_e32 v11, v11, v147
	s_waitcnt vmcnt(34)
	v_fma_f32 v158, v4, v180, -v142
	ds_read2_b64 v[6:9], v1 offset0:101 offset1:102
	ds_read2_b64 v[138:141], v1 offset0:103 offset1:104
	v_fmac_f32_e32 v152, v5, v180
	v_add_f32_e32 v10, v10, v146
	v_add_f32_e32 v11, v11, v149
	v_mul_f32_e32 v130, v133, v175
	v_fmac_f32_e32 v156, v131, v179
	v_mul_f32_e32 v160, v132, v175
	v_add_f32_e32 v10, v10, v148
	v_add_f32_e32 v157, v11, v157
	s_waitcnt lgkmcnt(2)
	v_mul_f32_e32 v131, v135, v176
	v_fma_f32 v167, v132, v178, -v130
	v_mul_f32_e32 v164, v134, v176
	v_add_f32_e32 v150, v10, v150
	v_add_f32_e32 v157, v157, v158
	v_fmac_f32_e32 v160, v133, v178
	s_waitcnt vmcnt(33)
	v_mul_f32_e32 v166, v137, v181
	v_fma_f32 v168, v134, v177, -v131
	v_add_f32_e32 v150, v150, v152
	v_add_f32_e32 v157, v157, v159
	v_mul_f32_e32 v165, v136, v181
	v_fmac_f32_e32 v164, v135, v177
	s_waitcnt vmcnt(26)
	v_fma_f32 v166, v136, v188, -v166
	v_add_f32_e32 v150, v150, v156
	v_add_f32_e32 v157, v157, v167
	s_waitcnt lgkmcnt(1)
	v_mul_f32_e32 v169, v7, v182
	ds_read2_b64 v[2:5], v1 offset0:105 offset1:106
	ds_read2_b64 v[142:145], v1 offset0:107 offset1:108
	v_fmac_f32_e32 v165, v137, v188
	v_add_f32_e32 v150, v150, v160
	v_add_f32_e32 v157, v157, v168
	v_mul_f32_e32 v158, v6, v182
	v_mul_f32_e32 v170, v9, v183
	v_fma_f32 v6, v6, v187, -v169
	v_add_f32_e32 v150, v150, v164
	v_add_f32_e32 v157, v157, v166
	v_mul_f32_e32 v152, v8, v183
	v_fmac_f32_e32 v158, v7, v187
	s_waitcnt lgkmcnt(2)
	v_mul_f32_e32 v169, v139, v184
	v_add_f32_e32 v150, v150, v165
	v_fma_f32 v8, v8, v186, -v170
	v_add_f32_e32 v6, v157, v6
	v_mul_f32_e32 v159, v138, v184
	v_fmac_f32_e32 v152, v9, v186
	v_add_f32_e32 v150, v150, v158
	v_fma_f32 v138, v138, v185, -v169
	v_add_f32_e32 v6, v6, v8
	v_fmac_f32_e32 v159, v139, v185
	ds_read2_b64 v[130:133], v1 offset0:109 offset1:110
	ds_read2_b64 v[146:149], v1 offset0:111 offset1:112
	v_add_f32_e32 v8, v150, v152
	ds_read2_b64 v[134:137], v1 offset0:113 offset1:114
	ds_read_b64 v[10:11], v1 offset:920
	v_add_f32_e32 v6, v6, v138
	v_add_f32_e32 v8, v8, v159
	s_waitcnt vmcnt(24)
	v_mul_f32_e32 v165, v141, v190
	v_mul_f32_e32 v156, v140, v190
	s_waitcnt vmcnt(23) lgkmcnt(5)
	v_mul_f32_e32 v7, v2, v194
	v_mul_f32_e32 v139, v3, v194
	s_waitcnt vmcnt(22)
	v_mul_f32_e32 v138, v5, v195
	v_mul_f32_e32 v167, v4, v195
	s_waitcnt vmcnt(21) lgkmcnt(4)
	v_mul_f32_e32 v160, v142, v196
	s_waitcnt vmcnt(20)
	v_mul_f32_e32 v9, v144, v151
	s_waitcnt vmcnt(19) lgkmcnt(3)
	v_mul_f32_e32 v170, v130, v153
	s_waitcnt vmcnt(18)
	;; [unrolled: 4-line block ×3, first 2 shown]
	v_mul_f32_e32 v171, v148, v161
	s_waitcnt vmcnt(12)
	v_fmac_f32_e32 v160, v143, v197
	s_waitcnt vmcnt(11)
	v_fma_f32 v4, v4, v198, -v138
	s_waitcnt vmcnt(10)
	v_fmac_f32_e32 v7, v3, v199
	s_waitcnt vmcnt(9)
	v_fma_f32 v140, v140, v200, -v165
	v_fmac_f32_e32 v156, v141, v200
	v_fma_f32 v2, v2, v199, -v139
	v_fmac_f32_e32 v167, v5, v198
	v_mul_f32_e32 v5, v145, v151
	v_add_f32_e32 v3, v6, v140
	v_add_f32_e32 v6, v8, v156
	v_mul_f32_e32 v8, v143, v196
	s_waitcnt lgkmcnt(1)
	v_mul_f32_e32 v166, v134, v12
	v_mul_f32_e32 v172, v136, v162
	v_add_f32_e32 v2, v3, v2
	v_add_f32_e32 v3, v6, v7
	v_fma_f32 v6, v142, v197, -v8
	s_waitcnt vmcnt(6)
	v_fmac_f32_e32 v170, v131, v193
	s_waitcnt vmcnt(5)
	v_fma_f32 v5, v144, v201, -v5
	v_add_f32_e32 v2, v2, v4
	v_add_f32_e32 v3, v3, v167
	v_mul_f32_e32 v4, v131, v153
	v_fmac_f32_e32 v9, v145, v201
	v_fmac_f32_e32 v164, v133, v192
	v_add_f32_e32 v2, v2, v6
	v_add_f32_e32 v3, v3, v160
	v_mul_f32_e32 v6, v133, v154
	v_fma_f32 v4, v130, v193, -v4
	v_fmac_f32_e32 v168, v147, v191
	v_add_f32_e32 v2, v2, v5
	v_add_f32_e32 v3, v3, v9
	v_mul_f32_e32 v5, v147, v155
	v_fma_f32 v6, v132, v192, -v6
	s_waitcnt vmcnt(1)
	v_fmac_f32_e32 v171, v149, v205
	v_add_f32_e32 v2, v2, v4
	v_add_f32_e32 v3, v3, v170
	v_mul_f32_e32 v4, v149, v161
	v_fma_f32 v5, v146, v191, -v5
	v_fmac_f32_e32 v166, v135, v204
	v_add_f32_e32 v2, v2, v6
	v_add_f32_e32 v3, v3, v164
	v_mul_f32_e32 v6, v135, v12
	v_fma_f32 v4, v148, v205, -v4
	s_waitcnt lgkmcnt(0)
	v_mul_f32_e32 v157, v10, v163
	v_add_f32_e32 v2, v2, v5
	v_add_f32_e32 v3, v3, v168
	v_mul_f32_e32 v5, v137, v162
	v_fma_f32 v6, v134, v204, -v6
	v_fmac_f32_e32 v172, v137, v203
	v_add_f32_e32 v2, v2, v4
	v_add_f32_e32 v3, v3, v171
	v_mul_f32_e32 v4, v11, v163
	v_fma_f32 v5, v136, v203, -v5
	v_fmac_f32_e32 v157, v11, v202
	v_add_f32_e32 v2, v2, v6
	v_add_f32_e32 v3, v3, v166
	v_fma_f32 v4, v10, v202, -v4
	v_add_f32_e32 v2, v2, v5
	v_add_f32_e32 v3, v3, v172
	;; [unrolled: 1-line block ×4, first 2 shown]
	s_waitcnt vmcnt(0)
	v_sub_f32_e32 v2, v206, v2
	v_sub_f32_e32 v3, v189, v3
	buffer_store_dword v2, off, s[0:3], 0 offset:144
	buffer_store_dword v3, off, s[0:3], 0 offset:148
	v_cmpx_lt_u32_e32 17, v0
	s_cbranch_execz .LBB121_327
; %bb.326:
	s_clause 0x1
	buffer_load_dword v2, off, s[0:3], 0 offset:136
	buffer_load_dword v3, off, s[0:3], 0 offset:140
	buffer_store_dword v1, off, s[0:3], 0 offset:136
	buffer_store_dword v1, off, s[0:3], 0 offset:140
	s_waitcnt vmcnt(0)
	ds_write_b64 v129, v[2:3]
.LBB121_327:
	s_or_b32 exec_lo, exec_lo, s4
	s_waitcnt lgkmcnt(0)
	s_waitcnt_vscnt null, 0x0
	s_barrier
	buffer_gl0_inv
	s_clause 0x23
	buffer_load_dword v10, off, s[0:3], 0 offset:148
	buffer_load_dword v11, off, s[0:3], 0 offset:156
	;; [unrolled: 1-line block ×36, first 2 shown]
	ds_read_b128 v[2:5], v1 offset:608
	s_clause 0x1
	buffer_load_dword v179, off, s[0:3], 0 offset:284
	buffer_load_dword v180, off, s[0:3], 0 offset:292
	ds_read_b128 v[6:9], v1 offset:624
	ds_read_b128 v[130:133], v1 offset:640
	s_clause 0x7
	buffer_load_dword v181, off, s[0:3], 0 offset:300
	buffer_load_dword v182, off, s[0:3], 0 offset:308
	;; [unrolled: 1-line block ×8, first 2 shown]
	ds_read_b128 v[134:137], v1 offset:656
	ds_read_b128 v[138:141], v1 offset:672
	;; [unrolled: 1-line block ×3, first 2 shown]
	buffer_load_dword v191, off, s[0:3], 0 offset:140
	s_mov_b32 s4, exec_lo
	s_waitcnt vmcnt(46) lgkmcnt(5)
	v_mul_f32_e32 v189, v3, v10
	v_mul_f32_e32 v10, v2, v10
	s_waitcnt vmcnt(45)
	v_mul_f32_e32 v190, v4, v11
	v_mul_f32_e32 v11, v5, v11
	s_waitcnt vmcnt(42)
	v_fma_f32 v189, v2, v147, -v189
	v_fmac_f32_e32 v10, v3, v147
	v_fmac_f32_e32 v190, v5, v146
	v_fma_f32 v11, v4, v146, -v11
	s_waitcnt vmcnt(41) lgkmcnt(4)
	v_mul_f32_e32 v146, v6, v148
	v_mul_f32_e32 v147, v7, v148
	s_waitcnt vmcnt(40)
	v_mul_f32_e32 v148, v8, v149
	v_mul_f32_e32 v149, v9, v149
	s_waitcnt vmcnt(39) lgkmcnt(3)
	v_mul_f32_e32 v192, v130, v150
	v_mul_f32_e32 v150, v131, v150
	v_fmac_f32_e32 v146, v7, v12
	v_fma_f32 v12, v6, v12, -v147
	s_waitcnt vmcnt(38)
	v_mul_f32_e32 v147, v132, v151
	v_mul_f32_e32 v6, v133, v151
	ds_read_b128 v[2:5], v1 offset:704
	s_waitcnt vmcnt(34)
	v_fmac_f32_e32 v148, v9, v155
	v_fma_f32 v149, v8, v155, -v149
	v_fmac_f32_e32 v192, v131, v154
	v_fma_f32 v130, v130, v154, -v150
	;; [unrolled: 2-line block ×3, first 2 shown]
	s_clause 0x7
	buffer_load_dword v150, off, s[0:3], 0 offset:332
	buffer_load_dword v151, off, s[0:3], 0 offset:340
	;; [unrolled: 1-line block ×8, first 2 shown]
	s_waitcnt vmcnt(41) lgkmcnt(3)
	v_mul_f32_e32 v6, v135, v156
	s_waitcnt vmcnt(40)
	v_mul_f32_e32 v7, v137, v157
	v_mul_f32_e32 v132, v134, v156
	;; [unrolled: 1-line block ×3, first 2 shown]
	s_waitcnt vmcnt(39) lgkmcnt(2)
	v_mul_f32_e32 v156, v138, v158
	v_fma_f32 v134, v134, v152, -v6
	s_waitcnt vmcnt(34)
	v_fma_f32 v136, v136, v163, -v7
	ds_read_b128 v[6:9], v1 offset:720
	v_mul_f32_e32 v157, v139, v158
	v_fmac_f32_e32 v132, v135, v152
	v_mul_f32_e32 v135, v140, v159
	v_mul_f32_e32 v152, v141, v159
	v_fmac_f32_e32 v133, v137, v163
	v_fmac_f32_e32 v156, v139, v162
	v_fma_f32 v137, v138, v162, -v157
	v_fmac_f32_e32 v135, v141, v161
	v_fma_f32 v138, v140, v161, -v152
	s_waitcnt vmcnt(33) lgkmcnt(2)
	v_mul_f32_e32 v139, v142, v164
	v_mul_f32_e32 v140, v143, v164
	s_waitcnt vmcnt(32)
	v_mul_f32_e32 v141, v144, v165
	s_waitcnt vmcnt(31) lgkmcnt(1)
	v_mul_f32_e32 v162, v2, v166
	v_mul_f32_e32 v163, v3, v166
	;; [unrolled: 1-line block ×3, first 2 shown]
	v_fmac_f32_e32 v139, v143, v160
	v_fma_f32 v140, v142, v160, -v140
	s_waitcnt vmcnt(30)
	v_mul_f32_e32 v142, v4, v167
	v_mul_f32_e32 v143, v5, v167
	s_waitcnt vmcnt(26)
	v_fmac_f32_e32 v141, v145, v171
	v_fmac_f32_e32 v162, v3, v170
	v_fma_f32 v145, v2, v170, -v163
	s_waitcnt vmcnt(25) lgkmcnt(0)
	v_mul_f32_e32 v170, v6, v172
	v_mul_f32_e32 v2, v7, v172
	v_add_f32_e32 v3, 0, v189
	s_clause 0x3
	buffer_load_dword v152, off, s[0:3], 0 offset:364
	buffer_load_dword v157, off, s[0:3], 0 offset:372
	;; [unrolled: 1-line block ×4, first 2 shown]
	v_fma_f32 v144, v144, v171, -v161
	s_clause 0x3
	buffer_load_dword v160, off, s[0:3], 0 offset:396
	buffer_load_dword v161, off, s[0:3], 0 offset:404
	;; [unrolled: 1-line block ×4, first 2 shown]
	v_fmac_f32_e32 v142, v5, v169
	v_fma_f32 v143, v4, v169, -v143
	s_clause 0x3
	buffer_load_dword v163, off, s[0:3], 0 offset:428
	buffer_load_dword v166, off, s[0:3], 0 offset:436
	;; [unrolled: 1-line block ×4, first 2 shown]
	v_add_f32_e32 v4, 0, v10
	buffer_load_dword v10, off, s[0:3], 0 offset:460
	v_fmac_f32_e32 v170, v7, v168
	v_fma_f32 v168, v6, v168, -v2
	v_add_f32_e32 v2, v3, v11
	s_clause 0x3
	buffer_load_dword v11, off, s[0:3], 0 offset:384
	buffer_load_dword v171, off, s[0:3], 0 offset:376
	buffer_load_dword v172, off, s[0:3], 0 offset:368
	buffer_load_dword v189, off, s[0:3], 0 offset:360
	v_add_f32_e32 v6, v4, v190
	v_add_f32_e32 v7, v2, v12
	s_waitcnt vmcnt(41)
	v_mul_f32_e32 v2, v9, v173
	v_mul_f32_e32 v12, v8, v173
	v_add_f32_e32 v6, v6, v146
	v_add_f32_e32 v7, v7, v149
	s_waitcnt vmcnt(37)
	v_fma_f32 v173, v8, v177, -v2
	ds_read_b128 v[2:5], v1 offset:736
	v_fmac_f32_e32 v12, v9, v177
	s_clause 0x3
	buffer_load_dword v177, off, s[0:3], 0 offset:416
	buffer_load_dword v190, off, s[0:3], 0 offset:408
	;; [unrolled: 1-line block ×4, first 2 shown]
	v_add_f32_e32 v7, v7, v130
	v_add_f32_e32 v6, v6, v148
	;; [unrolled: 1-line block ×6, first 2 shown]
	ds_read_b128 v[6:9], v1 offset:752
	v_add_f32_e32 v131, v131, v132
	s_waitcnt vmcnt(40) lgkmcnt(1)
	v_mul_f32_e32 v146, v2, v178
	v_mul_f32_e32 v134, v3, v178
	s_waitcnt vmcnt(39)
	v_mul_f32_e32 v148, v4, v179
	v_fmac_f32_e32 v146, v3, v176
	v_fma_f32 v147, v2, v176, -v134
	s_clause 0x4
	buffer_load_dword v176, off, s[0:3], 0 offset:448
	buffer_load_dword v178, off, s[0:3], 0 offset:440
	;; [unrolled: 1-line block ×5, first 2 shown]
	v_add_f32_e32 v3, v131, v133
	v_add_f32_e32 v2, v130, v136
	v_mul_f32_e32 v130, v5, v179
	v_fmac_f32_e32 v148, v5, v175
	v_add_f32_e32 v3, v3, v156
	buffer_load_dword v156, off, s[0:3], 0 offset:136
	v_add_f32_e32 v2, v2, v137
	v_fma_f32 v149, v4, v175, -v130
	s_waitcnt vmcnt(44) lgkmcnt(0)
	v_mul_f32_e32 v175, v6, v180
	v_add_f32_e32 v131, v3, v135
	v_mul_f32_e32 v136, v7, v180
	v_add_f32_e32 v2, v2, v138
	s_waitcnt vmcnt(43)
	v_mul_f32_e32 v179, v8, v181
	v_mul_f32_e32 v137, v9, v181
	v_add_f32_e32 v135, v131, v139
	ds_read_b128 v[130:133], v1 offset:784
	v_add_f32_e32 v134, v2, v140
	ds_read_b128 v[2:5], v1 offset:768
	v_fmac_f32_e32 v175, v7, v174
	v_add_f32_e32 v135, v135, v141
	v_fma_f32 v174, v6, v174, -v136
	v_add_f32_e32 v134, v134, v144
	s_waitcnt vmcnt(36)
	v_fmac_f32_e32 v179, v9, v188
	v_fma_f32 v180, v8, v188, -v137
	v_add_f32_e32 v139, v135, v162
	v_add_f32_e32 v138, v134, v145
	ds_read_b128 v[6:9], v1 offset:800
	ds_read_b128 v[134:137], v1 offset:816
	v_add_f32_e32 v139, v139, v142
	v_add_f32_e32 v138, v138, v143
	;; [unrolled: 1-line block ×3, first 2 shown]
	s_waitcnt lgkmcnt(3)
	v_mul_f32_e32 v142, v131, v184
	v_add_f32_e32 v138, v138, v168
	v_mul_f32_e32 v168, v130, v184
	s_waitcnt lgkmcnt(2)
	v_mul_f32_e32 v140, v3, v182
	v_add_f32_e32 v12, v139, v12
	v_mul_f32_e32 v162, v2, v182
	v_add_f32_e32 v143, v138, v173
	v_mul_f32_e32 v141, v5, v183
	v_fma_f32 v182, v2, v187, -v140
	v_add_f32_e32 v12, v12, v146
	v_mul_f32_e32 v181, v4, v183
	v_add_f32_e32 v147, v143, v147
	v_fmac_f32_e32 v162, v3, v187
	v_fma_f32 v183, v4, v186, -v141
	v_add_f32_e32 v12, v12, v148
	v_fmac_f32_e32 v181, v5, v186
	v_add_f32_e32 v146, v147, v149
	v_fmac_f32_e32 v168, v131, v185
	ds_read_b128 v[2:5], v1 offset:832
	ds_read_b128 v[138:141], v1 offset:848
	v_add_f32_e32 v12, v12, v175
	v_add_f32_e32 v12, v12, v179
	;; [unrolled: 1-line block ×5, first 2 shown]
	s_waitcnt vmcnt(34)
	v_mul_f32_e32 v170, v132, v150
	s_waitcnt vmcnt(33) lgkmcnt(3)
	v_mul_f32_e32 v184, v6, v151
	v_mul_f32_e32 v147, v7, v151
	;; [unrolled: 1-line block ×3, first 2 shown]
	v_fma_f32 v150, v130, v185, -v142
	s_waitcnt vmcnt(32)
	v_mul_f32_e32 v185, v8, v153
	s_waitcnt vmcnt(28)
	v_fmac_f32_e32 v184, v7, v194
	v_add_f32_e32 v7, v146, v174
	s_waitcnt vmcnt(27)
	v_fma_f32 v173, v132, v195, -v144
	v_fmac_f32_e32 v170, v133, v195
	v_mul_f32_e32 v148, v9, v153
	v_fma_f32 v151, v6, v194, -v147
	v_add_f32_e32 v174, v7, v180
	ds_read_b128 v[130:133], v1 offset:864
	ds_read_b128 v[142:145], v1 offset:880
	v_add_f32_e32 v12, v12, v170
	v_fmac_f32_e32 v185, v9, v193
	v_fma_f32 v153, v8, v193, -v148
	v_add_f32_e32 v174, v174, v182
	ds_read_b128 v[6:9], v1 offset:896
	ds_read_b128 v[146:149], v1 offset:912
	s_waitcnt lgkmcnt(6)
	v_mul_f32_e32 v1, v134, v154
	v_mul_f32_e32 v154, v135, v154
	v_add_f32_e32 v12, v12, v184
	v_add_f32_e32 v174, v174, v183
	v_fmac_f32_e32 v1, v135, v155
	v_fma_f32 v134, v134, v155, -v154
	v_add_f32_e32 v12, v12, v185
	v_add_f32_e32 v150, v174, v150
	;; [unrolled: 1-line block ×5, first 2 shown]
	s_waitcnt vmcnt(26)
	v_mul_f32_e32 v162, v136, v152
	v_mul_f32_e32 v152, v137, v152
	s_waitcnt vmcnt(25) lgkmcnt(5)
	v_mul_f32_e32 v175, v2, v157
	s_waitcnt vmcnt(24)
	v_mul_f32_e32 v12, v5, v158
	v_add_f32_e32 v150, v150, v153
	v_mul_f32_e32 v153, v3, v157
	v_mul_f32_e32 v179, v4, v158
	s_waitcnt vmcnt(23) lgkmcnt(4)
	v_mul_f32_e32 v180, v138, v159
	s_waitcnt vmcnt(22)
	v_mul_f32_e32 v174, v140, v160
	v_add_f32_e32 v134, v150, v134
	s_waitcnt vmcnt(21) lgkmcnt(3)
	v_mul_f32_e32 v168, v130, v161
	s_waitcnt vmcnt(20)
	v_mul_f32_e32 v181, v132, v164
	s_waitcnt vmcnt(12)
	v_fma_f32 v4, v4, v171, -v12
	s_waitcnt vmcnt(11)
	v_fmac_f32_e32 v175, v3, v172
	s_waitcnt vmcnt(10)
	v_fma_f32 v136, v136, v189, -v152
	v_fmac_f32_e32 v162, v137, v189
	v_fma_f32 v2, v2, v172, -v153
	v_fmac_f32_e32 v179, v5, v171
	v_fmac_f32_e32 v180, v139, v11
	v_add_f32_e32 v3, v134, v136
	v_add_f32_e32 v1, v1, v162
	v_mul_f32_e32 v134, v139, v159
	s_waitcnt lgkmcnt(2)
	v_mul_f32_e32 v173, v142, v165
	v_mul_f32_e32 v170, v144, v163
	v_add_f32_e32 v2, v3, v2
	v_add_f32_e32 v1, v1, v175
	v_mul_f32_e32 v3, v141, v160
	v_fma_f32 v5, v138, v11, -v134
	s_waitcnt vmcnt(6)
	v_fmac_f32_e32 v174, v141, v197
	v_add_f32_e32 v2, v2, v4
	v_add_f32_e32 v1, v1, v179
	v_mul_f32_e32 v4, v131, v161
	v_fma_f32 v3, v140, v197, -v3
	v_fmac_f32_e32 v168, v131, v196
	v_add_f32_e32 v2, v2, v5
	v_add_f32_e32 v1, v1, v180
	v_mul_f32_e32 v5, v133, v164
	v_fma_f32 v4, v130, v196, -v4
	;; [unrolled: 5-line block ×4, first 2 shown]
	s_waitcnt lgkmcnt(1)
	v_mul_f32_e32 v182, v6, v166
	v_add_f32_e32 v2, v2, v5
	v_add_f32_e32 v1, v1, v181
	v_mul_f32_e32 v5, v7, v166
	s_waitcnt vmcnt(2)
	v_fma_f32 v4, v144, v198, -v4
	v_fmac_f32_e32 v170, v145, v198
	v_add_f32_e32 v2, v2, v3
	v_add_f32_e32 v1, v1, v173
	v_mul_f32_e32 v3, v9, v167
	v_fma_f32 v5, v6, v192, -v5
	v_mul_f32_e32 v151, v8, v167
	v_add_f32_e32 v2, v2, v4
	v_fmac_f32_e32 v182, v7, v192
	v_add_f32_e32 v1, v1, v170
	s_waitcnt lgkmcnt(0)
	v_mul_f32_e32 v4, v147, v169
	v_fma_f32 v3, v8, v178, -v3
	v_add_f32_e32 v2, v2, v5
	v_mul_f32_e32 v183, v146, v169
	v_fmac_f32_e32 v151, v9, v178
	v_add_f32_e32 v1, v1, v182
	v_mul_f32_e32 v5, v149, v10
	v_fma_f32 v4, v146, v176, -v4
	v_add_f32_e32 v2, v2, v3
	v_mul_f32_e32 v135, v148, v10
	v_fmac_f32_e32 v183, v147, v176
	v_add_f32_e32 v1, v1, v151
	s_waitcnt vmcnt(1)
	v_fma_f32 v3, v148, v199, -v5
	v_add_f32_e32 v2, v2, v4
	v_fmac_f32_e32 v135, v149, v199
	v_add_f32_e32 v1, v1, v183
	v_add_f32_e32 v2, v2, v3
	v_add_f32_e32 v1, v1, v135
	s_waitcnt vmcnt(0)
	v_sub_f32_e32 v2, v156, v2
	v_sub_f32_e32 v1, v191, v1
	buffer_store_dword v2, off, s[0:3], 0 offset:136
	buffer_store_dword v1, off, s[0:3], 0 offset:140
	v_cmpx_lt_u32_e32 16, v0
	s_cbranch_execz .LBB121_329
; %bb.328:
	s_clause 0x1
	buffer_load_dword v1, off, s[0:3], 0 offset:128
	buffer_load_dword v2, off, s[0:3], 0 offset:132
	v_mov_b32_e32 v3, 0
	buffer_store_dword v3, off, s[0:3], 0 offset:128
	buffer_store_dword v3, off, s[0:3], 0 offset:132
	s_waitcnt vmcnt(0)
	ds_write_b64 v129, v[1:2]
.LBB121_329:
	s_or_b32 exec_lo, exec_lo, s4
	s_waitcnt lgkmcnt(0)
	s_waitcnt_vscnt null, 0x0
	s_barrier
	buffer_gl0_inv
	s_clause 0x23
	buffer_load_dword v3, off, s[0:3], 0 offset:140
	buffer_load_dword v2, off, s[0:3], 0 offset:148
	;; [unrolled: 1-line block ×36, first 2 shown]
	v_mov_b32_e32 v1, 0
	s_mov_b32 s4, exec_lo
	ds_read2_b64 v[4:7], v1 offset0:75 offset1:76
	s_clause 0x1
	buffer_load_dword v179, off, s[0:3], 0 offset:276
	buffer_load_dword v180, off, s[0:3], 0 offset:284
	ds_read2_b64 v[8:11], v1 offset0:77 offset1:78
	s_clause 0x8
	buffer_load_dword v181, off, s[0:3], 0 offset:292
	buffer_load_dword v182, off, s[0:3], 0 offset:300
	;; [unrolled: 1-line block ×9, first 2 shown]
	ds_read2_b64 v[130:133], v1 offset0:79 offset1:80
	ds_read2_b64 v[134:137], v1 offset0:81 offset1:82
	buffer_load_dword v190, off, s[0:3], 0 offset:132
	ds_read2_b64 v[138:141], v1 offset0:83 offset1:84
	ds_read2_b64 v[142:145], v1 offset0:85 offset1:86
	s_waitcnt vmcnt(47) lgkmcnt(5)
	v_mul_f32_e32 v191, v5, v3
	v_mul_f32_e32 v192, v4, v3
	s_waitcnt vmcnt(46)
	v_mul_f32_e32 v193, v6, v2
	v_mul_f32_e32 v2, v7, v2
	s_waitcnt vmcnt(43)
	v_fma_f32 v191, v4, v147, -v191
	v_fmac_f32_e32 v192, v5, v147
	s_waitcnt vmcnt(42) lgkmcnt(4)
	v_mul_f32_e32 v147, v8, v148
	v_mul_f32_e32 v148, v9, v148
	v_fmac_f32_e32 v193, v7, v146
	v_fma_f32 v146, v6, v146, -v2
	s_waitcnt vmcnt(41)
	v_mul_f32_e32 v194, v10, v149
	v_mul_f32_e32 v6, v11, v149
	v_fmac_f32_e32 v147, v9, v12
	v_fma_f32 v12, v8, v12, -v148
	s_waitcnt vmcnt(40) lgkmcnt(3)
	v_mul_f32_e32 v148, v130, v150
	v_mul_f32_e32 v7, v131, v150
	s_waitcnt vmcnt(36)
	v_fmac_f32_e32 v194, v11, v154
	v_fma_f32 v10, v10, v154, -v6
	s_waitcnt vmcnt(35)
	v_mul_f32_e32 v11, v132, v155
	v_mul_f32_e32 v6, v133, v155
	ds_read2_b64 v[2:5], v1 offset0:87 offset1:88
	s_waitcnt vmcnt(34) lgkmcnt(3)
	v_mul_f32_e32 v149, v134, v156
	v_mul_f32_e32 v8, v135, v156
	s_waitcnt vmcnt(33)
	v_mul_f32_e32 v150, v136, v157
	v_mul_f32_e32 v9, v137, v157
	v_fmac_f32_e32 v148, v131, v153
	v_fma_f32 v130, v130, v153, -v7
	v_fmac_f32_e32 v11, v133, v152
	v_fma_f32 v131, v132, v152, -v6
	s_clause 0x6
	buffer_load_dword v152, off, s[0:3], 0 offset:332
	buffer_load_dword v153, off, s[0:3], 0 offset:340
	;; [unrolled: 1-line block ×7, first 2 shown]
	v_fma_f32 v132, v134, v151, -v8
	s_waitcnt vmcnt(36)
	v_fma_f32 v133, v136, v161, -v9
	ds_read2_b64 v[6:9], v1 offset0:89 offset1:90
	v_fmac_f32_e32 v149, v135, v151
	v_fmac_f32_e32 v150, v137, v161
	s_waitcnt vmcnt(35) lgkmcnt(3)
	v_mul_f32_e32 v135, v139, v162
	s_waitcnt vmcnt(34)
	v_mul_f32_e32 v136, v140, v163
	v_mul_f32_e32 v137, v141, v163
	v_mul_f32_e32 v134, v138, v162
	s_waitcnt vmcnt(33) lgkmcnt(2)
	v_mul_f32_e32 v151, v142, v164
	v_mul_f32_e32 v161, v143, v164
	v_fma_f32 v135, v138, v160, -v135
	s_waitcnt vmcnt(32)
	v_mul_f32_e32 v138, v144, v165
	v_fmac_f32_e32 v136, v141, v159
	v_fma_f32 v137, v140, v159, -v137
	s_waitcnt vmcnt(31) lgkmcnt(1)
	v_mul_f32_e32 v140, v2, v166
	v_mul_f32_e32 v141, v3, v166
	v_fmac_f32_e32 v134, v139, v160
	v_mul_f32_e32 v139, v145, v165
	v_fmac_f32_e32 v151, v143, v158
	v_fma_f32 v142, v142, v158, -v161
	s_waitcnt vmcnt(27)
	v_fmac_f32_e32 v138, v145, v170
	s_clause 0x7
	buffer_load_dword v158, off, s[0:3], 0 offset:356
	buffer_load_dword v159, off, s[0:3], 0 offset:364
	;; [unrolled: 1-line block ×8, first 2 shown]
	v_fmac_f32_e32 v140, v3, v169
	v_fma_f32 v141, v2, v169, -v141
	s_waitcnt vmcnt(33) lgkmcnt(0)
	v_mul_f32_e32 v145, v6, v172
	v_mul_f32_e32 v2, v7, v172
	v_add_f32_e32 v3, 0, v191
	v_fma_f32 v139, v144, v170, -v139
	v_mul_f32_e32 v143, v4, v171
	v_fmac_f32_e32 v145, v7, v167
	v_fma_f32 v167, v6, v167, -v2
	v_add_f32_e32 v2, 0, v192
	v_add_f32_e32 v3, v3, v146
	v_mul_f32_e32 v144, v5, v171
	s_clause 0x1
	buffer_load_dword v166, off, s[0:3], 0 offset:388
	buffer_load_dword v169, off, s[0:3], 0 offset:396
	v_fmac_f32_e32 v143, v5, v168
	v_add_f32_e32 v2, v2, v193
	v_add_f32_e32 v6, v3, v12
	s_waitcnt vmcnt(34)
	v_mul_f32_e32 v3, v9, v173
	v_fma_f32 v144, v4, v168, -v144
	s_clause 0x5
	buffer_load_dword v168, off, s[0:3], 0 offset:404
	buffer_load_dword v170, off, s[0:3], 0 offset:412
	;; [unrolled: 1-line block ×6, first 2 shown]
	v_mul_f32_e32 v12, v8, v173
	v_add_f32_e32 v7, v2, v147
	s_waitcnt vmcnt(36)
	v_fma_f32 v146, v8, v177, -v3
	ds_read2_b64 v[2:5], v1 offset0:91 offset1:92
	s_clause 0x1
	buffer_load_dword v193, off, s[0:3], 0 offset:452
	buffer_load_dword v173, off, s[0:3], 0 offset:460
	v_fmac_f32_e32 v12, v9, v177
	v_add_f32_e32 v7, v7, v194
	s_clause 0x3
	buffer_load_dword v177, off, s[0:3], 0 offset:408
	buffer_load_dword v194, off, s[0:3], 0 offset:400
	;; [unrolled: 1-line block ×4, first 2 shown]
	v_add_f32_e32 v6, v6, v10
	v_add_f32_e32 v7, v7, v148
	;; [unrolled: 1-line block ×6, first 2 shown]
	s_waitcnt vmcnt(41) lgkmcnt(0)
	v_mul_f32_e32 v147, v2, v178
	v_mul_f32_e32 v130, v3, v178
	v_add_f32_e32 v11, v6, v132
	ds_read2_b64 v[6:9], v1 offset0:93 offset1:94
	v_fmac_f32_e32 v147, v3, v176
	v_fma_f32 v148, v2, v176, -v130
	v_add_f32_e32 v2, v10, v150
	s_clause 0x6
	buffer_load_dword v150, off, s[0:3], 0 offset:440
	buffer_load_dword v176, off, s[0:3], 0 offset:432
	;; [unrolled: 1-line block ×7, first 2 shown]
	v_add_f32_e32 v11, v11, v133
	v_add_f32_e32 v2, v2, v134
	s_waitcnt vmcnt(47)
	v_mul_f32_e32 v10, v4, v179
	v_add_f32_e32 v3, v11, v135
	v_add_f32_e32 v2, v2, v136
	v_mul_f32_e32 v11, v5, v179
	v_fmac_f32_e32 v10, v5, v175
	v_add_f32_e32 v3, v3, v137
	v_add_f32_e32 v130, v2, v151
	s_waitcnt vmcnt(46) lgkmcnt(0)
	v_mul_f32_e32 v149, v6, v180
	v_mul_f32_e32 v136, v7, v180
	s_waitcnt vmcnt(45)
	v_mul_f32_e32 v151, v8, v181
	v_add_f32_e32 v3, v3, v142
	v_add_f32_e32 v135, v130, v138
	v_mul_f32_e32 v137, v9, v181
	v_fma_f32 v11, v4, v175, -v11
	ds_read2_b64 v[130:133], v1 offset0:97 offset1:98
	v_add_f32_e32 v134, v3, v139
	v_add_f32_e32 v135, v135, v140
	ds_read2_b64 v[2:5], v1 offset0:95 offset1:96
	v_fmac_f32_e32 v149, v7, v174
	v_fma_f32 v174, v6, v174, -v136
	v_add_f32_e32 v134, v134, v141
	v_add_f32_e32 v139, v135, v143
	s_waitcnt vmcnt(38)
	v_fmac_f32_e32 v151, v9, v188
	v_fma_f32 v175, v8, v188, -v137
	v_add_f32_e32 v138, v134, v144
	ds_read2_b64 v[6:9], v1 offset0:99 offset1:100
	ds_read2_b64 v[134:137], v1 offset0:101 offset1:102
	v_add_f32_e32 v139, v139, v145
	v_add_f32_e32 v138, v138, v167
	;; [unrolled: 1-line block ×3, first 2 shown]
	s_waitcnt lgkmcnt(3)
	v_mul_f32_e32 v142, v131, v184
	v_add_f32_e32 v138, v138, v146
	v_mul_f32_e32 v180, v130, v184
	v_add_f32_e32 v12, v12, v147
	s_waitcnt lgkmcnt(2)
	v_mul_f32_e32 v140, v3, v182
	v_mul_f32_e32 v167, v2, v182
	v_add_f32_e32 v143, v138, v148
	v_mul_f32_e32 v141, v5, v183
	v_add_f32_e32 v10, v12, v10
	v_fma_f32 v146, v2, v187, -v140
	v_mul_f32_e32 v179, v4, v183
	v_add_f32_e32 v11, v143, v11
	v_fmac_f32_e32 v167, v3, v187
	v_add_f32_e32 v10, v10, v149
	v_fma_f32 v182, v4, v186, -v141
	v_fmac_f32_e32 v179, v5, v186
	v_add_f32_e32 v11, v11, v174
	s_waitcnt vmcnt(37)
	v_mul_f32_e32 v144, v133, v189
	v_add_f32_e32 v10, v10, v151
	v_fma_f32 v183, v130, v185, -v142
	v_mul_f32_e32 v181, v132, v189
	v_fmac_f32_e32 v180, v131, v185
	ds_read2_b64 v[2:5], v1 offset0:103 offset1:104
	ds_read2_b64 v[138:141], v1 offset0:105 offset1:106
	s_waitcnt vmcnt(35) lgkmcnt(3)
	v_mul_f32_e32 v12, v6, v152
	v_mul_f32_e32 v147, v7, v152
	s_waitcnt vmcnt(34)
	v_mul_f32_e32 v174, v8, v153
	v_mul_f32_e32 v148, v9, v153
	s_waitcnt vmcnt(30)
	v_fmac_f32_e32 v12, v7, v157
	v_add_f32_e32 v7, v11, v175
	v_fmac_f32_e32 v174, v9, v156
	v_fma_f32 v152, v8, v156, -v148
	v_add_f32_e32 v156, v10, v167
	s_waitcnt vmcnt(29)
	v_fma_f32 v184, v132, v195, -v144
	v_add_f32_e32 v153, v7, v146
	v_fmac_f32_e32 v181, v133, v195
	v_fma_f32 v151, v6, v157, -v147
	v_add_f32_e32 v156, v156, v179
	s_waitcnt lgkmcnt(2)
	v_mul_f32_e32 v157, v134, v154
	v_add_f32_e32 v153, v153, v182
	v_mul_f32_e32 v154, v135, v154
	ds_read2_b64 v[130:133], v1 offset0:107 offset1:108
	ds_read2_b64 v[142:145], v1 offset0:109 offset1:110
	v_add_f32_e32 v156, v156, v180
	v_fmac_f32_e32 v157, v135, v155
	v_add_f32_e32 v153, v153, v183
	v_fma_f32 v134, v134, v155, -v154
	s_waitcnt vmcnt(28)
	v_mul_f32_e32 v167, v136, v158
	v_add_f32_e32 v155, v156, v181
	v_mul_f32_e32 v158, v137, v158
	v_add_f32_e32 v153, v153, v184
	s_waitcnt vmcnt(27) lgkmcnt(3)
	v_mul_f32_e32 v175, v2, v159
	v_mul_f32_e32 v159, v3, v159
	v_add_f32_e32 v12, v155, v12
	s_waitcnt vmcnt(21)
	v_fma_f32 v136, v136, v165, -v158
	v_add_f32_e32 v151, v153, v151
	v_fmac_f32_e32 v167, v137, v165
	v_fmac_f32_e32 v175, v3, v164
	v_add_f32_e32 v12, v12, v174
	v_fma_f32 v2, v2, v164, -v159
	v_add_f32_e32 v151, v151, v152
	v_mul_f32_e32 v152, v5, v160
	v_mul_f32_e32 v179, v4, v160
	v_add_f32_e32 v12, v12, v157
	s_waitcnt lgkmcnt(2)
	v_mul_f32_e32 v135, v138, v161
	v_add_f32_e32 v134, v151, v134
	v_fma_f32 v4, v4, v163, -v152
	v_fmac_f32_e32 v179, v5, v163
	v_add_f32_e32 v12, v12, v167
	s_waitcnt vmcnt(20)
	v_mul_f32_e32 v5, v141, v166
	v_add_f32_e32 v3, v134, v136
	v_mul_f32_e32 v134, v139, v161
	v_mul_f32_e32 v154, v140, v166
	v_fmac_f32_e32 v135, v139, v162
	s_waitcnt vmcnt(19) lgkmcnt(1)
	v_mul_f32_e32 v156, v130, v169
	v_add_f32_e32 v2, v3, v2
	v_add_f32_e32 v3, v12, v175
	v_fma_f32 v12, v138, v162, -v134
	ds_read2_b64 v[6:9], v1 offset0:111 offset1:112
	ds_read2_b64 v[146:149], v1 offset0:113 offset1:114
	ds_read_b64 v[10:11], v1 offset:920
	s_waitcnt vmcnt(18)
	v_mul_f32_e32 v137, v132, v168
	v_add_f32_e32 v2, v2, v4
	v_add_f32_e32 v3, v3, v179
	v_mul_f32_e32 v4, v131, v169
	s_waitcnt vmcnt(7)
	v_fma_f32 v5, v140, v197, -v5
	v_fmac_f32_e32 v154, v141, v197
	v_add_f32_e32 v2, v2, v12
	v_add_f32_e32 v3, v3, v135
	v_mul_f32_e32 v12, v133, v168
	v_fma_f32 v4, v130, v196, -v4
	v_fmac_f32_e32 v156, v131, v196
	v_add_f32_e32 v2, v2, v5
	v_add_f32_e32 v3, v3, v154
	s_waitcnt lgkmcnt(3)
	v_mul_f32_e32 v5, v143, v170
	v_fma_f32 v12, v132, v194, -v12
	v_mul_f32_e32 v158, v142, v170
	v_add_f32_e32 v2, v2, v4
	v_fmac_f32_e32 v137, v133, v194
	v_add_f32_e32 v3, v3, v156
	v_mul_f32_e32 v4, v145, v171
	v_fma_f32 v5, v142, v177, -v5
	v_add_f32_e32 v2, v2, v12
	v_mul_f32_e32 v153, v144, v171
	v_fmac_f32_e32 v158, v143, v177
	v_add_f32_e32 v3, v3, v137
	s_waitcnt lgkmcnt(2)
	v_mul_f32_e32 v12, v7, v172
	s_waitcnt vmcnt(3)
	v_fma_f32 v4, v144, v198, -v4
	v_add_f32_e32 v2, v2, v5
	v_mul_f32_e32 v155, v6, v172
	v_fmac_f32_e32 v153, v145, v198
	v_add_f32_e32 v3, v3, v158
	v_mul_f32_e32 v5, v9, v191
	v_fma_f32 v6, v6, v178, -v12
	v_add_f32_e32 v2, v2, v4
	v_mul_f32_e32 v165, v8, v191
	v_fmac_f32_e32 v155, v7, v178
	v_add_f32_e32 v3, v3, v153
	s_waitcnt lgkmcnt(1)
	v_mul_f32_e32 v4, v147, v192
	v_fma_f32 v5, v8, v176, -v5
	v_add_f32_e32 v2, v2, v6
	v_mul_f32_e32 v160, v146, v192
	v_fmac_f32_e32 v165, v9, v176
	v_add_f32_e32 v3, v3, v155
	v_mul_f32_e32 v6, v149, v193
	v_fma_f32 v4, v146, v150, -v4
	v_add_f32_e32 v2, v2, v5
	v_mul_f32_e32 v174, v148, v193
	v_fmac_f32_e32 v160, v147, v150
	v_add_f32_e32 v3, v3, v165
	s_waitcnt lgkmcnt(0)
	v_mul_f32_e32 v5, v11, v173
	s_waitcnt vmcnt(1)
	v_fma_f32 v6, v148, v200, -v6
	v_add_f32_e32 v2, v2, v4
	v_mul_f32_e32 v151, v10, v173
	v_fmac_f32_e32 v174, v149, v200
	v_add_f32_e32 v3, v3, v160
	v_fma_f32 v4, v10, v199, -v5
	v_add_f32_e32 v2, v2, v6
	v_fmac_f32_e32 v151, v11, v199
	v_add_f32_e32 v3, v3, v174
	v_add_f32_e32 v2, v2, v4
	v_add_f32_e32 v3, v3, v151
	s_waitcnt vmcnt(0)
	v_sub_f32_e32 v2, v201, v2
	v_sub_f32_e32 v3, v190, v3
	buffer_store_dword v2, off, s[0:3], 0 offset:128
	buffer_store_dword v3, off, s[0:3], 0 offset:132
	v_cmpx_lt_u32_e32 15, v0
	s_cbranch_execz .LBB121_331
; %bb.330:
	s_clause 0x1
	buffer_load_dword v2, off, s[0:3], 0 offset:120
	buffer_load_dword v3, off, s[0:3], 0 offset:124
	buffer_store_dword v1, off, s[0:3], 0 offset:120
	buffer_store_dword v1, off, s[0:3], 0 offset:124
	s_waitcnt vmcnt(0)
	ds_write_b64 v129, v[2:3]
.LBB121_331:
	s_or_b32 exec_lo, exec_lo, s4
	s_waitcnt lgkmcnt(0)
	s_waitcnt_vscnt null, 0x0
	s_barrier
	buffer_gl0_inv
	s_clause 0x24
	buffer_load_dword v2, off, s[0:3], 0 offset:132
	buffer_load_dword v3, off, s[0:3], 0 offset:140
	;; [unrolled: 1-line block ×37, first 2 shown]
	ds_read_b128 v[6:9], v1 offset:592
	ds_read_b128 v[130:133], v1 offset:608
	s_clause 0x8
	buffer_load_dword v182, off, s[0:3], 0 offset:276
	buffer_load_dword v183, off, s[0:3], 0 offset:284
	;; [unrolled: 1-line block ×9, first 2 shown]
	ds_read_b128 v[134:137], v1 offset:624
	ds_read_b128 v[138:141], v1 offset:640
	;; [unrolled: 1-line block ×4, first 2 shown]
	buffer_load_dword v189, off, s[0:3], 0 offset:124
	s_mov_b32 s4, exec_lo
	s_waitcnt vmcnt(46) lgkmcnt(5)
	v_mul_f32_e32 v190, v7, v2
	v_mul_f32_e32 v2, v6, v2
	s_waitcnt vmcnt(45)
	v_mul_f32_e32 v191, v8, v3
	v_mul_f32_e32 v3, v9, v3
	s_waitcnt vmcnt(44) lgkmcnt(4)
	v_mul_f32_e32 v192, v130, v10
	v_mul_f32_e32 v10, v131, v10
	s_waitcnt vmcnt(41)
	v_fma_f32 v190, v6, v150, -v190
	v_fmac_f32_e32 v2, v7, v150
	s_waitcnt vmcnt(40)
	v_mul_f32_e32 v150, v132, v151
	v_mul_f32_e32 v6, v133, v151
	v_fmac_f32_e32 v191, v9, v12
	v_fma_f32 v3, v8, v12, -v3
	s_waitcnt vmcnt(35) lgkmcnt(3)
	v_mul_f32_e32 v12, v134, v156
	v_mul_f32_e32 v151, v135, v156
	v_fmac_f32_e32 v192, v131, v11
	v_fma_f32 v10, v130, v11, -v10
	v_fmac_f32_e32 v150, v133, v155
	v_fma_f32 v11, v132, v155, -v6
	s_waitcnt vmcnt(34)
	v_mul_f32_e32 v155, v136, v157
	v_mul_f32_e32 v156, v137, v157
	s_waitcnt vmcnt(33) lgkmcnt(2)
	v_mul_f32_e32 v157, v138, v158
	v_mul_f32_e32 v158, v139, v158
	v_fmac_f32_e32 v12, v135, v154
	v_fma_f32 v151, v134, v154, -v151
	s_waitcnt vmcnt(32)
	v_mul_f32_e32 v154, v140, v159
	v_mul_f32_e32 v134, v141, v159
	ds_read_b128 v[6:9], v1 offset:688
	ds_read_b128 v[130:133], v1 offset:704
	v_fmac_f32_e32 v155, v137, v153
	v_fma_f32 v153, v136, v153, -v156
	s_waitcnt vmcnt(31) lgkmcnt(3)
	v_mul_f32_e32 v156, v142, v160
	v_mul_f32_e32 v135, v143, v160
	s_waitcnt vmcnt(30)
	v_mul_f32_e32 v159, v144, v161
	v_mul_f32_e32 v136, v145, v161
	v_fmac_f32_e32 v157, v139, v152
	v_fma_f32 v138, v138, v152, -v158
	s_waitcnt vmcnt(26)
	v_fmac_f32_e32 v154, v141, v165
	v_fma_f32 v139, v140, v165, -v134
	s_clause 0x7
	buffer_load_dword v152, off, s[0:3], 0 offset:316
	buffer_load_dword v158, off, s[0:3], 0 offset:324
	;; [unrolled: 1-line block ×8, first 2 shown]
	v_fmac_f32_e32 v156, v143, v164
	v_fma_f32 v140, v142, v164, -v135
	v_fmac_f32_e32 v159, v145, v163
	v_fma_f32 v141, v144, v163, -v136
	s_waitcnt vmcnt(33) lgkmcnt(2)
	v_mul_f32_e32 v142, v146, v166
	v_mul_f32_e32 v143, v147, v166
	s_waitcnt vmcnt(32)
	v_mul_f32_e32 v144, v148, v167
	v_mul_f32_e32 v145, v149, v167
	ds_read_b128 v[134:137], v1 offset:720
	buffer_load_dword v163, off, s[0:3], 0 offset:348
	v_fmac_f32_e32 v142, v147, v162
	v_fma_f32 v143, v146, v162, -v143
	s_waitcnt vmcnt(32) lgkmcnt(2)
	v_mul_f32_e32 v146, v6, v168
	v_mul_f32_e32 v147, v7, v168
	s_waitcnt vmcnt(28)
	v_fmac_f32_e32 v144, v149, v172
	v_fma_f32 v145, v148, v172, -v145
	s_waitcnt vmcnt(27)
	v_mul_f32_e32 v148, v8, v173
	v_mul_f32_e32 v149, v9, v173
	v_fmac_f32_e32 v146, v7, v171
	v_fma_f32 v147, v6, v171, -v147
	s_waitcnt vmcnt(26) lgkmcnt(1)
	v_mul_f32_e32 v162, v130, v174
	v_fmac_f32_e32 v148, v9, v170
	v_fma_f32 v149, v8, v170, -v149
	s_clause 0x4
	buffer_load_dword v166, off, s[0:3], 0 offset:356
	buffer_load_dword v167, off, s[0:3], 0 offset:368
	;; [unrolled: 1-line block ×5, first 2 shown]
	v_mul_f32_e32 v164, v131, v174
	s_waitcnt vmcnt(30)
	v_mul_f32_e32 v173, v133, v175
	v_fmac_f32_e32 v162, v131, v169
	v_add_f32_e32 v2, 0, v2
	v_mul_f32_e32 v172, v132, v175
	v_fma_f32 v164, v130, v169, -v164
	s_waitcnt vmcnt(26)
	v_fma_f32 v169, v132, v179, -v173
	s_waitcnt vmcnt(25) lgkmcnt(0)
	v_mul_f32_e32 v173, v134, v180
	v_mul_f32_e32 v130, v135, v180
	v_add_f32_e32 v2, v2, v191
	ds_read_b128 v[6:9], v1 offset:736
	s_clause 0x1
	buffer_load_dword v174, off, s[0:3], 0 offset:364
	buffer_load_dword v175, off, s[0:3], 0 offset:372
	v_fmac_f32_e32 v173, v135, v178
	v_fma_f32 v178, v134, v178, -v130
	v_add_f32_e32 v130, 0, v190
	v_add_f32_e32 v2, v2, v192
	v_fmac_f32_e32 v172, v133, v179
	s_waitcnt vmcnt(26)
	v_mul_f32_e32 v179, v136, v181
	v_mul_f32_e32 v131, v137, v181
	v_add_f32_e32 v3, v130, v3
	v_add_f32_e32 v2, v2, v150
	s_clause 0x4
	buffer_load_dword v180, off, s[0:3], 0 offset:380
	buffer_load_dword v181, off, s[0:3], 0 offset:388
	;; [unrolled: 1-line block ×5, first 2 shown]
	v_add_f32_e32 v3, v3, v10
	s_clause 0x5
	buffer_load_dword v198, off, s[0:3], 0 offset:420
	buffer_load_dword v199, off, s[0:3], 0 offset:428
	;; [unrolled: 1-line block ×6, first 2 shown]
	v_add_f32_e32 v3, v3, v11
	v_add_f32_e32 v2, v2, v12
	s_waitcnt vmcnt(36) lgkmcnt(0)
	v_mul_f32_e32 v204, v6, v182
	v_mul_f32_e32 v130, v7, v182
	v_fmac_f32_e32 v179, v137, v177
	v_add_f32_e32 v3, v3, v151
	s_clause 0x3
	buffer_load_dword v11, off, s[0:3], 0 offset:400
	buffer_load_dword v12, off, s[0:3], 0 offset:392
	;; [unrolled: 1-line block ×4, first 2 shown]
	v_add_f32_e32 v2, v2, v155
	v_fma_f32 v177, v136, v177, -v131
	v_fmac_f32_e32 v204, v7, v176
	v_add_f32_e32 v3, v3, v153
	v_add_f32_e32 v2, v2, v157
	s_clause 0x3
	buffer_load_dword v153, off, s[0:3], 0 offset:432
	buffer_load_dword v155, off, s[0:3], 0 offset:424
	;; [unrolled: 1-line block ×4, first 2 shown]
	v_add_f32_e32 v3, v3, v138
	v_add_f32_e32 v2, v2, v154
	s_clause 0x2
	buffer_load_dword v154, off, s[0:3], 0 offset:456
	buffer_load_dword v202, off, s[0:3], 0 offset:448
	;; [unrolled: 1-line block ×3, first 2 shown]
	ds_read_b128 v[134:137], v1 offset:784
	v_add_f32_e32 v3, v3, v139
	v_add_f32_e32 v2, v2, v156
	buffer_load_dword v156, off, s[0:3], 0 offset:120
	v_add_f32_e32 v3, v3, v140
	v_add_f32_e32 v2, v2, v159
	v_fma_f32 v159, v6, v176, -v130
	ds_read_b128 v[130:133], v1 offset:752
	v_add_f32_e32 v3, v3, v141
	s_waitcnt vmcnt(47)
	v_mul_f32_e32 v176, v8, v183
	v_add_f32_e32 v2, v2, v142
	v_mul_f32_e32 v6, v9, v183
	v_add_f32_e32 v3, v3, v143
	s_waitcnt vmcnt(40)
	v_fmac_f32_e32 v176, v9, v188
	v_add_f32_e32 v2, v2, v144
	v_fma_f32 v182, v8, v188, -v6
	ds_read_b128 v[6:9], v1 offset:768
	v_add_f32_e32 v3, v3, v145
	v_add_f32_e32 v2, v2, v146
	;; [unrolled: 1-line block ×4, first 2 shown]
	s_waitcnt lgkmcnt(1)
	v_mul_f32_e32 v146, v130, v184
	v_add_f32_e32 v3, v3, v149
	v_mul_f32_e32 v138, v131, v184
	v_add_f32_e32 v2, v2, v162
	v_mul_f32_e32 v162, v132, v185
	v_fmac_f32_e32 v146, v131, v187
	v_add_f32_e32 v3, v3, v164
	v_fma_f32 v147, v130, v187, -v138
	ds_read_b128 v[138:141], v1 offset:800
	v_add_f32_e32 v2, v2, v172
	s_waitcnt lgkmcnt(1)
	v_mul_f32_e32 v131, v7, v186
	v_add_f32_e32 v3, v3, v169
	v_mul_f32_e32 v164, v6, v186
	v_mul_f32_e32 v130, v133, v185
	v_add_f32_e32 v2, v2, v173
	v_fma_f32 v172, v6, v4, -v131
	v_add_f32_e32 v3, v3, v178
	v_fmac_f32_e32 v164, v7, v4
	v_fma_f32 v148, v132, v5, -v130
	v_add_f32_e32 v7, v2, v179
	v_fmac_f32_e32 v162, v133, v5
	v_add_f32_e32 v6, v3, v177
	ds_read_b128 v[2:5], v1 offset:816
	ds_read_b128 v[130:133], v1 offset:832
	s_waitcnt vmcnt(38)
	v_mul_f32_e32 v169, v8, v152
	v_mul_f32_e32 v142, v9, v152
	s_waitcnt vmcnt(37)
	v_mul_f32_e32 v152, v134, v158
	v_mul_f32_e32 v143, v135, v158
	;; [unrolled: 3-line block ×3, first 2 shown]
	s_waitcnt vmcnt(35) lgkmcnt(2)
	v_mul_f32_e32 v160, v138, v161
	s_waitcnt vmcnt(32)
	v_fmac_f32_e32 v152, v135, v194
	v_add_f32_e32 v135, v6, v159
	v_fma_f32 v159, v134, v194, -v143
	v_add_f32_e32 v134, v7, v204
	v_fmac_f32_e32 v160, v139, v165
	s_waitcnt vmcnt(31)
	v_fma_f32 v158, v8, v195, -v142
	v_add_f32_e32 v135, v135, v182
	v_fmac_f32_e32 v169, v9, v195
	v_add_f32_e32 v134, v134, v176
	v_fmac_f32_e32 v173, v137, v193
	s_waitcnt vmcnt(30)
	v_mul_f32_e32 v176, v140, v163
	v_add_f32_e32 v135, v135, v147
	v_mul_f32_e32 v147, v139, v161
	v_mul_f32_e32 v161, v141, v163
	v_fma_f32 v163, v136, v193, -v149
	ds_read_b128 v[6:9], v1 offset:848
	ds_read_b128 v[142:145], v1 offset:864
	v_add_f32_e32 v177, v135, v148
	v_fma_f32 v165, v138, v165, -v147
	v_add_f32_e32 v138, v134, v146
	ds_read_b128 v[134:137], v1 offset:880
	ds_read_b128 v[146:149], v1 offset:896
	v_add_f32_e32 v162, v138, v162
	s_waitcnt vmcnt(25)
	v_fmac_f32_e32 v176, v141, v171
	v_fma_f32 v161, v140, v171, -v161
	v_add_f32_e32 v171, v177, v172
	ds_read_b128 v[138:141], v1 offset:912
	v_add_f32_e32 v162, v162, v164
	s_waitcnt lgkmcnt(6)
	v_mul_f32_e32 v1, v2, v166
	v_mul_f32_e32 v166, v3, v166
	v_add_f32_e32 v158, v171, v158
	v_add_f32_e32 v162, v162, v169
	v_fmac_f32_e32 v1, v3, v170
	s_waitcnt vmcnt(24)
	v_mul_f32_e32 v172, v5, v174
	v_add_f32_e32 v158, v158, v159
	v_fma_f32 v2, v2, v170, -v166
	v_add_f32_e32 v152, v162, v152
	v_mul_f32_e32 v164, v4, v174
	v_fma_f32 v4, v4, v168, -v172
	v_add_f32_e32 v158, v158, v163
	s_waitcnt vmcnt(23) lgkmcnt(5)
	v_mul_f32_e32 v171, v130, v175
	v_add_f32_e32 v152, v152, v173
	v_fmac_f32_e32 v164, v5, v168
	s_waitcnt vmcnt(22)
	v_mul_f32_e32 v5, v133, v180
	v_add_f32_e32 v158, v158, v165
	v_mul_f32_e32 v169, v132, v180
	v_add_f32_e32 v152, v152, v160
	v_fmac_f32_e32 v171, v131, v167
	s_waitcnt vmcnt(21) lgkmcnt(4)
	v_mul_f32_e32 v174, v6, v181
	v_add_f32_e32 v158, v158, v161
	v_mul_f32_e32 v161, v131, v175
	v_add_f32_e32 v152, v152, v176
	s_waitcnt vmcnt(20)
	v_mul_f32_e32 v159, v8, v196
	s_waitcnt vmcnt(19) lgkmcnt(3)
	v_mul_f32_e32 v162, v142, v190
	v_add_f32_e32 v2, v158, v2
	v_fma_f32 v130, v130, v167, -v161
	v_add_f32_e32 v1, v152, v1
	s_waitcnt vmcnt(10)
	v_fmac_f32_e32 v159, v9, v12
	s_waitcnt vmcnt(9)
	v_fmac_f32_e32 v174, v7, v150
	v_add_f32_e32 v2, v2, v4
	v_mul_f32_e32 v4, v7, v181
	v_add_f32_e32 v1, v1, v164
	s_waitcnt vmcnt(8)
	v_fma_f32 v5, v132, v151, -v5
	v_fmac_f32_e32 v169, v133, v151
	v_add_f32_e32 v2, v2, v130
	v_mul_f32_e32 v130, v9, v196
	v_add_f32_e32 v1, v1, v171
	v_fma_f32 v4, v6, v150, -v4
	v_mul_f32_e32 v177, v144, v197
	v_add_f32_e32 v2, v2, v5
	v_mul_f32_e32 v5, v143, v190
	v_add_f32_e32 v1, v1, v169
	v_fma_f32 v6, v8, v12, -v130
	v_fmac_f32_e32 v162, v143, v11
	v_add_f32_e32 v2, v2, v4
	v_mul_f32_e32 v4, v145, v197
	v_add_f32_e32 v1, v1, v174
	v_fma_f32 v5, v142, v11, -v5
	s_waitcnt lgkmcnt(2)
	v_mul_f32_e32 v163, v134, v198
	v_add_f32_e32 v2, v2, v6
	v_mul_f32_e32 v6, v135, v198
	v_add_f32_e32 v1, v1, v159
	s_waitcnt vmcnt(4)
	v_fma_f32 v4, v144, v201, -v4
	v_fmac_f32_e32 v177, v145, v201
	v_add_f32_e32 v2, v2, v5
	v_mul_f32_e32 v5, v137, v199
	v_add_f32_e32 v1, v1, v162
	v_fma_f32 v6, v134, v157, -v6
	v_mul_f32_e32 v173, v136, v199
	v_add_f32_e32 v2, v2, v4
	v_fmac_f32_e32 v163, v135, v157
	v_add_f32_e32 v1, v1, v177
	s_waitcnt lgkmcnt(1)
	v_mul_f32_e32 v4, v147, v200
	v_fma_f32 v5, v136, v155, -v5
	v_add_f32_e32 v2, v2, v6
	v_mul_f32_e32 v178, v146, v200
	v_fmac_f32_e32 v173, v137, v155
	v_add_f32_e32 v1, v1, v163
	v_mul_f32_e32 v6, v149, v191
	v_fma_f32 v4, v146, v153, -v4
	v_add_f32_e32 v2, v2, v5
	v_mul_f32_e32 v165, v148, v191
	v_fmac_f32_e32 v178, v147, v153
	v_add_f32_e32 v1, v1, v173
	s_waitcnt lgkmcnt(0)
	v_mul_f32_e32 v5, v139, v10
	s_waitcnt vmcnt(1)
	v_fma_f32 v6, v148, v203, -v6
	v_add_f32_e32 v2, v2, v4
	v_mul_f32_e32 v160, v138, v10
	v_fmac_f32_e32 v165, v149, v203
	v_add_f32_e32 v1, v1, v178
	v_mul_f32_e32 v4, v141, v192
	v_fma_f32 v5, v138, v202, -v5
	v_add_f32_e32 v2, v2, v6
	v_mul_f32_e32 v3, v140, v192
	v_fmac_f32_e32 v160, v139, v202
	v_add_f32_e32 v1, v1, v165
	v_fma_f32 v4, v140, v154, -v4
	v_add_f32_e32 v2, v2, v5
	v_fmac_f32_e32 v3, v141, v154
	v_add_f32_e32 v1, v1, v160
	v_add_f32_e32 v2, v2, v4
	;; [unrolled: 1-line block ×3, first 2 shown]
	s_waitcnt vmcnt(0)
	v_sub_f32_e32 v2, v156, v2
	v_sub_f32_e32 v1, v189, v1
	buffer_store_dword v2, off, s[0:3], 0 offset:120
	buffer_store_dword v1, off, s[0:3], 0 offset:124
	v_cmpx_lt_u32_e32 14, v0
	s_cbranch_execz .LBB121_333
; %bb.332:
	s_clause 0x1
	buffer_load_dword v1, off, s[0:3], 0 offset:112
	buffer_load_dword v2, off, s[0:3], 0 offset:116
	v_mov_b32_e32 v3, 0
	buffer_store_dword v3, off, s[0:3], 0 offset:112
	buffer_store_dword v3, off, s[0:3], 0 offset:116
	s_waitcnt vmcnt(0)
	ds_write_b64 v129, v[1:2]
.LBB121_333:
	s_or_b32 exec_lo, exec_lo, s4
	s_waitcnt lgkmcnt(0)
	s_waitcnt_vscnt null, 0x0
	s_barrier
	buffer_gl0_inv
	s_clause 0x25
	buffer_load_dword v132, off, s[0:3], 0 offset:124
	buffer_load_dword v133, off, s[0:3], 0 offset:132
	;; [unrolled: 1-line block ×38, first 2 shown]
	v_mov_b32_e32 v130, 0
	ds_read2_b64 v[9:12], v130 offset0:73 offset1:74
	ds_read2_b64 v[1:4], v130 offset0:75 offset1:76
	s_clause 0x7
	buffer_load_dword v173, off, s[0:3], 0 offset:276
	buffer_load_dword v170, off, s[0:3], 0 offset:284
	;; [unrolled: 1-line block ×8, first 2 shown]
	ds_read2_b64 v[5:8], v130 offset0:77 offset1:78
	s_clause 0x9
	buffer_load_dword v168, off, s[0:3], 0 offset:308
	buffer_load_dword v155, off, s[0:3], 0 offset:312
	;; [unrolled: 1-line block ×10, first 2 shown]
	ds_read2_b64 v[180:183], v130 offset0:79 offset1:80
	s_mov_b32 s4, exec_lo
	s_waitcnt vmcnt(55) lgkmcnt(3)
	v_mul_f32_e32 v191, v9, v132
	v_mul_f32_e32 v132, v10, v132
	s_waitcnt vmcnt(54)
	v_mul_f32_e32 v192, v11, v133
	v_mul_f32_e32 v133, v12, v133
	s_waitcnt vmcnt(51)
	v_fmac_f32_e32 v191, v10, v138
	v_fma_f32 v138, v9, v138, -v132
	s_waitcnt vmcnt(50) lgkmcnt(2)
	v_mul_f32_e32 v193, v1, v137
	v_mul_f32_e32 v132, v2, v137
	v_fmac_f32_e32 v192, v12, v135
	v_fma_f32 v135, v11, v135, -v133
	ds_read2_b64 v[9:12], v130 offset0:81 offset1:82
	s_waitcnt vmcnt(49)
	v_mul_f32_e32 v137, v3, v136
	v_mul_f32_e32 v133, v4, v136
	v_fmac_f32_e32 v193, v2, v131
	v_fma_f32 v136, v1, v131, -v132
	s_waitcnt vmcnt(48) lgkmcnt(2)
	v_mul_f32_e32 v194, v5, v134
	v_mul_f32_e32 v131, v6, v134
	s_waitcnt vmcnt(44)
	v_fmac_f32_e32 v137, v4, v146
	v_fma_f32 v146, v3, v146, -v133
	ds_read2_b64 v[1:4], v130 offset0:83 offset1:84
	s_waitcnt vmcnt(43)
	v_mul_f32_e32 v195, v7, v144
	v_mul_f32_e32 v132, v8, v144
	v_fmac_f32_e32 v194, v6, v142
	v_fma_f32 v142, v5, v142, -v131
	s_waitcnt vmcnt(42) lgkmcnt(2)
	v_mul_f32_e32 v144, v180, v143
	v_fmac_f32_e32 v195, v8, v140
	v_fma_f32 v140, v7, v140, -v132
	ds_read2_b64 v[5:8], v130 offset0:85 offset1:86
	v_mul_f32_e32 v131, v181, v143
	s_waitcnt vmcnt(41)
	v_mul_f32_e32 v143, v182, v141
	v_mul_f32_e32 v132, v183, v141
	s_waitcnt vmcnt(40) lgkmcnt(2)
	v_mul_f32_e32 v141, v9, v145
	v_mul_f32_e32 v145, v10, v145
	v_fmac_f32_e32 v144, v181, v139
	v_fma_f32 v139, v180, v139, -v131
	s_waitcnt vmcnt(36)
	v_fmac_f32_e32 v143, v183, v154
	v_fma_f32 v154, v182, v154, -v132
	ds_read2_b64 v[131:134], v130 offset0:87 offset1:88
	s_waitcnt vmcnt(35)
	v_mul_f32_e32 v180, v11, v153
	v_mul_f32_e32 v153, v12, v153
	v_fmac_f32_e32 v141, v10, v150
	v_fma_f32 v145, v9, v150, -v145
	s_waitcnt vmcnt(34) lgkmcnt(2)
	v_mul_f32_e32 v150, v1, v151
	v_mul_f32_e32 v151, v2, v151
	v_fmac_f32_e32 v180, v12, v148
	v_fma_f32 v148, v11, v148, -v153
	ds_read2_b64 v[9:12], v130 offset0:89 offset1:90
	v_fmac_f32_e32 v150, v2, v147
	v_fma_f32 v147, v1, v147, -v151
	s_waitcnt vmcnt(32) lgkmcnt(2)
	v_mul_f32_e32 v151, v5, v152
	v_mul_f32_e32 v1, v6, v152
	;; [unrolled: 1-line block ×4, first 2 shown]
	s_waitcnt vmcnt(27)
	v_mul_f32_e32 v2, v8, v164
	v_fmac_f32_e32 v151, v6, v161
	v_add_f32_e32 v6, 0, v191
	v_fmac_f32_e32 v153, v4, v165
	v_fma_f32 v149, v3, v165, -v149
	v_mul_f32_e32 v165, v7, v164
	s_waitcnt vmcnt(26) lgkmcnt(1)
	v_mul_f32_e32 v152, v131, v163
	v_add_f32_e32 v6, v6, v192
	v_mul_f32_e32 v3, v132, v163
	s_waitcnt vmcnt(25)
	v_mul_f32_e32 v163, v133, v162
	v_mul_f32_e32 v4, v134, v162
	s_clause 0x6
	buffer_load_dword v162, off, s[0:3], 0 offset:348
	buffer_load_dword v164, off, s[0:3], 0 offset:360
	;; [unrolled: 1-line block ×7, first 2 shown]
	v_add_f32_e32 v6, v6, v193
	v_fma_f32 v161, v5, v161, -v1
	v_fmac_f32_e32 v152, v132, v158
	v_fma_f32 v131, v131, v158, -v3
	s_waitcnt vmcnt(27) lgkmcnt(0)
	v_mul_f32_e32 v158, v9, v177
	v_mul_f32_e32 v5, v10, v177
	v_add_f32_e32 v6, v6, v137
	v_fmac_f32_e32 v165, v8, v160
	v_fma_f32 v160, v7, v160, -v2
	v_fmac_f32_e32 v163, v134, v178
	v_fma_f32 v132, v133, v178, -v4
	buffer_load_dword v177, off, s[0:3], 0 offset:372
	s_waitcnt vmcnt(27)
	v_mul_f32_e32 v178, v11, v172
	v_fmac_f32_e32 v158, v10, v174
	v_fma_f32 v174, v9, v174, -v5
	v_add_f32_e32 v5, 0, v138
	v_mul_f32_e32 v7, v12, v172
	v_add_f32_e32 v6, v6, v194
	ds_read2_b64 v[1:4], v130 offset0:91 offset1:92
	s_clause 0x1
	buffer_load_dword v191, off, s[0:3], 0 offset:380
	buffer_load_dword v192, off, s[0:3], 0 offset:388
	v_add_f32_e32 v5, v5, v135
	buffer_load_dword v172, off, s[0:3], 0 offset:396
	v_fmac_f32_e32 v178, v12, v169
	v_fma_f32 v135, v11, v169, -v7
	s_clause 0x7
	buffer_load_dword v169, off, s[0:3], 0 offset:404
	buffer_load_dword v193, off, s[0:3], 0 offset:412
	;; [unrolled: 1-line block ×8, first 2 shown]
	v_add_f32_e32 v6, v6, v195
	s_clause 0x3
	buffer_load_dword v195, off, s[0:3], 0 offset:392
	buffer_load_dword v203, off, s[0:3], 0 offset:384
	;; [unrolled: 1-line block ×4, first 2 shown]
	v_add_f32_e32 v5, v5, v136
	s_clause 0x3
	buffer_load_dword v206, off, s[0:3], 0 offset:424
	buffer_load_dword v207, off, s[0:3], 0 offset:416
	;; [unrolled: 1-line block ×4, first 2 shown]
	v_add_f32_e32 v6, v6, v144
	v_add_f32_e32 v5, v5, v146
	;; [unrolled: 1-line block ×3, first 2 shown]
	s_waitcnt vmcnt(45) lgkmcnt(0)
	v_mul_f32_e32 v136, v1, v176
	v_add_f32_e32 v5, v5, v142
	v_mul_f32_e32 v7, v2, v176
	v_add_f32_e32 v6, v6, v141
	v_fmac_f32_e32 v136, v2, v156
	v_add_f32_e32 v5, v5, v140
	v_fma_f32 v137, v1, v156, -v7
	v_add_f32_e32 v6, v6, v180
	v_add_f32_e32 v5, v5, v139
	s_waitcnt vmcnt(44)
	v_mul_f32_e32 v139, v3, v173
	v_add_f32_e32 v6, v6, v150
	v_add_f32_e32 v5, v5, v154
	s_clause 0x4
	buffer_load_dword v154, off, s[0:3], 0 offset:456
	buffer_load_dword v180, off, s[0:3], 0 offset:448
	;; [unrolled: 1-line block ×5, first 2 shown]
	v_add_f32_e32 v1, v6, v153
	s_waitcnt vmcnt(42)
	v_fmac_f32_e32 v139, v4, v175
	v_add_f32_e32 v5, v5, v145
	v_add_f32_e32 v9, v1, v151
	v_mul_f32_e32 v1, v4, v173
	v_add_f32_e32 v5, v5, v148
	v_add_f32_e32 v133, v9, v165
	v_fma_f32 v140, v3, v175, -v1
	v_add_f32_e32 v5, v5, v147
	v_add_f32_e32 v133, v133, v152
	;; [unrolled: 1-line block ×3, first 2 shown]
	ds_read2_b64 v[5:8], v130 offset0:93 offset1:94
	v_add_f32_e32 v141, v133, v163
	v_add_f32_e32 v10, v2, v161
	ds_read2_b64 v[1:4], v130 offset0:95 offset1:96
	v_add_f32_e32 v134, v10, v160
	ds_read2_b64 v[9:12], v130 offset0:97 offset1:98
	v_add_f32_e32 v131, v134, v131
	s_waitcnt lgkmcnt(2)
	v_mul_f32_e32 v138, v6, v170
	v_mul_f32_e32 v143, v5, v170
	;; [unrolled: 1-line block ×3, first 2 shown]
	v_fma_f32 v144, v5, v171, -v138
	v_add_f32_e32 v5, v131, v132
	ds_read2_b64 v[131:134], v130 offset0:99 offset1:100
	v_fmac_f32_e32 v143, v6, v171
	v_add_f32_e32 v6, v141, v158
	s_waitcnt lgkmcnt(2)
	v_mul_f32_e32 v146, v1, v166
	v_add_f32_e32 v5, v5, v174
	v_mul_f32_e32 v141, v2, v166
	s_waitcnt vmcnt(39) lgkmcnt(1)
	v_mul_f32_e32 v150, v9, v184
	v_add_f32_e32 v6, v6, v178
	v_fmac_f32_e32 v146, v2, v157
	v_add_f32_e32 v5, v5, v135
	v_fma_f32 v148, v1, v157, -v141
	v_mul_f32_e32 v141, v10, v184
	v_add_f32_e32 v1, v6, v136
	v_mul_f32_e32 v138, v8, v167
	v_add_f32_e32 v2, v5, v137
	v_fmac_f32_e32 v150, v10, v155
	v_fma_f32 v152, v9, v155, -v141
	v_add_f32_e32 v10, v1, v139
	v_fma_f32 v147, v7, v159, -v138
	v_add_f32_e32 v9, v2, v140
	v_fmac_f32_e32 v145, v8, v159
	v_mul_f32_e32 v142, v4, v168
	v_add_f32_e32 v10, v10, v143
	s_waitcnt vmcnt(36) lgkmcnt(0)
	v_mul_f32_e32 v155, v131, v187
	v_add_f32_e32 v9, v9, v144
	v_mul_f32_e32 v144, v132, v187
	v_mul_f32_e32 v149, v3, v168
	v_add_f32_e32 v10, v10, v145
	s_waitcnt vmcnt(34)
	v_fma_f32 v151, v3, v189, -v142
	ds_read2_b64 v[5:8], v130 offset0:101 offset1:102
	ds_read2_b64 v[135:138], v130 offset0:103 offset1:104
	v_fma_f32 v159, v131, v188, -v144
	v_add_f32_e32 v131, v9, v147
	v_fmac_f32_e32 v149, v4, v189
	v_add_f32_e32 v160, v10, v146
	v_mul_f32_e32 v143, v12, v186
	v_mul_f32_e32 v153, v11, v186
	v_add_f32_e32 v161, v131, v148
	s_waitcnt vmcnt(33)
	v_mul_f32_e32 v157, v134, v190
	v_add_f32_e32 v149, v160, v149
	v_fma_f32 v158, v11, v185, -v143
	v_fmac_f32_e32 v153, v12, v185
	v_add_f32_e32 v151, v161, v151
	v_mul_f32_e32 v156, v133, v190
	v_add_f32_e32 v149, v149, v150
	v_fmac_f32_e32 v155, v132, v188
	ds_read2_b64 v[1:4], v130 offset0:105 offset1:106
	ds_read2_b64 v[139:142], v130 offset0:107 offset1:108
	v_add_f32_e32 v151, v151, v152
	ds_read2_b64 v[9:12], v130 offset0:109 offset1:110
	ds_read2_b64 v[143:146], v130 offset0:111 offset1:112
	v_add_f32_e32 v149, v149, v153
	v_add_f32_e32 v151, v151, v158
	;; [unrolled: 1-line block ×4, first 2 shown]
	s_waitcnt vmcnt(31) lgkmcnt(5)
	v_mul_f32_e32 v160, v5, v162
	v_mul_f32_e32 v162, v6, v162
	s_waitcnt vmcnt(27)
	v_fma_f32 v157, v133, v183, -v157
	v_fmac_f32_e32 v156, v134, v183
	s_waitcnt vmcnt(26)
	v_mul_f32_e32 v163, v8, v196
	v_fma_f32 v5, v5, v182, -v162
	v_mul_f32_e32 v161, v7, v196
	v_add_f32_e32 v151, v151, v157
	v_fmac_f32_e32 v160, v6, v182
	v_add_f32_e32 v149, v149, v156
	s_waitcnt vmcnt(25) lgkmcnt(4)
	v_mul_f32_e32 v162, v136, v197
	v_fma_f32 v7, v7, v181, -v163
	v_add_f32_e32 v5, v151, v5
	v_mul_f32_e32 v150, v135, v197
	v_fmac_f32_e32 v161, v8, v181
	v_add_f32_e32 v149, v149, v160
	s_waitcnt vmcnt(24)
	v_mul_f32_e32 v156, v138, v177
	v_fma_f32 v135, v135, v164, -v162
	v_add_f32_e32 v5, v5, v7
	v_mul_f32_e32 v152, v137, v177
	v_fmac_f32_e32 v150, v136, v164
	v_add_f32_e32 v7, v149, v161
	ds_read2_b64 v[131:134], v130 offset0:113 offset1:114
	ds_read_b64 v[147:148], v130 offset:920
	s_waitcnt vmcnt(23) lgkmcnt(5)
	v_mul_f32_e32 v6, v1, v191
	v_mul_f32_e32 v136, v2, v191
	v_add_f32_e32 v5, v5, v135
	v_add_f32_e32 v7, v7, v150
	s_waitcnt vmcnt(22)
	v_mul_f32_e32 v135, v4, v192
	v_mul_f32_e32 v153, v3, v192
	s_waitcnt vmcnt(21) lgkmcnt(4)
	v_mul_f32_e32 v158, v139, v172
	s_waitcnt vmcnt(20)
	v_mul_f32_e32 v8, v141, v169
	s_waitcnt vmcnt(19) lgkmcnt(3)
	v_mul_f32_e32 v163, v9, v193
	s_waitcnt vmcnt(10)
	v_fmac_f32_e32 v6, v2, v204
	s_waitcnt vmcnt(9)
	v_fma_f32 v137, v137, v205, -v156
	v_fmac_f32_e32 v152, v138, v205
	v_fma_f32 v1, v1, v204, -v136
	v_fma_f32 v3, v3, v203, -v135
	v_fmac_f32_e32 v153, v4, v203
	v_add_f32_e32 v2, v5, v137
	v_add_f32_e32 v5, v7, v152
	v_mul_f32_e32 v7, v140, v172
	v_mul_f32_e32 v4, v142, v169
	v_fmac_f32_e32 v158, v140, v195
	v_add_f32_e32 v1, v2, v1
	v_add_f32_e32 v2, v5, v6
	v_fma_f32 v5, v139, v195, -v7
	s_waitcnt vmcnt(5)
	v_fma_f32 v4, v141, v209, -v4
	v_fmac_f32_e32 v8, v142, v209
	v_add_f32_e32 v1, v1, v3
	v_add_f32_e32 v2, v2, v153
	v_mul_f32_e32 v3, v10, v193
	v_mul_f32_e32 v155, v11, v198
	v_fmac_f32_e32 v163, v10, v208
	v_add_f32_e32 v1, v1, v5
	v_add_f32_e32 v2, v2, v158
	v_mul_f32_e32 v5, v12, v198
	v_fma_f32 v3, v9, v208, -v3
	s_waitcnt lgkmcnt(2)
	v_mul_f32_e32 v159, v143, v199
	v_add_f32_e32 v1, v1, v4
	v_add_f32_e32 v2, v2, v8
	v_mul_f32_e32 v4, v144, v199
	v_fma_f32 v5, v11, v207, -v5
	v_fmac_f32_e32 v155, v12, v207
	v_add_f32_e32 v1, v1, v3
	v_add_f32_e32 v2, v2, v163
	v_mul_f32_e32 v3, v146, v200
	v_fma_f32 v4, v143, v206, -v4
	v_mul_f32_e32 v165, v145, v200
	v_add_f32_e32 v1, v1, v5
	v_fmac_f32_e32 v159, v144, v206
	v_add_f32_e32 v2, v2, v155
	s_waitcnt lgkmcnt(1)
	v_mul_f32_e32 v5, v132, v194
	s_waitcnt vmcnt(1)
	v_fma_f32 v3, v145, v211, -v3
	v_add_f32_e32 v1, v1, v4
	v_mul_f32_e32 v157, v131, v194
	v_fmac_f32_e32 v165, v146, v211
	v_add_f32_e32 v2, v2, v159
	v_mul_f32_e32 v4, v134, v201
	v_fma_f32 v5, v131, v210, -v5
	v_add_f32_e32 v1, v1, v3
	v_mul_f32_e32 v166, v133, v201
	v_fmac_f32_e32 v157, v132, v210
	v_add_f32_e32 v2, v2, v165
	s_waitcnt lgkmcnt(0)
	v_mul_f32_e32 v3, v148, v202
	v_fma_f32 v4, v133, v180, -v4
	v_add_f32_e32 v1, v1, v5
	v_mul_f32_e32 v151, v147, v202
	v_fmac_f32_e32 v166, v134, v180
	v_add_f32_e32 v2, v2, v157
	v_fma_f32 v3, v147, v154, -v3
	v_add_f32_e32 v1, v1, v4
	v_fmac_f32_e32 v151, v148, v154
	v_add_f32_e32 v2, v2, v166
	v_add_f32_e32 v1, v1, v3
	;; [unrolled: 1-line block ×3, first 2 shown]
	s_waitcnt vmcnt(0)
	v_sub_f32_e32 v1, v212, v1
	v_sub_f32_e32 v2, v179, v2
	buffer_store_dword v1, off, s[0:3], 0 offset:112
	buffer_store_dword v2, off, s[0:3], 0 offset:116
	v_cmpx_lt_u32_e32 13, v0
	s_cbranch_execz .LBB121_335
; %bb.334:
	s_clause 0x1
	buffer_load_dword v1, off, s[0:3], 0 offset:104
	buffer_load_dword v2, off, s[0:3], 0 offset:108
	buffer_store_dword v130, off, s[0:3], 0 offset:104
	buffer_store_dword v130, off, s[0:3], 0 offset:108
	s_waitcnt vmcnt(0)
	ds_write_b64 v129, v[1:2]
.LBB121_335:
	s_or_b32 exec_lo, exec_lo, s4
	s_waitcnt lgkmcnt(0)
	s_waitcnt_vscnt null, 0x0
	s_barrier
	buffer_gl0_inv
	s_clause 0x2b
	buffer_load_dword v153, off, s[0:3], 0 offset:116
	buffer_load_dword v154, off, s[0:3], 0 offset:124
	buffer_load_dword v131, off, s[0:3], 0 offset:128
	buffer_load_dword v136, off, s[0:3], 0 offset:120
	buffer_load_dword v137, off, s[0:3], 0 offset:112
	buffer_load_dword v134, off, s[0:3], 0 offset:132
	buffer_load_dword v133, off, s[0:3], 0 offset:140
	buffer_load_dword v132, off, s[0:3], 0 offset:148
	buffer_load_dword v135, off, s[0:3], 0 offset:156
	buffer_load_dword v138, off, s[0:3], 0 offset:160
	buffer_load_dword v140, off, s[0:3], 0 offset:152
	buffer_load_dword v142, off, s[0:3], 0 offset:144
	buffer_load_dword v143, off, s[0:3], 0 offset:136
	buffer_load_dword v141, off, s[0:3], 0 offset:164
	buffer_load_dword v139, off, s[0:3], 0 offset:172
	buffer_load_dword v144, off, s[0:3], 0 offset:180
	buffer_load_dword v145, off, s[0:3], 0 offset:188
	buffer_load_dword v146, off, s[0:3], 0 offset:192
	buffer_load_dword v148, off, s[0:3], 0 offset:184
	buffer_load_dword v150, off, s[0:3], 0 offset:176
	buffer_load_dword v151, off, s[0:3], 0 offset:168
	buffer_load_dword v149, off, s[0:3], 0 offset:196
	buffer_load_dword v147, off, s[0:3], 0 offset:204
	buffer_load_dword v152, off, s[0:3], 0 offset:212
	buffer_load_dword v155, off, s[0:3], 0 offset:224
	buffer_load_dword v157, off, s[0:3], 0 offset:216
	buffer_load_dword v161, off, s[0:3], 0 offset:208
	buffer_load_dword v167, off, s[0:3], 0 offset:200
	buffer_load_dword v166, off, s[0:3], 0 offset:220
	buffer_load_dword v158, off, s[0:3], 0 offset:228
	buffer_load_dword v159, off, s[0:3], 0 offset:236
	buffer_load_dword v164, off, s[0:3], 0 offset:256
	buffer_load_dword v170, off, s[0:3], 0 offset:248
	buffer_load_dword v172, off, s[0:3], 0 offset:240
	buffer_load_dword v178, off, s[0:3], 0 offset:232
	buffer_load_dword v176, off, s[0:3], 0 offset:244
	buffer_load_dword v175, off, s[0:3], 0 offset:252
	buffer_load_dword v168, off, s[0:3], 0 offset:260
	buffer_load_dword v162, off, s[0:3], 0 offset:268
	buffer_load_dword v156, off, s[0:3], 0 offset:288
	buffer_load_dword v165, off, s[0:3], 0 offset:280
	buffer_load_dword v169, off, s[0:3], 0 offset:272
	buffer_load_dword v177, off, s[0:3], 0 offset:264
	buffer_load_dword v171, off, s[0:3], 0 offset:276
	ds_read_b128 v[9:12], v130 offset:576
	s_clause 0x1
	buffer_load_dword v179, off, s[0:3], 0 offset:284
	buffer_load_dword v173, off, s[0:3], 0 offset:292
	ds_read_b128 v[5:8], v130 offset:592
	ds_read_b128 v[1:4], v130 offset:608
	s_clause 0x7
	buffer_load_dword v174, off, s[0:3], 0 offset:300
	buffer_load_dword v163, off, s[0:3], 0 offset:308
	;; [unrolled: 1-line block ×8, first 2 shown]
	ds_read_b128 v[180:183], v130 offset:624
	buffer_load_dword v191, off, s[0:3], 0 offset:108
	s_mov_b32 s4, exec_lo
	s_waitcnt vmcnt(54) lgkmcnt(3)
	v_mul_f32_e32 v189, v9, v153
	s_waitcnt vmcnt(53)
	v_mul_f32_e32 v190, v11, v154
	v_mul_f32_e32 v153, v10, v153
	;; [unrolled: 1-line block ×3, first 2 shown]
	s_waitcnt vmcnt(50)
	v_fmac_f32_e32 v189, v10, v137
	v_fmac_f32_e32 v190, v12, v136
	v_fma_f32 v137, v9, v137, -v153
	v_fma_f32 v136, v11, v136, -v154
	ds_read_b128 v[9:12], v130 offset:640
	s_waitcnt vmcnt(49) lgkmcnt(3)
	v_mul_f32_e32 v153, v5, v134
	v_mul_f32_e32 v134, v6, v134
	s_waitcnt vmcnt(48)
	v_mul_f32_e32 v154, v7, v133
	v_mul_f32_e32 v133, v8, v133
	s_waitcnt vmcnt(47) lgkmcnt(2)
	v_mul_f32_e32 v192, v1, v132
	v_fmac_f32_e32 v153, v6, v131
	v_fma_f32 v193, v5, v131, -v134
	s_waitcnt vmcnt(46)
	v_mul_f32_e32 v194, v3, v135
	v_mul_f32_e32 v131, v2, v132
	;; [unrolled: 1-line block ×3, first 2 shown]
	s_waitcnt vmcnt(42)
	v_fmac_f32_e32 v154, v8, v143
	v_fma_f32 v135, v7, v143, -v133
	ds_read_b128 v[5:8], v130 offset:656
	v_fmac_f32_e32 v192, v2, v142
	v_fmac_f32_e32 v194, v4, v140
	v_fma_f32 v142, v1, v142, -v131
	v_fma_f32 v140, v3, v140, -v132
	ds_read_b128 v[1:4], v130 offset:672
	s_waitcnt vmcnt(41) lgkmcnt(3)
	v_mul_f32_e32 v143, v180, v141
	v_mul_f32_e32 v131, v181, v141
	s_waitcnt vmcnt(40)
	v_mul_f32_e32 v141, v182, v139
	v_mul_f32_e32 v132, v183, v139
	s_waitcnt vmcnt(39) lgkmcnt(2)
	v_mul_f32_e32 v139, v9, v144
	v_fmac_f32_e32 v143, v181, v138
	v_fma_f32 v138, v180, v138, -v131
	s_waitcnt vmcnt(34)
	v_fmac_f32_e32 v141, v183, v151
	v_fma_f32 v151, v182, v151, -v132
	ds_read_b128 v[131:134], v130 offset:688
	v_mul_f32_e32 v180, v11, v145
	v_mul_f32_e32 v145, v12, v145
	;; [unrolled: 1-line block ×3, first 2 shown]
	v_fmac_f32_e32 v139, v10, v150
	s_waitcnt vmcnt(32) lgkmcnt(2)
	v_mul_f32_e32 v181, v7, v147
	v_fmac_f32_e32 v180, v12, v148
	v_fma_f32 v145, v11, v148, -v145
	v_mul_f32_e32 v148, v5, v149
	v_mul_f32_e32 v149, v6, v149
	;; [unrolled: 1-line block ×3, first 2 shown]
	v_fma_f32 v144, v9, v150, -v144
	ds_read_b128 v[9:12], v130 offset:704
	v_fmac_f32_e32 v148, v6, v146
	v_fma_f32 v146, v5, v146, -v149
	s_waitcnt vmcnt(31) lgkmcnt(2)
	v_mul_f32_e32 v149, v1, v152
	v_mul_f32_e32 v5, v2, v152
	buffer_load_dword v150, off, s[0:3], 0 offset:332
	s_waitcnt vmcnt(28)
	v_fmac_f32_e32 v181, v8, v167
	v_fma_f32 v147, v7, v167, -v147
	s_clause 0x3
	buffer_load_dword v152, off, s[0:3], 0 offset:352
	buffer_load_dword v167, off, s[0:3], 0 offset:344
	;; [unrolled: 1-line block ×4, first 2 shown]
	s_waitcnt vmcnt(31)
	v_mul_f32_e32 v195, v3, v166
	v_mul_f32_e32 v6, v4, v166
	v_fmac_f32_e32 v149, v2, v161
	v_fma_f32 v161, v1, v161, -v5
	s_waitcnt vmcnt(30) lgkmcnt(1)
	v_mul_f32_e32 v166, v131, v158
	s_waitcnt vmcnt(29)
	v_mul_f32_e32 v196, v133, v159
	v_mul_f32_e32 v1, v132, v158
	;; [unrolled: 1-line block ×3, first 2 shown]
	s_clause 0x2
	buffer_load_dword v158, off, s[0:3], 0 offset:340
	buffer_load_dword v159, off, s[0:3], 0 offset:348
	;; [unrolled: 1-line block ×3, first 2 shown]
	v_fmac_f32_e32 v195, v4, v157
	v_fma_f32 v157, v3, v157, -v6
	v_fmac_f32_e32 v166, v132, v155
	v_fma_f32 v131, v131, v155, -v1
	s_waitcnt vmcnt(28)
	v_fma_f32 v132, v133, v178, -v2
	ds_read_b128 v[1:4], v130 offset:720
	s_waitcnt vmcnt(27) lgkmcnt(1)
	v_mul_f32_e32 v5, v10, v176
	v_add_f32_e32 v6, 0, v189
	v_fmac_f32_e32 v196, v134, v178
	v_add_f32_e32 v7, 0, v137
	v_mul_f32_e32 v133, v9, v176
	v_fma_f32 v134, v9, v172, -v5
	v_add_f32_e32 v5, v6, v190
	s_waitcnt vmcnt(26)
	v_mul_f32_e32 v155, v11, v175
	v_add_f32_e32 v6, v7, v136
	v_mul_f32_e32 v8, v12, v175
	v_fmac_f32_e32 v133, v10, v172
	v_add_f32_e32 v5, v5, v153
	s_clause 0x3
	buffer_load_dword v172, off, s[0:3], 0 offset:364
	buffer_load_dword v175, off, s[0:3], 0 offset:372
	;; [unrolled: 1-line block ×4, first 2 shown]
	v_add_f32_e32 v6, v6, v193
	v_fmac_f32_e32 v155, v12, v170
	v_fma_f32 v136, v11, v170, -v8
	v_add_f32_e32 v5, v5, v154
	s_clause 0x3
	buffer_load_dword v153, off, s[0:3], 0 offset:396
	buffer_load_dword v170, off, s[0:3], 0 offset:404
	;; [unrolled: 1-line block ×4, first 2 shown]
	v_add_f32_e32 v6, v6, v135
	s_waitcnt vmcnt(33) lgkmcnt(0)
	v_mul_f32_e32 v135, v1, v168
	v_mul_f32_e32 v7, v2, v168
	v_add_f32_e32 v5, v5, v192
	s_clause 0x3
	buffer_load_dword v154, off, s[0:3], 0 offset:428
	buffer_load_dword v193, off, s[0:3], 0 offset:436
	buffer_load_dword v198, off, s[0:3], 0 offset:444
	buffer_load_dword v199, off, s[0:3], 0 offset:452
	v_add_f32_e32 v6, v6, v142
	buffer_load_dword v168, off, s[0:3], 0 offset:460
	v_fmac_f32_e32 v135, v2, v164
	v_fma_f32 v137, v1, v164, -v7
	v_add_f32_e32 v5, v5, v194
	s_clause 0x3
	buffer_load_dword v164, off, s[0:3], 0 offset:384
	buffer_load_dword v192, off, s[0:3], 0 offset:376
	buffer_load_dword v194, off, s[0:3], 0 offset:368
	buffer_load_dword v200, off, s[0:3], 0 offset:360
	v_add_f32_e32 v1, v6, v140
	v_add_f32_e32 v5, v5, v143
	v_add_f32_e32 v6, v1, v138
	s_waitcnt vmcnt(41)
	v_mul_f32_e32 v138, v3, v162
	v_mul_f32_e32 v1, v4, v162
	v_add_f32_e32 v5, v5, v141
	v_add_f32_e32 v6, v6, v151
	s_waitcnt vmcnt(37)
	v_fmac_f32_e32 v138, v4, v177
	v_fma_f32 v140, v3, v177, -v1
	ds_read_b128 v[1:4], v130 offset:736
	s_clause 0x3
	buffer_load_dword v151, off, s[0:3], 0 offset:416
	buffer_load_dword v162, off, s[0:3], 0 offset:408
	buffer_load_dword v177, off, s[0:3], 0 offset:400
	buffer_load_dword v201, off, s[0:3], 0 offset:392
	v_add_f32_e32 v6, v6, v144
	v_add_f32_e32 v5, v5, v139
	;; [unrolled: 1-line block ×4, first 2 shown]
	ds_read_b128 v[5:8], v130 offset:752
	v_add_f32_e32 v9, v9, v146
	v_add_f32_e32 v10, v10, v148
	s_waitcnt vmcnt(40) lgkmcnt(1)
	v_mul_f32_e32 v139, v1, v171
	v_mul_f32_e32 v11, v2, v171
	s_waitcnt vmcnt(39)
	v_mul_f32_e32 v143, v3, v179
	v_fmac_f32_e32 v139, v2, v169
	v_fma_f32 v141, v1, v169, -v11
	v_add_f32_e32 v1, v9, v147
	s_clause 0x3
	buffer_load_dword v147, off, s[0:3], 0 offset:448
	buffer_load_dword v148, off, s[0:3], 0 offset:440
	;; [unrolled: 1-line block ×4, first 2 shown]
	v_add_f32_e32 v2, v10, v181
	v_mul_f32_e32 v9, v4, v179
	v_fmac_f32_e32 v143, v4, v165
	v_add_f32_e32 v1, v1, v161
	buffer_load_dword v161, off, s[0:3], 0 offset:456
	v_add_f32_e32 v2, v2, v149
	buffer_load_dword v149, off, s[0:3], 0 offset:104
	v_fma_f32 v144, v3, v165, -v9
	v_add_f32_e32 v1, v1, v157
	s_waitcnt vmcnt(44) lgkmcnt(0)
	v_mul_f32_e32 v145, v5, v173
	v_add_f32_e32 v10, v2, v195
	s_waitcnt vmcnt(43)
	v_mul_f32_e32 v146, v7, v174
	v_mul_f32_e32 v157, v8, v174
	v_add_f32_e32 v131, v1, v131
	ds_read_b128 v[1:4], v130 offset:768
	v_add_f32_e32 v142, v10, v166
	ds_read_b128 v[9:12], v130 offset:784
	v_fmac_f32_e32 v145, v6, v156
	v_add_f32_e32 v131, v131, v132
	v_mul_f32_e32 v132, v6, v173
	v_add_f32_e32 v142, v142, v196
	s_waitcnt vmcnt(36)
	v_fmac_f32_e32 v146, v8, v188
	v_fma_f32 v157, v7, v188, -v157
	v_add_f32_e32 v165, v131, v134
	v_fma_f32 v156, v5, v156, -v132
	v_add_f32_e32 v142, v142, v133
	ds_read_b128 v[5:8], v130 offset:800
	ds_read_b128 v[131:134], v130 offset:816
	v_add_f32_e32 v136, v165, v136
	v_add_f32_e32 v142, v142, v155
	;; [unrolled: 1-line block ×3, first 2 shown]
	s_waitcnt lgkmcnt(3)
	v_mul_f32_e32 v165, v1, v163
	v_add_f32_e32 v135, v142, v135
	v_mul_f32_e32 v163, v2, v163
	v_mul_f32_e32 v155, v3, v160
	v_add_f32_e32 v140, v136, v140
	v_mul_f32_e32 v160, v4, v160
	v_add_f32_e32 v174, v135, v138
	v_fma_f32 v163, v1, v187, -v163
	v_fmac_f32_e32 v165, v2, v187
	v_add_f32_e32 v180, v140, v141
	s_waitcnt lgkmcnt(2)
	v_mul_f32_e32 v142, v10, v184
	v_add_f32_e32 v174, v174, v139
	v_fma_f32 v160, v3, v186, -v160
	v_mul_f32_e32 v166, v9, v184
	v_add_f32_e32 v144, v180, v144
	v_fmac_f32_e32 v155, v4, v186
	v_add_f32_e32 v143, v174, v143
	v_fma_f32 v179, v9, v185, -v142
	v_fmac_f32_e32 v166, v10, v185
	ds_read_b128 v[1:4], v130 offset:832
	ds_read_b128 v[135:138], v130 offset:848
	v_add_f32_e32 v143, v143, v145
	s_waitcnt vmcnt(34)
	v_mul_f32_e32 v173, v11, v150
	v_mul_f32_e32 v150, v12, v150
	s_waitcnt vmcnt(30)
	v_fmac_f32_e32 v173, v12, v183
	v_fma_f32 v150, v11, v183, -v150
	ds_read_b128 v[9:12], v130 offset:864
	ds_read_b128 v[139:142], v130 offset:880
	s_waitcnt vmcnt(29) lgkmcnt(5)
	v_mul_f32_e32 v180, v5, v158
	v_mul_f32_e32 v158, v6, v158
	s_waitcnt vmcnt(28)
	v_mul_f32_e32 v174, v7, v159
	v_mul_f32_e32 v159, v8, v159
	v_fmac_f32_e32 v180, v6, v182
	v_add_f32_e32 v6, v144, v156
	v_fma_f32 v156, v5, v182, -v158
	v_fma_f32 v158, v7, v167, -v159
	v_add_f32_e32 v159, v143, v146
	v_fmac_f32_e32 v174, v8, v167
	v_add_f32_e32 v157, v6, v157
	ds_read_b128 v[5:8], v130 offset:896
	ds_read_b128 v[143:146], v130 offset:912
	s_waitcnt vmcnt(27) lgkmcnt(6)
	v_mul_f32_e32 v130, v131, v197
	v_add_f32_e32 v159, v159, v165
	v_add_f32_e32 v157, v157, v163
	v_mul_f32_e32 v163, v132, v197
	s_waitcnt vmcnt(26)
	v_mul_f32_e32 v167, v134, v172
	v_add_f32_e32 v155, v159, v155
	v_mul_f32_e32 v165, v133, v172
	v_add_f32_e32 v157, v157, v160
	v_fma_f32 v131, v131, v152, -v163
	v_fmac_f32_e32 v130, v132, v152
	v_add_f32_e32 v155, v155, v166
	s_waitcnt vmcnt(25) lgkmcnt(5)
	v_mul_f32_e32 v160, v1, v175
	v_add_f32_e32 v157, v157, v179
	s_waitcnt vmcnt(24)
	v_mul_f32_e32 v159, v3, v176
	s_waitcnt vmcnt(23) lgkmcnt(4)
	v_mul_f32_e32 v172, v135, v178
	v_add_f32_e32 v155, v155, v173
	s_waitcnt vmcnt(22)
	v_mul_f32_e32 v179, v137, v153
	v_add_f32_e32 v150, v157, v150
	s_waitcnt vmcnt(21) lgkmcnt(3)
	v_mul_f32_e32 v166, v9, v170
	s_waitcnt vmcnt(20)
	v_mul_f32_e32 v181, v11, v189
	v_add_f32_e32 v155, v155, v180
	s_waitcnt vmcnt(12)
	v_fmac_f32_e32 v159, v4, v192
	v_add_f32_e32 v150, v150, v156
	s_waitcnt vmcnt(10)
	v_fma_f32 v133, v133, v200, -v167
	v_fmac_f32_e32 v165, v134, v200
	v_add_f32_e32 v152, v155, v174
	v_mul_f32_e32 v155, v2, v175
	v_add_f32_e32 v150, v150, v158
	v_mul_f32_e32 v134, v4, v176
	v_fmac_f32_e32 v160, v2, v194
	v_add_f32_e32 v130, v152, v130
	v_fma_f32 v1, v1, v194, -v155
	v_add_f32_e32 v131, v150, v131
	v_fma_f32 v3, v3, v192, -v134
	v_mul_f32_e32 v4, v138, v153
	v_add_f32_e32 v130, v130, v165
	v_fmac_f32_e32 v172, v136, v164
	v_add_f32_e32 v2, v131, v133
	v_mul_f32_e32 v131, v136, v178
	s_waitcnt vmcnt(6)
	v_fma_f32 v4, v137, v201, -v4
	v_fmac_f32_e32 v179, v138, v201
	v_fmac_f32_e32 v166, v10, v177
	v_add_f32_e32 v1, v2, v1
	v_add_f32_e32 v2, v130, v160
	v_fma_f32 v130, v135, v164, -v131
	s_waitcnt lgkmcnt(2)
	v_mul_f32_e32 v157, v139, v190
	v_fmac_f32_e32 v181, v12, v162
	v_add_f32_e32 v1, v1, v3
	v_add_f32_e32 v2, v2, v159
	v_mul_f32_e32 v3, v10, v170
	v_mul_f32_e32 v173, v141, v154
	v_fmac_f32_e32 v157, v140, v151
	v_add_f32_e32 v1, v1, v130
	v_add_f32_e32 v2, v2, v172
	v_mul_f32_e32 v130, v12, v189
	v_fma_f32 v3, v9, v177, -v3
	s_waitcnt lgkmcnt(1)
	v_mul_f32_e32 v182, v5, v193
	v_add_f32_e32 v1, v1, v4
	v_add_f32_e32 v2, v2, v179
	v_mul_f32_e32 v4, v140, v190
	v_fma_f32 v9, v11, v162, -v130
	v_mul_f32_e32 v156, v7, v198
	v_add_f32_e32 v1, v1, v3
	v_add_f32_e32 v2, v2, v166
	v_mul_f32_e32 v3, v142, v154
	v_fma_f32 v4, v139, v151, -v4
	s_waitcnt vmcnt(2)
	v_fmac_f32_e32 v173, v142, v171
	v_add_f32_e32 v1, v1, v9
	v_add_f32_e32 v2, v2, v181
	v_mul_f32_e32 v9, v6, v193
	v_fma_f32 v3, v141, v171, -v3
	v_fmac_f32_e32 v182, v6, v169
	v_add_f32_e32 v1, v1, v4
	v_add_f32_e32 v2, v2, v157
	v_mul_f32_e32 v4, v8, v198
	v_fma_f32 v5, v5, v169, -v9
	s_waitcnt lgkmcnt(0)
	v_mul_f32_e32 v180, v143, v199
	v_add_f32_e32 v1, v1, v3
	v_add_f32_e32 v2, v2, v173
	v_mul_f32_e32 v3, v144, v199
	v_fma_f32 v4, v7, v148, -v4
	v_fmac_f32_e32 v156, v8, v148
	v_add_f32_e32 v1, v1, v5
	v_add_f32_e32 v2, v2, v182
	v_mul_f32_e32 v5, v146, v168
	v_fma_f32 v3, v143, v147, -v3
	v_mul_f32_e32 v132, v145, v168
	v_add_f32_e32 v1, v1, v4
	v_fmac_f32_e32 v180, v144, v147
	v_add_f32_e32 v2, v2, v156
	s_waitcnt vmcnt(1)
	v_fma_f32 v4, v145, v161, -v5
	v_fmac_f32_e32 v132, v146, v161
	v_add_f32_e32 v1, v1, v3
	v_add_f32_e32 v2, v2, v180
	;; [unrolled: 1-line block ×4, first 2 shown]
	s_waitcnt vmcnt(0)
	v_sub_f32_e32 v1, v149, v1
	v_sub_f32_e32 v2, v191, v2
	buffer_store_dword v1, off, s[0:3], 0 offset:104
	buffer_store_dword v2, off, s[0:3], 0 offset:108
	v_cmpx_lt_u32_e32 12, v0
	s_cbranch_execz .LBB121_337
; %bb.336:
	s_clause 0x1
	buffer_load_dword v1, off, s[0:3], 0 offset:96
	buffer_load_dword v2, off, s[0:3], 0 offset:100
	v_mov_b32_e32 v3, 0
	buffer_store_dword v3, off, s[0:3], 0 offset:96
	buffer_store_dword v3, off, s[0:3], 0 offset:100
	s_waitcnt vmcnt(0)
	ds_write_b64 v129, v[1:2]
.LBB121_337:
	s_or_b32 exec_lo, exec_lo, s4
	s_waitcnt lgkmcnt(0)
	s_waitcnt_vscnt null, 0x0
	s_barrier
	buffer_gl0_inv
	s_clause 0x2b
	buffer_load_dword v132, off, s[0:3], 0 offset:108
	buffer_load_dword v133, off, s[0:3], 0 offset:116
	;; [unrolled: 1-line block ×44, first 2 shown]
	v_mov_b32_e32 v130, 0
	ds_read2_b64 v[9:12], v130 offset0:71 offset1:72
	ds_read2_b64 v[5:8], v130 offset0:73 offset1:74
	s_clause 0x1
	buffer_load_dword v179, off, s[0:3], 0 offset:276
	buffer_load_dword v174, off, s[0:3], 0 offset:284
	ds_read2_b64 v[1:4], v130 offset0:75 offset1:76
	s_clause 0x9
	buffer_load_dword v173, off, s[0:3], 0 offset:292
	buffer_load_dword v161, off, s[0:3], 0 offset:300
	;; [unrolled: 1-line block ×10, first 2 shown]
	ds_read2_b64 v[181:184], v130 offset0:77 offset1:78
	s_mov_b32 s4, exec_lo
	s_waitcnt vmcnt(55) lgkmcnt(3)
	v_mul_f32_e32 v191, v9, v132
	v_mul_f32_e32 v132, v10, v132
	s_waitcnt vmcnt(54)
	v_mul_f32_e32 v192, v11, v133
	v_mul_f32_e32 v133, v12, v133
	s_waitcnt vmcnt(51)
	v_fmac_f32_e32 v191, v10, v138
	v_fma_f32 v138, v9, v138, -v132
	s_waitcnt vmcnt(50) lgkmcnt(2)
	v_mul_f32_e32 v193, v5, v137
	v_mul_f32_e32 v132, v6, v137
	v_fmac_f32_e32 v192, v12, v134
	v_fma_f32 v137, v11, v134, -v133
	ds_read2_b64 v[9:12], v130 offset0:79 offset1:80
	s_waitcnt vmcnt(49)
	v_mul_f32_e32 v194, v7, v135
	v_mul_f32_e32 v133, v8, v135
	v_fmac_f32_e32 v193, v6, v131
	v_fma_f32 v135, v5, v131, -v132
	s_waitcnt vmcnt(48) lgkmcnt(2)
	v_mul_f32_e32 v195, v1, v136
	v_mul_f32_e32 v131, v2, v136
	s_waitcnt vmcnt(44)
	v_fmac_f32_e32 v194, v8, v145
	v_fma_f32 v136, v7, v145, -v133
	ds_read2_b64 v[5:8], v130 offset0:81 offset1:82
	s_waitcnt vmcnt(43)
	v_mul_f32_e32 v145, v3, v144
	v_mul_f32_e32 v132, v4, v144
	v_fmac_f32_e32 v195, v2, v142
	v_fma_f32 v142, v1, v142, -v131
	s_waitcnt vmcnt(42) lgkmcnt(2)
	v_mul_f32_e32 v144, v181, v143
	v_mul_f32_e32 v131, v182, v143
	v_fmac_f32_e32 v145, v4, v140
	v_fma_f32 v140, v3, v140, -v132
	ds_read2_b64 v[1:4], v130 offset0:83 offset1:84
	s_waitcnt vmcnt(41)
	v_mul_f32_e32 v143, v183, v141
	v_mul_f32_e32 v132, v184, v141
	v_fmac_f32_e32 v144, v182, v139
	v_fma_f32 v139, v181, v139, -v131
	s_waitcnt vmcnt(40) lgkmcnt(2)
	v_mul_f32_e32 v141, v9, v146
	s_waitcnt vmcnt(36)
	v_fmac_f32_e32 v143, v184, v153
	v_fma_f32 v153, v183, v153, -v132
	ds_read2_b64 v[131:134], v130 offset0:85 offset1:86
	v_mul_f32_e32 v146, v10, v146
	s_waitcnt vmcnt(35)
	v_mul_f32_e32 v181, v11, v152
	v_mul_f32_e32 v152, v12, v152
	v_fmac_f32_e32 v141, v10, v150
	v_fma_f32 v146, v9, v150, -v146
	s_waitcnt vmcnt(34) lgkmcnt(2)
	v_mul_f32_e32 v150, v5, v151
	v_mul_f32_e32 v151, v6, v151
	v_fmac_f32_e32 v181, v12, v148
	v_fma_f32 v148, v11, v148, -v152
	s_waitcnt vmcnt(33)
	v_mul_f32_e32 v152, v7, v149
	v_mul_f32_e32 v149, v8, v149
	v_fmac_f32_e32 v150, v6, v147
	v_fma_f32 v147, v5, v147, -v151
	s_waitcnt vmcnt(32) lgkmcnt(1)
	v_mul_f32_e32 v151, v1, v154
	v_mul_f32_e32 v5, v2, v154
	ds_read2_b64 v[9:12], v130 offset0:87 offset1:88
	s_waitcnt vmcnt(28)
	v_fmac_f32_e32 v152, v8, v167
	v_fma_f32 v149, v7, v167, -v149
	s_clause 0x3
	buffer_load_dword v154, off, s[0:3], 0 offset:344
	buffer_load_dword v167, off, s[0:3], 0 offset:336
	;; [unrolled: 1-line block ×4, first 2 shown]
	s_waitcnt vmcnt(31)
	v_mul_f32_e32 v184, v3, v165
	v_mul_f32_e32 v6, v4, v165
	v_fmac_f32_e32 v151, v2, v163
	v_fma_f32 v163, v1, v163, -v5
	s_waitcnt vmcnt(30) lgkmcnt(1)
	v_mul_f32_e32 v165, v131, v159
	s_waitcnt vmcnt(29)
	v_mul_f32_e32 v196, v133, v160
	v_mul_f32_e32 v1, v132, v159
	;; [unrolled: 1-line block ×3, first 2 shown]
	s_clause 0x2
	buffer_load_dword v159, off, s[0:3], 0 offset:332
	buffer_load_dword v160, off, s[0:3], 0 offset:340
	buffer_load_dword v197, off, s[0:3], 0 offset:348
	v_fmac_f32_e32 v184, v4, v157
	v_fma_f32 v157, v3, v157, -v6
	v_fmac_f32_e32 v165, v132, v156
	v_fma_f32 v131, v131, v156, -v1
	s_waitcnt vmcnt(28)
	v_fma_f32 v132, v133, v178, -v2
	ds_read2_b64 v[1:4], v130 offset0:89 offset1:90
	v_add_f32_e32 v5, 0, v191
	s_waitcnt vmcnt(27) lgkmcnt(1)
	v_mul_f32_e32 v6, v10, v175
	v_add_f32_e32 v8, 0, v138
	v_fmac_f32_e32 v196, v134, v178
	v_mul_f32_e32 v133, v9, v175
	v_add_f32_e32 v5, v5, v192
	v_fma_f32 v138, v9, v172, -v6
	v_add_f32_e32 v6, v8, v137
	s_waitcnt vmcnt(26)
	v_mul_f32_e32 v134, v11, v176
	v_mul_f32_e32 v7, v12, v176
	v_add_f32_e32 v5, v5, v193
	v_fmac_f32_e32 v133, v10, v172
	v_add_f32_e32 v6, v6, v135
	v_fmac_f32_e32 v134, v12, v171
	v_fma_f32 v156, v11, v171, -v7
	v_add_f32_e32 v5, v5, v194
	s_clause 0x7
	buffer_load_dword v171, off, s[0:3], 0 offset:356
	buffer_load_dword v172, off, s[0:3], 0 offset:364
	buffer_load_dword v175, off, s[0:3], 0 offset:372
	buffer_load_dword v176, off, s[0:3], 0 offset:380
	buffer_load_dword v178, off, s[0:3], 0 offset:376
	buffer_load_dword v191, off, s[0:3], 0 offset:368
	buffer_load_dword v192, off, s[0:3], 0 offset:360
	buffer_load_dword v193, off, s[0:3], 0 offset:352
	v_add_f32_e32 v6, v6, v136
	s_clause 0x1
	buffer_load_dword v194, off, s[0:3], 0 offset:388
	buffer_load_dword v198, off, s[0:3], 0 offset:396
	s_waitcnt vmcnt(35) lgkmcnt(0)
	v_mul_f32_e32 v135, v1, v168
	v_mul_f32_e32 v7, v2, v168
	v_add_f32_e32 v5, v5, v195
	s_waitcnt vmcnt(34)
	v_mul_f32_e32 v137, v3, v164
	s_clause 0x1
	buffer_load_dword v168, off, s[0:3], 0 offset:404
	buffer_load_dword v195, off, s[0:3], 0 offset:412
	v_fmac_f32_e32 v135, v2, v166
	v_fma_f32 v136, v1, v166, -v7
	v_add_f32_e32 v1, v6, v142
	v_add_f32_e32 v2, v5, v145
	s_clause 0x3
	buffer_load_dword v166, off, s[0:3], 0 offset:420
	buffer_load_dword v199, off, s[0:3], 0 offset:428
	;; [unrolled: 1-line block ×4, first 2 shown]
	s_waitcnt vmcnt(36)
	v_fmac_f32_e32 v137, v4, v177
	buffer_load_dword v202, off, s[0:3], 0 offset:452
	v_add_f32_e32 v1, v1, v140
	v_add_f32_e32 v5, v2, v144
	v_mul_f32_e32 v2, v4, v164
	buffer_load_dword v164, off, s[0:3], 0 offset:460
	v_add_f32_e32 v6, v1, v139
	v_add_f32_e32 v5, v5, v143
	v_fma_f32 v139, v3, v177, -v2
	ds_read2_b64 v[1:4], v130 offset0:91 offset1:92
	v_add_f32_e32 v6, v6, v153
	v_add_f32_e32 v5, v5, v141
	s_clause 0x3
	buffer_load_dword v153, off, s[0:3], 0 offset:408
	buffer_load_dword v177, off, s[0:3], 0 offset:400
	;; [unrolled: 1-line block ×4, first 2 shown]
	v_add_f32_e32 v6, v6, v146
	v_add_f32_e32 v5, v5, v181
	;; [unrolled: 1-line block ×4, first 2 shown]
	ds_read2_b64 v[5:8], v130 offset0:93 offset1:94
	v_add_f32_e32 v9, v9, v147
	v_add_f32_e32 v10, v10, v152
	s_waitcnt vmcnt(41) lgkmcnt(1)
	v_mul_f32_e32 v140, v1, v170
	v_mul_f32_e32 v11, v2, v170
	s_waitcnt vmcnt(40)
	v_mul_f32_e32 v142, v3, v179
	v_fmac_f32_e32 v140, v2, v169
	v_fma_f32 v141, v1, v169, -v11
	v_add_f32_e32 v1, v9, v149
	v_add_f32_e32 v2, v10, v151
	s_clause 0x3
	buffer_load_dword v149, off, s[0:3], 0 offset:440
	buffer_load_dword v150, off, s[0:3], 0 offset:432
	;; [unrolled: 1-line block ×4, first 2 shown]
	v_mul_f32_e32 v9, v4, v179
	v_fmac_f32_e32 v142, v4, v162
	v_add_f32_e32 v1, v1, v163
	s_clause 0x1
	buffer_load_dword v163, off, s[0:3], 0 offset:456
	buffer_load_dword v169, off, s[0:3], 0 offset:448
	v_add_f32_e32 v2, v2, v184
	s_waitcnt vmcnt(45) lgkmcnt(0)
	v_mul_f32_e32 v144, v5, v174
	s_waitcnt vmcnt(44)
	v_mul_f32_e32 v145, v7, v173
	v_add_f32_e32 v1, v1, v157
	buffer_load_dword v157, off, s[0:3], 0 offset:96
	v_add_f32_e32 v2, v2, v165
	v_fma_f32 v143, v3, v162, -v9
	v_fmac_f32_e32 v144, v6, v155
	v_add_f32_e32 v10, v1, v131
	s_waitcnt vmcnt(38)
	v_fmac_f32_e32 v145, v8, v189
	v_add_f32_e32 v131, v2, v196
	ds_read2_b64 v[1:4], v130 offset0:95 offset1:96
	v_add_f32_e32 v132, v10, v132
	ds_read2_b64 v[9:12], v130 offset0:97 offset1:98
	v_add_f32_e32 v131, v131, v133
	v_mul_f32_e32 v133, v6, v174
	v_add_f32_e32 v132, v132, v138
	v_mul_f32_e32 v138, v8, v173
	v_add_f32_e32 v147, v131, v134
	v_fma_f32 v146, v5, v155, -v133
	v_fma_f32 v148, v7, v189, -v138
	v_add_f32_e32 v138, v132, v156
	v_add_f32_e32 v135, v147, v135
	ds_read2_b64 v[5:8], v130 offset0:99 offset1:100
	ds_read2_b64 v[131:134], v130 offset0:101 offset1:102
	v_add_f32_e32 v136, v138, v136
	v_add_f32_e32 v135, v135, v137
	s_waitcnt lgkmcnt(3)
	v_mul_f32_e32 v155, v2, v161
	v_mul_f32_e32 v147, v1, v161
	;; [unrolled: 1-line block ×3, first 2 shown]
	v_add_f32_e32 v136, v136, v139
	v_add_f32_e32 v140, v135, v140
	v_fma_f32 v155, v1, v188, -v155
	v_mul_f32_e32 v156, v3, v158
	v_fmac_f32_e32 v147, v2, v188
	v_add_f32_e32 v141, v136, v141
	v_add_f32_e32 v173, v140, v142
	s_waitcnt lgkmcnt(2)
	v_mul_f32_e32 v139, v10, v186
	v_fma_f32 v162, v3, v187, -v138
	v_mul_f32_e32 v158, v9, v186
	v_add_f32_e32 v143, v141, v143
	v_add_f32_e32 v144, v173, v144
	v_fmac_f32_e32 v156, v4, v187
	s_waitcnt vmcnt(37)
	v_mul_f32_e32 v165, v12, v190
	v_fma_f32 v170, v9, v185, -v139
	v_add_f32_e32 v143, v143, v146
	v_mul_f32_e32 v161, v11, v190
	v_fmac_f32_e32 v158, v10, v185
	ds_read2_b64 v[1:4], v130 offset0:103 offset1:104
	ds_read2_b64 v[135:138], v130 offset0:105 offset1:106
	v_add_f32_e32 v143, v143, v148
	v_add_f32_e32 v155, v143, v155
	;; [unrolled: 1-line block ×4, first 2 shown]
	s_waitcnt vmcnt(32)
	v_fma_f32 v165, v11, v183, -v165
	v_fmac_f32_e32 v161, v12, v183
	ds_read2_b64 v[9:12], v130 offset0:107 offset1:108
	ds_read2_b64 v[139:142], v130 offset0:109 offset1:110
	v_add_f32_e32 v155, v155, v165
	s_waitcnt vmcnt(31) lgkmcnt(5)
	v_mul_f32_e32 v173, v5, v159
	s_waitcnt vmcnt(30)
	v_mul_f32_e32 v174, v7, v160
	v_mul_f32_e32 v146, v6, v159
	;; [unrolled: 1-line block ×3, first 2 shown]
	s_waitcnt vmcnt(29) lgkmcnt(4)
	v_mul_f32_e32 v179, v132, v197
	v_fmac_f32_e32 v173, v6, v182
	v_add_f32_e32 v6, v144, v145
	v_fmac_f32_e32 v174, v8, v167
	v_fma_f32 v159, v7, v167, -v159
	v_fma_f32 v160, v5, v182, -v146
	v_add_f32_e32 v167, v6, v147
	ds_read2_b64 v[5:8], v130 offset0:111 offset1:112
	ds_read2_b64 v[143:146], v130 offset0:113 offset1:114
	ds_read_b64 v[147:148], v130 offset:920
	v_add_f32_e32 v155, v155, v160
	v_add_f32_e32 v156, v167, v156
	v_mul_f32_e32 v167, v131, v197
	v_fma_f32 v131, v131, v154, -v179
	s_waitcnt vmcnt(28)
	v_mul_f32_e32 v162, v133, v171
	v_mul_f32_e32 v171, v134, v171
	v_add_f32_e32 v156, v156, v158
	v_fmac_f32_e32 v167, v132, v154
	v_add_f32_e32 v155, v155, v159
	s_waitcnt vmcnt(27) lgkmcnt(6)
	v_mul_f32_e32 v158, v1, v172
	v_mul_f32_e32 v165, v2, v172
	v_add_f32_e32 v154, v156, v161
	s_waitcnt vmcnt(21)
	v_fma_f32 v133, v133, v193, -v171
	v_add_f32_e32 v131, v155, v131
	v_fmac_f32_e32 v162, v134, v193
	v_mul_f32_e32 v159, v4, v175
	v_add_f32_e32 v154, v154, v173
	v_fmac_f32_e32 v158, v2, v192
	v_fma_f32 v1, v1, v192, -v165
	v_add_f32_e32 v2, v131, v133
	v_mul_f32_e32 v170, v3, v175
	v_add_f32_e32 v154, v154, v174
	s_waitcnt lgkmcnt(5)
	v_mul_f32_e32 v133, v136, v176
	v_fma_f32 v3, v3, v191, -v159
	v_add_f32_e32 v1, v2, v1
	v_mul_f32_e32 v132, v135, v176
	v_add_f32_e32 v154, v154, v167
	v_fmac_f32_e32 v170, v4, v191
	s_waitcnt vmcnt(20)
	v_mul_f32_e32 v4, v138, v194
	v_add_f32_e32 v1, v1, v3
	v_mul_f32_e32 v156, v137, v194
	v_add_f32_e32 v131, v154, v162
	v_fmac_f32_e32 v132, v136, v178
	s_waitcnt vmcnt(19) lgkmcnt(4)
	v_mul_f32_e32 v3, v10, v198
	v_mul_f32_e32 v161, v9, v198
	s_waitcnt vmcnt(18)
	v_mul_f32_e32 v134, v11, v168
	v_add_f32_e32 v2, v131, v158
	v_fma_f32 v131, v135, v178, -v133
	s_waitcnt vmcnt(7)
	v_fma_f32 v4, v137, v204, -v4
	v_fmac_f32_e32 v156, v138, v204
	v_fma_f32 v3, v9, v203, -v3
	v_add_f32_e32 v2, v2, v170
	v_add_f32_e32 v1, v1, v131
	v_mul_f32_e32 v131, v12, v168
	v_fmac_f32_e32 v161, v10, v203
	s_waitcnt lgkmcnt(3)
	v_mul_f32_e32 v171, v139, v195
	v_add_f32_e32 v2, v2, v132
	v_add_f32_e32 v1, v1, v4
	v_mul_f32_e32 v4, v140, v195
	v_fma_f32 v9, v11, v177, -v131
	v_fmac_f32_e32 v134, v12, v177
	v_add_f32_e32 v2, v2, v156
	v_add_f32_e32 v1, v1, v3
	v_mul_f32_e32 v3, v142, v166
	v_fma_f32 v4, v139, v153, -v4
	v_mul_f32_e32 v160, v141, v166
	v_add_f32_e32 v2, v2, v161
	v_add_f32_e32 v1, v1, v9
	v_fmac_f32_e32 v171, v140, v153
	s_waitcnt lgkmcnt(2)
	v_mul_f32_e32 v9, v6, v199
	v_mul_f32_e32 v172, v5, v199
	v_add_f32_e32 v2, v2, v134
	s_waitcnt vmcnt(3)
	v_fma_f32 v3, v141, v152, -v3
	v_add_f32_e32 v1, v1, v4
	v_fmac_f32_e32 v160, v142, v152
	v_mul_f32_e32 v4, v8, v200
	v_add_f32_e32 v2, v2, v171
	v_fma_f32 v5, v5, v151, -v9
	v_add_f32_e32 v1, v1, v3
	v_mul_f32_e32 v173, v7, v200
	v_fmac_f32_e32 v172, v6, v151
	v_add_f32_e32 v2, v2, v160
	s_waitcnt lgkmcnt(1)
	v_mul_f32_e32 v3, v144, v201
	v_fma_f32 v4, v7, v150, -v4
	v_add_f32_e32 v1, v1, v5
	v_mul_f32_e32 v174, v143, v201
	v_fmac_f32_e32 v173, v8, v150
	v_add_f32_e32 v2, v2, v172
	v_mul_f32_e32 v5, v146, v202
	v_fma_f32 v3, v143, v149, -v3
	v_add_f32_e32 v1, v1, v4
	v_mul_f32_e32 v175, v145, v202
	v_fmac_f32_e32 v174, v144, v149
	v_add_f32_e32 v2, v2, v173
	s_waitcnt lgkmcnt(0)
	v_mul_f32_e32 v4, v148, v164
	s_waitcnt vmcnt(1)
	v_fma_f32 v5, v145, v169, -v5
	v_add_f32_e32 v1, v1, v3
	v_mul_f32_e32 v155, v147, v164
	v_fmac_f32_e32 v175, v146, v169
	v_add_f32_e32 v2, v2, v174
	v_fma_f32 v3, v147, v163, -v4
	v_add_f32_e32 v1, v1, v5
	v_fmac_f32_e32 v155, v148, v163
	v_add_f32_e32 v2, v2, v175
	v_add_f32_e32 v1, v1, v3
	;; [unrolled: 1-line block ×3, first 2 shown]
	s_waitcnt vmcnt(0)
	v_sub_f32_e32 v1, v157, v1
	v_sub_f32_e32 v2, v180, v2
	buffer_store_dword v1, off, s[0:3], 0 offset:96
	buffer_store_dword v2, off, s[0:3], 0 offset:100
	v_cmpx_lt_u32_e32 11, v0
	s_cbranch_execz .LBB121_339
; %bb.338:
	s_clause 0x1
	buffer_load_dword v1, off, s[0:3], 0 offset:88
	buffer_load_dword v2, off, s[0:3], 0 offset:92
	buffer_store_dword v130, off, s[0:3], 0 offset:88
	buffer_store_dword v130, off, s[0:3], 0 offset:92
	s_waitcnt vmcnt(0)
	ds_write_b64 v129, v[1:2]
.LBB121_339:
	s_or_b32 exec_lo, exec_lo, s4
	s_waitcnt lgkmcnt(0)
	s_waitcnt_vscnt null, 0x0
	s_barrier
	buffer_gl0_inv
	s_clause 0x2c
	buffer_load_dword v171, off, s[0:3], 0 offset:100
	buffer_load_dword v172, off, s[0:3], 0 offset:108
	buffer_load_dword v9, off, s[0:3], 0 offset:112
	buffer_load_dword v132, off, s[0:3], 0 offset:104
	buffer_load_dword v133, off, s[0:3], 0 offset:96
	buffer_load_dword v12, off, s[0:3], 0 offset:116
	buffer_load_dword v11, off, s[0:3], 0 offset:124
	buffer_load_dword v10, off, s[0:3], 0 offset:132
	buffer_load_dword v131, off, s[0:3], 0 offset:140
	buffer_load_dword v134, off, s[0:3], 0 offset:144
	buffer_load_dword v136, off, s[0:3], 0 offset:136
	buffer_load_dword v138, off, s[0:3], 0 offset:128
	buffer_load_dword v139, off, s[0:3], 0 offset:120
	buffer_load_dword v137, off, s[0:3], 0 offset:148
	buffer_load_dword v135, off, s[0:3], 0 offset:156
	buffer_load_dword v140, off, s[0:3], 0 offset:164
	buffer_load_dword v141, off, s[0:3], 0 offset:172
	buffer_load_dword v142, off, s[0:3], 0 offset:176
	buffer_load_dword v144, off, s[0:3], 0 offset:168
	buffer_load_dword v146, off, s[0:3], 0 offset:160
	buffer_load_dword v147, off, s[0:3], 0 offset:152
	buffer_load_dword v145, off, s[0:3], 0 offset:180
	buffer_load_dword v143, off, s[0:3], 0 offset:188
	buffer_load_dword v148, off, s[0:3], 0 offset:196
	buffer_load_dword v149, off, s[0:3], 0 offset:204
	buffer_load_dword v150, off, s[0:3], 0 offset:208
	buffer_load_dword v153, off, s[0:3], 0 offset:200
	buffer_load_dword v155, off, s[0:3], 0 offset:192
	buffer_load_dword v156, off, s[0:3], 0 offset:184
	buffer_load_dword v151, off, s[0:3], 0 offset:212
	buffer_load_dword v152, off, s[0:3], 0 offset:220
	buffer_load_dword v157, off, s[0:3], 0 offset:228
	buffer_load_dword v158, off, s[0:3], 0 offset:240
	buffer_load_dword v159, off, s[0:3], 0 offset:232
	buffer_load_dword v162, off, s[0:3], 0 offset:224
	buffer_load_dword v164, off, s[0:3], 0 offset:216
	buffer_load_dword v163, off, s[0:3], 0 offset:236
	buffer_load_dword v160, off, s[0:3], 0 offset:244
	buffer_load_dword v161, off, s[0:3], 0 offset:252
	buffer_load_dword v154, off, s[0:3], 0 offset:272
	buffer_load_dword v166, off, s[0:3], 0 offset:264
	buffer_load_dword v167, off, s[0:3], 0 offset:256
	buffer_load_dword v170, off, s[0:3], 0 offset:248
	buffer_load_dword v168, off, s[0:3], 0 offset:260
	buffer_load_dword v169, off, s[0:3], 0 offset:268
	ds_read_b128 v[5:8], v130 offset:560
	buffer_load_dword v165, off, s[0:3], 0 offset:276
	ds_read_b128 v[1:4], v130 offset:576
	ds_read_b128 v[181:184], v130 offset:592
	s_clause 0x7
	buffer_load_dword v179, off, s[0:3], 0 offset:284
	buffer_load_dword v177, off, s[0:3], 0 offset:292
	;; [unrolled: 1-line block ×8, first 2 shown]
	ds_read_b128 v[185:188], v130 offset:608
	s_mov_b32 s4, exec_lo
	s_waitcnt vmcnt(53) lgkmcnt(3)
	v_mul_f32_e32 v189, v5, v171
	s_waitcnt vmcnt(52)
	v_mul_f32_e32 v190, v7, v172
	v_mul_f32_e32 v191, v6, v171
	v_mul_f32_e32 v172, v8, v172
	buffer_load_dword v171, off, s[0:3], 0 offset:92
	s_waitcnt vmcnt(50)
	v_fmac_f32_e32 v189, v6, v133
	v_fmac_f32_e32 v190, v8, v132
	v_fma_f32 v191, v5, v133, -v191
	v_fma_f32 v172, v7, v132, -v172
	ds_read_b128 v[5:8], v130 offset:624
	s_waitcnt vmcnt(49) lgkmcnt(3)
	v_mul_f32_e32 v192, v1, v12
	v_mul_f32_e32 v12, v2, v12
	s_waitcnt vmcnt(48)
	v_mul_f32_e32 v193, v3, v11
	v_mul_f32_e32 v11, v4, v11
	s_waitcnt vmcnt(47) lgkmcnt(2)
	v_mul_f32_e32 v194, v181, v10
	v_fmac_f32_e32 v192, v2, v9
	v_fma_f32 v195, v1, v9, -v12
	s_waitcnt vmcnt(46)
	v_mul_f32_e32 v196, v183, v131
	v_mul_f32_e32 v9, v182, v10
	;; [unrolled: 1-line block ×3, first 2 shown]
	s_waitcnt vmcnt(42)
	v_fmac_f32_e32 v193, v4, v139
	v_fma_f32 v139, v3, v139, -v11
	ds_read_b128 v[1:4], v130 offset:640
	v_fmac_f32_e32 v194, v182, v138
	v_fmac_f32_e32 v196, v184, v136
	v_fma_f32 v138, v181, v138, -v9
	v_fma_f32 v136, v183, v136, -v10
	ds_read_b128 v[9:12], v130 offset:656
	s_waitcnt vmcnt(41) lgkmcnt(3)
	v_mul_f32_e32 v181, v185, v137
	v_mul_f32_e32 v131, v186, v137
	s_waitcnt vmcnt(40)
	v_mul_f32_e32 v137, v187, v135
	v_mul_f32_e32 v132, v188, v135
	s_waitcnt vmcnt(39) lgkmcnt(2)
	v_mul_f32_e32 v135, v5, v140
	v_fmac_f32_e32 v181, v186, v134
	v_fma_f32 v182, v185, v134, -v131
	s_waitcnt vmcnt(34)
	v_fmac_f32_e32 v137, v188, v147
	v_fma_f32 v147, v187, v147, -v132
	ds_read_b128 v[131:134], v130 offset:672
	v_mul_f32_e32 v183, v7, v141
	v_mul_f32_e32 v140, v6, v140
	;; [unrolled: 1-line block ×3, first 2 shown]
	v_fmac_f32_e32 v135, v6, v146
	v_fmac_f32_e32 v183, v8, v144
	v_fma_f32 v140, v5, v146, -v140
	v_fma_f32 v141, v7, v144, -v141
	ds_read_b128 v[5:8], v130 offset:688
	s_waitcnt vmcnt(33) lgkmcnt(3)
	v_mul_f32_e32 v144, v1, v145
	v_mul_f32_e32 v145, v2, v145
	s_waitcnt vmcnt(32)
	v_mul_f32_e32 v146, v3, v143
	v_mul_f32_e32 v143, v4, v143
	s_waitcnt vmcnt(31) lgkmcnt(2)
	v_mul_f32_e32 v184, v9, v148
	v_fmac_f32_e32 v144, v2, v142
	v_fma_f32 v142, v1, v142, -v145
	s_waitcnt vmcnt(30)
	v_mul_f32_e32 v145, v11, v149
	v_mul_f32_e32 v149, v12, v149
	s_waitcnt vmcnt(26)
	v_fmac_f32_e32 v146, v4, v156
	v_fma_f32 v143, v3, v156, -v143
	ds_read_b128 v[1:4], v130 offset:704
	v_mul_f32_e32 v148, v10, v148
	v_fmac_f32_e32 v145, v12, v153
	v_fma_f32 v149, v11, v153, -v149
	s_waitcnt vmcnt(25) lgkmcnt(2)
	v_mul_f32_e32 v153, v131, v151
	v_mul_f32_e32 v151, v132, v151
	v_fmac_f32_e32 v184, v10, v155
	v_fma_f32 v148, v9, v155, -v148
	ds_read_b128 v[9:12], v130 offset:720
	v_fmac_f32_e32 v153, v132, v150
	v_fma_f32 v131, v131, v150, -v151
	s_clause 0x1
	buffer_load_dword v150, off, s[0:3], 0 offset:316
	buffer_load_dword v151, off, s[0:3], 0 offset:324
	s_waitcnt vmcnt(26)
	v_mul_f32_e32 v155, v133, v152
	v_mul_f32_e32 v152, v134, v152
	s_waitcnt vmcnt(25) lgkmcnt(2)
	v_mul_f32_e32 v156, v5, v157
	v_mul_f32_e32 v157, v6, v157
	s_waitcnt vmcnt(21)
	v_fmac_f32_e32 v155, v134, v164
	v_fma_f32 v132, v133, v164, -v152
	s_waitcnt vmcnt(20)
	v_mul_f32_e32 v133, v7, v163
	v_mul_f32_e32 v134, v8, v163
	v_fmac_f32_e32 v156, v6, v162
	v_fma_f32 v152, v5, v162, -v157
	s_clause 0x3
	buffer_load_dword v157, off, s[0:3], 0 offset:336
	buffer_load_dword v162, off, s[0:3], 0 offset:328
	;; [unrolled: 1-line block ×4, first 2 shown]
	v_fmac_f32_e32 v133, v8, v159
	v_fma_f32 v134, v7, v159, -v134
	s_waitcnt vmcnt(23) lgkmcnt(1)
	v_mul_f32_e32 v159, v1, v160
	s_waitcnt vmcnt(22)
	v_mul_f32_e32 v185, v3, v161
	v_mul_f32_e32 v5, v2, v160
	;; [unrolled: 1-line block ×3, first 2 shown]
	s_clause 0x1
	buffer_load_dword v160, off, s[0:3], 0 offset:332
	buffer_load_dword v161, off, s[0:3], 0 offset:340
	s_waitcnt vmcnt(18) lgkmcnt(0)
	v_mul_f32_e32 v188, v11, v169
	v_fmac_f32_e32 v185, v4, v170
	v_fmac_f32_e32 v159, v2, v158
	v_fma_f32 v170, v3, v170, -v6
	v_mul_f32_e32 v6, v12, v169
	v_fma_f32 v158, v1, v158, -v5
	v_mul_f32_e32 v187, v9, v168
	v_mul_f32_e32 v5, v10, v168
	v_fmac_f32_e32 v188, v12, v166
	v_fma_f32 v166, v11, v166, -v6
	v_add_f32_e32 v6, 0, v191
	v_fmac_f32_e32 v187, v10, v167
	v_fma_f32 v167, v9, v167, -v5
	v_add_f32_e32 v5, 0, v189
	buffer_load_dword v186, off, s[0:3], 0 offset:348
	v_add_f32_e32 v6, v6, v172
	ds_read_b128 v[1:4], v130 offset:736
	s_clause 0x3
	buffer_load_dword v168, off, s[0:3], 0 offset:368
	buffer_load_dword v169, off, s[0:3], 0 offset:360
	;; [unrolled: 1-line block ×4, first 2 shown]
	v_add_f32_e32 v5, v5, v190
	s_clause 0x2
	buffer_load_dword v190, off, s[0:3], 0 offset:356
	buffer_load_dword v172, off, s[0:3], 0 offset:364
	;; [unrolled: 1-line block ×3, first 2 shown]
	v_add_f32_e32 v6, v6, v195
	v_add_f32_e32 v5, v5, v192
	v_add_f32_e32 v6, v6, v139
	v_add_f32_e32 v5, v5, v193
	s_clause 0x2
	buffer_load_dword v192, off, s[0:3], 0 offset:380
	buffer_load_dword v193, off, s[0:3], 0 offset:388
	;; [unrolled: 1-line block ×3, first 2 shown]
	v_add_f32_e32 v6, v6, v138
	v_add_f32_e32 v5, v5, v194
	s_clause 0x2
	buffer_load_dword v194, off, s[0:3], 0 offset:404
	buffer_load_dword v198, off, s[0:3], 0 offset:412
	;; [unrolled: 1-line block ×3, first 2 shown]
	s_waitcnt vmcnt(31) lgkmcnt(0)
	v_mul_f32_e32 v139, v1, v165
	v_add_f32_e32 v6, v6, v136
	v_add_f32_e32 v5, v5, v196
	s_clause 0x2
	buffer_load_dword v196, off, s[0:3], 0 offset:428
	buffer_load_dword v200, off, s[0:3], 0 offset:436
	buffer_load_dword v201, off, s[0:3], 0 offset:444
	v_mul_f32_e32 v7, v2, v165
	v_add_f32_e32 v6, v6, v182
	v_add_f32_e32 v5, v5, v181
	s_clause 0x1
	buffer_load_dword v181, off, s[0:3], 0 offset:452
	buffer_load_dword v182, off, s[0:3], 0 offset:460
	v_fmac_f32_e32 v139, v2, v154
	v_add_f32_e32 v6, v6, v147
	s_clause 0x3
	buffer_load_dword v147, off, s[0:3], 0 offset:400
	buffer_load_dword v202, off, s[0:3], 0 offset:392
	;; [unrolled: 1-line block ×4, first 2 shown]
	v_add_f32_e32 v5, v5, v137
	v_add_f32_e32 v6, v6, v140
	v_fma_f32 v140, v1, v154, -v7
	v_add_f32_e32 v5, v5, v135
	v_add_f32_e32 v6, v6, v141
	;; [unrolled: 1-line block ×3, first 2 shown]
	s_clause 0x3
	buffer_load_dword v183, off, s[0:3], 0 offset:432
	buffer_load_dword v205, off, s[0:3], 0 offset:424
	;; [unrolled: 1-line block ×4, first 2 shown]
	v_add_f32_e32 v6, v6, v142
	v_add_f32_e32 v5, v5, v144
	;; [unrolled: 1-line block ×3, first 2 shown]
	s_waitcnt vmcnt(43)
	v_mul_f32_e32 v143, v3, v179
	v_add_f32_e32 v5, v5, v146
	v_add_f32_e32 v6, v6, v148
	s_waitcnt vmcnt(36)
	v_fmac_f32_e32 v143, v4, v180
	v_add_f32_e32 v5, v5, v184
	s_clause 0x3
	buffer_load_dword v184, off, s[0:3], 0 offset:456
	buffer_load_dword v208, off, s[0:3], 0 offset:448
	;; [unrolled: 1-line block ×4, first 2 shown]
	v_add_f32_e32 v6, v6, v149
	v_add_f32_e32 v5, v5, v145
	;; [unrolled: 1-line block ×4, first 2 shown]
	ds_read_b128 v[5:8], v130 offset:752
	v_add_f32_e32 v9, v1, v132
	v_mul_f32_e32 v1, v4, v179
	v_add_f32_e32 v10, v2, v155
	v_add_f32_e32 v131, v9, v152
	v_fma_f32 v144, v3, v180, -v1
	ds_read_b128 v[1:4], v130 offset:768
	v_add_f32_e32 v132, v10, v156
	ds_read_b128 v[9:12], v130 offset:784
	v_add_f32_e32 v131, v131, v134
	v_add_f32_e32 v132, v132, v133
	;; [unrolled: 1-line block ×3, first 2 shown]
	s_waitcnt lgkmcnt(2)
	v_mul_f32_e32 v134, v6, v177
	v_mul_f32_e32 v145, v5, v177
	;; [unrolled: 1-line block ×3, first 2 shown]
	v_fma_f32 v146, v5, v178, -v134
	v_add_f32_e32 v5, v132, v159
	v_fmac_f32_e32 v145, v6, v178
	v_add_f32_e32 v6, v135, v170
	ds_read_b128 v[131:134], v130 offset:800
	s_waitcnt lgkmcnt(2)
	v_mul_f32_e32 v136, v2, v175
	v_add_f32_e32 v5, v5, v185
	v_mul_f32_e32 v152, v1, v175
	v_add_f32_e32 v6, v6, v167
	v_mul_f32_e32 v135, v8, v176
	v_fma_f32 v155, v1, v173, -v136
	v_add_f32_e32 v5, v5, v187
	v_fmac_f32_e32 v152, v2, v173
	v_add_f32_e32 v1, v6, v166
	v_fma_f32 v154, v7, v174, -v135
	v_fmac_f32_e32 v149, v8, v174
	v_add_f32_e32 v2, v5, v188
	ds_read_b128 v[5:8], v130 offset:816
	ds_read_b128 v[135:138], v130 offset:832
	s_waitcnt vmcnt(38)
	v_mul_f32_e32 v153, v3, v150
	v_mul_f32_e32 v141, v4, v150
	s_waitcnt vmcnt(37) lgkmcnt(3)
	v_mul_f32_e32 v150, v9, v151
	v_mul_f32_e32 v142, v10, v151
	s_waitcnt vmcnt(34)
	v_fmac_f32_e32 v150, v10, v163
	v_add_f32_e32 v10, v1, v140
	v_fma_f32 v156, v9, v163, -v142
	v_add_f32_e32 v9, v2, v139
	s_waitcnt vmcnt(33)
	v_fma_f32 v151, v3, v164, -v141
	v_fmac_f32_e32 v153, v4, v164
	v_add_f32_e32 v10, v10, v144
	s_waitcnt vmcnt(32)
	v_mul_f32_e32 v158, v11, v160
	v_add_f32_e32 v9, v9, v143
	s_waitcnt vmcnt(31) lgkmcnt(2)
	v_mul_f32_e32 v159, v131, v161
	v_mul_f32_e32 v143, v132, v161
	v_add_f32_e32 v10, v10, v146
	v_mul_f32_e32 v144, v12, v160
	v_fmac_f32_e32 v158, v12, v162
	v_fmac_f32_e32 v159, v132, v157
	v_fma_f32 v157, v131, v157, -v143
	v_add_f32_e32 v131, v9, v145
	v_add_f32_e32 v154, v10, v154
	v_fma_f32 v162, v11, v162, -v144
	ds_read_b128 v[1:4], v130 offset:848
	ds_read_b128 v[139:142], v130 offset:864
	;; [unrolled: 1-line block ×4, first 2 shown]
	v_add_f32_e32 v149, v131, v149
	v_add_f32_e32 v154, v154, v155
	s_waitcnt vmcnt(30)
	v_mul_f32_e32 v160, v133, v186
	v_mul_f32_e32 v161, v134, v186
	v_add_f32_e32 v149, v149, v152
	v_add_f32_e32 v151, v154, v151
	s_waitcnt vmcnt(26)
	v_fmac_f32_e32 v160, v134, v197
	v_fma_f32 v134, v133, v197, -v161
	s_waitcnt vmcnt(25) lgkmcnt(5)
	v_mul_f32_e32 v155, v6, v190
	v_add_f32_e32 v149, v149, v153
	v_add_f32_e32 v151, v151, v156
	v_mul_f32_e32 v161, v5, v190
	s_waitcnt vmcnt(24)
	v_mul_f32_e32 v163, v8, v172
	v_fma_f32 v5, v5, v189, -v155
	v_add_f32_e32 v149, v149, v150
	v_add_f32_e32 v151, v151, v162
	v_mul_f32_e32 v152, v7, v172
	v_fmac_f32_e32 v161, v6, v189
	v_fma_f32 v7, v7, v169, -v163
	v_add_f32_e32 v149, v149, v158
	v_add_f32_e32 v151, v151, v157
	s_waitcnt vmcnt(23) lgkmcnt(4)
	v_mul_f32_e32 v154, v135, v191
	v_fmac_f32_e32 v152, v8, v169
	s_waitcnt vmcnt(22)
	v_mul_f32_e32 v153, v137, v192
	v_add_f32_e32 v149, v149, v159
	v_add_f32_e32 v134, v151, v134
	v_mul_f32_e32 v151, v136, v191
	v_fmac_f32_e32 v154, v136, v168
	s_waitcnt vmcnt(21) lgkmcnt(3)
	v_mul_f32_e32 v164, v1, v193
	v_add_f32_e32 v149, v149, v160
	v_add_f32_e32 v5, v134, v5
	v_mul_f32_e32 v134, v138, v192
	v_fma_f32 v135, v135, v168, -v151
	s_waitcnt vmcnt(20)
	v_mul_f32_e32 v156, v3, v195
	v_add_f32_e32 v8, v149, v161
	v_add_f32_e32 v5, v5, v7
	s_waitcnt vmcnt(8)
	v_fma_f32 v134, v137, v204, -v134
	v_fmac_f32_e32 v153, v138, v204
	v_fmac_f32_e32 v164, v2, v203
	v_add_f32_e32 v7, v8, v152
	v_mul_f32_e32 v8, v2, v193
	v_add_f32_e32 v5, v5, v135
	v_mul_f32_e32 v135, v4, v195
	s_waitcnt lgkmcnt(2)
	v_mul_f32_e32 v150, v139, v194
	v_add_f32_e32 v7, v7, v154
	v_fma_f32 v1, v1, v203, -v8
	v_add_f32_e32 v2, v5, v134
	v_fma_f32 v3, v3, v202, -v135
	v_fmac_f32_e32 v156, v4, v202
	v_add_f32_e32 v5, v7, v153
	v_mul_f32_e32 v7, v140, v194
	v_add_f32_e32 v1, v2, v1
	v_mul_f32_e32 v4, v142, v198
	v_mul_f32_e32 v165, v141, v198
	v_add_f32_e32 v2, v5, v164
	v_fma_f32 v5, v139, v147, -v7
	v_add_f32_e32 v1, v1, v3
	v_fmac_f32_e32 v150, v140, v147
	ds_read_b128 v[130:133], v130 offset:912
	v_add_f32_e32 v2, v2, v156
	s_waitcnt lgkmcnt(2)
	v_mul_f32_e32 v3, v10, v199
	s_waitcnt vmcnt(4)
	v_fma_f32 v4, v141, v207, -v4
	v_add_f32_e32 v1, v1, v5
	v_mul_f32_e32 v162, v9, v199
	v_fmac_f32_e32 v165, v142, v207
	v_add_f32_e32 v2, v2, v150
	v_mul_f32_e32 v5, v12, v196
	v_fma_f32 v3, v9, v206, -v3
	v_add_f32_e32 v1, v1, v4
	v_mul_f32_e32 v158, v11, v196
	v_fmac_f32_e32 v162, v10, v206
	v_add_f32_e32 v2, v2, v165
	s_waitcnt lgkmcnt(1)
	v_mul_f32_e32 v4, v144, v200
	v_fma_f32 v5, v11, v205, -v5
	v_add_f32_e32 v1, v1, v3
	v_mul_f32_e32 v166, v143, v200
	v_fmac_f32_e32 v158, v12, v205
	v_add_f32_e32 v2, v2, v162
	v_mul_f32_e32 v3, v146, v201
	v_fma_f32 v4, v143, v183, -v4
	v_add_f32_e32 v1, v1, v5
	v_mul_f32_e32 v157, v145, v201
	v_fmac_f32_e32 v166, v144, v183
	v_add_f32_e32 v2, v2, v158
	s_waitcnt lgkmcnt(0)
	v_mul_f32_e32 v5, v131, v181
	s_waitcnt vmcnt(1)
	v_fma_f32 v3, v145, v209, -v3
	v_add_f32_e32 v1, v1, v4
	v_mul_f32_e32 v159, v130, v181
	v_fmac_f32_e32 v157, v146, v209
	v_add_f32_e32 v2, v2, v166
	v_mul_f32_e32 v4, v133, v182
	v_fma_f32 v5, v130, v208, -v5
	v_add_f32_e32 v1, v1, v3
	v_mul_f32_e32 v6, v132, v182
	v_fmac_f32_e32 v159, v131, v208
	v_add_f32_e32 v2, v2, v157
	v_fma_f32 v3, v132, v184, -v4
	v_add_f32_e32 v1, v1, v5
	v_fmac_f32_e32 v6, v133, v184
	v_add_f32_e32 v2, v2, v159
	v_add_f32_e32 v1, v1, v3
	;; [unrolled: 1-line block ×3, first 2 shown]
	s_waitcnt vmcnt(0)
	v_sub_f32_e32 v1, v148, v1
	v_sub_f32_e32 v2, v171, v2
	buffer_store_dword v1, off, s[0:3], 0 offset:88
	buffer_store_dword v2, off, s[0:3], 0 offset:92
	v_cmpx_lt_u32_e32 10, v0
	s_cbranch_execz .LBB121_341
; %bb.340:
	s_clause 0x1
	buffer_load_dword v1, off, s[0:3], 0 offset:80
	buffer_load_dword v2, off, s[0:3], 0 offset:84
	v_mov_b32_e32 v3, 0
	buffer_store_dword v3, off, s[0:3], 0 offset:80
	buffer_store_dword v3, off, s[0:3], 0 offset:84
	s_waitcnt vmcnt(0)
	ds_write_b64 v129, v[1:2]
.LBB121_341:
	s_or_b32 exec_lo, exec_lo, s4
	s_waitcnt lgkmcnt(0)
	s_waitcnt_vscnt null, 0x0
	s_barrier
	buffer_gl0_inv
	s_clause 0x2c
	buffer_load_dword v11, off, s[0:3], 0 offset:92
	buffer_load_dword v12, off, s[0:3], 0 offset:100
	;; [unrolled: 1-line block ×45, first 2 shown]
	v_mov_b32_e32 v9, 0
	ds_read2_b64 v[5:8], v9 offset0:69 offset1:70
	ds_read2_b64 v[1:4], v9 offset0:71 offset1:72
	s_clause 0x9
	buffer_load_dword v178, off, s[0:3], 0 offset:268
	buffer_load_dword v175, off, s[0:3], 0 offset:276
	;; [unrolled: 1-line block ×10, first 2 shown]
	ds_read2_b64 v[182:185], v9 offset0:73 offset1:74
	ds_read2_b64 v[186:189], v9 offset0:75 offset1:76
	s_mov_b32 s4, exec_lo
	s_waitcnt vmcnt(54) lgkmcnt(3)
	v_mul_f32_e32 v190, v5, v11
	v_mul_f32_e32 v11, v6, v11
	s_waitcnt vmcnt(53)
	v_mul_f32_e32 v191, v7, v12
	v_mul_f32_e32 v12, v8, v12
	s_waitcnt vmcnt(52) lgkmcnt(2)
	v_mul_f32_e32 v192, v1, v130
	s_waitcnt vmcnt(49)
	v_fmac_f32_e32 v190, v6, v133
	v_fma_f32 v11, v5, v133, -v11
	s_waitcnt vmcnt(48)
	v_mul_f32_e32 v193, v3, v132
	v_mul_f32_e32 v5, v2, v130
	;; [unrolled: 1-line block ×3, first 2 shown]
	v_fmac_f32_e32 v191, v8, v131
	s_waitcnt vmcnt(43) lgkmcnt(1)
	v_mul_f32_e32 v194, v182, v140
	v_mul_f32_e32 v130, v183, v140
	v_fma_f32 v12, v7, v131, -v12
	v_fmac_f32_e32 v192, v2, v10
	v_fmac_f32_e32 v193, v4, v141
	v_fma_f32 v10, v1, v10, -v5
	v_fma_f32 v141, v3, v141, -v6
	ds_read2_b64 v[1:4], v9 offset0:77 offset1:78
	ds_read2_b64 v[5:8], v9 offset0:79 offset1:80
	s_waitcnt vmcnt(42)
	v_mul_f32_e32 v140, v184, v139
	v_mul_f32_e32 v131, v185, v139
	s_waitcnt vmcnt(41) lgkmcnt(2)
	v_mul_f32_e32 v139, v186, v137
	v_fmac_f32_e32 v194, v183, v136
	v_fma_f32 v182, v182, v136, -v130
	s_waitcnt vmcnt(40)
	v_mul_f32_e32 v183, v188, v138
	v_mul_f32_e32 v130, v187, v137
	;; [unrolled: 1-line block ×3, first 2 shown]
	v_fmac_f32_e32 v140, v185, v135
	v_fma_f32 v138, v184, v135, -v131
	v_fmac_f32_e32 v139, v187, v134
	s_waitcnt vmcnt(36)
	v_fmac_f32_e32 v183, v189, v149
	v_fma_f32 v184, v186, v134, -v130
	v_fma_f32 v149, v188, v149, -v132
	ds_read2_b64 v[130:133], v9 offset0:81 offset1:82
	ds_read2_b64 v[134:137], v9 offset0:83 offset1:84
	s_waitcnt vmcnt(35) lgkmcnt(3)
	v_mul_f32_e32 v185, v1, v147
	s_waitcnt vmcnt(34)
	v_mul_f32_e32 v186, v3, v148
	v_mul_f32_e32 v147, v2, v147
	;; [unrolled: 1-line block ×3, first 2 shown]
	s_waitcnt vmcnt(33) lgkmcnt(2)
	v_mul_f32_e32 v187, v5, v146
	v_mul_f32_e32 v146, v6, v146
	v_fmac_f32_e32 v185, v2, v144
	v_fmac_f32_e32 v186, v4, v143
	v_fma_f32 v144, v1, v144, -v147
	v_fma_f32 v143, v3, v143, -v148
	s_clause 0x1
	buffer_load_dword v147, off, s[0:3], 0 offset:308
	buffer_load_dword v148, off, s[0:3], 0 offset:316
	s_waitcnt vmcnt(34)
	v_mul_f32_e32 v188, v7, v145
	v_mul_f32_e32 v145, v8, v145
	v_fmac_f32_e32 v187, v6, v142
	v_fma_f32 v142, v5, v142, -v146
	ds_read2_b64 v[1:4], v9 offset0:85 offset1:86
	s_waitcnt vmcnt(29) lgkmcnt(2)
	v_mul_f32_e32 v146, v130, v157
	v_mul_f32_e32 v5, v131, v157
	s_waitcnt vmcnt(28)
	v_mul_f32_e32 v6, v133, v158
	v_fmac_f32_e32 v188, v8, v160
	v_fma_f32 v145, v7, v160, -v145
	v_fmac_f32_e32 v146, v131, v152
	v_fma_f32 v130, v130, v152, -v5
	v_fma_f32 v131, v132, v151, -v6
	ds_read2_b64 v[5:8], v9 offset0:87 offset1:88
	v_mul_f32_e32 v160, v132, v158
	s_waitcnt vmcnt(27) lgkmcnt(2)
	v_mul_f32_e32 v157, v134, v154
	s_waitcnt vmcnt(26)
	v_mul_f32_e32 v158, v136, v155
	v_mul_f32_e32 v154, v135, v154
	;; [unrolled: 1-line block ×3, first 2 shown]
	v_fmac_f32_e32 v160, v133, v151
	v_fmac_f32_e32 v157, v135, v150
	s_waitcnt vmcnt(22)
	v_fmac_f32_e32 v158, v137, v173
	v_fma_f32 v132, v134, v150, -v154
	v_fma_f32 v133, v136, v173, -v155
	s_clause 0x5
	buffer_load_dword v150, off, s[0:3], 0 offset:324
	buffer_load_dword v151, off, s[0:3], 0 offset:332
	;; [unrolled: 1-line block ×6, first 2 shown]
	s_waitcnt vmcnt(27) lgkmcnt(1)
	v_mul_f32_e32 v134, v1, v168
	s_waitcnt vmcnt(26)
	v_mul_f32_e32 v135, v3, v169
	v_mul_f32_e32 v136, v2, v168
	v_mul_f32_e32 v137, v4, v169
	v_add_f32_e32 v169, 0, v190
	v_fmac_f32_e32 v134, v2, v166
	v_fmac_f32_e32 v135, v4, v162
	v_fma_f32 v136, v1, v166, -v136
	v_fma_f32 v137, v3, v162, -v137
	ds_read2_b64 v[1:4], v9 offset0:89 offset1:90
	s_waitcnt vmcnt(25) lgkmcnt(1)
	v_mul_f32_e32 v162, v5, v163
	v_mul_f32_e32 v163, v6, v163
	buffer_load_dword v168, off, s[0:3], 0 offset:340
	s_waitcnt vmcnt(25)
	v_mul_f32_e32 v166, v7, v164
	v_mul_f32_e32 v164, v8, v164
	v_fmac_f32_e32 v162, v6, v161
	v_add_f32_e32 v6, 0, v11
	v_add_f32_e32 v11, v169, v191
	v_fma_f32 v161, v5, v161, -v163
	s_waitcnt vmcnt(21)
	v_fmac_f32_e32 v166, v8, v180
	v_fma_f32 v163, v7, v180, -v164
	v_add_f32_e32 v5, v6, v12
	v_add_f32_e32 v11, v11, v192
	s_clause 0x4
	buffer_load_dword v12, off, s[0:3], 0 offset:360
	buffer_load_dword v164, off, s[0:3], 0 offset:352
	;; [unrolled: 1-line block ×5, first 2 shown]
	v_add_f32_e32 v10, v5, v10
	v_add_f32_e32 v11, v11, v193
	ds_read2_b64 v[5:8], v9 offset0:91 offset1:92
	s_waitcnt vmcnt(25) lgkmcnt(1)
	v_mul_f32_e32 v190, v1, v179
	v_mul_f32_e32 v179, v2, v179
	v_add_f32_e32 v10, v10, v141
	v_add_f32_e32 v11, v11, v194
	s_clause 0x1
	buffer_load_dword v191, off, s[0:3], 0 offset:356
	buffer_load_dword v192, off, s[0:3], 0 offset:364
	v_fmac_f32_e32 v190, v2, v176
	v_fma_f32 v141, v1, v176, -v179
	v_add_f32_e32 v1, v10, v182
	v_add_f32_e32 v2, v11, v140
	buffer_load_dword v193, off, s[0:3], 0 offset:372
	s_waitcnt vmcnt(27)
	v_mul_f32_e32 v176, v3, v174
	v_mul_f32_e32 v10, v4, v174
	v_add_f32_e32 v1, v1, v138
	v_add_f32_e32 v2, v2, v139
	s_clause 0x2
	buffer_load_dword v179, off, s[0:3], 0 offset:380
	buffer_load_dword v182, off, s[0:3], 0 offset:388
	;; [unrolled: 1-line block ×3, first 2 shown]
	v_fmac_f32_e32 v176, v4, v170
	v_fma_f32 v10, v3, v170, -v10
	v_add_f32_e32 v2, v2, v183
	s_clause 0x1
	buffer_load_dword v170, off, s[0:3], 0 offset:404
	buffer_load_dword v194, off, s[0:3], 0 offset:412
	v_add_f32_e32 v1, v1, v184
	s_clause 0x2
	buffer_load_dword v183, off, s[0:3], 0 offset:420
	buffer_load_dword v184, off, s[0:3], 0 offset:428
	;; [unrolled: 1-line block ×3, first 2 shown]
	s_waitcnt vmcnt(34) lgkmcnt(0)
	v_mul_f32_e32 v11, v5, v178
	v_add_f32_e32 v2, v2, v185
	s_clause 0x2
	buffer_load_dword v185, off, s[0:3], 0 offset:444
	buffer_load_dword v196, off, s[0:3], 0 offset:452
	;; [unrolled: 1-line block ×3, first 2 shown]
	v_add_f32_e32 v1, v1, v149
	v_mul_f32_e32 v3, v6, v178
	v_fmac_f32_e32 v11, v6, v153
	v_add_f32_e32 v2, v2, v186
	s_clause 0x3
	buffer_load_dword v186, off, s[0:3], 0 offset:392
	buffer_load_dword v198, off, s[0:3], 0 offset:384
	;; [unrolled: 1-line block ×4, first 2 shown]
	v_add_f32_e32 v1, v1, v144
	v_fma_f32 v138, v5, v153, -v3
	v_add_f32_e32 v2, v2, v187
	v_add_f32_e32 v1, v1, v143
	;; [unrolled: 1-line block ×3, first 2 shown]
	s_clause 0x3
	buffer_load_dword v187, off, s[0:3], 0 offset:424
	buffer_load_dword v188, off, s[0:3], 0 offset:416
	;; [unrolled: 1-line block ×4, first 2 shown]
	v_add_f32_e32 v1, v1, v142
	s_waitcnt vmcnt(44)
	v_mul_f32_e32 v142, v7, v175
	v_add_f32_e32 v2, v2, v146
	v_add_f32_e32 v1, v1, v145
	s_waitcnt vmcnt(37)
	v_fmac_f32_e32 v142, v8, v177
	v_add_f32_e32 v2, v2, v160
	s_clause 0x4
	buffer_load_dword v160, off, s[0:3], 0 offset:456
	buffer_load_dword v203, off, s[0:3], 0 offset:448
	;; [unrolled: 1-line block ×5, first 2 shown]
	v_add_f32_e32 v1, v1, v130
	v_add_f32_e32 v2, v2, v157
	;; [unrolled: 1-line block ×6, first 2 shown]
	v_mul_f32_e32 v5, v8, v175
	v_add_f32_e32 v6, v1, v133
	ds_read2_b64 v[1:4], v9 offset0:93 offset1:94
	v_add_f32_e32 v134, v130, v135
	v_fma_f32 v143, v7, v177, -v5
	v_add_f32_e32 v131, v6, v136
	ds_read2_b64 v[5:8], v9 offset0:95 offset1:96
	v_add_f32_e32 v134, v134, v162
	v_add_f32_e32 v135, v131, v137
	ds_read2_b64 v[130:133], v9 offset0:97 offset1:98
	v_add_f32_e32 v139, v134, v166
	v_add_f32_e32 v135, v135, v161
	s_waitcnt lgkmcnt(2)
	v_mul_f32_e32 v136, v2, v171
	v_mul_f32_e32 v146, v1, v171
	;; [unrolled: 1-line block ×3, first 2 shown]
	v_fma_f32 v149, v1, v172, -v136
	v_add_f32_e32 v1, v135, v163
	v_fmac_f32_e32 v146, v2, v172
	v_add_f32_e32 v2, v139, v190
	s_waitcnt lgkmcnt(1)
	v_mul_f32_e32 v157, v5, v165
	v_mul_f32_e32 v140, v6, v165
	v_add_f32_e32 v1, v1, v141
	ds_read2_b64 v[134:137], v9 offset0:99 offset1:100
	v_add_f32_e32 v2, v2, v176
	v_fmac_f32_e32 v157, v6, v156
	v_fma_f32 v156, v5, v156, -v140
	v_add_f32_e32 v1, v1, v10
	v_mul_f32_e32 v139, v4, v167
	v_add_f32_e32 v5, v2, v11
	v_fmac_f32_e32 v153, v4, v159
	v_add_f32_e32 v6, v1, v138
	v_fma_f32 v10, v3, v159, -v139
	ds_read2_b64 v[1:4], v9 offset0:101 offset1:102
	ds_read2_b64 v[138:141], v9 offset0:103 offset1:104
	s_waitcnt vmcnt(40)
	v_mul_f32_e32 v144, v8, v147
	s_waitcnt vmcnt(39) lgkmcnt(3)
	v_mul_f32_e32 v161, v130, v148
	v_mul_f32_e32 v11, v131, v148
	;; [unrolled: 1-line block ×3, first 2 shown]
	s_waitcnt vmcnt(38)
	v_mul_f32_e32 v162, v132, v150
	s_waitcnt vmcnt(34)
	v_fmac_f32_e32 v161, v131, v155
	v_fma_f32 v155, v130, v155, -v11
	v_add_f32_e32 v11, v6, v143
	v_add_f32_e32 v131, v5, v142
	s_waitcnt vmcnt(33)
	v_fma_f32 v159, v7, v173, -v144
	v_fmac_f32_e32 v158, v8, v173
	v_fmac_f32_e32 v162, v133, v154
	v_add_f32_e32 v11, v11, v149
	v_add_f32_e32 v130, v131, v146
	v_mul_f32_e32 v131, v133, v150
	s_waitcnt lgkmcnt(2)
	v_mul_f32_e32 v150, v134, v151
	v_mul_f32_e32 v146, v135, v151
	v_add_f32_e32 v10, v11, v10
	v_add_f32_e32 v130, v130, v153
	v_fma_f32 v154, v132, v154, -v131
	s_waitcnt vmcnt(32)
	v_mul_f32_e32 v151, v137, v168
	v_fmac_f32_e32 v150, v135, v152
	v_add_f32_e32 v156, v10, v156
	v_add_f32_e32 v157, v130, v157
	v_fma_f32 v152, v134, v152, -v146
	v_mul_f32_e32 v153, v136, v168
	ds_read2_b64 v[5:8], v9 offset0:105 offset1:106
	ds_read2_b64 v[142:145], v9 offset0:107 offset1:108
	v_add_f32_e32 v156, v156, v159
	v_add_f32_e32 v157, v157, v158
	s_waitcnt vmcnt(28)
	v_fma_f32 v151, v136, v180, -v151
	s_waitcnt vmcnt(27) lgkmcnt(3)
	v_mul_f32_e32 v163, v2, v189
	v_fmac_f32_e32 v153, v137, v180
	v_add_f32_e32 v155, v156, v155
	v_add_f32_e32 v157, v157, v161
	v_mul_f32_e32 v158, v1, v189
	v_fma_f32 v1, v1, v169, -v163
	ds_read2_b64 v[130:133], v9 offset0:109 offset1:110
	ds_read2_b64 v[146:149], v9 offset0:111 offset1:112
	v_add_f32_e32 v154, v155, v154
	v_add_f32_e32 v157, v157, v162
	s_waitcnt vmcnt(26)
	v_mul_f32_e32 v165, v4, v191
	v_mul_f32_e32 v159, v3, v191
	v_fmac_f32_e32 v158, v2, v169
	v_add_f32_e32 v152, v154, v152
	v_add_f32_e32 v150, v157, v150
	s_waitcnt vmcnt(25) lgkmcnt(4)
	v_mul_f32_e32 v161, v138, v192
	v_mul_f32_e32 v163, v139, v192
	v_fma_f32 v3, v3, v164, -v165
	v_add_f32_e32 v151, v152, v151
	v_add_f32_e32 v150, v150, v153
	v_fmac_f32_e32 v159, v4, v164
	s_waitcnt vmcnt(24)
	v_mul_f32_e32 v152, v141, v193
	v_fmac_f32_e32 v161, v139, v12
	v_add_f32_e32 v1, v151, v1
	v_add_f32_e32 v150, v150, v158
	v_fma_f32 v12, v138, v12, -v163
	v_mul_f32_e32 v156, v140, v193
	s_waitcnt vmcnt(23) lgkmcnt(3)
	v_mul_f32_e32 v138, v6, v179
	v_add_f32_e32 v1, v1, v3
	v_add_f32_e32 v3, v150, v159
	v_mul_f32_e32 v2, v5, v179
	s_waitcnt vmcnt(22)
	v_mul_f32_e32 v162, v7, v182
	s_waitcnt vmcnt(21) lgkmcnt(2)
	v_mul_f32_e32 v155, v142, v174
	v_add_f32_e32 v1, v1, v12
	v_add_f32_e32 v3, v3, v161
	v_mul_f32_e32 v12, v8, v182
	s_waitcnt vmcnt(9)
	v_fma_f32 v139, v140, v200, -v152
	v_fmac_f32_e32 v156, v141, v200
	v_fma_f32 v5, v5, v199, -v138
	v_fmac_f32_e32 v2, v6, v199
	v_mul_f32_e32 v6, v143, v174
	v_add_f32_e32 v1, v1, v139
	v_add_f32_e32 v3, v3, v156
	v_fma_f32 v7, v7, v198, -v12
	v_fmac_f32_e32 v162, v8, v198
	v_mul_f32_e32 v4, v144, v170
	v_add_f32_e32 v1, v1, v5
	v_add_f32_e32 v2, v3, v2
	v_mul_f32_e32 v3, v145, v170
	v_fma_f32 v5, v142, v186, -v6
	v_fmac_f32_e32 v155, v143, v186
	v_add_f32_e32 v1, v1, v7
	v_add_f32_e32 v2, v2, v162
	s_waitcnt lgkmcnt(1)
	v_mul_f32_e32 v6, v131, v194
	s_waitcnt vmcnt(5)
	v_fma_f32 v3, v144, v202, -v3
	ds_read2_b64 v[134:137], v9 offset0:113 offset1:114
	ds_read_b64 v[10:11], v9 offset:920
	v_add_f32_e32 v1, v1, v5
	v_mul_f32_e32 v164, v130, v194
	v_fmac_f32_e32 v4, v145, v202
	v_add_f32_e32 v2, v2, v155
	v_mul_f32_e32 v5, v133, v183
	v_fma_f32 v6, v130, v201, -v6
	v_add_f32_e32 v1, v1, v3
	v_mul_f32_e32 v154, v132, v183
	v_fmac_f32_e32 v164, v131, v201
	v_add_f32_e32 v2, v2, v4
	s_waitcnt lgkmcnt(2)
	v_mul_f32_e32 v3, v147, v184
	v_fma_f32 v4, v132, v188, -v5
	v_add_f32_e32 v1, v1, v6
	v_mul_f32_e32 v157, v146, v184
	v_fmac_f32_e32 v154, v133, v188
	v_add_f32_e32 v2, v2, v164
	v_mul_f32_e32 v5, v149, v195
	v_fma_f32 v3, v146, v187, -v3
	v_add_f32_e32 v1, v1, v4
	v_mul_f32_e32 v165, v148, v195
	v_fmac_f32_e32 v157, v147, v187
	v_add_f32_e32 v2, v2, v154
	s_waitcnt lgkmcnt(1)
	v_mul_f32_e32 v4, v135, v185
	s_waitcnt vmcnt(1)
	v_fma_f32 v5, v148, v205, -v5
	v_add_f32_e32 v1, v1, v3
	v_mul_f32_e32 v153, v134, v185
	v_fmac_f32_e32 v165, v149, v205
	v_add_f32_e32 v2, v2, v157
	v_mul_f32_e32 v3, v137, v196
	v_fma_f32 v4, v134, v204, -v4
	v_add_f32_e32 v1, v1, v5
	v_mul_f32_e32 v166, v136, v196
	v_fmac_f32_e32 v153, v135, v204
	v_add_f32_e32 v2, v2, v165
	s_waitcnt lgkmcnt(0)
	v_mul_f32_e32 v5, v11, v197
	v_fma_f32 v3, v136, v203, -v3
	v_add_f32_e32 v1, v1, v4
	v_mul_f32_e32 v151, v10, v197
	v_fmac_f32_e32 v166, v137, v203
	v_add_f32_e32 v2, v2, v153
	v_fma_f32 v4, v10, v160, -v5
	v_add_f32_e32 v1, v1, v3
	v_fmac_f32_e32 v151, v11, v160
	v_add_f32_e32 v2, v2, v166
	v_add_f32_e32 v1, v1, v4
	v_add_f32_e32 v2, v2, v151
	s_waitcnt vmcnt(0)
	v_sub_f32_e32 v1, v206, v1
	v_sub_f32_e32 v2, v181, v2
	buffer_store_dword v1, off, s[0:3], 0 offset:80
	buffer_store_dword v2, off, s[0:3], 0 offset:84
	v_cmpx_lt_u32_e32 9, v0
	s_cbranch_execz .LBB121_343
; %bb.342:
	s_clause 0x1
	buffer_load_dword v1, off, s[0:3], 0 offset:72
	buffer_load_dword v2, off, s[0:3], 0 offset:76
	buffer_store_dword v9, off, s[0:3], 0 offset:72
	buffer_store_dword v9, off, s[0:3], 0 offset:76
	s_waitcnt vmcnt(0)
	ds_write_b64 v129, v[1:2]
.LBB121_343:
	s_or_b32 exec_lo, exec_lo, s4
	s_waitcnt lgkmcnt(0)
	s_waitcnt_vscnt null, 0x0
	s_barrier
	buffer_gl0_inv
	s_clause 0x33
	buffer_load_dword v164, off, s[0:3], 0 offset:84
	buffer_load_dword v165, off, s[0:3], 0 offset:92
	;; [unrolled: 1-line block ×52, first 2 shown]
	ds_read_b128 v[173:176], v9 offset:544
	ds_read_b128 v[177:180], v9 offset:560
	;; [unrolled: 1-line block ×3, first 2 shown]
	s_clause 0x1
	buffer_load_dword v170, off, s[0:3], 0 offset:276
	buffer_load_dword v171, off, s[0:3], 0 offset:284
	ds_read_b128 v[185:188], v9 offset:592
	s_mov_b32 s4, exec_lo
	s_waitcnt vmcnt(53) lgkmcnt(3)
	v_mul_f32_e32 v189, v173, v164
	v_mul_f32_e32 v190, v174, v164
	s_waitcnt vmcnt(52)
	v_mul_f32_e32 v191, v175, v165
	v_mul_f32_e32 v165, v176, v165
	buffer_load_dword v164, off, s[0:3], 0 offset:76
	s_waitcnt vmcnt(50)
	v_fmac_f32_e32 v189, v174, v7
	v_fma_f32 v190, v173, v7, -v190
	v_fmac_f32_e32 v191, v176, v5
	v_fma_f32 v165, v175, v5, -v165
	ds_read_b128 v[173:176], v9 offset:608
	s_waitcnt vmcnt(49) lgkmcnt(3)
	v_mul_f32_e32 v192, v177, v2
	s_waitcnt vmcnt(48)
	v_mul_f32_e32 v193, v179, v3
	v_mul_f32_e32 v2, v178, v2
	;; [unrolled: 1-line block ×3, first 2 shown]
	s_waitcnt vmcnt(47) lgkmcnt(2)
	v_mul_f32_e32 v194, v181, v6
	v_mul_f32_e32 v5, v182, v6
	v_fmac_f32_e32 v192, v178, v1
	v_fma_f32 v195, v177, v1, -v2
	s_waitcnt vmcnt(46)
	v_mul_f32_e32 v196, v183, v4
	v_mul_f32_e32 v6, v184, v4
	s_waitcnt vmcnt(42)
	v_fma_f32 v197, v179, v131, -v3
	ds_read_b128 v[1:4], v9 offset:624
	v_fmac_f32_e32 v193, v180, v131
	v_fmac_f32_e32 v194, v182, v130
	v_fma_f32 v181, v181, v130, -v5
	v_fmac_f32_e32 v196, v184, v11
	v_fma_f32 v11, v183, v11, -v6
	ds_read_b128 v[177:180], v9 offset:640
	s_waitcnt vmcnt(41) lgkmcnt(3)
	v_mul_f32_e32 v182, v185, v12
	v_mul_f32_e32 v5, v186, v12
	s_waitcnt vmcnt(40)
	v_mul_f32_e32 v12, v187, v10
	v_mul_f32_e32 v6, v188, v10
	s_waitcnt vmcnt(39) lgkmcnt(2)
	v_mul_f32_e32 v10, v173, v132
	v_fmac_f32_e32 v182, v186, v8
	v_fma_f32 v183, v185, v8, -v5
	v_mul_f32_e32 v130, v174, v132
	s_waitcnt vmcnt(38)
	v_mul_f32_e32 v131, v176, v133
	s_waitcnt vmcnt(34)
	v_fmac_f32_e32 v12, v188, v139
	v_fma_f32 v139, v187, v139, -v6
	ds_read_b128 v[5:8], v9 offset:656
	v_mul_f32_e32 v184, v175, v133
	v_fmac_f32_e32 v10, v174, v138
	v_fma_f32 v138, v173, v138, -v130
	v_fma_f32 v173, v175, v136, -v131
	ds_read_b128 v[130:133], v9 offset:672
	v_fmac_f32_e32 v184, v176, v136
	s_waitcnt vmcnt(33) lgkmcnt(3)
	v_mul_f32_e32 v174, v1, v137
	v_mul_f32_e32 v136, v2, v137
	s_waitcnt vmcnt(32)
	v_mul_f32_e32 v175, v3, v135
	v_mul_f32_e32 v135, v4, v135
	s_waitcnt vmcnt(31) lgkmcnt(2)
	v_mul_f32_e32 v176, v177, v140
	v_fmac_f32_e32 v174, v2, v134
	v_fma_f32 v185, v1, v134, -v136
	v_mul_f32_e32 v134, v178, v140
	s_waitcnt vmcnt(30)
	v_mul_f32_e32 v186, v179, v141
	v_mul_f32_e32 v136, v180, v141
	s_waitcnt vmcnt(26)
	v_fmac_f32_e32 v175, v4, v147
	v_fma_f32 v140, v3, v147, -v135
	ds_read_b128 v[1:4], v9 offset:688
	v_fmac_f32_e32 v176, v178, v146
	v_fma_f32 v141, v177, v146, -v134
	s_waitcnt vmcnt(25) lgkmcnt(2)
	v_mul_f32_e32 v146, v5, v145
	v_fmac_f32_e32 v186, v180, v144
	v_fma_f32 v144, v179, v144, -v136
	ds_read_b128 v[134:137], v9 offset:704
	v_mul_f32_e32 v145, v6, v145
	s_waitcnt vmcnt(24)
	v_mul_f32_e32 v147, v7, v143
	v_mul_f32_e32 v143, v8, v143
	s_waitcnt vmcnt(23) lgkmcnt(2)
	v_mul_f32_e32 v177, v130, v148
	v_fmac_f32_e32 v146, v6, v142
	v_mul_f32_e32 v6, v131, v148
	v_fma_f32 v5, v5, v142, -v145
	s_waitcnt vmcnt(22)
	v_mul_f32_e32 v142, v132, v149
	v_mul_f32_e32 v145, v133, v149
	s_waitcnt vmcnt(18)
	v_fmac_f32_e32 v147, v8, v156
	v_fma_f32 v7, v7, v156, -v143
	v_fmac_f32_e32 v177, v131, v155
	v_fma_f32 v6, v130, v155, -v6
	s_clause 0x5
	buffer_load_dword v143, off, s[0:3], 0 offset:300
	buffer_load_dword v148, off, s[0:3], 0 offset:304
	;; [unrolled: 1-line block ×6, first 2 shown]
	v_fma_f32 v130, v132, v151, -v145
	s_waitcnt vmcnt(23) lgkmcnt(1)
	v_mul_f32_e32 v131, v1, v152
	s_waitcnt vmcnt(22)
	v_mul_f32_e32 v145, v3, v153
	v_mul_f32_e32 v8, v2, v152
	v_mul_f32_e32 v132, v4, v153
	v_fmac_f32_e32 v142, v133, v151
	v_fmac_f32_e32 v131, v2, v150
	s_waitcnt vmcnt(18)
	v_fmac_f32_e32 v145, v4, v163
	v_fma_f32 v133, v1, v150, -v8
	v_fma_f32 v150, v3, v163, -v132
	s_waitcnt vmcnt(17) lgkmcnt(0)
	v_mul_f32_e32 v163, v134, v161
	v_mul_f32_e32 v8, v135, v161
	s_clause 0x1
	buffer_load_dword v151, off, s[0:3], 0 offset:316
	buffer_load_dword v152, off, s[0:3], 0 offset:324
	ds_read_b128 v[1:4], v9 offset:720
	buffer_load_dword v153, off, s[0:3], 0 offset:332
	s_waitcnt vmcnt(19)
	v_mul_f32_e32 v179, v136, v162
	v_mul_f32_e32 v132, v137, v162
	v_fmac_f32_e32 v163, v135, v160
	v_fma_f32 v134, v134, v160, -v8
	s_clause 0x5
	buffer_load_dword v160, off, s[0:3], 0 offset:352
	buffer_load_dword v161, off, s[0:3], 0 offset:344
	;; [unrolled: 1-line block ×6, first 2 shown]
	v_fmac_f32_e32 v179, v137, v159
	v_fma_f32 v159, v136, v159, -v132
	v_add_f32_e32 v8, 0, v189
	v_add_f32_e32 v132, 0, v190
	;; [unrolled: 1-line block ×4, first 2 shown]
	buffer_load_dword v165, off, s[0:3], 0 offset:356
	s_waitcnt vmcnt(25) lgkmcnt(0)
	v_mul_f32_e32 v135, v2, v158
	v_add_f32_e32 v8, v8, v192
	v_add_f32_e32 v132, v132, v195
	s_waitcnt vmcnt(24)
	v_mul_f32_e32 v136, v4, v157
	s_clause 0x3
	buffer_load_dword v189, off, s[0:3], 0 offset:364
	buffer_load_dword v190, off, s[0:3], 0 offset:372
	;; [unrolled: 1-line block ×4, first 2 shown]
	v_add_f32_e32 v8, v8, v193
	v_add_f32_e32 v132, v132, v197
	v_mul_f32_e32 v193, v1, v158
	v_mul_f32_e32 v158, v3, v157
	v_add_f32_e32 v8, v8, v194
	v_add_f32_e32 v132, v132, v181
	v_fmac_f32_e32 v193, v2, v154
	v_fma_f32 v154, v1, v154, -v135
	s_clause 0x3
	buffer_load_dword v157, off, s[0:3], 0 offset:396
	buffer_load_dword v181, off, s[0:3], 0 offset:404
	;; [unrolled: 1-line block ×4, first 2 shown]
	v_add_f32_e32 v1, v8, v196
	v_add_f32_e32 v2, v132, v11
	s_waitcnt vmcnt(27)
	v_fmac_f32_e32 v158, v4, v172
	v_fma_f32 v11, v3, v172, -v136
	s_clause 0x1
	buffer_load_dword v172, off, s[0:3], 0 offset:428
	buffer_load_dword v196, off, s[0:3], 0 offset:436
	v_add_f32_e32 v1, v1, v182
	v_add_f32_e32 v2, v2, v183
	s_clause 0x6
	buffer_load_dword v182, off, s[0:3], 0 offset:444
	buffer_load_dword v183, off, s[0:3], 0 offset:452
	;; [unrolled: 1-line block ×7, first 2 shown]
	v_add_f32_e32 v1, v1, v12
	v_add_f32_e32 v2, v2, v139
	;; [unrolled: 1-line block ×6, first 2 shown]
	s_clause 0x3
	buffer_load_dword v173, off, s[0:3], 0 offset:416
	buffer_load_dword v184, off, s[0:3], 0 offset:408
	;; [unrolled: 1-line block ×4, first 2 shown]
	v_add_f32_e32 v1, v1, v174
	v_add_f32_e32 v2, v2, v185
	;; [unrolled: 1-line block ×3, first 2 shown]
	s_clause 0x4
	buffer_load_dword v174, off, s[0:3], 0 offset:448
	buffer_load_dword v175, off, s[0:3], 0 offset:440
	;; [unrolled: 1-line block ×5, first 2 shown]
	v_add_f32_e32 v2, v2, v140
	v_add_f32_e32 v1, v1, v176
	buffer_load_dword v176, off, s[0:3], 0 offset:456
	v_add_f32_e32 v2, v2, v141
	v_add_f32_e32 v1, v1, v186
	;; [unrolled: 1-line block ×5, first 2 shown]
	ds_read_b128 v[1:4], v9 offset:736
	v_add_f32_e32 v5, v5, v7
	v_add_f32_e32 v7, v8, v147
	;; [unrolled: 1-line block ×4, first 2 shown]
	ds_read_b128 v[5:8], v9 offset:752
	v_add_f32_e32 v10, v10, v130
	v_add_f32_e32 v12, v12, v142
	;; [unrolled: 1-line block ×4, first 2 shown]
	s_waitcnt vmcnt(44) lgkmcnt(1)
	v_mul_f32_e32 v146, v3, v171
	v_mul_f32_e32 v132, v4, v171
	;; [unrolled: 1-line block ×3, first 2 shown]
	v_add_f32_e32 v10, v10, v150
	v_add_f32_e32 v12, v12, v145
	v_mul_f32_e32 v130, v2, v170
	v_fmac_f32_e32 v146, v4, v168
	v_fma_f32 v147, v3, v168, -v132
	v_add_f32_e32 v10, v10, v134
	v_add_f32_e32 v12, v12, v163
	s_waitcnt lgkmcnt(0)
	v_mul_f32_e32 v150, v5, v167
	v_mul_f32_e32 v135, v6, v167
	v_fmac_f32_e32 v144, v2, v169
	v_fma_f32 v142, v1, v169, -v130
	ds_read_b128 v[1:4], v9 offset:768
	ds_read_b128 v[130:133], v9 offset:784
	v_add_f32_e32 v10, v10, v159
	v_fmac_f32_e32 v150, v6, v166
	v_fma_f32 v166, v5, v166, -v135
	v_add_f32_e32 v12, v12, v179
	v_add_f32_e32 v10, v10, v154
	v_add_f32_e32 v12, v12, v193
	v_add_f32_e32 v10, v10, v11
	v_add_f32_e32 v11, v12, v158
	v_add_f32_e32 v10, v10, v142
	v_add_f32_e32 v11, v11, v144
	v_add_f32_e32 v10, v10, v147
	v_add_f32_e32 v11, v11, v146
	s_waitcnt vmcnt(42)
	v_mul_f32_e32 v168, v7, v143
	v_mul_f32_e32 v136, v8, v143
	s_waitcnt vmcnt(40) lgkmcnt(1)
	v_mul_f32_e32 v159, v1, v149
	v_mul_f32_e32 v138, v2, v149
	s_waitcnt vmcnt(37)
	v_fmac_f32_e32 v168, v8, v178
	v_fma_f32 v167, v7, v178, -v136
	ds_read_b128 v[5:8], v9 offset:800
	ds_read_b128 v[134:137], v9 offset:816
	v_fmac_f32_e32 v159, v2, v148
	v_fma_f32 v148, v1, v148, -v138
	s_waitcnt vmcnt(36)
	v_mul_f32_e32 v149, v3, v151
	v_mul_f32_e32 v139, v4, v151
	s_waitcnt vmcnt(35) lgkmcnt(2)
	v_mul_f32_e32 v151, v130, v152
	v_mul_f32_e32 v143, v131, v152
	s_waitcnt vmcnt(34)
	v_mul_f32_e32 v12, v133, v153
	v_mul_f32_e32 v154, v132, v153
	v_fmac_f32_e32 v149, v4, v156
	v_fmac_f32_e32 v151, v131, v155
	v_fma_f32 v153, v130, v155, -v143
	s_waitcnt vmcnt(29) lgkmcnt(1)
	v_mul_f32_e32 v147, v5, v187
	v_fma_f32 v155, v132, v180, -v12
	v_mul_f32_e32 v12, v6, v187
	v_fma_f32 v152, v3, v156, -v139
	s_waitcnt vmcnt(28)
	v_mul_f32_e32 v146, v7, v188
	v_fmac_f32_e32 v147, v6, v162
	v_add_f32_e32 v6, v10, v166
	v_mul_f32_e32 v156, v8, v188
	v_add_f32_e32 v10, v11, v150
	v_fmac_f32_e32 v146, v8, v161
	ds_read_b128 v[1:4], v9 offset:832
	ds_read_b128 v[138:141], v9 offset:848
	v_add_f32_e32 v158, v6, v167
	v_fma_f32 v156, v7, v161, -v156
	v_add_f32_e32 v161, v10, v168
	v_fmac_f32_e32 v154, v133, v180
	v_fma_f32 v150, v5, v162, -v12
	v_add_f32_e32 v148, v158, v148
	s_waitcnt vmcnt(27) lgkmcnt(2)
	v_mul_f32_e32 v158, v135, v165
	v_add_f32_e32 v159, v161, v159
	v_mul_f32_e32 v162, v134, v165
	s_waitcnt vmcnt(26)
	v_mul_f32_e32 v163, v137, v189
	v_add_f32_e32 v148, v148, v152
	v_fma_f32 v134, v134, v160, -v158
	v_add_f32_e32 v149, v159, v149
	v_mul_f32_e32 v161, v136, v189
	v_fmac_f32_e32 v162, v135, v160
	v_add_f32_e32 v148, v148, v153
	ds_read_b128 v[130:133], v9 offset:864
	ds_read_b128 v[142:145], v9 offset:880
	v_add_f32_e32 v149, v149, v151
	s_waitcnt vmcnt(25) lgkmcnt(3)
	v_mul_f32_e32 v152, v1, v190
	s_waitcnt vmcnt(24)
	v_mul_f32_e32 v159, v3, v191
	v_add_f32_e32 v148, v148, v155
	s_waitcnt vmcnt(23) lgkmcnt(2)
	v_mul_f32_e32 v165, v138, v192
	v_add_f32_e32 v149, v149, v154
	s_waitcnt vmcnt(22)
	v_mul_f32_e32 v153, v140, v157
	s_waitcnt vmcnt(12)
	v_fmac_f32_e32 v159, v4, v199
	v_add_f32_e32 v148, v148, v150
	s_waitcnt vmcnt(10)
	v_fma_f32 v136, v136, v201, -v163
	v_add_f32_e32 v147, v149, v147
	v_fmac_f32_e32 v161, v137, v201
	v_fmac_f32_e32 v152, v2, v200
	v_add_f32_e32 v148, v148, v156
	v_fmac_f32_e32 v165, v139, v198
	v_add_f32_e32 v146, v147, v146
	v_mul_f32_e32 v147, v2, v190
	ds_read_b128 v[5:8], v9 offset:896
	ds_read_b128 v[9:12], v9 offset:912
	v_add_f32_e32 v134, v148, v134
	s_waitcnt lgkmcnt(3)
	v_mul_f32_e32 v151, v130, v181
	v_add_f32_e32 v137, v146, v162
	v_mul_f32_e32 v146, v4, v191
	v_fma_f32 v1, v1, v200, -v147
	v_add_f32_e32 v2, v134, v136
	v_mul_f32_e32 v136, v139, v192
	v_add_f32_e32 v134, v137, v161
	v_fma_f32 v3, v3, v199, -v146
	v_mul_f32_e32 v4, v141, v157
	v_add_f32_e32 v1, v2, v1
	s_waitcnt vmcnt(6)
	v_fmac_f32_e32 v153, v141, v203
	v_add_f32_e32 v2, v134, v152
	v_fma_f32 v134, v138, v198, -v136
	v_fma_f32 v4, v140, v203, -v4
	v_add_f32_e32 v1, v1, v3
	v_mul_f32_e32 v3, v131, v181
	v_add_f32_e32 v2, v2, v159
	v_mul_f32_e32 v166, v132, v194
	v_fmac_f32_e32 v151, v131, v202
	v_add_f32_e32 v1, v1, v134
	v_mul_f32_e32 v134, v133, v194
	v_add_f32_e32 v2, v2, v165
	v_fma_f32 v3, v130, v202, -v3
	s_waitcnt lgkmcnt(2)
	v_mul_f32_e32 v155, v142, v195
	v_add_f32_e32 v1, v1, v4
	v_mul_f32_e32 v4, v143, v195
	v_add_f32_e32 v2, v2, v153
	v_fma_f32 v130, v132, v184, -v134
	v_fmac_f32_e32 v166, v133, v184
	v_add_f32_e32 v1, v1, v3
	v_mul_f32_e32 v3, v145, v172
	v_add_f32_e32 v2, v2, v151
	v_fma_f32 v4, v142, v173, -v4
	v_mul_f32_e32 v154, v144, v172
	v_add_f32_e32 v1, v1, v130
	v_fmac_f32_e32 v155, v143, v173
	v_add_f32_e32 v2, v2, v166
	s_waitcnt lgkmcnt(1)
	v_mul_f32_e32 v130, v6, v196
	s_waitcnt vmcnt(2)
	v_fma_f32 v3, v144, v204, -v3
	v_add_f32_e32 v1, v1, v4
	v_mul_f32_e32 v167, v5, v196
	v_fmac_f32_e32 v154, v145, v204
	v_add_f32_e32 v2, v2, v155
	v_mul_f32_e32 v4, v8, v182
	v_fma_f32 v5, v5, v185, -v130
	v_add_f32_e32 v1, v1, v3
	v_mul_f32_e32 v150, v7, v182
	v_fmac_f32_e32 v167, v6, v185
	v_add_f32_e32 v2, v2, v154
	s_waitcnt lgkmcnt(0)
	v_mul_f32_e32 v3, v10, v183
	v_fma_f32 v4, v7, v175, -v4
	v_add_f32_e32 v1, v1, v5
	v_mul_f32_e32 v149, v9, v183
	v_fmac_f32_e32 v150, v8, v175
	v_add_f32_e32 v2, v2, v167
	v_mul_f32_e32 v5, v12, v197
	v_fma_f32 v3, v9, v174, -v3
	v_add_f32_e32 v1, v1, v4
	v_mul_f32_e32 v135, v11, v197
	v_fmac_f32_e32 v149, v10, v174
	v_add_f32_e32 v2, v2, v150
	s_waitcnt vmcnt(0)
	v_fma_f32 v4, v11, v176, -v5
	v_add_f32_e32 v1, v1, v3
	v_fmac_f32_e32 v135, v12, v176
	v_add_f32_e32 v2, v2, v149
	v_add_f32_e32 v1, v1, v4
	;; [unrolled: 1-line block ×3, first 2 shown]
	v_sub_f32_e32 v1, v205, v1
	v_sub_f32_e32 v2, v164, v2
	buffer_store_dword v1, off, s[0:3], 0 offset:72
	buffer_store_dword v2, off, s[0:3], 0 offset:76
	v_cmpx_lt_u32_e32 8, v0
	s_cbranch_execz .LBB121_345
; %bb.344:
	s_clause 0x1
	buffer_load_dword v1, off, s[0:3], 0 offset:64
	buffer_load_dword v2, off, s[0:3], 0 offset:68
	v_mov_b32_e32 v3, 0
	buffer_store_dword v3, off, s[0:3], 0 offset:64
	buffer_store_dword v3, off, s[0:3], 0 offset:68
	s_waitcnt vmcnt(0)
	ds_write_b64 v129, v[1:2]
.LBB121_345:
	s_or_b32 exec_lo, exec_lo, s4
	s_waitcnt lgkmcnt(0)
	s_waitcnt_vscnt null, 0x0
	s_barrier
	buffer_gl0_inv
	s_clause 0x33
	buffer_load_dword v11, off, s[0:3], 0 offset:76
	buffer_load_dword v12, off, s[0:3], 0 offset:84
	;; [unrolled: 1-line block ×52, first 2 shown]
	v_mov_b32_e32 v9, 0
	ds_read2_b64 v[5:8], v9 offset0:67 offset1:68
	ds_read2_b64 v[1:4], v9 offset0:69 offset1:70
	;; [unrolled: 1-line block ×3, first 2 shown]
	s_clause 0x2
	buffer_load_dword v179, off, s[0:3], 0 offset:268
	buffer_load_dword v180, off, s[0:3], 0 offset:276
	;; [unrolled: 1-line block ×3, first 2 shown]
	ds_read2_b64 v[186:189], v9 offset0:73 offset1:74
	s_mov_b32 s4, exec_lo
	s_waitcnt vmcnt(54) lgkmcnt(3)
	v_mul_f32_e32 v190, v5, v11
	s_waitcnt vmcnt(53)
	v_mul_f32_e32 v191, v7, v12
	v_mul_f32_e32 v11, v6, v11
	;; [unrolled: 1-line block ×3, first 2 shown]
	s_waitcnt vmcnt(50)
	v_fmac_f32_e32 v190, v6, v135
	v_fmac_f32_e32 v191, v8, v133
	v_fma_f32 v11, v5, v135, -v11
	v_fma_f32 v12, v7, v133, -v12
	ds_read2_b64 v[5:8], v9 offset0:75 offset1:76
	s_waitcnt vmcnt(49) lgkmcnt(3)
	v_mul_f32_e32 v192, v1, v130
	s_waitcnt vmcnt(48)
	v_mul_f32_e32 v193, v3, v131
	v_mul_f32_e32 v130, v2, v130
	;; [unrolled: 1-line block ×3, first 2 shown]
	s_waitcnt vmcnt(47) lgkmcnt(2)
	v_mul_f32_e32 v194, v182, v134
	v_mul_f32_e32 v133, v183, v134
	v_fmac_f32_e32 v192, v2, v10
	v_fma_f32 v10, v1, v10, -v130
	s_waitcnt vmcnt(46)
	v_mul_f32_e32 v195, v184, v132
	v_mul_f32_e32 v130, v185, v132
	s_waitcnt vmcnt(42)
	v_fmac_f32_e32 v193, v4, v141
	v_fma_f32 v141, v3, v141, -v131
	ds_read2_b64 v[1:4], v9 offset0:77 offset1:78
	v_fmac_f32_e32 v194, v183, v140
	v_fma_f32 v140, v182, v140, -v133
	v_fmac_f32_e32 v195, v185, v138
	v_fma_f32 v138, v184, v138, -v130
	ds_read2_b64 v[130:133], v9 offset0:79 offset1:80
	s_waitcnt vmcnt(41) lgkmcnt(3)
	v_mul_f32_e32 v182, v186, v139
	v_mul_f32_e32 v134, v187, v139
	s_waitcnt vmcnt(40)
	v_mul_f32_e32 v139, v188, v137
	v_mul_f32_e32 v135, v189, v137
	s_waitcnt vmcnt(39) lgkmcnt(2)
	v_mul_f32_e32 v183, v5, v142
	v_fmac_f32_e32 v182, v187, v136
	v_fma_f32 v184, v186, v136, -v134
	s_waitcnt vmcnt(38)
	v_mul_f32_e32 v185, v7, v143
	v_mul_f32_e32 v142, v6, v142
	;; [unrolled: 1-line block ×3, first 2 shown]
	s_waitcnt vmcnt(34)
	v_fmac_f32_e32 v139, v189, v149
	v_fma_f32 v149, v188, v149, -v135
	ds_read2_b64 v[134:137], v9 offset0:81 offset1:82
	v_fmac_f32_e32 v183, v6, v148
	v_fmac_f32_e32 v185, v8, v146
	v_fma_f32 v142, v5, v148, -v142
	v_fma_f32 v143, v7, v146, -v143
	ds_read2_b64 v[5:8], v9 offset0:83 offset1:84
	s_waitcnt vmcnt(33) lgkmcnt(3)
	v_mul_f32_e32 v146, v1, v147
	v_mul_f32_e32 v147, v2, v147
	s_waitcnt vmcnt(32)
	v_mul_f32_e32 v148, v3, v145
	v_mul_f32_e32 v145, v4, v145
	s_waitcnt vmcnt(31) lgkmcnt(2)
	v_mul_f32_e32 v186, v130, v150
	v_fmac_f32_e32 v146, v2, v144
	v_fma_f32 v144, v1, v144, -v147
	s_waitcnt vmcnt(30)
	v_mul_f32_e32 v147, v132, v151
	v_mul_f32_e32 v151, v133, v151
	;; [unrolled: 1-line block ×3, first 2 shown]
	s_waitcnt vmcnt(26)
	v_fmac_f32_e32 v148, v4, v158
	v_fma_f32 v145, v3, v158, -v145
	v_fmac_f32_e32 v147, v133, v155
	v_fma_f32 v151, v132, v155, -v151
	s_waitcnt vmcnt(25) lgkmcnt(1)
	v_mul_f32_e32 v155, v134, v156
	v_mul_f32_e32 v156, v135, v156
	ds_read2_b64 v[1:4], v9 offset0:85 offset1:86
	v_fmac_f32_e32 v186, v131, v157
	v_fma_f32 v150, v130, v157, -v150
	s_waitcnt vmcnt(24)
	v_mul_f32_e32 v157, v136, v154
	v_mul_f32_e32 v154, v137, v154
	s_waitcnt vmcnt(23) lgkmcnt(1)
	v_mul_f32_e32 v158, v5, v159
	v_fmac_f32_e32 v155, v135, v152
	v_fma_f32 v134, v134, v152, -v156
	v_mul_f32_e32 v152, v6, v159
	ds_read2_b64 v[130:133], v9 offset0:87 offset1:88
	s_waitcnt vmcnt(22)
	v_mul_f32_e32 v135, v7, v161
	v_mul_f32_e32 v156, v8, v161
	s_waitcnt vmcnt(18)
	v_fmac_f32_e32 v157, v137, v169
	v_fma_f32 v136, v136, v169, -v154
	v_fmac_f32_e32 v158, v6, v168
	v_fma_f32 v5, v5, v168, -v152
	s_clause 0x5
	buffer_load_dword v137, off, s[0:3], 0 offset:292
	buffer_load_dword v152, off, s[0:3], 0 offset:296
	;; [unrolled: 1-line block ×6, first 2 shown]
	v_fmac_f32_e32 v135, v8, v167
	v_fma_f32 v6, v7, v167, -v156
	s_clause 0x1
	buffer_load_dword v156, off, s[0:3], 0 offset:308
	buffer_load_dword v167, off, s[0:3], 0 offset:316
	s_waitcnt vmcnt(25) lgkmcnt(1)
	v_mul_f32_e32 v169, v1, v165
	s_waitcnt vmcnt(24)
	v_mul_f32_e32 v187, v3, v166
	v_mul_f32_e32 v7, v2, v165
	v_mul_f32_e32 v8, v4, v166
	buffer_load_dword v165, off, s[0:3], 0 offset:324
	v_fmac_f32_e32 v169, v2, v163
	s_waitcnt vmcnt(21)
	v_fmac_f32_e32 v187, v4, v177
	v_fma_f32 v163, v1, v163, -v7
	v_fma_f32 v166, v3, v177, -v8
	ds_read2_b64 v[1:4], v9 offset0:89 offset1:90
	s_waitcnt vmcnt(20) lgkmcnt(1)
	v_mul_f32_e32 v177, v130, v175
	s_waitcnt vmcnt(19)
	v_mul_f32_e32 v188, v132, v176
	v_mul_f32_e32 v7, v131, v175
	;; [unrolled: 1-line block ×3, first 2 shown]
	s_clause 0x4
	buffer_load_dword v175, off, s[0:3], 0 offset:344
	buffer_load_dword v176, off, s[0:3], 0 offset:336
	;; [unrolled: 1-line block ×5, first 2 shown]
	v_fmac_f32_e32 v177, v131, v174
	v_fmac_f32_e32 v188, v133, v173
	v_fma_f32 v174, v130, v174, -v7
	v_add_f32_e32 v7, 0, v190
	v_fma_f32 v173, v132, v173, -v8
	buffer_load_dword v190, off, s[0:3], 0 offset:340
	v_add_f32_e32 v8, 0, v11
	v_add_f32_e32 v7, v7, v191
	buffer_load_dword v191, off, s[0:3], 0 offset:348
	v_add_f32_e32 v8, v8, v12
	v_add_f32_e32 v7, v7, v192
	s_waitcnt vmcnt(25) lgkmcnt(0)
	v_mul_f32_e32 v11, v1, v172
	v_mul_f32_e32 v12, v2, v172
	s_waitcnt vmcnt(24)
	v_mul_f32_e32 v172, v3, v171
	v_mul_f32_e32 v130, v4, v171
	v_fmac_f32_e32 v11, v2, v170
	v_add_f32_e32 v2, v7, v193
	v_fma_f32 v12, v1, v170, -v12
	s_clause 0x2
	buffer_load_dword v170, off, s[0:3], 0 offset:356
	buffer_load_dword v171, off, s[0:3], 0 offset:364
	buffer_load_dword v192, off, s[0:3], 0 offset:372
	v_add_f32_e32 v1, v8, v10
	buffer_load_dword v193, off, s[0:3], 0 offset:388
	v_add_f32_e32 v2, v2, v194
	s_waitcnt vmcnt(23)
	v_fmac_f32_e32 v172, v4, v178
	v_fma_f32 v10, v3, v178, -v130
	s_clause 0x5
	buffer_load_dword v178, off, s[0:3], 0 offset:380
	buffer_load_dword v194, off, s[0:3], 0 offset:376
	;; [unrolled: 1-line block ×6, first 2 shown]
	v_add_f32_e32 v1, v1, v141
	v_add_f32_e32 v2, v2, v195
	s_clause 0x1
	buffer_load_dword v195, off, s[0:3], 0 offset:404
	buffer_load_dword v202, off, s[0:3], 0 offset:412
	v_add_f32_e32 v1, v1, v140
	v_add_f32_e32 v2, v2, v182
	;; [unrolled: 1-line block ×6, first 2 shown]
	s_clause 0x5
	buffer_load_dword v182, off, s[0:3], 0 offset:420
	buffer_load_dword v184, off, s[0:3], 0 offset:428
	;; [unrolled: 1-line block ×6, first 2 shown]
	v_add_f32_e32 v2, v2, v185
	s_clause 0x3
	buffer_load_dword v185, off, s[0:3], 0 offset:408
	buffer_load_dword v206, off, s[0:3], 0 offset:400
	;; [unrolled: 1-line block ×4, first 2 shown]
	v_add_f32_e32 v1, v1, v149
	v_add_f32_e32 v2, v2, v146
	;; [unrolled: 1-line block ×6, first 2 shown]
	s_clause 0x3
	buffer_load_dword v186, off, s[0:3], 0 offset:440
	buffer_load_dword v209, off, s[0:3], 0 offset:432
	;; [unrolled: 1-line block ×4, first 2 shown]
	v_add_f32_e32 v1, v1, v144
	v_add_f32_e32 v2, v2, v147
	;; [unrolled: 1-line block ×5, first 2 shown]
	s_clause 0x1
	buffer_load_dword v150, off, s[0:3], 0 offset:456
	buffer_load_dword v212, off, s[0:3], 0 offset:448
	v_add_f32_e32 v7, v2, v157
	v_add_f32_e32 v1, v1, v151
	buffer_load_dword v151, off, s[0:3], 0 offset:64
	v_add_f32_e32 v7, v7, v158
	v_add_f32_e32 v1, v1, v134
	;; [unrolled: 1-line block ×4, first 2 shown]
	ds_read2_b64 v[1:4], v9 offset0:91 offset1:92
	v_add_f32_e32 v130, v130, v169
	v_add_f32_e32 v5, v8, v5
	;; [unrolled: 1-line block ×4, first 2 shown]
	ds_read2_b64 v[5:8], v9 offset0:93 offset1:94
	v_add_f32_e32 v134, v134, v177
	v_add_f32_e32 v131, v131, v163
	;; [unrolled: 1-line block ×4, first 2 shown]
	s_waitcnt vmcnt(47) lgkmcnt(1)
	v_mul_f32_e32 v138, v1, v179
	s_waitcnt vmcnt(46)
	v_mul_f32_e32 v142, v3, v180
	v_mul_f32_e32 v132, v2, v179
	;; [unrolled: 1-line block ×3, first 2 shown]
	v_add_f32_e32 v135, v135, v174
	v_fmac_f32_e32 v138, v2, v164
	v_fmac_f32_e32 v142, v4, v162
	v_fma_f32 v139, v1, v164, -v132
	v_fma_f32 v143, v3, v162, -v133
	v_add_f32_e32 v141, v135, v173
	ds_read2_b64 v[1:4], v9 offset0:95 offset1:96
	ds_read2_b64 v[130:133], v9 offset0:97 offset1:98
	s_waitcnt lgkmcnt(2)
	v_mul_f32_e32 v146, v5, v160
	v_mul_f32_e32 v136, v6, v160
	v_add_f32_e32 v12, v141, v12
	v_add_f32_e32 v11, v140, v11
	v_fmac_f32_e32 v146, v6, v153
	v_fma_f32 v148, v5, v153, -v136
	v_add_f32_e32 v10, v12, v10
	v_add_f32_e32 v11, v11, v172
	;; [unrolled: 1-line block ×8, first 2 shown]
	s_waitcnt vmcnt(44)
	v_mul_f32_e32 v147, v7, v137
	v_mul_f32_e32 v137, v8, v137
	s_waitcnt vmcnt(42) lgkmcnt(1)
	v_mul_f32_e32 v153, v1, v154
	v_mul_f32_e32 v140, v2, v154
	s_waitcnt vmcnt(39)
	v_fmac_f32_e32 v147, v8, v168
	v_fma_f32 v149, v7, v168, -v137
	ds_read2_b64 v[5:8], v9 offset0:99 offset1:100
	ds_read2_b64 v[134:137], v9 offset0:101 offset1:102
	s_waitcnt vmcnt(37) lgkmcnt(2)
	v_mul_f32_e32 v155, v130, v167
	v_mul_f32_e32 v144, v131, v167
	;; [unrolled: 1-line block ×3, first 2 shown]
	v_fmac_f32_e32 v153, v2, v152
	v_fma_f32 v152, v1, v152, -v140
	v_fmac_f32_e32 v155, v131, v159
	v_fma_f32 v157, v130, v159, -v144
	v_add_f32_e32 v10, v10, v149
	v_mul_f32_e32 v154, v3, v156
	v_fma_f32 v156, v3, v161, -v141
	s_waitcnt vmcnt(36)
	v_mul_f32_e32 v145, v133, v165
	v_mul_f32_e32 v12, v132, v165
	v_add_f32_e32 v152, v10, v152
	v_fmac_f32_e32 v154, v4, v161
	ds_read2_b64 v[1:4], v9 offset0:103 offset1:104
	ds_read2_b64 v[138:141], v9 offset0:105 offset1:106
	s_waitcnt vmcnt(32)
	v_fma_f32 v158, v132, v196, -v145
	v_fmac_f32_e32 v12, v133, v196
	v_add_f32_e32 v152, v152, v156
	s_waitcnt vmcnt(31) lgkmcnt(3)
	v_mul_f32_e32 v159, v5, v197
	v_mul_f32_e32 v146, v6, v197
	ds_read2_b64 v[130:133], v9 offset0:107 offset1:108
	ds_read2_b64 v[142:145], v9 offset0:109 offset1:110
	s_waitcnt vmcnt(30)
	v_mul_f32_e32 v148, v8, v190
	v_add_f32_e32 v152, v152, v157
	v_fmac_f32_e32 v159, v6, v189
	v_add_f32_e32 v6, v11, v147
	v_fma_f32 v161, v5, v189, -v146
	v_mul_f32_e32 v160, v7, v190
	v_add_f32_e32 v152, v152, v158
	v_fma_f32 v162, v7, v176, -v148
	v_add_f32_e32 v153, v6, v153
	s_waitcnt vmcnt(29) lgkmcnt(4)
	v_mul_f32_e32 v163, v135, v191
	v_fmac_f32_e32 v160, v8, v176
	v_add_f32_e32 v152, v152, v161
	ds_read2_b64 v[5:8], v9 offset0:111 offset1:112
	ds_read2_b64 v[146:149], v9 offset0:113 offset1:114
	ds_read_b64 v[10:11], v9 offset:920
	v_add_f32_e32 v153, v153, v154
	v_mul_f32_e32 v154, v134, v191
	s_waitcnt vmcnt(28)
	v_mul_f32_e32 v164, v137, v170
	v_fma_f32 v134, v134, v175, -v163
	v_add_f32_e32 v152, v152, v162
	v_add_f32_e32 v153, v153, v155
	v_mul_f32_e32 v156, v136, v170
	v_fmac_f32_e32 v154, v135, v175
	s_waitcnt vmcnt(27) lgkmcnt(6)
	v_mul_f32_e32 v155, v1, v171
	v_mul_f32_e32 v163, v2, v171
	v_add_f32_e32 v12, v153, v12
	s_waitcnt vmcnt(20)
	v_fma_f32 v136, v136, v200, -v164
	v_add_f32_e32 v134, v152, v134
	v_fmac_f32_e32 v156, v137, v200
	v_fmac_f32_e32 v155, v2, v199
	v_add_f32_e32 v12, v12, v159
	v_fma_f32 v1, v1, v199, -v163
	v_add_f32_e32 v2, v134, v136
	v_mul_f32_e32 v157, v3, v192
	s_waitcnt lgkmcnt(5)
	v_mul_f32_e32 v134, v139, v178
	v_add_f32_e32 v12, v12, v160
	v_mul_f32_e32 v160, v4, v192
	v_add_f32_e32 v1, v2, v1
	v_mul_f32_e32 v135, v138, v178
	v_fmac_f32_e32 v157, v4, v198
	v_add_f32_e32 v12, v12, v154
	v_fma_f32 v3, v3, v198, -v160
	v_mul_f32_e32 v4, v141, v193
	v_mul_f32_e32 v153, v140, v193
	v_fmac_f32_e32 v135, v139, v194
	v_add_f32_e32 v12, v12, v156
	v_add_f32_e32 v1, v1, v3
	s_waitcnt vmcnt(19) lgkmcnt(4)
	v_mul_f32_e32 v3, v131, v201
	s_waitcnt vmcnt(7)
	v_fma_f32 v4, v140, v208, -v4
	v_mul_f32_e32 v158, v130, v201
	v_add_f32_e32 v2, v12, v155
	v_fma_f32 v12, v138, v194, -v134
	v_fmac_f32_e32 v153, v141, v208
	v_fma_f32 v3, v130, v207, -v3
	v_mul_f32_e32 v137, v132, v195
	v_add_f32_e32 v2, v2, v157
	v_add_f32_e32 v1, v1, v12
	v_mul_f32_e32 v12, v133, v195
	v_fmac_f32_e32 v158, v131, v207
	s_waitcnt lgkmcnt(3)
	v_mul_f32_e32 v164, v142, v202
	v_add_f32_e32 v2, v2, v135
	v_add_f32_e32 v1, v1, v4
	v_mul_f32_e32 v4, v143, v202
	v_fma_f32 v12, v132, v206, -v12
	v_fmac_f32_e32 v137, v133, v206
	v_add_f32_e32 v2, v2, v153
	v_add_f32_e32 v1, v1, v3
	v_mul_f32_e32 v3, v145, v182
	v_fma_f32 v4, v142, v185, -v4
	v_mul_f32_e32 v159, v144, v182
	v_add_f32_e32 v2, v2, v158
	v_add_f32_e32 v1, v1, v12
	v_fmac_f32_e32 v164, v143, v185
	s_waitcnt lgkmcnt(2)
	v_mul_f32_e32 v12, v6, v184
	s_waitcnt vmcnt(3)
	v_fma_f32 v3, v144, v211, -v3
	v_add_f32_e32 v2, v2, v137
	v_add_f32_e32 v1, v1, v4
	v_mul_f32_e32 v161, v5, v184
	v_fmac_f32_e32 v159, v145, v211
	v_mul_f32_e32 v4, v8, v203
	v_add_f32_e32 v2, v2, v164
	v_fma_f32 v5, v5, v210, -v12
	v_add_f32_e32 v1, v1, v3
	v_mul_f32_e32 v165, v7, v203
	v_fmac_f32_e32 v161, v6, v210
	v_add_f32_e32 v2, v2, v159
	s_waitcnt lgkmcnt(1)
	v_mul_f32_e32 v3, v147, v204
	v_fma_f32 v4, v7, v209, -v4
	v_add_f32_e32 v1, v1, v5
	v_mul_f32_e32 v162, v146, v204
	v_fmac_f32_e32 v165, v8, v209
	v_add_f32_e32 v2, v2, v161
	v_mul_f32_e32 v5, v149, v205
	v_fma_f32 v3, v146, v186, -v3
	v_add_f32_e32 v1, v1, v4
	v_mul_f32_e32 v166, v148, v205
	v_fmac_f32_e32 v162, v147, v186
	v_add_f32_e32 v2, v2, v165
	s_waitcnt lgkmcnt(0)
	v_mul_f32_e32 v4, v11, v183
	s_waitcnt vmcnt(1)
	v_fma_f32 v5, v148, v212, -v5
	v_add_f32_e32 v1, v1, v3
	v_mul_f32_e32 v152, v10, v183
	v_fmac_f32_e32 v166, v149, v212
	v_add_f32_e32 v2, v2, v162
	v_fma_f32 v3, v10, v150, -v4
	v_add_f32_e32 v1, v1, v5
	v_fmac_f32_e32 v152, v11, v150
	v_add_f32_e32 v2, v2, v166
	v_add_f32_e32 v1, v1, v3
	;; [unrolled: 1-line block ×3, first 2 shown]
	s_waitcnt vmcnt(0)
	v_sub_f32_e32 v1, v151, v1
	v_sub_f32_e32 v2, v181, v2
	buffer_store_dword v1, off, s[0:3], 0 offset:64
	buffer_store_dword v2, off, s[0:3], 0 offset:68
	v_cmpx_lt_u32_e32 7, v0
	s_cbranch_execz .LBB121_347
; %bb.346:
	s_clause 0x1
	buffer_load_dword v1, off, s[0:3], 0 offset:56
	buffer_load_dword v2, off, s[0:3], 0 offset:60
	buffer_store_dword v9, off, s[0:3], 0 offset:56
	buffer_store_dword v9, off, s[0:3], 0 offset:60
	s_waitcnt vmcnt(0)
	ds_write_b64 v129, v[1:2]
.LBB121_347:
	s_or_b32 exec_lo, exec_lo, s4
	s_waitcnt lgkmcnt(0)
	s_waitcnt_vscnt null, 0x0
	s_barrier
	buffer_gl0_inv
	s_clause 0x35
	buffer_load_dword v1, off, s[0:3], 0 offset:68
	buffer_load_dword v3, off, s[0:3], 0 offset:76
	;; [unrolled: 1-line block ×54, first 2 shown]
	ds_read_b128 v[174:177], v9 offset:528
	ds_read_b128 v[178:181], v9 offset:544
	;; [unrolled: 1-line block ×4, first 2 shown]
	buffer_load_dword v168, off, s[0:3], 0 offset:60
	s_mov_b32 s4, exec_lo
	s_waitcnt vmcnt(54) lgkmcnt(3)
	v_mul_f32_e32 v190, v174, v1
	v_mul_f32_e32 v1, v175, v1
	s_waitcnt vmcnt(53)
	v_mul_f32_e32 v191, v176, v3
	v_mul_f32_e32 v3, v177, v3
	s_waitcnt vmcnt(52) lgkmcnt(2)
	v_mul_f32_e32 v192, v178, v5
	v_mul_f32_e32 v5, v179, v5
	s_waitcnt vmcnt(49)
	v_fma_f32 v193, v174, v7, -v1
	s_waitcnt vmcnt(48)
	v_mul_f32_e32 v1, v181, v6
	v_fmac_f32_e32 v190, v175, v7
	v_fmac_f32_e32 v191, v177, v4
	v_fma_f32 v195, v176, v4, -v3
	v_fmac_f32_e32 v192, v179, v2
	v_fma_f32 v178, v178, v2, -v5
	s_waitcnt vmcnt(44)
	v_fma_f32 v179, v180, v133, -v1
	ds_read_b128 v[1:4], v9 offset:592
	ds_read_b128 v[174:177], v9 offset:608
	v_mul_f32_e32 v194, v180, v6
	s_waitcnt vmcnt(43) lgkmcnt(3)
	v_mul_f32_e32 v180, v182, v132
	v_mul_f32_e32 v5, v183, v132
	s_waitcnt vmcnt(42)
	v_mul_f32_e32 v6, v185, v131
	s_waitcnt vmcnt(41) lgkmcnt(2)
	v_mul_f32_e32 v196, v186, v12
	v_fmac_f32_e32 v194, v181, v133
	v_mul_f32_e32 v181, v184, v131
	v_fmac_f32_e32 v180, v183, v11
	v_fma_f32 v11, v182, v11, -v5
	s_waitcnt vmcnt(40)
	v_mul_f32_e32 v182, v188, v130
	v_mul_f32_e32 v5, v187, v12
	;; [unrolled: 1-line block ×3, first 2 shown]
	v_fmac_f32_e32 v181, v185, v10
	v_fma_f32 v10, v184, v10, -v6
	v_fmac_f32_e32 v196, v187, v8
	s_waitcnt vmcnt(36)
	v_fmac_f32_e32 v182, v189, v141
	v_fma_f32 v12, v186, v8, -v5
	v_fma_f32 v141, v188, v141, -v7
	ds_read_b128 v[5:8], v9 offset:624
	ds_read_b128 v[130:133], v9 offset:640
	s_waitcnt vmcnt(35) lgkmcnt(3)
	v_mul_f32_e32 v183, v1, v140
	v_mul_f32_e32 v140, v2, v140
	s_waitcnt vmcnt(34)
	v_mul_f32_e32 v184, v3, v139
	v_mul_f32_e32 v139, v4, v139
	s_waitcnt vmcnt(33) lgkmcnt(2)
	v_mul_f32_e32 v185, v174, v137
	v_fmac_f32_e32 v183, v2, v136
	v_fma_f32 v140, v1, v136, -v140
	s_waitcnt vmcnt(32)
	v_mul_f32_e32 v186, v176, v138
	v_mul_f32_e32 v1, v175, v137
	;; [unrolled: 1-line block ×3, first 2 shown]
	v_fmac_f32_e32 v184, v4, v135
	v_fma_f32 v138, v3, v135, -v139
	v_fmac_f32_e32 v185, v175, v134
	s_waitcnt vmcnt(28)
	v_fmac_f32_e32 v186, v177, v148
	v_fma_f32 v139, v174, v134, -v1
	v_fma_f32 v148, v176, v148, -v2
	ds_read_b128 v[1:4], v9 offset:656
	ds_read_b128 v[134:137], v9 offset:672
	s_waitcnt vmcnt(27) lgkmcnt(3)
	v_mul_f32_e32 v174, v5, v147
	v_mul_f32_e32 v147, v6, v147
	s_waitcnt vmcnt(26)
	v_mul_f32_e32 v175, v7, v146
	v_mul_f32_e32 v146, v8, v146
	s_waitcnt vmcnt(25) lgkmcnt(2)
	v_mul_f32_e32 v176, v130, v145
	v_mul_f32_e32 v145, v131, v145
	v_fmac_f32_e32 v174, v6, v144
	v_fma_f32 v144, v5, v144, -v147
	s_waitcnt vmcnt(24)
	v_mul_f32_e32 v147, v132, v149
	v_mul_f32_e32 v5, v133, v149
	v_fmac_f32_e32 v175, v8, v143
	v_fma_f32 v143, v7, v143, -v146
	v_fmac_f32_e32 v176, v131, v142
	v_fma_f32 v142, v130, v142, -v145
	s_waitcnt vmcnt(20)
	v_fmac_f32_e32 v147, v133, v156
	v_fma_f32 v145, v132, v156, -v5
	ds_read_b128 v[5:8], v9 offset:688
	ds_read_b128 v[130:133], v9 offset:704
	s_waitcnt vmcnt(19) lgkmcnt(3)
	v_mul_f32_e32 v149, v2, v155
	v_mul_f32_e32 v146, v1, v155
	s_waitcnt vmcnt(18)
	v_mul_f32_e32 v155, v3, v154
	v_mul_f32_e32 v154, v4, v154
	s_waitcnt vmcnt(17) lgkmcnt(2)
	v_mul_f32_e32 v156, v134, v153
	v_fma_f32 v149, v1, v152, -v149
	s_waitcnt vmcnt(16)
	v_mul_f32_e32 v1, v137, v157
	v_mul_f32_e32 v153, v135, v153
	v_fmac_f32_e32 v146, v2, v152
	v_mul_f32_e32 v152, v136, v157
	v_fmac_f32_e32 v155, v4, v151
	v_fma_f32 v151, v3, v151, -v154
	s_clause 0x4
	buffer_load_dword v154, off, s[0:3], 0 offset:284
	buffer_load_dword v157, off, s[0:3], 0 offset:304
	buffer_load_dword v177, off, s[0:3], 0 offset:296
	buffer_load_dword v187, off, s[0:3], 0 offset:288
	buffer_load_dword v188, off, s[0:3], 0 offset:280
	v_fmac_f32_e32 v156, v135, v150
	s_waitcnt vmcnt(17)
	v_fma_f32 v135, v136, v165, -v1
	ds_read_b128 v[1:4], v9 offset:720
	v_fmac_f32_e32 v152, v137, v165
	v_fma_f32 v134, v134, v150, -v153
	s_waitcnt vmcnt(16) lgkmcnt(2)
	v_mul_f32_e32 v136, v5, v163
	v_mul_f32_e32 v137, v6, v163
	s_waitcnt vmcnt(15)
	v_mul_f32_e32 v150, v7, v162
	v_mul_f32_e32 v153, v8, v162
	buffer_load_dword v162, off, s[0:3], 0 offset:300
	v_fmac_f32_e32 v136, v6, v161
	v_fma_f32 v137, v5, v161, -v137
	buffer_load_dword v161, off, s[0:3], 0 offset:292
	v_fmac_f32_e32 v150, v8, v159
	v_fma_f32 v153, v7, v159, -v153
	s_waitcnt vmcnt(16) lgkmcnt(1)
	v_mul_f32_e32 v159, v130, v160
	v_mul_f32_e32 v5, v131, v160
	s_waitcnt vmcnt(15)
	v_mul_f32_e32 v6, v133, v164
	v_mul_f32_e32 v160, v132, v164
	v_fmac_f32_e32 v159, v131, v158
	v_fma_f32 v158, v130, v158, -v5
	s_waitcnt vmcnt(10)
	v_fma_f32 v163, v132, v173, -v6
	ds_read_b128 v[5:8], v9 offset:736
	s_waitcnt vmcnt(9) lgkmcnt(1)
	v_mul_f32_e32 v164, v1, v172
	v_mul_f32_e32 v130, v2, v172
	s_waitcnt vmcnt(8)
	v_mul_f32_e32 v189, v3, v171
	v_fmac_f32_e32 v160, v133, v173
	s_clause 0x2
	buffer_load_dword v165, off, s[0:3], 0 offset:308
	buffer_load_dword v172, off, s[0:3], 0 offset:316
	;; [unrolled: 1-line block ×3, first 2 shown]
	v_fmac_f32_e32 v164, v2, v170
	v_fma_f32 v170, v1, v170, -v130
	v_mul_f32_e32 v1, v4, v171
	v_fmac_f32_e32 v189, v4, v169
	v_add_f32_e32 v2, 0, v193
	s_clause 0x3
	buffer_load_dword v171, off, s[0:3], 0 offset:336
	buffer_load_dword v197, off, s[0:3], 0 offset:328
	;; [unrolled: 1-line block ×4, first 2 shown]
	v_fma_f32 v169, v3, v169, -v1
	v_add_f32_e32 v1, 0, v190
	v_add_f32_e32 v2, v2, v195
	buffer_load_dword v190, off, s[0:3], 0 offset:332
	v_add_f32_e32 v1, v1, v191
	v_add_f32_e32 v2, v2, v178
	s_waitcnt lgkmcnt(0)
	v_mul_f32_e32 v3, v6, v167
	v_add_f32_e32 v1, v1, v192
	s_clause 0x1
	buffer_load_dword v191, off, s[0:3], 0 offset:340
	buffer_load_dword v192, off, s[0:3], 0 offset:348
	v_add_f32_e32 v2, v2, v179
	v_add_f32_e32 v1, v1, v194
	;; [unrolled: 1-line block ×3, first 2 shown]
	v_fma_f32 v11, v5, v166, -v3
	v_add_f32_e32 v1, v1, v180
	s_clause 0x5
	buffer_load_dword v178, off, s[0:3], 0 offset:368
	buffer_load_dword v179, off, s[0:3], 0 offset:360
	;; [unrolled: 1-line block ×6, first 2 shown]
	v_add_f32_e32 v2, v2, v10
	v_add_f32_e32 v1, v1, v181
	buffer_load_dword v181, off, s[0:3], 0 offset:356
	v_mul_f32_e32 v10, v5, v167
	v_add_f32_e32 v2, v2, v12
	v_add_f32_e32 v1, v1, v196
	v_fmac_f32_e32 v10, v6, v166
	v_add_f32_e32 v2, v2, v141
	v_add_f32_e32 v1, v1, v182
	s_clause 0x2
	buffer_load_dword v182, off, s[0:3], 0 offset:380
	buffer_load_dword v196, off, s[0:3], 0 offset:388
	buffer_load_dword v200, off, s[0:3], 0 offset:396
	v_add_f32_e32 v2, v2, v140
	v_add_f32_e32 v1, v1, v183
	s_clause 0x2
	buffer_load_dword v183, off, s[0:3], 0 offset:404
	buffer_load_dword v201, off, s[0:3], 0 offset:412
	buffer_load_dword v202, off, s[0:3], 0 offset:420
	;; [unrolled: 6-line block ×3, first 2 shown]
	buffer_load_dword v205, off, s[0:3], 0 offset:460
	v_add_f32_e32 v2, v2, v139
	v_add_f32_e32 v1, v1, v185
	buffer_load_dword v185, off, s[0:3], 0 offset:452
	v_add_f32_e32 v2, v2, v148
	v_add_f32_e32 v1, v1, v186
	;; [unrolled: 1-line block ×4, first 2 shown]
	s_clause 0x3
	buffer_load_dword v174, off, s[0:3], 0 offset:400
	buffer_load_dword v186, off, s[0:3], 0 offset:392
	;; [unrolled: 1-line block ×4, first 2 shown]
	v_add_f32_e32 v2, v2, v143
	v_add_f32_e32 v1, v1, v175
	;; [unrolled: 1-line block ×4, first 2 shown]
	s_clause 0x7
	buffer_load_dword v175, off, s[0:3], 0 offset:432
	buffer_load_dword v176, off, s[0:3], 0 offset:424
	;; [unrolled: 1-line block ×8, first 2 shown]
	v_add_f32_e32 v2, v2, v145
	v_add_f32_e32 v1, v1, v147
	;; [unrolled: 1-line block ×8, first 2 shown]
	ds_read_b128 v[1:4], v9 offset:752
	v_add_f32_e32 v12, v5, v135
	v_add_f32_e32 v130, v6, v152
	;; [unrolled: 1-line block ×4, first 2 shown]
	ds_read_b128 v[130:133], v9 offset:784
	v_add_f32_e32 v12, v12, v153
	v_add_f32_e32 v134, v134, v150
	;; [unrolled: 1-line block ×3, first 2 shown]
	s_waitcnt vmcnt(46)
	v_mul_f32_e32 v146, v7, v154
	v_mul_f32_e32 v5, v8, v154
	s_waitcnt vmcnt(42)
	v_fmac_f32_e32 v146, v8, v188
	v_fma_f32 v147, v7, v188, -v5
	ds_read_b128 v[5:8], v9 offset:768
	s_waitcnt vmcnt(41) lgkmcnt(2)
	v_mul_f32_e32 v138, v4, v162
	s_waitcnt vmcnt(40)
	v_mul_f32_e32 v135, v2, v161
	v_mul_f32_e32 v148, v1, v161
	v_fma_f32 v153, v3, v177, -v138
	v_fma_f32 v149, v1, v187, -v135
	v_add_f32_e32 v1, v134, v159
	v_fmac_f32_e32 v148, v2, v187
	v_add_f32_e32 v2, v12, v163
	ds_read_b128 v[134:137], v9 offset:800
	v_mul_f32_e32 v12, v3, v162
	v_add_f32_e32 v1, v1, v160
	v_add_f32_e32 v2, v2, v170
	s_waitcnt vmcnt(39) lgkmcnt(1)
	v_mul_f32_e32 v139, v6, v165
	v_mul_f32_e32 v150, v5, v165
	v_add_f32_e32 v1, v1, v164
	s_waitcnt vmcnt(37)
	v_mul_f32_e32 v152, v130, v173
	v_fmac_f32_e32 v12, v4, v177
	v_fma_f32 v154, v5, v157, -v139
	v_add_f32_e32 v5, v2, v169
	v_fmac_f32_e32 v150, v6, v157
	v_add_f32_e32 v6, v1, v189
	v_mul_f32_e32 v142, v8, v172
	v_mul_f32_e32 v143, v131, v173
	v_add_f32_e32 v11, v5, v11
	s_waitcnt vmcnt(34)
	v_fmac_f32_e32 v152, v131, v198
	v_add_f32_e32 v10, v6, v10
	v_mul_f32_e32 v151, v7, v172
	s_waitcnt vmcnt(33)
	v_fma_f32 v155, v7, v199, -v142
	v_add_f32_e32 v11, v11, v147
	ds_read_b128 v[1:4], v9 offset:816
	ds_read_b128 v[138:141], v9 offset:832
	v_add_f32_e32 v10, v10, v146
	v_fmac_f32_e32 v151, v8, v199
	v_fma_f32 v156, v130, v198, -v143
	s_waitcnt vmcnt(31) lgkmcnt(2)
	v_mul_f32_e32 v158, v134, v191
	v_add_f32_e32 v11, v11, v149
	s_waitcnt vmcnt(30)
	v_mul_f32_e32 v159, v136, v192
	v_add_f32_e32 v10, v10, v148
	v_mul_f32_e32 v131, v135, v191
	v_fmac_f32_e32 v158, v135, v171
	v_add_f32_e32 v135, v11, v153
	v_mul_f32_e32 v160, v137, v192
	v_mul_f32_e32 v130, v133, v190
	;; [unrolled: 1-line block ×3, first 2 shown]
	v_fma_f32 v134, v134, v171, -v131
	s_waitcnt vmcnt(26)
	v_fmac_f32_e32 v159, v137, v193
	v_add_f32_e32 v137, v10, v12
	v_add_f32_e32 v135, v135, v154
	v_fma_f32 v161, v132, v197, -v130
	v_fmac_f32_e32 v157, v133, v197
	v_fma_f32 v136, v136, v193, -v160
	v_add_f32_e32 v137, v137, v150
	v_add_f32_e32 v135, v135, v155
	s_waitcnt vmcnt(23) lgkmcnt(1)
	v_mul_f32_e32 v154, v2, v181
	ds_read_b128 v[5:8], v9 offset:848
	ds_read_b128 v[142:145], v9 offset:864
	v_mul_f32_e32 v153, v1, v181
	v_add_f32_e32 v137, v137, v151
	v_add_f32_e32 v135, v135, v156
	v_mul_f32_e32 v160, v4, v194
	v_fma_f32 v1, v1, v180, -v154
	v_mul_f32_e32 v150, v3, v194
	v_add_f32_e32 v137, v137, v152
	v_add_f32_e32 v135, v135, v161
	v_fmac_f32_e32 v153, v2, v180
	v_fma_f32 v3, v3, v179, -v160
	s_waitcnt lgkmcnt(2)
	v_mul_f32_e32 v155, v138, v195
	v_add_f32_e32 v137, v137, v157
	v_add_f32_e32 v134, v135, v134
	v_fmac_f32_e32 v150, v4, v179
	s_waitcnt vmcnt(22)
	v_mul_f32_e32 v151, v140, v182
	v_fmac_f32_e32 v155, v139, v178
	v_add_f32_e32 v137, v137, v158
	v_add_f32_e32 v134, v134, v136
	ds_read_b128 v[130:133], v9 offset:880
	ds_read_b128 v[146:149], v9 offset:896
	s_waitcnt vmcnt(21) lgkmcnt(3)
	v_mul_f32_e32 v162, v5, v196
	s_waitcnt vmcnt(20)
	v_mul_f32_e32 v156, v7, v200
	v_add_f32_e32 v136, v137, v159
	v_mul_f32_e32 v137, v139, v195
	v_add_f32_e32 v1, v134, v1
	v_mul_f32_e32 v134, v141, v182
	s_waitcnt vmcnt(19) lgkmcnt(2)
	v_mul_f32_e32 v152, v142, v183
	v_add_f32_e32 v4, v136, v153
	v_fma_f32 v136, v138, v178, -v137
	v_add_f32_e32 v1, v1, v3
	s_waitcnt vmcnt(9)
	v_fmac_f32_e32 v162, v6, v206
	s_waitcnt vmcnt(8)
	v_fma_f32 v134, v140, v207, -v134
	v_add_f32_e32 v3, v4, v150
	v_mul_f32_e32 v4, v6, v196
	v_add_f32_e32 v1, v1, v136
	v_fmac_f32_e32 v151, v141, v207
	v_mul_f32_e32 v136, v8, v200
	v_add_f32_e32 v3, v3, v155
	v_fma_f32 v4, v5, v206, -v4
	v_add_f32_e32 v1, v1, v134
	v_mul_f32_e32 v5, v143, v183
	v_fma_f32 v6, v7, v186, -v136
	v_add_f32_e32 v3, v3, v151
	v_fmac_f32_e32 v156, v8, v186
	v_add_f32_e32 v1, v1, v4
	v_mul_f32_e32 v4, v145, v201
	v_fma_f32 v5, v142, v174, -v5
	v_add_f32_e32 v3, v3, v162
	v_mul_f32_e32 v163, v144, v201
	v_add_f32_e32 v1, v1, v6
	v_fmac_f32_e32 v152, v143, v174
	ds_read_b128 v[9:12], v9 offset:912
	v_add_f32_e32 v3, v3, v156
	s_waitcnt lgkmcnt(2)
	v_mul_f32_e32 v6, v131, v202
	s_waitcnt vmcnt(4)
	v_fma_f32 v4, v144, v209, -v4
	v_add_f32_e32 v1, v1, v5
	v_mul_f32_e32 v161, v130, v202
	v_fmac_f32_e32 v163, v145, v209
	v_add_f32_e32 v3, v3, v152
	v_mul_f32_e32 v5, v133, v184
	v_fma_f32 v6, v130, v208, -v6
	v_add_f32_e32 v1, v1, v4
	v_mul_f32_e32 v157, v132, v184
	v_fmac_f32_e32 v161, v131, v208
	v_add_f32_e32 v3, v3, v163
	s_waitcnt lgkmcnt(1)
	v_mul_f32_e32 v4, v147, v203
	v_fma_f32 v5, v132, v176, -v5
	v_add_f32_e32 v1, v1, v6
	v_mul_f32_e32 v164, v146, v203
	v_fmac_f32_e32 v157, v133, v176
	v_add_f32_e32 v3, v3, v161
	v_mul_f32_e32 v6, v149, v204
	v_fma_f32 v4, v146, v175, -v4
	v_add_f32_e32 v1, v1, v5
	v_mul_f32_e32 v135, v148, v204
	v_fmac_f32_e32 v164, v147, v175
	v_add_f32_e32 v3, v3, v157
	s_waitcnt lgkmcnt(0)
	v_mul_f32_e32 v5, v10, v185
	s_waitcnt vmcnt(1)
	v_fma_f32 v6, v148, v212, -v6
	v_add_f32_e32 v1, v1, v4
	v_mul_f32_e32 v158, v9, v185
	v_fmac_f32_e32 v135, v149, v212
	v_add_f32_e32 v3, v3, v164
	v_mul_f32_e32 v4, v12, v205
	v_fma_f32 v5, v9, v211, -v5
	v_add_f32_e32 v1, v1, v6
	v_mul_f32_e32 v2, v11, v205
	v_fmac_f32_e32 v158, v10, v211
	v_add_f32_e32 v3, v3, v135
	v_fma_f32 v4, v11, v210, -v4
	v_add_f32_e32 v1, v1, v5
	v_fmac_f32_e32 v2, v12, v210
	v_add_f32_e32 v3, v3, v158
	v_add_f32_e32 v1, v1, v4
	;; [unrolled: 1-line block ×3, first 2 shown]
	s_waitcnt vmcnt(0)
	v_sub_f32_e32 v1, v213, v1
	v_sub_f32_e32 v2, v168, v2
	buffer_store_dword v1, off, s[0:3], 0 offset:56
	buffer_store_dword v2, off, s[0:3], 0 offset:60
	v_cmpx_lt_u32_e32 6, v0
	s_cbranch_execz .LBB121_349
; %bb.348:
	s_clause 0x1
	buffer_load_dword v1, off, s[0:3], 0 offset:48
	buffer_load_dword v2, off, s[0:3], 0 offset:52
	v_mov_b32_e32 v3, 0
	buffer_store_dword v3, off, s[0:3], 0 offset:48
	buffer_store_dword v3, off, s[0:3], 0 offset:52
	s_waitcnt vmcnt(0)
	ds_write_b64 v129, v[1:2]
.LBB121_349:
	s_or_b32 exec_lo, exec_lo, s4
	s_waitcnt lgkmcnt(0)
	s_waitcnt_vscnt null, 0x0
	s_barrier
	buffer_gl0_inv
	s_clause 0x35
	buffer_load_dword v2, off, s[0:3], 0 offset:60
	buffer_load_dword v4, off, s[0:3], 0 offset:68
	buffer_load_dword v6, off, s[0:3], 0 offset:76
	buffer_load_dword v3, off, s[0:3], 0 offset:72
	buffer_load_dword v5, off, s[0:3], 0 offset:64
	buffer_load_dword v8, off, s[0:3], 0 offset:56
	buffer_load_dword v7, off, s[0:3], 0 offset:84
	buffer_load_dword v9, off, s[0:3], 0 offset:104
	buffer_load_dword v10, off, s[0:3], 0 offset:96
	buffer_load_dword v11, off, s[0:3], 0 offset:88
	buffer_load_dword v133, off, s[0:3], 0 offset:80
	buffer_load_dword v131, off, s[0:3], 0 offset:92
	buffer_load_dword v132, off, s[0:3], 0 offset:100
	buffer_load_dword v130, off, s[0:3], 0 offset:108
	buffer_load_dword v12, off, s[0:3], 0 offset:116
	buffer_load_dword v134, off, s[0:3], 0 offset:136
	buffer_load_dword v135, off, s[0:3], 0 offset:128
	buffer_load_dword v136, off, s[0:3], 0 offset:120
	buffer_load_dword v141, off, s[0:3], 0 offset:112
	buffer_load_dword v140, off, s[0:3], 0 offset:124
	buffer_load_dword v139, off, s[0:3], 0 offset:132
	buffer_load_dword v137, off, s[0:3], 0 offset:140
	buffer_load_dword v138, off, s[0:3], 0 offset:148
	buffer_load_dword v142, off, s[0:3], 0 offset:168
	buffer_load_dword v143, off, s[0:3], 0 offset:160
	buffer_load_dword v144, off, s[0:3], 0 offset:152
	buffer_load_dword v149, off, s[0:3], 0 offset:144
	buffer_load_dword v148, off, s[0:3], 0 offset:156
	buffer_load_dword v147, off, s[0:3], 0 offset:164
	buffer_load_dword v146, off, s[0:3], 0 offset:172
	buffer_load_dword v145, off, s[0:3], 0 offset:180
	buffer_load_dword v150, off, s[0:3], 0 offset:188
	buffer_load_dword v151, off, s[0:3], 0 offset:200
	buffer_load_dword v152, off, s[0:3], 0 offset:192
	buffer_load_dword v154, off, s[0:3], 0 offset:184
	buffer_load_dword v158, off, s[0:3], 0 offset:176
	buffer_load_dword v156, off, s[0:3], 0 offset:196
	buffer_load_dword v153, off, s[0:3], 0 offset:204
	buffer_load_dword v157, off, s[0:3], 0 offset:212
	buffer_load_dword v155, off, s[0:3], 0 offset:232
	buffer_load_dword v161, off, s[0:3], 0 offset:224
	buffer_load_dword v162, off, s[0:3], 0 offset:216
	buffer_load_dword v165, off, s[0:3], 0 offset:208
	buffer_load_dword v164, off, s[0:3], 0 offset:220
	buffer_load_dword v163, off, s[0:3], 0 offset:228
	buffer_load_dword v159, off, s[0:3], 0 offset:236
	buffer_load_dword v160, off, s[0:3], 0 offset:244
	buffer_load_dword v166, off, s[0:3], 0 offset:264
	buffer_load_dword v167, off, s[0:3], 0 offset:268
	buffer_load_dword v168, off, s[0:3], 0 offset:256
	buffer_load_dword v170, off, s[0:3], 0 offset:248
	buffer_load_dword v173, off, s[0:3], 0 offset:240
	buffer_load_dword v172, off, s[0:3], 0 offset:252
	buffer_load_dword v169, off, s[0:3], 0 offset:260
	v_mov_b32_e32 v1, 0
	ds_read2_b64 v[174:177], v1 offset0:65 offset1:66
	ds_read2_b64 v[178:181], v1 offset0:67 offset1:68
	buffer_load_dword v171, off, s[0:3], 0 offset:52
	ds_read2_b64 v[182:185], v1 offset0:69 offset1:70
	ds_read2_b64 v[186:189], v1 offset0:71 offset1:72
	s_mov_b32 s4, exec_lo
	s_waitcnt vmcnt(54) lgkmcnt(3)
	v_mul_f32_e32 v190, v174, v2
	v_mul_f32_e32 v2, v175, v2
	s_waitcnt vmcnt(53)
	v_mul_f32_e32 v191, v176, v4
	v_mul_f32_e32 v4, v177, v4
	s_waitcnt vmcnt(52) lgkmcnt(2)
	v_mul_f32_e32 v192, v178, v6
	v_mul_f32_e32 v6, v179, v6
	s_waitcnt vmcnt(49)
	v_fma_f32 v193, v174, v8, -v2
	s_waitcnt vmcnt(48)
	v_mul_f32_e32 v2, v181, v7
	v_fmac_f32_e32 v190, v175, v8
	v_fmac_f32_e32 v191, v177, v5
	v_fma_f32 v195, v176, v5, -v4
	v_fmac_f32_e32 v192, v179, v3
	v_fma_f32 v178, v178, v3, -v6
	s_waitcnt vmcnt(44)
	v_fma_f32 v179, v180, v133, -v2
	ds_read2_b64 v[2:5], v1 offset0:73 offset1:74
	ds_read2_b64 v[174:177], v1 offset0:75 offset1:76
	v_mul_f32_e32 v194, v180, v7
	s_waitcnt vmcnt(43) lgkmcnt(3)
	v_mul_f32_e32 v180, v182, v131
	v_mul_f32_e32 v6, v183, v131
	s_waitcnt vmcnt(42)
	v_mul_f32_e32 v7, v185, v132
	s_waitcnt vmcnt(41) lgkmcnt(2)
	v_mul_f32_e32 v196, v186, v130
	v_fmac_f32_e32 v194, v181, v133
	v_mul_f32_e32 v181, v184, v132
	v_mul_f32_e32 v8, v187, v130
	v_fmac_f32_e32 v180, v183, v11
	v_fma_f32 v11, v182, v11, -v6
	s_waitcnt vmcnt(40)
	v_mul_f32_e32 v182, v188, v12
	v_mul_f32_e32 v6, v189, v12
	v_fmac_f32_e32 v181, v185, v10
	v_fma_f32 v10, v184, v10, -v7
	v_fmac_f32_e32 v196, v187, v9
	v_fma_f32 v12, v186, v9, -v8
	s_waitcnt vmcnt(36)
	v_fmac_f32_e32 v182, v189, v141
	v_fma_f32 v141, v188, v141, -v6
	ds_read2_b64 v[6:9], v1 offset0:77 offset1:78
	ds_read2_b64 v[130:133], v1 offset0:79 offset1:80
	s_waitcnt vmcnt(35) lgkmcnt(3)
	v_mul_f32_e32 v183, v2, v140
	v_mul_f32_e32 v140, v3, v140
	s_waitcnt vmcnt(34)
	v_mul_f32_e32 v184, v4, v139
	v_mul_f32_e32 v139, v5, v139
	s_waitcnt vmcnt(33) lgkmcnt(2)
	v_mul_f32_e32 v185, v174, v137
	v_fmac_f32_e32 v183, v3, v136
	v_fma_f32 v140, v2, v136, -v140
	s_waitcnt vmcnt(32)
	v_mul_f32_e32 v186, v176, v138
	v_mul_f32_e32 v2, v175, v137
	;; [unrolled: 1-line block ×3, first 2 shown]
	v_fmac_f32_e32 v184, v5, v135
	v_fma_f32 v138, v4, v135, -v139
	v_fmac_f32_e32 v185, v175, v134
	s_waitcnt vmcnt(28)
	v_fmac_f32_e32 v186, v177, v149
	v_fma_f32 v139, v174, v134, -v2
	v_fma_f32 v149, v176, v149, -v3
	ds_read2_b64 v[2:5], v1 offset0:81 offset1:82
	ds_read2_b64 v[134:137], v1 offset0:83 offset1:84
	s_waitcnt vmcnt(27) lgkmcnt(3)
	v_mul_f32_e32 v174, v6, v148
	v_mul_f32_e32 v148, v7, v148
	s_waitcnt vmcnt(26)
	v_mul_f32_e32 v175, v8, v147
	v_mul_f32_e32 v147, v9, v147
	s_waitcnt vmcnt(25) lgkmcnt(2)
	v_mul_f32_e32 v176, v130, v146
	v_fmac_f32_e32 v174, v7, v144
	v_fma_f32 v144, v6, v144, -v148
	v_fmac_f32_e32 v175, v9, v143
	v_fma_f32 v143, v8, v143, -v147
	s_clause 0x4
	buffer_load_dword v147, off, s[0:3], 0 offset:276
	buffer_load_dword v148, off, s[0:3], 0 offset:296
	;; [unrolled: 1-line block ×5, first 2 shown]
	v_mul_f32_e32 v146, v131, v146
	s_waitcnt vmcnt(29)
	v_mul_f32_e32 v6, v133, v145
	v_mul_f32_e32 v189, v132, v145
	v_fmac_f32_e32 v176, v131, v142
	v_fma_f32 v130, v130, v142, -v146
	s_waitcnt vmcnt(24)
	v_fma_f32 v132, v132, v158, -v6
	ds_read2_b64 v[6:9], v1 offset0:85 offset1:86
	buffer_load_dword v146, off, s[0:3], 0 offset:284
	s_waitcnt lgkmcnt(2)
	v_mul_f32_e32 v131, v2, v150
	v_mul_f32_e32 v142, v3, v150
	v_fmac_f32_e32 v189, v133, v158
	s_waitcnt vmcnt(24)
	v_mul_f32_e32 v133, v4, v156
	v_mul_f32_e32 v145, v5, v156
	v_fmac_f32_e32 v131, v3, v154
	v_fma_f32 v142, v2, v154, -v142
	s_waitcnt vmcnt(23) lgkmcnt(1)
	v_mul_f32_e32 v150, v134, v153
	v_mul_f32_e32 v2, v135, v153
	s_waitcnt vmcnt(22)
	v_mul_f32_e32 v3, v137, v157
	v_fmac_f32_e32 v133, v5, v152
	v_fma_f32 v145, v4, v152, -v145
	s_clause 0x1
	buffer_load_dword v152, off, s[0:3], 0 offset:292
	buffer_load_dword v153, off, s[0:3], 0 offset:300
	v_mul_f32_e32 v154, v136, v157
	v_fmac_f32_e32 v150, v135, v151
	v_fma_f32 v134, v134, v151, -v2
	s_clause 0x1
	buffer_load_dword v151, off, s[0:3], 0 offset:308
	buffer_load_dword v156, off, s[0:3], 0 offset:316
	v_add_f32_e32 v135, 0, v190
	s_waitcnt vmcnt(22)
	v_fma_f32 v136, v136, v165, -v3
	ds_read2_b64 v[2:5], v1 offset0:87 offset1:88
	v_fmac_f32_e32 v154, v137, v165
	s_waitcnt vmcnt(21) lgkmcnt(1)
	v_mul_f32_e32 v137, v6, v164
	v_mul_f32_e32 v157, v7, v164
	v_add_f32_e32 v135, v135, v191
	v_add_f32_e32 v164, 0, v193
	s_waitcnt vmcnt(20)
	v_mul_f32_e32 v158, v8, v163
	v_mul_f32_e32 v163, v9, v163
	v_fmac_f32_e32 v137, v7, v162
	v_fma_f32 v157, v6, v162, -v157
	v_add_f32_e32 v6, v164, v195
	v_add_f32_e32 v7, v135, v192
	v_fmac_f32_e32 v158, v9, v161
	v_fma_f32 v161, v8, v161, -v163
	s_clause 0x3
	buffer_load_dword v162, off, s[0:3], 0 offset:328
	buffer_load_dword v163, off, s[0:3], 0 offset:320
	;; [unrolled: 1-line block ×4, first 2 shown]
	v_add_f32_e32 v6, v6, v178
	v_add_f32_e32 v135, v7, v194
	s_clause 0x2
	buffer_load_dword v178, off, s[0:3], 0 offset:324
	buffer_load_dword v190, off, s[0:3], 0 offset:332
	;; [unrolled: 1-line block ×3, first 2 shown]
	v_add_f32_e32 v179, v6, v179
	ds_read2_b64 v[6:9], v1 offset0:89 offset1:90
	v_add_f32_e32 v135, v135, v180
	s_waitcnt vmcnt(26) lgkmcnt(1)
	v_mul_f32_e32 v180, v2, v159
	v_mul_f32_e32 v159, v3, v159
	v_add_f32_e32 v11, v179, v11
	s_waitcnt vmcnt(25)
	v_mul_f32_e32 v179, v4, v160
	v_mul_f32_e32 v160, v5, v160
	v_fmac_f32_e32 v180, v3, v155
	v_add_f32_e32 v3, v135, v181
	v_fma_f32 v135, v2, v155, -v159
	v_add_f32_e32 v2, v11, v10
	s_waitcnt vmcnt(20)
	v_fmac_f32_e32 v179, v5, v173
	v_fma_f32 v155, v4, v173, -v160
	v_add_f32_e32 v10, v3, v196
	s_clause 0x4
	buffer_load_dword v159, off, s[0:3], 0 offset:360
	buffer_load_dword v160, off, s[0:3], 0 offset:352
	;; [unrolled: 1-line block ×5, first 2 shown]
	v_add_f32_e32 v12, v2, v12
	ds_read2_b64 v[2:5], v1 offset0:91 offset1:92
	v_add_f32_e32 v10, v10, v182
	s_clause 0x1
	buffer_load_dword v182, off, s[0:3], 0 offset:356
	buffer_load_dword v193, off, s[0:3], 0 offset:364
	s_waitcnt vmcnt(26) lgkmcnt(1)
	v_mul_f32_e32 v192, v6, v172
	v_mul_f32_e32 v172, v7, v172
	v_add_f32_e32 v12, v12, v141
	v_add_f32_e32 v10, v10, v183
	buffer_load_dword v183, off, s[0:3], 0 offset:372
	v_fmac_f32_e32 v192, v7, v170
	v_fma_f32 v141, v6, v170, -v172
	s_waitcnt vmcnt(26)
	v_mul_f32_e32 v170, v8, v169
	v_add_f32_e32 v7, v10, v184
	v_mul_f32_e32 v10, v9, v169
	v_add_f32_e32 v6, v12, v140
	s_clause 0x2
	buffer_load_dword v12, off, s[0:3], 0 offset:380
	buffer_load_dword v172, off, s[0:3], 0 offset:388
	;; [unrolled: 1-line block ×3, first 2 shown]
	v_add_f32_e32 v7, v7, v185
	v_fmac_f32_e32 v170, v9, v168
	v_fma_f32 v10, v8, v168, -v10
	s_clause 0x1
	buffer_load_dword v168, off, s[0:3], 0 offset:404
	buffer_load_dword v184, off, s[0:3], 0 offset:412
	v_add_f32_e32 v6, v6, v138
	v_add_f32_e32 v7, v7, v186
	s_clause 0x2
	buffer_load_dword v185, off, s[0:3], 0 offset:420
	buffer_load_dword v186, off, s[0:3], 0 offset:428
	;; [unrolled: 1-line block ×3, first 2 shown]
	s_waitcnt lgkmcnt(0)
	v_mul_f32_e32 v138, v2, v167
	v_mul_f32_e32 v8, v3, v167
	v_add_f32_e32 v6, v6, v139
	v_add_f32_e32 v7, v7, v174
	s_clause 0x2
	buffer_load_dword v174, off, s[0:3], 0 offset:444
	buffer_load_dword v195, off, s[0:3], 0 offset:452
	;; [unrolled: 1-line block ×3, first 2 shown]
	v_fmac_f32_e32 v138, v3, v166
	v_fma_f32 v139, v2, v166, -v8
	v_add_f32_e32 v6, v6, v149
	v_add_f32_e32 v7, v7, v175
	s_clause 0x3
	buffer_load_dword v175, off, s[0:3], 0 offset:392
	buffer_load_dword v197, off, s[0:3], 0 offset:384
	;; [unrolled: 1-line block ×4, first 2 shown]
	v_add_f32_e32 v6, v6, v144
	v_add_f32_e32 v7, v7, v176
	;; [unrolled: 1-line block ×4, first 2 shown]
	s_clause 0x8
	buffer_load_dword v176, off, s[0:3], 0 offset:424
	buffer_load_dword v189, off, s[0:3], 0 offset:416
	;; [unrolled: 1-line block ×9, first 2 shown]
	v_add_f32_e32 v6, v6, v130
	v_add_f32_e32 v7, v7, v131
	;; [unrolled: 1-line block ×11, first 2 shown]
	ds_read2_b64 v[6:9], v1 offset0:93 offset1:94
	v_add_f32_e32 v134, v130, v158
	v_add_f32_e32 v131, v3, v157
	;; [unrolled: 1-line block ×4, first 2 shown]
	ds_read2_b64 v[130:133], v1 offset0:97 offset1:98
	v_add_f32_e32 v140, v134, v179
	v_add_f32_e32 v135, v136, v135
	s_waitcnt vmcnt(48)
	v_mul_f32_e32 v142, v4, v147
	v_mul_f32_e32 v2, v5, v147
	s_waitcnt vmcnt(44)
	v_fmac_f32_e32 v142, v5, v188
	v_fma_f32 v143, v4, v188, -v2
	ds_read2_b64 v[2:5], v1 offset0:95 offset1:96
	s_waitcnt vmcnt(43) lgkmcnt(2)
	v_mul_f32_e32 v137, v7, v146
	v_mul_f32_e32 v147, v6, v146
	v_fma_f32 v146, v6, v187, -v137
	v_add_f32_e32 v6, v135, v155
	v_fmac_f32_e32 v147, v7, v187
	v_add_f32_e32 v7, v140, v192
	ds_read2_b64 v[134:137], v1 offset0:99 offset1:100
	v_add_f32_e32 v6, v6, v141
	s_waitcnt vmcnt(42)
	v_mul_f32_e32 v149, v8, v152
	v_add_f32_e32 v7, v7, v170
	s_waitcnt vmcnt(41) lgkmcnt(1)
	v_mul_f32_e32 v150, v2, v153
	v_mul_f32_e32 v141, v3, v153
	v_add_f32_e32 v6, v6, v10
	s_waitcnt vmcnt(39)
	v_mul_f32_e32 v145, v131, v156
	v_mul_f32_e32 v140, v9, v152
	v_fmac_f32_e32 v150, v3, v148
	v_mul_f32_e32 v152, v4, v151
	v_add_f32_e32 v3, v6, v139
	v_mul_f32_e32 v144, v5, v151
	v_mul_f32_e32 v151, v130, v156
	v_fma_f32 v153, v2, v148, -v141
	v_add_f32_e32 v2, v7, v138
	v_fma_f32 v10, v8, v177, -v140
	v_fmac_f32_e32 v149, v9, v177
	ds_read2_b64 v[6:9], v1 offset0:101 offset1:102
	ds_read2_b64 v[138:141], v1 offset0:103 offset1:104
	s_waitcnt vmcnt(36)
	v_fma_f32 v155, v130, v164, -v145
	v_add_f32_e32 v130, v3, v143
	v_fmac_f32_e32 v151, v131, v164
	v_add_f32_e32 v131, v2, v142
	s_waitcnt vmcnt(35)
	v_fma_f32 v154, v4, v165, -v144
	v_fmac_f32_e32 v152, v5, v165
	v_add_f32_e32 v130, v130, v146
	s_waitcnt vmcnt(34)
	v_mul_f32_e32 v156, v132, v178
	v_add_f32_e32 v131, v131, v147
	v_mul_f32_e32 v147, v133, v178
	s_waitcnt vmcnt(33) lgkmcnt(2)
	v_mul_f32_e32 v157, v134, v190
	v_add_f32_e32 v10, v130, v10
	v_mul_f32_e32 v146, v135, v190
	v_add_f32_e32 v131, v131, v149
	v_fmac_f32_e32 v156, v133, v163
	v_fma_f32 v163, v132, v163, -v147
	v_add_f32_e32 v153, v10, v153
	s_waitcnt vmcnt(32)
	v_mul_f32_e32 v161, v137, v191
	v_add_f32_e32 v150, v131, v150
	v_fmac_f32_e32 v157, v135, v162
	v_fma_f32 v162, v134, v162, -v146
	v_add_f32_e32 v153, v153, v154
	v_mul_f32_e32 v158, v136, v191
	v_add_f32_e32 v150, v150, v152
	s_waitcnt vmcnt(28)
	v_fma_f32 v161, v136, v11, -v161
	s_waitcnt vmcnt(27) lgkmcnt(1)
	v_mul_f32_e32 v164, v7, v181
	v_add_f32_e32 v153, v153, v155
	ds_read2_b64 v[2:5], v1 offset0:105 offset1:106
	ds_read2_b64 v[142:145], v1 offset0:107 offset1:108
	v_add_f32_e32 v150, v150, v151
	v_fmac_f32_e32 v158, v137, v11
	v_mul_f32_e32 v152, v6, v181
	v_add_f32_e32 v153, v153, v163
	s_waitcnt vmcnt(26)
	v_mul_f32_e32 v165, v9, v182
	v_add_f32_e32 v150, v150, v156
	v_fma_f32 v6, v6, v173, -v164
	v_mul_f32_e32 v154, v8, v182
	v_add_f32_e32 v153, v153, v162
	v_fmac_f32_e32 v152, v7, v173
	v_add_f32_e32 v150, v150, v157
	s_waitcnt vmcnt(25) lgkmcnt(2)
	v_mul_f32_e32 v164, v139, v193
	v_fma_f32 v8, v8, v160, -v165
	v_add_f32_e32 v153, v153, v161
	v_mul_f32_e32 v151, v138, v193
	v_add_f32_e32 v150, v150, v158
	v_fmac_f32_e32 v154, v9, v160
	s_waitcnt vmcnt(24)
	v_mul_f32_e32 v158, v141, v183
	v_add_f32_e32 v6, v153, v6
	v_fma_f32 v138, v138, v159, -v164
	v_add_f32_e32 v150, v150, v152
	v_mul_f32_e32 v155, v140, v183
	v_fmac_f32_e32 v151, v139, v159
	v_add_f32_e32 v6, v6, v8
	s_waitcnt vmcnt(23) lgkmcnt(1)
	v_mul_f32_e32 v7, v2, v12
	v_add_f32_e32 v8, v150, v154
	v_mul_f32_e32 v12, v3, v12
	ds_read2_b64 v[130:133], v1 offset0:109 offset1:110
	ds_read2_b64 v[146:149], v1 offset0:111 offset1:112
	v_add_f32_e32 v6, v6, v138
	s_waitcnt vmcnt(9)
	v_fma_f32 v139, v140, v199, -v158
	v_fmac_f32_e32 v155, v141, v199
	v_add_f32_e32 v8, v8, v151
	v_mul_f32_e32 v138, v5, v172
	v_fmac_f32_e32 v7, v3, v198
	v_fma_f32 v2, v2, v198, -v12
	v_add_f32_e32 v3, v6, v139
	v_mul_f32_e32 v156, v4, v172
	v_add_f32_e32 v6, v8, v155
	s_waitcnt lgkmcnt(2)
	v_mul_f32_e32 v8, v143, v169
	v_fma_f32 v4, v4, v197, -v138
	v_add_f32_e32 v2, v3, v2
	v_mul_f32_e32 v163, v142, v169
	v_fmac_f32_e32 v156, v5, v197
	v_add_f32_e32 v3, v6, v7
	v_mul_f32_e32 v5, v145, v168
	v_fma_f32 v6, v142, v175, -v8
	v_add_f32_e32 v2, v2, v4
	v_mul_f32_e32 v9, v144, v168
	v_fmac_f32_e32 v163, v143, v175
	v_add_f32_e32 v3, v3, v156
	s_waitcnt lgkmcnt(1)
	v_mul_f32_e32 v4, v131, v184
	s_waitcnt vmcnt(5)
	v_fma_f32 v5, v144, v201, -v5
	v_add_f32_e32 v2, v2, v6
	ds_read2_b64 v[134:137], v1 offset0:113 offset1:114
	ds_read_b64 v[10:11], v1 offset:920
	v_mul_f32_e32 v160, v130, v184
	v_fmac_f32_e32 v9, v145, v201
	v_add_f32_e32 v3, v3, v163
	v_mul_f32_e32 v6, v133, v185
	v_fma_f32 v4, v130, v200, -v4
	v_add_f32_e32 v2, v2, v5
	v_mul_f32_e32 v157, v132, v185
	v_fmac_f32_e32 v160, v131, v200
	v_add_f32_e32 v3, v3, v9
	s_waitcnt lgkmcnt(2)
	v_mul_f32_e32 v5, v147, v186
	v_fma_f32 v6, v132, v189, -v6
	v_add_f32_e32 v2, v2, v4
	v_mul_f32_e32 v162, v146, v186
	v_fmac_f32_e32 v157, v133, v189
	v_add_f32_e32 v3, v3, v160
	v_mul_f32_e32 v4, v149, v194
	v_fma_f32 v5, v146, v176, -v5
	v_add_f32_e32 v2, v2, v6
	v_mul_f32_e32 v165, v148, v194
	v_fmac_f32_e32 v162, v147, v176
	v_add_f32_e32 v3, v3, v157
	s_waitcnt lgkmcnt(1)
	v_mul_f32_e32 v6, v135, v174
	s_waitcnt vmcnt(1)
	v_fma_f32 v4, v148, v205, -v4
	v_add_f32_e32 v2, v2, v5
	v_mul_f32_e32 v161, v134, v174
	v_fmac_f32_e32 v165, v149, v205
	v_add_f32_e32 v3, v3, v162
	v_mul_f32_e32 v5, v137, v195
	v_fma_f32 v6, v134, v204, -v6
	v_add_f32_e32 v2, v2, v4
	v_mul_f32_e32 v166, v136, v195
	v_fmac_f32_e32 v161, v135, v204
	v_add_f32_e32 v3, v3, v165
	s_waitcnt lgkmcnt(0)
	v_mul_f32_e32 v4, v11, v196
	v_fma_f32 v5, v136, v203, -v5
	v_add_f32_e32 v2, v2, v6
	v_mul_f32_e32 v152, v10, v196
	v_fmac_f32_e32 v166, v137, v203
	v_add_f32_e32 v3, v3, v161
	v_fma_f32 v4, v10, v202, -v4
	v_add_f32_e32 v2, v2, v5
	v_fmac_f32_e32 v152, v11, v202
	v_add_f32_e32 v3, v3, v166
	v_add_f32_e32 v2, v2, v4
	;; [unrolled: 1-line block ×3, first 2 shown]
	s_waitcnt vmcnt(0)
	v_sub_f32_e32 v2, v206, v2
	v_sub_f32_e32 v3, v171, v3
	buffer_store_dword v2, off, s[0:3], 0 offset:48
	buffer_store_dword v3, off, s[0:3], 0 offset:52
	v_cmpx_lt_u32_e32 5, v0
	s_cbranch_execz .LBB121_351
; %bb.350:
	s_clause 0x1
	buffer_load_dword v2, off, s[0:3], 0 offset:40
	buffer_load_dword v3, off, s[0:3], 0 offset:44
	buffer_store_dword v1, off, s[0:3], 0 offset:40
	buffer_store_dword v1, off, s[0:3], 0 offset:44
	s_waitcnt vmcnt(0)
	ds_write_b64 v129, v[2:3]
.LBB121_351:
	s_or_b32 exec_lo, exec_lo, s4
	s_waitcnt lgkmcnt(0)
	s_waitcnt_vscnt null, 0x0
	s_barrier
	buffer_gl0_inv
	s_clause 0x3b
	buffer_load_dword v165, off, s[0:3], 0 offset:52
	buffer_load_dword v2, off, s[0:3], 0 offset:64
	;; [unrolled: 1-line block ×60, first 2 shown]
	ds_read_b128 v[179:182], v1 offset:512
	ds_read_b128 v[183:186], v1 offset:528
	;; [unrolled: 1-line block ×3, first 2 shown]
	s_mov_b32 s4, exec_lo
	s_waitcnt vmcnt(59) lgkmcnt(2)
	v_mul_f32_e32 v191, v179, v165
	v_mul_f32_e32 v192, v180, v165
	buffer_load_dword v165, off, s[0:3], 0 offset:44
	s_waitcnt vmcnt(56)
	v_mul_f32_e32 v193, v181, v6
	v_mul_f32_e32 v6, v182, v6
	v_fmac_f32_e32 v191, v180, v7
	v_fma_f32 v192, v179, v7, -v192
	s_waitcnt vmcnt(55) lgkmcnt(1)
	v_mul_f32_e32 v195, v183, v5
	v_fmac_f32_e32 v193, v182, v4
	v_fma_f32 v194, v181, v4, -v6
	v_mul_f32_e32 v179, v184, v5
	ds_read_b128 v[4:7], v1 offset:560
	v_fmac_f32_e32 v195, v184, v2
	s_waitcnt vmcnt(49) lgkmcnt(1)
	v_mul_f32_e32 v199, v187, v131
	v_mul_f32_e32 v197, v185, v3
	v_fma_f32 v196, v183, v2, -v179
	v_mul_f32_e32 v2, v186, v3
	ds_read_b128 v[179:182], v1 offset:576
	v_fmac_f32_e32 v199, v188, v12
	v_fmac_f32_e32 v197, v186, v132
	v_fma_f32 v198, v185, v132, -v2
	v_mul_f32_e32 v2, v188, v131
	ds_read_b128 v[183:186], v1 offset:592
	v_fma_f32 v12, v187, v12, -v2
	s_waitcnt vmcnt(48)
	v_mul_f32_e32 v187, v189, v130
	v_mul_f32_e32 v2, v190, v130
	s_waitcnt vmcnt(47) lgkmcnt(2)
	v_mul_f32_e32 v188, v4, v11
	v_fmac_f32_e32 v187, v190, v10
	v_fma_f32 v10, v189, v10, -v2
	v_mul_f32_e32 v2, v5, v11
	s_waitcnt vmcnt(46)
	v_mul_f32_e32 v189, v6, v9
	v_fmac_f32_e32 v188, v5, v8
	s_waitcnt vmcnt(41) lgkmcnt(1)
	v_mul_f32_e32 v190, v179, v139
	v_fma_f32 v11, v4, v8, -v2
	v_mul_f32_e32 v2, v7, v9
	v_fmac_f32_e32 v189, v7, v140
	v_fmac_f32_e32 v190, v180, v137
	s_waitcnt vmcnt(39) lgkmcnt(0)
	v_mul_f32_e32 v130, v184, v136
	v_fma_f32 v140, v6, v140, -v2
	v_mul_f32_e32 v6, v180, v139
	ds_read_b128 v[2:5], v1 offset:608
	v_mul_f32_e32 v139, v181, v138
	v_fma_f32 v137, v179, v137, -v6
	v_mul_f32_e32 v6, v182, v138
	v_fmac_f32_e32 v139, v182, v135
	v_mul_f32_e32 v138, v183, v136
	v_fma_f32 v136, v183, v133, -v130
	s_waitcnt vmcnt(38)
	v_mul_f32_e32 v179, v185, v134
	v_fma_f32 v135, v181, v135, -v6
	ds_read_b128 v[6:9], v1 offset:624
	v_mul_f32_e32 v130, v186, v134
	v_fmac_f32_e32 v138, v184, v133
	s_waitcnt vmcnt(34)
	v_fmac_f32_e32 v179, v186, v147
	v_fma_f32 v134, v185, v147, -v130
	ds_read_b128 v[130:133], v1 offset:640
	s_waitcnt vmcnt(33) lgkmcnt(2)
	v_mul_f32_e32 v147, v2, v146
	v_mul_f32_e32 v146, v3, v146
	v_fmac_f32_e32 v147, v3, v144
	v_fma_f32 v144, v2, v144, -v146
	s_waitcnt vmcnt(32)
	v_mul_f32_e32 v146, v4, v145
	v_mul_f32_e32 v2, v5, v145
	s_waitcnt vmcnt(31) lgkmcnt(1)
	v_mul_f32_e32 v145, v6, v143
	v_fmac_f32_e32 v146, v5, v142
	v_fma_f32 v142, v4, v142, -v2
	v_mul_f32_e32 v2, v7, v143
	s_waitcnt vmcnt(30)
	v_mul_f32_e32 v143, v8, v148
	v_mul_f32_e32 v148, v9, v148
	v_fmac_f32_e32 v145, v7, v141
	v_fma_f32 v141, v6, v141, -v2
	ds_read_b128 v[2:5], v1 offset:656
	s_waitcnt vmcnt(26)
	v_fmac_f32_e32 v143, v9, v156
	v_fma_f32 v148, v8, v156, -v148
	ds_read_b128 v[6:9], v1 offset:672
	s_waitcnt vmcnt(25) lgkmcnt(2)
	v_mul_f32_e32 v156, v130, v154
	v_mul_f32_e32 v154, v131, v154
	v_fmac_f32_e32 v156, v131, v152
	s_waitcnt vmcnt(24)
	v_mul_f32_e32 v131, v132, v153
	v_fma_f32 v130, v130, v152, -v154
	v_mul_f32_e32 v152, v133, v153
	buffer_load_dword v154, off, s[0:3], 0 offset:292
	v_fmac_f32_e32 v131, v133, v150
	buffer_load_dword v133, off, s[0:3], 0 offset:284
	v_fma_f32 v132, v132, v150, -v152
	s_waitcnt vmcnt(25) lgkmcnt(1)
	v_mul_f32_e32 v150, v2, v151
	v_mul_f32_e32 v151, v3, v151
	s_waitcnt vmcnt(24)
	v_mul_f32_e32 v152, v4, v155
	v_mul_f32_e32 v153, v5, v155
	v_fmac_f32_e32 v150, v3, v149
	v_fma_f32 v149, v2, v149, -v151
	s_waitcnt vmcnt(20)
	v_fmac_f32_e32 v152, v5, v164
	v_fma_f32 v151, v4, v164, -v153
	ds_read_b128 v[2:5], v1 offset:688
	s_waitcnt vmcnt(19) lgkmcnt(1)
	v_mul_f32_e32 v153, v6, v163
	v_mul_f32_e32 v155, v7, v163
	s_waitcnt vmcnt(18)
	v_mul_f32_e32 v163, v8, v162
	v_mul_f32_e32 v162, v9, v162
	buffer_load_dword v164, off, s[0:3], 0 offset:300
	v_fmac_f32_e32 v153, v7, v161
	v_fma_f32 v155, v6, v161, -v155
	v_add_f32_e32 v6, 0, v191
	v_add_f32_e32 v7, 0, v192
	v_fmac_f32_e32 v163, v9, v160
	v_fma_f32 v160, v8, v160, -v162
	s_clause 0x3
	buffer_load_dword v161, off, s[0:3], 0 offset:320
	buffer_load_dword v162, off, s[0:3], 0 offset:312
	;; [unrolled: 1-line block ×4, first 2 shown]
	v_add_f32_e32 v6, v6, v193
	v_add_f32_e32 v7, v7, v194
	s_clause 0x3
	buffer_load_dword v182, off, s[0:3], 0 offset:308
	buffer_load_dword v183, off, s[0:3], 0 offset:316
	;; [unrolled: 1-line block ×4, first 2 shown]
	v_add_f32_e32 v6, v6, v195
	v_add_f32_e32 v7, v7, v196
	s_waitcnt vmcnt(26) lgkmcnt(0)
	v_mul_f32_e32 v186, v2, v158
	v_mul_f32_e32 v8, v3, v158
	s_waitcnt vmcnt(25)
	v_mul_f32_e32 v158, v4, v159
	v_add_f32_e32 v6, v6, v197
	v_add_f32_e32 v7, v7, v198
	v_mul_f32_e32 v9, v5, v159
	v_fmac_f32_e32 v186, v3, v157
	v_fma_f32 v157, v2, v157, -v8
	v_add_f32_e32 v6, v6, v199
	v_add_f32_e32 v7, v7, v12
	s_waitcnt vmcnt(20)
	v_fmac_f32_e32 v158, v5, v173
	v_fma_f32 v159, v4, v173, -v9
	ds_read_b128 v[2:5], v1 offset:704
	v_add_f32_e32 v6, v6, v187
	v_add_f32_e32 v7, v7, v10
	s_clause 0x3
	buffer_load_dword v12, off, s[0:3], 0 offset:352
	buffer_load_dword v173, off, s[0:3], 0 offset:344
	;; [unrolled: 1-line block ×4, first 2 shown]
	v_add_f32_e32 v6, v6, v188
	v_add_f32_e32 v10, v7, v11
	s_clause 0x2
	buffer_load_dword v11, off, s[0:3], 0 offset:340
	buffer_load_dword v187, off, s[0:3], 0 offset:348
	;; [unrolled: 1-line block ×3, first 2 shown]
	v_add_f32_e32 v189, v6, v189
	ds_read_b128 v[6:9], v1 offset:720
	v_add_f32_e32 v10, v10, v140
	v_add_f32_e32 v189, v189, v190
	;; [unrolled: 1-line block ×3, first 2 shown]
	s_waitcnt vmcnt(26) lgkmcnt(1)
	v_mul_f32_e32 v140, v2, v172
	v_mul_f32_e32 v172, v3, v172
	s_waitcnt vmcnt(25)
	v_mul_f32_e32 v137, v5, v171
	v_mul_f32_e32 v190, v4, v171
	v_fmac_f32_e32 v140, v3, v170
	v_fma_f32 v170, v2, v170, -v172
	v_add_f32_e32 v2, v189, v139
	v_add_f32_e32 v3, v10, v135
	v_fma_f32 v139, v4, v168, -v137
	s_clause 0x3
	buffer_load_dword v10, off, s[0:3], 0 offset:364
	buffer_load_dword v171, off, s[0:3], 0 offset:372
	;; [unrolled: 1-line block ×4, first 2 shown]
	v_fmac_f32_e32 v190, v5, v168
	v_add_f32_e32 v2, v2, v138
	v_add_f32_e32 v3, v3, v136
	s_waitcnt lgkmcnt(0)
	v_mul_f32_e32 v138, v6, v167
	v_mul_f32_e32 v4, v7, v167
	s_clause 0x3
	buffer_load_dword v168, off, s[0:3], 0 offset:396
	buffer_load_dword v193, off, s[0:3], 0 offset:404
	;; [unrolled: 1-line block ×4, first 2 shown]
	v_add_f32_e32 v2, v2, v179
	v_add_f32_e32 v3, v3, v134
	s_clause 0x4
	buffer_load_dword v179, off, s[0:3], 0 offset:428
	buffer_load_dword v196, off, s[0:3], 0 offset:436
	;; [unrolled: 1-line block ×5, first 2 shown]
	v_fmac_f32_e32 v138, v7, v166
	v_add_f32_e32 v2, v2, v147
	v_add_f32_e32 v3, v3, v144
	v_fma_f32 v144, v6, v166, -v4
	s_clause 0x3
	buffer_load_dword v166, off, s[0:3], 0 offset:384
	buffer_load_dword v199, off, s[0:3], 0 offset:376
	buffer_load_dword v200, off, s[0:3], 0 offset:368
	buffer_load_dword v201, off, s[0:3], 0 offset:360
	v_add_f32_e32 v6, v2, v146
	v_add_f32_e32 v2, v3, v142
	;; [unrolled: 1-line block ×4, first 2 shown]
	s_waitcnt vmcnt(41)
	v_mul_f32_e32 v2, v9, v169
	v_mul_f32_e32 v141, v8, v169
	v_add_f32_e32 v6, v6, v143
	v_add_f32_e32 v7, v7, v148
	s_waitcnt vmcnt(37)
	v_fma_f32 v142, v8, v178, -v2
	ds_read_b128 v[2:5], v1 offset:736
	v_fmac_f32_e32 v141, v9, v178
	s_clause 0x3
	buffer_load_dword v169, off, s[0:3], 0 offset:416
	buffer_load_dword v178, off, s[0:3], 0 offset:408
	;; [unrolled: 1-line block ×4, first 2 shown]
	v_add_f32_e32 v7, v7, v130
	v_add_f32_e32 v6, v6, v156
	;; [unrolled: 1-line block ×4, first 2 shown]
	ds_read_b128 v[6:9], v1 offset:752
	v_add_f32_e32 v130, v130, v149
	v_add_f32_e32 v131, v131, v150
	s_waitcnt vmcnt(40) lgkmcnt(1)
	v_mul_f32_e32 v143, v2, v177
	v_mul_f32_e32 v132, v3, v177
	v_fmac_f32_e32 v143, v3, v176
	v_fma_f32 v145, v2, v176, -v132
	v_add_f32_e32 v2, v130, v151
	v_add_f32_e32 v3, v131, v152
	s_clause 0x3
	buffer_load_dword v150, off, s[0:3], 0 offset:448
	buffer_load_dword v151, off, s[0:3], 0 offset:440
	;; [unrolled: 1-line block ×4, first 2 shown]
	v_add_f32_e32 v2, v2, v155
	buffer_load_dword v155, off, s[0:3], 0 offset:456
	v_add_f32_e32 v3, v3, v153
	buffer_load_dword v153, off, s[0:3], 0 offset:40
	v_add_f32_e32 v2, v2, v160
	v_add_f32_e32 v131, v3, v163
	;; [unrolled: 1-line block ×13, first 2 shown]
	s_waitcnt vmcnt(44) lgkmcnt(0)
	v_mul_f32_e32 v148, v6, v154
	v_mul_f32_e32 v136, v7, v154
	s_waitcnt vmcnt(43)
	v_mul_f32_e32 v146, v4, v133
	v_mul_f32_e32 v130, v5, v133
	v_fmac_f32_e32 v148, v7, v174
	v_fma_f32 v154, v6, v174, -v136
	v_fmac_f32_e32 v146, v5, v175
	v_fma_f32 v147, v4, v175, -v130
	ds_read_b128 v[2:5], v1 offset:768
	ds_read_b128 v[130:133], v1 offset:784
	v_add_f32_e32 v175, v142, v145
	v_add_f32_e32 v147, v175, v147
	s_waitcnt vmcnt(42)
	v_mul_f32_e32 v149, v8, v164
	v_mul_f32_e32 v137, v9, v164
	s_waitcnt vmcnt(38)
	v_fmac_f32_e32 v149, v9, v181
	v_fma_f32 v158, v8, v181, -v137
	ds_read_b128 v[6:9], v1 offset:800
	ds_read_b128 v[134:137], v1 offset:816
	s_waitcnt vmcnt(36) lgkmcnt(3)
	v_mul_f32_e32 v160, v4, v183
	v_mul_f32_e32 v163, v5, v183
	;; [unrolled: 1-line block ×4, first 2 shown]
	s_waitcnt vmcnt(35) lgkmcnt(2)
	v_mul_f32_e32 v164, v130, v184
	v_fmac_f32_e32 v160, v5, v162
	v_fma_f32 v162, v4, v162, -v163
	v_add_f32_e32 v163, v138, v141
	v_fma_f32 v159, v2, v180, -v159
	v_fmac_f32_e32 v157, v3, v180
	v_mul_f32_e32 v144, v131, v184
	s_waitcnt vmcnt(34)
	v_mul_f32_e32 v174, v133, v185
	v_add_f32_e32 v163, v163, v143
	v_fmac_f32_e32 v164, v131, v161
	v_mul_f32_e32 v170, v132, v185
	v_fma_f32 v161, v130, v161, -v144
	ds_read_b128 v[2:5], v1 offset:832
	ds_read_b128 v[138:141], v1 offset:848
	v_add_f32_e32 v146, v163, v146
	s_waitcnt vmcnt(30)
	v_fma_f32 v174, v132, v192, -v174
	v_fmac_f32_e32 v170, v133, v192
	v_add_f32_e32 v146, v146, v148
	s_waitcnt vmcnt(29) lgkmcnt(3)
	v_mul_f32_e32 v175, v6, v11
	v_mul_f32_e32 v11, v7, v11
	s_waitcnt vmcnt(28)
	v_mul_f32_e32 v163, v8, v187
	v_mul_f32_e32 v176, v9, v187
	ds_read_b128 v[130:133], v1 offset:864
	ds_read_b128 v[142:145], v1 offset:880
	v_fmac_f32_e32 v175, v7, v191
	v_add_f32_e32 v7, v147, v154
	v_fmac_f32_e32 v163, v9, v173
	v_fma_f32 v154, v8, v173, -v176
	v_add_f32_e32 v173, v146, v149
	v_fma_f32 v11, v6, v191, -v11
	v_add_f32_e32 v158, v7, v158
	ds_read_b128 v[6:9], v1 offset:896
	ds_read_b128 v[146:149], v1 offset:912
	s_waitcnt vmcnt(27) lgkmcnt(6)
	v_mul_f32_e32 v1, v134, v188
	v_add_f32_e32 v157, v173, v157
	v_add_f32_e32 v158, v158, v159
	v_mul_f32_e32 v159, v135, v188
	v_fmac_f32_e32 v1, v135, v12
	v_add_f32_e32 v157, v157, v160
	v_add_f32_e32 v158, v158, v162
	s_waitcnt vmcnt(26)
	v_mul_f32_e32 v173, v136, v10
	v_mul_f32_e32 v10, v137, v10
	v_add_f32_e32 v157, v157, v164
	v_fma_f32 v12, v134, v12, -v159
	v_add_f32_e32 v158, v158, v161
	s_waitcnt vmcnt(25) lgkmcnt(5)
	v_mul_f32_e32 v162, v2, v171
	s_waitcnt vmcnt(24)
	v_mul_f32_e32 v160, v4, v172
	v_add_f32_e32 v157, v157, v170
	s_waitcnt vmcnt(23) lgkmcnt(4)
	v_mul_f32_e32 v176, v138, v189
	v_add_f32_e32 v158, v158, v174
	s_waitcnt vmcnt(22)
	v_mul_f32_e32 v161, v140, v168
	s_waitcnt vmcnt(21) lgkmcnt(3)
	v_mul_f32_e32 v164, v130, v193
	v_add_f32_e32 v157, v157, v175
	s_waitcnt vmcnt(20)
	v_mul_f32_e32 v177, v132, v194
	v_add_f32_e32 v11, v158, v11
	s_waitcnt vmcnt(12)
	v_fmac_f32_e32 v160, v5, v199
	s_waitcnt vmcnt(11)
	v_fmac_f32_e32 v162, v3, v200
	v_add_f32_e32 v135, v157, v163
	s_waitcnt vmcnt(10)
	v_fma_f32 v10, v136, v201, -v10
	v_add_f32_e32 v11, v11, v154
	v_mul_f32_e32 v154, v3, v171
	v_fmac_f32_e32 v173, v137, v201
	v_add_f32_e32 v1, v135, v1
	v_fmac_f32_e32 v176, v139, v166
	v_add_f32_e32 v11, v11, v12
	v_mul_f32_e32 v12, v5, v172
	v_fma_f32 v2, v2, v200, -v154
	v_add_f32_e32 v1, v1, v173
	s_waitcnt lgkmcnt(2)
	v_mul_f32_e32 v174, v142, v195
	v_add_f32_e32 v3, v11, v10
	v_mul_f32_e32 v10, v139, v189
	v_fma_f32 v4, v4, v199, -v12
	v_add_f32_e32 v1, v1, v162
	s_waitcnt vmcnt(7)
	v_fmac_f32_e32 v164, v131, v202
	v_add_f32_e32 v2, v3, v2
	v_mul_f32_e32 v3, v141, v168
	v_fma_f32 v5, v138, v166, -v10
	v_add_f32_e32 v1, v1, v160
	s_waitcnt vmcnt(6)
	v_fmac_f32_e32 v161, v141, v203
	v_add_f32_e32 v2, v2, v4
	v_mul_f32_e32 v4, v131, v193
	v_fma_f32 v3, v140, v203, -v3
	v_add_f32_e32 v1, v1, v176
	v_fmac_f32_e32 v177, v133, v178
	v_add_f32_e32 v2, v2, v5
	v_mul_f32_e32 v5, v133, v194
	v_fma_f32 v4, v130, v202, -v4
	v_add_f32_e32 v1, v1, v161
	v_mul_f32_e32 v170, v144, v179
	v_add_f32_e32 v2, v2, v3
	v_mul_f32_e32 v3, v143, v195
	v_fma_f32 v5, v132, v178, -v5
	v_add_f32_e32 v1, v1, v164
	v_fmac_f32_e32 v174, v143, v169
	v_add_f32_e32 v2, v2, v4
	v_mul_f32_e32 v4, v145, v179
	v_fma_f32 v3, v142, v169, -v3
	v_add_f32_e32 v1, v1, v177
	s_waitcnt lgkmcnt(1)
	v_mul_f32_e32 v180, v6, v196
	v_add_f32_e32 v2, v2, v5
	v_mul_f32_e32 v5, v7, v196
	s_waitcnt vmcnt(2)
	v_fma_f32 v4, v144, v156, -v4
	v_fmac_f32_e32 v170, v145, v156
	v_add_f32_e32 v1, v1, v174
	v_add_f32_e32 v2, v2, v3
	v_mul_f32_e32 v3, v9, v197
	v_fma_f32 v5, v6, v152, -v5
	v_mul_f32_e32 v158, v8, v197
	v_fmac_f32_e32 v180, v7, v152
	v_add_f32_e32 v2, v2, v4
	v_add_f32_e32 v1, v1, v170
	s_waitcnt lgkmcnt(0)
	v_mul_f32_e32 v4, v147, v198
	v_fma_f32 v3, v8, v151, -v3
	v_mul_f32_e32 v175, v146, v198
	v_add_f32_e32 v2, v2, v5
	v_fmac_f32_e32 v158, v9, v151
	v_add_f32_e32 v1, v1, v180
	v_mul_f32_e32 v5, v149, v167
	v_fma_f32 v4, v146, v150, -v4
	v_add_f32_e32 v2, v2, v3
	v_mul_f32_e32 v134, v148, v167
	v_fmac_f32_e32 v175, v147, v150
	v_add_f32_e32 v1, v1, v158
	s_waitcnt vmcnt(1)
	v_fma_f32 v3, v148, v155, -v5
	v_add_f32_e32 v2, v2, v4
	v_fmac_f32_e32 v134, v149, v155
	v_add_f32_e32 v1, v1, v175
	v_add_f32_e32 v2, v2, v3
	;; [unrolled: 1-line block ×3, first 2 shown]
	s_waitcnt vmcnt(0)
	v_sub_f32_e32 v2, v153, v2
	v_sub_f32_e32 v1, v165, v1
	buffer_store_dword v2, off, s[0:3], 0 offset:40
	buffer_store_dword v1, off, s[0:3], 0 offset:44
	v_cmpx_lt_u32_e32 4, v0
	s_cbranch_execz .LBB121_353
; %bb.352:
	s_clause 0x1
	buffer_load_dword v1, off, s[0:3], 0 offset:32
	buffer_load_dword v2, off, s[0:3], 0 offset:36
	v_mov_b32_e32 v3, 0
	buffer_store_dword v3, off, s[0:3], 0 offset:32
	buffer_store_dword v3, off, s[0:3], 0 offset:36
	s_waitcnt vmcnt(0)
	ds_write_b64 v129, v[1:2]
.LBB121_353:
	s_or_b32 exec_lo, exec_lo, s4
	s_waitcnt lgkmcnt(0)
	s_waitcnt_vscnt null, 0x0
	s_barrier
	buffer_gl0_inv
	s_clause 0x3b
	buffer_load_dword v165, off, s[0:3], 0 offset:44
	buffer_load_dword v2, off, s[0:3], 0 offset:56
	;; [unrolled: 1-line block ×60, first 2 shown]
	v_mov_b32_e32 v1, 0
	ds_read2_b64 v[179:182], v1 offset0:63 offset1:64
	ds_read2_b64 v[183:186], v1 offset0:65 offset1:66
	;; [unrolled: 1-line block ×3, first 2 shown]
	s_mov_b32 s4, exec_lo
	s_waitcnt vmcnt(59) lgkmcnt(2)
	v_mul_f32_e32 v191, v179, v165
	v_mul_f32_e32 v192, v180, v165
	buffer_load_dword v165, off, s[0:3], 0 offset:36
	s_waitcnt vmcnt(56)
	v_mul_f32_e32 v193, v181, v6
	v_mul_f32_e32 v6, v182, v6
	v_fmac_f32_e32 v191, v180, v7
	v_fma_f32 v192, v179, v7, -v192
	s_waitcnt vmcnt(55) lgkmcnt(1)
	v_mul_f32_e32 v195, v183, v5
	v_fmac_f32_e32 v193, v182, v4
	v_fma_f32 v194, v181, v4, -v6
	v_mul_f32_e32 v179, v184, v5
	ds_read2_b64 v[4:7], v1 offset0:69 offset1:70
	v_fmac_f32_e32 v195, v184, v2
	s_waitcnt vmcnt(49) lgkmcnt(1)
	v_mul_f32_e32 v199, v187, v131
	v_mul_f32_e32 v197, v185, v3
	v_fma_f32 v196, v183, v2, -v179
	v_mul_f32_e32 v2, v186, v3
	ds_read2_b64 v[179:182], v1 offset0:71 offset1:72
	v_fmac_f32_e32 v199, v188, v12
	v_fmac_f32_e32 v197, v186, v132
	v_fma_f32 v198, v185, v132, -v2
	v_mul_f32_e32 v2, v188, v131
	ds_read2_b64 v[183:186], v1 offset0:73 offset1:74
	v_fma_f32 v12, v187, v12, -v2
	s_waitcnt vmcnt(48)
	v_mul_f32_e32 v187, v189, v130
	v_mul_f32_e32 v2, v190, v130
	s_waitcnt vmcnt(47) lgkmcnt(2)
	v_mul_f32_e32 v188, v4, v11
	v_fmac_f32_e32 v187, v190, v10
	v_fma_f32 v10, v189, v10, -v2
	v_mul_f32_e32 v2, v5, v11
	s_waitcnt vmcnt(46)
	v_mul_f32_e32 v189, v6, v9
	v_fmac_f32_e32 v188, v5, v8
	s_waitcnt vmcnt(41) lgkmcnt(1)
	v_mul_f32_e32 v190, v179, v139
	v_fma_f32 v11, v4, v8, -v2
	v_mul_f32_e32 v2, v7, v9
	v_fmac_f32_e32 v189, v7, v140
	v_fmac_f32_e32 v190, v180, v137
	s_waitcnt vmcnt(39) lgkmcnt(0)
	v_mul_f32_e32 v130, v184, v136
	v_fma_f32 v140, v6, v140, -v2
	v_mul_f32_e32 v6, v180, v139
	ds_read2_b64 v[2:5], v1 offset0:75 offset1:76
	v_mul_f32_e32 v139, v181, v138
	v_fma_f32 v137, v179, v137, -v6
	v_mul_f32_e32 v6, v182, v138
	v_fmac_f32_e32 v139, v182, v135
	v_mul_f32_e32 v138, v183, v136
	v_fma_f32 v136, v183, v133, -v130
	s_waitcnt vmcnt(38)
	v_mul_f32_e32 v179, v185, v134
	v_fma_f32 v135, v181, v135, -v6
	ds_read2_b64 v[6:9], v1 offset0:77 offset1:78
	v_mul_f32_e32 v130, v186, v134
	v_fmac_f32_e32 v138, v184, v133
	s_waitcnt vmcnt(34)
	v_fmac_f32_e32 v179, v186, v147
	v_fma_f32 v134, v185, v147, -v130
	ds_read2_b64 v[130:133], v1 offset0:79 offset1:80
	s_waitcnt vmcnt(33) lgkmcnt(2)
	v_mul_f32_e32 v147, v2, v146
	v_mul_f32_e32 v146, v3, v146
	v_fmac_f32_e32 v147, v3, v144
	v_fma_f32 v144, v2, v144, -v146
	s_waitcnt vmcnt(32)
	v_mul_f32_e32 v146, v4, v145
	v_mul_f32_e32 v2, v5, v145
	s_waitcnt vmcnt(31) lgkmcnt(1)
	v_mul_f32_e32 v145, v6, v143
	v_fmac_f32_e32 v146, v5, v142
	v_fma_f32 v142, v4, v142, -v2
	v_mul_f32_e32 v2, v7, v143
	s_waitcnt vmcnt(30)
	v_mul_f32_e32 v143, v8, v148
	v_mul_f32_e32 v148, v9, v148
	v_fmac_f32_e32 v145, v7, v141
	v_fma_f32 v141, v6, v141, -v2
	ds_read2_b64 v[2:5], v1 offset0:81 offset1:82
	s_waitcnt vmcnt(26)
	v_fmac_f32_e32 v143, v9, v156
	v_fma_f32 v148, v8, v156, -v148
	ds_read2_b64 v[6:9], v1 offset0:83 offset1:84
	s_waitcnt vmcnt(25) lgkmcnt(2)
	v_mul_f32_e32 v156, v130, v154
	v_mul_f32_e32 v154, v131, v154
	v_fmac_f32_e32 v156, v131, v152
	v_fma_f32 v130, v130, v152, -v154
	s_waitcnt vmcnt(24)
	v_mul_f32_e32 v131, v132, v153
	v_mul_f32_e32 v152, v133, v153
	buffer_load_dword v154, off, s[0:3], 0 offset:284
	v_fmac_f32_e32 v131, v133, v150
	v_fma_f32 v132, v132, v150, -v152
	buffer_load_dword v133, off, s[0:3], 0 offset:276
	s_waitcnt vmcnt(25) lgkmcnt(1)
	v_mul_f32_e32 v150, v2, v151
	v_mul_f32_e32 v151, v3, v151
	s_waitcnt vmcnt(24)
	v_mul_f32_e32 v152, v4, v155
	v_mul_f32_e32 v153, v5, v155
	v_fmac_f32_e32 v150, v3, v149
	v_fma_f32 v149, v2, v149, -v151
	s_waitcnt vmcnt(20)
	v_fmac_f32_e32 v152, v5, v164
	v_fma_f32 v151, v4, v164, -v153
	ds_read2_b64 v[2:5], v1 offset0:85 offset1:86
	s_waitcnt vmcnt(19) lgkmcnt(1)
	v_mul_f32_e32 v153, v6, v163
	v_mul_f32_e32 v155, v7, v163
	s_waitcnt vmcnt(18)
	v_mul_f32_e32 v163, v8, v162
	v_mul_f32_e32 v162, v9, v162
	buffer_load_dword v164, off, s[0:3], 0 offset:292
	v_fmac_f32_e32 v153, v7, v161
	v_fma_f32 v155, v6, v161, -v155
	v_add_f32_e32 v6, 0, v191
	v_add_f32_e32 v7, 0, v192
	v_fmac_f32_e32 v163, v9, v160
	v_fma_f32 v160, v8, v160, -v162
	s_clause 0x3
	buffer_load_dword v161, off, s[0:3], 0 offset:312
	buffer_load_dword v162, off, s[0:3], 0 offset:304
	;; [unrolled: 1-line block ×4, first 2 shown]
	v_add_f32_e32 v6, v6, v193
	v_add_f32_e32 v7, v7, v194
	s_clause 0x3
	buffer_load_dword v182, off, s[0:3], 0 offset:300
	buffer_load_dword v183, off, s[0:3], 0 offset:308
	;; [unrolled: 1-line block ×4, first 2 shown]
	v_add_f32_e32 v6, v6, v195
	v_add_f32_e32 v7, v7, v196
	s_waitcnt vmcnt(26) lgkmcnt(0)
	v_mul_f32_e32 v186, v2, v158
	v_mul_f32_e32 v8, v3, v158
	s_waitcnt vmcnt(25)
	v_mul_f32_e32 v158, v4, v159
	v_add_f32_e32 v6, v6, v197
	v_add_f32_e32 v7, v7, v198
	v_mul_f32_e32 v9, v5, v159
	v_fmac_f32_e32 v186, v3, v157
	v_fma_f32 v157, v2, v157, -v8
	v_add_f32_e32 v6, v6, v199
	v_add_f32_e32 v7, v7, v12
	s_waitcnt vmcnt(20)
	v_fmac_f32_e32 v158, v5, v173
	v_fma_f32 v159, v4, v173, -v9
	ds_read2_b64 v[2:5], v1 offset0:87 offset1:88
	v_add_f32_e32 v6, v6, v187
	v_add_f32_e32 v7, v7, v10
	s_clause 0x3
	buffer_load_dword v12, off, s[0:3], 0 offset:344
	buffer_load_dword v173, off, s[0:3], 0 offset:336
	;; [unrolled: 1-line block ×4, first 2 shown]
	v_add_f32_e32 v6, v6, v188
	v_add_f32_e32 v10, v7, v11
	s_clause 0x2
	buffer_load_dword v11, off, s[0:3], 0 offset:332
	buffer_load_dword v187, off, s[0:3], 0 offset:340
	;; [unrolled: 1-line block ×3, first 2 shown]
	v_add_f32_e32 v189, v6, v189
	v_add_f32_e32 v10, v10, v140
	ds_read2_b64 v[6:9], v1 offset0:89 offset1:90
	v_add_f32_e32 v189, v189, v190
	s_waitcnt vmcnt(26) lgkmcnt(1)
	v_mul_f32_e32 v140, v2, v171
	v_mul_f32_e32 v171, v3, v171
	s_waitcnt vmcnt(25)
	v_mul_f32_e32 v190, v4, v170
	v_mul_f32_e32 v170, v5, v170
	v_fmac_f32_e32 v140, v3, v169
	v_add_f32_e32 v3, v10, v137
	v_add_f32_e32 v10, v189, v139
	v_fma_f32 v137, v2, v169, -v171
	v_fmac_f32_e32 v190, v5, v168
	v_fma_f32 v139, v4, v168, -v170
	v_add_f32_e32 v2, v3, v135
	v_add_f32_e32 v3, v10, v138
	s_clause 0x7
	buffer_load_dword v168, off, s[0:3], 0 offset:356
	buffer_load_dword v169, off, s[0:3], 0 offset:364
	;; [unrolled: 1-line block ×8, first 2 shown]
	s_waitcnt lgkmcnt(0)
	v_mul_f32_e32 v4, v7, v167
	v_mul_f32_e32 v10, v6, v167
	v_add_f32_e32 v2, v2, v136
	v_add_f32_e32 v3, v3, v179
	s_clause 0x1
	buffer_load_dword v179, off, s[0:3], 0 offset:388
	buffer_load_dword v196, off, s[0:3], 0 offset:396
	v_fma_f32 v138, v6, v166, -v4
	s_clause 0x1
	buffer_load_dword v167, off, s[0:3], 0 offset:404
	buffer_load_dword v197, off, s[0:3], 0 offset:412
	v_add_f32_e32 v2, v2, v134
	v_add_f32_e32 v3, v3, v147
	v_fmac_f32_e32 v10, v7, v166
	s_clause 0x4
	buffer_load_dword v166, off, s[0:3], 0 offset:420
	buffer_load_dword v198, off, s[0:3], 0 offset:428
	;; [unrolled: 1-line block ×5, first 2 shown]
	v_add_f32_e32 v2, v2, v144
	v_add_f32_e32 v3, v3, v146
	;; [unrolled: 1-line block ×4, first 2 shown]
	s_waitcnt vmcnt(41)
	v_mul_f32_e32 v3, v9, v172
	v_mul_f32_e32 v142, v8, v172
	buffer_load_dword v172, off, s[0:3], 0 offset:460
	v_add_f32_e32 v7, v2, v141
	v_add_f32_e32 v6, v6, v143
	s_waitcnt vmcnt(38)
	v_fma_f32 v141, v8, v178, -v3
	ds_read2_b64 v[2:5], v1 offset0:91 offset1:92
	v_fmac_f32_e32 v142, v9, v178
	v_add_f32_e32 v7, v7, v148
	v_add_f32_e32 v6, v6, v156
	s_clause 0x3
	buffer_load_dword v156, off, s[0:3], 0 offset:408
	buffer_load_dword v178, off, s[0:3], 0 offset:400
	;; [unrolled: 1-line block ×4, first 2 shown]
	v_add_f32_e32 v7, v7, v130
	v_add_f32_e32 v6, v6, v131
	;; [unrolled: 1-line block ×4, first 2 shown]
	ds_read2_b64 v[6:9], v1 offset0:93 offset1:94
	v_add_f32_e32 v130, v130, v149
	v_add_f32_e32 v131, v131, v152
	s_waitcnt vmcnt(41) lgkmcnt(1)
	v_mul_f32_e32 v143, v2, v177
	v_mul_f32_e32 v132, v3, v177
	v_fmac_f32_e32 v143, v3, v176
	v_fma_f32 v144, v2, v176, -v132
	v_add_f32_e32 v2, v130, v151
	v_add_f32_e32 v3, v131, v153
	s_clause 0x3
	buffer_load_dword v150, off, s[0:3], 0 offset:440
	buffer_load_dword v151, off, s[0:3], 0 offset:432
	;; [unrolled: 1-line block ×4, first 2 shown]
	v_add_f32_e32 v2, v2, v155
	v_add_f32_e32 v3, v3, v163
	s_clause 0x1
	buffer_load_dword v155, off, s[0:3], 0 offset:456
	buffer_load_dword v163, off, s[0:3], 0 offset:448
	v_add_f32_e32 v2, v2, v160
	buffer_load_dword v160, off, s[0:3], 0 offset:32
	v_add_f32_e32 v3, v3, v186
	v_add_f32_e32 v131, v2, v157
	;; [unrolled: 1-line block ×14, first 2 shown]
	s_waitcnt vmcnt(46) lgkmcnt(0)
	v_mul_f32_e32 v147, v6, v154
	v_mul_f32_e32 v136, v7, v154
	s_waitcnt vmcnt(45)
	v_mul_f32_e32 v145, v4, v133
	v_mul_f32_e32 v130, v5, v133
	v_fmac_f32_e32 v147, v7, v174
	v_fma_f32 v149, v6, v174, -v136
	v_fmac_f32_e32 v145, v5, v175
	v_fma_f32 v146, v4, v175, -v130
	ds_read2_b64 v[2:5], v1 offset0:95 offset1:96
	ds_read2_b64 v[130:133], v1 offset0:97 offset1:98
	v_add_f32_e32 v10, v10, v145
	v_add_f32_e32 v146, v143, v146
	;; [unrolled: 1-line block ×3, first 2 shown]
	s_waitcnt vmcnt(44)
	v_mul_f32_e32 v148, v8, v164
	v_mul_f32_e32 v137, v9, v164
	v_add_f32_e32 v146, v146, v149
	s_waitcnt vmcnt(40)
	v_fmac_f32_e32 v148, v9, v181
	v_fma_f32 v154, v8, v181, -v137
	ds_read2_b64 v[6:9], v1 offset0:99 offset1:100
	ds_read2_b64 v[134:137], v1 offset0:101 offset1:102
	s_waitcnt vmcnt(39) lgkmcnt(3)
	v_mul_f32_e32 v140, v3, v182
	v_mul_f32_e32 v157, v2, v182
	s_waitcnt vmcnt(38)
	v_mul_f32_e32 v158, v4, v183
	v_mul_f32_e32 v139, v5, v183
	s_waitcnt vmcnt(37) lgkmcnt(2)
	v_mul_f32_e32 v159, v130, v184
	v_fma_f32 v174, v2, v180, -v140
	v_fmac_f32_e32 v157, v3, v180
	v_mul_f32_e32 v142, v131, v184
	v_fmac_f32_e32 v158, v5, v162
	v_fma_f32 v162, v4, v162, -v139
	s_waitcnt vmcnt(36)
	v_mul_f32_e32 v144, v133, v185
	v_fmac_f32_e32 v159, v131, v161
	v_fma_f32 v161, v130, v161, -v142
	v_mul_f32_e32 v164, v132, v185
	ds_read2_b64 v[2:5], v1 offset0:103 offset1:104
	ds_read2_b64 v[138:141], v1 offset0:105 offset1:106
	s_waitcnt vmcnt(32)
	v_fma_f32 v175, v132, v192, -v144
	v_fmac_f32_e32 v164, v133, v192
	ds_read2_b64 v[130:133], v1 offset0:107 offset1:108
	ds_read2_b64 v[142:145], v1 offset0:109 offset1:110
	s_waitcnt vmcnt(31) lgkmcnt(5)
	v_mul_f32_e32 v176, v6, v11
	v_mul_f32_e32 v11, v7, v11
	s_waitcnt vmcnt(30)
	v_mul_f32_e32 v177, v8, v187
	v_mul_f32_e32 v147, v9, v187
	s_waitcnt vmcnt(29) lgkmcnt(4)
	v_mul_f32_e32 v180, v135, v188
	v_fmac_f32_e32 v176, v7, v191
	v_add_f32_e32 v7, v10, v148
	v_add_f32_e32 v10, v146, v154
	v_fma_f32 v154, v6, v191, -v11
	v_fmac_f32_e32 v177, v9, v173
	v_fma_f32 v173, v8, v173, -v147
	v_add_f32_e32 v157, v7, v157
	v_add_f32_e32 v174, v10, v174
	ds_read2_b64 v[6:9], v1 offset0:111 offset1:112
	ds_read2_b64 v[146:149], v1 offset0:113 offset1:114
	ds_read_b64 v[10:11], v1 offset:920
	v_add_f32_e32 v157, v157, v158
	v_add_f32_e32 v162, v174, v162
	v_mul_f32_e32 v158, v134, v188
	s_waitcnt vmcnt(28)
	v_mul_f32_e32 v174, v136, v168
	v_add_f32_e32 v157, v157, v159
	v_add_f32_e32 v161, v162, v161
	v_fmac_f32_e32 v158, v135, v12
	v_mul_f32_e32 v168, v137, v168
	v_fma_f32 v12, v134, v12, -v180
	v_add_f32_e32 v135, v157, v164
	v_add_f32_e32 v161, v161, v175
	s_waitcnt vmcnt(27) lgkmcnt(6)
	v_mul_f32_e32 v159, v2, v169
	v_mul_f32_e32 v169, v3, v169
	s_waitcnt vmcnt(21)
	v_fma_f32 v136, v136, v195, -v168
	v_add_f32_e32 v135, v135, v176
	v_add_f32_e32 v154, v161, v154
	v_fmac_f32_e32 v174, v137, v195
	v_mul_f32_e32 v162, v4, v170
	v_mul_f32_e32 v170, v5, v170
	v_add_f32_e32 v135, v135, v177
	v_add_f32_e32 v154, v154, v173
	v_fmac_f32_e32 v159, v3, v194
	v_fma_f32 v2, v2, v194, -v169
	v_fma_f32 v4, v4, v193, -v170
	v_add_f32_e32 v135, v135, v158
	v_add_f32_e32 v12, v154, v12
	s_waitcnt lgkmcnt(5)
	v_mul_f32_e32 v134, v138, v171
	v_fmac_f32_e32 v162, v5, v193
	s_waitcnt vmcnt(20)
	v_mul_f32_e32 v5, v141, v179
	v_mul_f32_e32 v157, v140, v179
	v_add_f32_e32 v3, v12, v136
	v_add_f32_e32 v12, v135, v174
	v_mul_f32_e32 v135, v139, v171
	v_fmac_f32_e32 v134, v139, v189
	s_waitcnt vmcnt(19) lgkmcnt(4)
	v_mul_f32_e32 v164, v130, v196
	v_add_f32_e32 v2, v3, v2
	v_add_f32_e32 v3, v12, v159
	v_fma_f32 v12, v138, v189, -v135
	s_waitcnt vmcnt(18)
	v_mul_f32_e32 v137, v132, v167
	s_waitcnt vmcnt(8)
	v_fmac_f32_e32 v164, v131, v202
	v_add_f32_e32 v2, v2, v4
	v_add_f32_e32 v3, v3, v162
	v_mul_f32_e32 v4, v131, v196
	s_waitcnt vmcnt(7)
	v_fma_f32 v5, v140, v203, -v5
	v_fmac_f32_e32 v157, v141, v203
	v_add_f32_e32 v2, v2, v12
	v_add_f32_e32 v3, v3, v134
	v_mul_f32_e32 v12, v133, v167
	v_fma_f32 v4, v130, v202, -v4
	s_waitcnt lgkmcnt(3)
	v_mul_f32_e32 v168, v142, v197
	v_add_f32_e32 v2, v2, v5
	v_add_f32_e32 v3, v3, v157
	v_mul_f32_e32 v5, v143, v197
	v_fma_f32 v12, v132, v178, -v12
	v_fmac_f32_e32 v137, v133, v178
	v_add_f32_e32 v2, v2, v4
	v_add_f32_e32 v3, v3, v164
	v_mul_f32_e32 v4, v145, v166
	v_fma_f32 v5, v142, v156, -v5
	v_mul_f32_e32 v161, v144, v166
	v_add_f32_e32 v2, v2, v12
	v_fmac_f32_e32 v168, v143, v156
	v_add_f32_e32 v3, v3, v137
	s_waitcnt lgkmcnt(2)
	v_mul_f32_e32 v12, v7, v198
	v_mul_f32_e32 v175, v6, v198
	s_waitcnt vmcnt(3)
	v_fma_f32 v4, v144, v153, -v4
	v_add_f32_e32 v2, v2, v5
	v_fmac_f32_e32 v161, v145, v153
	v_add_f32_e32 v3, v3, v168
	v_mul_f32_e32 v5, v9, v199
	v_fma_f32 v6, v6, v152, -v12
	v_add_f32_e32 v2, v2, v4
	v_mul_f32_e32 v176, v8, v199
	v_fmac_f32_e32 v175, v7, v152
	v_add_f32_e32 v3, v3, v161
	s_waitcnt lgkmcnt(1)
	v_mul_f32_e32 v4, v147, v200
	v_fma_f32 v5, v8, v151, -v5
	v_add_f32_e32 v2, v2, v6
	v_mul_f32_e32 v173, v146, v200
	v_fmac_f32_e32 v176, v9, v151
	v_add_f32_e32 v3, v3, v175
	v_mul_f32_e32 v6, v149, v201
	v_fma_f32 v4, v146, v150, -v4
	v_add_f32_e32 v2, v2, v5
	v_mul_f32_e32 v177, v148, v201
	v_fmac_f32_e32 v173, v147, v150
	v_add_f32_e32 v3, v3, v176
	s_waitcnt lgkmcnt(0)
	v_mul_f32_e32 v5, v11, v172
	s_waitcnt vmcnt(1)
	v_fma_f32 v6, v148, v163, -v6
	v_add_f32_e32 v2, v2, v4
	v_mul_f32_e32 v154, v10, v172
	v_fmac_f32_e32 v177, v149, v163
	v_add_f32_e32 v3, v3, v173
	v_fma_f32 v4, v10, v155, -v5
	v_add_f32_e32 v2, v2, v6
	v_fmac_f32_e32 v154, v11, v155
	v_add_f32_e32 v3, v3, v177
	v_add_f32_e32 v2, v2, v4
	;; [unrolled: 1-line block ×3, first 2 shown]
	s_waitcnt vmcnt(0)
	v_sub_f32_e32 v2, v160, v2
	v_sub_f32_e32 v3, v165, v3
	buffer_store_dword v2, off, s[0:3], 0 offset:32
	buffer_store_dword v3, off, s[0:3], 0 offset:36
	v_cmpx_lt_u32_e32 3, v0
	s_cbranch_execz .LBB121_355
; %bb.354:
	s_clause 0x1
	buffer_load_dword v2, off, s[0:3], 0 offset:24
	buffer_load_dword v3, off, s[0:3], 0 offset:28
	buffer_store_dword v1, off, s[0:3], 0 offset:24
	buffer_store_dword v1, off, s[0:3], 0 offset:28
	s_waitcnt vmcnt(0)
	ds_write_b64 v129, v[2:3]
.LBB121_355:
	s_or_b32 exec_lo, exec_lo, s4
	s_waitcnt lgkmcnt(0)
	s_waitcnt_vscnt null, 0x0
	s_barrier
	buffer_gl0_inv
	s_clause 0x3c
	buffer_load_dword v9, off, s[0:3], 0 offset:36
	buffer_load_dword v10, off, s[0:3], 0 offset:44
	buffer_load_dword v2, off, s[0:3], 0 offset:48
	buffer_load_dword v5, off, s[0:3], 0 offset:40
	buffer_load_dword v6, off, s[0:3], 0 offset:32
	buffer_load_dword v4, off, s[0:3], 0 offset:52
	buffer_load_dword v3, off, s[0:3], 0 offset:60
	buffer_load_dword v137, off, s[0:3], 0 offset:80
	buffer_load_dword v151, off, s[0:3], 0 offset:72
	buffer_load_dword v158, off, s[0:3], 0 offset:64
	buffer_load_dword v165, off, s[0:3], 0 offset:56
	buffer_load_dword v164, off, s[0:3], 0 offset:68
	buffer_load_dword v162, off, s[0:3], 0 offset:76
	buffer_load_dword v156, off, s[0:3], 0 offset:84
	buffer_load_dword v154, off, s[0:3], 0 offset:92
	buffer_load_dword v133, off, s[0:3], 0 offset:112
	buffer_load_dword v146, off, s[0:3], 0 offset:104
	buffer_load_dword v152, off, s[0:3], 0 offset:96
	buffer_load_dword v163, off, s[0:3], 0 offset:88
	buffer_load_dword v161, off, s[0:3], 0 offset:100
	buffer_load_dword v160, off, s[0:3], 0 offset:108
	buffer_load_dword v150, off, s[0:3], 0 offset:116
	buffer_load_dword v148, off, s[0:3], 0 offset:124
	buffer_load_dword v11, off, s[0:3], 0 offset:144
	buffer_load_dword v139, off, s[0:3], 0 offset:136
	buffer_load_dword v144, off, s[0:3], 0 offset:128
	buffer_load_dword v159, off, s[0:3], 0 offset:120
	buffer_load_dword v157, off, s[0:3], 0 offset:132
	buffer_load_dword v155, off, s[0:3], 0 offset:140
	buffer_load_dword v143, off, s[0:3], 0 offset:148
	buffer_load_dword v141, off, s[0:3], 0 offset:156
	buffer_load_dword v8, off, s[0:3], 0 offset:176
	buffer_load_dword v134, off, s[0:3], 0 offset:168
	buffer_load_dword v138, off, s[0:3], 0 offset:160
	buffer_load_dword v153, off, s[0:3], 0 offset:152
	buffer_load_dword v149, off, s[0:3], 0 offset:164
	buffer_load_dword v147, off, s[0:3], 0 offset:172
	buffer_load_dword v136, off, s[0:3], 0 offset:180
	buffer_load_dword v135, off, s[0:3], 0 offset:188
	buffer_load_dword v7, off, s[0:3], 0 offset:208
	buffer_load_dword v12, off, s[0:3], 0 offset:200
	buffer_load_dword v132, off, s[0:3], 0 offset:192
	buffer_load_dword v145, off, s[0:3], 0 offset:184
	buffer_load_dword v142, off, s[0:3], 0 offset:196
	buffer_load_dword v140, off, s[0:3], 0 offset:204
	buffer_load_dword v131, off, s[0:3], 0 offset:212
	buffer_load_dword v130, off, s[0:3], 0 offset:220
	buffer_load_dword v167, off, s[0:3], 0 offset:240
	buffer_load_dword v168, off, s[0:3], 0 offset:232
	buffer_load_dword v171, off, s[0:3], 0 offset:224
	buffer_load_dword v174, off, s[0:3], 0 offset:216
	buffer_load_dword v173, off, s[0:3], 0 offset:228
	buffer_load_dword v172, off, s[0:3], 0 offset:236
	buffer_load_dword v170, off, s[0:3], 0 offset:244
	buffer_load_dword v169, off, s[0:3], 0 offset:252
	buffer_load_dword v166, off, s[0:3], 0 offset:272
	buffer_load_dword v183, off, s[0:3], 0 offset:264
	buffer_load_dword v184, off, s[0:3], 0 offset:256
	buffer_load_dword v185, off, s[0:3], 0 offset:248
	buffer_load_dword v186, off, s[0:3], 0 offset:260
	buffer_load_dword v187, off, s[0:3], 0 offset:268
	ds_read_b128 v[175:178], v1 offset:496
	ds_read_b128 v[179:182], v1 offset:512
	buffer_load_dword v190, off, s[0:3], 0 offset:28
	s_mov_b32 s4, exec_lo
	s_waitcnt vmcnt(61) lgkmcnt(1)
	v_mul_f32_e32 v188, v175, v9
	v_mul_f32_e32 v9, v176, v9
	s_waitcnt vmcnt(60)
	v_mul_f32_e32 v189, v177, v10
	v_mul_f32_e32 v10, v178, v10
	s_waitcnt vmcnt(57)
	v_fmac_f32_e32 v188, v176, v6
	v_fma_f32 v191, v175, v6, -v9
	v_fmac_f32_e32 v189, v178, v5
	v_fma_f32 v192, v177, v5, -v10
	ds_read_b128 v[175:178], v1 offset:528
	s_waitcnt vmcnt(56) lgkmcnt(1)
	v_mul_f32_e32 v193, v179, v4
	v_mul_f32_e32 v4, v180, v4
	s_waitcnt vmcnt(55)
	v_mul_f32_e32 v194, v181, v3
	v_mul_f32_e32 v3, v182, v3
	v_fmac_f32_e32 v193, v180, v2
	v_fma_f32 v179, v179, v2, -v4
	s_waitcnt vmcnt(51)
	v_fmac_f32_e32 v194, v182, v165
	v_fma_f32 v165, v181, v165, -v3
	ds_read_b128 v[2:5], v1 offset:544
	s_waitcnt vmcnt(50) lgkmcnt(1)
	v_mul_f32_e32 v180, v175, v164
	v_mul_f32_e32 v6, v176, v164
	s_waitcnt vmcnt(49)
	v_mul_f32_e32 v164, v177, v162
	v_mul_f32_e32 v9, v178, v162
	v_fmac_f32_e32 v180, v176, v158
	v_fma_f32 v158, v175, v158, -v6
	v_fmac_f32_e32 v164, v178, v151
	v_fma_f32 v151, v177, v151, -v9
	ds_read_b128 v[175:178], v1 offset:560
	s_waitcnt vmcnt(48) lgkmcnt(1)
	v_mul_f32_e32 v181, v2, v156
	v_mul_f32_e32 v6, v3, v156
	s_waitcnt vmcnt(47)
	v_mul_f32_e32 v182, v4, v154
	v_mul_f32_e32 v9, v5, v154
	v_fmac_f32_e32 v181, v3, v137
	v_fma_f32 v137, v2, v137, -v6
	s_waitcnt vmcnt(43)
	v_fmac_f32_e32 v182, v5, v163
	v_fma_f32 v195, v4, v163, -v9
	ds_read_b128 v[2:5], v1 offset:576
	s_waitcnt vmcnt(42) lgkmcnt(1)
	v_mul_f32_e32 v196, v175, v161
	v_mul_f32_e32 v6, v176, v161
	s_waitcnt vmcnt(41)
	v_mul_f32_e32 v197, v177, v160
	v_mul_f32_e32 v9, v178, v160
	ds_read_b128 v[160:163], v1 offset:592
	v_fmac_f32_e32 v196, v176, v152
	v_fma_f32 v152, v175, v152, -v6
	v_fmac_f32_e32 v197, v178, v146
	v_fma_f32 v175, v177, v146, -v9
	s_waitcnt vmcnt(40) lgkmcnt(1)
	v_mul_f32_e32 v176, v2, v150
	v_mul_f32_e32 v6, v3, v150
	s_waitcnt vmcnt(39)
	v_mul_f32_e32 v150, v4, v148
	v_mul_f32_e32 v9, v5, v148
	v_fmac_f32_e32 v176, v3, v133
	v_fma_f32 v133, v2, v133, -v6
	s_waitcnt vmcnt(35)
	v_fmac_f32_e32 v150, v5, v159
	v_fma_f32 v159, v4, v159, -v9
	ds_read_b128 v[2:5], v1 offset:608
	s_waitcnt vmcnt(34) lgkmcnt(1)
	v_mul_f32_e32 v177, v160, v157
	v_mul_f32_e32 v6, v161, v157
	s_waitcnt vmcnt(33)
	v_mul_f32_e32 v178, v162, v155
	v_mul_f32_e32 v9, v163, v155
	ds_read_b128 v[154:157], v1 offset:624
	v_fmac_f32_e32 v177, v161, v144
	v_fma_f32 v144, v160, v144, -v6
	v_fmac_f32_e32 v178, v163, v139
	v_fma_f32 v139, v162, v139, -v9
	;; [unrolled: 23-line block ×3, first 2 shown]
	s_waitcnt vmcnt(24) lgkmcnt(1)
	v_mul_f32_e32 v154, v2, v136
	v_mul_f32_e32 v6, v3, v136
	s_waitcnt vmcnt(23)
	v_mul_f32_e32 v136, v4, v135
	v_mul_f32_e32 v9, v5, v135
	v_fmac_f32_e32 v154, v3, v8
	v_fma_f32 v135, v2, v8, -v6
	s_waitcnt vmcnt(19)
	v_fmac_f32_e32 v136, v5, v145
	v_fma_f32 v145, v4, v145, -v9
	ds_read_b128 v[2:5], v1 offset:672
	s_waitcnt vmcnt(18) lgkmcnt(1)
	v_mul_f32_e32 v155, v146, v142
	v_mul_f32_e32 v6, v147, v142
	s_waitcnt vmcnt(17)
	v_mul_f32_e32 v142, v148, v140
	v_mul_f32_e32 v8, v149, v140
	v_fmac_f32_e32 v155, v147, v132
	v_fma_f32 v132, v146, v132, -v6
	v_fmac_f32_e32 v142, v149, v12
	v_fma_f32 v12, v148, v12, -v8
	ds_read_b128 v[8:11], v1 offset:688
	s_waitcnt vmcnt(16) lgkmcnt(1)
	v_mul_f32_e32 v140, v2, v131
	v_mul_f32_e32 v6, v3, v131
	s_waitcnt vmcnt(15)
	v_mul_f32_e32 v131, v4, v130
	v_mul_f32_e32 v130, v5, v130
	v_fmac_f32_e32 v140, v3, v7
	v_fma_f32 v146, v2, v7, -v6
	s_waitcnt vmcnt(11)
	v_fmac_f32_e32 v131, v5, v174
	v_fma_f32 v130, v4, v174, -v130
	ds_read_b128 v[2:5], v1 offset:704
	s_waitcnt vmcnt(10) lgkmcnt(1)
	v_mul_f32_e32 v147, v8, v173
	v_mul_f32_e32 v6, v9, v173
	s_waitcnt vmcnt(9)
	v_mul_f32_e32 v7, v11, v172
	v_mul_f32_e32 v148, v10, v172
	buffer_load_dword v172, off, s[0:3], 0 offset:284
	v_fmac_f32_e32 v147, v9, v171
	v_fma_f32 v149, v8, v171, -v6
	v_fma_f32 v10, v10, v168, -v7
	ds_read_b128 v[6:9], v1 offset:720
	v_fmac_f32_e32 v148, v11, v168
	buffer_load_dword v11, off, s[0:3], 0 offset:276
	s_waitcnt vmcnt(10) lgkmcnt(1)
	v_mul_f32_e32 v156, v2, v170
	v_mul_f32_e32 v157, v3, v170
	s_waitcnt vmcnt(9)
	v_mul_f32_e32 v163, v4, v169
	v_mul_f32_e32 v168, v5, v169
	v_fmac_f32_e32 v156, v3, v167
	v_fma_f32 v157, v2, v167, -v157
	s_waitcnt vmcnt(5)
	v_fmac_f32_e32 v163, v5, v185
	v_fma_f32 v167, v4, v185, -v168
	ds_read_b128 v[2:5], v1 offset:736
	s_waitcnt vmcnt(4) lgkmcnt(1)
	v_mul_f32_e32 v168, v6, v186
	v_mul_f32_e32 v169, v7, v186
	s_waitcnt vmcnt(3)
	v_mul_f32_e32 v170, v8, v187
	v_mul_f32_e32 v171, v9, v187
	v_fmac_f32_e32 v168, v7, v184
	v_fma_f32 v169, v6, v184, -v169
	v_fmac_f32_e32 v170, v9, v183
	v_fma_f32 v171, v8, v183, -v171
	s_clause 0x4
	buffer_load_dword v173, off, s[0:3], 0 offset:304
	buffer_load_dword v174, off, s[0:3], 0 offset:296
	;; [unrolled: 1-line block ×5, first 2 shown]
	v_add_f32_e32 v7, 0, v188
	v_add_f32_e32 v6, 0, v191
	s_clause 0x1
	buffer_load_dword v186, off, s[0:3], 0 offset:300
	buffer_load_dword v187, off, s[0:3], 0 offset:308
	v_add_f32_e32 v7, v7, v189
	v_add_f32_e32 v6, v6, v192
	;; [unrolled: 1-line block ×4, first 2 shown]
	s_clause 0x1
	buffer_load_dword v179, off, s[0:3], 0 offset:316
	buffer_load_dword v188, off, s[0:3], 0 offset:324
	v_add_f32_e32 v7, v7, v194
	v_add_f32_e32 v6, v6, v165
	;; [unrolled: 1-line block ×4, first 2 shown]
	s_clause 0x3
	buffer_load_dword v158, off, s[0:3], 0 offset:336
	buffer_load_dword v165, off, s[0:3], 0 offset:328
	;; [unrolled: 1-line block ×4, first 2 shown]
	v_add_f32_e32 v7, v7, v164
	v_add_f32_e32 v6, v6, v151
	s_clause 0x2
	buffer_load_dword v151, off, s[0:3], 0 offset:332
	buffer_load_dword v164, off, s[0:3], 0 offset:340
	;; [unrolled: 1-line block ×3, first 2 shown]
	v_add_f32_e32 v7, v7, v181
	v_add_f32_e32 v6, v6, v137
	;; [unrolled: 1-line block ×6, first 2 shown]
	s_clause 0x4
	buffer_load_dword v152, off, s[0:3], 0 offset:368
	buffer_load_dword v181, off, s[0:3], 0 offset:360
	;; [unrolled: 1-line block ×5, first 2 shown]
	v_add_f32_e32 v7, v7, v197
	v_add_f32_e32 v6, v6, v175
	buffer_load_dword v175, off, s[0:3], 0 offset:356
	v_add_f32_e32 v7, v7, v176
	v_add_f32_e32 v6, v6, v133
	buffer_load_dword v176, off, s[0:3], 0 offset:372
	v_add_f32_e32 v7, v7, v150
	v_add_f32_e32 v6, v6, v159
	s_clause 0x4
	buffer_load_dword v159, off, s[0:3], 0 offset:380
	buffer_load_dword v194, off, s[0:3], 0 offset:388
	;; [unrolled: 1-line block ×5, first 2 shown]
	v_add_f32_e32 v7, v7, v177
	v_add_f32_e32 v6, v6, v144
	s_clause 0x3
	buffer_load_dword v177, off, s[0:3], 0 offset:420
	buffer_load_dword v197, off, s[0:3], 0 offset:428
	;; [unrolled: 1-line block ×4, first 2 shown]
	v_add_f32_e32 v7, v7, v178
	v_add_f32_e32 v6, v6, v139
	buffer_load_dword v178, off, s[0:3], 0 offset:444
	v_add_f32_e32 v7, v7, v160
	v_add_f32_e32 v6, v6, v141
	buffer_load_dword v160, off, s[0:3], 0 offset:460
	v_add_f32_e32 v7, v7, v143
	v_add_f32_e32 v6, v6, v153
	;; [unrolled: 1-line block ×3, first 2 shown]
	s_clause 0x3
	buffer_load_dword v153, off, s[0:3], 0 offset:400
	buffer_load_dword v161, off, s[0:3], 0 offset:392
	;; [unrolled: 1-line block ×4, first 2 shown]
	v_add_f32_e32 v6, v6, v138
	v_add_f32_e32 v7, v7, v162
	;; [unrolled: 1-line block ×4, first 2 shown]
	s_clause 0x6
	buffer_load_dword v154, off, s[0:3], 0 offset:432
	buffer_load_dword v162, off, s[0:3], 0 offset:424
	;; [unrolled: 1-line block ×7, first 2 shown]
	v_add_f32_e32 v6, v6, v135
	v_add_f32_e32 v7, v7, v136
	;; [unrolled: 1-line block ×4, first 2 shown]
	buffer_load_dword v155, off, s[0:3], 0 offset:24
	v_add_f32_e32 v6, v6, v132
	v_add_f32_e32 v7, v7, v142
	;; [unrolled: 1-line block ×3, first 2 shown]
	s_waitcnt vmcnt(46) lgkmcnt(0)
	v_mul_f32_e32 v12, v2, v11
	v_mul_f32_e32 v8, v3, v11
	v_fmac_f32_e32 v12, v3, v166
	v_fma_f32 v11, v2, v166, -v8
	v_add_f32_e32 v2, v6, v146
	v_add_f32_e32 v3, v7, v140
	ds_read_b128 v[6:9], v1 offset:752
	v_mul_f32_e32 v146, v4, v172
	v_add_f32_e32 v130, v2, v130
	v_mul_f32_e32 v2, v5, v172
	v_add_f32_e32 v131, v3, v131
	v_add_f32_e32 v134, v130, v149
	;; [unrolled: 1-line block ×3, first 2 shown]
	ds_read_b128 v[130:133], v1 offset:784
	v_add_f32_e32 v10, v134, v10
	v_add_f32_e32 v135, v135, v148
	s_waitcnt vmcnt(42)
	v_fmac_f32_e32 v146, v5, v184
	v_fma_f32 v166, v4, v184, -v2
	ds_read_b128 v[2:5], v1 offset:768
	s_waitcnt vmcnt(41) lgkmcnt(2)
	v_mul_f32_e32 v134, v7, v185
	v_mul_f32_e32 v147, v6, v185
	v_add_f32_e32 v10, v10, v157
	s_waitcnt vmcnt(40)
	v_mul_f32_e32 v138, v9, v186
	v_fma_f32 v148, v6, v183, -v134
	v_add_f32_e32 v6, v135, v156
	v_fmac_f32_e32 v147, v7, v183
	v_add_f32_e32 v7, v10, v167
	v_mul_f32_e32 v10, v8, v186
	ds_read_b128 v[134:137], v1 offset:800
	v_add_f32_e32 v6, v6, v163
	v_fma_f32 v149, v8, v174, -v138
	v_add_f32_e32 v7, v7, v169
	v_fmac_f32_e32 v10, v9, v174
	s_waitcnt vmcnt(37) lgkmcnt(2)
	v_mul_f32_e32 v143, v131, v188
	v_add_f32_e32 v6, v6, v168
	v_mul_f32_e32 v163, v130, v188
	s_waitcnt lgkmcnt(1)
	v_mul_f32_e32 v139, v3, v187
	v_mul_f32_e32 v156, v2, v187
	;; [unrolled: 1-line block ×4, first 2 shown]
	s_waitcnt vmcnt(34)
	v_fma_f32 v169, v130, v189, -v143
	v_fma_f32 v167, v2, v173, -v139
	v_add_f32_e32 v2, v7, v171
	v_fmac_f32_e32 v156, v3, v173
	v_add_f32_e32 v3, v6, v170
	s_waitcnt vmcnt(33)
	v_fma_f32 v168, v4, v191, -v142
	ds_read_b128 v[6:9], v1 offset:816
	ds_read_b128 v[138:141], v1 offset:832
	v_add_f32_e32 v11, v2, v11
	v_fmac_f32_e32 v157, v5, v191
	v_add_f32_e32 v12, v3, v12
	s_waitcnt vmcnt(32)
	v_mul_f32_e32 v130, v133, v151
	v_fmac_f32_e32 v163, v131, v189
	v_add_f32_e32 v11, v11, v166
	v_mul_f32_e32 v166, v132, v151
	v_add_f32_e32 v12, v12, v146
	s_waitcnt vmcnt(31) lgkmcnt(2)
	v_mul_f32_e32 v151, v134, v164
	v_mul_f32_e32 v131, v135, v164
	v_add_f32_e32 v11, v11, v148
	v_fmac_f32_e32 v166, v133, v165
	v_add_f32_e32 v12, v12, v147
	v_fma_f32 v165, v132, v165, -v130
	s_waitcnt vmcnt(30)
	v_mul_f32_e32 v164, v137, v180
	v_add_f32_e32 v11, v11, v149
	v_fmac_f32_e32 v151, v135, v158
	v_add_f32_e32 v10, v12, v10
	v_fma_f32 v158, v134, v158, -v131
	v_mul_f32_e32 v170, v136, v180
	v_add_f32_e32 v11, v11, v167
	s_waitcnt vmcnt(26)
	v_fma_f32 v164, v136, v192, -v164
	v_add_f32_e32 v10, v10, v156
	s_waitcnt vmcnt(24) lgkmcnt(1)
	v_mul_f32_e32 v12, v7, v175
	ds_read_b128 v[2:5], v1 offset:848
	ds_read_b128 v[142:145], v1 offset:864
	v_add_f32_e32 v11, v11, v168
	ds_read_b128 v[130:133], v1 offset:880
	ds_read_b128 v[146:149], v1 offset:896
	v_add_f32_e32 v10, v10, v157
	v_fmac_f32_e32 v170, v137, v192
	ds_read_b128 v[134:137], v1 offset:912
	v_add_f32_e32 v11, v11, v169
	v_mul_f32_e32 v1, v6, v175
	v_add_f32_e32 v10, v10, v163
	v_mul_f32_e32 v167, v9, v193
	v_fma_f32 v6, v6, v182, -v12
	v_add_f32_e32 v11, v11, v165
	v_mul_f32_e32 v156, v8, v193
	v_add_f32_e32 v10, v10, v166
	v_fmac_f32_e32 v1, v7, v182
	s_waitcnt vmcnt(23) lgkmcnt(5)
	v_mul_f32_e32 v12, v139, v176
	v_add_f32_e32 v11, v11, v158
	v_fma_f32 v8, v8, v181, -v167
	v_add_f32_e32 v10, v10, v151
	v_mul_f32_e32 v168, v138, v176
	v_fmac_f32_e32 v156, v9, v181
	v_add_f32_e32 v11, v11, v164
	s_waitcnt vmcnt(22)
	v_mul_f32_e32 v9, v141, v159
	v_add_f32_e32 v10, v10, v170
	v_mul_f32_e32 v157, v140, v159
	v_fmac_f32_e32 v168, v139, v152
	v_add_f32_e32 v6, v11, v6
	s_waitcnt vmcnt(21) lgkmcnt(4)
	v_mul_f32_e32 v171, v2, v194
	v_add_f32_e32 v1, v10, v1
	v_fma_f32 v10, v138, v152, -v12
	s_waitcnt vmcnt(8)
	v_fma_f32 v9, v140, v201, -v9
	v_add_f32_e32 v6, v6, v8
	v_mul_f32_e32 v8, v3, v194
	v_add_f32_e32 v1, v1, v156
	v_fmac_f32_e32 v157, v141, v201
	v_fmac_f32_e32 v171, v3, v200
	v_add_f32_e32 v6, v6, v10
	v_mul_f32_e32 v10, v5, v150
	v_add_f32_e32 v1, v1, v168
	v_fma_f32 v2, v2, v200, -v8
	v_mul_f32_e32 v169, v4, v150
	v_add_f32_e32 v3, v6, v9
	s_waitcnt lgkmcnt(3)
	v_mul_f32_e32 v6, v143, v195
	v_add_f32_e32 v1, v1, v157
	v_fma_f32 v4, v4, v161, -v10
	v_mul_f32_e32 v163, v142, v195
	v_add_f32_e32 v2, v3, v2
	v_fmac_f32_e32 v169, v5, v161
	v_add_f32_e32 v1, v1, v171
	v_mul_f32_e32 v3, v145, v196
	v_fma_f32 v5, v142, v153, -v6
	v_add_f32_e32 v2, v2, v4
	v_mul_f32_e32 v172, v144, v196
	v_fmac_f32_e32 v163, v143, v153
	v_add_f32_e32 v1, v1, v169
	s_waitcnt lgkmcnt(2)
	v_mul_f32_e32 v4, v131, v177
	s_waitcnt vmcnt(4)
	v_fma_f32 v3, v144, v203, -v3
	v_add_f32_e32 v2, v2, v5
	v_mul_f32_e32 v165, v130, v177
	v_fmac_f32_e32 v172, v145, v203
	v_add_f32_e32 v1, v1, v163
	v_mul_f32_e32 v5, v133, v197
	v_fma_f32 v4, v130, v202, -v4
	v_add_f32_e32 v2, v2, v3
	v_mul_f32_e32 v166, v132, v197
	v_fmac_f32_e32 v165, v131, v202
	v_add_f32_e32 v1, v1, v172
	s_waitcnt lgkmcnt(1)
	v_mul_f32_e32 v3, v147, v198
	v_fma_f32 v5, v132, v162, -v5
	v_add_f32_e32 v2, v2, v4
	v_mul_f32_e32 v173, v146, v198
	v_fmac_f32_e32 v166, v133, v162
	v_add_f32_e32 v1, v1, v165
	v_mul_f32_e32 v4, v149, v178
	v_fma_f32 v3, v146, v154, -v3
	v_add_f32_e32 v2, v2, v5
	v_mul_f32_e32 v158, v148, v178
	v_fmac_f32_e32 v173, v147, v154
	v_add_f32_e32 v1, v1, v166
	s_waitcnt lgkmcnt(0)
	v_mul_f32_e32 v5, v135, v199
	s_waitcnt vmcnt(1)
	v_fma_f32 v4, v148, v206, -v4
	v_add_f32_e32 v2, v2, v3
	v_mul_f32_e32 v151, v134, v199
	v_fmac_f32_e32 v158, v149, v206
	v_add_f32_e32 v1, v1, v173
	v_mul_f32_e32 v3, v137, v160
	v_fma_f32 v5, v134, v205, -v5
	v_add_f32_e32 v2, v2, v4
	v_mul_f32_e32 v7, v136, v160
	v_fmac_f32_e32 v151, v135, v205
	v_add_f32_e32 v1, v1, v158
	v_fma_f32 v3, v136, v204, -v3
	v_add_f32_e32 v2, v2, v5
	v_fmac_f32_e32 v7, v137, v204
	v_add_f32_e32 v1, v1, v151
	v_add_f32_e32 v2, v2, v3
	;; [unrolled: 1-line block ×3, first 2 shown]
	s_waitcnt vmcnt(0)
	v_sub_f32_e32 v2, v155, v2
	v_sub_f32_e32 v1, v190, v1
	buffer_store_dword v2, off, s[0:3], 0 offset:24
	buffer_store_dword v1, off, s[0:3], 0 offset:28
	v_cmpx_lt_u32_e32 2, v0
	s_cbranch_execz .LBB121_357
; %bb.356:
	s_clause 0x1
	buffer_load_dword v1, off, s[0:3], 0 offset:16
	buffer_load_dword v2, off, s[0:3], 0 offset:20
	v_mov_b32_e32 v3, 0
	buffer_store_dword v3, off, s[0:3], 0 offset:16
	buffer_store_dword v3, off, s[0:3], 0 offset:20
	s_waitcnt vmcnt(0)
	ds_write_b64 v129, v[1:2]
.LBB121_357:
	s_or_b32 exec_lo, exec_lo, s4
	s_waitcnt lgkmcnt(0)
	s_waitcnt_vscnt null, 0x0
	s_barrier
	buffer_gl0_inv
	s_clause 0x3c
	buffer_load_dword v2, off, s[0:3], 0 offset:28
	buffer_load_dword v3, off, s[0:3], 0 offset:36
	;; [unrolled: 1-line block ×61, first 2 shown]
	v_mov_b32_e32 v1, 0
	ds_read2_b64 v[178:181], v1 offset0:61 offset1:62
	ds_read2_b64 v[182:185], v1 offset0:63 offset1:64
	buffer_load_dword v176, off, s[0:3], 0 offset:20
	s_mov_b32 s4, exec_lo
	s_waitcnt vmcnt(61) lgkmcnt(1)
	v_mul_f32_e32 v189, v178, v2
	v_mul_f32_e32 v2, v179, v2
	s_waitcnt vmcnt(60)
	v_mul_f32_e32 v190, v180, v3
	v_mul_f32_e32 v3, v181, v3
	s_waitcnt vmcnt(59) lgkmcnt(0)
	v_mul_f32_e32 v191, v182, v4
	v_mul_f32_e32 v192, v183, v4
	s_waitcnt vmcnt(58)
	v_mul_f32_e32 v193, v184, v5
	v_mul_f32_e32 v194, v185, v5
	s_waitcnt vmcnt(55)
	v_fmac_f32_e32 v189, v179, v8
	v_fma_f32 v8, v178, v8, -v2
	v_fmac_f32_e32 v190, v181, v7
	v_fma_f32 v7, v180, v7, -v3
	ds_read2_b64 v[2:5], v1 offset0:65 offset1:66
	ds_read2_b64 v[178:181], v1 offset0:67 offset1:68
	v_fmac_f32_e32 v191, v183, v6
	v_fma_f32 v6, v182, v6, -v192
	s_waitcnt vmcnt(51)
	v_fma_f32 v182, v184, v160, -v194
	v_fmac_f32_e32 v193, v185, v160
	v_add_f32_e32 v8, 0, v8
	v_add_f32_e32 v7, v8, v7
	;; [unrolled: 1-line block ×3, first 2 shown]
	s_waitcnt vmcnt(50) lgkmcnt(1)
	v_mul_f32_e32 v183, v2, v157
	v_mul_f32_e32 v157, v3, v157
	s_waitcnt vmcnt(49)
	v_mul_f32_e32 v184, v4, v155
	v_mul_f32_e32 v155, v5, v155
	s_waitcnt vmcnt(48) lgkmcnt(0)
	v_mul_f32_e32 v185, v178, v152
	v_fmac_f32_e32 v183, v3, v139
	v_fma_f32 v139, v2, v139, -v157
	v_fmac_f32_e32 v184, v5, v135
	v_fma_f32 v155, v4, v135, -v155
	ds_read2_b64 v[2:5], v1 offset0:69 offset1:70
	v_mul_f32_e32 v152, v179, v152
	s_waitcnt vmcnt(47)
	v_mul_f32_e32 v192, v180, v150
	v_mul_f32_e32 v150, v181, v150
	v_fmac_f32_e32 v185, v179, v130
	v_fma_f32 v130, v178, v130, -v152
	s_waitcnt vmcnt(43)
	v_fmac_f32_e32 v192, v181, v165
	v_fma_f32 v157, v180, v165, -v150
	ds_read2_b64 v[178:181], v1 offset0:71 offset1:72
	s_waitcnt vmcnt(42) lgkmcnt(1)
	v_mul_f32_e32 v165, v2, v164
	v_mul_f32_e32 v135, v3, v164
	s_waitcnt vmcnt(41)
	v_mul_f32_e32 v164, v4, v163
	v_mul_f32_e32 v150, v5, v163
	v_fmac_f32_e32 v165, v3, v145
	v_fma_f32 v145, v2, v145, -v135
	v_fmac_f32_e32 v164, v5, v142
	v_fma_f32 v142, v4, v142, -v150
	ds_read2_b64 v[2:5], v1 offset0:73 offset1:74
	s_waitcnt vmcnt(40) lgkmcnt(1)
	v_mul_f32_e32 v163, v178, v161
	s_waitcnt vmcnt(39)
	v_mul_f32_e32 v194, v180, v159
	v_mul_f32_e32 v159, v181, v159
	;; [unrolled: 1-line block ×3, first 2 shown]
	v_fmac_f32_e32 v163, v179, v136
	s_waitcnt vmcnt(35)
	v_fmac_f32_e32 v194, v181, v162
	v_fma_f32 v179, v180, v162, -v159
	ds_read2_b64 v[159:162], v1 offset0:75 offset1:76
	v_fma_f32 v178, v178, v136, -v152
	s_waitcnt vmcnt(34) lgkmcnt(1)
	v_mul_f32_e32 v180, v2, v158
	v_mul_f32_e32 v135, v3, v158
	s_waitcnt vmcnt(33)
	v_mul_f32_e32 v158, v4, v156
	v_mul_f32_e32 v136, v5, v156
	v_fmac_f32_e32 v180, v3, v140
	v_fma_f32 v140, v2, v140, -v135
	v_fmac_f32_e32 v158, v5, v137
	v_fma_f32 v195, v4, v137, -v136
	ds_read2_b64 v[2:5], v1 offset0:77 offset1:78
	s_waitcnt vmcnt(32) lgkmcnt(1)
	v_mul_f32_e32 v156, v159, v153
	v_mul_f32_e32 v150, v160, v153
	s_waitcnt vmcnt(31)
	v_mul_f32_e32 v181, v161, v151
	v_mul_f32_e32 v151, v162, v151
	v_fmac_f32_e32 v156, v160, v131
	v_fma_f32 v131, v159, v131, -v150
	s_waitcnt vmcnt(27)
	v_fmac_f32_e32 v181, v162, v154
	v_fma_f32 v154, v161, v154, -v151
	ds_read2_b64 v[150:153], v1 offset0:79 offset1:80
	s_waitcnt vmcnt(26) lgkmcnt(1)
	v_mul_f32_e32 v159, v2, v149
	v_mul_f32_e32 v135, v3, v149
	s_waitcnt vmcnt(25)
	v_mul_f32_e32 v149, v4, v148
	v_mul_f32_e32 v136, v5, v148
	v_fmac_f32_e32 v159, v3, v134
	v_fma_f32 v160, v2, v134, -v135
	v_fmac_f32_e32 v149, v5, v132
	v_fma_f32 v132, v4, v132, -v136
	ds_read2_b64 v[2:5], v1 offset0:81 offset1:82
	s_waitcnt vmcnt(24) lgkmcnt(1)
	v_mul_f32_e32 v148, v150, v146
	v_mul_f32_e32 v137, v151, v146
	s_waitcnt vmcnt(23)
	v_mul_f32_e32 v146, v152, v144
	v_mul_f32_e32 v144, v153, v144
	v_fmac_f32_e32 v148, v151, v10
	v_fma_f32 v10, v150, v10, -v137
	ds_read2_b64 v[134:137], v1 offset0:83 offset1:84
	s_waitcnt vmcnt(19)
	v_fmac_f32_e32 v146, v153, v147
	v_fma_f32 v144, v152, v147, -v144
	buffer_load_dword v147, off, s[0:3], 0 offset:268
	s_waitcnt vmcnt(18) lgkmcnt(1)
	v_mul_f32_e32 v151, v4, v141
	v_mul_f32_e32 v141, v5, v141
	;; [unrolled: 1-line block ×4, first 2 shown]
	v_fmac_f32_e32 v151, v5, v11
	v_fma_f32 v11, v4, v11, -v141
	s_clause 0x4
	buffer_load_dword v141, off, s[0:3], 0 offset:276
	buffer_load_dword v153, off, s[0:3], 0 offset:296
	;; [unrolled: 1-line block ×5, first 2 shown]
	s_waitcnt vmcnt(22) lgkmcnt(0)
	v_mul_f32_e32 v152, v134, v138
	v_mul_f32_e32 v138, v135, v138
	v_fmac_f32_e32 v150, v3, v133
	v_fma_f32 v133, v2, v133, -v143
	s_waitcnt vmcnt(21)
	v_mul_f32_e32 v2, v137, v12
	v_mul_f32_e32 v143, v136, v12
	v_fmac_f32_e32 v152, v135, v9
	v_fma_f32 v12, v134, v9, -v138
	v_add_f32_e32 v9, 0, v189
	s_waitcnt vmcnt(17)
	v_fma_f32 v134, v136, v174, -v2
	ds_read2_b64 v[2:5], v1 offset0:85 offset1:86
	buffer_load_dword v135, off, s[0:3], 0 offset:284
	v_add_f32_e32 v136, v6, v182
	v_add_f32_e32 v8, v9, v190
	v_fmac_f32_e32 v143, v137, v174
	s_clause 0x2
	buffer_load_dword v138, off, s[0:3], 0 offset:292
	buffer_load_dword v174, off, s[0:3], 0 offset:300
	;; [unrolled: 1-line block ×3, first 2 shown]
	v_add_f32_e32 v136, v136, v139
	v_add_f32_e32 v7, v8, v191
	v_add_f32_e32 v136, v136, v155
	v_add_f32_e32 v137, v7, v193
	ds_read2_b64 v[6:9], v1 offset0:87 offset1:88
	buffer_load_dword v155, off, s[0:3], 0 offset:316
	v_add_f32_e32 v137, v137, v183
	s_waitcnt vmcnt(21) lgkmcnt(1)
	v_mul_f32_e32 v139, v2, v173
	v_mul_f32_e32 v173, v3, v173
	s_waitcnt vmcnt(20)
	v_mul_f32_e32 v183, v4, v172
	v_mul_f32_e32 v172, v5, v172
	v_fmac_f32_e32 v139, v3, v171
	v_fma_f32 v171, v2, v171, -v173
	v_add_f32_e32 v2, v137, v184
	v_fmac_f32_e32 v183, v5, v170
	v_fma_f32 v170, v4, v170, -v172
	s_clause 0x3
	buffer_load_dword v172, off, s[0:3], 0 offset:328
	buffer_load_dword v173, off, s[0:3], 0 offset:320
	;; [unrolled: 1-line block ×4, first 2 shown]
	v_add_f32_e32 v3, v136, v130
	v_add_f32_e32 v2, v2, v185
	s_waitcnt vmcnt(23) lgkmcnt(0)
	v_mul_f32_e32 v137, v6, v168
	v_add_f32_e32 v130, v3, v157
	s_clause 0x2
	buffer_load_dword v157, off, s[0:3], 0 offset:324
	buffer_load_dword v185, off, s[0:3], 0 offset:332
	;; [unrolled: 1-line block ×3, first 2 shown]
	v_add_f32_e32 v136, v2, v192
	ds_read2_b64 v[2:5], v1 offset0:89 offset1:90
	v_fmac_f32_e32 v137, v7, v166
	v_add_f32_e32 v130, v130, v145
	v_mul_f32_e32 v145, v7, v168
	v_add_f32_e32 v136, v136, v165
	s_waitcnt vmcnt(25)
	v_mul_f32_e32 v165, v8, v167
	v_mul_f32_e32 v167, v9, v167
	v_add_f32_e32 v7, v130, v142
	v_fma_f32 v142, v6, v166, -v145
	v_add_f32_e32 v6, v136, v164
	s_waitcnt vmcnt(21)
	v_fmac_f32_e32 v165, v9, v187
	v_fma_f32 v145, v8, v187, -v167
	v_add_f32_e32 v130, v7, v178
	s_clause 0x4
	buffer_load_dword v164, off, s[0:3], 0 offset:360
	buffer_load_dword v166, off, s[0:3], 0 offset:352
	;; [unrolled: 1-line block ×5, first 2 shown]
	v_add_f32_e32 v136, v6, v163
	ds_read2_b64 v[6:9], v1 offset0:91 offset1:92
	v_add_f32_e32 v130, v130, v179
	v_add_f32_e32 v136, v136, v194
	s_waitcnt vmcnt(25) lgkmcnt(1)
	v_mul_f32_e32 v179, v3, v188
	v_mul_f32_e32 v163, v2, v188
	v_add_f32_e32 v130, v130, v140
	s_clause 0x2
	buffer_load_dword v187, off, s[0:3], 0 offset:356
	buffer_load_dword v188, off, s[0:3], 0 offset:364
	;; [unrolled: 1-line block ×3, first 2 shown]
	v_fma_f32 v140, v2, v186, -v179
	v_add_f32_e32 v2, v136, v180
	v_fmac_f32_e32 v163, v3, v186
	v_add_f32_e32 v3, v130, v195
	s_waitcnt vmcnt(27)
	v_mul_f32_e32 v179, v4, v177
	s_clause 0x1
	buffer_load_dword v180, off, s[0:3], 0 offset:380
	buffer_load_dword v186, off, s[0:3], 0 offset:388
	v_add_f32_e32 v2, v2, v158
	v_mul_f32_e32 v130, v5, v177
	v_add_f32_e32 v3, v3, v131
	s_clause 0x2
	buffer_load_dword v158, off, s[0:3], 0 offset:396
	buffer_load_dword v177, off, s[0:3], 0 offset:404
	;; [unrolled: 1-line block ×3, first 2 shown]
	v_add_f32_e32 v2, v2, v156
	v_fmac_f32_e32 v179, v5, v175
	v_add_f32_e32 v3, v3, v154
	s_clause 0x2
	buffer_load_dword v154, off, s[0:3], 0 offset:420
	buffer_load_dword v156, off, s[0:3], 0 offset:428
	buffer_load_dword v193, off, s[0:3], 0 offset:436
	v_fma_f32 v175, v4, v175, -v130
	v_add_f32_e32 v2, v2, v181
	v_add_f32_e32 v3, v3, v160
	s_clause 0x2
	buffer_load_dword v160, off, s[0:3], 0 offset:444
	buffer_load_dword v181, off, s[0:3], 0 offset:452
	;; [unrolled: 1-line block ×3, first 2 shown]
	v_add_f32_e32 v2, v2, v159
	s_clause 0x7
	buffer_load_dword v159, off, s[0:3], 0 offset:392
	buffer_load_dword v195, off, s[0:3], 0 offset:384
	;; [unrolled: 1-line block ×8, first 2 shown]
	v_add_f32_e32 v3, v3, v132
	v_add_f32_e32 v2, v2, v149
	v_add_f32_e32 v3, v3, v10
	v_add_f32_e32 v2, v2, v148
	v_add_f32_e32 v3, v3, v144
	v_add_f32_e32 v2, v2, v146
	v_add_f32_e32 v3, v3, v133
	v_add_f32_e32 v2, v2, v150
	s_clause 0x3
	buffer_load_dword v150, off, s[0:3], 0 offset:456
	buffer_load_dword v203, off, s[0:3], 0 offset:448
	;; [unrolled: 1-line block ×4, first 2 shown]
	v_add_f32_e32 v3, v3, v11
	v_add_f32_e32 v2, v2, v151
	buffer_load_dword v151, off, s[0:3], 0 offset:16
	v_add_f32_e32 v3, v3, v12
	v_add_f32_e32 v2, v2, v152
	s_waitcnt vmcnt(49) lgkmcnt(0)
	v_mul_f32_e32 v10, v6, v147
	v_mul_f32_e32 v4, v7, v147
	v_fmac_f32_e32 v10, v7, v169
	v_fma_f32 v11, v6, v169, -v4
	v_add_f32_e32 v6, v3, v134
	v_add_f32_e32 v7, v2, v143
	ds_read2_b64 v[2:5], v1 offset0:93 offset1:94
	v_add_f32_e32 v12, v6, v171
	s_waitcnt vmcnt(48)
	v_mul_f32_e32 v143, v8, v141
	v_mul_f32_e32 v6, v9, v141
	v_add_f32_e32 v130, v7, v139
	v_add_f32_e32 v12, v12, v170
	s_waitcnt vmcnt(44)
	v_fmac_f32_e32 v143, v9, v196
	v_fma_f32 v144, v8, v196, -v6
	ds_read2_b64 v[6:9], v1 offset0:95 offset1:96
	v_add_f32_e32 v134, v130, v183
	v_add_f32_e32 v12, v12, v142
	ds_read2_b64 v[130:133], v1 offset0:97 offset1:98
	v_add_f32_e32 v134, v134, v137
	v_add_f32_e32 v12, v12, v145
	s_waitcnt vmcnt(43) lgkmcnt(2)
	v_mul_f32_e32 v146, v2, v135
	v_mul_f32_e32 v135, v3, v135
	v_fmac_f32_e32 v146, v3, v162
	v_fma_f32 v147, v2, v162, -v135
	v_add_f32_e32 v2, v134, v165
	v_add_f32_e32 v3, v12, v140
	ds_read2_b64 v[134:137], v1 offset0:99 offset1:100
	s_waitcnt vmcnt(42)
	v_mul_f32_e32 v12, v4, v138
	s_waitcnt vmcnt(41) lgkmcnt(2)
	v_mul_f32_e32 v139, v7, v174
	v_add_f32_e32 v2, v2, v163
	v_add_f32_e32 v3, v3, v175
	v_mul_f32_e32 v152, v6, v174
	v_mul_f32_e32 v138, v5, v138
	v_fma_f32 v149, v6, v153, -v139
	v_add_f32_e32 v2, v2, v179
	v_add_f32_e32 v6, v3, v11
	v_fmac_f32_e32 v152, v7, v153
	s_waitcnt vmcnt(39) lgkmcnt(1)
	v_mul_f32_e32 v163, v130, v155
	v_fma_f32 v148, v4, v161, -v138
	v_add_f32_e32 v7, v2, v10
	v_mul_f32_e32 v10, v131, v155
	v_add_f32_e32 v11, v6, v144
	v_fmac_f32_e32 v12, v5, v161
	v_mul_f32_e32 v142, v9, v182
	v_mul_f32_e32 v162, v8, v182
	s_waitcnt vmcnt(36)
	v_fma_f32 v155, v130, v184, -v10
	v_add_f32_e32 v10, v7, v143
	v_add_f32_e32 v11, v11, v147
	s_waitcnt vmcnt(35)
	v_fma_f32 v153, v8, v189, -v142
	ds_read2_b64 v[2:5], v1 offset0:101 offset1:102
	ds_read2_b64 v[138:141], v1 offset0:103 offset1:104
	v_fmac_f32_e32 v162, v9, v189
	v_add_f32_e32 v10, v10, v146
	v_add_f32_e32 v11, v11, v148
	s_waitcnt vmcnt(34)
	v_mul_f32_e32 v130, v133, v157
	v_fmac_f32_e32 v163, v131, v184
	v_mul_f32_e32 v161, v132, v157
	v_add_f32_e32 v10, v10, v12
	v_add_f32_e32 v12, v11, v149
	s_waitcnt vmcnt(33) lgkmcnt(2)
	v_mul_f32_e32 v131, v135, v185
	v_fma_f32 v170, v132, v173, -v130
	v_mul_f32_e32 v157, v134, v185
	v_add_f32_e32 v152, v10, v152
	v_add_f32_e32 v12, v12, v153
	v_fmac_f32_e32 v161, v133, v173
	s_waitcnt vmcnt(32)
	v_mul_f32_e32 v165, v136, v190
	v_mul_f32_e32 v169, v137, v190
	v_add_f32_e32 v152, v152, v162
	v_add_f32_e32 v12, v12, v155
	v_fma_f32 v171, v134, v172, -v131
	v_fmac_f32_e32 v157, v135, v172
	s_waitcnt vmcnt(28)
	v_fmac_f32_e32 v165, v137, v168
	v_add_f32_e32 v152, v152, v163
	v_add_f32_e32 v12, v12, v170
	v_fma_f32 v168, v136, v168, -v169
	s_waitcnt vmcnt(27) lgkmcnt(1)
	v_mul_f32_e32 v169, v3, v178
	ds_read2_b64 v[6:9], v1 offset0:105 offset1:106
	ds_read2_b64 v[142:145], v1 offset0:107 offset1:108
	v_add_f32_e32 v152, v152, v161
	v_add_f32_e32 v12, v12, v171
	v_mul_f32_e32 v153, v2, v178
	s_waitcnt vmcnt(26)
	v_mul_f32_e32 v172, v5, v187
	v_fma_f32 v2, v2, v167, -v169
	v_add_f32_e32 v152, v152, v157
	v_add_f32_e32 v12, v12, v168
	v_mul_f32_e32 v162, v4, v187
	v_fmac_f32_e32 v153, v3, v167
	s_waitcnt vmcnt(25) lgkmcnt(2)
	v_mul_f32_e32 v169, v139, v188
	v_add_f32_e32 v152, v152, v165
	v_fma_f32 v4, v4, v166, -v172
	v_add_f32_e32 v2, v12, v2
	v_mul_f32_e32 v155, v138, v188
	v_fmac_f32_e32 v162, v5, v166
	v_add_f32_e32 v12, v152, v153
	s_waitcnt vmcnt(24)
	v_mul_f32_e32 v165, v141, v191
	v_fma_f32 v138, v138, v164, -v169
	v_add_f32_e32 v2, v2, v4
	v_mul_f32_e32 v163, v140, v191
	v_fmac_f32_e32 v155, v139, v164
	v_add_f32_e32 v4, v12, v162
	s_waitcnt vmcnt(23) lgkmcnt(1)
	v_mul_f32_e32 v12, v7, v180
	v_add_f32_e32 v2, v2, v138
	ds_read2_b64 v[130:133], v1 offset0:109 offset1:110
	ds_read2_b64 v[146:149], v1 offset0:111 offset1:112
	s_waitcnt vmcnt(9)
	v_fma_f32 v139, v140, v198, -v165
	v_mul_f32_e32 v3, v6, v180
	v_fmac_f32_e32 v163, v141, v198
	v_add_f32_e32 v4, v4, v155
	v_mul_f32_e32 v138, v9, v186
	v_fma_f32 v6, v6, v197, -v12
	v_add_f32_e32 v2, v2, v139
	v_mul_f32_e32 v167, v8, v186
	v_fmac_f32_e32 v3, v7, v197
	v_add_f32_e32 v4, v4, v163
	s_waitcnt lgkmcnt(2)
	v_mul_f32_e32 v7, v143, v158
	v_fma_f32 v8, v8, v195, -v138
	v_add_f32_e32 v2, v2, v6
	v_mul_f32_e32 v161, v142, v158
	v_fmac_f32_e32 v167, v9, v195
	v_add_f32_e32 v3, v4, v3
	v_mul_f32_e32 v4, v145, v177
	v_fma_f32 v6, v142, v159, -v7
	v_add_f32_e32 v2, v2, v8
	v_mul_f32_e32 v5, v144, v177
	v_fmac_f32_e32 v161, v143, v159
	v_add_f32_e32 v3, v3, v167
	s_waitcnt lgkmcnt(1)
	v_mul_f32_e32 v7, v131, v192
	s_waitcnt vmcnt(5)
	v_fma_f32 v4, v144, v202, -v4
	v_add_f32_e32 v2, v2, v6
	ds_read2_b64 v[134:137], v1 offset0:113 offset1:114
	ds_read_b64 v[10:11], v1 offset:920
	v_mul_f32_e32 v166, v130, v192
	v_fmac_f32_e32 v5, v145, v202
	v_add_f32_e32 v3, v3, v161
	v_mul_f32_e32 v6, v133, v154
	v_fma_f32 v7, v130, v201, -v7
	v_add_f32_e32 v2, v2, v4
	v_mul_f32_e32 v157, v132, v154
	v_fmac_f32_e32 v166, v131, v201
	v_add_f32_e32 v3, v3, v5
	s_waitcnt lgkmcnt(2)
	v_mul_f32_e32 v4, v147, v156
	v_fma_f32 v5, v132, v200, -v6
	v_add_f32_e32 v2, v2, v7
	v_mul_f32_e32 v170, v146, v156
	v_fmac_f32_e32 v157, v133, v200
	v_add_f32_e32 v3, v3, v166
	v_mul_f32_e32 v6, v149, v193
	v_fma_f32 v4, v146, v199, -v4
	v_add_f32_e32 v2, v2, v5
	v_mul_f32_e32 v171, v148, v193
	v_fmac_f32_e32 v170, v147, v199
	v_add_f32_e32 v3, v3, v157
	s_waitcnt lgkmcnt(1)
	v_mul_f32_e32 v5, v135, v160
	s_waitcnt vmcnt(1)
	v_fma_f32 v6, v148, v205, -v6
	v_add_f32_e32 v2, v2, v4
	v_mul_f32_e32 v168, v134, v160
	v_fmac_f32_e32 v171, v149, v205
	v_add_f32_e32 v3, v3, v170
	v_mul_f32_e32 v4, v137, v181
	v_fma_f32 v5, v134, v204, -v5
	v_add_f32_e32 v2, v2, v6
	v_mul_f32_e32 v172, v136, v181
	v_fmac_f32_e32 v168, v135, v204
	v_add_f32_e32 v3, v3, v171
	s_waitcnt lgkmcnt(0)
	v_mul_f32_e32 v6, v11, v194
	v_fma_f32 v4, v136, v203, -v4
	v_add_f32_e32 v2, v2, v5
	v_mul_f32_e32 v152, v10, v194
	v_fmac_f32_e32 v172, v137, v203
	v_add_f32_e32 v3, v3, v168
	v_fma_f32 v5, v10, v150, -v6
	v_add_f32_e32 v2, v2, v4
	v_fmac_f32_e32 v152, v11, v150
	v_add_f32_e32 v3, v3, v172
	v_add_f32_e32 v2, v2, v5
	;; [unrolled: 1-line block ×3, first 2 shown]
	s_waitcnt vmcnt(0)
	v_sub_f32_e32 v2, v151, v2
	v_sub_f32_e32 v3, v176, v3
	buffer_store_dword v2, off, s[0:3], 0 offset:16
	buffer_store_dword v3, off, s[0:3], 0 offset:20
	v_cmpx_lt_u32_e32 1, v0
	s_cbranch_execz .LBB121_359
; %bb.358:
	s_clause 0x1
	buffer_load_dword v2, off, s[0:3], 0 offset:8
	buffer_load_dword v3, off, s[0:3], 0 offset:12
	buffer_store_dword v1, off, s[0:3], 0 offset:8
	buffer_store_dword v1, off, s[0:3], 0 offset:12
	s_waitcnt vmcnt(0)
	ds_write_b64 v129, v[2:3]
.LBB121_359:
	s_or_b32 exec_lo, exec_lo, s4
	s_waitcnt lgkmcnt(0)
	s_waitcnt_vscnt null, 0x0
	s_barrier
	buffer_gl0_inv
	s_clause 0x34
	buffer_load_dword v165, off, s[0:3], 0 offset:20
	buffer_load_dword v166, off, s[0:3], 0 offset:28
	;; [unrolled: 1-line block ×53, first 2 shown]
	ds_read_b128 v[173:176], v1 offset:480
	ds_read_b128 v[177:180], v1 offset:496
	ds_read_b128 v[181:184], v1 offset:512
	ds_read_b128 v[185:188], v1 offset:528
	s_mov_b32 s4, exec_lo
	s_waitcnt vmcnt(52) lgkmcnt(3)
	v_mul_f32_e32 v168, v173, v165
	v_mul_f32_e32 v189, v174, v165
	s_waitcnt vmcnt(51)
	v_mul_f32_e32 v165, v175, v166
	v_mul_f32_e32 v190, v176, v166
	buffer_load_dword v166, off, s[0:3], 0 offset:12
	s_waitcnt vmcnt(49)
	v_fmac_f32_e32 v168, v174, v6
	v_fma_f32 v189, v173, v6, -v189
	v_fmac_f32_e32 v165, v176, v5
	v_fma_f32 v190, v175, v5, -v190
	ds_read_b128 v[173:176], v1 offset:544
	s_waitcnt vmcnt(48) lgkmcnt(3)
	v_mul_f32_e32 v191, v177, v4
	v_mul_f32_e32 v4, v178, v4
	s_waitcnt vmcnt(47)
	v_mul_f32_e32 v192, v179, v3
	v_mul_f32_e32 v3, v180, v3
	s_waitcnt vmcnt(46) lgkmcnt(2)
	v_mul_f32_e32 v193, v181, v8
	v_fmac_f32_e32 v191, v178, v2
	v_fma_f32 v195, v177, v2, -v4
	s_waitcnt vmcnt(41)
	v_fmac_f32_e32 v192, v180, v131
	v_fma_f32 v131, v179, v131, -v3
	ds_read_b128 v[2:5], v1 offset:560
	ds_read_b128 v[177:180], v1 offset:576
	v_mul_f32_e32 v6, v182, v8
	v_mul_f32_e32 v194, v183, v7
	;; [unrolled: 1-line block ×3, first 2 shown]
	v_fmac_f32_e32 v193, v182, v130
	v_fma_f32 v130, v181, v130, -v6
	v_fmac_f32_e32 v194, v184, v11
	v_fma_f32 v11, v183, v11, -v7
	s_waitcnt vmcnt(40) lgkmcnt(3)
	v_mul_f32_e32 v181, v185, v12
	v_mul_f32_e32 v6, v186, v12
	s_waitcnt vmcnt(39)
	v_mul_f32_e32 v12, v187, v10
	v_mul_f32_e32 v7, v188, v10
	s_waitcnt vmcnt(34) lgkmcnt(2)
	v_mul_f32_e32 v183, v173, v162
	v_fmac_f32_e32 v181, v186, v9
	v_fma_f32 v182, v185, v9, -v6
	v_fmac_f32_e32 v12, v188, v163
	v_fma_f32 v163, v187, v163, -v7
	ds_read_b128 v[6:9], v1 offset:592
	v_mul_f32_e32 v162, v174, v162
	s_waitcnt vmcnt(33)
	v_mul_f32_e32 v184, v175, v161
	v_mul_f32_e32 v161, v176, v161
	s_waitcnt vmcnt(32) lgkmcnt(2)
	v_mul_f32_e32 v185, v2, v160
	v_mul_f32_e32 v160, v3, v160
	v_fmac_f32_e32 v183, v174, v155
	v_fma_f32 v162, v173, v155, -v162
	s_waitcnt vmcnt(31)
	v_mul_f32_e32 v173, v4, v159
	v_mul_f32_e32 v155, v5, v159
	v_fmac_f32_e32 v184, v176, v151
	v_fma_f32 v151, v175, v151, -v161
	s_waitcnt vmcnt(30) lgkmcnt(1)
	v_mul_f32_e32 v159, v177, v156
	v_mul_f32_e32 v161, v178, v156
	s_waitcnt vmcnt(29)
	v_mul_f32_e32 v174, v179, v157
	v_mul_f32_e32 v175, v180, v157
	buffer_load_dword v10, off, s[0:3], 0 offset:228
	v_fmac_f32_e32 v185, v3, v141
	v_fma_f32 v141, v2, v141, -v160
	s_waitcnt vmcnt(26)
	v_fmac_f32_e32 v173, v5, v158
	v_fma_f32 v160, v4, v158, -v155
	ds_read_b128 v[2:5], v1 offset:608
	ds_read_b128 v[155:158], v1 offset:624
	v_fmac_f32_e32 v159, v178, v154
	v_fma_f32 v154, v177, v154, -v161
	v_fmac_f32_e32 v174, v180, v152
	v_fma_f32 v152, v179, v152, -v175
	s_clause 0x4
	buffer_load_dword v161, off, s[0:3], 0 offset:236
	buffer_load_dword v175, off, s[0:3], 0 offset:256
	;; [unrolled: 1-line block ×5, first 2 shown]
	s_waitcnt vmcnt(30) lgkmcnt(2)
	v_mul_f32_e32 v179, v6, v147
	v_mul_f32_e32 v147, v7, v147
	s_waitcnt vmcnt(29)
	v_mul_f32_e32 v180, v8, v145
	v_mul_f32_e32 v145, v9, v145
	v_fmac_f32_e32 v179, v7, v137
	v_fma_f32 v137, v6, v137, -v147
	s_waitcnt vmcnt(25)
	v_fmac_f32_e32 v180, v9, v153
	v_fma_f32 v145, v8, v153, -v145
	ds_read_b128 v[6:9], v1 offset:640
	s_waitcnt vmcnt(24) lgkmcnt(2)
	v_mul_f32_e32 v147, v2, v150
	v_mul_f32_e32 v150, v3, v150
	s_waitcnt vmcnt(23)
	v_mul_f32_e32 v153, v4, v149
	v_mul_f32_e32 v149, v5, v149
	v_fmac_f32_e32 v147, v3, v142
	v_fma_f32 v142, v2, v142, -v150
	s_waitcnt vmcnt(22) lgkmcnt(1)
	v_mul_f32_e32 v150, v155, v146
	v_mul_f32_e32 v2, v156, v146
	v_fmac_f32_e32 v153, v5, v138
	v_fma_f32 v138, v4, v138, -v149
	s_waitcnt vmcnt(21)
	v_mul_f32_e32 v146, v157, v140
	v_mul_f32_e32 v3, v158, v140
	s_clause 0x1
	buffer_load_dword v140, off, s[0:3], 0 offset:244
	buffer_load_dword v149, off, s[0:3], 0 offset:252
	v_fmac_f32_e32 v150, v156, v133
	v_fma_f32 v133, v155, v133, -v2
	s_waitcnt vmcnt(19)
	v_fmac_f32_e32 v146, v158, v148
	v_fma_f32 v148, v157, v148, -v3
	ds_read_b128 v[2:5], v1 offset:656
	s_waitcnt vmcnt(18) lgkmcnt(1)
	v_mul_f32_e32 v155, v6, v144
	v_mul_f32_e32 v144, v7, v144
	s_waitcnt vmcnt(17)
	v_mul_f32_e32 v156, v8, v143
	v_mul_f32_e32 v143, v9, v143
	v_fmac_f32_e32 v155, v7, v139
	v_fma_f32 v139, v6, v139, -v144
	v_fmac_f32_e32 v156, v9, v134
	v_fma_f32 v134, v8, v134, -v143
	ds_read_b128 v[6:9], v1 offset:672
	buffer_load_dword v143, off, s[0:3], 0 offset:260
	s_waitcnt vmcnt(16) lgkmcnt(1)
	v_mul_f32_e32 v157, v4, v135
	v_mul_f32_e32 v135, v5, v135
	;; [unrolled: 1-line block ×4, first 2 shown]
	s_waitcnt vmcnt(12)
	v_fmac_f32_e32 v157, v5, v172
	v_fma_f32 v135, v4, v172, -v135
	buffer_load_dword v172, off, s[0:3], 0 offset:268
	v_fmac_f32_e32 v144, v3, v132
	v_fma_f32 v132, v2, v132, -v136
	s_waitcnt vmcnt(12) lgkmcnt(0)
	v_mul_f32_e32 v136, v6, v171
	v_mul_f32_e32 v158, v7, v171
	s_waitcnt vmcnt(11)
	v_mul_f32_e32 v171, v8, v170
	v_mul_f32_e32 v170, v9, v170
	ds_read_b128 v[2:5], v1 offset:688
	v_fmac_f32_e32 v136, v7, v169
	v_fma_f32 v158, v6, v169, -v158
	v_fmac_f32_e32 v171, v9, v167
	v_fma_f32 v167, v8, v167, -v170
	s_clause 0x4
	buffer_load_dword v169, off, s[0:3], 0 offset:288
	buffer_load_dword v170, off, s[0:3], 0 offset:280
	;; [unrolled: 1-line block ×5, first 2 shown]
	v_add_f32_e32 v6, 0, v189
	v_add_f32_e32 v7, 0, v168
	buffer_load_dword v189, off, s[0:3], 0 offset:284
	v_add_f32_e32 v6, v6, v190
	v_add_f32_e32 v7, v7, v165
	s_clause 0x1
	buffer_load_dword v165, off, s[0:3], 0 offset:292
	buffer_load_dword v168, off, s[0:3], 0 offset:300
	v_add_f32_e32 v6, v6, v195
	v_add_f32_e32 v7, v7, v191
	;; [unrolled: 1-line block ×4, first 2 shown]
	s_clause 0x3
	buffer_load_dword v190, off, s[0:3], 0 offset:320
	buffer_load_dword v191, off, s[0:3], 0 offset:312
	;; [unrolled: 1-line block ×4, first 2 shown]
	v_add_f32_e32 v6, v6, v130
	v_add_f32_e32 v7, v7, v193
	;; [unrolled: 1-line block ×4, first 2 shown]
	s_clause 0x3
	buffer_load_dword v11, off, s[0:3], 0 offset:308
	buffer_load_dword v193, off, s[0:3], 0 offset:316
	;; [unrolled: 1-line block ×4, first 2 shown]
	v_add_f32_e32 v6, v6, v182
	v_add_f32_e32 v7, v7, v181
	v_add_f32_e32 v6, v6, v163
	v_add_f32_e32 v7, v7, v12
	v_add_f32_e32 v6, v6, v162
	v_add_f32_e32 v7, v7, v183
	v_add_f32_e32 v6, v6, v151
	v_add_f32_e32 v7, v7, v184
	v_add_f32_e32 v6, v6, v141
	v_add_f32_e32 v141, v7, v185
	v_add_f32_e32 v160, v6, v160
	v_add_f32_e32 v141, v141, v173
	v_add_f32_e32 v154, v160, v154
	v_add_f32_e32 v141, v141, v159
	s_waitcnt vmcnt(25) lgkmcnt(0)
	v_mul_f32_e32 v130, v2, v10
	v_mul_f32_e32 v8, v3, v10
	v_fmac_f32_e32 v130, v3, v164
	s_waitcnt vmcnt(24)
	v_mul_f32_e32 v10, v4, v161
	v_mul_f32_e32 v9, v5, v161
	v_fma_f32 v131, v2, v164, -v8
	s_waitcnt vmcnt(20)
	v_fmac_f32_e32 v10, v5, v178
	v_fma_f32 v12, v4, v178, -v9
	ds_read_b128 v[2:5], v1 offset:704
	s_clause 0x6
	buffer_load_dword v161, off, s[0:3], 0 offset:352
	buffer_load_dword v162, off, s[0:3], 0 offset:344
	;; [unrolled: 1-line block ×7, first 2 shown]
	ds_read_b128 v[6:9], v1 offset:720
	s_waitcnt vmcnt(26) lgkmcnt(1)
	v_mul_f32_e32 v173, v2, v140
	v_mul_f32_e32 v140, v3, v140
	s_waitcnt vmcnt(25)
	v_mul_f32_e32 v160, v4, v149
	v_mul_f32_e32 v149, v5, v149
	v_fmac_f32_e32 v173, v3, v177
	v_add_f32_e32 v3, v141, v174
	v_fma_f32 v140, v2, v177, -v140
	v_add_f32_e32 v2, v154, v152
	v_fma_f32 v141, v4, v176, -v149
	s_clause 0x3
	buffer_load_dword v152, off, s[0:3], 0 offset:364
	buffer_load_dword v154, off, s[0:3], 0 offset:372
	;; [unrolled: 1-line block ×4, first 2 shown]
	v_add_f32_e32 v3, v3, v179
	v_fmac_f32_e32 v160, v5, v176
	v_add_f32_e32 v2, v2, v137
	s_clause 0x3
	buffer_load_dword v176, off, s[0:3], 0 offset:396
	buffer_load_dword v177, off, s[0:3], 0 offset:404
	;; [unrolled: 1-line block ×4, first 2 shown]
	v_add_f32_e32 v3, v3, v180
	s_waitcnt vmcnt(32) lgkmcnt(0)
	v_mul_f32_e32 v4, v7, v143
	v_add_f32_e32 v2, v2, v145
	v_mul_f32_e32 v145, v6, v143
	s_clause 0x3
	buffer_load_dword v180, off, s[0:3], 0 offset:428
	buffer_load_dword v183, off, s[0:3], 0 offset:436
	;; [unrolled: 1-line block ×4, first 2 shown]
	v_add_f32_e32 v3, v3, v147
	buffer_load_dword v197, off, s[0:3], 0 offset:460
	v_add_f32_e32 v2, v2, v142
	v_fmac_f32_e32 v145, v7, v175
	v_fma_f32 v142, v6, v175, -v4
	v_add_f32_e32 v6, v3, v153
	s_clause 0x3
	buffer_load_dword v153, off, s[0:3], 0 offset:384
	buffer_load_dword v175, off, s[0:3], 0 offset:376
	;; [unrolled: 1-line block ×4, first 2 shown]
	v_add_f32_e32 v2, v2, v138
	v_add_f32_e32 v6, v6, v150
	;; [unrolled: 1-line block ×3, first 2 shown]
	s_waitcnt vmcnt(40)
	v_mul_f32_e32 v2, v9, v172
	v_mul_f32_e32 v138, v8, v172
	v_add_f32_e32 v6, v6, v146
	v_add_f32_e32 v7, v7, v148
	;; [unrolled: 1-line block ×4, first 2 shown]
	s_waitcnt vmcnt(36)
	v_fma_f32 v143, v8, v187, -v2
	ds_read_b128 v[2:5], v1 offset:736
	v_fmac_f32_e32 v138, v9, v187
	s_clause 0x3
	buffer_load_dword v150, off, s[0:3], 0 offset:416
	buffer_load_dword v172, off, s[0:3], 0 offset:408
	;; [unrolled: 1-line block ×4, first 2 shown]
	v_add_f32_e32 v133, v7, v134
	v_add_f32_e32 v134, v6, v156
	ds_read_b128 v[6:9], v1 offset:752
	v_add_f32_e32 v132, v133, v132
	v_add_f32_e32 v134, v134, v144
	s_waitcnt vmcnt(39) lgkmcnt(1)
	v_mul_f32_e32 v146, v2, v188
	v_mul_f32_e32 v133, v3, v188
	s_waitcnt vmcnt(38)
	v_mul_f32_e32 v147, v4, v189
	v_fmac_f32_e32 v146, v3, v186
	v_fma_f32 v144, v2, v186, -v133
	v_add_f32_e32 v3, v134, v157
	s_clause 0x3
	buffer_load_dword v155, off, s[0:3], 0 offset:448
	buffer_load_dword v156, off, s[0:3], 0 offset:440
	;; [unrolled: 1-line block ×4, first 2 shown]
	v_add_f32_e32 v2, v132, v135
	buffer_load_dword v188, off, s[0:3], 0 offset:8
	v_mul_f32_e32 v132, v5, v189
	v_add_f32_e32 v3, v3, v136
	v_fmac_f32_e32 v147, v5, v170
	v_add_f32_e32 v2, v2, v158
	buffer_load_dword v158, off, s[0:3], 0 offset:456
	v_fma_f32 v148, v4, v170, -v132
	v_add_f32_e32 v133, v3, v171
	s_waitcnt vmcnt(43) lgkmcnt(0)
	v_mul_f32_e32 v149, v6, v165
	v_add_f32_e32 v2, v2, v167
	v_add_f32_e32 v135, v133, v130
	v_fmac_f32_e32 v149, v7, v169
	v_add_f32_e32 v134, v2, v131
	ds_read_b128 v[2:5], v1 offset:768
	ds_read_b128 v[130:133], v1 offset:784
	v_add_f32_e32 v10, v135, v10
	s_waitcnt vmcnt(42)
	v_mul_f32_e32 v135, v9, v168
	v_add_f32_e32 v12, v134, v12
	v_mul_f32_e32 v134, v7, v165
	v_mul_f32_e32 v165, v8, v168
	v_add_f32_e32 v10, v10, v173
	s_waitcnt vmcnt(38)
	v_fma_f32 v168, v8, v195, -v135
	v_add_f32_e32 v12, v12, v140
	v_fma_f32 v167, v6, v169, -v134
	v_fmac_f32_e32 v165, v9, v195
	ds_read_b128 v[6:9], v1 offset:800
	ds_read_b128 v[134:137], v1 offset:816
	v_add_f32_e32 v10, v10, v160
	v_add_f32_e32 v12, v12, v141
	;; [unrolled: 1-line block ×4, first 2 shown]
	s_waitcnt vmcnt(36) lgkmcnt(3)
	v_mul_f32_e32 v160, v4, v193
	s_waitcnt vmcnt(35) lgkmcnt(2)
	v_mul_f32_e32 v170, v130, v196
	v_mul_f32_e32 v142, v131, v196
	v_add_f32_e32 v10, v10, v138
	v_add_f32_e32 v12, v12, v143
	v_mul_f32_e32 v139, v5, v193
	v_fmac_f32_e32 v170, v131, v190
	v_fma_f32 v189, v130, v190, -v142
	v_add_f32_e32 v10, v10, v146
	v_add_f32_e32 v12, v12, v144
	v_mul_f32_e32 v169, v2, v11
	v_mul_f32_e32 v11, v3, v11
	v_fmac_f32_e32 v160, v5, v191
	v_add_f32_e32 v10, v10, v147
	v_add_f32_e32 v12, v12, v148
	v_fma_f32 v173, v4, v191, -v139
	v_fma_f32 v11, v2, v192, -v11
	v_fmac_f32_e32 v169, v3, v192
	v_add_f32_e32 v10, v10, v149
	s_waitcnt vmcnt(34)
	v_mul_f32_e32 v171, v132, v194
	v_mul_f32_e32 v143, v133, v194
	ds_read_b128 v[2:5], v1 offset:832
	ds_read_b128 v[138:141], v1 offset:848
	v_add_f32_e32 v10, v10, v165
	v_add_f32_e32 v10, v10, v169
	;; [unrolled: 1-line block ×4, first 2 shown]
	s_waitcnt vmcnt(29) lgkmcnt(3)
	v_mul_f32_e32 v190, v6, v151
	s_waitcnt vmcnt(28)
	v_mul_f32_e32 v191, v8, v178
	v_mul_f32_e32 v146, v7, v151
	v_mul_f32_e32 v147, v9, v178
	v_fmac_f32_e32 v171, v133, v164
	v_fmac_f32_e32 v190, v7, v163
	v_add_f32_e32 v7, v12, v167
	v_fmac_f32_e32 v191, v9, v162
	v_fma_f32 v151, v8, v162, -v147
	v_fma_f32 v164, v132, v164, -v143
	;; [unrolled: 1-line block ×3, first 2 shown]
	v_add_f32_e32 v162, v7, v168
	v_add_f32_e32 v10, v10, v171
	ds_read_b128 v[130:133], v1 offset:864
	ds_read_b128 v[142:145], v1 offset:880
	;; [unrolled: 1-line block ×4, first 2 shown]
	s_waitcnt vmcnt(27) lgkmcnt(6)
	v_mul_f32_e32 v1, v134, v181
	v_add_f32_e32 v11, v162, v11
	v_mul_f32_e32 v162, v135, v181
	v_add_f32_e32 v10, v10, v190
	v_fmac_f32_e32 v1, v135, v161
	v_add_f32_e32 v11, v11, v173
	v_fma_f32 v134, v134, v161, -v162
	v_add_f32_e32 v10, v10, v191
	v_add_f32_e32 v11, v11, v189
	v_add_f32_e32 v1, v10, v1
	s_waitcnt vmcnt(26)
	v_mul_f32_e32 v163, v136, v152
	v_add_f32_e32 v11, v11, v164
	v_mul_f32_e32 v152, v137, v152
	s_waitcnt vmcnt(25) lgkmcnt(5)
	v_mul_f32_e32 v165, v2, v154
	s_waitcnt vmcnt(24)
	v_mul_f32_e32 v10, v5, v159
	v_mul_f32_e32 v160, v4, v159
	v_add_f32_e32 v11, v11, v12
	s_waitcnt vmcnt(23) lgkmcnt(4)
	v_mul_f32_e32 v167, v138, v174
	s_waitcnt vmcnt(22)
	v_mul_f32_e32 v168, v140, v176
	s_waitcnt vmcnt(21) lgkmcnt(3)
	v_mul_f32_e32 v169, v130, v177
	s_waitcnt vmcnt(20)
	v_mul_f32_e32 v170, v132, v179
	v_add_f32_e32 v11, v11, v151
	v_mul_f32_e32 v151, v3, v154
	s_waitcnt vmcnt(19) lgkmcnt(2)
	v_mul_f32_e32 v164, v142, v182
	s_waitcnt vmcnt(18)
	v_mul_f32_e32 v171, v144, v180
	s_waitcnt vmcnt(17) lgkmcnt(1)
	v_mul_f32_e32 v173, v6, v183
	v_add_f32_e32 v11, v11, v134
	s_waitcnt vmcnt(13)
	v_fmac_f32_e32 v167, v139, v153
	s_waitcnt vmcnt(12)
	v_fma_f32 v4, v4, v175, -v10
	s_waitcnt vmcnt(11)
	v_fmac_f32_e32 v165, v3, v198
	s_waitcnt vmcnt(10)
	v_fma_f32 v136, v136, v199, -v152
	v_fmac_f32_e32 v163, v137, v199
	v_fma_f32 v2, v2, v198, -v151
	v_fmac_f32_e32 v160, v5, v175
	v_mul_f32_e32 v12, v8, v184
	v_add_f32_e32 v3, v11, v136
	v_add_f32_e32 v1, v1, v163
	v_mul_f32_e32 v11, v139, v174
	s_waitcnt lgkmcnt(0)
	v_mul_f32_e32 v178, v146, v185
	v_mul_f32_e32 v135, v148, v197
	v_add_f32_e32 v2, v3, v2
	v_add_f32_e32 v1, v1, v165
	v_mul_f32_e32 v3, v141, v176
	v_fma_f32 v5, v138, v153, -v11
	v_add_f32_e32 v2, v2, v4
	v_add_f32_e32 v1, v1, v160
	v_mul_f32_e32 v4, v131, v177
	s_waitcnt vmcnt(8)
	v_fmac_f32_e32 v170, v133, v172
	s_waitcnt vmcnt(7)
	v_fmac_f32_e32 v169, v131, v187
	s_waitcnt vmcnt(6)
	v_fma_f32 v3, v140, v200, -v3
	v_add_f32_e32 v2, v2, v5
	v_fmac_f32_e32 v168, v141, v200
	v_add_f32_e32 v1, v1, v167
	v_mul_f32_e32 v5, v133, v179
	v_fma_f32 v4, v130, v187, -v4
	v_add_f32_e32 v2, v2, v3
	v_mul_f32_e32 v3, v143, v182
	v_add_f32_e32 v1, v1, v168
	v_fma_f32 v5, v132, v172, -v5
	v_fmac_f32_e32 v164, v143, v150
	v_add_f32_e32 v2, v2, v4
	v_mul_f32_e32 v4, v145, v180
	v_add_f32_e32 v1, v1, v169
	v_fma_f32 v3, v142, v150, -v3
	v_add_f32_e32 v2, v2, v5
	v_mul_f32_e32 v5, v7, v183
	v_add_f32_e32 v1, v1, v170
	v_add_f32_e32 v2, v2, v3
	v_mul_f32_e32 v3, v9, v184
	v_add_f32_e32 v1, v1, v164
	s_waitcnt vmcnt(4)
	v_fmac_f32_e32 v12, v9, v156
	s_waitcnt vmcnt(3)
	v_fma_f32 v5, v6, v157, -v5
	s_waitcnt vmcnt(2)
	v_fma_f32 v4, v144, v186, -v4
	v_fmac_f32_e32 v171, v145, v186
	v_fmac_f32_e32 v173, v7, v157
	v_fma_f32 v3, v8, v156, -v3
	v_fmac_f32_e32 v178, v147, v155
	v_add_f32_e32 v2, v2, v4
	v_add_f32_e32 v1, v1, v171
	v_mul_f32_e32 v4, v147, v185
	s_waitcnt vmcnt(0)
	v_fmac_f32_e32 v135, v149, v158
	v_add_f32_e32 v2, v2, v5
	v_add_f32_e32 v1, v1, v173
	v_mul_f32_e32 v5, v149, v197
	v_fma_f32 v4, v146, v155, -v4
	v_add_f32_e32 v2, v2, v3
	v_add_f32_e32 v1, v1, v12
	v_fma_f32 v3, v148, v158, -v5
	v_add_f32_e32 v2, v2, v4
	v_add_f32_e32 v1, v1, v178
	;; [unrolled: 1-line block ×4, first 2 shown]
	v_sub_f32_e32 v2, v188, v2
	v_sub_f32_e32 v1, v166, v1
	buffer_store_dword v2, off, s[0:3], 0 offset:8
	buffer_store_dword v1, off, s[0:3], 0 offset:12
	v_cmpx_ne_u32_e32 0, v0
	s_cbranch_execz .LBB121_361
; %bb.360:
	s_clause 0x1
	buffer_load_dword v0, off, s[0:3], 0
	buffer_load_dword v1, off, s[0:3], 0 offset:4
	v_mov_b32_e32 v2, 0
	buffer_store_dword v2, off, s[0:3], 0
	buffer_store_dword v2, off, s[0:3], 0 offset:4
	s_waitcnt vmcnt(0)
	ds_write_b64 v129, v[0:1]
.LBB121_361:
	s_or_b32 exec_lo, exec_lo, s4
	s_waitcnt lgkmcnt(0)
	s_waitcnt_vscnt null, 0x0
	s_barrier
	buffer_gl0_inv
	s_clause 0x34
	buffer_load_dword v0, off, s[0:3], 0 offset:12
	buffer_load_dword v1, off, s[0:3], 0 offset:20
	;; [unrolled: 1-line block ×53, first 2 shown]
	v_mov_b32_e32 v2, 0
	ds_read2_b64 v[172:175], v2 offset0:59 offset1:60
	ds_read2_b64 v[176:179], v2 offset0:61 offset1:62
	;; [unrolled: 1-line block ×3, first 2 shown]
	s_clause 0x1
	buffer_load_dword v165, off, s[0:3], 0 offset:220
	buffer_load_dword v171, off, s[0:3], 0 offset:4
	ds_read2_b64 v[184:187], v2 offset0:65 offset1:66
	s_and_b32 vcc_lo, exec_lo, s16
	s_waitcnt vmcnt(54) lgkmcnt(3)
	v_mul_f32_e32 v188, v172, v0
	v_mul_f32_e32 v0, v173, v0
	s_waitcnt vmcnt(53)
	v_mul_f32_e32 v189, v174, v1
	v_mul_f32_e32 v1, v175, v1
	s_waitcnt vmcnt(50)
	v_fmac_f32_e32 v188, v173, v7
	v_fma_f32 v0, v172, v7, -v0
	v_fmac_f32_e32 v189, v175, v6
	v_fma_f32 v1, v174, v6, -v1
	ds_read2_b64 v[172:175], v2 offset0:67 offset1:68
	s_waitcnt vmcnt(49) lgkmcnt(3)
	v_mul_f32_e32 v190, v176, v5
	v_mul_f32_e32 v5, v177, v5
	s_waitcnt vmcnt(48)
	v_mul_f32_e32 v191, v178, v4
	v_mul_f32_e32 v4, v179, v4
	s_waitcnt vmcnt(47) lgkmcnt(2)
	v_mul_f32_e32 v192, v180, v9
	v_mul_f32_e32 v7, v181, v9
	s_waitcnt vmcnt(46)
	v_mul_f32_e32 v193, v182, v8
	v_mul_f32_e32 v8, v183, v8
	v_fmac_f32_e32 v190, v177, v3
	v_fma_f32 v194, v176, v3, -v5
	s_waitcnt vmcnt(42)
	v_fmac_f32_e32 v191, v179, v131
	v_fma_f32 v131, v178, v131, -v4
	ds_read2_b64 v[3:6], v2 offset0:69 offset1:70
	ds_read2_b64 v[176:179], v2 offset0:71 offset1:72
	v_fmac_f32_e32 v192, v181, v130
	v_fma_f32 v130, v180, v130, -v7
	v_fmac_f32_e32 v193, v183, v12
	v_fma_f32 v12, v182, v12, -v8
	s_waitcnt vmcnt(41) lgkmcnt(3)
	v_mul_f32_e32 v180, v184, v129
	v_mul_f32_e32 v7, v185, v129
	s_waitcnt vmcnt(40)
	v_mul_f32_e32 v129, v186, v11
	v_mul_f32_e32 v8, v187, v11
	s_waitcnt vmcnt(35) lgkmcnt(2)
	v_mul_f32_e32 v182, v172, v162
	v_fmac_f32_e32 v180, v185, v10
	v_fma_f32 v181, v184, v10, -v7
	v_fmac_f32_e32 v129, v187, v163
	v_fma_f32 v163, v186, v163, -v8
	ds_read2_b64 v[7:10], v2 offset0:73 offset1:74
	v_mul_f32_e32 v162, v173, v162
	s_waitcnt vmcnt(34)
	v_mul_f32_e32 v183, v174, v161
	v_mul_f32_e32 v161, v175, v161
	v_fmac_f32_e32 v182, v173, v155
	s_waitcnt vmcnt(33) lgkmcnt(2)
	v_mul_f32_e32 v184, v3, v160
	v_mul_f32_e32 v160, v4, v160
	v_fma_f32 v162, v172, v155, -v162
	s_waitcnt vmcnt(32)
	v_mul_f32_e32 v172, v5, v159
	v_mul_f32_e32 v155, v6, v159
	buffer_load_dword v11, off, s[0:3], 0 offset:228
	v_fmac_f32_e32 v183, v175, v150
	v_fma_f32 v150, v174, v150, -v161
	s_waitcnt vmcnt(32) lgkmcnt(1)
	v_mul_f32_e32 v159, v176, v156
	v_mul_f32_e32 v161, v177, v156
	s_waitcnt vmcnt(31)
	v_mul_f32_e32 v173, v178, v157
	v_mul_f32_e32 v174, v179, v157
	v_fmac_f32_e32 v184, v4, v143
	v_fma_f32 v160, v3, v143, -v160
	s_waitcnt vmcnt(27)
	v_fmac_f32_e32 v172, v6, v158
	v_fma_f32 v175, v5, v158, -v155
	ds_read2_b64 v[3:6], v2 offset0:75 offset1:76
	ds_read2_b64 v[155:158], v2 offset0:77 offset1:78
	v_fmac_f32_e32 v159, v177, v154
	v_fma_f32 v154, v176, v154, -v161
	v_fmac_f32_e32 v173, v179, v151
	v_fma_f32 v151, v178, v151, -v174
	s_clause 0x3
	buffer_load_dword v161, off, s[0:3], 0 offset:248
	buffer_load_dword v174, off, s[0:3], 0 offset:240
	;; [unrolled: 1-line block ×4, first 2 shown]
	s_waitcnt vmcnt(30) lgkmcnt(2)
	v_mul_f32_e32 v178, v7, v147
	v_mul_f32_e32 v143, v8, v147
	s_waitcnt vmcnt(29)
	v_mul_f32_e32 v147, v9, v145
	v_mul_f32_e32 v145, v10, v145
	v_add_f32_e32 v0, 0, v0
	v_fmac_f32_e32 v178, v8, v137
	v_fma_f32 v137, v7, v137, -v143
	s_waitcnt vmcnt(25)
	v_fmac_f32_e32 v147, v10, v153
	v_fma_f32 v153, v9, v153, -v145
	ds_read2_b64 v[7:10], v2 offset0:79 offset1:80
	s_clause 0x1
	buffer_load_dword v186, off, s[0:3], 0 offset:236
	buffer_load_dword v187, off, s[0:3], 0 offset:244
	v_add_f32_e32 v0, v0, v1
	s_waitcnt vmcnt(26) lgkmcnt(2)
	v_mul_f32_e32 v179, v3, v152
	v_mul_f32_e32 v143, v4, v152
	s_waitcnt vmcnt(25)
	v_mul_f32_e32 v152, v5, v149
	v_mul_f32_e32 v145, v6, v149
	s_waitcnt vmcnt(24) lgkmcnt(1)
	v_mul_f32_e32 v149, v155, v148
	v_mul_f32_e32 v148, v156, v148
	v_fmac_f32_e32 v179, v4, v142
	v_fma_f32 v185, v3, v142, -v143
	v_fmac_f32_e32 v152, v6, v138
	v_fma_f32 v138, v5, v138, -v145
	s_waitcnt vmcnt(23)
	v_mul_f32_e32 v195, v157, v140
	v_mul_f32_e32 v140, v158, v140
	ds_read2_b64 v[3:6], v2 offset0:81 offset1:82
	v_fmac_f32_e32 v149, v156, v133
	v_fma_f32 v133, v155, v133, -v148
	s_waitcnt vmcnt(19)
	v_fmac_f32_e32 v195, v158, v146
	v_fma_f32 v140, v157, v146, -v140
	s_waitcnt vmcnt(18) lgkmcnt(1)
	v_mul_f32_e32 v146, v7, v144
	v_mul_f32_e32 v148, v8, v144
	ds_read2_b64 v[142:145], v2 offset0:83 offset1:84
	buffer_load_dword v158, off, s[0:3], 0 offset:260
	v_add_f32_e32 v0, v0, v194
	v_fmac_f32_e32 v146, v8, v139
	v_fma_f32 v139, v7, v139, -v148
	s_waitcnt vmcnt(18)
	v_mul_f32_e32 v148, v9, v141
	v_mul_f32_e32 v7, v10, v141
	buffer_load_dword v141, off, s[0:3], 0 offset:252
	v_add_f32_e32 v0, v0, v131
	v_fmac_f32_e32 v148, v10, v134
	v_fma_f32 v134, v9, v134, -v7
	s_waitcnt vmcnt(18) lgkmcnt(1)
	v_mul_f32_e32 v155, v3, v136
	v_mul_f32_e32 v7, v4, v136
	s_waitcnt vmcnt(17)
	v_mul_f32_e32 v8, v6, v135
	v_mul_f32_e32 v136, v5, v135
	v_add_f32_e32 v0, v0, v130
	v_fmac_f32_e32 v155, v4, v132
	v_fma_f32 v132, v3, v132, -v7
	s_waitcnt vmcnt(13)
	v_fma_f32 v135, v5, v170, -v8
	s_waitcnt vmcnt(12) lgkmcnt(0)
	v_mul_f32_e32 v156, v142, v169
	v_mul_f32_e32 v7, v143, v169
	s_waitcnt vmcnt(11)
	v_mul_f32_e32 v157, v144, v168
	v_mul_f32_e32 v8, v145, v168
	v_fmac_f32_e32 v136, v6, v170
	ds_read2_b64 v[3:6], v2 offset0:85 offset1:86
	v_fmac_f32_e32 v156, v143, v167
	v_fma_f32 v142, v142, v167, -v7
	v_fmac_f32_e32 v157, v145, v166
	v_fma_f32 v143, v144, v166, -v8
	s_clause 0x5
	buffer_load_dword v144, off, s[0:3], 0 offset:280
	buffer_load_dword v145, off, s[0:3], 0 offset:272
	;; [unrolled: 1-line block ×6, first 2 shown]
	v_add_f32_e32 v7, 0, v188
	s_clause 0x1
	buffer_load_dword v170, off, s[0:3], 0 offset:284
	buffer_load_dword v188, off, s[0:3], 0 offset:292
	v_add_f32_e32 v0, v0, v12
	v_add_f32_e32 v7, v7, v189
	;; [unrolled: 1-line block ×5, first 2 shown]
	s_waitcnt vmcnt(18) lgkmcnt(0)
	v_mul_f32_e32 v130, v3, v165
	v_add_f32_e32 v1, v1, v191
	s_clause 0x3
	buffer_load_dword v189, off, s[0:3], 0 offset:312
	buffer_load_dword v190, off, s[0:3], 0 offset:304
	;; [unrolled: 1-line block ×4, first 2 shown]
	v_add_f32_e32 v0, v0, v162
	v_mul_f32_e32 v7, v4, v165
	v_fmac_f32_e32 v130, v4, v164
	v_add_f32_e32 v1, v1, v192
	s_clause 0x2
	buffer_load_dword v192, off, s[0:3], 0 offset:300
	buffer_load_dword v196, off, s[0:3], 0 offset:308
	;; [unrolled: 1-line block ×3, first 2 shown]
	v_add_f32_e32 v0, v0, v150
	buffer_load_dword v12, off, s[0:3], 0 offset:324
	v_add_f32_e32 v1, v1, v193
	v_add_f32_e32 v0, v0, v160
	;; [unrolled: 1-line block ×38, first 2 shown]
	s_waitcnt vmcnt(24)
	v_mul_f32_e32 v165, v5, v11
	v_mul_f32_e32 v8, v6, v11
	v_fma_f32 v11, v3, v164, -v7
	v_add_f32_e32 v0, v0, v11
	s_waitcnt vmcnt(20)
	v_fmac_f32_e32 v165, v6, v177
	v_fma_f32 v131, v5, v177, -v8
	ds_read2_b64 v[3:6], v2 offset0:87 offset1:88
	s_clause 0x6
	buffer_load_dword v162, off, s[0:3], 0 offset:344
	buffer_load_dword v163, off, s[0:3], 0 offset:336
	;; [unrolled: 1-line block ×7, first 2 shown]
	ds_read2_b64 v[7:10], v2 offset0:89 offset1:90
	v_add_f32_e32 v0, v0, v131
	v_add_f32_e32 v1, v1, v165
	s_waitcnt vmcnt(26) lgkmcnt(1)
	v_mul_f32_e32 v175, v3, v186
	v_mul_f32_e32 v129, v4, v186
	s_waitcnt vmcnt(25)
	v_mul_f32_e32 v172, v5, v187
	v_mul_f32_e32 v181, v6, v187
	v_fmac_f32_e32 v175, v4, v176
	v_fma_f32 v154, v3, v176, -v129
	v_fmac_f32_e32 v172, v6, v174
	v_fma_f32 v174, v5, v174, -v181
	s_clause 0xc
	buffer_load_dword v151, off, s[0:3], 0 offset:356
	buffer_load_dword v159, off, s[0:3], 0 offset:364
	;; [unrolled: 1-line block ×13, first 2 shown]
	s_waitcnt vmcnt(37) lgkmcnt(0)
	v_mul_f32_e32 v138, v9, v158
	v_add_f32_e32 v0, v0, v154
	v_add_f32_e32 v1, v1, v175
	s_waitcnt vmcnt(36)
	v_mul_f32_e32 v3, v8, v141
	v_mul_f32_e32 v137, v7, v141
	v_add_f32_e32 v0, v0, v174
	v_add_f32_e32 v1, v1, v172
	v_fma_f32 v141, v7, v161, -v3
	v_mul_f32_e32 v3, v10, v158
	v_fmac_f32_e32 v137, v8, v161
	s_clause 0x4
	buffer_load_dword v161, off, s[0:3], 0 offset:428
	buffer_load_dword v179, off, s[0:3], 0 offset:436
	;; [unrolled: 1-line block ×5, first 2 shown]
	v_add_f32_e32 v0, v0, v141
	v_add_f32_e32 v1, v1, v137
	s_waitcnt vmcnt(37)
	v_fma_f32 v147, v9, v167, -v3
	ds_read2_b64 v[3:6], v2 offset0:91 offset1:92
	v_fmac_f32_e32 v138, v10, v167
	s_clause 0x3
	buffer_load_dword v149, off, s[0:3], 0 offset:408
	buffer_load_dword v158, off, s[0:3], 0 offset:400
	;; [unrolled: 1-line block ×4, first 2 shown]
	ds_read2_b64 v[7:10], v2 offset0:93 offset1:94
	v_add_f32_e32 v0, v0, v147
	v_add_f32_e32 v1, v1, v138
	s_waitcnt vmcnt(40) lgkmcnt(1)
	v_mul_f32_e32 v146, v3, v168
	v_mul_f32_e32 v129, v4, v168
	s_waitcnt vmcnt(39)
	v_mul_f32_e32 v148, v5, v169
	s_waitcnt vmcnt(38) lgkmcnt(0)
	v_mul_f32_e32 v133, v8, v170
	s_waitcnt vmcnt(37)
	v_mul_f32_e32 v154, v9, v188
	v_fmac_f32_e32 v146, v4, v166
	v_fma_f32 v139, v3, v166, -v129
	s_clause 0x6
	buffer_load_dword v155, off, s[0:3], 0 offset:440
	buffer_load_dword v166, off, s[0:3], 0 offset:432
	;; [unrolled: 1-line block ×6, first 2 shown]
	buffer_load_dword v201, off, s[0:3], 0
	v_mul_f32_e32 v3, v6, v169
	v_fmac_f32_e32 v148, v6, v145
	v_mul_f32_e32 v134, v10, v188
	ds_read2_b64 v[129:132], v2 offset0:97 offset1:98
	v_fma_f32 v157, v7, v144, -v133
	v_fma_f32 v11, v5, v145, -v3
	ds_read2_b64 v[3:6], v2 offset0:95 offset1:96
	v_mul_f32_e32 v145, v7, v170
	s_waitcnt vmcnt(40)
	v_fmac_f32_e32 v154, v10, v194
	v_fma_f32 v165, v9, v194, -v134
	v_add_f32_e32 v0, v0, v139
	v_add_f32_e32 v1, v1, v146
	v_fmac_f32_e32 v145, v8, v144
	ds_read2_b64 v[7:10], v2 offset0:99 offset1:100
	ds_read2_b64 v[133:136], v2 offset0:101 offset1:102
	v_add_f32_e32 v0, v0, v11
	v_add_f32_e32 v1, v1, v148
	;; [unrolled: 1-line block ×4, first 2 shown]
	s_waitcnt vmcnt(37) lgkmcnt(3)
	v_mul_f32_e32 v142, v130, v197
	v_mul_f32_e32 v172, v129, v197
	v_add_f32_e32 v0, v0, v165
	s_waitcnt lgkmcnt(2)
	v_mul_f32_e32 v140, v4, v192
	v_mul_f32_e32 v169, v3, v192
	;; [unrolled: 1-line block ×4, first 2 shown]
	v_add_f32_e32 v154, v1, v154
	v_fma_f32 v147, v3, v191, -v140
	v_fmac_f32_e32 v169, v4, v191
	v_fma_f32 v175, v5, v190, -v141
	v_fmac_f32_e32 v170, v6, v190
	s_waitcnt vmcnt(36)
	v_mul_f32_e32 v174, v131, v12
	v_mul_f32_e32 v12, v132, v12
	v_add_f32_e32 v154, v154, v169
	v_fma_f32 v188, v129, v189, -v142
	v_fmac_f32_e32 v172, v130, v189
	ds_read2_b64 v[3:6], v2 offset0:103 offset1:104
	ds_read2_b64 v[137:140], v2 offset0:105 offset1:106
	v_add_f32_e32 v154, v154, v170
	v_add_f32_e32 v154, v154, v172
	s_waitcnt vmcnt(31) lgkmcnt(3)
	v_mul_f32_e32 v11, v7, v150
	v_mul_f32_e32 v146, v8, v150
	s_waitcnt vmcnt(30)
	v_mul_f32_e32 v150, v9, v160
	v_mul_f32_e32 v148, v10, v160
	v_fma_f32 v12, v131, v177, -v12
	v_fmac_f32_e32 v174, v132, v177
	v_fma_f32 v157, v7, v164, -v146
	v_fmac_f32_e32 v150, v10, v163
	v_fma_f32 v160, v9, v163, -v148
	v_add_f32_e32 v163, v0, v147
	v_fmac_f32_e32 v11, v8, v164
	v_add_f32_e32 v154, v154, v174
	s_waitcnt vmcnt(29) lgkmcnt(2)
	v_mul_f32_e32 v169, v134, v180
	v_mul_f32_e32 v164, v133, v180
	v_add_f32_e32 v163, v163, v175
	ds_read2_b64 v[129:132], v2 offset0:107 offset1:108
	ds_read2_b64 v[141:144], v2 offset0:109 offset1:110
	v_add_f32_e32 v11, v154, v11
	v_fma_f32 v133, v133, v162, -v169
	v_fmac_f32_e32 v164, v134, v162
	v_add_f32_e32 v163, v163, v188
	ds_read2_b64 v[7:10], v2 offset0:111 offset1:112
	ds_read2_b64 v[145:148], v2 offset0:113 offset1:114
	ds_read_b64 v[0:1], v2 offset:920
	v_add_f32_e32 v11, v11, v150
	s_waitcnt vmcnt(28)
	v_mul_f32_e32 v165, v135, v151
	v_mul_f32_e32 v151, v136, v151
	v_add_f32_e32 v12, v163, v12
	s_waitcnt vmcnt(27) lgkmcnt(6)
	v_mul_f32_e32 v170, v3, v159
	v_mul_f32_e32 v159, v4, v159
	v_add_f32_e32 v11, v11, v164
	s_waitcnt vmcnt(26)
	v_mul_f32_e32 v169, v6, v176
	v_add_f32_e32 v12, v12, v157
	s_waitcnt vmcnt(21)
	v_fma_f32 v135, v135, v186, -v151
	v_fmac_f32_e32 v165, v136, v186
	v_fmac_f32_e32 v170, v4, v184
	v_fma_f32 v3, v3, v184, -v159
	v_add_f32_e32 v12, v12, v160
	v_mul_f32_e32 v175, v5, v176
	v_add_f32_e32 v11, v11, v165
	v_fma_f32 v5, v5, v183, -v169
	s_waitcnt lgkmcnt(5)
	v_mul_f32_e32 v172, v137, v181
	v_add_f32_e32 v12, v12, v133
	v_fmac_f32_e32 v175, v6, v183
	s_waitcnt vmcnt(20)
	v_mul_f32_e32 v6, v140, v173
	v_mul_f32_e32 v163, v139, v173
	v_fmac_f32_e32 v172, v138, v182
	v_add_f32_e32 v4, v12, v135
	v_mul_f32_e32 v12, v138, v181
	s_waitcnt vmcnt(19) lgkmcnt(4)
	v_mul_f32_e32 v134, v129, v187
	s_waitcnt vmcnt(18)
	v_mul_f32_e32 v162, v131, v153
	s_waitcnt vmcnt(17) lgkmcnt(3)
	v_mul_f32_e32 v157, v141, v178
	v_add_f32_e32 v3, v4, v3
	v_add_f32_e32 v4, v11, v170
	v_fma_f32 v11, v137, v182, -v12
	s_waitcnt vmcnt(16)
	v_mul_f32_e32 v154, v143, v193
	s_waitcnt vmcnt(15) lgkmcnt(2)
	v_mul_f32_e32 v136, v7, v161
	v_add_f32_e32 v3, v3, v5
	v_add_f32_e32 v4, v4, v175
	v_mul_f32_e32 v5, v130, v187
	s_waitcnt vmcnt(14)
	v_mul_f32_e32 v151, v9, v179
	s_waitcnt vmcnt(13) lgkmcnt(1)
	v_mul_f32_e32 v150, v145, v185
	v_add_f32_e32 v3, v3, v11
	v_add_f32_e32 v4, v4, v172
	v_mul_f32_e32 v11, v132, v153
	s_waitcnt vmcnt(8)
	v_fma_f32 v5, v129, v167, -v5
	s_waitcnt vmcnt(7)
	v_fma_f32 v6, v139, v195, -v6
	v_fmac_f32_e32 v163, v140, v195
	v_fmac_f32_e32 v134, v130, v167
	v_fma_f32 v11, v131, v158, -v11
	v_fmac_f32_e32 v162, v132, v158
	v_add_f32_e32 v3, v3, v6
	v_add_f32_e32 v4, v4, v163
	v_mul_f32_e32 v6, v142, v178
	v_fmac_f32_e32 v157, v142, v149
	v_mul_f32_e32 v160, v147, v198
	v_add_f32_e32 v3, v3, v5
	v_add_f32_e32 v4, v4, v134
	v_mul_f32_e32 v5, v144, v193
	v_fma_f32 v6, v141, v149, -v6
	s_waitcnt lgkmcnt(0)
	v_mul_f32_e32 v133, v0, v152
	v_add_f32_e32 v3, v3, v11
	v_add_f32_e32 v4, v4, v162
	v_mul_f32_e32 v11, v8, v161
	v_add_f32_e32 v3, v3, v6
	v_add_f32_e32 v4, v4, v157
	v_mul_f32_e32 v6, v10, v179
	s_waitcnt vmcnt(5)
	v_fmac_f32_e32 v151, v10, v166
	s_waitcnt vmcnt(4)
	v_fma_f32 v7, v7, v168, -v11
	s_waitcnt vmcnt(3)
	v_fma_f32 v5, v143, v199, -v5
	v_fmac_f32_e32 v154, v144, v199
	v_fmac_f32_e32 v136, v8, v168
	v_fma_f32 v6, v9, v166, -v6
	v_fmac_f32_e32 v150, v146, v155
	v_add_f32_e32 v3, v3, v5
	v_add_f32_e32 v4, v4, v154
	v_mul_f32_e32 v5, v146, v185
	s_waitcnt vmcnt(1)
	v_fmac_f32_e32 v160, v148, v200
	v_fmac_f32_e32 v133, v1, v156
	v_add_f32_e32 v3, v3, v7
	v_add_f32_e32 v4, v4, v136
	v_mul_f32_e32 v7, v148, v198
	v_fma_f32 v5, v145, v155, -v5
	v_add_f32_e32 v3, v3, v6
	v_add_f32_e32 v4, v4, v151
	v_mul_f32_e32 v6, v1, v152
	v_fma_f32 v7, v147, v200, -v7
	v_add_f32_e32 v3, v3, v5
	v_add_f32_e32 v4, v4, v150
	v_fma_f32 v0, v0, v156, -v6
	v_add_f32_e32 v1, v3, v7
	v_add_f32_e32 v3, v4, v160
	;; [unrolled: 1-line block ×4, first 2 shown]
	s_waitcnt vmcnt(0)
	v_sub_f32_e32 v0, v201, v0
	v_sub_f32_e32 v1, v171, v1
	buffer_store_dword v0, off, s[0:3], 0
	buffer_store_dword v1, off, s[0:3], 0 offset:4
	s_cbranch_vccz .LBB121_476
; %bb.362:
	global_load_dword v0, v2, s[12:13] offset:224
	s_waitcnt vmcnt(0)
	v_add_nc_u32_e32 v0, -1, v0
	v_cmp_ne_u32_e32 vcc_lo, 56, v0
	s_cbranch_vccz .LBB121_364
; %bb.363:
	v_lshlrev_b32_e32 v0, 3, v0
	s_clause 0x3
	buffer_load_dword v1, v0, s[0:3], 0 offen
	buffer_load_dword v2, v0, s[0:3], 0 offen offset:4
	buffer_load_dword v3, off, s[0:3], 0 offset:452
	buffer_load_dword v4, off, s[0:3], 0 offset:448
	s_waitcnt vmcnt(3)
	buffer_store_dword v1, off, s[0:3], 0 offset:448
	s_waitcnt vmcnt(2)
	buffer_store_dword v2, off, s[0:3], 0 offset:452
	s_waitcnt vmcnt(1)
	buffer_store_dword v3, v0, s[0:3], 0 offen offset:4
	s_waitcnt vmcnt(0)
	buffer_store_dword v4, v0, s[0:3], 0 offen
.LBB121_364:
	v_mov_b32_e32 v0, 0
	global_load_dword v1, v0, s[12:13] offset:220
	s_waitcnt vmcnt(0)
	v_add_nc_u32_e32 v1, -1, v1
	v_cmp_eq_u32_e32 vcc_lo, 55, v1
	s_cbranch_vccnz .LBB121_366
; %bb.365:
	v_lshlrev_b32_e32 v1, 3, v1
	s_clause 0x3
	buffer_load_dword v2, v1, s[0:3], 0 offen
	buffer_load_dword v3, v1, s[0:3], 0 offen offset:4
	buffer_load_dword v4, off, s[0:3], 0 offset:440
	buffer_load_dword v5, off, s[0:3], 0 offset:444
	s_waitcnt vmcnt(3)
	buffer_store_dword v2, off, s[0:3], 0 offset:440
	s_waitcnt vmcnt(2)
	buffer_store_dword v3, off, s[0:3], 0 offset:444
	s_waitcnt vmcnt(1)
	buffer_store_dword v4, v1, s[0:3], 0 offen
	s_waitcnt vmcnt(0)
	buffer_store_dword v5, v1, s[0:3], 0 offen offset:4
.LBB121_366:
	global_load_dword v0, v0, s[12:13] offset:216
	s_waitcnt vmcnt(0)
	v_add_nc_u32_e32 v0, -1, v0
	v_cmp_eq_u32_e32 vcc_lo, 54, v0
	s_cbranch_vccnz .LBB121_368
; %bb.367:
	v_lshlrev_b32_e32 v0, 3, v0
	s_clause 0x3
	buffer_load_dword v1, v0, s[0:3], 0 offen
	buffer_load_dword v2, v0, s[0:3], 0 offen offset:4
	buffer_load_dword v3, off, s[0:3], 0 offset:436
	buffer_load_dword v4, off, s[0:3], 0 offset:432
	s_waitcnt vmcnt(3)
	buffer_store_dword v1, off, s[0:3], 0 offset:432
	s_waitcnt vmcnt(2)
	buffer_store_dword v2, off, s[0:3], 0 offset:436
	s_waitcnt vmcnt(1)
	buffer_store_dword v3, v0, s[0:3], 0 offen offset:4
	s_waitcnt vmcnt(0)
	buffer_store_dword v4, v0, s[0:3], 0 offen
.LBB121_368:
	v_mov_b32_e32 v0, 0
	global_load_dword v1, v0, s[12:13] offset:212
	s_waitcnt vmcnt(0)
	v_add_nc_u32_e32 v1, -1, v1
	v_cmp_eq_u32_e32 vcc_lo, 53, v1
	s_cbranch_vccnz .LBB121_370
; %bb.369:
	v_lshlrev_b32_e32 v1, 3, v1
	s_clause 0x3
	buffer_load_dword v2, v1, s[0:3], 0 offen
	buffer_load_dword v3, v1, s[0:3], 0 offen offset:4
	buffer_load_dword v4, off, s[0:3], 0 offset:424
	buffer_load_dword v5, off, s[0:3], 0 offset:428
	s_waitcnt vmcnt(3)
	buffer_store_dword v2, off, s[0:3], 0 offset:424
	s_waitcnt vmcnt(2)
	buffer_store_dword v3, off, s[0:3], 0 offset:428
	s_waitcnt vmcnt(1)
	buffer_store_dword v4, v1, s[0:3], 0 offen
	s_waitcnt vmcnt(0)
	buffer_store_dword v5, v1, s[0:3], 0 offen offset:4
.LBB121_370:
	global_load_dword v0, v0, s[12:13] offset:208
	s_waitcnt vmcnt(0)
	v_add_nc_u32_e32 v0, -1, v0
	v_cmp_eq_u32_e32 vcc_lo, 52, v0
	s_cbranch_vccnz .LBB121_372
; %bb.371:
	v_lshlrev_b32_e32 v0, 3, v0
	s_clause 0x3
	buffer_load_dword v1, v0, s[0:3], 0 offen
	buffer_load_dword v2, v0, s[0:3], 0 offen offset:4
	buffer_load_dword v3, off, s[0:3], 0 offset:420
	buffer_load_dword v4, off, s[0:3], 0 offset:416
	s_waitcnt vmcnt(3)
	buffer_store_dword v1, off, s[0:3], 0 offset:416
	s_waitcnt vmcnt(2)
	buffer_store_dword v2, off, s[0:3], 0 offset:420
	s_waitcnt vmcnt(1)
	buffer_store_dword v3, v0, s[0:3], 0 offen offset:4
	s_waitcnt vmcnt(0)
	buffer_store_dword v4, v0, s[0:3], 0 offen
.LBB121_372:
	;; [unrolled: 43-line block ×27, first 2 shown]
	v_mov_b32_e32 v0, 0
	global_load_dword v1, v0, s[12:13] offset:4
	s_waitcnt vmcnt(0)
	v_add_nc_u32_e32 v1, -1, v1
	v_cmp_eq_u32_e32 vcc_lo, 1, v1
	s_cbranch_vccnz .LBB121_474
; %bb.473:
	v_lshlrev_b32_e32 v1, 3, v1
	s_clause 0x3
	buffer_load_dword v2, v1, s[0:3], 0 offen
	buffer_load_dword v3, v1, s[0:3], 0 offen offset:4
	buffer_load_dword v4, off, s[0:3], 0 offset:8
	buffer_load_dword v5, off, s[0:3], 0 offset:12
	s_waitcnt vmcnt(3)
	buffer_store_dword v2, off, s[0:3], 0 offset:8
	s_waitcnt vmcnt(2)
	buffer_store_dword v3, off, s[0:3], 0 offset:12
	s_waitcnt vmcnt(1)
	buffer_store_dword v4, v1, s[0:3], 0 offen
	s_waitcnt vmcnt(0)
	buffer_store_dword v5, v1, s[0:3], 0 offen offset:4
.LBB121_474:
	global_load_dword v0, v0, s[12:13]
	s_waitcnt vmcnt(0)
	v_add_nc_u32_e32 v0, -1, v0
	v_cmp_eq_u32_e32 vcc_lo, 0, v0
	s_cbranch_vccnz .LBB121_476
; %bb.475:
	v_lshlrev_b32_e32 v0, 3, v0
	s_clause 0x3
	buffer_load_dword v1, v0, s[0:3], 0 offen
	buffer_load_dword v2, v0, s[0:3], 0 offen offset:4
	buffer_load_dword v3, off, s[0:3], 0 offset:4
	buffer_load_dword v4, off, s[0:3], 0
	s_waitcnt vmcnt(3)
	buffer_store_dword v1, off, s[0:3], 0
	s_waitcnt vmcnt(2)
	buffer_store_dword v2, off, s[0:3], 0 offset:4
	s_waitcnt vmcnt(1)
	buffer_store_dword v3, v0, s[0:3], 0 offen offset:4
	s_waitcnt vmcnt(0)
	buffer_store_dword v4, v0, s[0:3], 0 offen
.LBB121_476:
	s_clause 0x1
	buffer_load_dword v0, off, s[0:3], 0
	buffer_load_dword v1, off, s[0:3], 0 offset:4
	s_waitcnt vmcnt(0)
	flat_store_dwordx2 v[13:14], v[0:1]
	s_clause 0x1
	buffer_load_dword v0, off, s[0:3], 0 offset:8
	buffer_load_dword v1, off, s[0:3], 0 offset:12
	s_waitcnt vmcnt(0)
	flat_store_dwordx2 v[15:16], v[0:1]
	s_clause 0x1
	buffer_load_dword v0, off, s[0:3], 0 offset:16
	;; [unrolled: 5-line block ×57, first 2 shown]
	buffer_load_dword v1, off, s[0:3], 0 offset:460
	s_waitcnt vmcnt(0)
	flat_store_dwordx2 v[127:128], v[0:1]
	s_endpgm
	.section	.rodata,"a",@progbits
	.p2align	6, 0x0
	.amdhsa_kernel _ZN9rocsolver6v33100L18getri_kernel_smallILi58E19rocblas_complex_numIfEPKPS3_EEvT1_iilPiilS8_bb
		.amdhsa_group_segment_fixed_size 932
		.amdhsa_private_segment_fixed_size 480
		.amdhsa_kernarg_size 60
		.amdhsa_user_sgpr_count 6
		.amdhsa_user_sgpr_private_segment_buffer 1
		.amdhsa_user_sgpr_dispatch_ptr 0
		.amdhsa_user_sgpr_queue_ptr 0
		.amdhsa_user_sgpr_kernarg_segment_ptr 1
		.amdhsa_user_sgpr_dispatch_id 0
		.amdhsa_user_sgpr_flat_scratch_init 0
		.amdhsa_user_sgpr_private_segment_size 0
		.amdhsa_wavefront_size32 1
		.amdhsa_uses_dynamic_stack 0
		.amdhsa_system_sgpr_private_segment_wavefront_offset 1
		.amdhsa_system_sgpr_workgroup_id_x 1
		.amdhsa_system_sgpr_workgroup_id_y 0
		.amdhsa_system_sgpr_workgroup_id_z 0
		.amdhsa_system_sgpr_workgroup_info 0
		.amdhsa_system_vgpr_workitem_id 0
		.amdhsa_next_free_vgpr 250
		.amdhsa_next_free_sgpr 20
		.amdhsa_reserve_vcc 1
		.amdhsa_reserve_flat_scratch 0
		.amdhsa_float_round_mode_32 0
		.amdhsa_float_round_mode_16_64 0
		.amdhsa_float_denorm_mode_32 3
		.amdhsa_float_denorm_mode_16_64 3
		.amdhsa_dx10_clamp 1
		.amdhsa_ieee_mode 1
		.amdhsa_fp16_overflow 0
		.amdhsa_workgroup_processor_mode 1
		.amdhsa_memory_ordered 1
		.amdhsa_forward_progress 1
		.amdhsa_shared_vgpr_count 0
		.amdhsa_exception_fp_ieee_invalid_op 0
		.amdhsa_exception_fp_denorm_src 0
		.amdhsa_exception_fp_ieee_div_zero 0
		.amdhsa_exception_fp_ieee_overflow 0
		.amdhsa_exception_fp_ieee_underflow 0
		.amdhsa_exception_fp_ieee_inexact 0
		.amdhsa_exception_int_div_zero 0
	.end_amdhsa_kernel
	.section	.text._ZN9rocsolver6v33100L18getri_kernel_smallILi58E19rocblas_complex_numIfEPKPS3_EEvT1_iilPiilS8_bb,"axG",@progbits,_ZN9rocsolver6v33100L18getri_kernel_smallILi58E19rocblas_complex_numIfEPKPS3_EEvT1_iilPiilS8_bb,comdat
.Lfunc_end121:
	.size	_ZN9rocsolver6v33100L18getri_kernel_smallILi58E19rocblas_complex_numIfEPKPS3_EEvT1_iilPiilS8_bb, .Lfunc_end121-_ZN9rocsolver6v33100L18getri_kernel_smallILi58E19rocblas_complex_numIfEPKPS3_EEvT1_iilPiilS8_bb
                                        ; -- End function
	.set _ZN9rocsolver6v33100L18getri_kernel_smallILi58E19rocblas_complex_numIfEPKPS3_EEvT1_iilPiilS8_bb.num_vgpr, 250
	.set _ZN9rocsolver6v33100L18getri_kernel_smallILi58E19rocblas_complex_numIfEPKPS3_EEvT1_iilPiilS8_bb.num_agpr, 0
	.set _ZN9rocsolver6v33100L18getri_kernel_smallILi58E19rocblas_complex_numIfEPKPS3_EEvT1_iilPiilS8_bb.numbered_sgpr, 20
	.set _ZN9rocsolver6v33100L18getri_kernel_smallILi58E19rocblas_complex_numIfEPKPS3_EEvT1_iilPiilS8_bb.num_named_barrier, 0
	.set _ZN9rocsolver6v33100L18getri_kernel_smallILi58E19rocblas_complex_numIfEPKPS3_EEvT1_iilPiilS8_bb.private_seg_size, 480
	.set _ZN9rocsolver6v33100L18getri_kernel_smallILi58E19rocblas_complex_numIfEPKPS3_EEvT1_iilPiilS8_bb.uses_vcc, 1
	.set _ZN9rocsolver6v33100L18getri_kernel_smallILi58E19rocblas_complex_numIfEPKPS3_EEvT1_iilPiilS8_bb.uses_flat_scratch, 0
	.set _ZN9rocsolver6v33100L18getri_kernel_smallILi58E19rocblas_complex_numIfEPKPS3_EEvT1_iilPiilS8_bb.has_dyn_sized_stack, 0
	.set _ZN9rocsolver6v33100L18getri_kernel_smallILi58E19rocblas_complex_numIfEPKPS3_EEvT1_iilPiilS8_bb.has_recursion, 0
	.set _ZN9rocsolver6v33100L18getri_kernel_smallILi58E19rocblas_complex_numIfEPKPS3_EEvT1_iilPiilS8_bb.has_indirect_call, 0
	.section	.AMDGPU.csdata,"",@progbits
; Kernel info:
; codeLenInByte = 124460
; TotalNumSgprs: 22
; NumVgprs: 250
; ScratchSize: 480
; MemoryBound: 0
; FloatMode: 240
; IeeeMode: 1
; LDSByteSize: 932 bytes/workgroup (compile time only)
; SGPRBlocks: 0
; VGPRBlocks: 31
; NumSGPRsForWavesPerEU: 22
; NumVGPRsForWavesPerEU: 250
; Occupancy: 4
; WaveLimiterHint : 1
; COMPUTE_PGM_RSRC2:SCRATCH_EN: 1
; COMPUTE_PGM_RSRC2:USER_SGPR: 6
; COMPUTE_PGM_RSRC2:TRAP_HANDLER: 0
; COMPUTE_PGM_RSRC2:TGID_X_EN: 1
; COMPUTE_PGM_RSRC2:TGID_Y_EN: 0
; COMPUTE_PGM_RSRC2:TGID_Z_EN: 0
; COMPUTE_PGM_RSRC2:TIDIG_COMP_CNT: 0
	.section	.text._ZN9rocsolver6v33100L18getri_kernel_smallILi59E19rocblas_complex_numIfEPKPS3_EEvT1_iilPiilS8_bb,"axG",@progbits,_ZN9rocsolver6v33100L18getri_kernel_smallILi59E19rocblas_complex_numIfEPKPS3_EEvT1_iilPiilS8_bb,comdat
	.globl	_ZN9rocsolver6v33100L18getri_kernel_smallILi59E19rocblas_complex_numIfEPKPS3_EEvT1_iilPiilS8_bb ; -- Begin function _ZN9rocsolver6v33100L18getri_kernel_smallILi59E19rocblas_complex_numIfEPKPS3_EEvT1_iilPiilS8_bb
	.p2align	8
	.type	_ZN9rocsolver6v33100L18getri_kernel_smallILi59E19rocblas_complex_numIfEPKPS3_EEvT1_iilPiilS8_bb,@function
_ZN9rocsolver6v33100L18getri_kernel_smallILi59E19rocblas_complex_numIfEPKPS3_EEvT1_iilPiilS8_bb: ; @_ZN9rocsolver6v33100L18getri_kernel_smallILi59E19rocblas_complex_numIfEPKPS3_EEvT1_iilPiilS8_bb
; %bb.0:
	s_add_u32 s0, s0, s7
	s_addc_u32 s1, s1, 0
	s_mov_b32 s7, exec_lo
	v_cmpx_gt_u32_e32 59, v0
	s_cbranch_execz .LBB122_250
; %bb.1:
	s_clause 0x2
	s_load_dword s17, s[4:5], 0x38
	s_load_dwordx2 s[12:13], s[4:5], 0x0
	s_load_dwordx4 s[8:11], s[4:5], 0x28
	s_waitcnt lgkmcnt(0)
	s_bitcmp1_b32 s17, 8
	s_cselect_b32 s16, -1, 0
	s_ashr_i32 s7, s6, 31
	s_lshl_b64 s[14:15], s[6:7], 3
	s_add_u32 s12, s12, s14
	s_addc_u32 s13, s13, s15
	s_load_dwordx2 s[14:15], s[12:13], 0x0
	s_bfe_u32 s12, s17, 0x10008
	s_cmp_eq_u32 s12, 0
                                        ; implicit-def: $sgpr12_sgpr13
	s_cbranch_scc1 .LBB122_3
; %bb.2:
	s_clause 0x1
	s_load_dword s12, s[4:5], 0x20
	s_load_dwordx2 s[18:19], s[4:5], 0x18
	s_mul_i32 s13, s8, s7
	s_mul_hi_u32 s17, s8, s6
	s_mul_i32 s9, s9, s6
	s_add_i32 s13, s17, s13
	s_mul_i32 s8, s8, s6
	s_add_i32 s9, s13, s9
	s_lshl_b64 s[8:9], s[8:9], 2
	s_waitcnt lgkmcnt(0)
	s_ashr_i32 s13, s12, 31
	s_add_u32 s17, s18, s8
	s_addc_u32 s18, s19, s9
	s_lshl_b64 s[8:9], s[12:13], 2
	s_add_u32 s12, s17, s8
	s_addc_u32 s13, s18, s9
.LBB122_3:
	s_clause 0x1
	s_load_dwordx2 s[8:9], s[4:5], 0x8
	s_load_dword s17, s[4:5], 0x38
	v_lshlrev_b32_e32 v3, 3, v0
	s_waitcnt lgkmcnt(0)
	s_ashr_i32 s5, s8, 31
	s_mov_b32 s4, s8
	v_add3_u32 v4, s9, s9, v0
	s_lshl_b64 s[4:5], s[4:5], 3
	s_add_u32 s4, s14, s4
	s_addc_u32 s5, s15, s5
	v_add_co_u32 v13, s8, s4, v3
	v_add_co_ci_u32_e64 v14, null, s5, 0, s8
	s_mov_b32 s14, s9
	s_ashr_i32 s15, s9, 31
	v_ashrrev_i32_e32 v5, 31, v4
	flat_load_dwordx2 v[1:2], v[13:14]
	s_lshl_b64 s[14:15], s[14:15], 3
	s_bitcmp0_b32 s17, 0
	v_add_co_u32 v15, vcc_lo, v13, s14
	v_add_co_ci_u32_e64 v16, null, s15, v14, vcc_lo
	v_lshlrev_b64 v[5:6], 3, v[4:5]
	v_add_nc_u32_e32 v4, s9, v4
	s_waitcnt vmcnt(0) lgkmcnt(0)
	buffer_store_dword v2, off, s[0:3], 0 offset:4
	buffer_store_dword v1, off, s[0:3], 0
	flat_load_dwordx2 v[1:2], v[15:16]
	v_add_co_u32 v17, vcc_lo, s4, v5
	v_add_co_ci_u32_e64 v18, null, s5, v6, vcc_lo
	v_ashrrev_i32_e32 v5, 31, v4
	s_waitcnt vmcnt(0) lgkmcnt(0)
	buffer_store_dword v2, off, s[0:3], 0 offset:12
	buffer_store_dword v1, off, s[0:3], 0 offset:8
	flat_load_dwordx2 v[1:2], v[17:18]
	v_lshlrev_b64 v[5:6], 3, v[4:5]
	v_add_nc_u32_e32 v4, s9, v4
	s_waitcnt vmcnt(0) lgkmcnt(0)
	buffer_store_dword v2, off, s[0:3], 0 offset:20
	buffer_store_dword v1, off, s[0:3], 0 offset:16
	v_add_co_u32 v19, vcc_lo, s4, v5
	v_add_co_ci_u32_e64 v20, null, s5, v6, vcc_lo
	v_ashrrev_i32_e32 v5, 31, v4
	flat_load_dwordx2 v[1:2], v[19:20]
	s_waitcnt vmcnt(0) lgkmcnt(0)
	buffer_store_dword v2, off, s[0:3], 0 offset:28
	buffer_store_dword v1, off, s[0:3], 0 offset:24
	v_lshlrev_b64 v[5:6], 3, v[4:5]
	v_add_nc_u32_e32 v4, s9, v4
	v_add_co_u32 v21, vcc_lo, s4, v5
	v_add_co_ci_u32_e64 v22, null, s5, v6, vcc_lo
	v_ashrrev_i32_e32 v5, 31, v4
	flat_load_dwordx2 v[1:2], v[21:22]
	s_waitcnt vmcnt(0) lgkmcnt(0)
	buffer_store_dword v2, off, s[0:3], 0 offset:36
	buffer_store_dword v1, off, s[0:3], 0 offset:32
	v_lshlrev_b64 v[5:6], 3, v[4:5]
	v_add_nc_u32_e32 v4, s9, v4
	;; [unrolled: 9-line block ×54, first 2 shown]
	v_add_co_u32 v127, vcc_lo, s4, v5
	v_add_co_ci_u32_e64 v128, null, s5, v6, vcc_lo
	v_ashrrev_i32_e32 v5, 31, v4
	flat_load_dwordx2 v[1:2], v[127:128]
	s_waitcnt vmcnt(0) lgkmcnt(0)
	buffer_store_dword v2, off, s[0:3], 0 offset:460
	buffer_store_dword v1, off, s[0:3], 0 offset:456
	v_lshlrev_b64 v[4:5], 3, v[4:5]
	v_add_co_u32 v129, vcc_lo, s4, v4
	v_add_co_ci_u32_e64 v130, null, s5, v5, vcc_lo
	s_mov_b32 s5, -1
	flat_load_dwordx2 v[1:2], v[129:130]
	s_waitcnt vmcnt(0) lgkmcnt(0)
	buffer_store_dword v2, off, s[0:3], 0 offset:468
	buffer_store_dword v1, off, s[0:3], 0 offset:464
	s_cbranch_scc1 .LBB122_248
; %bb.4:
	v_cmp_eq_u32_e64 s4, 0, v0
	s_and_saveexec_b32 s5, s4
; %bb.5:
	v_mov_b32_e32 v1, 0
	ds_write_b32 v1, v1 offset:472
; %bb.6:
	s_or_b32 exec_lo, exec_lo, s5
	v_lshl_add_u32 v5, v0, 3, 0
	s_waitcnt lgkmcnt(0)
	s_waitcnt_vscnt null, 0x0
	s_barrier
	buffer_gl0_inv
	s_clause 0x1
	buffer_load_dword v1, v5, s[0:3], 0 offen
	buffer_load_dword v2, v5, s[0:3], 0 offen offset:4
	s_waitcnt vmcnt(1)
	v_cmp_eq_f32_e32 vcc_lo, 0, v1
	s_waitcnt vmcnt(0)
	v_cmp_eq_f32_e64 s5, 0, v2
	s_and_b32 s5, vcc_lo, s5
	s_and_saveexec_b32 s8, s5
	s_cbranch_execz .LBB122_10
; %bb.7:
	v_mov_b32_e32 v1, 0
	s_mov_b32 s9, 0
	ds_read_b32 v2, v1 offset:472
	s_waitcnt lgkmcnt(0)
	v_readfirstlane_b32 s5, v2
	v_add_nc_u32_e32 v2, 1, v0
	s_cmp_eq_u32 s5, 0
	v_cmp_gt_i32_e32 vcc_lo, s5, v2
	s_cselect_b32 s14, -1, 0
	s_or_b32 s14, s14, vcc_lo
	s_and_b32 exec_lo, exec_lo, s14
	s_cbranch_execz .LBB122_10
; %bb.8:
	v_mov_b32_e32 v4, s5
.LBB122_9:                              ; =>This Inner Loop Header: Depth=1
	ds_cmpst_rtn_b32 v4, v1, v4, v2 offset:472
	s_waitcnt lgkmcnt(0)
	v_cmp_ne_u32_e32 vcc_lo, 0, v4
	v_cmp_le_i32_e64 s5, v4, v2
	s_and_b32 s5, vcc_lo, s5
	s_and_b32 s5, exec_lo, s5
	s_or_b32 s9, s5, s9
	s_andn2_b32 exec_lo, exec_lo, s9
	s_cbranch_execnz .LBB122_9
.LBB122_10:
	s_or_b32 exec_lo, exec_lo, s8
	v_mov_b32_e32 v1, 0
	s_barrier
	buffer_gl0_inv
	ds_read_b32 v2, v1 offset:472
	s_and_saveexec_b32 s5, s4
	s_cbranch_execz .LBB122_12
; %bb.11:
	s_lshl_b64 s[8:9], s[6:7], 2
	s_add_u32 s8, s10, s8
	s_addc_u32 s9, s11, s9
	s_waitcnt lgkmcnt(0)
	global_store_dword v1, v2, s[8:9]
.LBB122_12:
	s_or_b32 exec_lo, exec_lo, s5
	s_waitcnt lgkmcnt(0)
	v_cmp_ne_u32_e32 vcc_lo, 0, v2
	s_mov_b32 s5, 0
	s_cbranch_vccnz .LBB122_248
; %bb.13:
	s_clause 0x1
	buffer_load_dword v2, v5, s[0:3], 0 offen
	buffer_load_dword v4, v5, s[0:3], 0 offen offset:4
                                        ; implicit-def: $vgpr7
                                        ; implicit-def: $vgpr6
                                        ; implicit-def: $vgpr1
	s_waitcnt vmcnt(0)
	v_cmp_ngt_f32_e64 s5, |v2|, |v4|
	s_and_saveexec_b32 s8, s5
	s_xor_b32 s5, exec_lo, s8
	s_cbranch_execz .LBB122_15
; %bb.14:
	v_div_scale_f32 v1, null, v4, v4, v2
	v_div_scale_f32 v8, vcc_lo, v2, v4, v2
	v_rcp_f32_e32 v6, v1
	v_fma_f32 v7, -v1, v6, 1.0
	v_fmac_f32_e32 v6, v7, v6
	v_mul_f32_e32 v7, v8, v6
	v_fma_f32 v9, -v1, v7, v8
	v_fmac_f32_e32 v7, v9, v6
	v_fma_f32 v1, -v1, v7, v8
	v_div_fmas_f32 v1, v1, v6, v7
	v_div_fixup_f32 v1, v1, v4, v2
	v_fmac_f32_e32 v4, v2, v1
	v_div_scale_f32 v2, null, v4, v4, 1.0
	v_rcp_f32_e32 v6, v2
	v_fma_f32 v7, -v2, v6, 1.0
	v_fmac_f32_e32 v6, v7, v6
	v_div_scale_f32 v7, vcc_lo, 1.0, v4, 1.0
	v_mul_f32_e32 v8, v7, v6
	v_fma_f32 v9, -v2, v8, v7
	v_fmac_f32_e32 v8, v9, v6
	v_fma_f32 v2, -v2, v8, v7
	v_div_fmas_f32 v2, v2, v6, v8
	v_div_fixup_f32 v2, v2, v4, 1.0
                                        ; implicit-def: $vgpr4
	v_mul_f32_e32 v7, v1, v2
	v_xor_b32_e32 v6, 0x80000000, v2
                                        ; implicit-def: $vgpr2
	v_xor_b32_e32 v1, 0x80000000, v7
.LBB122_15:
	s_andn2_saveexec_b32 s5, s5
	s_cbranch_execz .LBB122_17
; %bb.16:
	v_div_scale_f32 v1, null, v2, v2, v4
	v_div_scale_f32 v8, vcc_lo, v4, v2, v4
	v_rcp_f32_e32 v6, v1
	v_fma_f32 v7, -v1, v6, 1.0
	v_fmac_f32_e32 v6, v7, v6
	v_mul_f32_e32 v7, v8, v6
	v_fma_f32 v9, -v1, v7, v8
	v_fmac_f32_e32 v7, v9, v6
	v_fma_f32 v1, -v1, v7, v8
	v_div_fmas_f32 v1, v1, v6, v7
	v_div_fixup_f32 v6, v1, v2, v4
	v_fmac_f32_e32 v2, v4, v6
	v_div_scale_f32 v1, null, v2, v2, 1.0
	v_div_scale_f32 v8, vcc_lo, 1.0, v2, 1.0
	v_rcp_f32_e32 v4, v1
	v_fma_f32 v7, -v1, v4, 1.0
	v_fmac_f32_e32 v4, v7, v4
	v_mul_f32_e32 v7, v8, v4
	v_fma_f32 v9, -v1, v7, v8
	v_fmac_f32_e32 v7, v9, v4
	v_fma_f32 v1, -v1, v7, v8
	v_div_fmas_f32 v1, v1, v4, v7
	v_div_fixup_f32 v7, v1, v2, 1.0
	v_xor_b32_e32 v1, 0x80000000, v7
	v_mul_f32_e64 v6, v6, -v7
.LBB122_17:
	s_or_b32 exec_lo, exec_lo, s5
	buffer_store_dword v7, v5, s[0:3], 0 offen
	buffer_store_dword v6, v5, s[0:3], 0 offen offset:4
	s_clause 0x1
	buffer_load_dword v8, off, s[0:3], 0 offset:12
	buffer_load_dword v7, off, s[0:3], 0 offset:8
	v_xor_b32_e32 v2, 0x80000000, v6
	v_add_nc_u32_e32 v4, 0x1e0, v3
	s_waitcnt vmcnt(0)
	ds_write2_b64 v3, v[1:2], v[7:8] offset1:60
	s_waitcnt lgkmcnt(0)
	s_waitcnt_vscnt null, 0x0
	s_barrier
	buffer_gl0_inv
	s_and_saveexec_b32 s5, s4
	s_cbranch_execz .LBB122_19
; %bb.18:
	s_clause 0x1
	buffer_load_dword v8, v5, s[0:3], 0 offen offset:4
	buffer_load_dword v9, v5, s[0:3], 0 offen
	ds_read_b64 v[1:2], v4
	v_mov_b32_e32 v6, 0
	ds_read_b64 v[6:7], v6 offset:8
	s_waitcnt vmcnt(1) lgkmcnt(1)
	v_mul_f32_e32 v10, v1, v8
	v_mul_f32_e32 v8, v2, v8
	s_waitcnt vmcnt(0)
	v_fmac_f32_e32 v10, v2, v9
	v_fma_f32 v1, v1, v9, -v8
	v_add_f32_e32 v2, 0, v10
	v_add_f32_e32 v1, 0, v1
	s_waitcnt lgkmcnt(0)
	v_mul_f32_e32 v8, v2, v7
	v_mul_f32_e32 v7, v1, v7
	v_fma_f32 v1, v1, v6, -v8
	v_fmac_f32_e32 v7, v2, v6
	buffer_store_dword v1, off, s[0:3], 0 offset:8
	buffer_store_dword v7, off, s[0:3], 0 offset:12
.LBB122_19:
	s_or_b32 exec_lo, exec_lo, s5
	s_waitcnt_vscnt null, 0x0
	s_barrier
	buffer_gl0_inv
	s_clause 0x1
	buffer_load_dword v1, off, s[0:3], 0 offset:16
	buffer_load_dword v2, off, s[0:3], 0 offset:20
	s_mov_b32 s5, exec_lo
	s_waitcnt vmcnt(0)
	ds_write_b64 v4, v[1:2]
	s_waitcnt lgkmcnt(0)
	s_barrier
	buffer_gl0_inv
	v_cmpx_gt_u32_e32 2, v0
	s_cbranch_execz .LBB122_23
; %bb.20:
	s_clause 0x1
	buffer_load_dword v6, v5, s[0:3], 0 offen offset:4
	buffer_load_dword v5, v5, s[0:3], 0 offen
	ds_read_b64 v[1:2], v4
	s_waitcnt vmcnt(1) lgkmcnt(0)
	v_mul_f32_e32 v7, v2, v6
	v_mul_f32_e32 v6, v1, v6
	s_waitcnt vmcnt(0)
	v_fma_f32 v1, v1, v5, -v7
	v_fmac_f32_e32 v6, v2, v5
	v_add_f32_e32 v2, 0, v1
	v_add_f32_e32 v1, 0, v6
	s_and_saveexec_b32 s8, s4
	s_cbranch_execz .LBB122_22
; %bb.21:
	s_clause 0x1
	buffer_load_dword v7, off, s[0:3], 0 offset:12
	buffer_load_dword v8, off, s[0:3], 0 offset:8
	v_mov_b32_e32 v5, 0
	ds_read_b64 v[5:6], v5 offset:488
	s_waitcnt vmcnt(1) lgkmcnt(0)
	v_mul_f32_e32 v9, v5, v7
	v_mul_f32_e32 v7, v6, v7
	s_waitcnt vmcnt(0)
	v_fmac_f32_e32 v9, v6, v8
	v_fma_f32 v5, v5, v8, -v7
	v_add_f32_e32 v1, v1, v9
	v_add_f32_e32 v2, v2, v5
.LBB122_22:
	s_or_b32 exec_lo, exec_lo, s8
	v_mov_b32_e32 v5, 0
	ds_read_b64 v[5:6], v5 offset:16
	s_waitcnt lgkmcnt(0)
	v_mul_f32_e32 v7, v1, v6
	v_mul_f32_e32 v6, v2, v6
	v_fma_f32 v2, v2, v5, -v7
	v_fmac_f32_e32 v6, v1, v5
	buffer_store_dword v2, off, s[0:3], 0 offset:16
	buffer_store_dword v6, off, s[0:3], 0 offset:20
.LBB122_23:
	s_or_b32 exec_lo, exec_lo, s5
	s_waitcnt_vscnt null, 0x0
	s_barrier
	buffer_gl0_inv
	s_clause 0x1
	buffer_load_dword v5, off, s[0:3], 0 offset:24
	buffer_load_dword v6, off, s[0:3], 0 offset:28
	v_add_nc_u32_e32 v1, -1, v0
	s_mov_b32 s4, exec_lo
	s_waitcnt vmcnt(0)
	ds_write_b64 v4, v[5:6]
	s_waitcnt lgkmcnt(0)
	s_barrier
	buffer_gl0_inv
	v_cmpx_gt_u32_e32 3, v0
	s_cbranch_execz .LBB122_27
; %bb.24:
	v_add_nc_u32_e32 v5, -1, v0
	v_add_nc_u32_e32 v6, 0x1e0, v3
	v_mov_b32_e32 v7, v3
	v_mov_b32_e32 v2, 0
	v_mov_b32_e32 v8, 0
	s_mov_b32 s5, 0
	.p2align	6
.LBB122_25:                             ; =>This Inner Loop Header: Depth=1
	s_clause 0x1
	buffer_load_dword v11, v7, s[0:3], 0 offen offset:4
	buffer_load_dword v12, v7, s[0:3], 0 offen
	ds_read_b64 v[9:10], v6
	v_add_nc_u32_e32 v5, 1, v5
	v_add_nc_u32_e32 v6, 8, v6
	;; [unrolled: 1-line block ×3, first 2 shown]
	v_cmp_lt_u32_e32 vcc_lo, 1, v5
	s_or_b32 s5, vcc_lo, s5
	s_waitcnt vmcnt(1) lgkmcnt(0)
	v_mul_f32_e32 v131, v10, v11
	v_mul_f32_e32 v11, v9, v11
	s_waitcnt vmcnt(0)
	v_fma_f32 v9, v9, v12, -v131
	v_fmac_f32_e32 v11, v10, v12
	v_add_f32_e32 v8, v8, v9
	v_add_f32_e32 v2, v2, v11
	s_andn2_b32 exec_lo, exec_lo, s5
	s_cbranch_execnz .LBB122_25
; %bb.26:
	s_or_b32 exec_lo, exec_lo, s5
	v_mov_b32_e32 v5, 0
	ds_read_b64 v[5:6], v5 offset:24
	s_waitcnt lgkmcnt(0)
	v_mul_f32_e32 v7, v2, v6
	v_mul_f32_e32 v6, v8, v6
	v_fma_f32 v7, v8, v5, -v7
	v_fmac_f32_e32 v6, v2, v5
	buffer_store_dword v7, off, s[0:3], 0 offset:24
	buffer_store_dword v6, off, s[0:3], 0 offset:28
.LBB122_27:
	s_or_b32 exec_lo, exec_lo, s4
	s_waitcnt_vscnt null, 0x0
	s_barrier
	buffer_gl0_inv
	s_clause 0x1
	buffer_load_dword v5, off, s[0:3], 0 offset:32
	buffer_load_dword v6, off, s[0:3], 0 offset:36
	s_mov_b32 s4, exec_lo
	s_waitcnt vmcnt(0)
	ds_write_b64 v4, v[5:6]
	s_waitcnt lgkmcnt(0)
	s_barrier
	buffer_gl0_inv
	v_cmpx_gt_u32_e32 4, v0
	s_cbranch_execz .LBB122_31
; %bb.28:
	v_add_nc_u32_e32 v5, -1, v0
	v_add_nc_u32_e32 v6, 0x1e0, v3
	v_mov_b32_e32 v7, v3
	v_mov_b32_e32 v2, 0
	;; [unrolled: 1-line block ×3, first 2 shown]
	s_mov_b32 s5, 0
	.p2align	6
.LBB122_29:                             ; =>This Inner Loop Header: Depth=1
	s_clause 0x1
	buffer_load_dword v11, v7, s[0:3], 0 offen offset:4
	buffer_load_dword v12, v7, s[0:3], 0 offen
	ds_read_b64 v[9:10], v6
	v_add_nc_u32_e32 v5, 1, v5
	v_add_nc_u32_e32 v6, 8, v6
	;; [unrolled: 1-line block ×3, first 2 shown]
	v_cmp_lt_u32_e32 vcc_lo, 2, v5
	s_or_b32 s5, vcc_lo, s5
	s_waitcnt vmcnt(1) lgkmcnt(0)
	v_mul_f32_e32 v131, v10, v11
	v_mul_f32_e32 v11, v9, v11
	s_waitcnt vmcnt(0)
	v_fma_f32 v9, v9, v12, -v131
	v_fmac_f32_e32 v11, v10, v12
	v_add_f32_e32 v8, v8, v9
	v_add_f32_e32 v2, v2, v11
	s_andn2_b32 exec_lo, exec_lo, s5
	s_cbranch_execnz .LBB122_29
; %bb.30:
	s_or_b32 exec_lo, exec_lo, s5
	v_mov_b32_e32 v5, 0
	ds_read_b64 v[5:6], v5 offset:32
	s_waitcnt lgkmcnt(0)
	v_mul_f32_e32 v7, v2, v6
	v_mul_f32_e32 v6, v8, v6
	v_fma_f32 v7, v8, v5, -v7
	v_fmac_f32_e32 v6, v2, v5
	buffer_store_dword v7, off, s[0:3], 0 offset:32
	buffer_store_dword v6, off, s[0:3], 0 offset:36
.LBB122_31:
	s_or_b32 exec_lo, exec_lo, s4
	s_waitcnt_vscnt null, 0x0
	s_barrier
	buffer_gl0_inv
	s_clause 0x1
	buffer_load_dword v5, off, s[0:3], 0 offset:40
	buffer_load_dword v6, off, s[0:3], 0 offset:44
	s_mov_b32 s4, exec_lo
	s_waitcnt vmcnt(0)
	ds_write_b64 v4, v[5:6]
	s_waitcnt lgkmcnt(0)
	s_barrier
	buffer_gl0_inv
	v_cmpx_gt_u32_e32 5, v0
	s_cbranch_execz .LBB122_35
; %bb.32:
	v_add_nc_u32_e32 v5, -1, v0
	v_add_nc_u32_e32 v6, 0x1e0, v3
	v_mov_b32_e32 v7, v3
	v_mov_b32_e32 v2, 0
	;; [unrolled: 1-line block ×3, first 2 shown]
	s_mov_b32 s5, 0
	.p2align	6
.LBB122_33:                             ; =>This Inner Loop Header: Depth=1
	s_clause 0x1
	buffer_load_dword v11, v7, s[0:3], 0 offen offset:4
	buffer_load_dword v12, v7, s[0:3], 0 offen
	ds_read_b64 v[9:10], v6
	v_add_nc_u32_e32 v5, 1, v5
	v_add_nc_u32_e32 v6, 8, v6
	;; [unrolled: 1-line block ×3, first 2 shown]
	v_cmp_lt_u32_e32 vcc_lo, 3, v5
	s_or_b32 s5, vcc_lo, s5
	s_waitcnt vmcnt(1) lgkmcnt(0)
	v_mul_f32_e32 v131, v10, v11
	v_mul_f32_e32 v11, v9, v11
	s_waitcnt vmcnt(0)
	v_fma_f32 v9, v9, v12, -v131
	v_fmac_f32_e32 v11, v10, v12
	v_add_f32_e32 v8, v8, v9
	v_add_f32_e32 v2, v2, v11
	s_andn2_b32 exec_lo, exec_lo, s5
	s_cbranch_execnz .LBB122_33
; %bb.34:
	s_or_b32 exec_lo, exec_lo, s5
	v_mov_b32_e32 v5, 0
	ds_read_b64 v[5:6], v5 offset:40
	s_waitcnt lgkmcnt(0)
	v_mul_f32_e32 v7, v2, v6
	v_mul_f32_e32 v6, v8, v6
	v_fma_f32 v7, v8, v5, -v7
	v_fmac_f32_e32 v6, v2, v5
	buffer_store_dword v7, off, s[0:3], 0 offset:40
	buffer_store_dword v6, off, s[0:3], 0 offset:44
.LBB122_35:
	s_or_b32 exec_lo, exec_lo, s4
	s_waitcnt_vscnt null, 0x0
	s_barrier
	buffer_gl0_inv
	s_clause 0x1
	buffer_load_dword v5, off, s[0:3], 0 offset:48
	buffer_load_dword v6, off, s[0:3], 0 offset:52
	s_mov_b32 s4, exec_lo
	s_waitcnt vmcnt(0)
	ds_write_b64 v4, v[5:6]
	s_waitcnt lgkmcnt(0)
	s_barrier
	buffer_gl0_inv
	v_cmpx_gt_u32_e32 6, v0
	s_cbranch_execz .LBB122_39
; %bb.36:
	v_add_nc_u32_e32 v5, -1, v0
	v_add_nc_u32_e32 v6, 0x1e0, v3
	v_mov_b32_e32 v7, v3
	v_mov_b32_e32 v2, 0
	;; [unrolled: 1-line block ×3, first 2 shown]
	s_mov_b32 s5, 0
	.p2align	6
.LBB122_37:                             ; =>This Inner Loop Header: Depth=1
	s_clause 0x1
	buffer_load_dword v11, v7, s[0:3], 0 offen offset:4
	buffer_load_dword v12, v7, s[0:3], 0 offen
	ds_read_b64 v[9:10], v6
	v_add_nc_u32_e32 v5, 1, v5
	v_add_nc_u32_e32 v6, 8, v6
	;; [unrolled: 1-line block ×3, first 2 shown]
	v_cmp_lt_u32_e32 vcc_lo, 4, v5
	s_or_b32 s5, vcc_lo, s5
	s_waitcnt vmcnt(1) lgkmcnt(0)
	v_mul_f32_e32 v131, v10, v11
	v_mul_f32_e32 v11, v9, v11
	s_waitcnt vmcnt(0)
	v_fma_f32 v9, v9, v12, -v131
	v_fmac_f32_e32 v11, v10, v12
	v_add_f32_e32 v8, v8, v9
	v_add_f32_e32 v2, v2, v11
	s_andn2_b32 exec_lo, exec_lo, s5
	s_cbranch_execnz .LBB122_37
; %bb.38:
	s_or_b32 exec_lo, exec_lo, s5
	v_mov_b32_e32 v5, 0
	ds_read_b64 v[5:6], v5 offset:48
	s_waitcnt lgkmcnt(0)
	v_mul_f32_e32 v7, v2, v6
	v_mul_f32_e32 v6, v8, v6
	v_fma_f32 v7, v8, v5, -v7
	v_fmac_f32_e32 v6, v2, v5
	buffer_store_dword v7, off, s[0:3], 0 offset:48
	buffer_store_dword v6, off, s[0:3], 0 offset:52
.LBB122_39:
	s_or_b32 exec_lo, exec_lo, s4
	s_waitcnt_vscnt null, 0x0
	s_barrier
	buffer_gl0_inv
	s_clause 0x1
	buffer_load_dword v5, off, s[0:3], 0 offset:56
	buffer_load_dword v6, off, s[0:3], 0 offset:60
	s_mov_b32 s4, exec_lo
	s_waitcnt vmcnt(0)
	ds_write_b64 v4, v[5:6]
	s_waitcnt lgkmcnt(0)
	s_barrier
	buffer_gl0_inv
	v_cmpx_gt_u32_e32 7, v0
	s_cbranch_execz .LBB122_43
; %bb.40:
	v_add_nc_u32_e32 v5, -1, v0
	v_add_nc_u32_e32 v6, 0x1e0, v3
	v_mov_b32_e32 v7, v3
	v_mov_b32_e32 v2, 0
	;; [unrolled: 1-line block ×3, first 2 shown]
	s_mov_b32 s5, 0
	.p2align	6
.LBB122_41:                             ; =>This Inner Loop Header: Depth=1
	s_clause 0x1
	buffer_load_dword v11, v7, s[0:3], 0 offen offset:4
	buffer_load_dword v12, v7, s[0:3], 0 offen
	ds_read_b64 v[9:10], v6
	v_add_nc_u32_e32 v5, 1, v5
	v_add_nc_u32_e32 v6, 8, v6
	;; [unrolled: 1-line block ×3, first 2 shown]
	v_cmp_lt_u32_e32 vcc_lo, 5, v5
	s_or_b32 s5, vcc_lo, s5
	s_waitcnt vmcnt(1) lgkmcnt(0)
	v_mul_f32_e32 v131, v10, v11
	v_mul_f32_e32 v11, v9, v11
	s_waitcnt vmcnt(0)
	v_fma_f32 v9, v9, v12, -v131
	v_fmac_f32_e32 v11, v10, v12
	v_add_f32_e32 v8, v8, v9
	v_add_f32_e32 v2, v2, v11
	s_andn2_b32 exec_lo, exec_lo, s5
	s_cbranch_execnz .LBB122_41
; %bb.42:
	s_or_b32 exec_lo, exec_lo, s5
	v_mov_b32_e32 v5, 0
	ds_read_b64 v[5:6], v5 offset:56
	s_waitcnt lgkmcnt(0)
	v_mul_f32_e32 v7, v2, v6
	v_mul_f32_e32 v6, v8, v6
	v_fma_f32 v7, v8, v5, -v7
	v_fmac_f32_e32 v6, v2, v5
	buffer_store_dword v7, off, s[0:3], 0 offset:56
	buffer_store_dword v6, off, s[0:3], 0 offset:60
.LBB122_43:
	s_or_b32 exec_lo, exec_lo, s4
	s_waitcnt_vscnt null, 0x0
	s_barrier
	buffer_gl0_inv
	s_clause 0x1
	buffer_load_dword v5, off, s[0:3], 0 offset:64
	buffer_load_dword v6, off, s[0:3], 0 offset:68
	s_mov_b32 s4, exec_lo
	s_waitcnt vmcnt(0)
	ds_write_b64 v4, v[5:6]
	s_waitcnt lgkmcnt(0)
	s_barrier
	buffer_gl0_inv
	v_cmpx_gt_u32_e32 8, v0
	s_cbranch_execz .LBB122_47
; %bb.44:
	v_add_nc_u32_e32 v5, -1, v0
	v_add_nc_u32_e32 v6, 0x1e0, v3
	v_mov_b32_e32 v7, v3
	v_mov_b32_e32 v2, 0
	;; [unrolled: 1-line block ×3, first 2 shown]
	s_mov_b32 s5, 0
	.p2align	6
.LBB122_45:                             ; =>This Inner Loop Header: Depth=1
	s_clause 0x1
	buffer_load_dword v11, v7, s[0:3], 0 offen offset:4
	buffer_load_dword v12, v7, s[0:3], 0 offen
	ds_read_b64 v[9:10], v6
	v_add_nc_u32_e32 v5, 1, v5
	v_add_nc_u32_e32 v6, 8, v6
	;; [unrolled: 1-line block ×3, first 2 shown]
	v_cmp_lt_u32_e32 vcc_lo, 6, v5
	s_or_b32 s5, vcc_lo, s5
	s_waitcnt vmcnt(1) lgkmcnt(0)
	v_mul_f32_e32 v131, v10, v11
	v_mul_f32_e32 v11, v9, v11
	s_waitcnt vmcnt(0)
	v_fma_f32 v9, v9, v12, -v131
	v_fmac_f32_e32 v11, v10, v12
	v_add_f32_e32 v8, v8, v9
	v_add_f32_e32 v2, v2, v11
	s_andn2_b32 exec_lo, exec_lo, s5
	s_cbranch_execnz .LBB122_45
; %bb.46:
	s_or_b32 exec_lo, exec_lo, s5
	v_mov_b32_e32 v5, 0
	ds_read_b64 v[5:6], v5 offset:64
	s_waitcnt lgkmcnt(0)
	v_mul_f32_e32 v7, v2, v6
	v_mul_f32_e32 v6, v8, v6
	v_fma_f32 v7, v8, v5, -v7
	v_fmac_f32_e32 v6, v2, v5
	buffer_store_dword v7, off, s[0:3], 0 offset:64
	buffer_store_dword v6, off, s[0:3], 0 offset:68
.LBB122_47:
	s_or_b32 exec_lo, exec_lo, s4
	s_waitcnt_vscnt null, 0x0
	s_barrier
	buffer_gl0_inv
	s_clause 0x1
	buffer_load_dword v5, off, s[0:3], 0 offset:72
	buffer_load_dword v6, off, s[0:3], 0 offset:76
	s_mov_b32 s4, exec_lo
	s_waitcnt vmcnt(0)
	ds_write_b64 v4, v[5:6]
	s_waitcnt lgkmcnt(0)
	s_barrier
	buffer_gl0_inv
	v_cmpx_gt_u32_e32 9, v0
	s_cbranch_execz .LBB122_51
; %bb.48:
	v_add_nc_u32_e32 v5, -1, v0
	v_add_nc_u32_e32 v6, 0x1e0, v3
	v_mov_b32_e32 v7, v3
	v_mov_b32_e32 v2, 0
	;; [unrolled: 1-line block ×3, first 2 shown]
	s_mov_b32 s5, 0
	.p2align	6
.LBB122_49:                             ; =>This Inner Loop Header: Depth=1
	s_clause 0x1
	buffer_load_dword v11, v7, s[0:3], 0 offen offset:4
	buffer_load_dword v12, v7, s[0:3], 0 offen
	ds_read_b64 v[9:10], v6
	v_add_nc_u32_e32 v5, 1, v5
	v_add_nc_u32_e32 v6, 8, v6
	;; [unrolled: 1-line block ×3, first 2 shown]
	v_cmp_lt_u32_e32 vcc_lo, 7, v5
	s_or_b32 s5, vcc_lo, s5
	s_waitcnt vmcnt(1) lgkmcnt(0)
	v_mul_f32_e32 v131, v10, v11
	v_mul_f32_e32 v11, v9, v11
	s_waitcnt vmcnt(0)
	v_fma_f32 v9, v9, v12, -v131
	v_fmac_f32_e32 v11, v10, v12
	v_add_f32_e32 v8, v8, v9
	v_add_f32_e32 v2, v2, v11
	s_andn2_b32 exec_lo, exec_lo, s5
	s_cbranch_execnz .LBB122_49
; %bb.50:
	s_or_b32 exec_lo, exec_lo, s5
	v_mov_b32_e32 v5, 0
	ds_read_b64 v[5:6], v5 offset:72
	s_waitcnt lgkmcnt(0)
	v_mul_f32_e32 v7, v2, v6
	v_mul_f32_e32 v6, v8, v6
	v_fma_f32 v7, v8, v5, -v7
	v_fmac_f32_e32 v6, v2, v5
	buffer_store_dword v7, off, s[0:3], 0 offset:72
	buffer_store_dword v6, off, s[0:3], 0 offset:76
.LBB122_51:
	s_or_b32 exec_lo, exec_lo, s4
	s_waitcnt_vscnt null, 0x0
	s_barrier
	buffer_gl0_inv
	s_clause 0x1
	buffer_load_dword v5, off, s[0:3], 0 offset:80
	buffer_load_dword v6, off, s[0:3], 0 offset:84
	s_mov_b32 s4, exec_lo
	s_waitcnt vmcnt(0)
	ds_write_b64 v4, v[5:6]
	s_waitcnt lgkmcnt(0)
	s_barrier
	buffer_gl0_inv
	v_cmpx_gt_u32_e32 10, v0
	s_cbranch_execz .LBB122_55
; %bb.52:
	v_add_nc_u32_e32 v5, -1, v0
	v_add_nc_u32_e32 v6, 0x1e0, v3
	v_mov_b32_e32 v7, v3
	v_mov_b32_e32 v2, 0
	;; [unrolled: 1-line block ×3, first 2 shown]
	s_mov_b32 s5, 0
	.p2align	6
.LBB122_53:                             ; =>This Inner Loop Header: Depth=1
	s_clause 0x1
	buffer_load_dword v11, v7, s[0:3], 0 offen offset:4
	buffer_load_dword v12, v7, s[0:3], 0 offen
	ds_read_b64 v[9:10], v6
	v_add_nc_u32_e32 v5, 1, v5
	v_add_nc_u32_e32 v6, 8, v6
	;; [unrolled: 1-line block ×3, first 2 shown]
	v_cmp_lt_u32_e32 vcc_lo, 8, v5
	s_or_b32 s5, vcc_lo, s5
	s_waitcnt vmcnt(1) lgkmcnt(0)
	v_mul_f32_e32 v131, v10, v11
	v_mul_f32_e32 v11, v9, v11
	s_waitcnt vmcnt(0)
	v_fma_f32 v9, v9, v12, -v131
	v_fmac_f32_e32 v11, v10, v12
	v_add_f32_e32 v8, v8, v9
	v_add_f32_e32 v2, v2, v11
	s_andn2_b32 exec_lo, exec_lo, s5
	s_cbranch_execnz .LBB122_53
; %bb.54:
	s_or_b32 exec_lo, exec_lo, s5
	v_mov_b32_e32 v5, 0
	ds_read_b64 v[5:6], v5 offset:80
	s_waitcnt lgkmcnt(0)
	v_mul_f32_e32 v7, v2, v6
	v_mul_f32_e32 v6, v8, v6
	v_fma_f32 v7, v8, v5, -v7
	v_fmac_f32_e32 v6, v2, v5
	buffer_store_dword v7, off, s[0:3], 0 offset:80
	buffer_store_dword v6, off, s[0:3], 0 offset:84
.LBB122_55:
	s_or_b32 exec_lo, exec_lo, s4
	s_waitcnt_vscnt null, 0x0
	s_barrier
	buffer_gl0_inv
	s_clause 0x1
	buffer_load_dword v5, off, s[0:3], 0 offset:88
	buffer_load_dword v6, off, s[0:3], 0 offset:92
	s_mov_b32 s4, exec_lo
	s_waitcnt vmcnt(0)
	ds_write_b64 v4, v[5:6]
	s_waitcnt lgkmcnt(0)
	s_barrier
	buffer_gl0_inv
	v_cmpx_gt_u32_e32 11, v0
	s_cbranch_execz .LBB122_59
; %bb.56:
	v_add_nc_u32_e32 v5, -1, v0
	v_add_nc_u32_e32 v6, 0x1e0, v3
	v_mov_b32_e32 v7, v3
	v_mov_b32_e32 v2, 0
	v_mov_b32_e32 v8, 0
	s_mov_b32 s5, 0
	.p2align	6
.LBB122_57:                             ; =>This Inner Loop Header: Depth=1
	s_clause 0x1
	buffer_load_dword v11, v7, s[0:3], 0 offen offset:4
	buffer_load_dword v12, v7, s[0:3], 0 offen
	ds_read_b64 v[9:10], v6
	v_add_nc_u32_e32 v5, 1, v5
	v_add_nc_u32_e32 v6, 8, v6
	;; [unrolled: 1-line block ×3, first 2 shown]
	v_cmp_lt_u32_e32 vcc_lo, 9, v5
	s_or_b32 s5, vcc_lo, s5
	s_waitcnt vmcnt(1) lgkmcnt(0)
	v_mul_f32_e32 v131, v10, v11
	v_mul_f32_e32 v11, v9, v11
	s_waitcnt vmcnt(0)
	v_fma_f32 v9, v9, v12, -v131
	v_fmac_f32_e32 v11, v10, v12
	v_add_f32_e32 v8, v8, v9
	v_add_f32_e32 v2, v2, v11
	s_andn2_b32 exec_lo, exec_lo, s5
	s_cbranch_execnz .LBB122_57
; %bb.58:
	s_or_b32 exec_lo, exec_lo, s5
	v_mov_b32_e32 v5, 0
	ds_read_b64 v[5:6], v5 offset:88
	s_waitcnt lgkmcnt(0)
	v_mul_f32_e32 v7, v2, v6
	v_mul_f32_e32 v6, v8, v6
	v_fma_f32 v7, v8, v5, -v7
	v_fmac_f32_e32 v6, v2, v5
	buffer_store_dword v7, off, s[0:3], 0 offset:88
	buffer_store_dword v6, off, s[0:3], 0 offset:92
.LBB122_59:
	s_or_b32 exec_lo, exec_lo, s4
	s_waitcnt_vscnt null, 0x0
	s_barrier
	buffer_gl0_inv
	s_clause 0x1
	buffer_load_dword v5, off, s[0:3], 0 offset:96
	buffer_load_dword v6, off, s[0:3], 0 offset:100
	s_mov_b32 s4, exec_lo
	s_waitcnt vmcnt(0)
	ds_write_b64 v4, v[5:6]
	s_waitcnt lgkmcnt(0)
	s_barrier
	buffer_gl0_inv
	v_cmpx_gt_u32_e32 12, v0
	s_cbranch_execz .LBB122_63
; %bb.60:
	v_add_nc_u32_e32 v5, -1, v0
	v_add_nc_u32_e32 v6, 0x1e0, v3
	v_mov_b32_e32 v7, v3
	v_mov_b32_e32 v2, 0
	;; [unrolled: 1-line block ×3, first 2 shown]
	s_mov_b32 s5, 0
	.p2align	6
.LBB122_61:                             ; =>This Inner Loop Header: Depth=1
	s_clause 0x1
	buffer_load_dword v11, v7, s[0:3], 0 offen offset:4
	buffer_load_dword v12, v7, s[0:3], 0 offen
	ds_read_b64 v[9:10], v6
	v_add_nc_u32_e32 v5, 1, v5
	v_add_nc_u32_e32 v6, 8, v6
	;; [unrolled: 1-line block ×3, first 2 shown]
	v_cmp_lt_u32_e32 vcc_lo, 10, v5
	s_or_b32 s5, vcc_lo, s5
	s_waitcnt vmcnt(1) lgkmcnt(0)
	v_mul_f32_e32 v131, v10, v11
	v_mul_f32_e32 v11, v9, v11
	s_waitcnt vmcnt(0)
	v_fma_f32 v9, v9, v12, -v131
	v_fmac_f32_e32 v11, v10, v12
	v_add_f32_e32 v8, v8, v9
	v_add_f32_e32 v2, v2, v11
	s_andn2_b32 exec_lo, exec_lo, s5
	s_cbranch_execnz .LBB122_61
; %bb.62:
	s_or_b32 exec_lo, exec_lo, s5
	v_mov_b32_e32 v5, 0
	ds_read_b64 v[5:6], v5 offset:96
	s_waitcnt lgkmcnt(0)
	v_mul_f32_e32 v7, v2, v6
	v_mul_f32_e32 v6, v8, v6
	v_fma_f32 v7, v8, v5, -v7
	v_fmac_f32_e32 v6, v2, v5
	buffer_store_dword v7, off, s[0:3], 0 offset:96
	buffer_store_dword v6, off, s[0:3], 0 offset:100
.LBB122_63:
	s_or_b32 exec_lo, exec_lo, s4
	s_waitcnt_vscnt null, 0x0
	s_barrier
	buffer_gl0_inv
	s_clause 0x1
	buffer_load_dword v5, off, s[0:3], 0 offset:104
	buffer_load_dword v6, off, s[0:3], 0 offset:108
	s_mov_b32 s4, exec_lo
	s_waitcnt vmcnt(0)
	ds_write_b64 v4, v[5:6]
	s_waitcnt lgkmcnt(0)
	s_barrier
	buffer_gl0_inv
	v_cmpx_gt_u32_e32 13, v0
	s_cbranch_execz .LBB122_67
; %bb.64:
	v_add_nc_u32_e32 v5, -1, v0
	v_add_nc_u32_e32 v6, 0x1e0, v3
	v_mov_b32_e32 v7, v3
	v_mov_b32_e32 v2, 0
	;; [unrolled: 1-line block ×3, first 2 shown]
	s_mov_b32 s5, 0
	.p2align	6
.LBB122_65:                             ; =>This Inner Loop Header: Depth=1
	s_clause 0x1
	buffer_load_dword v11, v7, s[0:3], 0 offen offset:4
	buffer_load_dword v12, v7, s[0:3], 0 offen
	ds_read_b64 v[9:10], v6
	v_add_nc_u32_e32 v5, 1, v5
	v_add_nc_u32_e32 v6, 8, v6
	;; [unrolled: 1-line block ×3, first 2 shown]
	v_cmp_lt_u32_e32 vcc_lo, 11, v5
	s_or_b32 s5, vcc_lo, s5
	s_waitcnt vmcnt(1) lgkmcnt(0)
	v_mul_f32_e32 v131, v10, v11
	v_mul_f32_e32 v11, v9, v11
	s_waitcnt vmcnt(0)
	v_fma_f32 v9, v9, v12, -v131
	v_fmac_f32_e32 v11, v10, v12
	v_add_f32_e32 v8, v8, v9
	v_add_f32_e32 v2, v2, v11
	s_andn2_b32 exec_lo, exec_lo, s5
	s_cbranch_execnz .LBB122_65
; %bb.66:
	s_or_b32 exec_lo, exec_lo, s5
	v_mov_b32_e32 v5, 0
	ds_read_b64 v[5:6], v5 offset:104
	s_waitcnt lgkmcnt(0)
	v_mul_f32_e32 v7, v2, v6
	v_mul_f32_e32 v6, v8, v6
	v_fma_f32 v7, v8, v5, -v7
	v_fmac_f32_e32 v6, v2, v5
	buffer_store_dword v7, off, s[0:3], 0 offset:104
	buffer_store_dword v6, off, s[0:3], 0 offset:108
.LBB122_67:
	s_or_b32 exec_lo, exec_lo, s4
	s_waitcnt_vscnt null, 0x0
	s_barrier
	buffer_gl0_inv
	s_clause 0x1
	buffer_load_dword v5, off, s[0:3], 0 offset:112
	buffer_load_dword v6, off, s[0:3], 0 offset:116
	s_mov_b32 s4, exec_lo
	s_waitcnt vmcnt(0)
	ds_write_b64 v4, v[5:6]
	s_waitcnt lgkmcnt(0)
	s_barrier
	buffer_gl0_inv
	v_cmpx_gt_u32_e32 14, v0
	s_cbranch_execz .LBB122_71
; %bb.68:
	v_add_nc_u32_e32 v5, -1, v0
	v_add_nc_u32_e32 v6, 0x1e0, v3
	v_mov_b32_e32 v7, v3
	v_mov_b32_e32 v2, 0
	;; [unrolled: 1-line block ×3, first 2 shown]
	s_mov_b32 s5, 0
	.p2align	6
.LBB122_69:                             ; =>This Inner Loop Header: Depth=1
	s_clause 0x1
	buffer_load_dword v11, v7, s[0:3], 0 offen offset:4
	buffer_load_dword v12, v7, s[0:3], 0 offen
	ds_read_b64 v[9:10], v6
	v_add_nc_u32_e32 v5, 1, v5
	v_add_nc_u32_e32 v6, 8, v6
	;; [unrolled: 1-line block ×3, first 2 shown]
	v_cmp_lt_u32_e32 vcc_lo, 12, v5
	s_or_b32 s5, vcc_lo, s5
	s_waitcnt vmcnt(1) lgkmcnt(0)
	v_mul_f32_e32 v131, v10, v11
	v_mul_f32_e32 v11, v9, v11
	s_waitcnt vmcnt(0)
	v_fma_f32 v9, v9, v12, -v131
	v_fmac_f32_e32 v11, v10, v12
	v_add_f32_e32 v8, v8, v9
	v_add_f32_e32 v2, v2, v11
	s_andn2_b32 exec_lo, exec_lo, s5
	s_cbranch_execnz .LBB122_69
; %bb.70:
	s_or_b32 exec_lo, exec_lo, s5
	v_mov_b32_e32 v5, 0
	ds_read_b64 v[5:6], v5 offset:112
	s_waitcnt lgkmcnt(0)
	v_mul_f32_e32 v7, v2, v6
	v_mul_f32_e32 v6, v8, v6
	v_fma_f32 v7, v8, v5, -v7
	v_fmac_f32_e32 v6, v2, v5
	buffer_store_dword v7, off, s[0:3], 0 offset:112
	buffer_store_dword v6, off, s[0:3], 0 offset:116
.LBB122_71:
	s_or_b32 exec_lo, exec_lo, s4
	s_waitcnt_vscnt null, 0x0
	s_barrier
	buffer_gl0_inv
	s_clause 0x1
	buffer_load_dword v5, off, s[0:3], 0 offset:120
	buffer_load_dword v6, off, s[0:3], 0 offset:124
	s_mov_b32 s4, exec_lo
	s_waitcnt vmcnt(0)
	ds_write_b64 v4, v[5:6]
	s_waitcnt lgkmcnt(0)
	s_barrier
	buffer_gl0_inv
	v_cmpx_gt_u32_e32 15, v0
	s_cbranch_execz .LBB122_75
; %bb.72:
	v_add_nc_u32_e32 v5, -1, v0
	v_add_nc_u32_e32 v6, 0x1e0, v3
	v_mov_b32_e32 v7, v3
	v_mov_b32_e32 v2, 0
	v_mov_b32_e32 v8, 0
	s_mov_b32 s5, 0
	.p2align	6
.LBB122_73:                             ; =>This Inner Loop Header: Depth=1
	s_clause 0x1
	buffer_load_dword v11, v7, s[0:3], 0 offen offset:4
	buffer_load_dword v12, v7, s[0:3], 0 offen
	ds_read_b64 v[9:10], v6
	v_add_nc_u32_e32 v5, 1, v5
	v_add_nc_u32_e32 v6, 8, v6
	;; [unrolled: 1-line block ×3, first 2 shown]
	v_cmp_lt_u32_e32 vcc_lo, 13, v5
	s_or_b32 s5, vcc_lo, s5
	s_waitcnt vmcnt(1) lgkmcnt(0)
	v_mul_f32_e32 v131, v10, v11
	v_mul_f32_e32 v11, v9, v11
	s_waitcnt vmcnt(0)
	v_fma_f32 v9, v9, v12, -v131
	v_fmac_f32_e32 v11, v10, v12
	v_add_f32_e32 v8, v8, v9
	v_add_f32_e32 v2, v2, v11
	s_andn2_b32 exec_lo, exec_lo, s5
	s_cbranch_execnz .LBB122_73
; %bb.74:
	s_or_b32 exec_lo, exec_lo, s5
	v_mov_b32_e32 v5, 0
	ds_read_b64 v[5:6], v5 offset:120
	s_waitcnt lgkmcnt(0)
	v_mul_f32_e32 v7, v2, v6
	v_mul_f32_e32 v6, v8, v6
	v_fma_f32 v7, v8, v5, -v7
	v_fmac_f32_e32 v6, v2, v5
	buffer_store_dword v7, off, s[0:3], 0 offset:120
	buffer_store_dword v6, off, s[0:3], 0 offset:124
.LBB122_75:
	s_or_b32 exec_lo, exec_lo, s4
	s_waitcnt_vscnt null, 0x0
	s_barrier
	buffer_gl0_inv
	s_clause 0x1
	buffer_load_dword v5, off, s[0:3], 0 offset:128
	buffer_load_dword v6, off, s[0:3], 0 offset:132
	s_mov_b32 s4, exec_lo
	s_waitcnt vmcnt(0)
	ds_write_b64 v4, v[5:6]
	s_waitcnt lgkmcnt(0)
	s_barrier
	buffer_gl0_inv
	v_cmpx_gt_u32_e32 16, v0
	s_cbranch_execz .LBB122_79
; %bb.76:
	v_add_nc_u32_e32 v5, -1, v0
	v_add_nc_u32_e32 v6, 0x1e0, v3
	v_mov_b32_e32 v7, v3
	v_mov_b32_e32 v2, 0
	;; [unrolled: 1-line block ×3, first 2 shown]
	s_mov_b32 s5, 0
	.p2align	6
.LBB122_77:                             ; =>This Inner Loop Header: Depth=1
	s_clause 0x1
	buffer_load_dword v11, v7, s[0:3], 0 offen offset:4
	buffer_load_dword v12, v7, s[0:3], 0 offen
	ds_read_b64 v[9:10], v6
	v_add_nc_u32_e32 v5, 1, v5
	v_add_nc_u32_e32 v6, 8, v6
	;; [unrolled: 1-line block ×3, first 2 shown]
	v_cmp_lt_u32_e32 vcc_lo, 14, v5
	s_or_b32 s5, vcc_lo, s5
	s_waitcnt vmcnt(1) lgkmcnt(0)
	v_mul_f32_e32 v131, v10, v11
	v_mul_f32_e32 v11, v9, v11
	s_waitcnt vmcnt(0)
	v_fma_f32 v9, v9, v12, -v131
	v_fmac_f32_e32 v11, v10, v12
	v_add_f32_e32 v8, v8, v9
	v_add_f32_e32 v2, v2, v11
	s_andn2_b32 exec_lo, exec_lo, s5
	s_cbranch_execnz .LBB122_77
; %bb.78:
	s_or_b32 exec_lo, exec_lo, s5
	v_mov_b32_e32 v5, 0
	ds_read_b64 v[5:6], v5 offset:128
	s_waitcnt lgkmcnt(0)
	v_mul_f32_e32 v7, v2, v6
	v_mul_f32_e32 v6, v8, v6
	v_fma_f32 v7, v8, v5, -v7
	v_fmac_f32_e32 v6, v2, v5
	buffer_store_dword v7, off, s[0:3], 0 offset:128
	buffer_store_dword v6, off, s[0:3], 0 offset:132
.LBB122_79:
	s_or_b32 exec_lo, exec_lo, s4
	s_waitcnt_vscnt null, 0x0
	s_barrier
	buffer_gl0_inv
	s_clause 0x1
	buffer_load_dword v5, off, s[0:3], 0 offset:136
	buffer_load_dword v6, off, s[0:3], 0 offset:140
	s_mov_b32 s4, exec_lo
	s_waitcnt vmcnt(0)
	ds_write_b64 v4, v[5:6]
	s_waitcnt lgkmcnt(0)
	s_barrier
	buffer_gl0_inv
	v_cmpx_gt_u32_e32 17, v0
	s_cbranch_execz .LBB122_83
; %bb.80:
	v_add_nc_u32_e32 v5, -1, v0
	v_add_nc_u32_e32 v6, 0x1e0, v3
	v_mov_b32_e32 v7, v3
	v_mov_b32_e32 v2, 0
	;; [unrolled: 1-line block ×3, first 2 shown]
	s_mov_b32 s5, 0
	.p2align	6
.LBB122_81:                             ; =>This Inner Loop Header: Depth=1
	s_clause 0x1
	buffer_load_dword v11, v7, s[0:3], 0 offen offset:4
	buffer_load_dword v12, v7, s[0:3], 0 offen
	ds_read_b64 v[9:10], v6
	v_add_nc_u32_e32 v5, 1, v5
	v_add_nc_u32_e32 v6, 8, v6
	;; [unrolled: 1-line block ×3, first 2 shown]
	v_cmp_lt_u32_e32 vcc_lo, 15, v5
	s_or_b32 s5, vcc_lo, s5
	s_waitcnt vmcnt(1) lgkmcnt(0)
	v_mul_f32_e32 v131, v10, v11
	v_mul_f32_e32 v11, v9, v11
	s_waitcnt vmcnt(0)
	v_fma_f32 v9, v9, v12, -v131
	v_fmac_f32_e32 v11, v10, v12
	v_add_f32_e32 v8, v8, v9
	v_add_f32_e32 v2, v2, v11
	s_andn2_b32 exec_lo, exec_lo, s5
	s_cbranch_execnz .LBB122_81
; %bb.82:
	s_or_b32 exec_lo, exec_lo, s5
	v_mov_b32_e32 v5, 0
	ds_read_b64 v[5:6], v5 offset:136
	s_waitcnt lgkmcnt(0)
	v_mul_f32_e32 v7, v2, v6
	v_mul_f32_e32 v6, v8, v6
	v_fma_f32 v7, v8, v5, -v7
	v_fmac_f32_e32 v6, v2, v5
	buffer_store_dword v7, off, s[0:3], 0 offset:136
	buffer_store_dword v6, off, s[0:3], 0 offset:140
.LBB122_83:
	s_or_b32 exec_lo, exec_lo, s4
	s_waitcnt_vscnt null, 0x0
	s_barrier
	buffer_gl0_inv
	s_clause 0x1
	buffer_load_dword v5, off, s[0:3], 0 offset:144
	buffer_load_dword v6, off, s[0:3], 0 offset:148
	s_mov_b32 s4, exec_lo
	s_waitcnt vmcnt(0)
	ds_write_b64 v4, v[5:6]
	s_waitcnt lgkmcnt(0)
	s_barrier
	buffer_gl0_inv
	v_cmpx_gt_u32_e32 18, v0
	s_cbranch_execz .LBB122_87
; %bb.84:
	v_add_nc_u32_e32 v5, -1, v0
	v_add_nc_u32_e32 v6, 0x1e0, v3
	v_mov_b32_e32 v7, v3
	v_mov_b32_e32 v2, 0
	;; [unrolled: 1-line block ×3, first 2 shown]
	s_mov_b32 s5, 0
	.p2align	6
.LBB122_85:                             ; =>This Inner Loop Header: Depth=1
	s_clause 0x1
	buffer_load_dword v11, v7, s[0:3], 0 offen offset:4
	buffer_load_dword v12, v7, s[0:3], 0 offen
	ds_read_b64 v[9:10], v6
	v_add_nc_u32_e32 v5, 1, v5
	v_add_nc_u32_e32 v6, 8, v6
	;; [unrolled: 1-line block ×3, first 2 shown]
	v_cmp_lt_u32_e32 vcc_lo, 16, v5
	s_or_b32 s5, vcc_lo, s5
	s_waitcnt vmcnt(1) lgkmcnt(0)
	v_mul_f32_e32 v131, v10, v11
	v_mul_f32_e32 v11, v9, v11
	s_waitcnt vmcnt(0)
	v_fma_f32 v9, v9, v12, -v131
	v_fmac_f32_e32 v11, v10, v12
	v_add_f32_e32 v8, v8, v9
	v_add_f32_e32 v2, v2, v11
	s_andn2_b32 exec_lo, exec_lo, s5
	s_cbranch_execnz .LBB122_85
; %bb.86:
	s_or_b32 exec_lo, exec_lo, s5
	v_mov_b32_e32 v5, 0
	ds_read_b64 v[5:6], v5 offset:144
	s_waitcnt lgkmcnt(0)
	v_mul_f32_e32 v7, v2, v6
	v_mul_f32_e32 v6, v8, v6
	v_fma_f32 v7, v8, v5, -v7
	v_fmac_f32_e32 v6, v2, v5
	buffer_store_dword v7, off, s[0:3], 0 offset:144
	buffer_store_dword v6, off, s[0:3], 0 offset:148
.LBB122_87:
	s_or_b32 exec_lo, exec_lo, s4
	s_waitcnt_vscnt null, 0x0
	s_barrier
	buffer_gl0_inv
	s_clause 0x1
	buffer_load_dword v5, off, s[0:3], 0 offset:152
	buffer_load_dword v6, off, s[0:3], 0 offset:156
	s_mov_b32 s4, exec_lo
	s_waitcnt vmcnt(0)
	ds_write_b64 v4, v[5:6]
	s_waitcnt lgkmcnt(0)
	s_barrier
	buffer_gl0_inv
	v_cmpx_gt_u32_e32 19, v0
	s_cbranch_execz .LBB122_91
; %bb.88:
	v_add_nc_u32_e32 v5, -1, v0
	v_add_nc_u32_e32 v6, 0x1e0, v3
	v_mov_b32_e32 v7, v3
	v_mov_b32_e32 v2, 0
	;; [unrolled: 1-line block ×3, first 2 shown]
	s_mov_b32 s5, 0
	.p2align	6
.LBB122_89:                             ; =>This Inner Loop Header: Depth=1
	s_clause 0x1
	buffer_load_dword v11, v7, s[0:3], 0 offen offset:4
	buffer_load_dword v12, v7, s[0:3], 0 offen
	ds_read_b64 v[9:10], v6
	v_add_nc_u32_e32 v5, 1, v5
	v_add_nc_u32_e32 v6, 8, v6
	;; [unrolled: 1-line block ×3, first 2 shown]
	v_cmp_lt_u32_e32 vcc_lo, 17, v5
	s_or_b32 s5, vcc_lo, s5
	s_waitcnt vmcnt(1) lgkmcnt(0)
	v_mul_f32_e32 v131, v10, v11
	v_mul_f32_e32 v11, v9, v11
	s_waitcnt vmcnt(0)
	v_fma_f32 v9, v9, v12, -v131
	v_fmac_f32_e32 v11, v10, v12
	v_add_f32_e32 v8, v8, v9
	v_add_f32_e32 v2, v2, v11
	s_andn2_b32 exec_lo, exec_lo, s5
	s_cbranch_execnz .LBB122_89
; %bb.90:
	s_or_b32 exec_lo, exec_lo, s5
	v_mov_b32_e32 v5, 0
	ds_read_b64 v[5:6], v5 offset:152
	s_waitcnt lgkmcnt(0)
	v_mul_f32_e32 v7, v2, v6
	v_mul_f32_e32 v6, v8, v6
	v_fma_f32 v7, v8, v5, -v7
	v_fmac_f32_e32 v6, v2, v5
	buffer_store_dword v7, off, s[0:3], 0 offset:152
	buffer_store_dword v6, off, s[0:3], 0 offset:156
.LBB122_91:
	s_or_b32 exec_lo, exec_lo, s4
	s_waitcnt_vscnt null, 0x0
	s_barrier
	buffer_gl0_inv
	s_clause 0x1
	buffer_load_dword v5, off, s[0:3], 0 offset:160
	buffer_load_dword v6, off, s[0:3], 0 offset:164
	s_mov_b32 s4, exec_lo
	s_waitcnt vmcnt(0)
	ds_write_b64 v4, v[5:6]
	s_waitcnt lgkmcnt(0)
	s_barrier
	buffer_gl0_inv
	v_cmpx_gt_u32_e32 20, v0
	s_cbranch_execz .LBB122_95
; %bb.92:
	v_add_nc_u32_e32 v5, -1, v0
	v_add_nc_u32_e32 v6, 0x1e0, v3
	v_mov_b32_e32 v7, v3
	v_mov_b32_e32 v2, 0
	;; [unrolled: 1-line block ×3, first 2 shown]
	s_mov_b32 s5, 0
	.p2align	6
.LBB122_93:                             ; =>This Inner Loop Header: Depth=1
	s_clause 0x1
	buffer_load_dword v11, v7, s[0:3], 0 offen offset:4
	buffer_load_dword v12, v7, s[0:3], 0 offen
	ds_read_b64 v[9:10], v6
	v_add_nc_u32_e32 v5, 1, v5
	v_add_nc_u32_e32 v6, 8, v6
	;; [unrolled: 1-line block ×3, first 2 shown]
	v_cmp_lt_u32_e32 vcc_lo, 18, v5
	s_or_b32 s5, vcc_lo, s5
	s_waitcnt vmcnt(1) lgkmcnt(0)
	v_mul_f32_e32 v131, v10, v11
	v_mul_f32_e32 v11, v9, v11
	s_waitcnt vmcnt(0)
	v_fma_f32 v9, v9, v12, -v131
	v_fmac_f32_e32 v11, v10, v12
	v_add_f32_e32 v8, v8, v9
	v_add_f32_e32 v2, v2, v11
	s_andn2_b32 exec_lo, exec_lo, s5
	s_cbranch_execnz .LBB122_93
; %bb.94:
	s_or_b32 exec_lo, exec_lo, s5
	v_mov_b32_e32 v5, 0
	ds_read_b64 v[5:6], v5 offset:160
	s_waitcnt lgkmcnt(0)
	v_mul_f32_e32 v7, v2, v6
	v_mul_f32_e32 v6, v8, v6
	v_fma_f32 v7, v8, v5, -v7
	v_fmac_f32_e32 v6, v2, v5
	buffer_store_dword v7, off, s[0:3], 0 offset:160
	buffer_store_dword v6, off, s[0:3], 0 offset:164
.LBB122_95:
	s_or_b32 exec_lo, exec_lo, s4
	s_waitcnt_vscnt null, 0x0
	s_barrier
	buffer_gl0_inv
	s_clause 0x1
	buffer_load_dword v5, off, s[0:3], 0 offset:168
	buffer_load_dword v6, off, s[0:3], 0 offset:172
	s_mov_b32 s4, exec_lo
	s_waitcnt vmcnt(0)
	ds_write_b64 v4, v[5:6]
	s_waitcnt lgkmcnt(0)
	s_barrier
	buffer_gl0_inv
	v_cmpx_gt_u32_e32 21, v0
	s_cbranch_execz .LBB122_99
; %bb.96:
	v_add_nc_u32_e32 v5, -1, v0
	v_add_nc_u32_e32 v6, 0x1e0, v3
	v_mov_b32_e32 v7, v3
	v_mov_b32_e32 v2, 0
	;; [unrolled: 1-line block ×3, first 2 shown]
	s_mov_b32 s5, 0
	.p2align	6
.LBB122_97:                             ; =>This Inner Loop Header: Depth=1
	s_clause 0x1
	buffer_load_dword v11, v7, s[0:3], 0 offen offset:4
	buffer_load_dword v12, v7, s[0:3], 0 offen
	ds_read_b64 v[9:10], v6
	v_add_nc_u32_e32 v5, 1, v5
	v_add_nc_u32_e32 v6, 8, v6
	;; [unrolled: 1-line block ×3, first 2 shown]
	v_cmp_lt_u32_e32 vcc_lo, 19, v5
	s_or_b32 s5, vcc_lo, s5
	s_waitcnt vmcnt(1) lgkmcnt(0)
	v_mul_f32_e32 v131, v10, v11
	v_mul_f32_e32 v11, v9, v11
	s_waitcnt vmcnt(0)
	v_fma_f32 v9, v9, v12, -v131
	v_fmac_f32_e32 v11, v10, v12
	v_add_f32_e32 v8, v8, v9
	v_add_f32_e32 v2, v2, v11
	s_andn2_b32 exec_lo, exec_lo, s5
	s_cbranch_execnz .LBB122_97
; %bb.98:
	s_or_b32 exec_lo, exec_lo, s5
	v_mov_b32_e32 v5, 0
	ds_read_b64 v[5:6], v5 offset:168
	s_waitcnt lgkmcnt(0)
	v_mul_f32_e32 v7, v2, v6
	v_mul_f32_e32 v6, v8, v6
	v_fma_f32 v7, v8, v5, -v7
	v_fmac_f32_e32 v6, v2, v5
	buffer_store_dword v7, off, s[0:3], 0 offset:168
	buffer_store_dword v6, off, s[0:3], 0 offset:172
.LBB122_99:
	s_or_b32 exec_lo, exec_lo, s4
	s_waitcnt_vscnt null, 0x0
	s_barrier
	buffer_gl0_inv
	s_clause 0x1
	buffer_load_dword v5, off, s[0:3], 0 offset:176
	buffer_load_dword v6, off, s[0:3], 0 offset:180
	s_mov_b32 s4, exec_lo
	s_waitcnt vmcnt(0)
	ds_write_b64 v4, v[5:6]
	s_waitcnt lgkmcnt(0)
	s_barrier
	buffer_gl0_inv
	v_cmpx_gt_u32_e32 22, v0
	s_cbranch_execz .LBB122_103
; %bb.100:
	v_add_nc_u32_e32 v5, -1, v0
	v_add_nc_u32_e32 v6, 0x1e0, v3
	v_mov_b32_e32 v7, v3
	v_mov_b32_e32 v2, 0
	;; [unrolled: 1-line block ×3, first 2 shown]
	s_mov_b32 s5, 0
	.p2align	6
.LBB122_101:                            ; =>This Inner Loop Header: Depth=1
	s_clause 0x1
	buffer_load_dword v11, v7, s[0:3], 0 offen offset:4
	buffer_load_dword v12, v7, s[0:3], 0 offen
	ds_read_b64 v[9:10], v6
	v_add_nc_u32_e32 v5, 1, v5
	v_add_nc_u32_e32 v6, 8, v6
	;; [unrolled: 1-line block ×3, first 2 shown]
	v_cmp_lt_u32_e32 vcc_lo, 20, v5
	s_or_b32 s5, vcc_lo, s5
	s_waitcnt vmcnt(1) lgkmcnt(0)
	v_mul_f32_e32 v131, v10, v11
	v_mul_f32_e32 v11, v9, v11
	s_waitcnt vmcnt(0)
	v_fma_f32 v9, v9, v12, -v131
	v_fmac_f32_e32 v11, v10, v12
	v_add_f32_e32 v8, v8, v9
	v_add_f32_e32 v2, v2, v11
	s_andn2_b32 exec_lo, exec_lo, s5
	s_cbranch_execnz .LBB122_101
; %bb.102:
	s_or_b32 exec_lo, exec_lo, s5
	v_mov_b32_e32 v5, 0
	ds_read_b64 v[5:6], v5 offset:176
	s_waitcnt lgkmcnt(0)
	v_mul_f32_e32 v7, v2, v6
	v_mul_f32_e32 v6, v8, v6
	v_fma_f32 v7, v8, v5, -v7
	v_fmac_f32_e32 v6, v2, v5
	buffer_store_dword v7, off, s[0:3], 0 offset:176
	buffer_store_dword v6, off, s[0:3], 0 offset:180
.LBB122_103:
	s_or_b32 exec_lo, exec_lo, s4
	s_waitcnt_vscnt null, 0x0
	s_barrier
	buffer_gl0_inv
	s_clause 0x1
	buffer_load_dword v5, off, s[0:3], 0 offset:184
	buffer_load_dword v6, off, s[0:3], 0 offset:188
	s_mov_b32 s4, exec_lo
	s_waitcnt vmcnt(0)
	ds_write_b64 v4, v[5:6]
	s_waitcnt lgkmcnt(0)
	s_barrier
	buffer_gl0_inv
	v_cmpx_gt_u32_e32 23, v0
	s_cbranch_execz .LBB122_107
; %bb.104:
	v_add_nc_u32_e32 v5, -1, v0
	v_add_nc_u32_e32 v6, 0x1e0, v3
	v_mov_b32_e32 v7, v3
	v_mov_b32_e32 v2, 0
	;; [unrolled: 1-line block ×3, first 2 shown]
	s_mov_b32 s5, 0
	.p2align	6
.LBB122_105:                            ; =>This Inner Loop Header: Depth=1
	s_clause 0x1
	buffer_load_dword v11, v7, s[0:3], 0 offen offset:4
	buffer_load_dword v12, v7, s[0:3], 0 offen
	ds_read_b64 v[9:10], v6
	v_add_nc_u32_e32 v5, 1, v5
	v_add_nc_u32_e32 v6, 8, v6
	;; [unrolled: 1-line block ×3, first 2 shown]
	v_cmp_lt_u32_e32 vcc_lo, 21, v5
	s_or_b32 s5, vcc_lo, s5
	s_waitcnt vmcnt(1) lgkmcnt(0)
	v_mul_f32_e32 v131, v10, v11
	v_mul_f32_e32 v11, v9, v11
	s_waitcnt vmcnt(0)
	v_fma_f32 v9, v9, v12, -v131
	v_fmac_f32_e32 v11, v10, v12
	v_add_f32_e32 v8, v8, v9
	v_add_f32_e32 v2, v2, v11
	s_andn2_b32 exec_lo, exec_lo, s5
	s_cbranch_execnz .LBB122_105
; %bb.106:
	s_or_b32 exec_lo, exec_lo, s5
	v_mov_b32_e32 v5, 0
	ds_read_b64 v[5:6], v5 offset:184
	s_waitcnt lgkmcnt(0)
	v_mul_f32_e32 v7, v2, v6
	v_mul_f32_e32 v6, v8, v6
	v_fma_f32 v7, v8, v5, -v7
	v_fmac_f32_e32 v6, v2, v5
	buffer_store_dword v7, off, s[0:3], 0 offset:184
	buffer_store_dword v6, off, s[0:3], 0 offset:188
.LBB122_107:
	s_or_b32 exec_lo, exec_lo, s4
	s_waitcnt_vscnt null, 0x0
	s_barrier
	buffer_gl0_inv
	s_clause 0x1
	buffer_load_dword v5, off, s[0:3], 0 offset:192
	buffer_load_dword v6, off, s[0:3], 0 offset:196
	s_mov_b32 s4, exec_lo
	s_waitcnt vmcnt(0)
	ds_write_b64 v4, v[5:6]
	s_waitcnt lgkmcnt(0)
	s_barrier
	buffer_gl0_inv
	v_cmpx_gt_u32_e32 24, v0
	s_cbranch_execz .LBB122_111
; %bb.108:
	v_add_nc_u32_e32 v5, -1, v0
	v_add_nc_u32_e32 v6, 0x1e0, v3
	v_mov_b32_e32 v7, v3
	v_mov_b32_e32 v2, 0
	;; [unrolled: 1-line block ×3, first 2 shown]
	s_mov_b32 s5, 0
	.p2align	6
.LBB122_109:                            ; =>This Inner Loop Header: Depth=1
	s_clause 0x1
	buffer_load_dword v11, v7, s[0:3], 0 offen offset:4
	buffer_load_dword v12, v7, s[0:3], 0 offen
	ds_read_b64 v[9:10], v6
	v_add_nc_u32_e32 v5, 1, v5
	v_add_nc_u32_e32 v6, 8, v6
	;; [unrolled: 1-line block ×3, first 2 shown]
	v_cmp_lt_u32_e32 vcc_lo, 22, v5
	s_or_b32 s5, vcc_lo, s5
	s_waitcnt vmcnt(1) lgkmcnt(0)
	v_mul_f32_e32 v131, v10, v11
	v_mul_f32_e32 v11, v9, v11
	s_waitcnt vmcnt(0)
	v_fma_f32 v9, v9, v12, -v131
	v_fmac_f32_e32 v11, v10, v12
	v_add_f32_e32 v8, v8, v9
	v_add_f32_e32 v2, v2, v11
	s_andn2_b32 exec_lo, exec_lo, s5
	s_cbranch_execnz .LBB122_109
; %bb.110:
	s_or_b32 exec_lo, exec_lo, s5
	v_mov_b32_e32 v5, 0
	ds_read_b64 v[5:6], v5 offset:192
	s_waitcnt lgkmcnt(0)
	v_mul_f32_e32 v7, v2, v6
	v_mul_f32_e32 v6, v8, v6
	v_fma_f32 v7, v8, v5, -v7
	v_fmac_f32_e32 v6, v2, v5
	buffer_store_dword v7, off, s[0:3], 0 offset:192
	buffer_store_dword v6, off, s[0:3], 0 offset:196
.LBB122_111:
	s_or_b32 exec_lo, exec_lo, s4
	s_waitcnt_vscnt null, 0x0
	s_barrier
	buffer_gl0_inv
	s_clause 0x1
	buffer_load_dword v5, off, s[0:3], 0 offset:200
	buffer_load_dword v6, off, s[0:3], 0 offset:204
	s_mov_b32 s4, exec_lo
	s_waitcnt vmcnt(0)
	ds_write_b64 v4, v[5:6]
	s_waitcnt lgkmcnt(0)
	s_barrier
	buffer_gl0_inv
	v_cmpx_gt_u32_e32 25, v0
	s_cbranch_execz .LBB122_115
; %bb.112:
	v_add_nc_u32_e32 v5, -1, v0
	v_add_nc_u32_e32 v6, 0x1e0, v3
	v_mov_b32_e32 v7, v3
	v_mov_b32_e32 v2, 0
	;; [unrolled: 1-line block ×3, first 2 shown]
	s_mov_b32 s5, 0
	.p2align	6
.LBB122_113:                            ; =>This Inner Loop Header: Depth=1
	s_clause 0x1
	buffer_load_dword v11, v7, s[0:3], 0 offen offset:4
	buffer_load_dword v12, v7, s[0:3], 0 offen
	ds_read_b64 v[9:10], v6
	v_add_nc_u32_e32 v5, 1, v5
	v_add_nc_u32_e32 v6, 8, v6
	v_add_nc_u32_e32 v7, 8, v7
	v_cmp_lt_u32_e32 vcc_lo, 23, v5
	s_or_b32 s5, vcc_lo, s5
	s_waitcnt vmcnt(1) lgkmcnt(0)
	v_mul_f32_e32 v131, v10, v11
	v_mul_f32_e32 v11, v9, v11
	s_waitcnt vmcnt(0)
	v_fma_f32 v9, v9, v12, -v131
	v_fmac_f32_e32 v11, v10, v12
	v_add_f32_e32 v8, v8, v9
	v_add_f32_e32 v2, v2, v11
	s_andn2_b32 exec_lo, exec_lo, s5
	s_cbranch_execnz .LBB122_113
; %bb.114:
	s_or_b32 exec_lo, exec_lo, s5
	v_mov_b32_e32 v5, 0
	ds_read_b64 v[5:6], v5 offset:200
	s_waitcnt lgkmcnt(0)
	v_mul_f32_e32 v7, v2, v6
	v_mul_f32_e32 v6, v8, v6
	v_fma_f32 v7, v8, v5, -v7
	v_fmac_f32_e32 v6, v2, v5
	buffer_store_dword v7, off, s[0:3], 0 offset:200
	buffer_store_dword v6, off, s[0:3], 0 offset:204
.LBB122_115:
	s_or_b32 exec_lo, exec_lo, s4
	s_waitcnt_vscnt null, 0x0
	s_barrier
	buffer_gl0_inv
	s_clause 0x1
	buffer_load_dword v5, off, s[0:3], 0 offset:208
	buffer_load_dword v6, off, s[0:3], 0 offset:212
	s_mov_b32 s4, exec_lo
	s_waitcnt vmcnt(0)
	ds_write_b64 v4, v[5:6]
	s_waitcnt lgkmcnt(0)
	s_barrier
	buffer_gl0_inv
	v_cmpx_gt_u32_e32 26, v0
	s_cbranch_execz .LBB122_119
; %bb.116:
	v_add_nc_u32_e32 v5, -1, v0
	v_add_nc_u32_e32 v6, 0x1e0, v3
	v_mov_b32_e32 v7, v3
	v_mov_b32_e32 v2, 0
	;; [unrolled: 1-line block ×3, first 2 shown]
	s_mov_b32 s5, 0
	.p2align	6
.LBB122_117:                            ; =>This Inner Loop Header: Depth=1
	s_clause 0x1
	buffer_load_dword v11, v7, s[0:3], 0 offen offset:4
	buffer_load_dword v12, v7, s[0:3], 0 offen
	ds_read_b64 v[9:10], v6
	v_add_nc_u32_e32 v5, 1, v5
	v_add_nc_u32_e32 v6, 8, v6
	;; [unrolled: 1-line block ×3, first 2 shown]
	v_cmp_lt_u32_e32 vcc_lo, 24, v5
	s_or_b32 s5, vcc_lo, s5
	s_waitcnt vmcnt(1) lgkmcnt(0)
	v_mul_f32_e32 v131, v10, v11
	v_mul_f32_e32 v11, v9, v11
	s_waitcnt vmcnt(0)
	v_fma_f32 v9, v9, v12, -v131
	v_fmac_f32_e32 v11, v10, v12
	v_add_f32_e32 v8, v8, v9
	v_add_f32_e32 v2, v2, v11
	s_andn2_b32 exec_lo, exec_lo, s5
	s_cbranch_execnz .LBB122_117
; %bb.118:
	s_or_b32 exec_lo, exec_lo, s5
	v_mov_b32_e32 v5, 0
	ds_read_b64 v[5:6], v5 offset:208
	s_waitcnt lgkmcnt(0)
	v_mul_f32_e32 v7, v2, v6
	v_mul_f32_e32 v6, v8, v6
	v_fma_f32 v7, v8, v5, -v7
	v_fmac_f32_e32 v6, v2, v5
	buffer_store_dword v7, off, s[0:3], 0 offset:208
	buffer_store_dword v6, off, s[0:3], 0 offset:212
.LBB122_119:
	s_or_b32 exec_lo, exec_lo, s4
	s_waitcnt_vscnt null, 0x0
	s_barrier
	buffer_gl0_inv
	s_clause 0x1
	buffer_load_dword v5, off, s[0:3], 0 offset:216
	buffer_load_dword v6, off, s[0:3], 0 offset:220
	s_mov_b32 s4, exec_lo
	s_waitcnt vmcnt(0)
	ds_write_b64 v4, v[5:6]
	s_waitcnt lgkmcnt(0)
	s_barrier
	buffer_gl0_inv
	v_cmpx_gt_u32_e32 27, v0
	s_cbranch_execz .LBB122_123
; %bb.120:
	v_add_nc_u32_e32 v5, -1, v0
	v_add_nc_u32_e32 v6, 0x1e0, v3
	v_mov_b32_e32 v7, v3
	v_mov_b32_e32 v2, 0
	;; [unrolled: 1-line block ×3, first 2 shown]
	s_mov_b32 s5, 0
	.p2align	6
.LBB122_121:                            ; =>This Inner Loop Header: Depth=1
	s_clause 0x1
	buffer_load_dword v11, v7, s[0:3], 0 offen offset:4
	buffer_load_dword v12, v7, s[0:3], 0 offen
	ds_read_b64 v[9:10], v6
	v_add_nc_u32_e32 v5, 1, v5
	v_add_nc_u32_e32 v6, 8, v6
	;; [unrolled: 1-line block ×3, first 2 shown]
	v_cmp_lt_u32_e32 vcc_lo, 25, v5
	s_or_b32 s5, vcc_lo, s5
	s_waitcnt vmcnt(1) lgkmcnt(0)
	v_mul_f32_e32 v131, v10, v11
	v_mul_f32_e32 v11, v9, v11
	s_waitcnt vmcnt(0)
	v_fma_f32 v9, v9, v12, -v131
	v_fmac_f32_e32 v11, v10, v12
	v_add_f32_e32 v8, v8, v9
	v_add_f32_e32 v2, v2, v11
	s_andn2_b32 exec_lo, exec_lo, s5
	s_cbranch_execnz .LBB122_121
; %bb.122:
	s_or_b32 exec_lo, exec_lo, s5
	v_mov_b32_e32 v5, 0
	ds_read_b64 v[5:6], v5 offset:216
	s_waitcnt lgkmcnt(0)
	v_mul_f32_e32 v7, v2, v6
	v_mul_f32_e32 v6, v8, v6
	v_fma_f32 v7, v8, v5, -v7
	v_fmac_f32_e32 v6, v2, v5
	buffer_store_dword v7, off, s[0:3], 0 offset:216
	buffer_store_dword v6, off, s[0:3], 0 offset:220
.LBB122_123:
	s_or_b32 exec_lo, exec_lo, s4
	s_waitcnt_vscnt null, 0x0
	s_barrier
	buffer_gl0_inv
	s_clause 0x1
	buffer_load_dword v5, off, s[0:3], 0 offset:224
	buffer_load_dword v6, off, s[0:3], 0 offset:228
	s_mov_b32 s4, exec_lo
	s_waitcnt vmcnt(0)
	ds_write_b64 v4, v[5:6]
	s_waitcnt lgkmcnt(0)
	s_barrier
	buffer_gl0_inv
	v_cmpx_gt_u32_e32 28, v0
	s_cbranch_execz .LBB122_127
; %bb.124:
	v_add_nc_u32_e32 v5, -1, v0
	v_add_nc_u32_e32 v6, 0x1e0, v3
	v_mov_b32_e32 v7, v3
	v_mov_b32_e32 v2, 0
	;; [unrolled: 1-line block ×3, first 2 shown]
	s_mov_b32 s5, 0
	.p2align	6
.LBB122_125:                            ; =>This Inner Loop Header: Depth=1
	s_clause 0x1
	buffer_load_dword v11, v7, s[0:3], 0 offen offset:4
	buffer_load_dword v12, v7, s[0:3], 0 offen
	ds_read_b64 v[9:10], v6
	v_add_nc_u32_e32 v5, 1, v5
	v_add_nc_u32_e32 v6, 8, v6
	;; [unrolled: 1-line block ×3, first 2 shown]
	v_cmp_lt_u32_e32 vcc_lo, 26, v5
	s_or_b32 s5, vcc_lo, s5
	s_waitcnt vmcnt(1) lgkmcnt(0)
	v_mul_f32_e32 v131, v10, v11
	v_mul_f32_e32 v11, v9, v11
	s_waitcnt vmcnt(0)
	v_fma_f32 v9, v9, v12, -v131
	v_fmac_f32_e32 v11, v10, v12
	v_add_f32_e32 v8, v8, v9
	v_add_f32_e32 v2, v2, v11
	s_andn2_b32 exec_lo, exec_lo, s5
	s_cbranch_execnz .LBB122_125
; %bb.126:
	s_or_b32 exec_lo, exec_lo, s5
	v_mov_b32_e32 v5, 0
	ds_read_b64 v[5:6], v5 offset:224
	s_waitcnt lgkmcnt(0)
	v_mul_f32_e32 v7, v2, v6
	v_mul_f32_e32 v6, v8, v6
	v_fma_f32 v7, v8, v5, -v7
	v_fmac_f32_e32 v6, v2, v5
	buffer_store_dword v7, off, s[0:3], 0 offset:224
	buffer_store_dword v6, off, s[0:3], 0 offset:228
.LBB122_127:
	s_or_b32 exec_lo, exec_lo, s4
	s_waitcnt_vscnt null, 0x0
	s_barrier
	buffer_gl0_inv
	s_clause 0x1
	buffer_load_dword v5, off, s[0:3], 0 offset:232
	buffer_load_dword v6, off, s[0:3], 0 offset:236
	s_mov_b32 s4, exec_lo
	s_waitcnt vmcnt(0)
	ds_write_b64 v4, v[5:6]
	s_waitcnt lgkmcnt(0)
	s_barrier
	buffer_gl0_inv
	v_cmpx_gt_u32_e32 29, v0
	s_cbranch_execz .LBB122_131
; %bb.128:
	v_add_nc_u32_e32 v5, -1, v0
	v_add_nc_u32_e32 v6, 0x1e0, v3
	v_mov_b32_e32 v7, v3
	v_mov_b32_e32 v2, 0
	;; [unrolled: 1-line block ×3, first 2 shown]
	s_mov_b32 s5, 0
	.p2align	6
.LBB122_129:                            ; =>This Inner Loop Header: Depth=1
	s_clause 0x1
	buffer_load_dword v11, v7, s[0:3], 0 offen offset:4
	buffer_load_dword v12, v7, s[0:3], 0 offen
	ds_read_b64 v[9:10], v6
	v_add_nc_u32_e32 v5, 1, v5
	v_add_nc_u32_e32 v6, 8, v6
	;; [unrolled: 1-line block ×3, first 2 shown]
	v_cmp_lt_u32_e32 vcc_lo, 27, v5
	s_or_b32 s5, vcc_lo, s5
	s_waitcnt vmcnt(1) lgkmcnt(0)
	v_mul_f32_e32 v131, v10, v11
	v_mul_f32_e32 v11, v9, v11
	s_waitcnt vmcnt(0)
	v_fma_f32 v9, v9, v12, -v131
	v_fmac_f32_e32 v11, v10, v12
	v_add_f32_e32 v8, v8, v9
	v_add_f32_e32 v2, v2, v11
	s_andn2_b32 exec_lo, exec_lo, s5
	s_cbranch_execnz .LBB122_129
; %bb.130:
	s_or_b32 exec_lo, exec_lo, s5
	v_mov_b32_e32 v5, 0
	ds_read_b64 v[5:6], v5 offset:232
	s_waitcnt lgkmcnt(0)
	v_mul_f32_e32 v7, v2, v6
	v_mul_f32_e32 v6, v8, v6
	v_fma_f32 v7, v8, v5, -v7
	v_fmac_f32_e32 v6, v2, v5
	buffer_store_dword v7, off, s[0:3], 0 offset:232
	buffer_store_dword v6, off, s[0:3], 0 offset:236
.LBB122_131:
	s_or_b32 exec_lo, exec_lo, s4
	s_waitcnt_vscnt null, 0x0
	s_barrier
	buffer_gl0_inv
	s_clause 0x1
	buffer_load_dword v5, off, s[0:3], 0 offset:240
	buffer_load_dword v6, off, s[0:3], 0 offset:244
	s_mov_b32 s4, exec_lo
	s_waitcnt vmcnt(0)
	ds_write_b64 v4, v[5:6]
	s_waitcnt lgkmcnt(0)
	s_barrier
	buffer_gl0_inv
	v_cmpx_gt_u32_e32 30, v0
	s_cbranch_execz .LBB122_135
; %bb.132:
	v_add_nc_u32_e32 v5, -1, v0
	v_add_nc_u32_e32 v6, 0x1e0, v3
	v_mov_b32_e32 v7, v3
	v_mov_b32_e32 v2, 0
	;; [unrolled: 1-line block ×3, first 2 shown]
	s_mov_b32 s5, 0
	.p2align	6
.LBB122_133:                            ; =>This Inner Loop Header: Depth=1
	s_clause 0x1
	buffer_load_dword v11, v7, s[0:3], 0 offen offset:4
	buffer_load_dword v12, v7, s[0:3], 0 offen
	ds_read_b64 v[9:10], v6
	v_add_nc_u32_e32 v5, 1, v5
	v_add_nc_u32_e32 v6, 8, v6
	;; [unrolled: 1-line block ×3, first 2 shown]
	v_cmp_lt_u32_e32 vcc_lo, 28, v5
	s_or_b32 s5, vcc_lo, s5
	s_waitcnt vmcnt(1) lgkmcnt(0)
	v_mul_f32_e32 v131, v10, v11
	v_mul_f32_e32 v11, v9, v11
	s_waitcnt vmcnt(0)
	v_fma_f32 v9, v9, v12, -v131
	v_fmac_f32_e32 v11, v10, v12
	v_add_f32_e32 v8, v8, v9
	v_add_f32_e32 v2, v2, v11
	s_andn2_b32 exec_lo, exec_lo, s5
	s_cbranch_execnz .LBB122_133
; %bb.134:
	s_or_b32 exec_lo, exec_lo, s5
	v_mov_b32_e32 v5, 0
	ds_read_b64 v[5:6], v5 offset:240
	s_waitcnt lgkmcnt(0)
	v_mul_f32_e32 v7, v2, v6
	v_mul_f32_e32 v6, v8, v6
	v_fma_f32 v7, v8, v5, -v7
	v_fmac_f32_e32 v6, v2, v5
	buffer_store_dword v7, off, s[0:3], 0 offset:240
	buffer_store_dword v6, off, s[0:3], 0 offset:244
.LBB122_135:
	s_or_b32 exec_lo, exec_lo, s4
	s_waitcnt_vscnt null, 0x0
	s_barrier
	buffer_gl0_inv
	s_clause 0x1
	buffer_load_dword v5, off, s[0:3], 0 offset:248
	buffer_load_dword v6, off, s[0:3], 0 offset:252
	s_mov_b32 s4, exec_lo
	s_waitcnt vmcnt(0)
	ds_write_b64 v4, v[5:6]
	s_waitcnt lgkmcnt(0)
	s_barrier
	buffer_gl0_inv
	v_cmpx_gt_u32_e32 31, v0
	s_cbranch_execz .LBB122_139
; %bb.136:
	v_add_nc_u32_e32 v5, -1, v0
	v_add_nc_u32_e32 v6, 0x1e0, v3
	v_mov_b32_e32 v7, v3
	v_mov_b32_e32 v2, 0
	;; [unrolled: 1-line block ×3, first 2 shown]
	s_mov_b32 s5, 0
	.p2align	6
.LBB122_137:                            ; =>This Inner Loop Header: Depth=1
	s_clause 0x1
	buffer_load_dword v11, v7, s[0:3], 0 offen offset:4
	buffer_load_dword v12, v7, s[0:3], 0 offen
	ds_read_b64 v[9:10], v6
	v_add_nc_u32_e32 v5, 1, v5
	v_add_nc_u32_e32 v6, 8, v6
	;; [unrolled: 1-line block ×3, first 2 shown]
	v_cmp_lt_u32_e32 vcc_lo, 29, v5
	s_or_b32 s5, vcc_lo, s5
	s_waitcnt vmcnt(1) lgkmcnt(0)
	v_mul_f32_e32 v131, v10, v11
	v_mul_f32_e32 v11, v9, v11
	s_waitcnt vmcnt(0)
	v_fma_f32 v9, v9, v12, -v131
	v_fmac_f32_e32 v11, v10, v12
	v_add_f32_e32 v8, v8, v9
	v_add_f32_e32 v2, v2, v11
	s_andn2_b32 exec_lo, exec_lo, s5
	s_cbranch_execnz .LBB122_137
; %bb.138:
	s_or_b32 exec_lo, exec_lo, s5
	v_mov_b32_e32 v5, 0
	ds_read_b64 v[5:6], v5 offset:248
	s_waitcnt lgkmcnt(0)
	v_mul_f32_e32 v7, v2, v6
	v_mul_f32_e32 v6, v8, v6
	v_fma_f32 v7, v8, v5, -v7
	v_fmac_f32_e32 v6, v2, v5
	buffer_store_dword v7, off, s[0:3], 0 offset:248
	buffer_store_dword v6, off, s[0:3], 0 offset:252
.LBB122_139:
	s_or_b32 exec_lo, exec_lo, s4
	s_waitcnt_vscnt null, 0x0
	s_barrier
	buffer_gl0_inv
	s_clause 0x1
	buffer_load_dword v5, off, s[0:3], 0 offset:256
	buffer_load_dword v6, off, s[0:3], 0 offset:260
	s_mov_b32 s4, exec_lo
	s_waitcnt vmcnt(0)
	ds_write_b64 v4, v[5:6]
	s_waitcnt lgkmcnt(0)
	s_barrier
	buffer_gl0_inv
	v_cmpx_gt_u32_e32 32, v0
	s_cbranch_execz .LBB122_143
; %bb.140:
	v_add_nc_u32_e32 v5, -1, v0
	v_add_nc_u32_e32 v6, 0x1e0, v3
	v_mov_b32_e32 v7, v3
	v_mov_b32_e32 v2, 0
	;; [unrolled: 1-line block ×3, first 2 shown]
	s_mov_b32 s5, 0
	.p2align	6
.LBB122_141:                            ; =>This Inner Loop Header: Depth=1
	s_clause 0x1
	buffer_load_dword v11, v7, s[0:3], 0 offen offset:4
	buffer_load_dword v12, v7, s[0:3], 0 offen
	ds_read_b64 v[9:10], v6
	v_add_nc_u32_e32 v5, 1, v5
	v_add_nc_u32_e32 v6, 8, v6
	;; [unrolled: 1-line block ×3, first 2 shown]
	v_cmp_lt_u32_e32 vcc_lo, 30, v5
	s_or_b32 s5, vcc_lo, s5
	s_waitcnt vmcnt(1) lgkmcnt(0)
	v_mul_f32_e32 v131, v10, v11
	v_mul_f32_e32 v11, v9, v11
	s_waitcnt vmcnt(0)
	v_fma_f32 v9, v9, v12, -v131
	v_fmac_f32_e32 v11, v10, v12
	v_add_f32_e32 v8, v8, v9
	v_add_f32_e32 v2, v2, v11
	s_andn2_b32 exec_lo, exec_lo, s5
	s_cbranch_execnz .LBB122_141
; %bb.142:
	s_or_b32 exec_lo, exec_lo, s5
	v_mov_b32_e32 v5, 0
	ds_read_b64 v[5:6], v5 offset:256
	s_waitcnt lgkmcnt(0)
	v_mul_f32_e32 v7, v2, v6
	v_mul_f32_e32 v6, v8, v6
	v_fma_f32 v7, v8, v5, -v7
	v_fmac_f32_e32 v6, v2, v5
	buffer_store_dword v7, off, s[0:3], 0 offset:256
	buffer_store_dword v6, off, s[0:3], 0 offset:260
.LBB122_143:
	s_or_b32 exec_lo, exec_lo, s4
	s_waitcnt_vscnt null, 0x0
	s_barrier
	buffer_gl0_inv
	s_clause 0x1
	buffer_load_dword v5, off, s[0:3], 0 offset:264
	buffer_load_dword v6, off, s[0:3], 0 offset:268
	s_mov_b32 s4, exec_lo
	s_waitcnt vmcnt(0)
	ds_write_b64 v4, v[5:6]
	s_waitcnt lgkmcnt(0)
	s_barrier
	buffer_gl0_inv
	v_cmpx_gt_u32_e32 33, v0
	s_cbranch_execz .LBB122_147
; %bb.144:
	v_add_nc_u32_e32 v5, -1, v0
	v_add_nc_u32_e32 v6, 0x1e0, v3
	v_mov_b32_e32 v7, v3
	v_mov_b32_e32 v2, 0
	;; [unrolled: 1-line block ×3, first 2 shown]
	s_mov_b32 s5, 0
	.p2align	6
.LBB122_145:                            ; =>This Inner Loop Header: Depth=1
	s_clause 0x1
	buffer_load_dword v11, v7, s[0:3], 0 offen offset:4
	buffer_load_dword v12, v7, s[0:3], 0 offen
	ds_read_b64 v[9:10], v6
	v_add_nc_u32_e32 v5, 1, v5
	v_add_nc_u32_e32 v6, 8, v6
	;; [unrolled: 1-line block ×3, first 2 shown]
	v_cmp_lt_u32_e32 vcc_lo, 31, v5
	s_or_b32 s5, vcc_lo, s5
	s_waitcnt vmcnt(1) lgkmcnt(0)
	v_mul_f32_e32 v131, v10, v11
	v_mul_f32_e32 v11, v9, v11
	s_waitcnt vmcnt(0)
	v_fma_f32 v9, v9, v12, -v131
	v_fmac_f32_e32 v11, v10, v12
	v_add_f32_e32 v8, v8, v9
	v_add_f32_e32 v2, v2, v11
	s_andn2_b32 exec_lo, exec_lo, s5
	s_cbranch_execnz .LBB122_145
; %bb.146:
	s_or_b32 exec_lo, exec_lo, s5
	v_mov_b32_e32 v5, 0
	ds_read_b64 v[5:6], v5 offset:264
	s_waitcnt lgkmcnt(0)
	v_mul_f32_e32 v7, v2, v6
	v_mul_f32_e32 v6, v8, v6
	v_fma_f32 v7, v8, v5, -v7
	v_fmac_f32_e32 v6, v2, v5
	buffer_store_dword v7, off, s[0:3], 0 offset:264
	buffer_store_dword v6, off, s[0:3], 0 offset:268
.LBB122_147:
	s_or_b32 exec_lo, exec_lo, s4
	s_waitcnt_vscnt null, 0x0
	s_barrier
	buffer_gl0_inv
	s_clause 0x1
	buffer_load_dword v5, off, s[0:3], 0 offset:272
	buffer_load_dword v6, off, s[0:3], 0 offset:276
	s_mov_b32 s4, exec_lo
	s_waitcnt vmcnt(0)
	ds_write_b64 v4, v[5:6]
	s_waitcnt lgkmcnt(0)
	s_barrier
	buffer_gl0_inv
	v_cmpx_gt_u32_e32 34, v0
	s_cbranch_execz .LBB122_151
; %bb.148:
	v_add_nc_u32_e32 v5, -1, v0
	v_add_nc_u32_e32 v6, 0x1e0, v3
	v_mov_b32_e32 v7, v3
	v_mov_b32_e32 v2, 0
	v_mov_b32_e32 v8, 0
	s_mov_b32 s5, 0
	.p2align	6
.LBB122_149:                            ; =>This Inner Loop Header: Depth=1
	s_clause 0x1
	buffer_load_dword v11, v7, s[0:3], 0 offen offset:4
	buffer_load_dword v12, v7, s[0:3], 0 offen
	ds_read_b64 v[9:10], v6
	v_add_nc_u32_e32 v5, 1, v5
	v_add_nc_u32_e32 v6, 8, v6
	;; [unrolled: 1-line block ×3, first 2 shown]
	v_cmp_lt_u32_e32 vcc_lo, 32, v5
	s_or_b32 s5, vcc_lo, s5
	s_waitcnt vmcnt(1) lgkmcnt(0)
	v_mul_f32_e32 v131, v10, v11
	v_mul_f32_e32 v11, v9, v11
	s_waitcnt vmcnt(0)
	v_fma_f32 v9, v9, v12, -v131
	v_fmac_f32_e32 v11, v10, v12
	v_add_f32_e32 v8, v8, v9
	v_add_f32_e32 v2, v2, v11
	s_andn2_b32 exec_lo, exec_lo, s5
	s_cbranch_execnz .LBB122_149
; %bb.150:
	s_or_b32 exec_lo, exec_lo, s5
	v_mov_b32_e32 v5, 0
	ds_read_b64 v[5:6], v5 offset:272
	s_waitcnt lgkmcnt(0)
	v_mul_f32_e32 v7, v2, v6
	v_mul_f32_e32 v6, v8, v6
	v_fma_f32 v7, v8, v5, -v7
	v_fmac_f32_e32 v6, v2, v5
	buffer_store_dword v7, off, s[0:3], 0 offset:272
	buffer_store_dword v6, off, s[0:3], 0 offset:276
.LBB122_151:
	s_or_b32 exec_lo, exec_lo, s4
	s_waitcnt_vscnt null, 0x0
	s_barrier
	buffer_gl0_inv
	s_clause 0x1
	buffer_load_dword v5, off, s[0:3], 0 offset:280
	buffer_load_dword v6, off, s[0:3], 0 offset:284
	s_mov_b32 s4, exec_lo
	s_waitcnt vmcnt(0)
	ds_write_b64 v4, v[5:6]
	s_waitcnt lgkmcnt(0)
	s_barrier
	buffer_gl0_inv
	v_cmpx_gt_u32_e32 35, v0
	s_cbranch_execz .LBB122_155
; %bb.152:
	v_add_nc_u32_e32 v5, -1, v0
	v_add_nc_u32_e32 v6, 0x1e0, v3
	v_mov_b32_e32 v7, v3
	v_mov_b32_e32 v2, 0
	;; [unrolled: 1-line block ×3, first 2 shown]
	s_mov_b32 s5, 0
	.p2align	6
.LBB122_153:                            ; =>This Inner Loop Header: Depth=1
	s_clause 0x1
	buffer_load_dword v11, v7, s[0:3], 0 offen offset:4
	buffer_load_dword v12, v7, s[0:3], 0 offen
	ds_read_b64 v[9:10], v6
	v_add_nc_u32_e32 v5, 1, v5
	v_add_nc_u32_e32 v6, 8, v6
	;; [unrolled: 1-line block ×3, first 2 shown]
	v_cmp_lt_u32_e32 vcc_lo, 33, v5
	s_or_b32 s5, vcc_lo, s5
	s_waitcnt vmcnt(1) lgkmcnt(0)
	v_mul_f32_e32 v131, v10, v11
	v_mul_f32_e32 v11, v9, v11
	s_waitcnt vmcnt(0)
	v_fma_f32 v9, v9, v12, -v131
	v_fmac_f32_e32 v11, v10, v12
	v_add_f32_e32 v8, v8, v9
	v_add_f32_e32 v2, v2, v11
	s_andn2_b32 exec_lo, exec_lo, s5
	s_cbranch_execnz .LBB122_153
; %bb.154:
	s_or_b32 exec_lo, exec_lo, s5
	v_mov_b32_e32 v5, 0
	ds_read_b64 v[5:6], v5 offset:280
	s_waitcnt lgkmcnt(0)
	v_mul_f32_e32 v7, v2, v6
	v_mul_f32_e32 v6, v8, v6
	v_fma_f32 v7, v8, v5, -v7
	v_fmac_f32_e32 v6, v2, v5
	buffer_store_dword v7, off, s[0:3], 0 offset:280
	buffer_store_dword v6, off, s[0:3], 0 offset:284
.LBB122_155:
	s_or_b32 exec_lo, exec_lo, s4
	s_waitcnt_vscnt null, 0x0
	s_barrier
	buffer_gl0_inv
	s_clause 0x1
	buffer_load_dword v5, off, s[0:3], 0 offset:288
	buffer_load_dword v6, off, s[0:3], 0 offset:292
	s_mov_b32 s4, exec_lo
	s_waitcnt vmcnt(0)
	ds_write_b64 v4, v[5:6]
	s_waitcnt lgkmcnt(0)
	s_barrier
	buffer_gl0_inv
	v_cmpx_gt_u32_e32 36, v0
	s_cbranch_execz .LBB122_159
; %bb.156:
	v_add_nc_u32_e32 v5, -1, v0
	v_add_nc_u32_e32 v6, 0x1e0, v3
	v_mov_b32_e32 v7, v3
	v_mov_b32_e32 v2, 0
	;; [unrolled: 1-line block ×3, first 2 shown]
	s_mov_b32 s5, 0
	.p2align	6
.LBB122_157:                            ; =>This Inner Loop Header: Depth=1
	s_clause 0x1
	buffer_load_dword v11, v7, s[0:3], 0 offen offset:4
	buffer_load_dword v12, v7, s[0:3], 0 offen
	ds_read_b64 v[9:10], v6
	v_add_nc_u32_e32 v5, 1, v5
	v_add_nc_u32_e32 v6, 8, v6
	v_add_nc_u32_e32 v7, 8, v7
	v_cmp_lt_u32_e32 vcc_lo, 34, v5
	s_or_b32 s5, vcc_lo, s5
	s_waitcnt vmcnt(1) lgkmcnt(0)
	v_mul_f32_e32 v131, v10, v11
	v_mul_f32_e32 v11, v9, v11
	s_waitcnt vmcnt(0)
	v_fma_f32 v9, v9, v12, -v131
	v_fmac_f32_e32 v11, v10, v12
	v_add_f32_e32 v8, v8, v9
	v_add_f32_e32 v2, v2, v11
	s_andn2_b32 exec_lo, exec_lo, s5
	s_cbranch_execnz .LBB122_157
; %bb.158:
	s_or_b32 exec_lo, exec_lo, s5
	v_mov_b32_e32 v5, 0
	ds_read_b64 v[5:6], v5 offset:288
	s_waitcnt lgkmcnt(0)
	v_mul_f32_e32 v7, v2, v6
	v_mul_f32_e32 v6, v8, v6
	v_fma_f32 v7, v8, v5, -v7
	v_fmac_f32_e32 v6, v2, v5
	buffer_store_dword v7, off, s[0:3], 0 offset:288
	buffer_store_dword v6, off, s[0:3], 0 offset:292
.LBB122_159:
	s_or_b32 exec_lo, exec_lo, s4
	s_waitcnt_vscnt null, 0x0
	s_barrier
	buffer_gl0_inv
	s_clause 0x1
	buffer_load_dword v5, off, s[0:3], 0 offset:296
	buffer_load_dword v6, off, s[0:3], 0 offset:300
	s_mov_b32 s4, exec_lo
	s_waitcnt vmcnt(0)
	ds_write_b64 v4, v[5:6]
	s_waitcnt lgkmcnt(0)
	s_barrier
	buffer_gl0_inv
	v_cmpx_gt_u32_e32 37, v0
	s_cbranch_execz .LBB122_163
; %bb.160:
	v_add_nc_u32_e32 v5, -1, v0
	v_add_nc_u32_e32 v6, 0x1e0, v3
	v_mov_b32_e32 v7, v3
	v_mov_b32_e32 v2, 0
	;; [unrolled: 1-line block ×3, first 2 shown]
	s_mov_b32 s5, 0
	.p2align	6
.LBB122_161:                            ; =>This Inner Loop Header: Depth=1
	s_clause 0x1
	buffer_load_dword v11, v7, s[0:3], 0 offen offset:4
	buffer_load_dword v12, v7, s[0:3], 0 offen
	ds_read_b64 v[9:10], v6
	v_add_nc_u32_e32 v5, 1, v5
	v_add_nc_u32_e32 v6, 8, v6
	v_add_nc_u32_e32 v7, 8, v7
	v_cmp_lt_u32_e32 vcc_lo, 35, v5
	s_or_b32 s5, vcc_lo, s5
	s_waitcnt vmcnt(1) lgkmcnt(0)
	v_mul_f32_e32 v131, v10, v11
	v_mul_f32_e32 v11, v9, v11
	s_waitcnt vmcnt(0)
	v_fma_f32 v9, v9, v12, -v131
	v_fmac_f32_e32 v11, v10, v12
	v_add_f32_e32 v8, v8, v9
	v_add_f32_e32 v2, v2, v11
	s_andn2_b32 exec_lo, exec_lo, s5
	s_cbranch_execnz .LBB122_161
; %bb.162:
	s_or_b32 exec_lo, exec_lo, s5
	v_mov_b32_e32 v5, 0
	ds_read_b64 v[5:6], v5 offset:296
	s_waitcnt lgkmcnt(0)
	v_mul_f32_e32 v7, v2, v6
	v_mul_f32_e32 v6, v8, v6
	v_fma_f32 v7, v8, v5, -v7
	v_fmac_f32_e32 v6, v2, v5
	buffer_store_dword v7, off, s[0:3], 0 offset:296
	buffer_store_dword v6, off, s[0:3], 0 offset:300
.LBB122_163:
	s_or_b32 exec_lo, exec_lo, s4
	s_waitcnt_vscnt null, 0x0
	s_barrier
	buffer_gl0_inv
	s_clause 0x1
	buffer_load_dword v5, off, s[0:3], 0 offset:304
	buffer_load_dword v6, off, s[0:3], 0 offset:308
	s_mov_b32 s4, exec_lo
	s_waitcnt vmcnt(0)
	ds_write_b64 v4, v[5:6]
	s_waitcnt lgkmcnt(0)
	s_barrier
	buffer_gl0_inv
	v_cmpx_gt_u32_e32 38, v0
	s_cbranch_execz .LBB122_167
; %bb.164:
	v_add_nc_u32_e32 v5, -1, v0
	v_add_nc_u32_e32 v6, 0x1e0, v3
	v_mov_b32_e32 v7, v3
	v_mov_b32_e32 v2, 0
	;; [unrolled: 1-line block ×3, first 2 shown]
	s_mov_b32 s5, 0
	.p2align	6
.LBB122_165:                            ; =>This Inner Loop Header: Depth=1
	s_clause 0x1
	buffer_load_dword v11, v7, s[0:3], 0 offen offset:4
	buffer_load_dword v12, v7, s[0:3], 0 offen
	ds_read_b64 v[9:10], v6
	v_add_nc_u32_e32 v5, 1, v5
	v_add_nc_u32_e32 v6, 8, v6
	;; [unrolled: 1-line block ×3, first 2 shown]
	v_cmp_lt_u32_e32 vcc_lo, 36, v5
	s_or_b32 s5, vcc_lo, s5
	s_waitcnt vmcnt(1) lgkmcnt(0)
	v_mul_f32_e32 v131, v10, v11
	v_mul_f32_e32 v11, v9, v11
	s_waitcnt vmcnt(0)
	v_fma_f32 v9, v9, v12, -v131
	v_fmac_f32_e32 v11, v10, v12
	v_add_f32_e32 v8, v8, v9
	v_add_f32_e32 v2, v2, v11
	s_andn2_b32 exec_lo, exec_lo, s5
	s_cbranch_execnz .LBB122_165
; %bb.166:
	s_or_b32 exec_lo, exec_lo, s5
	v_mov_b32_e32 v5, 0
	ds_read_b64 v[5:6], v5 offset:304
	s_waitcnt lgkmcnt(0)
	v_mul_f32_e32 v7, v2, v6
	v_mul_f32_e32 v6, v8, v6
	v_fma_f32 v7, v8, v5, -v7
	v_fmac_f32_e32 v6, v2, v5
	buffer_store_dword v7, off, s[0:3], 0 offset:304
	buffer_store_dword v6, off, s[0:3], 0 offset:308
.LBB122_167:
	s_or_b32 exec_lo, exec_lo, s4
	s_waitcnt_vscnt null, 0x0
	s_barrier
	buffer_gl0_inv
	s_clause 0x1
	buffer_load_dword v5, off, s[0:3], 0 offset:312
	buffer_load_dword v6, off, s[0:3], 0 offset:316
	s_mov_b32 s4, exec_lo
	s_waitcnt vmcnt(0)
	ds_write_b64 v4, v[5:6]
	s_waitcnt lgkmcnt(0)
	s_barrier
	buffer_gl0_inv
	v_cmpx_gt_u32_e32 39, v0
	s_cbranch_execz .LBB122_171
; %bb.168:
	v_add_nc_u32_e32 v5, -1, v0
	v_add_nc_u32_e32 v6, 0x1e0, v3
	v_mov_b32_e32 v7, v3
	v_mov_b32_e32 v2, 0
	;; [unrolled: 1-line block ×3, first 2 shown]
	s_mov_b32 s5, 0
	.p2align	6
.LBB122_169:                            ; =>This Inner Loop Header: Depth=1
	s_clause 0x1
	buffer_load_dword v11, v7, s[0:3], 0 offen offset:4
	buffer_load_dword v12, v7, s[0:3], 0 offen
	ds_read_b64 v[9:10], v6
	v_add_nc_u32_e32 v5, 1, v5
	v_add_nc_u32_e32 v6, 8, v6
	;; [unrolled: 1-line block ×3, first 2 shown]
	v_cmp_lt_u32_e32 vcc_lo, 37, v5
	s_or_b32 s5, vcc_lo, s5
	s_waitcnt vmcnt(1) lgkmcnt(0)
	v_mul_f32_e32 v131, v10, v11
	v_mul_f32_e32 v11, v9, v11
	s_waitcnt vmcnt(0)
	v_fma_f32 v9, v9, v12, -v131
	v_fmac_f32_e32 v11, v10, v12
	v_add_f32_e32 v8, v8, v9
	v_add_f32_e32 v2, v2, v11
	s_andn2_b32 exec_lo, exec_lo, s5
	s_cbranch_execnz .LBB122_169
; %bb.170:
	s_or_b32 exec_lo, exec_lo, s5
	v_mov_b32_e32 v5, 0
	ds_read_b64 v[5:6], v5 offset:312
	s_waitcnt lgkmcnt(0)
	v_mul_f32_e32 v7, v2, v6
	v_mul_f32_e32 v6, v8, v6
	v_fma_f32 v7, v8, v5, -v7
	v_fmac_f32_e32 v6, v2, v5
	buffer_store_dword v7, off, s[0:3], 0 offset:312
	buffer_store_dword v6, off, s[0:3], 0 offset:316
.LBB122_171:
	s_or_b32 exec_lo, exec_lo, s4
	s_waitcnt_vscnt null, 0x0
	s_barrier
	buffer_gl0_inv
	s_clause 0x1
	buffer_load_dword v5, off, s[0:3], 0 offset:320
	buffer_load_dword v6, off, s[0:3], 0 offset:324
	s_mov_b32 s4, exec_lo
	s_waitcnt vmcnt(0)
	ds_write_b64 v4, v[5:6]
	s_waitcnt lgkmcnt(0)
	s_barrier
	buffer_gl0_inv
	v_cmpx_gt_u32_e32 40, v0
	s_cbranch_execz .LBB122_175
; %bb.172:
	v_add_nc_u32_e32 v5, -1, v0
	v_add_nc_u32_e32 v6, 0x1e0, v3
	v_mov_b32_e32 v7, v3
	v_mov_b32_e32 v2, 0
	;; [unrolled: 1-line block ×3, first 2 shown]
	s_mov_b32 s5, 0
	.p2align	6
.LBB122_173:                            ; =>This Inner Loop Header: Depth=1
	s_clause 0x1
	buffer_load_dword v11, v7, s[0:3], 0 offen offset:4
	buffer_load_dword v12, v7, s[0:3], 0 offen
	ds_read_b64 v[9:10], v6
	v_add_nc_u32_e32 v5, 1, v5
	v_add_nc_u32_e32 v6, 8, v6
	;; [unrolled: 1-line block ×3, first 2 shown]
	v_cmp_lt_u32_e32 vcc_lo, 38, v5
	s_or_b32 s5, vcc_lo, s5
	s_waitcnt vmcnt(1) lgkmcnt(0)
	v_mul_f32_e32 v131, v10, v11
	v_mul_f32_e32 v11, v9, v11
	s_waitcnt vmcnt(0)
	v_fma_f32 v9, v9, v12, -v131
	v_fmac_f32_e32 v11, v10, v12
	v_add_f32_e32 v8, v8, v9
	v_add_f32_e32 v2, v2, v11
	s_andn2_b32 exec_lo, exec_lo, s5
	s_cbranch_execnz .LBB122_173
; %bb.174:
	s_or_b32 exec_lo, exec_lo, s5
	v_mov_b32_e32 v5, 0
	ds_read_b64 v[5:6], v5 offset:320
	s_waitcnt lgkmcnt(0)
	v_mul_f32_e32 v7, v2, v6
	v_mul_f32_e32 v6, v8, v6
	v_fma_f32 v7, v8, v5, -v7
	v_fmac_f32_e32 v6, v2, v5
	buffer_store_dword v7, off, s[0:3], 0 offset:320
	buffer_store_dword v6, off, s[0:3], 0 offset:324
.LBB122_175:
	s_or_b32 exec_lo, exec_lo, s4
	s_waitcnt_vscnt null, 0x0
	s_barrier
	buffer_gl0_inv
	s_clause 0x1
	buffer_load_dword v5, off, s[0:3], 0 offset:328
	buffer_load_dword v6, off, s[0:3], 0 offset:332
	s_mov_b32 s4, exec_lo
	s_waitcnt vmcnt(0)
	ds_write_b64 v4, v[5:6]
	s_waitcnt lgkmcnt(0)
	s_barrier
	buffer_gl0_inv
	v_cmpx_gt_u32_e32 41, v0
	s_cbranch_execz .LBB122_179
; %bb.176:
	v_add_nc_u32_e32 v5, -1, v0
	v_add_nc_u32_e32 v6, 0x1e0, v3
	v_mov_b32_e32 v7, v3
	v_mov_b32_e32 v2, 0
	;; [unrolled: 1-line block ×3, first 2 shown]
	s_mov_b32 s5, 0
	.p2align	6
.LBB122_177:                            ; =>This Inner Loop Header: Depth=1
	s_clause 0x1
	buffer_load_dword v11, v7, s[0:3], 0 offen offset:4
	buffer_load_dword v12, v7, s[0:3], 0 offen
	ds_read_b64 v[9:10], v6
	v_add_nc_u32_e32 v5, 1, v5
	v_add_nc_u32_e32 v6, 8, v6
	v_add_nc_u32_e32 v7, 8, v7
	v_cmp_lt_u32_e32 vcc_lo, 39, v5
	s_or_b32 s5, vcc_lo, s5
	s_waitcnt vmcnt(1) lgkmcnt(0)
	v_mul_f32_e32 v131, v10, v11
	v_mul_f32_e32 v11, v9, v11
	s_waitcnt vmcnt(0)
	v_fma_f32 v9, v9, v12, -v131
	v_fmac_f32_e32 v11, v10, v12
	v_add_f32_e32 v8, v8, v9
	v_add_f32_e32 v2, v2, v11
	s_andn2_b32 exec_lo, exec_lo, s5
	s_cbranch_execnz .LBB122_177
; %bb.178:
	s_or_b32 exec_lo, exec_lo, s5
	v_mov_b32_e32 v5, 0
	ds_read_b64 v[5:6], v5 offset:328
	s_waitcnt lgkmcnt(0)
	v_mul_f32_e32 v7, v2, v6
	v_mul_f32_e32 v6, v8, v6
	v_fma_f32 v7, v8, v5, -v7
	v_fmac_f32_e32 v6, v2, v5
	buffer_store_dword v7, off, s[0:3], 0 offset:328
	buffer_store_dword v6, off, s[0:3], 0 offset:332
.LBB122_179:
	s_or_b32 exec_lo, exec_lo, s4
	s_waitcnt_vscnt null, 0x0
	s_barrier
	buffer_gl0_inv
	s_clause 0x1
	buffer_load_dword v5, off, s[0:3], 0 offset:336
	buffer_load_dword v6, off, s[0:3], 0 offset:340
	s_mov_b32 s4, exec_lo
	s_waitcnt vmcnt(0)
	ds_write_b64 v4, v[5:6]
	s_waitcnt lgkmcnt(0)
	s_barrier
	buffer_gl0_inv
	v_cmpx_gt_u32_e32 42, v0
	s_cbranch_execz .LBB122_183
; %bb.180:
	v_add_nc_u32_e32 v5, -1, v0
	v_add_nc_u32_e32 v6, 0x1e0, v3
	v_mov_b32_e32 v7, v3
	v_mov_b32_e32 v2, 0
	v_mov_b32_e32 v8, 0
	s_mov_b32 s5, 0
	.p2align	6
.LBB122_181:                            ; =>This Inner Loop Header: Depth=1
	s_clause 0x1
	buffer_load_dword v11, v7, s[0:3], 0 offen offset:4
	buffer_load_dword v12, v7, s[0:3], 0 offen
	ds_read_b64 v[9:10], v6
	v_add_nc_u32_e32 v5, 1, v5
	v_add_nc_u32_e32 v6, 8, v6
	;; [unrolled: 1-line block ×3, first 2 shown]
	v_cmp_lt_u32_e32 vcc_lo, 40, v5
	s_or_b32 s5, vcc_lo, s5
	s_waitcnt vmcnt(1) lgkmcnt(0)
	v_mul_f32_e32 v131, v10, v11
	v_mul_f32_e32 v11, v9, v11
	s_waitcnt vmcnt(0)
	v_fma_f32 v9, v9, v12, -v131
	v_fmac_f32_e32 v11, v10, v12
	v_add_f32_e32 v8, v8, v9
	v_add_f32_e32 v2, v2, v11
	s_andn2_b32 exec_lo, exec_lo, s5
	s_cbranch_execnz .LBB122_181
; %bb.182:
	s_or_b32 exec_lo, exec_lo, s5
	v_mov_b32_e32 v5, 0
	ds_read_b64 v[5:6], v5 offset:336
	s_waitcnt lgkmcnt(0)
	v_mul_f32_e32 v7, v2, v6
	v_mul_f32_e32 v6, v8, v6
	v_fma_f32 v7, v8, v5, -v7
	v_fmac_f32_e32 v6, v2, v5
	buffer_store_dword v7, off, s[0:3], 0 offset:336
	buffer_store_dword v6, off, s[0:3], 0 offset:340
.LBB122_183:
	s_or_b32 exec_lo, exec_lo, s4
	s_waitcnt_vscnt null, 0x0
	s_barrier
	buffer_gl0_inv
	s_clause 0x1
	buffer_load_dword v5, off, s[0:3], 0 offset:344
	buffer_load_dword v6, off, s[0:3], 0 offset:348
	s_mov_b32 s4, exec_lo
	s_waitcnt vmcnt(0)
	ds_write_b64 v4, v[5:6]
	s_waitcnt lgkmcnt(0)
	s_barrier
	buffer_gl0_inv
	v_cmpx_gt_u32_e32 43, v0
	s_cbranch_execz .LBB122_187
; %bb.184:
	v_add_nc_u32_e32 v5, -1, v0
	v_add_nc_u32_e32 v6, 0x1e0, v3
	v_mov_b32_e32 v7, v3
	v_mov_b32_e32 v2, 0
	;; [unrolled: 1-line block ×3, first 2 shown]
	s_mov_b32 s5, 0
	.p2align	6
.LBB122_185:                            ; =>This Inner Loop Header: Depth=1
	s_clause 0x1
	buffer_load_dword v11, v7, s[0:3], 0 offen offset:4
	buffer_load_dword v12, v7, s[0:3], 0 offen
	ds_read_b64 v[9:10], v6
	v_add_nc_u32_e32 v5, 1, v5
	v_add_nc_u32_e32 v6, 8, v6
	v_add_nc_u32_e32 v7, 8, v7
	v_cmp_lt_u32_e32 vcc_lo, 41, v5
	s_or_b32 s5, vcc_lo, s5
	s_waitcnt vmcnt(1) lgkmcnt(0)
	v_mul_f32_e32 v131, v10, v11
	v_mul_f32_e32 v11, v9, v11
	s_waitcnt vmcnt(0)
	v_fma_f32 v9, v9, v12, -v131
	v_fmac_f32_e32 v11, v10, v12
	v_add_f32_e32 v8, v8, v9
	v_add_f32_e32 v2, v2, v11
	s_andn2_b32 exec_lo, exec_lo, s5
	s_cbranch_execnz .LBB122_185
; %bb.186:
	s_or_b32 exec_lo, exec_lo, s5
	v_mov_b32_e32 v5, 0
	ds_read_b64 v[5:6], v5 offset:344
	s_waitcnt lgkmcnt(0)
	v_mul_f32_e32 v7, v2, v6
	v_mul_f32_e32 v6, v8, v6
	v_fma_f32 v7, v8, v5, -v7
	v_fmac_f32_e32 v6, v2, v5
	buffer_store_dword v7, off, s[0:3], 0 offset:344
	buffer_store_dword v6, off, s[0:3], 0 offset:348
.LBB122_187:
	s_or_b32 exec_lo, exec_lo, s4
	s_waitcnt_vscnt null, 0x0
	s_barrier
	buffer_gl0_inv
	s_clause 0x1
	buffer_load_dword v5, off, s[0:3], 0 offset:352
	buffer_load_dword v6, off, s[0:3], 0 offset:356
	s_mov_b32 s4, exec_lo
	s_waitcnt vmcnt(0)
	ds_write_b64 v4, v[5:6]
	s_waitcnt lgkmcnt(0)
	s_barrier
	buffer_gl0_inv
	v_cmpx_gt_u32_e32 44, v0
	s_cbranch_execz .LBB122_191
; %bb.188:
	v_add_nc_u32_e32 v5, -1, v0
	v_add_nc_u32_e32 v6, 0x1e0, v3
	v_mov_b32_e32 v7, v3
	v_mov_b32_e32 v2, 0
	;; [unrolled: 1-line block ×3, first 2 shown]
	s_mov_b32 s5, 0
	.p2align	6
.LBB122_189:                            ; =>This Inner Loop Header: Depth=1
	s_clause 0x1
	buffer_load_dword v11, v7, s[0:3], 0 offen offset:4
	buffer_load_dword v12, v7, s[0:3], 0 offen
	ds_read_b64 v[9:10], v6
	v_add_nc_u32_e32 v5, 1, v5
	v_add_nc_u32_e32 v6, 8, v6
	;; [unrolled: 1-line block ×3, first 2 shown]
	v_cmp_lt_u32_e32 vcc_lo, 42, v5
	s_or_b32 s5, vcc_lo, s5
	s_waitcnt vmcnt(1) lgkmcnt(0)
	v_mul_f32_e32 v131, v10, v11
	v_mul_f32_e32 v11, v9, v11
	s_waitcnt vmcnt(0)
	v_fma_f32 v9, v9, v12, -v131
	v_fmac_f32_e32 v11, v10, v12
	v_add_f32_e32 v8, v8, v9
	v_add_f32_e32 v2, v2, v11
	s_andn2_b32 exec_lo, exec_lo, s5
	s_cbranch_execnz .LBB122_189
; %bb.190:
	s_or_b32 exec_lo, exec_lo, s5
	v_mov_b32_e32 v5, 0
	ds_read_b64 v[5:6], v5 offset:352
	s_waitcnt lgkmcnt(0)
	v_mul_f32_e32 v7, v2, v6
	v_mul_f32_e32 v6, v8, v6
	v_fma_f32 v7, v8, v5, -v7
	v_fmac_f32_e32 v6, v2, v5
	buffer_store_dword v7, off, s[0:3], 0 offset:352
	buffer_store_dword v6, off, s[0:3], 0 offset:356
.LBB122_191:
	s_or_b32 exec_lo, exec_lo, s4
	s_waitcnt_vscnt null, 0x0
	s_barrier
	buffer_gl0_inv
	s_clause 0x1
	buffer_load_dword v5, off, s[0:3], 0 offset:360
	buffer_load_dword v6, off, s[0:3], 0 offset:364
	s_mov_b32 s4, exec_lo
	s_waitcnt vmcnt(0)
	ds_write_b64 v4, v[5:6]
	s_waitcnt lgkmcnt(0)
	s_barrier
	buffer_gl0_inv
	v_cmpx_gt_u32_e32 45, v0
	s_cbranch_execz .LBB122_195
; %bb.192:
	v_add_nc_u32_e32 v5, -1, v0
	v_add_nc_u32_e32 v6, 0x1e0, v3
	v_mov_b32_e32 v7, v3
	v_mov_b32_e32 v2, 0
	;; [unrolled: 1-line block ×3, first 2 shown]
	s_mov_b32 s5, 0
	.p2align	6
.LBB122_193:                            ; =>This Inner Loop Header: Depth=1
	s_clause 0x1
	buffer_load_dword v11, v7, s[0:3], 0 offen offset:4
	buffer_load_dword v12, v7, s[0:3], 0 offen
	ds_read_b64 v[9:10], v6
	v_add_nc_u32_e32 v5, 1, v5
	v_add_nc_u32_e32 v6, 8, v6
	;; [unrolled: 1-line block ×3, first 2 shown]
	v_cmp_lt_u32_e32 vcc_lo, 43, v5
	s_or_b32 s5, vcc_lo, s5
	s_waitcnt vmcnt(1) lgkmcnt(0)
	v_mul_f32_e32 v131, v10, v11
	v_mul_f32_e32 v11, v9, v11
	s_waitcnt vmcnt(0)
	v_fma_f32 v9, v9, v12, -v131
	v_fmac_f32_e32 v11, v10, v12
	v_add_f32_e32 v8, v8, v9
	v_add_f32_e32 v2, v2, v11
	s_andn2_b32 exec_lo, exec_lo, s5
	s_cbranch_execnz .LBB122_193
; %bb.194:
	s_or_b32 exec_lo, exec_lo, s5
	v_mov_b32_e32 v5, 0
	ds_read_b64 v[5:6], v5 offset:360
	s_waitcnt lgkmcnt(0)
	v_mul_f32_e32 v7, v2, v6
	v_mul_f32_e32 v6, v8, v6
	v_fma_f32 v7, v8, v5, -v7
	v_fmac_f32_e32 v6, v2, v5
	buffer_store_dword v7, off, s[0:3], 0 offset:360
	buffer_store_dword v6, off, s[0:3], 0 offset:364
.LBB122_195:
	s_or_b32 exec_lo, exec_lo, s4
	s_waitcnt_vscnt null, 0x0
	s_barrier
	buffer_gl0_inv
	s_clause 0x1
	buffer_load_dword v5, off, s[0:3], 0 offset:368
	buffer_load_dword v6, off, s[0:3], 0 offset:372
	s_mov_b32 s4, exec_lo
	s_waitcnt vmcnt(0)
	ds_write_b64 v4, v[5:6]
	s_waitcnt lgkmcnt(0)
	s_barrier
	buffer_gl0_inv
	v_cmpx_gt_u32_e32 46, v0
	s_cbranch_execz .LBB122_199
; %bb.196:
	v_add_nc_u32_e32 v5, -1, v0
	v_add_nc_u32_e32 v6, 0x1e0, v3
	v_mov_b32_e32 v7, v3
	v_mov_b32_e32 v2, 0
	;; [unrolled: 1-line block ×3, first 2 shown]
	s_mov_b32 s5, 0
	.p2align	6
.LBB122_197:                            ; =>This Inner Loop Header: Depth=1
	s_clause 0x1
	buffer_load_dword v11, v7, s[0:3], 0 offen offset:4
	buffer_load_dword v12, v7, s[0:3], 0 offen
	ds_read_b64 v[9:10], v6
	v_add_nc_u32_e32 v5, 1, v5
	v_add_nc_u32_e32 v6, 8, v6
	;; [unrolled: 1-line block ×3, first 2 shown]
	v_cmp_lt_u32_e32 vcc_lo, 44, v5
	s_or_b32 s5, vcc_lo, s5
	s_waitcnt vmcnt(1) lgkmcnt(0)
	v_mul_f32_e32 v131, v10, v11
	v_mul_f32_e32 v11, v9, v11
	s_waitcnt vmcnt(0)
	v_fma_f32 v9, v9, v12, -v131
	v_fmac_f32_e32 v11, v10, v12
	v_add_f32_e32 v8, v8, v9
	v_add_f32_e32 v2, v2, v11
	s_andn2_b32 exec_lo, exec_lo, s5
	s_cbranch_execnz .LBB122_197
; %bb.198:
	s_or_b32 exec_lo, exec_lo, s5
	v_mov_b32_e32 v5, 0
	ds_read_b64 v[5:6], v5 offset:368
	s_waitcnt lgkmcnt(0)
	v_mul_f32_e32 v7, v2, v6
	v_mul_f32_e32 v6, v8, v6
	v_fma_f32 v7, v8, v5, -v7
	v_fmac_f32_e32 v6, v2, v5
	buffer_store_dword v7, off, s[0:3], 0 offset:368
	buffer_store_dword v6, off, s[0:3], 0 offset:372
.LBB122_199:
	s_or_b32 exec_lo, exec_lo, s4
	s_waitcnt_vscnt null, 0x0
	s_barrier
	buffer_gl0_inv
	s_clause 0x1
	buffer_load_dword v5, off, s[0:3], 0 offset:376
	buffer_load_dword v6, off, s[0:3], 0 offset:380
	s_mov_b32 s4, exec_lo
	s_waitcnt vmcnt(0)
	ds_write_b64 v4, v[5:6]
	s_waitcnt lgkmcnt(0)
	s_barrier
	buffer_gl0_inv
	v_cmpx_gt_u32_e32 47, v0
	s_cbranch_execz .LBB122_203
; %bb.200:
	v_add_nc_u32_e32 v5, -1, v0
	v_add_nc_u32_e32 v6, 0x1e0, v3
	v_mov_b32_e32 v7, v3
	v_mov_b32_e32 v2, 0
	;; [unrolled: 1-line block ×3, first 2 shown]
	s_mov_b32 s5, 0
	.p2align	6
.LBB122_201:                            ; =>This Inner Loop Header: Depth=1
	s_clause 0x1
	buffer_load_dword v11, v7, s[0:3], 0 offen offset:4
	buffer_load_dword v12, v7, s[0:3], 0 offen
	ds_read_b64 v[9:10], v6
	v_add_nc_u32_e32 v5, 1, v5
	v_add_nc_u32_e32 v6, 8, v6
	;; [unrolled: 1-line block ×3, first 2 shown]
	v_cmp_lt_u32_e32 vcc_lo, 45, v5
	s_or_b32 s5, vcc_lo, s5
	s_waitcnt vmcnt(1) lgkmcnt(0)
	v_mul_f32_e32 v131, v10, v11
	v_mul_f32_e32 v11, v9, v11
	s_waitcnt vmcnt(0)
	v_fma_f32 v9, v9, v12, -v131
	v_fmac_f32_e32 v11, v10, v12
	v_add_f32_e32 v8, v8, v9
	v_add_f32_e32 v2, v2, v11
	s_andn2_b32 exec_lo, exec_lo, s5
	s_cbranch_execnz .LBB122_201
; %bb.202:
	s_or_b32 exec_lo, exec_lo, s5
	v_mov_b32_e32 v5, 0
	ds_read_b64 v[5:6], v5 offset:376
	s_waitcnt lgkmcnt(0)
	v_mul_f32_e32 v7, v2, v6
	v_mul_f32_e32 v6, v8, v6
	v_fma_f32 v7, v8, v5, -v7
	v_fmac_f32_e32 v6, v2, v5
	buffer_store_dword v7, off, s[0:3], 0 offset:376
	buffer_store_dword v6, off, s[0:3], 0 offset:380
.LBB122_203:
	s_or_b32 exec_lo, exec_lo, s4
	s_waitcnt_vscnt null, 0x0
	s_barrier
	buffer_gl0_inv
	s_clause 0x1
	buffer_load_dword v5, off, s[0:3], 0 offset:384
	buffer_load_dword v6, off, s[0:3], 0 offset:388
	s_mov_b32 s4, exec_lo
	s_waitcnt vmcnt(0)
	ds_write_b64 v4, v[5:6]
	s_waitcnt lgkmcnt(0)
	s_barrier
	buffer_gl0_inv
	v_cmpx_gt_u32_e32 48, v0
	s_cbranch_execz .LBB122_207
; %bb.204:
	v_add_nc_u32_e32 v5, -1, v0
	v_add_nc_u32_e32 v6, 0x1e0, v3
	v_mov_b32_e32 v7, v3
	v_mov_b32_e32 v2, 0
	;; [unrolled: 1-line block ×3, first 2 shown]
	s_mov_b32 s5, 0
	.p2align	6
.LBB122_205:                            ; =>This Inner Loop Header: Depth=1
	s_clause 0x1
	buffer_load_dword v11, v7, s[0:3], 0 offen offset:4
	buffer_load_dword v12, v7, s[0:3], 0 offen
	ds_read_b64 v[9:10], v6
	v_add_nc_u32_e32 v5, 1, v5
	v_add_nc_u32_e32 v6, 8, v6
	;; [unrolled: 1-line block ×3, first 2 shown]
	v_cmp_lt_u32_e32 vcc_lo, 46, v5
	s_or_b32 s5, vcc_lo, s5
	s_waitcnt vmcnt(1) lgkmcnt(0)
	v_mul_f32_e32 v131, v10, v11
	v_mul_f32_e32 v11, v9, v11
	s_waitcnt vmcnt(0)
	v_fma_f32 v9, v9, v12, -v131
	v_fmac_f32_e32 v11, v10, v12
	v_add_f32_e32 v8, v8, v9
	v_add_f32_e32 v2, v2, v11
	s_andn2_b32 exec_lo, exec_lo, s5
	s_cbranch_execnz .LBB122_205
; %bb.206:
	s_or_b32 exec_lo, exec_lo, s5
	v_mov_b32_e32 v5, 0
	ds_read_b64 v[5:6], v5 offset:384
	s_waitcnt lgkmcnt(0)
	v_mul_f32_e32 v7, v2, v6
	v_mul_f32_e32 v6, v8, v6
	v_fma_f32 v7, v8, v5, -v7
	v_fmac_f32_e32 v6, v2, v5
	buffer_store_dword v7, off, s[0:3], 0 offset:384
	buffer_store_dword v6, off, s[0:3], 0 offset:388
.LBB122_207:
	s_or_b32 exec_lo, exec_lo, s4
	s_waitcnt_vscnt null, 0x0
	s_barrier
	buffer_gl0_inv
	s_clause 0x1
	buffer_load_dword v5, off, s[0:3], 0 offset:392
	buffer_load_dword v6, off, s[0:3], 0 offset:396
	s_mov_b32 s4, exec_lo
	s_waitcnt vmcnt(0)
	ds_write_b64 v4, v[5:6]
	s_waitcnt lgkmcnt(0)
	s_barrier
	buffer_gl0_inv
	v_cmpx_gt_u32_e32 49, v0
	s_cbranch_execz .LBB122_211
; %bb.208:
	v_add_nc_u32_e32 v5, -1, v0
	v_add_nc_u32_e32 v6, 0x1e0, v3
	v_mov_b32_e32 v7, v3
	v_mov_b32_e32 v2, 0
	;; [unrolled: 1-line block ×3, first 2 shown]
	s_mov_b32 s5, 0
	.p2align	6
.LBB122_209:                            ; =>This Inner Loop Header: Depth=1
	s_clause 0x1
	buffer_load_dword v11, v7, s[0:3], 0 offen offset:4
	buffer_load_dword v12, v7, s[0:3], 0 offen
	ds_read_b64 v[9:10], v6
	v_add_nc_u32_e32 v5, 1, v5
	v_add_nc_u32_e32 v6, 8, v6
	;; [unrolled: 1-line block ×3, first 2 shown]
	v_cmp_lt_u32_e32 vcc_lo, 47, v5
	s_or_b32 s5, vcc_lo, s5
	s_waitcnt vmcnt(1) lgkmcnt(0)
	v_mul_f32_e32 v131, v10, v11
	v_mul_f32_e32 v11, v9, v11
	s_waitcnt vmcnt(0)
	v_fma_f32 v9, v9, v12, -v131
	v_fmac_f32_e32 v11, v10, v12
	v_add_f32_e32 v8, v8, v9
	v_add_f32_e32 v2, v2, v11
	s_andn2_b32 exec_lo, exec_lo, s5
	s_cbranch_execnz .LBB122_209
; %bb.210:
	s_or_b32 exec_lo, exec_lo, s5
	v_mov_b32_e32 v5, 0
	ds_read_b64 v[5:6], v5 offset:392
	s_waitcnt lgkmcnt(0)
	v_mul_f32_e32 v7, v2, v6
	v_mul_f32_e32 v6, v8, v6
	v_fma_f32 v7, v8, v5, -v7
	v_fmac_f32_e32 v6, v2, v5
	buffer_store_dword v7, off, s[0:3], 0 offset:392
	buffer_store_dword v6, off, s[0:3], 0 offset:396
.LBB122_211:
	s_or_b32 exec_lo, exec_lo, s4
	s_waitcnt_vscnt null, 0x0
	s_barrier
	buffer_gl0_inv
	s_clause 0x1
	buffer_load_dword v5, off, s[0:3], 0 offset:400
	buffer_load_dword v6, off, s[0:3], 0 offset:404
	s_mov_b32 s4, exec_lo
	s_waitcnt vmcnt(0)
	ds_write_b64 v4, v[5:6]
	s_waitcnt lgkmcnt(0)
	s_barrier
	buffer_gl0_inv
	v_cmpx_gt_u32_e32 50, v0
	s_cbranch_execz .LBB122_215
; %bb.212:
	v_add_nc_u32_e32 v5, -1, v0
	v_add_nc_u32_e32 v6, 0x1e0, v3
	v_mov_b32_e32 v7, v3
	v_mov_b32_e32 v2, 0
	;; [unrolled: 1-line block ×3, first 2 shown]
	s_mov_b32 s5, 0
	.p2align	6
.LBB122_213:                            ; =>This Inner Loop Header: Depth=1
	s_clause 0x1
	buffer_load_dword v11, v7, s[0:3], 0 offen offset:4
	buffer_load_dword v12, v7, s[0:3], 0 offen
	ds_read_b64 v[9:10], v6
	v_add_nc_u32_e32 v5, 1, v5
	v_add_nc_u32_e32 v6, 8, v6
	;; [unrolled: 1-line block ×3, first 2 shown]
	v_cmp_lt_u32_e32 vcc_lo, 48, v5
	s_or_b32 s5, vcc_lo, s5
	s_waitcnt vmcnt(1) lgkmcnt(0)
	v_mul_f32_e32 v131, v10, v11
	v_mul_f32_e32 v11, v9, v11
	s_waitcnt vmcnt(0)
	v_fma_f32 v9, v9, v12, -v131
	v_fmac_f32_e32 v11, v10, v12
	v_add_f32_e32 v8, v8, v9
	v_add_f32_e32 v2, v2, v11
	s_andn2_b32 exec_lo, exec_lo, s5
	s_cbranch_execnz .LBB122_213
; %bb.214:
	s_or_b32 exec_lo, exec_lo, s5
	v_mov_b32_e32 v5, 0
	ds_read_b64 v[5:6], v5 offset:400
	s_waitcnt lgkmcnt(0)
	v_mul_f32_e32 v7, v2, v6
	v_mul_f32_e32 v6, v8, v6
	v_fma_f32 v7, v8, v5, -v7
	v_fmac_f32_e32 v6, v2, v5
	buffer_store_dword v7, off, s[0:3], 0 offset:400
	buffer_store_dword v6, off, s[0:3], 0 offset:404
.LBB122_215:
	s_or_b32 exec_lo, exec_lo, s4
	s_waitcnt_vscnt null, 0x0
	s_barrier
	buffer_gl0_inv
	s_clause 0x1
	buffer_load_dword v5, off, s[0:3], 0 offset:408
	buffer_load_dword v6, off, s[0:3], 0 offset:412
	s_mov_b32 s4, exec_lo
	s_waitcnt vmcnt(0)
	ds_write_b64 v4, v[5:6]
	s_waitcnt lgkmcnt(0)
	s_barrier
	buffer_gl0_inv
	v_cmpx_gt_u32_e32 51, v0
	s_cbranch_execz .LBB122_219
; %bb.216:
	v_add_nc_u32_e32 v5, -1, v0
	v_add_nc_u32_e32 v6, 0x1e0, v3
	v_mov_b32_e32 v7, v3
	v_mov_b32_e32 v2, 0
	;; [unrolled: 1-line block ×3, first 2 shown]
	s_mov_b32 s5, 0
	.p2align	6
.LBB122_217:                            ; =>This Inner Loop Header: Depth=1
	s_clause 0x1
	buffer_load_dword v11, v7, s[0:3], 0 offen offset:4
	buffer_load_dword v12, v7, s[0:3], 0 offen
	ds_read_b64 v[9:10], v6
	v_add_nc_u32_e32 v5, 1, v5
	v_add_nc_u32_e32 v6, 8, v6
	;; [unrolled: 1-line block ×3, first 2 shown]
	v_cmp_lt_u32_e32 vcc_lo, 49, v5
	s_or_b32 s5, vcc_lo, s5
	s_waitcnt vmcnt(1) lgkmcnt(0)
	v_mul_f32_e32 v131, v10, v11
	v_mul_f32_e32 v11, v9, v11
	s_waitcnt vmcnt(0)
	v_fma_f32 v9, v9, v12, -v131
	v_fmac_f32_e32 v11, v10, v12
	v_add_f32_e32 v8, v8, v9
	v_add_f32_e32 v2, v2, v11
	s_andn2_b32 exec_lo, exec_lo, s5
	s_cbranch_execnz .LBB122_217
; %bb.218:
	s_or_b32 exec_lo, exec_lo, s5
	v_mov_b32_e32 v5, 0
	ds_read_b64 v[5:6], v5 offset:408
	s_waitcnt lgkmcnt(0)
	v_mul_f32_e32 v7, v2, v6
	v_mul_f32_e32 v6, v8, v6
	v_fma_f32 v7, v8, v5, -v7
	v_fmac_f32_e32 v6, v2, v5
	buffer_store_dword v7, off, s[0:3], 0 offset:408
	buffer_store_dword v6, off, s[0:3], 0 offset:412
.LBB122_219:
	s_or_b32 exec_lo, exec_lo, s4
	s_waitcnt_vscnt null, 0x0
	s_barrier
	buffer_gl0_inv
	s_clause 0x1
	buffer_load_dword v5, off, s[0:3], 0 offset:416
	buffer_load_dword v6, off, s[0:3], 0 offset:420
	s_mov_b32 s4, exec_lo
	s_waitcnt vmcnt(0)
	ds_write_b64 v4, v[5:6]
	s_waitcnt lgkmcnt(0)
	s_barrier
	buffer_gl0_inv
	v_cmpx_gt_u32_e32 52, v0
	s_cbranch_execz .LBB122_223
; %bb.220:
	v_add_nc_u32_e32 v5, -1, v0
	v_add_nc_u32_e32 v6, 0x1e0, v3
	v_mov_b32_e32 v7, v3
	v_mov_b32_e32 v2, 0
	;; [unrolled: 1-line block ×3, first 2 shown]
	s_mov_b32 s5, 0
	.p2align	6
.LBB122_221:                            ; =>This Inner Loop Header: Depth=1
	s_clause 0x1
	buffer_load_dword v11, v7, s[0:3], 0 offen offset:4
	buffer_load_dword v12, v7, s[0:3], 0 offen
	ds_read_b64 v[9:10], v6
	v_add_nc_u32_e32 v5, 1, v5
	v_add_nc_u32_e32 v6, 8, v6
	;; [unrolled: 1-line block ×3, first 2 shown]
	v_cmp_lt_u32_e32 vcc_lo, 50, v5
	s_or_b32 s5, vcc_lo, s5
	s_waitcnt vmcnt(1) lgkmcnt(0)
	v_mul_f32_e32 v131, v10, v11
	v_mul_f32_e32 v11, v9, v11
	s_waitcnt vmcnt(0)
	v_fma_f32 v9, v9, v12, -v131
	v_fmac_f32_e32 v11, v10, v12
	v_add_f32_e32 v8, v8, v9
	v_add_f32_e32 v2, v2, v11
	s_andn2_b32 exec_lo, exec_lo, s5
	s_cbranch_execnz .LBB122_221
; %bb.222:
	s_or_b32 exec_lo, exec_lo, s5
	v_mov_b32_e32 v5, 0
	ds_read_b64 v[5:6], v5 offset:416
	s_waitcnt lgkmcnt(0)
	v_mul_f32_e32 v7, v2, v6
	v_mul_f32_e32 v6, v8, v6
	v_fma_f32 v7, v8, v5, -v7
	v_fmac_f32_e32 v6, v2, v5
	buffer_store_dword v7, off, s[0:3], 0 offset:416
	buffer_store_dword v6, off, s[0:3], 0 offset:420
.LBB122_223:
	s_or_b32 exec_lo, exec_lo, s4
	s_waitcnt_vscnt null, 0x0
	s_barrier
	buffer_gl0_inv
	s_clause 0x1
	buffer_load_dword v5, off, s[0:3], 0 offset:424
	buffer_load_dword v6, off, s[0:3], 0 offset:428
	s_mov_b32 s4, exec_lo
	s_waitcnt vmcnt(0)
	ds_write_b64 v4, v[5:6]
	s_waitcnt lgkmcnt(0)
	s_barrier
	buffer_gl0_inv
	v_cmpx_gt_u32_e32 53, v0
	s_cbranch_execz .LBB122_227
; %bb.224:
	v_add_nc_u32_e32 v5, -1, v0
	v_add_nc_u32_e32 v6, 0x1e0, v3
	v_mov_b32_e32 v7, v3
	v_mov_b32_e32 v2, 0
	;; [unrolled: 1-line block ×3, first 2 shown]
	s_mov_b32 s5, 0
	.p2align	6
.LBB122_225:                            ; =>This Inner Loop Header: Depth=1
	s_clause 0x1
	buffer_load_dword v11, v7, s[0:3], 0 offen offset:4
	buffer_load_dword v12, v7, s[0:3], 0 offen
	ds_read_b64 v[9:10], v6
	v_add_nc_u32_e32 v5, 1, v5
	v_add_nc_u32_e32 v6, 8, v6
	;; [unrolled: 1-line block ×3, first 2 shown]
	v_cmp_lt_u32_e32 vcc_lo, 51, v5
	s_or_b32 s5, vcc_lo, s5
	s_waitcnt vmcnt(1) lgkmcnt(0)
	v_mul_f32_e32 v131, v10, v11
	v_mul_f32_e32 v11, v9, v11
	s_waitcnt vmcnt(0)
	v_fma_f32 v9, v9, v12, -v131
	v_fmac_f32_e32 v11, v10, v12
	v_add_f32_e32 v8, v8, v9
	v_add_f32_e32 v2, v2, v11
	s_andn2_b32 exec_lo, exec_lo, s5
	s_cbranch_execnz .LBB122_225
; %bb.226:
	s_or_b32 exec_lo, exec_lo, s5
	v_mov_b32_e32 v5, 0
	ds_read_b64 v[5:6], v5 offset:424
	s_waitcnt lgkmcnt(0)
	v_mul_f32_e32 v7, v2, v6
	v_mul_f32_e32 v6, v8, v6
	v_fma_f32 v7, v8, v5, -v7
	v_fmac_f32_e32 v6, v2, v5
	buffer_store_dword v7, off, s[0:3], 0 offset:424
	buffer_store_dword v6, off, s[0:3], 0 offset:428
.LBB122_227:
	s_or_b32 exec_lo, exec_lo, s4
	s_waitcnt_vscnt null, 0x0
	s_barrier
	buffer_gl0_inv
	s_clause 0x1
	buffer_load_dword v5, off, s[0:3], 0 offset:432
	buffer_load_dword v6, off, s[0:3], 0 offset:436
	s_mov_b32 s4, exec_lo
	s_waitcnt vmcnt(0)
	ds_write_b64 v4, v[5:6]
	s_waitcnt lgkmcnt(0)
	s_barrier
	buffer_gl0_inv
	v_cmpx_gt_u32_e32 54, v0
	s_cbranch_execz .LBB122_231
; %bb.228:
	v_add_nc_u32_e32 v5, -1, v0
	v_add_nc_u32_e32 v6, 0x1e0, v3
	v_mov_b32_e32 v7, v3
	v_mov_b32_e32 v2, 0
	v_mov_b32_e32 v8, 0
	s_mov_b32 s5, 0
	.p2align	6
.LBB122_229:                            ; =>This Inner Loop Header: Depth=1
	s_clause 0x1
	buffer_load_dword v11, v7, s[0:3], 0 offen offset:4
	buffer_load_dword v12, v7, s[0:3], 0 offen
	ds_read_b64 v[9:10], v6
	v_add_nc_u32_e32 v5, 1, v5
	v_add_nc_u32_e32 v6, 8, v6
	;; [unrolled: 1-line block ×3, first 2 shown]
	v_cmp_lt_u32_e32 vcc_lo, 52, v5
	s_or_b32 s5, vcc_lo, s5
	s_waitcnt vmcnt(1) lgkmcnt(0)
	v_mul_f32_e32 v131, v10, v11
	v_mul_f32_e32 v11, v9, v11
	s_waitcnt vmcnt(0)
	v_fma_f32 v9, v9, v12, -v131
	v_fmac_f32_e32 v11, v10, v12
	v_add_f32_e32 v8, v8, v9
	v_add_f32_e32 v2, v2, v11
	s_andn2_b32 exec_lo, exec_lo, s5
	s_cbranch_execnz .LBB122_229
; %bb.230:
	s_or_b32 exec_lo, exec_lo, s5
	v_mov_b32_e32 v5, 0
	ds_read_b64 v[5:6], v5 offset:432
	s_waitcnt lgkmcnt(0)
	v_mul_f32_e32 v7, v2, v6
	v_mul_f32_e32 v6, v8, v6
	v_fma_f32 v7, v8, v5, -v7
	v_fmac_f32_e32 v6, v2, v5
	buffer_store_dword v7, off, s[0:3], 0 offset:432
	buffer_store_dword v6, off, s[0:3], 0 offset:436
.LBB122_231:
	s_or_b32 exec_lo, exec_lo, s4
	s_waitcnt_vscnt null, 0x0
	s_barrier
	buffer_gl0_inv
	s_clause 0x1
	buffer_load_dword v5, off, s[0:3], 0 offset:440
	buffer_load_dword v6, off, s[0:3], 0 offset:444
	s_mov_b32 s4, exec_lo
	s_waitcnt vmcnt(0)
	ds_write_b64 v4, v[5:6]
	s_waitcnt lgkmcnt(0)
	s_barrier
	buffer_gl0_inv
	v_cmpx_gt_u32_e32 55, v0
	s_cbranch_execz .LBB122_235
; %bb.232:
	v_add_nc_u32_e32 v5, -1, v0
	v_add_nc_u32_e32 v6, 0x1e0, v3
	v_mov_b32_e32 v7, v3
	v_mov_b32_e32 v2, 0
	;; [unrolled: 1-line block ×3, first 2 shown]
	s_mov_b32 s5, 0
	.p2align	6
.LBB122_233:                            ; =>This Inner Loop Header: Depth=1
	s_clause 0x1
	buffer_load_dword v11, v7, s[0:3], 0 offen offset:4
	buffer_load_dword v12, v7, s[0:3], 0 offen
	ds_read_b64 v[9:10], v6
	v_add_nc_u32_e32 v5, 1, v5
	v_add_nc_u32_e32 v6, 8, v6
	;; [unrolled: 1-line block ×3, first 2 shown]
	v_cmp_lt_u32_e32 vcc_lo, 53, v5
	s_or_b32 s5, vcc_lo, s5
	s_waitcnt vmcnt(1) lgkmcnt(0)
	v_mul_f32_e32 v131, v10, v11
	v_mul_f32_e32 v11, v9, v11
	s_waitcnt vmcnt(0)
	v_fma_f32 v9, v9, v12, -v131
	v_fmac_f32_e32 v11, v10, v12
	v_add_f32_e32 v8, v8, v9
	v_add_f32_e32 v2, v2, v11
	s_andn2_b32 exec_lo, exec_lo, s5
	s_cbranch_execnz .LBB122_233
; %bb.234:
	s_or_b32 exec_lo, exec_lo, s5
	v_mov_b32_e32 v5, 0
	ds_read_b64 v[5:6], v5 offset:440
	s_waitcnt lgkmcnt(0)
	v_mul_f32_e32 v7, v2, v6
	v_mul_f32_e32 v6, v8, v6
	v_fma_f32 v7, v8, v5, -v7
	v_fmac_f32_e32 v6, v2, v5
	buffer_store_dword v7, off, s[0:3], 0 offset:440
	buffer_store_dword v6, off, s[0:3], 0 offset:444
.LBB122_235:
	s_or_b32 exec_lo, exec_lo, s4
	s_waitcnt_vscnt null, 0x0
	s_barrier
	buffer_gl0_inv
	s_clause 0x1
	buffer_load_dword v5, off, s[0:3], 0 offset:448
	buffer_load_dword v6, off, s[0:3], 0 offset:452
	s_mov_b32 s4, exec_lo
	s_waitcnt vmcnt(0)
	ds_write_b64 v4, v[5:6]
	s_waitcnt lgkmcnt(0)
	s_barrier
	buffer_gl0_inv
	v_cmpx_gt_u32_e32 56, v0
	s_cbranch_execz .LBB122_239
; %bb.236:
	v_add_nc_u32_e32 v5, -1, v0
	v_add_nc_u32_e32 v6, 0x1e0, v3
	v_mov_b32_e32 v7, v3
	v_mov_b32_e32 v2, 0
	;; [unrolled: 1-line block ×3, first 2 shown]
	s_mov_b32 s5, 0
	.p2align	6
.LBB122_237:                            ; =>This Inner Loop Header: Depth=1
	s_clause 0x1
	buffer_load_dword v11, v7, s[0:3], 0 offen offset:4
	buffer_load_dword v12, v7, s[0:3], 0 offen
	ds_read_b64 v[9:10], v6
	v_add_nc_u32_e32 v5, 1, v5
	v_add_nc_u32_e32 v6, 8, v6
	;; [unrolled: 1-line block ×3, first 2 shown]
	v_cmp_lt_u32_e32 vcc_lo, 54, v5
	s_or_b32 s5, vcc_lo, s5
	s_waitcnt vmcnt(1) lgkmcnt(0)
	v_mul_f32_e32 v131, v10, v11
	v_mul_f32_e32 v11, v9, v11
	s_waitcnt vmcnt(0)
	v_fma_f32 v9, v9, v12, -v131
	v_fmac_f32_e32 v11, v10, v12
	v_add_f32_e32 v8, v8, v9
	v_add_f32_e32 v2, v2, v11
	s_andn2_b32 exec_lo, exec_lo, s5
	s_cbranch_execnz .LBB122_237
; %bb.238:
	s_or_b32 exec_lo, exec_lo, s5
	v_mov_b32_e32 v5, 0
	ds_read_b64 v[5:6], v5 offset:448
	s_waitcnt lgkmcnt(0)
	v_mul_f32_e32 v7, v2, v6
	v_mul_f32_e32 v6, v8, v6
	v_fma_f32 v7, v8, v5, -v7
	v_fmac_f32_e32 v6, v2, v5
	buffer_store_dword v7, off, s[0:3], 0 offset:448
	buffer_store_dword v6, off, s[0:3], 0 offset:452
.LBB122_239:
	s_or_b32 exec_lo, exec_lo, s4
	s_waitcnt_vscnt null, 0x0
	s_barrier
	buffer_gl0_inv
	s_clause 0x1
	buffer_load_dword v5, off, s[0:3], 0 offset:456
	buffer_load_dword v6, off, s[0:3], 0 offset:460
	s_mov_b32 s4, exec_lo
	s_waitcnt vmcnt(0)
	ds_write_b64 v4, v[5:6]
	s_waitcnt lgkmcnt(0)
	s_barrier
	buffer_gl0_inv
	v_cmpx_gt_u32_e32 57, v0
	s_cbranch_execz .LBB122_243
; %bb.240:
	v_add_nc_u32_e32 v5, -1, v0
	v_add_nc_u32_e32 v6, 0x1e0, v3
	v_mov_b32_e32 v7, v3
	v_mov_b32_e32 v2, 0
	;; [unrolled: 1-line block ×3, first 2 shown]
	s_mov_b32 s5, 0
	.p2align	6
.LBB122_241:                            ; =>This Inner Loop Header: Depth=1
	s_clause 0x1
	buffer_load_dword v11, v7, s[0:3], 0 offen offset:4
	buffer_load_dword v12, v7, s[0:3], 0 offen
	ds_read_b64 v[9:10], v6
	v_add_nc_u32_e32 v5, 1, v5
	v_add_nc_u32_e32 v6, 8, v6
	;; [unrolled: 1-line block ×3, first 2 shown]
	v_cmp_lt_u32_e32 vcc_lo, 55, v5
	s_or_b32 s5, vcc_lo, s5
	s_waitcnt vmcnt(1) lgkmcnt(0)
	v_mul_f32_e32 v131, v10, v11
	v_mul_f32_e32 v11, v9, v11
	s_waitcnt vmcnt(0)
	v_fma_f32 v9, v9, v12, -v131
	v_fmac_f32_e32 v11, v10, v12
	v_add_f32_e32 v8, v8, v9
	v_add_f32_e32 v2, v2, v11
	s_andn2_b32 exec_lo, exec_lo, s5
	s_cbranch_execnz .LBB122_241
; %bb.242:
	s_or_b32 exec_lo, exec_lo, s5
	v_mov_b32_e32 v5, 0
	ds_read_b64 v[5:6], v5 offset:456
	s_waitcnt lgkmcnt(0)
	v_mul_f32_e32 v7, v2, v6
	v_mul_f32_e32 v6, v8, v6
	v_fma_f32 v7, v8, v5, -v7
	v_fmac_f32_e32 v6, v2, v5
	buffer_store_dword v7, off, s[0:3], 0 offset:456
	buffer_store_dword v6, off, s[0:3], 0 offset:460
.LBB122_243:
	s_or_b32 exec_lo, exec_lo, s4
	s_waitcnt_vscnt null, 0x0
	s_barrier
	buffer_gl0_inv
	s_clause 0x1
	buffer_load_dword v5, off, s[0:3], 0 offset:464
	buffer_load_dword v6, off, s[0:3], 0 offset:468
	s_mov_b32 s4, exec_lo
	s_waitcnt vmcnt(0)
	ds_write_b64 v4, v[5:6]
	s_waitcnt lgkmcnt(0)
	s_barrier
	buffer_gl0_inv
	v_cmpx_ne_u32_e32 58, v0
	s_cbranch_execz .LBB122_247
; %bb.244:
	v_mov_b32_e32 v2, 0
	v_mov_b32_e32 v5, 0
	s_mov_b32 s5, 0
	.p2align	6
.LBB122_245:                            ; =>This Inner Loop Header: Depth=1
	s_clause 0x1
	buffer_load_dword v8, v3, s[0:3], 0 offen offset:4
	buffer_load_dword v9, v3, s[0:3], 0 offen
	ds_read_b64 v[6:7], v4
	v_add_nc_u32_e32 v1, 1, v1
	v_add_nc_u32_e32 v4, 8, v4
	;; [unrolled: 1-line block ×3, first 2 shown]
	v_cmp_lt_u32_e32 vcc_lo, 56, v1
	s_or_b32 s5, vcc_lo, s5
	s_waitcnt vmcnt(1) lgkmcnt(0)
	v_mul_f32_e32 v10, v7, v8
	v_mul_f32_e32 v8, v6, v8
	s_waitcnt vmcnt(0)
	v_fma_f32 v6, v6, v9, -v10
	v_fmac_f32_e32 v8, v7, v9
	v_add_f32_e32 v5, v5, v6
	v_add_f32_e32 v2, v2, v8
	s_andn2_b32 exec_lo, exec_lo, s5
	s_cbranch_execnz .LBB122_245
; %bb.246:
	s_or_b32 exec_lo, exec_lo, s5
	v_mov_b32_e32 v1, 0
	ds_read_b64 v[3:4], v1 offset:464
	s_waitcnt lgkmcnt(0)
	v_mul_f32_e32 v1, v2, v4
	v_mul_f32_e32 v4, v5, v4
	v_fma_f32 v1, v5, v3, -v1
	v_fmac_f32_e32 v4, v2, v3
	buffer_store_dword v1, off, s[0:3], 0 offset:464
	buffer_store_dword v4, off, s[0:3], 0 offset:468
.LBB122_247:
	s_or_b32 exec_lo, exec_lo, s4
	s_mov_b32 s5, -1
	s_waitcnt_vscnt null, 0x0
	s_barrier
	buffer_gl0_inv
.LBB122_248:
	s_and_b32 vcc_lo, exec_lo, s5
	s_cbranch_vccz .LBB122_250
; %bb.249:
	s_lshl_b64 s[4:5], s[6:7], 2
	v_mov_b32_e32 v1, 0
	s_add_u32 s4, s10, s4
	s_addc_u32 s5, s11, s5
	global_load_dword v1, v1, s[4:5]
	s_waitcnt vmcnt(0)
	v_cmp_ne_u32_e32 vcc_lo, 0, v1
	s_cbranch_vccz .LBB122_251
.LBB122_250:
	s_endpgm
.LBB122_251:
	v_lshl_add_u32 v131, v0, 3, 0x1e0
	s_mov_b32 s4, exec_lo
	v_cmpx_eq_u32_e32 58, v0
	s_cbranch_execz .LBB122_253
; %bb.252:
	s_clause 0x1
	buffer_load_dword v1, off, s[0:3], 0 offset:456
	buffer_load_dword v2, off, s[0:3], 0 offset:460
	v_mov_b32_e32 v3, 0
	buffer_store_dword v3, off, s[0:3], 0 offset:456
	buffer_store_dword v3, off, s[0:3], 0 offset:460
	s_waitcnt vmcnt(0)
	ds_write_b64 v131, v[1:2]
.LBB122_253:
	s_or_b32 exec_lo, exec_lo, s4
	s_waitcnt lgkmcnt(0)
	s_waitcnt_vscnt null, 0x0
	s_barrier
	buffer_gl0_inv
	s_clause 0x3
	buffer_load_dword v4, off, s[0:3], 0 offset:468
	buffer_load_dword v5, off, s[0:3], 0 offset:464
	;; [unrolled: 1-line block ×4, first 2 shown]
	v_mov_b32_e32 v1, 0
	s_mov_b32 s4, exec_lo
	ds_read_b64 v[2:3], v1 offset:944
	s_waitcnt vmcnt(3) lgkmcnt(0)
	v_mul_f32_e32 v8, v3, v4
	v_mul_f32_e32 v4, v2, v4
	s_waitcnt vmcnt(2)
	v_fma_f32 v2, v2, v5, -v8
	v_fmac_f32_e32 v4, v3, v5
	v_add_f32_e32 v2, 0, v2
	v_add_f32_e32 v3, 0, v4
	s_waitcnt vmcnt(1)
	v_sub_f32_e32 v2, v6, v2
	s_waitcnt vmcnt(0)
	v_sub_f32_e32 v3, v7, v3
	buffer_store_dword v2, off, s[0:3], 0 offset:456
	buffer_store_dword v3, off, s[0:3], 0 offset:460
	v_cmpx_lt_u32_e32 56, v0
	s_cbranch_execz .LBB122_255
; %bb.254:
	s_clause 0x1
	buffer_load_dword v2, off, s[0:3], 0 offset:448
	buffer_load_dword v3, off, s[0:3], 0 offset:452
	buffer_store_dword v1, off, s[0:3], 0 offset:448
	buffer_store_dword v1, off, s[0:3], 0 offset:452
	s_waitcnt vmcnt(0)
	ds_write_b64 v131, v[2:3]
.LBB122_255:
	s_or_b32 exec_lo, exec_lo, s4
	s_waitcnt lgkmcnt(0)
	s_waitcnt_vscnt null, 0x0
	s_barrier
	buffer_gl0_inv
	s_clause 0x5
	buffer_load_dword v5, off, s[0:3], 0 offset:460
	buffer_load_dword v6, off, s[0:3], 0 offset:468
	;; [unrolled: 1-line block ×6, first 2 shown]
	ds_read2_b64 v[1:4], v1 offset0:117 offset1:118
	s_mov_b32 s4, exec_lo
	s_waitcnt vmcnt(5) lgkmcnt(0)
	v_mul_f32_e32 v11, v2, v5
	v_mul_f32_e32 v5, v1, v5
	s_waitcnt vmcnt(4)
	v_mul_f32_e32 v12, v3, v6
	v_mul_f32_e32 v6, v4, v6
	s_waitcnt vmcnt(3)
	v_fma_f32 v1, v1, v7, -v11
	v_fmac_f32_e32 v5, v2, v7
	s_waitcnt vmcnt(2)
	v_fmac_f32_e32 v12, v4, v8
	v_fma_f32 v2, v3, v8, -v6
	v_add_f32_e32 v1, 0, v1
	v_add_f32_e32 v3, 0, v5
	;; [unrolled: 1-line block ×4, first 2 shown]
	s_waitcnt vmcnt(1)
	v_sub_f32_e32 v1, v9, v1
	s_waitcnt vmcnt(0)
	v_sub_f32_e32 v2, v10, v2
	buffer_store_dword v1, off, s[0:3], 0 offset:448
	buffer_store_dword v2, off, s[0:3], 0 offset:452
	v_cmpx_lt_u32_e32 55, v0
	s_cbranch_execz .LBB122_257
; %bb.256:
	s_clause 0x1
	buffer_load_dword v1, off, s[0:3], 0 offset:440
	buffer_load_dword v2, off, s[0:3], 0 offset:444
	v_mov_b32_e32 v3, 0
	buffer_store_dword v3, off, s[0:3], 0 offset:440
	buffer_store_dword v3, off, s[0:3], 0 offset:444
	s_waitcnt vmcnt(0)
	ds_write_b64 v131, v[1:2]
.LBB122_257:
	s_or_b32 exec_lo, exec_lo, s4
	s_waitcnt lgkmcnt(0)
	s_waitcnt_vscnt null, 0x0
	s_barrier
	buffer_gl0_inv
	s_clause 0x7
	buffer_load_dword v8, off, s[0:3], 0 offset:452
	buffer_load_dword v9, off, s[0:3], 0 offset:460
	;; [unrolled: 1-line block ×8, first 2 shown]
	v_mov_b32_e32 v1, 0
	ds_read_b128 v[2:5], v1 offset:928
	ds_read_b64 v[6:7], v1 offset:944
	s_mov_b32 s4, exec_lo
	s_waitcnt vmcnt(7) lgkmcnt(1)
	v_mul_f32_e32 v135, v3, v8
	v_mul_f32_e32 v8, v2, v8
	s_waitcnt vmcnt(6)
	v_mul_f32_e32 v136, v4, v9
	v_mul_f32_e32 v9, v5, v9
	s_waitcnt vmcnt(5) lgkmcnt(0)
	v_mul_f32_e32 v137, v6, v10
	s_waitcnt vmcnt(4)
	v_fma_f32 v2, v2, v11, -v135
	v_fmac_f32_e32 v8, v3, v11
	v_mul_f32_e32 v3, v7, v10
	s_waitcnt vmcnt(3)
	v_fma_f32 v4, v4, v12, -v9
	v_fmac_f32_e32 v136, v5, v12
	v_add_f32_e32 v2, 0, v2
	v_add_f32_e32 v5, 0, v8
	s_waitcnt vmcnt(2)
	v_fma_f32 v3, v6, v132, -v3
	v_fmac_f32_e32 v137, v7, v132
	v_add_f32_e32 v2, v2, v4
	v_add_f32_e32 v4, v5, v136
	;; [unrolled: 1-line block ×4, first 2 shown]
	s_waitcnt vmcnt(1)
	v_sub_f32_e32 v2, v133, v2
	s_waitcnt vmcnt(0)
	v_sub_f32_e32 v3, v134, v3
	buffer_store_dword v2, off, s[0:3], 0 offset:440
	buffer_store_dword v3, off, s[0:3], 0 offset:444
	v_cmpx_lt_u32_e32 54, v0
	s_cbranch_execz .LBB122_259
; %bb.258:
	s_clause 0x1
	buffer_load_dword v2, off, s[0:3], 0 offset:432
	buffer_load_dword v3, off, s[0:3], 0 offset:436
	buffer_store_dword v1, off, s[0:3], 0 offset:432
	buffer_store_dword v1, off, s[0:3], 0 offset:436
	s_waitcnt vmcnt(0)
	ds_write_b64 v131, v[2:3]
.LBB122_259:
	s_or_b32 exec_lo, exec_lo, s4
	s_waitcnt lgkmcnt(0)
	s_waitcnt_vscnt null, 0x0
	s_barrier
	buffer_gl0_inv
	s_clause 0x9
	buffer_load_dword v10, off, s[0:3], 0 offset:444
	buffer_load_dword v11, off, s[0:3], 0 offset:452
	;; [unrolled: 1-line block ×10, first 2 shown]
	ds_read2_b64 v[2:5], v1 offset0:115 offset1:116
	ds_read2_b64 v[6:9], v1 offset0:117 offset1:118
	s_mov_b32 s4, exec_lo
	s_waitcnt vmcnt(9) lgkmcnt(1)
	v_mul_f32_e32 v1, v2, v10
	v_mul_f32_e32 v10, v3, v10
	s_waitcnt vmcnt(8)
	v_mul_f32_e32 v139, v4, v11
	v_mul_f32_e32 v11, v5, v11
	s_waitcnt vmcnt(7) lgkmcnt(0)
	v_mul_f32_e32 v140, v6, v12
	s_waitcnt vmcnt(5)
	v_fmac_f32_e32 v1, v3, v133
	v_fma_f32 v2, v2, v133, -v10
	v_mul_f32_e32 v3, v7, v12
	s_waitcnt vmcnt(4)
	v_fma_f32 v4, v4, v134, -v11
	v_fmac_f32_e32 v139, v5, v134
	v_add_f32_e32 v1, 0, v1
	v_add_f32_e32 v2, 0, v2
	v_mul_f32_e32 v5, v9, v132
	s_waitcnt vmcnt(3)
	v_fma_f32 v3, v6, v135, -v3
	v_mul_f32_e32 v141, v8, v132
	v_fmac_f32_e32 v140, v7, v135
	v_add_f32_e32 v2, v2, v4
	v_add_f32_e32 v1, v1, v139
	s_waitcnt vmcnt(2)
	v_fma_f32 v4, v8, v136, -v5
	v_fmac_f32_e32 v141, v9, v136
	v_add_f32_e32 v2, v2, v3
	v_add_f32_e32 v1, v1, v140
	;; [unrolled: 1-line block ×4, first 2 shown]
	s_waitcnt vmcnt(1)
	v_sub_f32_e32 v2, v137, v2
	s_waitcnt vmcnt(0)
	v_sub_f32_e32 v1, v138, v1
	buffer_store_dword v2, off, s[0:3], 0 offset:432
	buffer_store_dword v1, off, s[0:3], 0 offset:436
	v_cmpx_lt_u32_e32 53, v0
	s_cbranch_execz .LBB122_261
; %bb.260:
	s_clause 0x1
	buffer_load_dword v1, off, s[0:3], 0 offset:424
	buffer_load_dword v2, off, s[0:3], 0 offset:428
	v_mov_b32_e32 v3, 0
	buffer_store_dword v3, off, s[0:3], 0 offset:424
	buffer_store_dword v3, off, s[0:3], 0 offset:428
	s_waitcnt vmcnt(0)
	ds_write_b64 v131, v[1:2]
.LBB122_261:
	s_or_b32 exec_lo, exec_lo, s4
	s_waitcnt lgkmcnt(0)
	s_waitcnt_vscnt null, 0x0
	s_barrier
	buffer_gl0_inv
	s_clause 0xb
	buffer_load_dword v12, off, s[0:3], 0 offset:436
	buffer_load_dword v132, off, s[0:3], 0 offset:444
	;; [unrolled: 1-line block ×12, first 2 shown]
	v_mov_b32_e32 v1, 0
	ds_read_b128 v[2:5], v1 offset:912
	ds_read_b128 v[6:9], v1 offset:928
	ds_read_b64 v[10:11], v1 offset:944
	s_mov_b32 s4, exec_lo
	s_waitcnt vmcnt(11) lgkmcnt(2)
	v_mul_f32_e32 v143, v2, v12
	v_mul_f32_e32 v12, v3, v12
	s_waitcnt vmcnt(10)
	v_mul_f32_e32 v144, v4, v132
	v_mul_f32_e32 v132, v5, v132
	s_waitcnt vmcnt(9) lgkmcnt(1)
	v_mul_f32_e32 v145, v6, v133
	s_waitcnt vmcnt(6)
	v_fmac_f32_e32 v143, v3, v136
	v_fma_f32 v2, v2, v136, -v12
	v_mul_f32_e32 v3, v7, v133
	s_waitcnt vmcnt(5)
	v_fma_f32 v4, v4, v137, -v132
	v_fmac_f32_e32 v144, v5, v137
	v_add_f32_e32 v5, 0, v143
	v_add_f32_e32 v2, 0, v2
	v_mul_f32_e32 v12, v9, v134
	s_waitcnt vmcnt(4)
	v_fma_f32 v3, v6, v138, -v3
	v_mul_f32_e32 v146, v8, v134
	v_fmac_f32_e32 v145, v7, v138
	v_add_f32_e32 v2, v2, v4
	v_add_f32_e32 v4, v5, v144
	s_waitcnt lgkmcnt(0)
	v_mul_f32_e32 v5, v11, v135
	s_waitcnt vmcnt(3)
	v_fma_f32 v6, v8, v139, -v12
	v_mul_f32_e32 v147, v10, v135
	v_add_f32_e32 v2, v2, v3
	v_fmac_f32_e32 v146, v9, v139
	v_add_f32_e32 v3, v4, v145
	s_waitcnt vmcnt(2)
	v_fma_f32 v4, v10, v140, -v5
	v_fmac_f32_e32 v147, v11, v140
	v_add_f32_e32 v2, v2, v6
	v_add_f32_e32 v3, v3, v146
	;; [unrolled: 1-line block ×4, first 2 shown]
	s_waitcnt vmcnt(1)
	v_sub_f32_e32 v2, v141, v2
	s_waitcnt vmcnt(0)
	v_sub_f32_e32 v3, v142, v3
	buffer_store_dword v2, off, s[0:3], 0 offset:424
	buffer_store_dword v3, off, s[0:3], 0 offset:428
	v_cmpx_lt_u32_e32 52, v0
	s_cbranch_execz .LBB122_263
; %bb.262:
	s_clause 0x1
	buffer_load_dword v2, off, s[0:3], 0 offset:416
	buffer_load_dword v3, off, s[0:3], 0 offset:420
	buffer_store_dword v1, off, s[0:3], 0 offset:416
	buffer_store_dword v1, off, s[0:3], 0 offset:420
	s_waitcnt vmcnt(0)
	ds_write_b64 v131, v[2:3]
.LBB122_263:
	s_or_b32 exec_lo, exec_lo, s4
	s_waitcnt lgkmcnt(0)
	s_waitcnt_vscnt null, 0x0
	s_barrier
	buffer_gl0_inv
	s_clause 0xd
	buffer_load_dword v10, off, s[0:3], 0 offset:428
	buffer_load_dword v11, off, s[0:3], 0 offset:436
	;; [unrolled: 1-line block ×14, first 2 shown]
	ds_read2_b64 v[2:5], v1 offset0:113 offset1:114
	ds_read2_b64 v[6:9], v1 offset0:115 offset1:116
	;; [unrolled: 1-line block ×3, first 2 shown]
	s_mov_b32 s4, exec_lo
	s_waitcnt vmcnt(13) lgkmcnt(2)
	v_mul_f32_e32 v1, v2, v10
	v_mul_f32_e32 v10, v3, v10
	s_waitcnt vmcnt(12)
	v_mul_f32_e32 v147, v4, v11
	v_mul_f32_e32 v11, v5, v11
	s_waitcnt vmcnt(11) lgkmcnt(1)
	v_mul_f32_e32 v148, v6, v12
	s_waitcnt vmcnt(10)
	v_mul_f32_e32 v149, v8, v136
	s_waitcnt vmcnt(7)
	v_fma_f32 v2, v2, v139, -v10
	v_fmac_f32_e32 v1, v3, v139
	v_mul_f32_e32 v3, v7, v12
	s_waitcnt vmcnt(6)
	v_fma_f32 v4, v4, v140, -v11
	v_fmac_f32_e32 v147, v5, v140
	v_add_f32_e32 v2, 0, v2
	v_add_f32_e32 v1, 0, v1
	v_mul_f32_e32 v5, v9, v136
	s_waitcnt vmcnt(5)
	v_fma_f32 v3, v6, v141, -v3
	v_fmac_f32_e32 v148, v7, v141
	v_add_f32_e32 v2, v2, v4
	v_add_f32_e32 v1, v1, v147
	s_waitcnt lgkmcnt(0)
	v_mul_f32_e32 v4, v133, v137
	s_waitcnt vmcnt(4)
	v_fma_f32 v5, v8, v142, -v5
	v_mul_f32_e32 v150, v132, v137
	v_add_f32_e32 v2, v2, v3
	v_fmac_f32_e32 v149, v9, v142
	v_add_f32_e32 v1, v1, v148
	v_mul_f32_e32 v3, v135, v138
	s_waitcnt vmcnt(3)
	v_fma_f32 v4, v132, v143, -v4
	v_add_f32_e32 v2, v2, v5
	v_mul_f32_e32 v151, v134, v138
	v_fmac_f32_e32 v150, v133, v143
	v_add_f32_e32 v1, v1, v149
	s_waitcnt vmcnt(2)
	v_fma_f32 v3, v134, v144, -v3
	v_add_f32_e32 v2, v2, v4
	v_fmac_f32_e32 v151, v135, v144
	v_add_f32_e32 v1, v1, v150
	v_add_f32_e32 v2, v2, v3
	;; [unrolled: 1-line block ×3, first 2 shown]
	s_waitcnt vmcnt(1)
	v_sub_f32_e32 v2, v145, v2
	s_waitcnt vmcnt(0)
	v_sub_f32_e32 v1, v146, v1
	buffer_store_dword v2, off, s[0:3], 0 offset:416
	buffer_store_dword v1, off, s[0:3], 0 offset:420
	v_cmpx_lt_u32_e32 51, v0
	s_cbranch_execz .LBB122_265
; %bb.264:
	s_clause 0x1
	buffer_load_dword v1, off, s[0:3], 0 offset:408
	buffer_load_dword v2, off, s[0:3], 0 offset:412
	v_mov_b32_e32 v3, 0
	buffer_store_dword v3, off, s[0:3], 0 offset:408
	buffer_store_dword v3, off, s[0:3], 0 offset:412
	s_waitcnt vmcnt(0)
	ds_write_b64 v131, v[1:2]
.LBB122_265:
	s_or_b32 exec_lo, exec_lo, s4
	s_waitcnt lgkmcnt(0)
	s_waitcnt_vscnt null, 0x0
	s_barrier
	buffer_gl0_inv
	s_clause 0xf
	buffer_load_dword v12, off, s[0:3], 0 offset:420
	buffer_load_dword v136, off, s[0:3], 0 offset:428
	;; [unrolled: 1-line block ×16, first 2 shown]
	v_mov_b32_e32 v1, 0
	ds_read_b128 v[2:5], v1 offset:896
	ds_read_b128 v[6:9], v1 offset:912
	;; [unrolled: 1-line block ×3, first 2 shown]
	ds_read_b64 v[10:11], v1 offset:944
	s_mov_b32 s4, exec_lo
	s_waitcnt vmcnt(15) lgkmcnt(3)
	v_mul_f32_e32 v151, v2, v12
	v_mul_f32_e32 v12, v3, v12
	s_waitcnt vmcnt(14)
	v_mul_f32_e32 v152, v4, v136
	v_mul_f32_e32 v136, v5, v136
	s_waitcnt vmcnt(13) lgkmcnt(2)
	v_mul_f32_e32 v153, v6, v137
	s_waitcnt vmcnt(12)
	v_mul_f32_e32 v154, v8, v138
	s_waitcnt vmcnt(11) lgkmcnt(1)
	v_mul_f32_e32 v155, v132, v139
	s_waitcnt vmcnt(8)
	v_fma_f32 v2, v2, v142, -v12
	v_fmac_f32_e32 v151, v3, v142
	v_mul_f32_e32 v3, v7, v137
	s_waitcnt vmcnt(7)
	v_fma_f32 v4, v4, v143, -v136
	v_fmac_f32_e32 v152, v5, v143
	v_add_f32_e32 v2, 0, v2
	v_add_f32_e32 v5, 0, v151
	v_mul_f32_e32 v12, v9, v138
	s_waitcnt vmcnt(6)
	v_fma_f32 v3, v6, v144, -v3
	v_fmac_f32_e32 v153, v7, v144
	v_add_f32_e32 v2, v2, v4
	v_add_f32_e32 v4, v5, v152
	;; [unrolled: 6-line block ×3, first 2 shown]
	v_mul_f32_e32 v4, v135, v140
	s_waitcnt vmcnt(4)
	v_fma_f32 v5, v132, v146, -v5
	v_mul_f32_e32 v156, v134, v140
	v_add_f32_e32 v2, v2, v6
	v_fmac_f32_e32 v155, v133, v146
	v_add_f32_e32 v3, v3, v154
	s_waitcnt lgkmcnt(0)
	v_mul_f32_e32 v6, v11, v141
	s_waitcnt vmcnt(3)
	v_fma_f32 v4, v134, v147, -v4
	v_add_f32_e32 v2, v2, v5
	v_mul_f32_e32 v157, v10, v141
	v_fmac_f32_e32 v156, v135, v147
	v_add_f32_e32 v3, v3, v155
	s_waitcnt vmcnt(2)
	v_fma_f32 v5, v10, v148, -v6
	v_add_f32_e32 v2, v2, v4
	v_fmac_f32_e32 v157, v11, v148
	v_add_f32_e32 v3, v3, v156
	v_add_f32_e32 v2, v2, v5
	;; [unrolled: 1-line block ×3, first 2 shown]
	s_waitcnt vmcnt(1)
	v_sub_f32_e32 v2, v149, v2
	s_waitcnt vmcnt(0)
	v_sub_f32_e32 v3, v150, v3
	buffer_store_dword v2, off, s[0:3], 0 offset:408
	buffer_store_dword v3, off, s[0:3], 0 offset:412
	v_cmpx_lt_u32_e32 50, v0
	s_cbranch_execz .LBB122_267
; %bb.266:
	s_clause 0x1
	buffer_load_dword v2, off, s[0:3], 0 offset:400
	buffer_load_dword v3, off, s[0:3], 0 offset:404
	buffer_store_dword v1, off, s[0:3], 0 offset:400
	buffer_store_dword v1, off, s[0:3], 0 offset:404
	s_waitcnt vmcnt(0)
	ds_write_b64 v131, v[2:3]
.LBB122_267:
	s_or_b32 exec_lo, exec_lo, s4
	s_waitcnt lgkmcnt(0)
	s_waitcnt_vscnt null, 0x0
	s_barrier
	buffer_gl0_inv
	s_clause 0x11
	buffer_load_dword v10, off, s[0:3], 0 offset:412
	buffer_load_dword v11, off, s[0:3], 0 offset:420
	;; [unrolled: 1-line block ×18, first 2 shown]
	ds_read2_b64 v[2:5], v1 offset0:111 offset1:112
	ds_read2_b64 v[6:9], v1 offset0:113 offset1:114
	;; [unrolled: 1-line block ×4, first 2 shown]
	s_mov_b32 s4, exec_lo
	s_waitcnt vmcnt(17) lgkmcnt(3)
	v_mul_f32_e32 v1, v2, v10
	v_mul_f32_e32 v10, v3, v10
	s_waitcnt vmcnt(16)
	v_mul_f32_e32 v155, v4, v11
	v_mul_f32_e32 v11, v5, v11
	s_waitcnt vmcnt(15) lgkmcnt(2)
	v_mul_f32_e32 v156, v6, v12
	s_waitcnt vmcnt(14)
	v_mul_f32_e32 v157, v8, v140
	s_waitcnt vmcnt(13) lgkmcnt(1)
	v_mul_f32_e32 v158, v132, v141
	s_waitcnt vmcnt(12)
	v_mul_f32_e32 v159, v134, v142
	s_waitcnt vmcnt(9)
	v_fma_f32 v2, v2, v145, -v10
	v_fmac_f32_e32 v1, v3, v145
	v_mul_f32_e32 v3, v7, v12
	s_waitcnt vmcnt(8)
	v_fma_f32 v4, v4, v146, -v11
	v_fmac_f32_e32 v155, v5, v146
	v_add_f32_e32 v2, 0, v2
	v_add_f32_e32 v1, 0, v1
	v_mul_f32_e32 v5, v9, v140
	s_waitcnt vmcnt(7)
	v_fma_f32 v3, v6, v147, -v3
	v_fmac_f32_e32 v156, v7, v147
	v_add_f32_e32 v2, v2, v4
	v_add_f32_e32 v1, v1, v155
	;; [unrolled: 6-line block ×4, first 2 shown]
	s_waitcnt lgkmcnt(0)
	v_mul_f32_e32 v5, v137, v143
	s_waitcnt vmcnt(4)
	v_fma_f32 v3, v134, v150, -v3
	v_mul_f32_e32 v160, v136, v143
	v_add_f32_e32 v2, v2, v4
	v_fmac_f32_e32 v159, v135, v150
	v_add_f32_e32 v1, v1, v158
	v_mul_f32_e32 v4, v139, v144
	s_waitcnt vmcnt(3)
	v_fma_f32 v5, v136, v151, -v5
	v_add_f32_e32 v2, v2, v3
	v_mul_f32_e32 v161, v138, v144
	v_fmac_f32_e32 v160, v137, v151
	v_add_f32_e32 v1, v1, v159
	s_waitcnt vmcnt(2)
	v_fma_f32 v3, v138, v152, -v4
	v_add_f32_e32 v2, v2, v5
	v_fmac_f32_e32 v161, v139, v152
	v_add_f32_e32 v1, v1, v160
	v_add_f32_e32 v2, v2, v3
	;; [unrolled: 1-line block ×3, first 2 shown]
	s_waitcnt vmcnt(1)
	v_sub_f32_e32 v2, v153, v2
	s_waitcnt vmcnt(0)
	v_sub_f32_e32 v1, v154, v1
	buffer_store_dword v2, off, s[0:3], 0 offset:400
	buffer_store_dword v1, off, s[0:3], 0 offset:404
	v_cmpx_lt_u32_e32 49, v0
	s_cbranch_execz .LBB122_269
; %bb.268:
	s_clause 0x1
	buffer_load_dword v1, off, s[0:3], 0 offset:392
	buffer_load_dword v2, off, s[0:3], 0 offset:396
	v_mov_b32_e32 v3, 0
	buffer_store_dword v3, off, s[0:3], 0 offset:392
	buffer_store_dword v3, off, s[0:3], 0 offset:396
	s_waitcnt vmcnt(0)
	ds_write_b64 v131, v[1:2]
.LBB122_269:
	s_or_b32 exec_lo, exec_lo, s4
	s_waitcnt lgkmcnt(0)
	s_waitcnt_vscnt null, 0x0
	s_barrier
	buffer_gl0_inv
	s_clause 0x13
	buffer_load_dword v12, off, s[0:3], 0 offset:404
	buffer_load_dword v140, off, s[0:3], 0 offset:412
	;; [unrolled: 1-line block ×20, first 2 shown]
	v_mov_b32_e32 v1, 0
	ds_read_b128 v[2:5], v1 offset:880
	ds_read_b128 v[6:9], v1 offset:896
	ds_read_b128 v[132:135], v1 offset:912
	ds_read_b128 v[136:139], v1 offset:928
	ds_read_b64 v[10:11], v1 offset:944
	s_mov_b32 s4, exec_lo
	s_waitcnt vmcnt(19) lgkmcnt(4)
	v_mul_f32_e32 v159, v2, v12
	v_mul_f32_e32 v12, v3, v12
	s_waitcnt vmcnt(18)
	v_mul_f32_e32 v160, v4, v140
	v_mul_f32_e32 v140, v5, v140
	s_waitcnt vmcnt(17) lgkmcnt(3)
	v_mul_f32_e32 v161, v6, v141
	s_waitcnt vmcnt(16)
	v_mul_f32_e32 v162, v8, v142
	s_waitcnt vmcnt(15) lgkmcnt(2)
	v_mul_f32_e32 v163, v132, v143
	s_waitcnt vmcnt(14)
	;; [unrolled: 4-line block ×3, first 2 shown]
	v_fma_f32 v2, v2, v148, -v12
	v_fmac_f32_e32 v159, v3, v148
	v_mul_f32_e32 v3, v7, v141
	s_waitcnt vmcnt(9)
	v_fma_f32 v4, v4, v149, -v140
	v_fmac_f32_e32 v160, v5, v149
	v_add_f32_e32 v2, 0, v2
	v_add_f32_e32 v5, 0, v159
	v_mul_f32_e32 v12, v9, v142
	s_waitcnt vmcnt(8)
	v_fma_f32 v3, v6, v150, -v3
	v_fmac_f32_e32 v161, v7, v150
	v_add_f32_e32 v2, v2, v4
	v_add_f32_e32 v4, v5, v160
	;; [unrolled: 6-line block ×5, first 2 shown]
	v_mul_f32_e32 v5, v139, v146
	s_waitcnt vmcnt(4)
	v_fma_f32 v6, v136, v154, -v6
	v_mul_f32_e32 v166, v138, v146
	v_add_f32_e32 v2, v2, v4
	v_fmac_f32_e32 v165, v137, v154
	v_add_f32_e32 v3, v3, v164
	s_waitcnt lgkmcnt(0)
	v_mul_f32_e32 v4, v11, v147
	s_waitcnt vmcnt(3)
	v_fma_f32 v5, v138, v155, -v5
	v_add_f32_e32 v2, v2, v6
	v_mul_f32_e32 v167, v10, v147
	v_fmac_f32_e32 v166, v139, v155
	v_add_f32_e32 v3, v3, v165
	s_waitcnt vmcnt(2)
	v_fma_f32 v4, v10, v156, -v4
	v_add_f32_e32 v2, v2, v5
	v_fmac_f32_e32 v167, v11, v156
	v_add_f32_e32 v3, v3, v166
	v_add_f32_e32 v2, v2, v4
	;; [unrolled: 1-line block ×3, first 2 shown]
	s_waitcnt vmcnt(1)
	v_sub_f32_e32 v2, v157, v2
	s_waitcnt vmcnt(0)
	v_sub_f32_e32 v3, v158, v3
	buffer_store_dword v2, off, s[0:3], 0 offset:392
	buffer_store_dword v3, off, s[0:3], 0 offset:396
	v_cmpx_lt_u32_e32 48, v0
	s_cbranch_execz .LBB122_271
; %bb.270:
	s_clause 0x1
	buffer_load_dword v2, off, s[0:3], 0 offset:384
	buffer_load_dword v3, off, s[0:3], 0 offset:388
	buffer_store_dword v1, off, s[0:3], 0 offset:384
	buffer_store_dword v1, off, s[0:3], 0 offset:388
	s_waitcnt vmcnt(0)
	ds_write_b64 v131, v[2:3]
.LBB122_271:
	s_or_b32 exec_lo, exec_lo, s4
	s_waitcnt lgkmcnt(0)
	s_waitcnt_vscnt null, 0x0
	s_barrier
	buffer_gl0_inv
	s_clause 0x15
	buffer_load_dword v10, off, s[0:3], 0 offset:396
	buffer_load_dword v11, off, s[0:3], 0 offset:404
	;; [unrolled: 1-line block ×22, first 2 shown]
	ds_read2_b64 v[2:5], v1 offset0:109 offset1:110
	ds_read2_b64 v[6:9], v1 offset0:111 offset1:112
	;; [unrolled: 1-line block ×5, first 2 shown]
	s_mov_b32 s4, exec_lo
	s_waitcnt vmcnt(21) lgkmcnt(4)
	v_mul_f32_e32 v1, v2, v10
	v_mul_f32_e32 v10, v3, v10
	s_waitcnt vmcnt(20)
	v_mul_f32_e32 v163, v4, v11
	v_mul_f32_e32 v11, v5, v11
	s_waitcnt vmcnt(19) lgkmcnt(3)
	v_mul_f32_e32 v164, v6, v12
	s_waitcnt vmcnt(18)
	v_mul_f32_e32 v165, v8, v144
	s_waitcnt vmcnt(17) lgkmcnt(2)
	v_mul_f32_e32 v166, v132, v145
	s_waitcnt vmcnt(16)
	;; [unrolled: 4-line block ×3, first 2 shown]
	v_mul_f32_e32 v169, v138, v148
	s_waitcnt vmcnt(11)
	v_fma_f32 v2, v2, v151, -v10
	v_fmac_f32_e32 v1, v3, v151
	v_mul_f32_e32 v3, v7, v12
	s_waitcnt vmcnt(10)
	v_fma_f32 v4, v4, v152, -v11
	v_fmac_f32_e32 v163, v5, v152
	v_add_f32_e32 v2, 0, v2
	v_add_f32_e32 v1, 0, v1
	v_mul_f32_e32 v5, v9, v144
	s_waitcnt vmcnt(9)
	v_fma_f32 v3, v6, v153, -v3
	v_fmac_f32_e32 v164, v7, v153
	v_add_f32_e32 v2, v2, v4
	v_add_f32_e32 v1, v1, v163
	;; [unrolled: 6-line block ×6, first 2 shown]
	s_waitcnt lgkmcnt(0)
	v_mul_f32_e32 v3, v141, v149
	s_waitcnt vmcnt(4)
	v_fma_f32 v4, v138, v158, -v4
	v_mul_f32_e32 v170, v140, v149
	v_add_f32_e32 v2, v2, v5
	v_fmac_f32_e32 v169, v139, v158
	v_add_f32_e32 v1, v1, v168
	v_mul_f32_e32 v5, v143, v150
	s_waitcnt vmcnt(3)
	v_fma_f32 v3, v140, v159, -v3
	v_add_f32_e32 v2, v2, v4
	v_mul_f32_e32 v171, v142, v150
	v_fmac_f32_e32 v170, v141, v159
	v_add_f32_e32 v1, v1, v169
	s_waitcnt vmcnt(2)
	v_fma_f32 v4, v142, v160, -v5
	v_add_f32_e32 v2, v2, v3
	v_fmac_f32_e32 v171, v143, v160
	v_add_f32_e32 v1, v1, v170
	v_add_f32_e32 v2, v2, v4
	;; [unrolled: 1-line block ×3, first 2 shown]
	s_waitcnt vmcnt(1)
	v_sub_f32_e32 v2, v161, v2
	s_waitcnt vmcnt(0)
	v_sub_f32_e32 v1, v162, v1
	buffer_store_dword v2, off, s[0:3], 0 offset:384
	buffer_store_dword v1, off, s[0:3], 0 offset:388
	v_cmpx_lt_u32_e32 47, v0
	s_cbranch_execz .LBB122_273
; %bb.272:
	s_clause 0x1
	buffer_load_dword v1, off, s[0:3], 0 offset:376
	buffer_load_dword v2, off, s[0:3], 0 offset:380
	v_mov_b32_e32 v3, 0
	buffer_store_dword v3, off, s[0:3], 0 offset:376
	buffer_store_dword v3, off, s[0:3], 0 offset:380
	s_waitcnt vmcnt(0)
	ds_write_b64 v131, v[1:2]
.LBB122_273:
	s_or_b32 exec_lo, exec_lo, s4
	s_waitcnt lgkmcnt(0)
	s_waitcnt_vscnt null, 0x0
	s_barrier
	buffer_gl0_inv
	s_clause 0x17
	buffer_load_dword v12, off, s[0:3], 0 offset:388
	buffer_load_dword v144, off, s[0:3], 0 offset:396
	;; [unrolled: 1-line block ×24, first 2 shown]
	v_mov_b32_e32 v1, 0
	ds_read_b128 v[2:5], v1 offset:864
	ds_read_b128 v[6:9], v1 offset:880
	;; [unrolled: 1-line block ×5, first 2 shown]
	ds_read_b64 v[10:11], v1 offset:944
	s_mov_b32 s4, exec_lo
	s_waitcnt vmcnt(23) lgkmcnt(5)
	v_mul_f32_e32 v167, v2, v12
	v_mul_f32_e32 v12, v3, v12
	s_waitcnt vmcnt(22)
	v_mul_f32_e32 v168, v4, v144
	v_mul_f32_e32 v144, v5, v144
	s_waitcnt vmcnt(21) lgkmcnt(4)
	v_mul_f32_e32 v169, v6, v145
	s_waitcnt vmcnt(20)
	v_mul_f32_e32 v170, v8, v146
	s_waitcnt vmcnt(19) lgkmcnt(3)
	v_mul_f32_e32 v171, v132, v147
	s_waitcnt vmcnt(18)
	;; [unrolled: 4-line block ×4, first 2 shown]
	v_fma_f32 v2, v2, v154, -v12
	v_fmac_f32_e32 v167, v3, v154
	v_mul_f32_e32 v3, v7, v145
	s_waitcnt vmcnt(11)
	v_fma_f32 v4, v4, v155, -v144
	v_fmac_f32_e32 v168, v5, v155
	v_add_f32_e32 v2, 0, v2
	v_add_f32_e32 v5, 0, v167
	v_mul_f32_e32 v12, v9, v146
	s_waitcnt vmcnt(10)
	v_fma_f32 v3, v6, v156, -v3
	v_fmac_f32_e32 v169, v7, v156
	v_add_f32_e32 v2, v2, v4
	v_add_f32_e32 v4, v5, v168
	;; [unrolled: 6-line block ×7, first 2 shown]
	v_mul_f32_e32 v6, v143, v152
	s_waitcnt vmcnt(4)
	v_fma_f32 v4, v140, v162, -v4
	v_mul_f32_e32 v176, v142, v152
	v_add_f32_e32 v2, v2, v5
	v_fmac_f32_e32 v175, v141, v162
	v_add_f32_e32 v3, v3, v174
	s_waitcnt lgkmcnt(0)
	v_mul_f32_e32 v5, v11, v153
	s_waitcnt vmcnt(3)
	v_fma_f32 v6, v142, v163, -v6
	v_add_f32_e32 v2, v2, v4
	v_mul_f32_e32 v177, v10, v153
	v_fmac_f32_e32 v176, v143, v163
	v_add_f32_e32 v3, v3, v175
	s_waitcnt vmcnt(2)
	v_fma_f32 v4, v10, v164, -v5
	v_add_f32_e32 v2, v2, v6
	v_fmac_f32_e32 v177, v11, v164
	v_add_f32_e32 v3, v3, v176
	v_add_f32_e32 v2, v2, v4
	;; [unrolled: 1-line block ×3, first 2 shown]
	s_waitcnt vmcnt(1)
	v_sub_f32_e32 v2, v165, v2
	s_waitcnt vmcnt(0)
	v_sub_f32_e32 v3, v166, v3
	buffer_store_dword v2, off, s[0:3], 0 offset:376
	buffer_store_dword v3, off, s[0:3], 0 offset:380
	v_cmpx_lt_u32_e32 46, v0
	s_cbranch_execz .LBB122_275
; %bb.274:
	s_clause 0x1
	buffer_load_dword v2, off, s[0:3], 0 offset:368
	buffer_load_dword v3, off, s[0:3], 0 offset:372
	buffer_store_dword v1, off, s[0:3], 0 offset:368
	buffer_store_dword v1, off, s[0:3], 0 offset:372
	s_waitcnt vmcnt(0)
	ds_write_b64 v131, v[2:3]
.LBB122_275:
	s_or_b32 exec_lo, exec_lo, s4
	s_waitcnt lgkmcnt(0)
	s_waitcnt_vscnt null, 0x0
	s_barrier
	buffer_gl0_inv
	s_clause 0x19
	buffer_load_dword v10, off, s[0:3], 0 offset:380
	buffer_load_dword v11, off, s[0:3], 0 offset:388
	;; [unrolled: 1-line block ×26, first 2 shown]
	ds_read2_b64 v[2:5], v1 offset0:107 offset1:108
	ds_read2_b64 v[6:9], v1 offset0:109 offset1:110
	;; [unrolled: 1-line block ×6, first 2 shown]
	s_mov_b32 s4, exec_lo
	s_waitcnt vmcnt(25) lgkmcnt(5)
	v_mul_f32_e32 v1, v2, v10
	v_mul_f32_e32 v10, v3, v10
	s_waitcnt vmcnt(24)
	v_mul_f32_e32 v171, v4, v11
	v_mul_f32_e32 v11, v5, v11
	s_waitcnt vmcnt(23) lgkmcnt(4)
	v_mul_f32_e32 v172, v6, v12
	s_waitcnt vmcnt(22)
	v_mul_f32_e32 v173, v8, v148
	s_waitcnt vmcnt(21) lgkmcnt(3)
	v_mul_f32_e32 v174, v132, v149
	s_waitcnt vmcnt(20)
	;; [unrolled: 4-line block ×4, first 2 shown]
	v_mul_f32_e32 v179, v142, v154
	s_waitcnt vmcnt(13)
	v_fma_f32 v2, v2, v157, -v10
	v_fmac_f32_e32 v1, v3, v157
	v_mul_f32_e32 v3, v7, v12
	s_waitcnt vmcnt(12)
	v_fma_f32 v4, v4, v158, -v11
	v_fmac_f32_e32 v171, v5, v158
	v_add_f32_e32 v2, 0, v2
	v_add_f32_e32 v1, 0, v1
	v_mul_f32_e32 v5, v9, v148
	s_waitcnt vmcnt(11)
	v_fma_f32 v3, v6, v159, -v3
	v_fmac_f32_e32 v172, v7, v159
	v_add_f32_e32 v2, v2, v4
	v_add_f32_e32 v1, v1, v171
	;; [unrolled: 6-line block ×8, first 2 shown]
	s_waitcnt lgkmcnt(0)
	v_mul_f32_e32 v4, v145, v155
	s_waitcnt vmcnt(4)
	v_fma_f32 v5, v142, v166, -v5
	v_mul_f32_e32 v180, v144, v155
	v_add_f32_e32 v2, v2, v3
	v_fmac_f32_e32 v179, v143, v166
	v_add_f32_e32 v1, v1, v178
	v_mul_f32_e32 v3, v147, v156
	s_waitcnt vmcnt(3)
	v_fma_f32 v4, v144, v167, -v4
	v_add_f32_e32 v2, v2, v5
	v_mul_f32_e32 v181, v146, v156
	v_fmac_f32_e32 v180, v145, v167
	v_add_f32_e32 v1, v1, v179
	s_waitcnt vmcnt(2)
	v_fma_f32 v3, v146, v168, -v3
	v_add_f32_e32 v2, v2, v4
	v_fmac_f32_e32 v181, v147, v168
	v_add_f32_e32 v1, v1, v180
	v_add_f32_e32 v2, v2, v3
	;; [unrolled: 1-line block ×3, first 2 shown]
	s_waitcnt vmcnt(1)
	v_sub_f32_e32 v2, v169, v2
	s_waitcnt vmcnt(0)
	v_sub_f32_e32 v1, v170, v1
	buffer_store_dword v2, off, s[0:3], 0 offset:368
	buffer_store_dword v1, off, s[0:3], 0 offset:372
	v_cmpx_lt_u32_e32 45, v0
	s_cbranch_execz .LBB122_277
; %bb.276:
	s_clause 0x1
	buffer_load_dword v1, off, s[0:3], 0 offset:360
	buffer_load_dword v2, off, s[0:3], 0 offset:364
	v_mov_b32_e32 v3, 0
	buffer_store_dword v3, off, s[0:3], 0 offset:360
	buffer_store_dword v3, off, s[0:3], 0 offset:364
	s_waitcnt vmcnt(0)
	ds_write_b64 v131, v[1:2]
.LBB122_277:
	s_or_b32 exec_lo, exec_lo, s4
	s_waitcnt lgkmcnt(0)
	s_waitcnt_vscnt null, 0x0
	s_barrier
	buffer_gl0_inv
	s_clause 0x1b
	buffer_load_dword v12, off, s[0:3], 0 offset:372
	buffer_load_dword v148, off, s[0:3], 0 offset:380
	;; [unrolled: 1-line block ×28, first 2 shown]
	v_mov_b32_e32 v1, 0
	ds_read_b128 v[2:5], v1 offset:848
	ds_read_b128 v[6:9], v1 offset:864
	;; [unrolled: 1-line block ×6, first 2 shown]
	ds_read_b64 v[10:11], v1 offset:944
	s_mov_b32 s4, exec_lo
	s_waitcnt vmcnt(27) lgkmcnt(6)
	v_mul_f32_e32 v175, v2, v12
	v_mul_f32_e32 v12, v3, v12
	s_waitcnt vmcnt(26)
	v_mul_f32_e32 v176, v4, v148
	v_mul_f32_e32 v148, v5, v148
	s_waitcnt vmcnt(25) lgkmcnt(5)
	v_mul_f32_e32 v177, v6, v149
	s_waitcnt vmcnt(24)
	v_mul_f32_e32 v178, v8, v150
	s_waitcnt vmcnt(23) lgkmcnt(4)
	v_mul_f32_e32 v179, v132, v151
	s_waitcnt vmcnt(22)
	;; [unrolled: 4-line block ×5, first 2 shown]
	v_fma_f32 v2, v2, v160, -v12
	v_fmac_f32_e32 v175, v3, v160
	v_mul_f32_e32 v3, v7, v149
	s_waitcnt vmcnt(13)
	v_fma_f32 v4, v4, v161, -v148
	v_fmac_f32_e32 v176, v5, v161
	v_add_f32_e32 v2, 0, v2
	v_add_f32_e32 v5, 0, v175
	v_mul_f32_e32 v12, v9, v150
	s_waitcnt vmcnt(12)
	v_fma_f32 v3, v6, v162, -v3
	v_fmac_f32_e32 v177, v7, v162
	v_add_f32_e32 v2, v2, v4
	v_add_f32_e32 v4, v5, v176
	;; [unrolled: 6-line block ×9, first 2 shown]
	v_mul_f32_e32 v4, v147, v158
	s_waitcnt vmcnt(4)
	v_fma_f32 v5, v144, v170, -v5
	v_mul_f32_e32 v186, v146, v158
	v_add_f32_e32 v2, v2, v6
	v_fmac_f32_e32 v185, v145, v170
	v_add_f32_e32 v3, v3, v184
	s_waitcnt lgkmcnt(0)
	v_mul_f32_e32 v6, v11, v159
	s_waitcnt vmcnt(3)
	v_fma_f32 v4, v146, v171, -v4
	v_add_f32_e32 v2, v2, v5
	v_mul_f32_e32 v187, v10, v159
	v_fmac_f32_e32 v186, v147, v171
	v_add_f32_e32 v3, v3, v185
	s_waitcnt vmcnt(2)
	v_fma_f32 v5, v10, v172, -v6
	v_add_f32_e32 v2, v2, v4
	v_fmac_f32_e32 v187, v11, v172
	v_add_f32_e32 v3, v3, v186
	v_add_f32_e32 v2, v2, v5
	;; [unrolled: 1-line block ×3, first 2 shown]
	s_waitcnt vmcnt(1)
	v_sub_f32_e32 v2, v173, v2
	s_waitcnt vmcnt(0)
	v_sub_f32_e32 v3, v174, v3
	buffer_store_dword v2, off, s[0:3], 0 offset:360
	buffer_store_dword v3, off, s[0:3], 0 offset:364
	v_cmpx_lt_u32_e32 44, v0
	s_cbranch_execz .LBB122_279
; %bb.278:
	s_clause 0x1
	buffer_load_dword v2, off, s[0:3], 0 offset:352
	buffer_load_dword v3, off, s[0:3], 0 offset:356
	buffer_store_dword v1, off, s[0:3], 0 offset:352
	buffer_store_dword v1, off, s[0:3], 0 offset:356
	s_waitcnt vmcnt(0)
	ds_write_b64 v131, v[2:3]
.LBB122_279:
	s_or_b32 exec_lo, exec_lo, s4
	s_waitcnt lgkmcnt(0)
	s_waitcnt_vscnt null, 0x0
	s_barrier
	buffer_gl0_inv
	s_clause 0x1d
	buffer_load_dword v10, off, s[0:3], 0 offset:364
	buffer_load_dword v11, off, s[0:3], 0 offset:372
	;; [unrolled: 1-line block ×30, first 2 shown]
	ds_read2_b64 v[2:5], v1 offset0:105 offset1:106
	ds_read2_b64 v[6:9], v1 offset0:107 offset1:108
	;; [unrolled: 1-line block ×7, first 2 shown]
	s_mov_b32 s4, exec_lo
	s_waitcnt vmcnt(29) lgkmcnt(6)
	v_mul_f32_e32 v1, v2, v10
	v_mul_f32_e32 v10, v3, v10
	s_waitcnt vmcnt(28)
	v_mul_f32_e32 v179, v4, v11
	v_mul_f32_e32 v11, v5, v11
	s_waitcnt vmcnt(27) lgkmcnt(5)
	v_mul_f32_e32 v180, v6, v12
	s_waitcnt vmcnt(26)
	v_mul_f32_e32 v181, v8, v152
	s_waitcnt vmcnt(25) lgkmcnt(4)
	v_mul_f32_e32 v182, v132, v153
	s_waitcnt vmcnt(24)
	;; [unrolled: 4-line block ×5, first 2 shown]
	v_mul_f32_e32 v189, v146, v160
	s_waitcnt vmcnt(15)
	v_fma_f32 v2, v2, v163, -v10
	v_fmac_f32_e32 v1, v3, v163
	v_mul_f32_e32 v3, v7, v12
	s_waitcnt vmcnt(14)
	v_fma_f32 v4, v4, v164, -v11
	v_fmac_f32_e32 v179, v5, v164
	v_add_f32_e32 v2, 0, v2
	v_add_f32_e32 v1, 0, v1
	v_mul_f32_e32 v5, v9, v152
	s_waitcnt vmcnt(13)
	v_fma_f32 v3, v6, v165, -v3
	v_fmac_f32_e32 v180, v7, v165
	v_add_f32_e32 v2, v2, v4
	v_add_f32_e32 v1, v1, v179
	;; [unrolled: 6-line block ×10, first 2 shown]
	s_waitcnt lgkmcnt(0)
	v_mul_f32_e32 v5, v149, v161
	s_waitcnt vmcnt(4)
	v_fma_f32 v3, v146, v174, -v3
	v_mul_f32_e32 v190, v148, v161
	v_add_f32_e32 v2, v2, v4
	v_fmac_f32_e32 v189, v147, v174
	v_add_f32_e32 v1, v1, v188
	v_mul_f32_e32 v4, v151, v162
	s_waitcnt vmcnt(3)
	v_fma_f32 v5, v148, v175, -v5
	v_add_f32_e32 v2, v2, v3
	v_mul_f32_e32 v191, v150, v162
	v_fmac_f32_e32 v190, v149, v175
	v_add_f32_e32 v1, v1, v189
	s_waitcnt vmcnt(2)
	v_fma_f32 v3, v150, v176, -v4
	v_add_f32_e32 v2, v2, v5
	v_fmac_f32_e32 v191, v151, v176
	v_add_f32_e32 v1, v1, v190
	v_add_f32_e32 v2, v2, v3
	;; [unrolled: 1-line block ×3, first 2 shown]
	s_waitcnt vmcnt(1)
	v_sub_f32_e32 v2, v177, v2
	s_waitcnt vmcnt(0)
	v_sub_f32_e32 v1, v178, v1
	buffer_store_dword v2, off, s[0:3], 0 offset:352
	buffer_store_dword v1, off, s[0:3], 0 offset:356
	v_cmpx_lt_u32_e32 43, v0
	s_cbranch_execz .LBB122_281
; %bb.280:
	s_clause 0x1
	buffer_load_dword v1, off, s[0:3], 0 offset:344
	buffer_load_dword v2, off, s[0:3], 0 offset:348
	v_mov_b32_e32 v3, 0
	buffer_store_dword v3, off, s[0:3], 0 offset:344
	buffer_store_dword v3, off, s[0:3], 0 offset:348
	s_waitcnt vmcnt(0)
	ds_write_b64 v131, v[1:2]
.LBB122_281:
	s_or_b32 exec_lo, exec_lo, s4
	s_waitcnt lgkmcnt(0)
	s_waitcnt_vscnt null, 0x0
	s_barrier
	buffer_gl0_inv
	s_clause 0x1f
	buffer_load_dword v12, off, s[0:3], 0 offset:356
	buffer_load_dword v152, off, s[0:3], 0 offset:364
	;; [unrolled: 1-line block ×32, first 2 shown]
	v_mov_b32_e32 v1, 0
	ds_read_b128 v[2:5], v1 offset:832
	ds_read_b128 v[6:9], v1 offset:848
	;; [unrolled: 1-line block ×7, first 2 shown]
	ds_read_b64 v[10:11], v1 offset:944
	s_mov_b32 s4, exec_lo
	s_waitcnt vmcnt(31) lgkmcnt(7)
	v_mul_f32_e32 v183, v2, v12
	v_mul_f32_e32 v12, v3, v12
	s_waitcnt vmcnt(30)
	v_mul_f32_e32 v184, v4, v152
	v_mul_f32_e32 v152, v5, v152
	s_waitcnt vmcnt(29) lgkmcnt(6)
	v_mul_f32_e32 v185, v6, v153
	s_waitcnt vmcnt(28)
	v_mul_f32_e32 v186, v8, v154
	s_waitcnt vmcnt(27) lgkmcnt(5)
	v_mul_f32_e32 v187, v132, v155
	s_waitcnt vmcnt(26)
	;; [unrolled: 4-line block ×6, first 2 shown]
	v_fma_f32 v2, v2, v166, -v12
	v_fmac_f32_e32 v183, v3, v166
	v_mul_f32_e32 v3, v7, v153
	s_waitcnt vmcnt(15)
	v_fma_f32 v4, v4, v167, -v152
	v_fmac_f32_e32 v184, v5, v167
	v_add_f32_e32 v2, 0, v2
	v_add_f32_e32 v5, 0, v183
	v_mul_f32_e32 v12, v9, v154
	s_waitcnt vmcnt(14)
	v_fma_f32 v3, v6, v168, -v3
	v_fmac_f32_e32 v185, v7, v168
	v_add_f32_e32 v2, v2, v4
	v_add_f32_e32 v4, v5, v184
	;; [unrolled: 6-line block ×11, first 2 shown]
	v_mul_f32_e32 v5, v151, v164
	s_waitcnt vmcnt(4)
	v_fma_f32 v6, v148, v178, -v6
	v_mul_f32_e32 v196, v150, v164
	v_add_f32_e32 v2, v2, v4
	v_fmac_f32_e32 v195, v149, v178
	v_add_f32_e32 v3, v3, v194
	s_waitcnt lgkmcnt(0)
	v_mul_f32_e32 v4, v11, v165
	s_waitcnt vmcnt(3)
	v_fma_f32 v5, v150, v179, -v5
	v_add_f32_e32 v2, v2, v6
	v_mul_f32_e32 v197, v10, v165
	v_fmac_f32_e32 v196, v151, v179
	v_add_f32_e32 v3, v3, v195
	s_waitcnt vmcnt(2)
	v_fma_f32 v4, v10, v180, -v4
	v_add_f32_e32 v2, v2, v5
	v_fmac_f32_e32 v197, v11, v180
	v_add_f32_e32 v3, v3, v196
	v_add_f32_e32 v2, v2, v4
	;; [unrolled: 1-line block ×3, first 2 shown]
	s_waitcnt vmcnt(1)
	v_sub_f32_e32 v2, v181, v2
	s_waitcnt vmcnt(0)
	v_sub_f32_e32 v3, v182, v3
	buffer_store_dword v2, off, s[0:3], 0 offset:344
	buffer_store_dword v3, off, s[0:3], 0 offset:348
	v_cmpx_lt_u32_e32 42, v0
	s_cbranch_execz .LBB122_283
; %bb.282:
	s_clause 0x1
	buffer_load_dword v2, off, s[0:3], 0 offset:336
	buffer_load_dword v3, off, s[0:3], 0 offset:340
	buffer_store_dword v1, off, s[0:3], 0 offset:336
	buffer_store_dword v1, off, s[0:3], 0 offset:340
	s_waitcnt vmcnt(0)
	ds_write_b64 v131, v[2:3]
.LBB122_283:
	s_or_b32 exec_lo, exec_lo, s4
	s_waitcnt lgkmcnt(0)
	s_waitcnt_vscnt null, 0x0
	s_barrier
	buffer_gl0_inv
	s_clause 0x21
	buffer_load_dword v10, off, s[0:3], 0 offset:348
	buffer_load_dword v11, off, s[0:3], 0 offset:356
	buffer_load_dword v12, off, s[0:3], 0 offset:364
	buffer_load_dword v156, off, s[0:3], 0 offset:372
	buffer_load_dword v157, off, s[0:3], 0 offset:380
	buffer_load_dword v158, off, s[0:3], 0 offset:388
	buffer_load_dword v159, off, s[0:3], 0 offset:396
	buffer_load_dword v160, off, s[0:3], 0 offset:404
	buffer_load_dword v161, off, s[0:3], 0 offset:412
	buffer_load_dword v162, off, s[0:3], 0 offset:420
	buffer_load_dword v163, off, s[0:3], 0 offset:428
	buffer_load_dword v164, off, s[0:3], 0 offset:436
	buffer_load_dword v165, off, s[0:3], 0 offset:444
	buffer_load_dword v166, off, s[0:3], 0 offset:452
	buffer_load_dword v167, off, s[0:3], 0 offset:460
	buffer_load_dword v168, off, s[0:3], 0 offset:468
	buffer_load_dword v169, off, s[0:3], 0 offset:344
	buffer_load_dword v170, off, s[0:3], 0 offset:352
	buffer_load_dword v171, off, s[0:3], 0 offset:360
	buffer_load_dword v172, off, s[0:3], 0 offset:368
	buffer_load_dword v173, off, s[0:3], 0 offset:376
	buffer_load_dword v174, off, s[0:3], 0 offset:384
	buffer_load_dword v175, off, s[0:3], 0 offset:392
	buffer_load_dword v176, off, s[0:3], 0 offset:400
	buffer_load_dword v177, off, s[0:3], 0 offset:408
	buffer_load_dword v178, off, s[0:3], 0 offset:416
	buffer_load_dword v179, off, s[0:3], 0 offset:424
	buffer_load_dword v180, off, s[0:3], 0 offset:432
	buffer_load_dword v181, off, s[0:3], 0 offset:440
	buffer_load_dword v182, off, s[0:3], 0 offset:448
	buffer_load_dword v183, off, s[0:3], 0 offset:456
	buffer_load_dword v184, off, s[0:3], 0 offset:464
	buffer_load_dword v185, off, s[0:3], 0 offset:336
	buffer_load_dword v186, off, s[0:3], 0 offset:340
	ds_read2_b64 v[2:5], v1 offset0:103 offset1:104
	ds_read2_b64 v[6:9], v1 offset0:105 offset1:106
	;; [unrolled: 1-line block ×8, first 2 shown]
	s_mov_b32 s4, exec_lo
	s_waitcnt vmcnt(33) lgkmcnt(7)
	v_mul_f32_e32 v1, v2, v10
	v_mul_f32_e32 v10, v3, v10
	s_waitcnt vmcnt(32)
	v_mul_f32_e32 v187, v4, v11
	v_mul_f32_e32 v11, v5, v11
	s_waitcnt vmcnt(31) lgkmcnt(6)
	v_mul_f32_e32 v188, v6, v12
	s_waitcnt vmcnt(30)
	v_mul_f32_e32 v189, v8, v156
	s_waitcnt vmcnt(29) lgkmcnt(5)
	v_mul_f32_e32 v190, v132, v157
	s_waitcnt vmcnt(28)
	;; [unrolled: 4-line block ×6, first 2 shown]
	v_mul_f32_e32 v199, v150, v166
	s_waitcnt vmcnt(17)
	v_fma_f32 v2, v2, v169, -v10
	v_fmac_f32_e32 v1, v3, v169
	v_mul_f32_e32 v3, v7, v12
	s_waitcnt vmcnt(16)
	v_fma_f32 v4, v4, v170, -v11
	v_fmac_f32_e32 v187, v5, v170
	v_add_f32_e32 v2, 0, v2
	v_add_f32_e32 v1, 0, v1
	v_mul_f32_e32 v5, v9, v156
	s_waitcnt vmcnt(15)
	v_fma_f32 v3, v6, v171, -v3
	v_fmac_f32_e32 v188, v7, v171
	v_add_f32_e32 v2, v2, v4
	v_add_f32_e32 v1, v1, v187
	;; [unrolled: 6-line block ×12, first 2 shown]
	s_waitcnt lgkmcnt(0)
	v_mul_f32_e32 v3, v153, v167
	s_waitcnt vmcnt(4)
	v_fma_f32 v4, v150, v182, -v4
	v_mul_f32_e32 v200, v152, v167
	v_add_f32_e32 v2, v2, v5
	v_fmac_f32_e32 v199, v151, v182
	v_add_f32_e32 v1, v1, v198
	v_mul_f32_e32 v5, v155, v168
	s_waitcnt vmcnt(3)
	v_fma_f32 v3, v152, v183, -v3
	v_add_f32_e32 v2, v2, v4
	v_mul_f32_e32 v201, v154, v168
	v_fmac_f32_e32 v200, v153, v183
	v_add_f32_e32 v1, v1, v199
	s_waitcnt vmcnt(2)
	v_fma_f32 v4, v154, v184, -v5
	v_add_f32_e32 v2, v2, v3
	v_fmac_f32_e32 v201, v155, v184
	v_add_f32_e32 v1, v1, v200
	v_add_f32_e32 v2, v2, v4
	;; [unrolled: 1-line block ×3, first 2 shown]
	s_waitcnt vmcnt(1)
	v_sub_f32_e32 v2, v185, v2
	s_waitcnt vmcnt(0)
	v_sub_f32_e32 v1, v186, v1
	buffer_store_dword v2, off, s[0:3], 0 offset:336
	buffer_store_dword v1, off, s[0:3], 0 offset:340
	v_cmpx_lt_u32_e32 41, v0
	s_cbranch_execz .LBB122_285
; %bb.284:
	s_clause 0x1
	buffer_load_dword v1, off, s[0:3], 0 offset:328
	buffer_load_dword v2, off, s[0:3], 0 offset:332
	v_mov_b32_e32 v3, 0
	buffer_store_dword v3, off, s[0:3], 0 offset:328
	buffer_store_dword v3, off, s[0:3], 0 offset:332
	s_waitcnt vmcnt(0)
	ds_write_b64 v131, v[1:2]
.LBB122_285:
	s_or_b32 exec_lo, exec_lo, s4
	s_waitcnt lgkmcnt(0)
	s_waitcnt_vscnt null, 0x0
	s_barrier
	buffer_gl0_inv
	s_clause 0x23
	buffer_load_dword v12, off, s[0:3], 0 offset:340
	buffer_load_dword v156, off, s[0:3], 0 offset:348
	;; [unrolled: 1-line block ×36, first 2 shown]
	v_mov_b32_e32 v1, 0
	ds_read_b128 v[2:5], v1 offset:816
	ds_read_b128 v[6:9], v1 offset:832
	;; [unrolled: 1-line block ×8, first 2 shown]
	ds_read_b64 v[10:11], v1 offset:944
	s_mov_b32 s4, exec_lo
	s_waitcnt vmcnt(35) lgkmcnt(8)
	v_mul_f32_e32 v191, v2, v12
	v_mul_f32_e32 v12, v3, v12
	s_waitcnt vmcnt(34)
	v_mul_f32_e32 v192, v4, v156
	v_mul_f32_e32 v156, v5, v156
	s_waitcnt vmcnt(33) lgkmcnt(7)
	v_mul_f32_e32 v193, v6, v157
	s_waitcnt vmcnt(32)
	v_mul_f32_e32 v194, v8, v158
	s_waitcnt vmcnt(31) lgkmcnt(6)
	v_mul_f32_e32 v195, v132, v159
	s_waitcnt vmcnt(30)
	;; [unrolled: 4-line block ×7, first 2 shown]
	v_fma_f32 v2, v2, v172, -v12
	v_fmac_f32_e32 v191, v3, v172
	v_mul_f32_e32 v3, v7, v157
	s_waitcnt vmcnt(17)
	v_fma_f32 v4, v4, v173, -v156
	v_fmac_f32_e32 v192, v5, v173
	v_add_f32_e32 v2, 0, v2
	v_add_f32_e32 v5, 0, v191
	v_mul_f32_e32 v12, v9, v158
	s_waitcnt vmcnt(16)
	v_fma_f32 v3, v6, v174, -v3
	v_fmac_f32_e32 v193, v7, v174
	v_add_f32_e32 v2, v2, v4
	v_add_f32_e32 v4, v5, v192
	;; [unrolled: 6-line block ×13, first 2 shown]
	v_mul_f32_e32 v6, v155, v170
	s_waitcnt vmcnt(4)
	v_fma_f32 v4, v152, v186, -v4
	v_mul_f32_e32 v206, v154, v170
	v_add_f32_e32 v2, v2, v5
	v_fmac_f32_e32 v205, v153, v186
	v_add_f32_e32 v3, v3, v204
	s_waitcnt lgkmcnt(0)
	v_mul_f32_e32 v5, v11, v171
	s_waitcnt vmcnt(3)
	v_fma_f32 v6, v154, v187, -v6
	v_add_f32_e32 v2, v2, v4
	v_mul_f32_e32 v207, v10, v171
	v_fmac_f32_e32 v206, v155, v187
	v_add_f32_e32 v3, v3, v205
	s_waitcnt vmcnt(2)
	v_fma_f32 v4, v10, v188, -v5
	v_add_f32_e32 v2, v2, v6
	v_fmac_f32_e32 v207, v11, v188
	v_add_f32_e32 v3, v3, v206
	v_add_f32_e32 v2, v2, v4
	;; [unrolled: 1-line block ×3, first 2 shown]
	s_waitcnt vmcnt(1)
	v_sub_f32_e32 v2, v189, v2
	s_waitcnt vmcnt(0)
	v_sub_f32_e32 v3, v190, v3
	buffer_store_dword v2, off, s[0:3], 0 offset:328
	buffer_store_dword v3, off, s[0:3], 0 offset:332
	v_cmpx_lt_u32_e32 40, v0
	s_cbranch_execz .LBB122_287
; %bb.286:
	s_clause 0x1
	buffer_load_dword v2, off, s[0:3], 0 offset:320
	buffer_load_dword v3, off, s[0:3], 0 offset:324
	buffer_store_dword v1, off, s[0:3], 0 offset:320
	buffer_store_dword v1, off, s[0:3], 0 offset:324
	s_waitcnt vmcnt(0)
	ds_write_b64 v131, v[2:3]
.LBB122_287:
	s_or_b32 exec_lo, exec_lo, s4
	s_waitcnt lgkmcnt(0)
	s_waitcnt_vscnt null, 0x0
	s_barrier
	buffer_gl0_inv
	s_clause 0x25
	buffer_load_dword v10, off, s[0:3], 0 offset:332
	buffer_load_dword v11, off, s[0:3], 0 offset:340
	;; [unrolled: 1-line block ×38, first 2 shown]
	ds_read2_b64 v[2:5], v1 offset0:101 offset1:102
	ds_read2_b64 v[6:9], v1 offset0:103 offset1:104
	;; [unrolled: 1-line block ×9, first 2 shown]
	s_mov_b32 s4, exec_lo
	s_waitcnt vmcnt(37) lgkmcnt(8)
	v_mul_f32_e32 v1, v2, v10
	v_mul_f32_e32 v10, v3, v10
	s_waitcnt vmcnt(36)
	v_mul_f32_e32 v195, v4, v11
	v_mul_f32_e32 v11, v5, v11
	s_waitcnt vmcnt(35) lgkmcnt(7)
	v_mul_f32_e32 v196, v6, v12
	s_waitcnt vmcnt(34)
	v_mul_f32_e32 v197, v8, v160
	s_waitcnt vmcnt(33) lgkmcnt(6)
	v_mul_f32_e32 v198, v132, v161
	s_waitcnt vmcnt(32)
	;; [unrolled: 4-line block ×7, first 2 shown]
	v_mul_f32_e32 v209, v154, v172
	s_waitcnt vmcnt(19)
	v_fma_f32 v2, v2, v175, -v10
	v_fmac_f32_e32 v1, v3, v175
	v_mul_f32_e32 v3, v7, v12
	s_waitcnt vmcnt(18)
	v_fma_f32 v4, v4, v176, -v11
	v_fmac_f32_e32 v195, v5, v176
	v_add_f32_e32 v2, 0, v2
	v_add_f32_e32 v1, 0, v1
	v_mul_f32_e32 v5, v9, v160
	s_waitcnt vmcnt(17)
	v_fma_f32 v3, v6, v177, -v3
	v_fmac_f32_e32 v196, v7, v177
	v_add_f32_e32 v2, v2, v4
	v_add_f32_e32 v1, v1, v195
	;; [unrolled: 6-line block ×14, first 2 shown]
	s_waitcnt lgkmcnt(0)
	v_mul_f32_e32 v4, v157, v173
	s_waitcnt vmcnt(4)
	v_fma_f32 v5, v154, v190, -v5
	v_mul_f32_e32 v210, v156, v173
	v_add_f32_e32 v2, v2, v3
	v_fmac_f32_e32 v209, v155, v190
	v_add_f32_e32 v1, v1, v208
	v_mul_f32_e32 v3, v159, v174
	s_waitcnt vmcnt(3)
	v_fma_f32 v4, v156, v191, -v4
	v_add_f32_e32 v2, v2, v5
	v_mul_f32_e32 v211, v158, v174
	v_fmac_f32_e32 v210, v157, v191
	v_add_f32_e32 v1, v1, v209
	s_waitcnt vmcnt(2)
	v_fma_f32 v3, v158, v192, -v3
	v_add_f32_e32 v2, v2, v4
	v_fmac_f32_e32 v211, v159, v192
	v_add_f32_e32 v1, v1, v210
	v_add_f32_e32 v2, v2, v3
	;; [unrolled: 1-line block ×3, first 2 shown]
	s_waitcnt vmcnt(1)
	v_sub_f32_e32 v2, v193, v2
	s_waitcnt vmcnt(0)
	v_sub_f32_e32 v1, v194, v1
	buffer_store_dword v2, off, s[0:3], 0 offset:320
	buffer_store_dword v1, off, s[0:3], 0 offset:324
	v_cmpx_lt_u32_e32 39, v0
	s_cbranch_execz .LBB122_289
; %bb.288:
	s_clause 0x1
	buffer_load_dword v1, off, s[0:3], 0 offset:312
	buffer_load_dword v2, off, s[0:3], 0 offset:316
	v_mov_b32_e32 v3, 0
	buffer_store_dword v3, off, s[0:3], 0 offset:312
	buffer_store_dword v3, off, s[0:3], 0 offset:316
	s_waitcnt vmcnt(0)
	ds_write_b64 v131, v[1:2]
.LBB122_289:
	s_or_b32 exec_lo, exec_lo, s4
	s_waitcnt lgkmcnt(0)
	s_waitcnt_vscnt null, 0x0
	s_barrier
	buffer_gl0_inv
	s_clause 0x27
	buffer_load_dword v12, off, s[0:3], 0 offset:324
	buffer_load_dword v160, off, s[0:3], 0 offset:332
	buffer_load_dword v161, off, s[0:3], 0 offset:340
	buffer_load_dword v162, off, s[0:3], 0 offset:348
	buffer_load_dword v163, off, s[0:3], 0 offset:356
	buffer_load_dword v164, off, s[0:3], 0 offset:364
	buffer_load_dword v165, off, s[0:3], 0 offset:372
	buffer_load_dword v166, off, s[0:3], 0 offset:380
	buffer_load_dword v167, off, s[0:3], 0 offset:388
	buffer_load_dword v168, off, s[0:3], 0 offset:396
	buffer_load_dword v169, off, s[0:3], 0 offset:404
	buffer_load_dword v170, off, s[0:3], 0 offset:412
	buffer_load_dword v171, off, s[0:3], 0 offset:420
	buffer_load_dword v172, off, s[0:3], 0 offset:428
	buffer_load_dword v173, off, s[0:3], 0 offset:436
	buffer_load_dword v174, off, s[0:3], 0 offset:444
	buffer_load_dword v175, off, s[0:3], 0 offset:452
	buffer_load_dword v176, off, s[0:3], 0 offset:460
	buffer_load_dword v177, off, s[0:3], 0 offset:468
	buffer_load_dword v178, off, s[0:3], 0 offset:320
	buffer_load_dword v179, off, s[0:3], 0 offset:328
	buffer_load_dword v180, off, s[0:3], 0 offset:336
	buffer_load_dword v181, off, s[0:3], 0 offset:344
	buffer_load_dword v182, off, s[0:3], 0 offset:352
	buffer_load_dword v183, off, s[0:3], 0 offset:360
	buffer_load_dword v184, off, s[0:3], 0 offset:368
	buffer_load_dword v185, off, s[0:3], 0 offset:376
	buffer_load_dword v186, off, s[0:3], 0 offset:384
	buffer_load_dword v187, off, s[0:3], 0 offset:392
	buffer_load_dword v188, off, s[0:3], 0 offset:400
	buffer_load_dword v189, off, s[0:3], 0 offset:408
	buffer_load_dword v190, off, s[0:3], 0 offset:416
	buffer_load_dword v191, off, s[0:3], 0 offset:424
	buffer_load_dword v192, off, s[0:3], 0 offset:432
	buffer_load_dword v193, off, s[0:3], 0 offset:440
	buffer_load_dword v194, off, s[0:3], 0 offset:448
	buffer_load_dword v195, off, s[0:3], 0 offset:456
	buffer_load_dword v196, off, s[0:3], 0 offset:464
	buffer_load_dword v197, off, s[0:3], 0 offset:312
	buffer_load_dword v198, off, s[0:3], 0 offset:316
	v_mov_b32_e32 v1, 0
	ds_read_b128 v[2:5], v1 offset:800
	ds_read_b128 v[6:9], v1 offset:816
	;; [unrolled: 1-line block ×9, first 2 shown]
	ds_read_b64 v[10:11], v1 offset:944
	s_mov_b32 s4, exec_lo
	s_waitcnt vmcnt(39) lgkmcnt(9)
	v_mul_f32_e32 v199, v2, v12
	v_mul_f32_e32 v12, v3, v12
	s_waitcnt vmcnt(38)
	v_mul_f32_e32 v200, v4, v160
	v_mul_f32_e32 v160, v5, v160
	s_waitcnt vmcnt(37) lgkmcnt(8)
	v_mul_f32_e32 v201, v6, v161
	s_waitcnt vmcnt(36)
	v_mul_f32_e32 v202, v8, v162
	s_waitcnt vmcnt(35) lgkmcnt(7)
	v_mul_f32_e32 v203, v132, v163
	s_waitcnt vmcnt(34)
	;; [unrolled: 4-line block ×8, first 2 shown]
	v_fma_f32 v2, v2, v178, -v12
	v_fmac_f32_e32 v199, v3, v178
	v_mul_f32_e32 v3, v7, v161
	s_waitcnt vmcnt(19)
	v_fma_f32 v4, v4, v179, -v160
	v_fmac_f32_e32 v200, v5, v179
	v_add_f32_e32 v2, 0, v2
	v_add_f32_e32 v5, 0, v199
	v_mul_f32_e32 v12, v9, v162
	s_waitcnt vmcnt(18)
	v_fma_f32 v3, v6, v180, -v3
	v_fmac_f32_e32 v201, v7, v180
	v_add_f32_e32 v2, v2, v4
	v_add_f32_e32 v4, v5, v200
	;; [unrolled: 6-line block ×15, first 2 shown]
	v_mul_f32_e32 v4, v159, v176
	s_waitcnt vmcnt(4)
	v_fma_f32 v5, v156, v194, -v5
	v_mul_f32_e32 v216, v158, v176
	v_add_f32_e32 v2, v2, v6
	v_fmac_f32_e32 v215, v157, v194
	v_add_f32_e32 v3, v3, v214
	s_waitcnt lgkmcnt(0)
	v_mul_f32_e32 v6, v11, v177
	s_waitcnt vmcnt(3)
	v_fma_f32 v4, v158, v195, -v4
	v_add_f32_e32 v2, v2, v5
	v_mul_f32_e32 v217, v10, v177
	v_fmac_f32_e32 v216, v159, v195
	v_add_f32_e32 v3, v3, v215
	s_waitcnt vmcnt(2)
	v_fma_f32 v5, v10, v196, -v6
	v_add_f32_e32 v2, v2, v4
	v_fmac_f32_e32 v217, v11, v196
	v_add_f32_e32 v3, v3, v216
	v_add_f32_e32 v2, v2, v5
	;; [unrolled: 1-line block ×3, first 2 shown]
	s_waitcnt vmcnt(1)
	v_sub_f32_e32 v2, v197, v2
	s_waitcnt vmcnt(0)
	v_sub_f32_e32 v3, v198, v3
	buffer_store_dword v2, off, s[0:3], 0 offset:312
	buffer_store_dword v3, off, s[0:3], 0 offset:316
	v_cmpx_lt_u32_e32 38, v0
	s_cbranch_execz .LBB122_291
; %bb.290:
	s_clause 0x1
	buffer_load_dword v2, off, s[0:3], 0 offset:304
	buffer_load_dword v3, off, s[0:3], 0 offset:308
	buffer_store_dword v1, off, s[0:3], 0 offset:304
	buffer_store_dword v1, off, s[0:3], 0 offset:308
	s_waitcnt vmcnt(0)
	ds_write_b64 v131, v[2:3]
.LBB122_291:
	s_or_b32 exec_lo, exec_lo, s4
	s_waitcnt lgkmcnt(0)
	s_waitcnt_vscnt null, 0x0
	s_barrier
	buffer_gl0_inv
	s_clause 0x29
	buffer_load_dword v10, off, s[0:3], 0 offset:316
	buffer_load_dword v11, off, s[0:3], 0 offset:324
	;; [unrolled: 1-line block ×42, first 2 shown]
	ds_read2_b64 v[2:5], v1 offset0:99 offset1:100
	ds_read2_b64 v[6:9], v1 offset0:101 offset1:102
	;; [unrolled: 1-line block ×10, first 2 shown]
	s_mov_b32 s4, exec_lo
	s_waitcnt vmcnt(41) lgkmcnt(9)
	v_mul_f32_e32 v1, v2, v10
	v_mul_f32_e32 v10, v3, v10
	s_waitcnt vmcnt(40)
	v_mul_f32_e32 v203, v4, v11
	v_mul_f32_e32 v11, v5, v11
	s_waitcnt vmcnt(39) lgkmcnt(8)
	v_mul_f32_e32 v204, v6, v12
	s_waitcnt vmcnt(38)
	v_mul_f32_e32 v205, v8, v164
	s_waitcnt vmcnt(37) lgkmcnt(7)
	v_mul_f32_e32 v206, v132, v165
	s_waitcnt vmcnt(36)
	;; [unrolled: 4-line block ×8, first 2 shown]
	v_mul_f32_e32 v219, v158, v178
	s_waitcnt vmcnt(21)
	v_fma_f32 v2, v2, v181, -v10
	v_fmac_f32_e32 v1, v3, v181
	v_mul_f32_e32 v3, v7, v12
	s_waitcnt vmcnt(20)
	v_fma_f32 v4, v4, v182, -v11
	v_fmac_f32_e32 v203, v5, v182
	v_add_f32_e32 v2, 0, v2
	v_add_f32_e32 v1, 0, v1
	v_mul_f32_e32 v5, v9, v164
	s_waitcnt vmcnt(19)
	v_fma_f32 v3, v6, v183, -v3
	v_fmac_f32_e32 v204, v7, v183
	v_add_f32_e32 v2, v2, v4
	v_add_f32_e32 v1, v1, v203
	;; [unrolled: 6-line block ×16, first 2 shown]
	s_waitcnt lgkmcnt(0)
	v_mul_f32_e32 v5, v161, v179
	s_waitcnt vmcnt(4)
	v_fma_f32 v3, v158, v198, -v3
	v_mul_f32_e32 v220, v160, v179
	v_add_f32_e32 v2, v2, v4
	v_fmac_f32_e32 v219, v159, v198
	v_add_f32_e32 v1, v1, v218
	v_mul_f32_e32 v4, v163, v180
	s_waitcnt vmcnt(3)
	v_fma_f32 v5, v160, v199, -v5
	v_add_f32_e32 v2, v2, v3
	v_mul_f32_e32 v221, v162, v180
	v_fmac_f32_e32 v220, v161, v199
	v_add_f32_e32 v1, v1, v219
	s_waitcnt vmcnt(2)
	v_fma_f32 v3, v162, v200, -v4
	v_add_f32_e32 v2, v2, v5
	v_fmac_f32_e32 v221, v163, v200
	v_add_f32_e32 v1, v1, v220
	v_add_f32_e32 v2, v2, v3
	;; [unrolled: 1-line block ×3, first 2 shown]
	s_waitcnt vmcnt(1)
	v_sub_f32_e32 v2, v201, v2
	s_waitcnt vmcnt(0)
	v_sub_f32_e32 v1, v202, v1
	buffer_store_dword v2, off, s[0:3], 0 offset:304
	buffer_store_dword v1, off, s[0:3], 0 offset:308
	v_cmpx_lt_u32_e32 37, v0
	s_cbranch_execz .LBB122_293
; %bb.292:
	s_clause 0x1
	buffer_load_dword v1, off, s[0:3], 0 offset:296
	buffer_load_dword v2, off, s[0:3], 0 offset:300
	v_mov_b32_e32 v3, 0
	buffer_store_dword v3, off, s[0:3], 0 offset:296
	buffer_store_dword v3, off, s[0:3], 0 offset:300
	s_waitcnt vmcnt(0)
	ds_write_b64 v131, v[1:2]
.LBB122_293:
	s_or_b32 exec_lo, exec_lo, s4
	s_waitcnt lgkmcnt(0)
	s_waitcnt_vscnt null, 0x0
	s_barrier
	buffer_gl0_inv
	s_clause 0x2b
	buffer_load_dword v12, off, s[0:3], 0 offset:308
	buffer_load_dword v164, off, s[0:3], 0 offset:316
	;; [unrolled: 1-line block ×44, first 2 shown]
	v_mov_b32_e32 v1, 0
	ds_read_b128 v[2:5], v1 offset:784
	ds_read_b128 v[6:9], v1 offset:800
	;; [unrolled: 1-line block ×10, first 2 shown]
	ds_read_b64 v[10:11], v1 offset:944
	s_mov_b32 s4, exec_lo
	s_waitcnt vmcnt(43) lgkmcnt(10)
	v_mul_f32_e32 v207, v2, v12
	v_mul_f32_e32 v12, v3, v12
	s_waitcnt vmcnt(42)
	v_mul_f32_e32 v208, v4, v164
	v_mul_f32_e32 v164, v5, v164
	s_waitcnt vmcnt(41) lgkmcnt(9)
	v_mul_f32_e32 v209, v6, v165
	s_waitcnt vmcnt(40)
	v_mul_f32_e32 v210, v8, v166
	s_waitcnt vmcnt(39) lgkmcnt(8)
	v_mul_f32_e32 v211, v132, v167
	s_waitcnt vmcnt(38)
	;; [unrolled: 4-line block ×9, first 2 shown]
	v_fma_f32 v2, v2, v184, -v12
	v_fmac_f32_e32 v207, v3, v184
	v_mul_f32_e32 v3, v7, v165
	s_waitcnt vmcnt(21)
	v_fma_f32 v4, v4, v185, -v164
	v_fmac_f32_e32 v208, v5, v185
	v_add_f32_e32 v2, 0, v2
	v_add_f32_e32 v5, 0, v207
	v_mul_f32_e32 v12, v9, v166
	s_waitcnt vmcnt(20)
	v_fma_f32 v3, v6, v186, -v3
	v_fmac_f32_e32 v209, v7, v186
	v_add_f32_e32 v2, v2, v4
	v_add_f32_e32 v4, v5, v208
	;; [unrolled: 6-line block ×17, first 2 shown]
	v_mul_f32_e32 v5, v163, v182
	s_waitcnt vmcnt(4)
	v_fma_f32 v6, v160, v202, -v6
	v_mul_f32_e32 v226, v162, v182
	v_add_f32_e32 v2, v2, v4
	v_fmac_f32_e32 v225, v161, v202
	v_add_f32_e32 v3, v3, v224
	s_waitcnt lgkmcnt(0)
	v_mul_f32_e32 v4, v11, v183
	s_waitcnt vmcnt(3)
	v_fma_f32 v5, v162, v203, -v5
	v_add_f32_e32 v2, v2, v6
	v_mul_f32_e32 v227, v10, v183
	v_fmac_f32_e32 v226, v163, v203
	v_add_f32_e32 v3, v3, v225
	s_waitcnt vmcnt(2)
	v_fma_f32 v4, v10, v204, -v4
	v_add_f32_e32 v2, v2, v5
	v_fmac_f32_e32 v227, v11, v204
	v_add_f32_e32 v3, v3, v226
	v_add_f32_e32 v2, v2, v4
	;; [unrolled: 1-line block ×3, first 2 shown]
	s_waitcnt vmcnt(1)
	v_sub_f32_e32 v2, v205, v2
	s_waitcnt vmcnt(0)
	v_sub_f32_e32 v3, v206, v3
	buffer_store_dword v2, off, s[0:3], 0 offset:296
	buffer_store_dword v3, off, s[0:3], 0 offset:300
	v_cmpx_lt_u32_e32 36, v0
	s_cbranch_execz .LBB122_295
; %bb.294:
	s_clause 0x1
	buffer_load_dword v2, off, s[0:3], 0 offset:288
	buffer_load_dword v3, off, s[0:3], 0 offset:292
	buffer_store_dword v1, off, s[0:3], 0 offset:288
	buffer_store_dword v1, off, s[0:3], 0 offset:292
	s_waitcnt vmcnt(0)
	ds_write_b64 v131, v[2:3]
.LBB122_295:
	s_or_b32 exec_lo, exec_lo, s4
	s_waitcnt lgkmcnt(0)
	s_waitcnt_vscnt null, 0x0
	s_barrier
	buffer_gl0_inv
	s_clause 0x2d
	buffer_load_dword v10, off, s[0:3], 0 offset:300
	buffer_load_dword v11, off, s[0:3], 0 offset:308
	;; [unrolled: 1-line block ×46, first 2 shown]
	ds_read2_b64 v[2:5], v1 offset0:97 offset1:98
	ds_read2_b64 v[6:9], v1 offset0:99 offset1:100
	;; [unrolled: 1-line block ×11, first 2 shown]
	s_mov_b32 s4, exec_lo
	s_waitcnt vmcnt(45) lgkmcnt(10)
	v_mul_f32_e32 v1, v2, v10
	v_mul_f32_e32 v10, v3, v10
	s_waitcnt vmcnt(44)
	v_mul_f32_e32 v211, v4, v11
	v_mul_f32_e32 v11, v5, v11
	s_waitcnt vmcnt(43) lgkmcnt(9)
	v_mul_f32_e32 v212, v6, v12
	s_waitcnt vmcnt(42)
	v_mul_f32_e32 v213, v8, v168
	s_waitcnt vmcnt(41) lgkmcnt(8)
	v_mul_f32_e32 v214, v132, v169
	s_waitcnt vmcnt(40)
	;; [unrolled: 4-line block ×9, first 2 shown]
	v_mul_f32_e32 v229, v162, v184
	s_waitcnt vmcnt(23)
	v_fma_f32 v2, v2, v187, -v10
	v_fmac_f32_e32 v1, v3, v187
	v_mul_f32_e32 v3, v7, v12
	s_waitcnt vmcnt(22)
	v_fma_f32 v4, v4, v188, -v11
	v_fmac_f32_e32 v211, v5, v188
	v_add_f32_e32 v2, 0, v2
	v_add_f32_e32 v1, 0, v1
	v_mul_f32_e32 v5, v9, v168
	s_waitcnt vmcnt(21)
	v_fma_f32 v3, v6, v189, -v3
	v_fmac_f32_e32 v212, v7, v189
	v_add_f32_e32 v2, v2, v4
	v_add_f32_e32 v1, v1, v211
	;; [unrolled: 6-line block ×18, first 2 shown]
	s_waitcnt lgkmcnt(0)
	v_mul_f32_e32 v3, v165, v185
	s_waitcnt vmcnt(4)
	v_fma_f32 v4, v162, v206, -v4
	v_mul_f32_e32 v230, v164, v185
	v_add_f32_e32 v2, v2, v5
	v_fmac_f32_e32 v229, v163, v206
	v_add_f32_e32 v1, v1, v228
	v_mul_f32_e32 v5, v167, v186
	s_waitcnt vmcnt(3)
	v_fma_f32 v3, v164, v207, -v3
	v_add_f32_e32 v2, v2, v4
	v_mul_f32_e32 v231, v166, v186
	v_fmac_f32_e32 v230, v165, v207
	v_add_f32_e32 v1, v1, v229
	s_waitcnt vmcnt(2)
	v_fma_f32 v4, v166, v208, -v5
	v_add_f32_e32 v2, v2, v3
	v_fmac_f32_e32 v231, v167, v208
	v_add_f32_e32 v1, v1, v230
	v_add_f32_e32 v2, v2, v4
	;; [unrolled: 1-line block ×3, first 2 shown]
	s_waitcnt vmcnt(1)
	v_sub_f32_e32 v2, v209, v2
	s_waitcnt vmcnt(0)
	v_sub_f32_e32 v1, v210, v1
	buffer_store_dword v2, off, s[0:3], 0 offset:288
	buffer_store_dword v1, off, s[0:3], 0 offset:292
	v_cmpx_lt_u32_e32 35, v0
	s_cbranch_execz .LBB122_297
; %bb.296:
	s_clause 0x1
	buffer_load_dword v1, off, s[0:3], 0 offset:280
	buffer_load_dword v2, off, s[0:3], 0 offset:284
	v_mov_b32_e32 v3, 0
	buffer_store_dword v3, off, s[0:3], 0 offset:280
	buffer_store_dword v3, off, s[0:3], 0 offset:284
	s_waitcnt vmcnt(0)
	ds_write_b64 v131, v[1:2]
.LBB122_297:
	s_or_b32 exec_lo, exec_lo, s4
	s_waitcnt lgkmcnt(0)
	s_waitcnt_vscnt null, 0x0
	s_barrier
	buffer_gl0_inv
	s_clause 0x2f
	buffer_load_dword v12, off, s[0:3], 0 offset:292
	buffer_load_dword v168, off, s[0:3], 0 offset:300
	;; [unrolled: 1-line block ×48, first 2 shown]
	v_mov_b32_e32 v1, 0
	ds_read_b128 v[2:5], v1 offset:768
	ds_read_b128 v[6:9], v1 offset:784
	;; [unrolled: 1-line block ×11, first 2 shown]
	ds_read_b64 v[10:11], v1 offset:944
	s_mov_b32 s4, exec_lo
	s_waitcnt vmcnt(47) lgkmcnt(11)
	v_mul_f32_e32 v215, v2, v12
	v_mul_f32_e32 v12, v3, v12
	s_waitcnt vmcnt(46)
	v_mul_f32_e32 v216, v4, v168
	v_mul_f32_e32 v168, v5, v168
	s_waitcnt vmcnt(45) lgkmcnt(10)
	v_mul_f32_e32 v217, v6, v169
	s_waitcnt vmcnt(44)
	v_mul_f32_e32 v218, v8, v170
	s_waitcnt vmcnt(43) lgkmcnt(9)
	v_mul_f32_e32 v219, v132, v171
	s_waitcnt vmcnt(42)
	;; [unrolled: 4-line block ×10, first 2 shown]
	v_fma_f32 v2, v2, v190, -v12
	v_fmac_f32_e32 v215, v3, v190
	v_mul_f32_e32 v3, v7, v169
	s_waitcnt vmcnt(23)
	v_fma_f32 v4, v4, v191, -v168
	v_fmac_f32_e32 v216, v5, v191
	v_add_f32_e32 v2, 0, v2
	v_add_f32_e32 v5, 0, v215
	v_mul_f32_e32 v12, v9, v170
	s_waitcnt vmcnt(22)
	v_fma_f32 v3, v6, v192, -v3
	v_fmac_f32_e32 v217, v7, v192
	v_add_f32_e32 v2, v2, v4
	v_add_f32_e32 v4, v5, v216
	;; [unrolled: 6-line block ×19, first 2 shown]
	v_mul_f32_e32 v6, v167, v188
	s_waitcnt vmcnt(4)
	v_fma_f32 v4, v164, v210, -v4
	v_mul_f32_e32 v236, v166, v188
	v_add_f32_e32 v2, v2, v5
	v_fmac_f32_e32 v235, v165, v210
	v_add_f32_e32 v3, v3, v234
	s_waitcnt lgkmcnt(0)
	v_mul_f32_e32 v5, v11, v189
	s_waitcnt vmcnt(3)
	v_fma_f32 v6, v166, v211, -v6
	v_add_f32_e32 v2, v2, v4
	v_mul_f32_e32 v237, v10, v189
	v_fmac_f32_e32 v236, v167, v211
	v_add_f32_e32 v3, v3, v235
	s_waitcnt vmcnt(2)
	v_fma_f32 v4, v10, v212, -v5
	v_add_f32_e32 v2, v2, v6
	v_fmac_f32_e32 v237, v11, v212
	v_add_f32_e32 v3, v3, v236
	v_add_f32_e32 v2, v2, v4
	;; [unrolled: 1-line block ×3, first 2 shown]
	s_waitcnt vmcnt(1)
	v_sub_f32_e32 v2, v213, v2
	s_waitcnt vmcnt(0)
	v_sub_f32_e32 v3, v214, v3
	buffer_store_dword v2, off, s[0:3], 0 offset:280
	buffer_store_dword v3, off, s[0:3], 0 offset:284
	v_cmpx_lt_u32_e32 34, v0
	s_cbranch_execz .LBB122_299
; %bb.298:
	s_clause 0x1
	buffer_load_dword v2, off, s[0:3], 0 offset:272
	buffer_load_dword v3, off, s[0:3], 0 offset:276
	buffer_store_dword v1, off, s[0:3], 0 offset:272
	buffer_store_dword v1, off, s[0:3], 0 offset:276
	s_waitcnt vmcnt(0)
	ds_write_b64 v131, v[2:3]
.LBB122_299:
	s_or_b32 exec_lo, exec_lo, s4
	s_waitcnt lgkmcnt(0)
	s_waitcnt_vscnt null, 0x0
	s_barrier
	buffer_gl0_inv
	s_clause 0x31
	buffer_load_dword v10, off, s[0:3], 0 offset:284
	buffer_load_dword v11, off, s[0:3], 0 offset:292
	;; [unrolled: 1-line block ×50, first 2 shown]
	ds_read2_b64 v[2:5], v1 offset0:95 offset1:96
	ds_read2_b64 v[6:9], v1 offset0:97 offset1:98
	;; [unrolled: 1-line block ×12, first 2 shown]
	s_mov_b32 s4, exec_lo
	s_waitcnt vmcnt(49) lgkmcnt(11)
	v_mul_f32_e32 v1, v2, v10
	v_mul_f32_e32 v10, v3, v10
	s_waitcnt vmcnt(48)
	v_mul_f32_e32 v219, v4, v11
	v_mul_f32_e32 v11, v5, v11
	s_waitcnt vmcnt(47) lgkmcnt(10)
	v_mul_f32_e32 v220, v6, v12
	s_waitcnt vmcnt(46)
	v_mul_f32_e32 v221, v8, v172
	s_waitcnt vmcnt(45) lgkmcnt(9)
	v_mul_f32_e32 v222, v132, v173
	s_waitcnt vmcnt(44)
	;; [unrolled: 4-line block ×10, first 2 shown]
	v_mul_f32_e32 v239, v166, v190
	s_waitcnt vmcnt(25)
	v_fma_f32 v2, v2, v193, -v10
	v_fmac_f32_e32 v1, v3, v193
	v_mul_f32_e32 v3, v7, v12
	s_waitcnt vmcnt(24)
	v_fma_f32 v4, v4, v194, -v11
	v_fmac_f32_e32 v219, v5, v194
	v_add_f32_e32 v2, 0, v2
	v_add_f32_e32 v1, 0, v1
	v_mul_f32_e32 v5, v9, v172
	s_waitcnt vmcnt(23)
	v_fma_f32 v3, v6, v195, -v3
	v_fmac_f32_e32 v220, v7, v195
	v_add_f32_e32 v2, v2, v4
	v_add_f32_e32 v1, v1, v219
	v_mul_f32_e32 v4, v133, v173
	s_waitcnt vmcnt(22)
	v_fma_f32 v5, v8, v196, -v5
	v_fmac_f32_e32 v221, v9, v196
	v_add_f32_e32 v2, v2, v3
	v_add_f32_e32 v1, v1, v220
	v_mul_f32_e32 v3, v135, v174
	s_waitcnt vmcnt(21)
	v_fma_f32 v4, v132, v197, -v4
	v_fmac_f32_e32 v222, v133, v197
	v_add_f32_e32 v2, v2, v5
	v_add_f32_e32 v1, v1, v221
	v_mul_f32_e32 v5, v137, v175
	s_waitcnt vmcnt(20)
	v_fma_f32 v3, v134, v198, -v3
	v_fmac_f32_e32 v223, v135, v198
	v_add_f32_e32 v2, v2, v4
	v_add_f32_e32 v1, v1, v222
	v_mul_f32_e32 v4, v139, v176
	s_waitcnt vmcnt(19)
	v_fma_f32 v5, v136, v199, -v5
	v_fmac_f32_e32 v224, v137, v199
	v_add_f32_e32 v2, v2, v3
	v_add_f32_e32 v1, v1, v223
	v_mul_f32_e32 v3, v141, v177
	s_waitcnt vmcnt(18)
	v_fma_f32 v4, v138, v200, -v4
	v_fmac_f32_e32 v225, v139, v200
	v_add_f32_e32 v2, v2, v5
	v_add_f32_e32 v1, v1, v224
	v_mul_f32_e32 v5, v143, v178
	s_waitcnt vmcnt(17)
	v_fma_f32 v3, v140, v201, -v3
	v_fmac_f32_e32 v226, v141, v201
	v_add_f32_e32 v2, v2, v4
	v_add_f32_e32 v1, v1, v225
	v_mul_f32_e32 v4, v145, v179
	s_waitcnt vmcnt(16)
	v_fma_f32 v5, v142, v202, -v5
	v_fmac_f32_e32 v227, v143, v202
	v_add_f32_e32 v2, v2, v3
	v_add_f32_e32 v1, v1, v226
	v_mul_f32_e32 v3, v147, v180
	s_waitcnt vmcnt(15)
	v_fma_f32 v4, v144, v203, -v4
	v_fmac_f32_e32 v228, v145, v203
	v_add_f32_e32 v2, v2, v5
	v_add_f32_e32 v1, v1, v227
	v_mul_f32_e32 v5, v149, v181
	s_waitcnt vmcnt(14)
	v_fma_f32 v3, v146, v204, -v3
	v_fmac_f32_e32 v229, v147, v204
	v_add_f32_e32 v2, v2, v4
	v_add_f32_e32 v1, v1, v228
	v_mul_f32_e32 v4, v151, v182
	s_waitcnt vmcnt(13)
	v_fma_f32 v5, v148, v205, -v5
	v_fmac_f32_e32 v230, v149, v205
	v_add_f32_e32 v2, v2, v3
	v_add_f32_e32 v1, v1, v229
	v_mul_f32_e32 v3, v153, v183
	s_waitcnt vmcnt(12)
	v_fma_f32 v4, v150, v206, -v4
	v_fmac_f32_e32 v231, v151, v206
	v_add_f32_e32 v2, v2, v5
	v_add_f32_e32 v1, v1, v230
	v_mul_f32_e32 v5, v155, v184
	s_waitcnt vmcnt(11)
	v_fma_f32 v3, v152, v207, -v3
	v_fmac_f32_e32 v232, v153, v207
	v_add_f32_e32 v2, v2, v4
	v_add_f32_e32 v1, v1, v231
	v_mul_f32_e32 v4, v157, v185
	s_waitcnt vmcnt(10)
	v_fma_f32 v5, v154, v208, -v5
	v_fmac_f32_e32 v233, v155, v208
	v_add_f32_e32 v2, v2, v3
	v_add_f32_e32 v1, v1, v232
	v_mul_f32_e32 v3, v159, v186
	s_waitcnt vmcnt(9)
	v_fma_f32 v4, v156, v209, -v4
	v_fmac_f32_e32 v234, v157, v209
	v_add_f32_e32 v2, v2, v5
	v_add_f32_e32 v1, v1, v233
	v_mul_f32_e32 v5, v161, v187
	s_waitcnt vmcnt(8)
	v_fma_f32 v3, v158, v210, -v3
	v_fmac_f32_e32 v235, v159, v210
	v_add_f32_e32 v2, v2, v4
	v_add_f32_e32 v1, v1, v234
	v_mul_f32_e32 v4, v163, v188
	s_waitcnt vmcnt(7)
	v_fma_f32 v5, v160, v211, -v5
	v_fmac_f32_e32 v236, v161, v211
	v_add_f32_e32 v2, v2, v3
	v_add_f32_e32 v1, v1, v235
	v_mul_f32_e32 v3, v165, v189
	s_waitcnt vmcnt(6)
	v_fma_f32 v4, v162, v212, -v4
	v_fmac_f32_e32 v237, v163, v212
	v_add_f32_e32 v2, v2, v5
	v_add_f32_e32 v1, v1, v236
	v_mul_f32_e32 v5, v167, v190
	s_waitcnt vmcnt(5)
	v_fma_f32 v3, v164, v213, -v3
	v_fmac_f32_e32 v238, v165, v213
	v_add_f32_e32 v2, v2, v4
	v_add_f32_e32 v1, v1, v237
	s_waitcnt lgkmcnt(0)
	v_mul_f32_e32 v4, v169, v191
	s_waitcnt vmcnt(4)
	v_fma_f32 v5, v166, v214, -v5
	v_mul_f32_e32 v240, v168, v191
	v_add_f32_e32 v2, v2, v3
	v_fmac_f32_e32 v239, v167, v214
	v_add_f32_e32 v1, v1, v238
	v_mul_f32_e32 v3, v171, v192
	s_waitcnt vmcnt(3)
	v_fma_f32 v4, v168, v215, -v4
	v_add_f32_e32 v2, v2, v5
	v_mul_f32_e32 v241, v170, v192
	v_fmac_f32_e32 v240, v169, v215
	v_add_f32_e32 v1, v1, v239
	s_waitcnt vmcnt(2)
	v_fma_f32 v3, v170, v216, -v3
	v_add_f32_e32 v2, v2, v4
	v_fmac_f32_e32 v241, v171, v216
	v_add_f32_e32 v1, v1, v240
	v_add_f32_e32 v2, v2, v3
	v_add_f32_e32 v1, v1, v241
	s_waitcnt vmcnt(1)
	v_sub_f32_e32 v2, v217, v2
	s_waitcnt vmcnt(0)
	v_sub_f32_e32 v1, v218, v1
	buffer_store_dword v2, off, s[0:3], 0 offset:272
	buffer_store_dword v1, off, s[0:3], 0 offset:276
	v_cmpx_lt_u32_e32 33, v0
	s_cbranch_execz .LBB122_301
; %bb.300:
	s_clause 0x1
	buffer_load_dword v1, off, s[0:3], 0 offset:264
	buffer_load_dword v2, off, s[0:3], 0 offset:268
	v_mov_b32_e32 v3, 0
	buffer_store_dword v3, off, s[0:3], 0 offset:264
	buffer_store_dword v3, off, s[0:3], 0 offset:268
	s_waitcnt vmcnt(0)
	ds_write_b64 v131, v[1:2]
.LBB122_301:
	s_or_b32 exec_lo, exec_lo, s4
	s_waitcnt lgkmcnt(0)
	s_waitcnt_vscnt null, 0x0
	s_barrier
	buffer_gl0_inv
	s_clause 0x33
	buffer_load_dword v12, off, s[0:3], 0 offset:276
	buffer_load_dword v172, off, s[0:3], 0 offset:284
	;; [unrolled: 1-line block ×52, first 2 shown]
	v_mov_b32_e32 v1, 0
	ds_read_b128 v[2:5], v1 offset:752
	ds_read_b128 v[6:9], v1 offset:768
	;; [unrolled: 1-line block ×12, first 2 shown]
	ds_read_b64 v[10:11], v1 offset:944
	s_mov_b32 s4, exec_lo
	s_waitcnt vmcnt(51) lgkmcnt(12)
	v_mul_f32_e32 v223, v2, v12
	v_mul_f32_e32 v12, v3, v12
	s_waitcnt vmcnt(50)
	v_mul_f32_e32 v224, v4, v172
	v_mul_f32_e32 v172, v5, v172
	s_waitcnt vmcnt(49) lgkmcnt(11)
	v_mul_f32_e32 v225, v6, v173
	s_waitcnt vmcnt(48)
	v_mul_f32_e32 v226, v8, v174
	s_waitcnt vmcnt(47) lgkmcnt(10)
	v_mul_f32_e32 v227, v132, v175
	s_waitcnt vmcnt(46)
	;; [unrolled: 4-line block ×11, first 2 shown]
	v_fma_f32 v2, v2, v196, -v12
	v_fmac_f32_e32 v223, v3, v196
	v_mul_f32_e32 v3, v7, v173
	s_waitcnt vmcnt(25)
	v_fma_f32 v4, v4, v197, -v172
	v_fmac_f32_e32 v224, v5, v197
	v_add_f32_e32 v2, 0, v2
	v_add_f32_e32 v5, 0, v223
	v_mul_f32_e32 v12, v9, v174
	s_waitcnt vmcnt(24)
	v_fma_f32 v3, v6, v198, -v3
	v_fmac_f32_e32 v225, v7, v198
	v_add_f32_e32 v2, v2, v4
	v_add_f32_e32 v4, v5, v224
	;; [unrolled: 6-line block ×21, first 2 shown]
	v_mul_f32_e32 v4, v171, v194
	s_waitcnt vmcnt(4)
	v_fma_f32 v5, v168, v218, -v5
	v_mul_f32_e32 v246, v170, v194
	v_add_f32_e32 v2, v2, v6
	v_fmac_f32_e32 v245, v169, v218
	v_add_f32_e32 v3, v3, v244
	s_waitcnt lgkmcnt(0)
	v_mul_f32_e32 v6, v11, v195
	s_waitcnt vmcnt(3)
	v_fma_f32 v4, v170, v219, -v4
	v_add_f32_e32 v2, v2, v5
	v_mul_f32_e32 v247, v10, v195
	v_fmac_f32_e32 v246, v171, v219
	v_add_f32_e32 v3, v3, v245
	s_waitcnt vmcnt(2)
	v_fma_f32 v5, v10, v220, -v6
	v_add_f32_e32 v2, v2, v4
	v_fmac_f32_e32 v247, v11, v220
	v_add_f32_e32 v3, v3, v246
	v_add_f32_e32 v2, v2, v5
	v_add_f32_e32 v3, v3, v247
	s_waitcnt vmcnt(1)
	v_sub_f32_e32 v2, v221, v2
	s_waitcnt vmcnt(0)
	v_sub_f32_e32 v3, v222, v3
	buffer_store_dword v2, off, s[0:3], 0 offset:264
	buffer_store_dword v3, off, s[0:3], 0 offset:268
	v_cmpx_lt_u32_e32 32, v0
	s_cbranch_execz .LBB122_303
; %bb.302:
	s_clause 0x1
	buffer_load_dword v2, off, s[0:3], 0 offset:256
	buffer_load_dword v3, off, s[0:3], 0 offset:260
	buffer_store_dword v1, off, s[0:3], 0 offset:256
	buffer_store_dword v1, off, s[0:3], 0 offset:260
	s_waitcnt vmcnt(0)
	ds_write_b64 v131, v[2:3]
.LBB122_303:
	s_or_b32 exec_lo, exec_lo, s4
	s_waitcnt lgkmcnt(0)
	s_waitcnt_vscnt null, 0x0
	s_barrier
	buffer_gl0_inv
	s_clause 0x35
	buffer_load_dword v10, off, s[0:3], 0 offset:268
	buffer_load_dword v11, off, s[0:3], 0 offset:276
	;; [unrolled: 1-line block ×54, first 2 shown]
	ds_read2_b64 v[2:5], v1 offset0:93 offset1:94
	ds_read2_b64 v[6:9], v1 offset0:95 offset1:96
	ds_read2_b64 v[132:135], v1 offset0:97 offset1:98
	ds_read2_b64 v[136:139], v1 offset0:99 offset1:100
	ds_read2_b64 v[140:143], v1 offset0:101 offset1:102
	ds_read2_b64 v[144:147], v1 offset0:103 offset1:104
	ds_read2_b64 v[148:151], v1 offset0:105 offset1:106
	ds_read2_b64 v[152:155], v1 offset0:107 offset1:108
	ds_read2_b64 v[156:159], v1 offset0:109 offset1:110
	ds_read2_b64 v[160:163], v1 offset0:111 offset1:112
	ds_read2_b64 v[164:167], v1 offset0:113 offset1:114
	ds_read2_b64 v[168:171], v1 offset0:115 offset1:116
	ds_read2_b64 v[172:175], v1 offset0:117 offset1:118
	s_mov_b32 s4, exec_lo
	s_waitcnt vmcnt(53) lgkmcnt(12)
	v_mul_f32_e32 v1, v2, v10
	v_mul_f32_e32 v10, v3, v10
	s_waitcnt vmcnt(52)
	v_mul_f32_e32 v227, v4, v11
	v_mul_f32_e32 v11, v5, v11
	s_waitcnt vmcnt(51) lgkmcnt(11)
	v_mul_f32_e32 v228, v6, v12
	s_waitcnt vmcnt(50)
	v_mul_f32_e32 v229, v8, v176
	s_waitcnt vmcnt(49) lgkmcnt(10)
	v_mul_f32_e32 v230, v132, v177
	s_waitcnt vmcnt(48)
	v_mul_f32_e32 v231, v134, v178
	s_waitcnt vmcnt(47) lgkmcnt(9)
	v_mul_f32_e32 v232, v136, v179
	s_waitcnt vmcnt(46)
	v_mul_f32_e32 v233, v138, v180
	s_waitcnt vmcnt(45) lgkmcnt(8)
	v_mul_f32_e32 v234, v140, v181
	s_waitcnt vmcnt(44)
	v_mul_f32_e32 v235, v142, v182
	s_waitcnt vmcnt(43) lgkmcnt(7)
	v_mul_f32_e32 v236, v144, v183
	s_waitcnt vmcnt(42)
	v_mul_f32_e32 v237, v146, v184
	s_waitcnt vmcnt(41) lgkmcnt(6)
	v_mul_f32_e32 v238, v148, v185
	s_waitcnt vmcnt(40)
	v_mul_f32_e32 v239, v150, v186
	s_waitcnt vmcnt(39) lgkmcnt(5)
	v_mul_f32_e32 v240, v152, v187
	s_waitcnt vmcnt(38)
	v_mul_f32_e32 v241, v154, v188
	s_waitcnt vmcnt(37) lgkmcnt(4)
	v_mul_f32_e32 v242, v156, v189
	s_waitcnt vmcnt(36)
	v_mul_f32_e32 v243, v158, v190
	s_waitcnt vmcnt(35) lgkmcnt(3)
	v_mul_f32_e32 v244, v160, v191
	s_waitcnt vmcnt(34)
	v_mul_f32_e32 v245, v162, v192
	s_waitcnt vmcnt(33) lgkmcnt(2)
	v_mul_f32_e32 v246, v164, v193
	s_waitcnt vmcnt(32)
	v_mul_f32_e32 v247, v166, v194
	s_waitcnt vmcnt(31) lgkmcnt(1)
	v_mul_f32_e32 v248, v168, v195
	s_waitcnt vmcnt(30)
	v_mul_f32_e32 v249, v170, v196
	s_waitcnt vmcnt(27)
	v_fma_f32 v2, v2, v199, -v10
	v_fmac_f32_e32 v1, v3, v199
	v_mul_f32_e32 v3, v7, v12
	s_waitcnt vmcnt(26)
	v_fma_f32 v4, v4, v200, -v11
	v_fmac_f32_e32 v227, v5, v200
	v_add_f32_e32 v2, 0, v2
	v_add_f32_e32 v1, 0, v1
	v_mul_f32_e32 v5, v9, v176
	s_waitcnt vmcnt(25)
	v_fma_f32 v3, v6, v201, -v3
	v_fmac_f32_e32 v228, v7, v201
	v_add_f32_e32 v2, v2, v4
	v_add_f32_e32 v1, v1, v227
	;; [unrolled: 6-line block ×22, first 2 shown]
	s_waitcnt lgkmcnt(0)
	v_mul_f32_e32 v5, v173, v197
	s_waitcnt vmcnt(4)
	v_fma_f32 v3, v170, v222, -v3
	v_mul_f32_e32 v250, v172, v197
	v_add_f32_e32 v2, v2, v4
	v_fmac_f32_e32 v249, v171, v222
	v_add_f32_e32 v1, v1, v248
	v_mul_f32_e32 v4, v175, v198
	s_waitcnt vmcnt(3)
	v_fma_f32 v5, v172, v223, -v5
	v_add_f32_e32 v2, v2, v3
	v_mul_f32_e32 v251, v174, v198
	v_fmac_f32_e32 v250, v173, v223
	v_add_f32_e32 v1, v1, v249
	s_waitcnt vmcnt(2)
	v_fma_f32 v3, v174, v224, -v4
	v_add_f32_e32 v2, v2, v5
	v_fmac_f32_e32 v251, v175, v224
	v_add_f32_e32 v1, v1, v250
	v_add_f32_e32 v2, v2, v3
	;; [unrolled: 1-line block ×3, first 2 shown]
	s_waitcnt vmcnt(1)
	v_sub_f32_e32 v2, v225, v2
	s_waitcnt vmcnt(0)
	v_sub_f32_e32 v1, v226, v1
	buffer_store_dword v2, off, s[0:3], 0 offset:256
	buffer_store_dword v1, off, s[0:3], 0 offset:260
	v_cmpx_lt_u32_e32 31, v0
	s_cbranch_execz .LBB122_305
; %bb.304:
	s_clause 0x1
	buffer_load_dword v1, off, s[0:3], 0 offset:248
	buffer_load_dword v2, off, s[0:3], 0 offset:252
	v_mov_b32_e32 v3, 0
	buffer_store_dword v3, off, s[0:3], 0 offset:248
	buffer_store_dword v3, off, s[0:3], 0 offset:252
	s_waitcnt vmcnt(0)
	ds_write_b64 v131, v[1:2]
.LBB122_305:
	s_or_b32 exec_lo, exec_lo, s4
	s_waitcnt lgkmcnt(0)
	s_waitcnt_vscnt null, 0x0
	s_barrier
	buffer_gl0_inv
	s_clause 0x37
	buffer_load_dword v145, off, s[0:3], 0 offset:260
	buffer_load_dword v149, off, s[0:3], 0 offset:268
	;; [unrolled: 1-line block ×56, first 2 shown]
	v_mov_b32_e32 v1, 0
	ds_read_b128 v[133:136], v1 offset:736
	ds_read_b128 v[137:140], v1 offset:752
	;; [unrolled: 1-line block ×3, first 2 shown]
	s_mov_b32 s4, exec_lo
	s_waitcnt vmcnt(55) lgkmcnt(2)
	v_mul_f32_e32 v192, v133, v145
	v_mul_f32_e32 v193, v134, v145
	ds_read_b128 v[145:148], v1 offset:784
	s_waitcnt vmcnt(54)
	v_mul_f32_e32 v194, v135, v149
	v_mul_f32_e32 v149, v136, v149
	s_waitcnt vmcnt(51)
	v_fmac_f32_e32 v192, v134, v152
	v_fma_f32 v152, v133, v152, -v193
	s_waitcnt vmcnt(50) lgkmcnt(2)
	v_mul_f32_e32 v193, v137, v153
	v_fmac_f32_e32 v194, v136, v151
	v_fma_f32 v149, v135, v151, -v149
	s_waitcnt vmcnt(49)
	v_mul_f32_e32 v195, v139, v154
	v_mul_f32_e32 v151, v138, v153
	;; [unrolled: 1-line block ×3, first 2 shown]
	ds_read_b128 v[133:136], v1 offset:800
	v_fmac_f32_e32 v193, v138, v150
	s_waitcnt vmcnt(45)
	v_fmac_f32_e32 v195, v140, v158
	v_fma_f32 v150, v137, v150, -v151
	v_fma_f32 v153, v139, v158, -v153
	s_waitcnt vmcnt(44) lgkmcnt(2)
	v_mul_f32_e32 v158, v141, v159
	v_mul_f32_e32 v151, v142, v159
	ds_read_b128 v[137:140], v1 offset:816
	s_waitcnt vmcnt(43)
	v_mul_f32_e32 v159, v143, v160
	v_mul_f32_e32 v154, v144, v160
	v_add_f32_e32 v160, 0, v192
	v_fmac_f32_e32 v158, v142, v157
	v_fma_f32 v157, v141, v157, -v151
	v_add_f32_e32 v141, 0, v152
	s_waitcnt vmcnt(42) lgkmcnt(2)
	v_mul_f32_e32 v192, v145, v161
	v_add_f32_e32 v142, v160, v194
	v_mul_f32_e32 v151, v146, v161
	s_waitcnt vmcnt(41)
	v_mul_f32_e32 v194, v147, v162
	v_add_f32_e32 v141, v141, v149
	v_mul_f32_e32 v160, v148, v162
	s_waitcnt vmcnt(40) lgkmcnt(1)
	v_mul_f32_e32 v196, v133, v163
	v_fma_f32 v161, v143, v156, -v154
	v_fmac_f32_e32 v192, v146, v155
	v_fma_f32 v162, v145, v155, -v151
	v_add_f32_e32 v145, v142, v193
	v_add_f32_e32 v146, v141, v150
	v_mul_f32_e32 v154, v134, v163
	s_waitcnt vmcnt(37)
	v_fmac_f32_e32 v196, v134, v166
	s_waitcnt vmcnt(36)
	v_fmac_f32_e32 v194, v148, v167
	v_add_f32_e32 v134, v145, v195
	v_fma_f32 v163, v147, v167, -v160
	v_fma_f32 v166, v133, v166, -v154
	v_add_f32_e32 v133, v146, v153
	s_waitcnt vmcnt(35)
	v_mul_f32_e32 v167, v135, v168
	v_add_f32_e32 v134, v134, v158
	v_mul_f32_e32 v158, v136, v168
	s_waitcnt vmcnt(34) lgkmcnt(0)
	v_mul_f32_e32 v168, v137, v169
	v_add_f32_e32 v133, v133, v157
	v_mul_f32_e32 v157, v138, v169
	v_fmac_f32_e32 v159, v144, v156
	s_waitcnt vmcnt(33)
	v_mul_f32_e32 v193, v139, v170
	v_mul_f32_e32 v169, v140, v170
	v_fmac_f32_e32 v168, v138, v164
	v_fma_f32 v164, v137, v164, -v157
	v_add_f32_e32 v137, v133, v161
	v_add_f32_e32 v134, v134, v159
	s_waitcnt vmcnt(29)
	v_fmac_f32_e32 v193, v140, v174
	v_fma_f32 v169, v139, v174, -v169
	ds_read_b128 v[141:144], v1 offset:832
	ds_read_b128 v[149:152], v1 offset:848
	v_add_f32_e32 v174, v137, v162
	v_add_f32_e32 v170, v134, v192
	v_fmac_f32_e32 v167, v136, v165
	v_fma_f32 v165, v135, v165, -v158
	ds_read_b128 v[145:148], v1 offset:864
	ds_read_b128 v[153:156], v1 offset:880
	v_add_f32_e32 v163, v174, v163
	v_add_f32_e32 v170, v170, v194
	ds_read_b128 v[133:136], v1 offset:896
	ds_read_b128 v[157:160], v1 offset:912
	;; [unrolled: 1-line block ×3, first 2 shown]
	ds_read_b64 v[161:162], v1 offset:944
	v_add_f32_e32 v163, v163, v166
	v_add_f32_e32 v170, v170, v196
	;; [unrolled: 1-line block ×4, first 2 shown]
	s_waitcnt vmcnt(28) lgkmcnt(7)
	v_mul_f32_e32 v192, v141, v175
	v_mul_f32_e32 v175, v142, v175
	v_add_f32_e32 v163, v163, v164
	v_add_f32_e32 v164, v167, v168
	s_waitcnt vmcnt(27)
	v_mul_f32_e32 v174, v143, v176
	v_mul_f32_e32 v176, v144, v176
	v_fma_f32 v141, v141, v173, -v175
	v_add_f32_e32 v163, v163, v169
	v_fmac_f32_e32 v192, v142, v173
	v_add_f32_e32 v164, v164, v193
	s_waitcnt vmcnt(26) lgkmcnt(6)
	v_mul_f32_e32 v173, v150, v177
	v_fma_f32 v143, v143, v172, -v176
	v_add_f32_e32 v141, v163, v141
	v_mul_f32_e32 v194, v149, v177
	v_fmac_f32_e32 v174, v144, v172
	v_add_f32_e32 v163, v164, v192
	s_waitcnt vmcnt(25)
	v_mul_f32_e32 v169, v152, v178
	v_fma_f32 v149, v149, v171, -v173
	v_add_f32_e32 v141, v141, v143
	v_mul_f32_e32 v166, v151, v178
	v_fmac_f32_e32 v194, v150, v171
	v_add_f32_e32 v143, v163, v174
	s_waitcnt vmcnt(24) lgkmcnt(5)
	v_mul_f32_e32 v150, v146, v179
	s_waitcnt vmcnt(10)
	v_fma_f32 v151, v151, v185, -v169
	v_add_f32_e32 v141, v141, v149
	v_mul_f32_e32 v142, v145, v179
	v_fmac_f32_e32 v166, v152, v185
	v_add_f32_e32 v143, v143, v194
	v_mul_f32_e32 v149, v148, v180
	v_fma_f32 v145, v145, v184, -v150
	v_add_f32_e32 v141, v141, v151
	v_mul_f32_e32 v170, v147, v180
	v_fmac_f32_e32 v142, v146, v184
	v_add_f32_e32 v143, v143, v166
	s_waitcnt lgkmcnt(4)
	v_mul_f32_e32 v146, v154, v181
	v_fma_f32 v147, v147, v183, -v149
	v_add_f32_e32 v141, v141, v145
	v_mul_f32_e32 v165, v153, v181
	v_fmac_f32_e32 v170, v148, v183
	v_add_f32_e32 v142, v143, v142
	v_mul_f32_e32 v144, v155, v132
	v_mul_f32_e32 v132, v156, v132
	v_fma_f32 v143, v153, v182, -v146
	v_add_f32_e32 v141, v141, v147
	v_fmac_f32_e32 v165, v154, v182
	v_add_f32_e32 v142, v142, v170
	s_waitcnt lgkmcnt(3)
	v_mul_f32_e32 v172, v133, v11
	v_mul_f32_e32 v11, v134, v11
	s_waitcnt vmcnt(6)
	v_fma_f32 v132, v155, v189, -v132
	v_add_f32_e32 v141, v141, v143
	v_fmac_f32_e32 v144, v156, v189
	v_add_f32_e32 v142, v142, v165
	v_mul_f32_e32 v167, v135, v10
	v_mul_f32_e32 v10, v136, v10
	v_fma_f32 v11, v133, v188, -v11
	v_add_f32_e32 v132, v141, v132
	v_fmac_f32_e32 v172, v134, v188
	v_add_f32_e32 v133, v142, v144
	s_waitcnt lgkmcnt(2)
	v_mul_f32_e32 v168, v157, v9
	v_mul_f32_e32 v9, v158, v9
	v_fma_f32 v10, v135, v187, -v10
	v_add_f32_e32 v11, v132, v11
	v_fmac_f32_e32 v167, v136, v187
	v_add_f32_e32 v132, v133, v172
	v_mul_f32_e32 v175, v159, v7
	v_mul_f32_e32 v7, v160, v7
	v_fma_f32 v9, v157, v186, -v9
	v_add_f32_e32 v10, v11, v10
	v_fmac_f32_e32 v168, v158, v186
	v_add_f32_e32 v11, v132, v167
	s_waitcnt lgkmcnt(1)
	v_mul_f32_e32 v176, v137, v6
	v_mul_f32_e32 v6, v138, v6
	s_waitcnt vmcnt(2)
	v_fma_f32 v7, v159, v191, -v7
	v_add_f32_e32 v9, v10, v9
	v_fmac_f32_e32 v175, v160, v191
	v_add_f32_e32 v10, v11, v168
	v_mul_f32_e32 v177, v139, v2
	v_mul_f32_e32 v2, v140, v2
	v_fma_f32 v6, v137, v190, -v6
	v_add_f32_e32 v7, v9, v7
	v_fmac_f32_e32 v176, v138, v190
	v_add_f32_e32 v9, v10, v175
	s_waitcnt lgkmcnt(0)
	v_mul_f32_e32 v164, v161, v3
	v_mul_f32_e32 v3, v162, v3
	v_fma_f32 v2, v139, v12, -v2
	v_add_f32_e32 v6, v7, v6
	v_fmac_f32_e32 v177, v140, v12
	v_add_f32_e32 v7, v9, v176
	v_fma_f32 v3, v161, v8, -v3
	v_fmac_f32_e32 v164, v162, v8
	v_add_f32_e32 v2, v6, v2
	v_add_f32_e32 v6, v7, v177
	;; [unrolled: 1-line block ×4, first 2 shown]
	s_waitcnt vmcnt(1)
	v_sub_f32_e32 v2, v4, v2
	s_waitcnt vmcnt(0)
	v_sub_f32_e32 v3, v5, v3
	buffer_store_dword v2, off, s[0:3], 0 offset:248
	buffer_store_dword v3, off, s[0:3], 0 offset:252
	v_cmpx_lt_u32_e32 30, v0
	s_cbranch_execz .LBB122_307
; %bb.306:
	s_clause 0x1
	buffer_load_dword v2, off, s[0:3], 0 offset:240
	buffer_load_dword v3, off, s[0:3], 0 offset:244
	buffer_store_dword v1, off, s[0:3], 0 offset:240
	buffer_store_dword v1, off, s[0:3], 0 offset:244
	s_waitcnt vmcnt(0)
	ds_write_b64 v131, v[2:3]
.LBB122_307:
	s_or_b32 exec_lo, exec_lo, s4
	s_waitcnt lgkmcnt(0)
	s_waitcnt_vscnt null, 0x0
	s_barrier
	buffer_gl0_inv
	s_clause 0x39
	buffer_load_dword v152, off, s[0:3], 0 offset:252
	buffer_load_dword v153, off, s[0:3], 0 offset:260
	;; [unrolled: 1-line block ×58, first 2 shown]
	ds_read2_b64 v[140:143], v1 offset0:91 offset1:92
	ds_read2_b64 v[144:147], v1 offset0:93 offset1:94
	;; [unrolled: 1-line block ×3, first 2 shown]
	s_mov_b32 s4, exec_lo
	s_waitcnt vmcnt(57) lgkmcnt(2)
	v_mul_f32_e32 v191, v140, v152
	v_mul_f32_e32 v152, v141, v152
	s_waitcnt vmcnt(56)
	v_mul_f32_e32 v192, v142, v153
	v_mul_f32_e32 v153, v143, v153
	s_waitcnt vmcnt(53)
	v_fmac_f32_e32 v191, v141, v156
	v_fma_f32 v152, v140, v156, -v152
	v_fmac_f32_e32 v192, v143, v155
	v_fma_f32 v156, v142, v155, -v153
	ds_read2_b64 v[140:143], v1 offset0:97 offset1:98
	s_waitcnt vmcnt(52) lgkmcnt(2)
	v_mul_f32_e32 v193, v144, v157
	v_mul_f32_e32 v153, v145, v157
	s_waitcnt vmcnt(51)
	v_mul_f32_e32 v157, v146, v158
	v_mul_f32_e32 v155, v147, v158
	s_waitcnt vmcnt(50) lgkmcnt(1)
	v_mul_f32_e32 v194, v148, v159
	v_mul_f32_e32 v158, v149, v159
	s_waitcnt vmcnt(49)
	v_mul_f32_e32 v195, v150, v160
	v_mul_f32_e32 v159, v151, v160
	v_fmac_f32_e32 v193, v145, v154
	v_fma_f32 v160, v144, v154, -v153
	s_waitcnt vmcnt(45)
	v_fmac_f32_e32 v157, v147, v163
	v_fma_f32 v163, v146, v163, -v155
	ds_read2_b64 v[144:147], v1 offset0:99 offset1:100
	v_fmac_f32_e32 v194, v149, v162
	v_fma_f32 v162, v148, v162, -v158
	v_fmac_f32_e32 v195, v151, v161
	v_fma_f32 v196, v150, v161, -v159
	ds_read2_b64 v[148:151], v1 offset0:101 offset1:102
	v_add_f32_e32 v158, 0, v191
	s_waitcnt vmcnt(44) lgkmcnt(2)
	v_mul_f32_e32 v197, v140, v164
	v_mul_f32_e32 v153, v141, v164
	s_waitcnt vmcnt(43)
	v_mul_f32_e32 v164, v142, v165
	v_mul_f32_e32 v154, v143, v165
	v_add_f32_e32 v158, v158, v192
	v_fmac_f32_e32 v197, v141, v139
	v_fma_f32 v165, v140, v139, -v153
	s_waitcnt vmcnt(39)
	v_fmac_f32_e32 v164, v143, v169
	v_add_f32_e32 v143, 0, v152
	v_fma_f32 v169, v142, v169, -v154
	ds_read2_b64 v[139:142], v1 offset0:103 offset1:104
	ds_read2_b64 v[152:155], v1 offset0:105 offset1:106
	v_add_f32_e32 v158, v158, v193
	v_add_f32_e32 v143, v143, v156
	s_waitcnt vmcnt(38) lgkmcnt(3)
	v_mul_f32_e32 v191, v144, v170
	v_mul_f32_e32 v156, v145, v170
	s_waitcnt vmcnt(37)
	v_mul_f32_e32 v170, v146, v171
	v_mul_f32_e32 v159, v147, v171
	v_add_f32_e32 v143, v143, v160
	s_waitcnt vmcnt(36) lgkmcnt(2)
	v_mul_f32_e32 v171, v148, v172
	s_waitcnt vmcnt(35)
	v_mul_f32_e32 v192, v150, v173
	v_mul_f32_e32 v160, v149, v172
	v_fmac_f32_e32 v170, v147, v167
	v_add_f32_e32 v147, v143, v163
	v_add_f32_e32 v161, v158, v157
	v_mul_f32_e32 v163, v151, v173
	v_fmac_f32_e32 v171, v149, v166
	s_waitcnt vmcnt(31)
	v_fmac_f32_e32 v192, v151, v176
	v_fma_f32 v151, v148, v166, -v160
	v_add_f32_e32 v166, v147, v162
	v_fma_f32 v172, v146, v167, -v159
	v_add_f32_e32 v167, v161, v194
	v_fma_f32 v173, v150, v176, -v163
	s_waitcnt vmcnt(30) lgkmcnt(1)
	v_mul_f32_e32 v176, v139, v177
	v_add_f32_e32 v166, v166, v196
	v_mul_f32_e32 v177, v140, v177
	v_add_f32_e32 v167, v167, v195
	v_fmac_f32_e32 v191, v145, v168
	v_fmac_f32_e32 v176, v140, v175
	v_add_f32_e32 v140, v166, v165
	v_fma_f32 v168, v144, v168, -v156
	v_add_f32_e32 v165, v167, v197
	v_fma_f32 v175, v139, v175, -v177
	ds_read2_b64 v[143:146], v1 offset0:107 offset1:108
	ds_read2_b64 v[156:159], v1 offset0:109 offset1:110
	v_add_f32_e32 v169, v140, v169
	s_waitcnt vmcnt(29)
	v_mul_f32_e32 v193, v141, v178
	v_add_f32_e32 v177, v165, v164
	v_mul_f32_e32 v178, v142, v178
	ds_read2_b64 v[147:150], v1 offset0:111 offset1:112
	ds_read2_b64 v[160:163], v1 offset0:113 offset1:114
	v_add_f32_e32 v168, v169, v168
	v_fmac_f32_e32 v193, v142, v174
	v_add_f32_e32 v177, v177, v191
	v_fma_f32 v174, v141, v174, -v178
	ds_read2_b64 v[139:142], v1 offset0:115 offset1:116
	ds_read2_b64 v[164:167], v1 offset0:117 offset1:118
	v_add_f32_e32 v168, v168, v172
	s_waitcnt vmcnt(28) lgkmcnt(6)
	v_mul_f32_e32 v1, v152, v179
	v_add_f32_e32 v170, v177, v170
	v_mul_f32_e32 v169, v153, v179
	s_waitcnt vmcnt(27)
	v_mul_f32_e32 v179, v155, v180
	v_add_f32_e32 v151, v168, v151
	v_fmac_f32_e32 v1, v153, v12
	v_add_f32_e32 v170, v170, v171
	v_fma_f32 v12, v152, v12, -v169
	v_mul_f32_e32 v178, v154, v180
	v_add_f32_e32 v151, v151, v173
	s_waitcnt vmcnt(26) lgkmcnt(5)
	v_mul_f32_e32 v172, v143, v137
	v_add_f32_e32 v170, v170, v192
	v_mul_f32_e32 v137, v144, v137
	s_waitcnt vmcnt(11)
	v_fma_f32 v154, v154, v184, -v179
	v_add_f32_e32 v151, v151, v175
	v_fmac_f32_e32 v178, v155, v184
	v_add_f32_e32 v170, v170, v176
	v_mul_f32_e32 v177, v145, v136
	v_mul_f32_e32 v136, v146, v136
	v_add_f32_e32 v151, v151, v174
	v_fma_f32 v137, v143, v183, -v137
	v_add_f32_e32 v153, v170, v193
	v_fmac_f32_e32 v172, v144, v183
	s_waitcnt lgkmcnt(4)
	v_mul_f32_e32 v180, v156, v135
	v_add_f32_e32 v12, v151, v12
	v_mul_f32_e32 v135, v157, v135
	v_add_f32_e32 v1, v153, v1
	v_fma_f32 v136, v145, v182, -v136
	v_fmac_f32_e32 v177, v146, v182
	v_add_f32_e32 v12, v12, v154
	v_mul_f32_e32 v168, v158, v134
	v_add_f32_e32 v1, v1, v178
	v_mul_f32_e32 v134, v159, v134
	v_fma_f32 v135, v156, v181, -v135
	v_add_f32_e32 v12, v12, v137
	v_fmac_f32_e32 v180, v157, v181
	v_add_f32_e32 v1, v1, v172
	s_waitcnt lgkmcnt(3)
	v_mul_f32_e32 v171, v147, v132
	v_mul_f32_e32 v132, v148, v132
	v_add_f32_e32 v12, v12, v136
	s_waitcnt vmcnt(7)
	v_fma_f32 v134, v158, v188, -v134
	v_add_f32_e32 v1, v1, v177
	v_fmac_f32_e32 v168, v159, v188
	v_mul_f32_e32 v191, v149, v11
	v_add_f32_e32 v12, v12, v135
	v_mul_f32_e32 v11, v150, v11
	v_add_f32_e32 v1, v1, v180
	v_fma_f32 v132, v147, v187, -v132
	v_fmac_f32_e32 v171, v148, v187
	v_add_f32_e32 v12, v12, v134
	s_waitcnt lgkmcnt(2)
	v_mul_f32_e32 v173, v160, v10
	v_add_f32_e32 v1, v1, v168
	v_mul_f32_e32 v10, v161, v10
	v_fma_f32 v11, v149, v186, -v11
	v_add_f32_e32 v12, v12, v132
	v_fmac_f32_e32 v191, v150, v186
	v_add_f32_e32 v1, v1, v171
	v_mul_f32_e32 v192, v162, v8
	v_mul_f32_e32 v8, v163, v8
	v_fma_f32 v10, v160, v185, -v10
	v_add_f32_e32 v11, v12, v11
	v_fmac_f32_e32 v173, v161, v185
	v_add_f32_e32 v1, v1, v191
	s_waitcnt lgkmcnt(1)
	v_mul_f32_e32 v194, v139, v7
	v_mul_f32_e32 v7, v140, v7
	s_waitcnt vmcnt(3)
	v_fma_f32 v8, v162, v190, -v8
	v_add_f32_e32 v10, v11, v10
	v_fmac_f32_e32 v192, v163, v190
	v_add_f32_e32 v1, v1, v173
	v_mul_f32_e32 v175, v141, v6
	v_mul_f32_e32 v6, v142, v6
	v_fma_f32 v7, v139, v189, -v7
	v_add_f32_e32 v8, v10, v8
	v_fmac_f32_e32 v194, v140, v189
	v_add_f32_e32 v1, v1, v192
	s_waitcnt lgkmcnt(0)
	v_mul_f32_e32 v176, v164, v5
	v_mul_f32_e32 v5, v165, v5
	v_fma_f32 v6, v141, v138, -v6
	v_add_f32_e32 v7, v8, v7
	v_fmac_f32_e32 v175, v142, v138
	v_add_f32_e32 v1, v1, v194
	v_mul_f32_e32 v152, v166, v2
	v_mul_f32_e32 v2, v167, v2
	v_fma_f32 v5, v164, v133, -v5
	v_add_f32_e32 v6, v7, v6
	v_fmac_f32_e32 v176, v165, v133
	v_add_f32_e32 v1, v1, v175
	s_waitcnt vmcnt(2)
	v_fma_f32 v2, v166, v9, -v2
	v_fmac_f32_e32 v152, v167, v9
	v_add_f32_e32 v5, v6, v5
	v_add_f32_e32 v1, v1, v176
	;; [unrolled: 1-line block ×4, first 2 shown]
	s_waitcnt vmcnt(1)
	v_sub_f32_e32 v2, v3, v2
	s_waitcnt vmcnt(0)
	v_sub_f32_e32 v1, v4, v1
	buffer_store_dword v2, off, s[0:3], 0 offset:240
	buffer_store_dword v1, off, s[0:3], 0 offset:244
	v_cmpx_lt_u32_e32 29, v0
	s_cbranch_execz .LBB122_309
; %bb.308:
	s_clause 0x1
	buffer_load_dword v1, off, s[0:3], 0 offset:232
	buffer_load_dword v2, off, s[0:3], 0 offset:236
	v_mov_b32_e32 v3, 0
	buffer_store_dword v3, off, s[0:3], 0 offset:232
	buffer_store_dword v3, off, s[0:3], 0 offset:236
	s_waitcnt vmcnt(0)
	ds_write_b64 v131, v[1:2]
.LBB122_309:
	s_or_b32 exec_lo, exec_lo, s4
	s_waitcnt lgkmcnt(0)
	s_waitcnt_vscnt null, 0x0
	s_barrier
	buffer_gl0_inv
	s_clause 0x3b
	buffer_load_dword v163, off, s[0:3], 0 offset:244
	buffer_load_dword v164, off, s[0:3], 0 offset:252
	;; [unrolled: 1-line block ×60, first 2 shown]
	v_mov_b32_e32 v1, 0
	ds_read_b128 v[151:154], v1 offset:720
	ds_read_b128 v[155:158], v1 offset:736
	;; [unrolled: 1-line block ×3, first 2 shown]
	s_mov_b32 s4, exec_lo
	s_waitcnt vmcnt(59) lgkmcnt(2)
	v_mul_f32_e32 v193, v151, v163
	s_waitcnt vmcnt(58)
	v_mul_f32_e32 v194, v153, v164
	v_mul_f32_e32 v163, v152, v163
	;; [unrolled: 1-line block ×3, first 2 shown]
	s_waitcnt vmcnt(55)
	v_fmac_f32_e32 v193, v152, v166
	v_fmac_f32_e32 v194, v154, v165
	v_fma_f32 v163, v151, v166, -v163
	v_fma_f32 v164, v153, v165, -v164
	ds_read_b128 v[151:154], v1 offset:768
	s_waitcnt vmcnt(54) lgkmcnt(2)
	v_mul_f32_e32 v195, v155, v150
	v_mul_f32_e32 v150, v156, v150
	s_waitcnt vmcnt(53)
	v_mul_f32_e32 v196, v157, v149
	v_mul_f32_e32 v149, v158, v149
	v_add_f32_e32 v165, 0, v193
	v_fmac_f32_e32 v195, v156, v144
	v_fma_f32 v144, v155, v144, -v150
	s_waitcnt vmcnt(48)
	v_fmac_f32_e32 v196, v158, v169
	v_fma_f32 v169, v157, v169, -v149
	s_waitcnt vmcnt(47) lgkmcnt(1)
	v_mul_f32_e32 v149, v162, v170
	ds_read_b128 v[155:158], v1 offset:784
	v_mul_f32_e32 v197, v159, v147
	v_mul_f32_e32 v147, v160, v147
	;; [unrolled: 1-line block ×3, first 2 shown]
	v_fma_f32 v199, v161, v167, -v149
	v_fmac_f32_e32 v197, v160, v168
	v_fma_f32 v147, v159, v168, -v147
	v_fmac_f32_e32 v198, v162, v167
	s_waitcnt vmcnt(46) lgkmcnt(1)
	v_mul_f32_e32 v200, v151, v171
	s_waitcnt vmcnt(45)
	v_mul_f32_e32 v201, v153, v172
	v_mul_f32_e32 v149, v152, v171
	;; [unrolled: 1-line block ×3, first 2 shown]
	ds_read_b128 v[159:162], v1 offset:800
	v_fmac_f32_e32 v200, v152, v146
	v_add_f32_e32 v152, 0, v163
	s_waitcnt vmcnt(41)
	v_fmac_f32_e32 v201, v154, v175
	v_fma_f32 v175, v153, v175, -v150
	v_add_f32_e32 v154, v165, v194
	v_fma_f32 v146, v151, v146, -v149
	v_add_f32_e32 v153, v152, v164
	s_waitcnt vmcnt(39) lgkmcnt(1)
	v_mul_f32_e32 v167, v158, v177
	v_mul_f32_e32 v194, v157, v177
	v_add_f32_e32 v154, v154, v195
	ds_read_b128 v[149:152], v1 offset:816
	ds_read_b128 v[163:166], v1 offset:832
	v_add_f32_e32 v144, v153, v144
	v_fma_f32 v202, v157, v173, -v167
	v_mul_f32_e32 v153, v156, v176
	v_add_f32_e32 v154, v154, v196
	v_mul_f32_e32 v193, v155, v176
	v_add_f32_e32 v144, v144, v169
	v_fmac_f32_e32 v194, v158, v173
	v_fma_f32 v176, v155, v174, -v153
	v_add_f32_e32 v157, v154, v197
	s_waitcnt vmcnt(37) lgkmcnt(2)
	v_mul_f32_e32 v196, v161, v142
	v_add_f32_e32 v144, v144, v147
	v_fmac_f32_e32 v193, v156, v174
	v_mul_f32_e32 v142, v162, v142
	v_add_f32_e32 v147, v157, v198
	v_mul_f32_e32 v195, v159, v178
	v_add_f32_e32 v144, v144, v199
	v_mul_f32_e32 v171, v160, v178
	s_waitcnt vmcnt(33)
	v_fmac_f32_e32 v196, v162, v181
	v_add_f32_e32 v147, v147, v200
	v_fma_f32 v142, v161, v181, -v142
	v_add_f32_e32 v144, v144, v146
	v_fmac_f32_e32 v195, v160, v139
	v_fma_f32 v139, v159, v139, -v171
	v_add_f32_e32 v147, v147, v201
	s_waitcnt vmcnt(32) lgkmcnt(1)
	v_mul_f32_e32 v161, v149, v182
	v_add_f32_e32 v144, v144, v175
	v_mul_f32_e32 v146, v150, v182
	ds_read_b128 v[153:156], v1 offset:848
	ds_read_b128 v[167:170], v1 offset:864
	v_add_f32_e32 v181, v147, v193
	s_waitcnt vmcnt(30) lgkmcnt(2)
	v_mul_f32_e32 v182, v163, v137
	v_add_f32_e32 v144, v144, v176
	v_mul_f32_e32 v137, v164, v137
	v_mul_f32_e32 v162, v151, v183
	v_add_f32_e32 v181, v181, v194
	v_mul_f32_e32 v177, v152, v183
	v_add_f32_e32 v144, v144, v202
	v_fmac_f32_e32 v161, v150, v180
	v_fma_f32 v180, v149, v180, -v146
	v_add_f32_e32 v181, v181, v195
	v_fmac_f32_e32 v182, v164, v133
	v_add_f32_e32 v139, v144, v139
	v_fma_f32 v133, v163, v133, -v137
	v_fmac_f32_e32 v162, v152, v179
	v_add_f32_e32 v163, v181, v196
	v_fma_f32 v179, v151, v179, -v177
	v_add_f32_e32 v139, v139, v142
	s_waitcnt vmcnt(29)
	v_mul_f32_e32 v183, v165, v138
	v_mul_f32_e32 v138, v166, v138
	v_add_f32_e32 v161, v163, v161
	s_waitcnt vmcnt(28) lgkmcnt(1)
	v_mul_f32_e32 v193, v153, v134
	v_add_f32_e32 v139, v139, v180
	v_mul_f32_e32 v134, v154, v134
	s_waitcnt vmcnt(20)
	v_fma_f32 v138, v165, v187, -v138
	v_add_f32_e32 v161, v161, v162
	ds_read_b128 v[157:160], v1 offset:880
	ds_read_b128 v[171:174], v1 offset:896
	v_add_f32_e32 v139, v139, v179
	v_fmac_f32_e32 v183, v166, v187
	v_mul_f32_e32 v144, v155, v10
	v_mul_f32_e32 v10, v156, v10
	v_fma_f32 v134, v153, v186, -v134
	v_add_f32_e32 v133, v139, v133
	v_add_f32_e32 v139, v161, v182
	v_fmac_f32_e32 v193, v154, v186
	s_waitcnt lgkmcnt(2)
	v_mul_f32_e32 v137, v167, v8
	v_mul_f32_e32 v8, v168, v8
	v_add_f32_e32 v133, v133, v138
	v_add_f32_e32 v138, v139, v183
	v_fma_f32 v10, v155, v185, -v10
	v_fmac_f32_e32 v144, v156, v185
	v_mul_f32_e32 v164, v169, v6
	v_add_f32_e32 v133, v133, v134
	v_add_f32_e32 v134, v138, v193
	v_mul_f32_e32 v6, v170, v6
	v_fma_f32 v8, v167, v184, -v8
	v_fmac_f32_e32 v137, v168, v184
	v_add_f32_e32 v10, v133, v10
	v_add_f32_e32 v133, v134, v144
	s_waitcnt lgkmcnt(1)
	v_mul_f32_e32 v142, v157, v5
	v_mul_f32_e32 v5, v158, v5
	s_waitcnt vmcnt(8)
	v_fma_f32 v6, v169, v192, -v6
	v_add_f32_e32 v8, v10, v8
	v_fmac_f32_e32 v164, v170, v192
	v_add_f32_e32 v10, v133, v137
	ds_read_b128 v[149:152], v1 offset:912
	ds_read_b128 v[175:178], v1 offset:928
	ds_read_b64 v[146:147], v1 offset:944
	v_mul_f32_e32 v133, v160, v188
	v_fma_f32 v5, v157, v191, -v5
	v_add_f32_e32 v6, v8, v6
	v_mul_f32_e32 v165, v159, v188
	v_fmac_f32_e32 v142, v158, v191
	v_add_f32_e32 v8, v10, v164
	s_waitcnt lgkmcnt(3)
	v_mul_f32_e32 v10, v172, v189
	v_fma_f32 v133, v159, v190, -v133
	v_add_f32_e32 v5, v6, v5
	v_mul_f32_e32 v166, v171, v189
	v_fmac_f32_e32 v165, v160, v190
	v_add_f32_e32 v6, v8, v142
	v_mul_f32_e32 v8, v174, v143
	v_fma_f32 v10, v171, v148, -v10
	v_add_f32_e32 v5, v5, v133
	v_mul_f32_e32 v163, v173, v143
	v_fmac_f32_e32 v166, v172, v148
	v_add_f32_e32 v6, v6, v165
	s_waitcnt lgkmcnt(2)
	v_mul_f32_e32 v133, v150, v140
	s_waitcnt vmcnt(4)
	v_fma_f32 v8, v173, v145, -v8
	v_add_f32_e32 v5, v5, v10
	v_mul_f32_e32 v180, v149, v140
	v_fmac_f32_e32 v163, v174, v145
	v_add_f32_e32 v6, v6, v166
	v_mul_f32_e32 v10, v152, v136
	v_fma_f32 v133, v149, v141, -v133
	v_add_f32_e32 v5, v5, v8
	v_mul_f32_e32 v181, v151, v136
	v_fmac_f32_e32 v180, v150, v141
	v_add_f32_e32 v6, v6, v163
	s_waitcnt lgkmcnt(1)
	v_mul_f32_e32 v8, v176, v132
	v_fma_f32 v10, v151, v135, -v10
	v_add_f32_e32 v5, v5, v133
	v_mul_f32_e32 v162, v175, v132
	v_fmac_f32_e32 v181, v152, v135
	v_add_f32_e32 v6, v6, v180
	v_mul_f32_e32 v179, v177, v9
	v_mul_f32_e32 v9, v178, v9
	v_fma_f32 v8, v175, v12, -v8
	v_add_f32_e32 v5, v5, v10
	v_fmac_f32_e32 v162, v176, v12
	v_add_f32_e32 v6, v6, v181
	s_waitcnt lgkmcnt(0)
	v_mul_f32_e32 v161, v146, v4
	v_mul_f32_e32 v4, v147, v4
	s_waitcnt vmcnt(2)
	v_fma_f32 v9, v177, v11, -v9
	v_add_f32_e32 v5, v5, v8
	v_fmac_f32_e32 v179, v178, v11
	v_add_f32_e32 v6, v6, v162
	v_fma_f32 v4, v146, v7, -v4
	v_fmac_f32_e32 v161, v147, v7
	v_add_f32_e32 v5, v5, v9
	v_add_f32_e32 v6, v6, v179
	v_add_f32_e32 v4, v5, v4
	v_add_f32_e32 v5, v6, v161
	s_waitcnt vmcnt(1)
	v_sub_f32_e32 v2, v2, v4
	s_waitcnt vmcnt(0)
	v_sub_f32_e32 v3, v3, v5
	buffer_store_dword v2, off, s[0:3], 0 offset:232
	buffer_store_dword v3, off, s[0:3], 0 offset:236
	v_cmpx_lt_u32_e32 28, v0
	s_cbranch_execz .LBB122_311
; %bb.310:
	s_clause 0x1
	buffer_load_dword v2, off, s[0:3], 0 offset:224
	buffer_load_dword v3, off, s[0:3], 0 offset:228
	buffer_store_dword v1, off, s[0:3], 0 offset:224
	buffer_store_dword v1, off, s[0:3], 0 offset:228
	s_waitcnt vmcnt(0)
	ds_write_b64 v131, v[2:3]
.LBB122_311:
	s_or_b32 exec_lo, exec_lo, s4
	s_waitcnt lgkmcnt(0)
	s_waitcnt_vscnt null, 0x0
	s_barrier
	buffer_gl0_inv
	s_clause 0x3d
	buffer_load_dword v163, off, s[0:3], 0 offset:236
	buffer_load_dword v164, off, s[0:3], 0 offset:244
	;; [unrolled: 1-line block ×62, first 2 shown]
	ds_read2_b64 v[155:158], v1 offset0:89 offset1:90
	ds_read2_b64 v[159:162], v1 offset0:91 offset1:92
	s_mov_b32 s4, exec_lo
	s_waitcnt vmcnt(61) lgkmcnt(1)
	v_mul_f32_e32 v191, v155, v163
	s_waitcnt vmcnt(60)
	v_mul_f32_e32 v192, v157, v164
	v_mul_f32_e32 v163, v156, v163
	;; [unrolled: 1-line block ×3, first 2 shown]
	s_waitcnt vmcnt(57)
	v_fmac_f32_e32 v191, v156, v166
	v_fmac_f32_e32 v192, v158, v165
	v_fma_f32 v163, v155, v166, -v163
	v_fma_f32 v193, v157, v165, -v164
	ds_read2_b64 v[155:158], v1 offset0:93 offset1:94
	s_waitcnt vmcnt(56) lgkmcnt(1)
	v_mul_f32_e32 v194, v159, v152
	v_mul_f32_e32 v152, v160, v152
	s_waitcnt vmcnt(55)
	v_mul_f32_e32 v195, v161, v153
	v_mul_f32_e32 v153, v162, v153
	v_fmac_f32_e32 v194, v160, v146
	v_fma_f32 v146, v159, v146, -v152
	s_waitcnt vmcnt(51)
	v_fmac_f32_e32 v195, v162, v167
	v_fma_f32 v167, v161, v167, -v153
	ds_read2_b64 v[159:162], v1 offset0:95 offset1:96
	v_add_f32_e32 v153, 0, v191
	v_add_f32_e32 v153, v153, v192
	s_waitcnt vmcnt(50) lgkmcnt(1)
	v_mul_f32_e32 v196, v155, v143
	v_mul_f32_e32 v143, v156, v143
	s_waitcnt vmcnt(49)
	v_mul_f32_e32 v197, v157, v142
	v_mul_f32_e32 v142, v158, v142
	v_fmac_f32_e32 v196, v156, v140
	v_fma_f32 v140, v155, v140, -v143
	v_fmac_f32_e32 v197, v158, v139
	v_fma_f32 v139, v157, v139, -v142
	ds_read2_b64 v[155:158], v1 offset0:97 offset1:98
	s_waitcnt vmcnt(48) lgkmcnt(1)
	v_mul_f32_e32 v142, v159, v9
	v_mul_f32_e32 v9, v160, v9
	s_waitcnt vmcnt(47)
	v_mul_f32_e32 v143, v161, v168
	v_mul_f32_e32 v152, v162, v168
	v_fmac_f32_e32 v142, v160, v5
	v_fma_f32 v5, v159, v5, -v9
	s_waitcnt vmcnt(43)
	v_fmac_f32_e32 v143, v162, v169
	v_fma_f32 v9, v161, v169, -v152
	ds_read2_b64 v[159:162], v1 offset0:99 offset1:100
	v_add_f32_e32 v152, 0, v163
	ds_read2_b64 v[163:166], v1 offset0:101 offset1:102
	v_add_f32_e32 v152, v152, v193
	s_waitcnt vmcnt(42) lgkmcnt(2)
	v_mul_f32_e32 v191, v155, v154
	v_mul_f32_e32 v154, v156, v154
	v_add_f32_e32 v146, v152, v146
	s_waitcnt vmcnt(41)
	v_mul_f32_e32 v193, v157, v147
	v_mul_f32_e32 v147, v158, v147
	v_fmac_f32_e32 v191, v156, v148
	v_fma_f32 v192, v155, v148, -v154
	v_add_f32_e32 v148, v153, v194
	v_add_f32_e32 v146, v146, v167
	ds_read2_b64 v[152:155], v1 offset0:103 offset1:104
	s_waitcnt vmcnt(40) lgkmcnt(2)
	v_mul_f32_e32 v194, v159, v144
	v_mul_f32_e32 v144, v160, v144
	v_add_f32_e32 v148, v148, v195
	v_add_f32_e32 v140, v146, v140
	s_waitcnt vmcnt(39)
	v_mul_f32_e32 v195, v161, v149
	v_fmac_f32_e32 v194, v160, v8
	v_fma_f32 v144, v159, v8, -v144
	v_add_f32_e32 v146, v148, v196
	v_add_f32_e32 v8, v140, v139
	v_mul_f32_e32 v167, v162, v149
	v_fmac_f32_e32 v193, v158, v10
	v_fma_f32 v10, v157, v10, -v147
	v_add_f32_e32 v139, v146, v197
	v_add_f32_e32 v5, v8, v5
	s_waitcnt vmcnt(34)
	v_fmac_f32_e32 v195, v162, v171
	v_fma_f32 v140, v161, v171, -v167
	s_waitcnt lgkmcnt(1)
	v_mul_f32_e32 v196, v163, v136
	v_add_f32_e32 v8, v139, v142
	v_add_f32_e32 v5, v5, v9
	s_waitcnt vmcnt(33)
	v_mul_f32_e32 v139, v165, v137
	v_mul_f32_e32 v9, v166, v137
	s_waitcnt vmcnt(32) lgkmcnt(0)
	v_mul_f32_e32 v142, v152, v134
	v_add_f32_e32 v8, v8, v143
	v_mul_f32_e32 v134, v153, v134
	v_add_f32_e32 v5, v5, v192
	s_waitcnt vmcnt(31)
	v_mul_f32_e32 v171, v155, v135
	v_fmac_f32_e32 v139, v166, v12
	v_fma_f32 v12, v165, v12, -v9
	v_fma_f32 v165, v152, v11, -v134
	v_add_f32_e32 v152, v8, v191
	v_add_f32_e32 v5, v5, v10
	s_waitcnt vmcnt(27)
	v_fma_f32 v166, v154, v175, -v171
	v_mul_f32_e32 v136, v164, v136
	ds_read2_b64 v[146:149], v1 offset0:105 offset1:106
	ds_read2_b64 v[156:159], v1 offset0:107 offset1:108
	v_add_f32_e32 v171, v152, v193
	v_add_f32_e32 v5, v5, v144
	v_fmac_f32_e32 v196, v164, v170
	v_fma_f32 v164, v163, v170, -v136
	v_mul_f32_e32 v143, v154, v135
	v_add_f32_e32 v171, v171, v194
	v_add_f32_e32 v5, v5, v140
	v_fmac_f32_e32 v142, v153, v11
	ds_read2_b64 v[160:163], v1 offset0:109 offset1:110
	ds_read2_b64 v[167:170], v1 offset0:111 offset1:112
	;; [unrolled: 1-line block ×4, first 2 shown]
	v_add_f32_e32 v171, v171, v195
	v_add_f32_e32 v5, v5, v164
	v_fmac_f32_e32 v143, v155, v175
	ds_read2_b64 v[152:155], v1 offset0:117 offset1:118
	v_add_f32_e32 v171, v171, v196
	v_add_f32_e32 v5, v5, v12
	s_waitcnt vmcnt(26) lgkmcnt(6)
	v_mul_f32_e32 v144, v147, v176
	v_mul_f32_e32 v1, v146, v176
	v_add_f32_e32 v139, v171, v139
	v_add_f32_e32 v5, v5, v165
	s_waitcnt vmcnt(25)
	v_mul_f32_e32 v176, v149, v177
	v_fma_f32 v144, v146, v174, -v144
	v_mul_f32_e32 v175, v148, v177
	v_add_f32_e32 v139, v139, v142
	v_add_f32_e32 v5, v5, v166
	v_fmac_f32_e32 v1, v147, v174
	v_fma_f32 v147, v148, v173, -v176
	s_waitcnt vmcnt(24) lgkmcnt(5)
	v_mul_f32_e32 v140, v156, v178
	v_add_f32_e32 v139, v139, v143
	v_mul_f32_e32 v143, v157, v178
	v_add_f32_e32 v5, v5, v144
	v_fmac_f32_e32 v175, v149, v173
	s_waitcnt vmcnt(23)
	v_mul_f32_e32 v177, v158, v179
	v_add_f32_e32 v1, v139, v1
	v_mul_f32_e32 v139, v159, v179
	v_fma_f32 v143, v156, v172, -v143
	v_add_f32_e32 v5, v5, v147
	v_fmac_f32_e32 v140, v157, v172
	v_add_f32_e32 v1, v1, v175
	s_waitcnt vmcnt(22) lgkmcnt(4)
	v_mul_f32_e32 v144, v161, v180
	s_waitcnt vmcnt(9)
	v_fma_f32 v139, v158, v185, -v139
	v_add_f32_e32 v5, v5, v143
	v_mul_f32_e32 v191, v160, v180
	v_fmac_f32_e32 v177, v159, v185
	v_add_f32_e32 v1, v1, v140
	v_mul_f32_e32 v140, v163, v181
	v_fma_f32 v143, v160, v184, -v144
	v_add_f32_e32 v5, v5, v139
	v_mul_f32_e32 v164, v162, v181
	v_fmac_f32_e32 v191, v161, v184
	v_add_f32_e32 v1, v1, v177
	s_waitcnt lgkmcnt(3)
	v_mul_f32_e32 v139, v168, v182
	v_fma_f32 v140, v162, v183, -v140
	v_add_f32_e32 v5, v5, v143
	v_mul_f32_e32 v192, v167, v182
	v_fmac_f32_e32 v164, v163, v183
	v_add_f32_e32 v1, v1, v191
	v_mul_f32_e32 v143, v170, v145
	v_fma_f32 v139, v167, v151, -v139
	v_add_f32_e32 v5, v5, v140
	v_mul_f32_e32 v193, v169, v145
	v_fmac_f32_e32 v192, v168, v151
	v_add_f32_e32 v1, v1, v164
	s_waitcnt lgkmcnt(2)
	v_mul_f32_e32 v12, v8, v138
	v_mul_f32_e32 v138, v9, v138
	s_waitcnt vmcnt(5)
	v_fma_f32 v140, v169, v150, -v143
	v_add_f32_e32 v5, v5, v139
	v_fmac_f32_e32 v193, v170, v150
	v_add_f32_e32 v1, v1, v192
	v_mul_f32_e32 v171, v10, v132
	v_mul_f32_e32 v132, v11, v132
	v_fma_f32 v8, v8, v141, -v138
	v_add_f32_e32 v5, v5, v140
	v_fmac_f32_e32 v12, v9, v141
	v_add_f32_e32 v1, v1, v193
	s_waitcnt lgkmcnt(1)
	v_mul_f32_e32 v194, v134, v7
	v_mul_f32_e32 v7, v135, v7
	v_fma_f32 v9, v10, v133, -v132
	v_add_f32_e32 v5, v5, v8
	v_fmac_f32_e32 v171, v11, v133
	v_add_f32_e32 v1, v1, v12
	v_mul_f32_e32 v165, v136, v4
	v_mul_f32_e32 v4, v137, v4
	v_fmac_f32_e32 v194, v135, v6
	v_fma_f32 v6, v134, v6, -v7
	v_add_f32_e32 v5, v5, v9
	v_add_f32_e32 v1, v1, v171
	s_waitcnt lgkmcnt(0)
	v_mul_f32_e32 v142, v152, v3
	v_mul_f32_e32 v3, v153, v3
	s_waitcnt vmcnt(2)
	v_fma_f32 v4, v136, v188, -v4
	v_add_f32_e32 v5, v5, v6
	v_fmac_f32_e32 v165, v137, v188
	v_add_f32_e32 v1, v1, v194
	v_mul_f32_e32 v146, v154, v2
	v_mul_f32_e32 v2, v155, v2
	v_fma_f32 v3, v152, v187, -v3
	v_add_f32_e32 v4, v5, v4
	v_fmac_f32_e32 v142, v153, v187
	v_add_f32_e32 v1, v1, v165
	v_fma_f32 v2, v154, v186, -v2
	v_fmac_f32_e32 v146, v155, v186
	v_add_f32_e32 v3, v4, v3
	v_add_f32_e32 v1, v1, v142
	;; [unrolled: 1-line block ×4, first 2 shown]
	s_waitcnt vmcnt(1)
	v_sub_f32_e32 v2, v189, v2
	s_waitcnt vmcnt(0)
	v_sub_f32_e32 v1, v190, v1
	buffer_store_dword v2, off, s[0:3], 0 offset:224
	buffer_store_dword v1, off, s[0:3], 0 offset:228
	v_cmpx_lt_u32_e32 27, v0
	s_cbranch_execz .LBB122_313
; %bb.312:
	s_clause 0x1
	buffer_load_dword v1, off, s[0:3], 0 offset:216
	buffer_load_dword v2, off, s[0:3], 0 offset:220
	v_mov_b32_e32 v3, 0
	buffer_store_dword v3, off, s[0:3], 0 offset:216
	buffer_store_dword v3, off, s[0:3], 0 offset:220
	s_waitcnt vmcnt(0)
	ds_write_b64 v131, v[1:2]
.LBB122_313:
	s_or_b32 exec_lo, exec_lo, s4
	s_waitcnt lgkmcnt(0)
	s_waitcnt_vscnt null, 0x0
	s_barrier
	buffer_gl0_inv
	s_clause 0x3e
	buffer_load_dword v9, off, s[0:3], 0 offset:228
	buffer_load_dword v12, off, s[0:3], 0 offset:236
	;; [unrolled: 1-line block ×64, first 2 shown]
	v_mov_b32_e32 v1, 0
	ds_read_b128 v[171:174], v1 offset:704
	ds_read_b128 v[175:178], v1 offset:720
	s_mov_b32 s4, exec_lo
	ds_read_b128 v[183:186], v1 offset:816
	s_waitcnt vmcnt(62) lgkmcnt(2)
	v_mul_f32_e32 v179, v171, v9
	v_mul_f32_e32 v180, v173, v12
	;; [unrolled: 1-line block ×4, first 2 shown]
	s_waitcnt vmcnt(59)
	v_fmac_f32_e32 v179, v172, v138
	v_fmac_f32_e32 v180, v174, v137
	v_fma_f32 v9, v171, v138, -v9
	v_fma_f32 v12, v173, v137, -v12
	ds_read_b128 v[171:174], v1 offset:736
	s_waitcnt vmcnt(58) lgkmcnt(2)
	v_mul_f32_e32 v137, v175, v134
	s_waitcnt vmcnt(57)
	v_mul_f32_e32 v138, v177, v135
	v_mul_f32_e32 v134, v176, v134
	;; [unrolled: 1-line block ×3, first 2 shown]
	v_add_f32_e32 v9, 0, v9
	v_fmac_f32_e32 v137, v176, v8
	s_waitcnt vmcnt(53)
	v_fmac_f32_e32 v138, v178, v161
	v_fma_f32 v8, v175, v8, -v134
	v_fma_f32 v134, v177, v161, -v135
	ds_read_b128 v[175:178], v1 offset:752
	v_add_f32_e32 v9, v9, v12
	v_add_f32_e32 v8, v9, v8
	s_waitcnt vmcnt(51) lgkmcnt(1)
	v_mul_f32_e32 v161, v173, v159
	v_mul_f32_e32 v159, v174, v159
	;; [unrolled: 1-line block ×4, first 2 shown]
	v_add_f32_e32 v8, v8, v134
	v_fmac_f32_e32 v161, v174, v152
	v_fma_f32 v152, v173, v152, -v159
	v_fmac_f32_e32 v135, v172, v156
	v_fma_f32 v156, v171, v156, -v160
	ds_read_b128 v[171:174], v1 offset:768
	s_waitcnt vmcnt(50) lgkmcnt(1)
	v_mul_f32_e32 v159, v175, v155
	v_mul_f32_e32 v155, v176, v155
	s_waitcnt vmcnt(49)
	v_mul_f32_e32 v201, v177, v153
	v_mul_f32_e32 v153, v178, v153
	v_add_f32_e32 v8, v8, v156
	v_fmac_f32_e32 v159, v176, v146
	v_fma_f32 v146, v175, v146, -v155
	v_add_f32_e32 v155, 0, v179
	s_waitcnt vmcnt(45)
	v_fmac_f32_e32 v201, v178, v169
	v_fma_f32 v153, v177, v169, -v153
	ds_read_b128 v[175:178], v1 offset:784
	v_add_f32_e32 v8, v8, v152
	v_add_f32_e32 v155, v155, v180
	ds_read_b128 v[179:182], v1 offset:800
	v_add_f32_e32 v8, v8, v146
	v_add_f32_e32 v12, v155, v137
	s_waitcnt vmcnt(34)
	v_mul_f32_e32 v146, v184, v150
	s_waitcnt lgkmcnt(2)
	v_mul_f32_e32 v155, v172, v167
	v_mul_f32_e32 v137, v171, v167
	v_add_f32_e32 v8, v8, v153
	v_add_f32_e32 v9, v12, v138
	v_mul_f32_e32 v134, v173, v163
	v_fma_f32 v12, v171, v164, -v155
	v_fmac_f32_e32 v137, v172, v164
	v_add_f32_e32 v9, v9, v135
	v_mul_f32_e32 v135, v174, v163
	v_add_f32_e32 v8, v8, v12
	s_waitcnt lgkmcnt(1)
	v_mul_f32_e32 v138, v175, v162
	v_mul_f32_e32 v155, v176, v162
	v_add_f32_e32 v9, v9, v161
	v_fma_f32 v135, v173, v144, -v135
	v_fmac_f32_e32 v134, v174, v144
	v_mul_f32_e32 v163, v178, v165
	v_fmac_f32_e32 v138, v176, v142
	v_add_f32_e32 v9, v9, v159
	v_fma_f32 v142, v175, v142, -v155
	v_add_f32_e32 v8, v8, v135
	v_mul_f32_e32 v156, v177, v165
	s_waitcnt lgkmcnt(0)
	v_mul_f32_e32 v144, v180, v154
	v_add_f32_e32 v9, v9, v201
	v_fma_f32 v163, v177, v170, -v163
	v_add_f32_e32 v142, v8, v142
	v_mul_f32_e32 v164, v179, v154
	ds_read_b128 v[159:162], v1 offset:832
	ds_read_b128 v[171:174], v1 offset:848
	v_add_f32_e32 v9, v9, v137
	v_fmac_f32_e32 v156, v178, v170
	v_fma_f32 v165, v179, v168, -v144
	v_mul_f32_e32 v144, v182, v157
	v_add_f32_e32 v142, v142, v163
	v_add_f32_e32 v9, v9, v134
	v_fmac_f32_e32 v164, v180, v168
	v_mul_f32_e32 v137, v181, v157
	v_mul_f32_e32 v12, v183, v150
	s_waitcnt vmcnt(33)
	v_mul_f32_e32 v134, v185, v151
	v_add_f32_e32 v135, v9, v138
	v_mul_f32_e32 v150, v186, v151
	v_fma_f32 v151, v181, v147, -v144
	v_add_f32_e32 v142, v142, v165
	v_fmac_f32_e32 v137, v182, v147
	v_add_f32_e32 v135, v135, v156
	v_fma_f32 v157, v183, v145, -v146
	v_fmac_f32_e32 v12, v184, v145
	v_add_f32_e32 v142, v142, v151
	s_waitcnt vmcnt(28)
	v_fma_f32 v138, v185, v158, -v150
	v_add_f32_e32 v135, v135, v164
	s_waitcnt vmcnt(27) lgkmcnt(1)
	v_mul_f32_e32 v150, v159, v148
	v_mul_f32_e32 v148, v160, v148
	v_add_f32_e32 v142, v142, v157
	ds_read_b128 v[152:155], v1 offset:864
	ds_read_b128 v[167:170], v1 offset:880
	v_add_f32_e32 v135, v135, v137
	v_fmac_f32_e32 v134, v186, v158
	s_waitcnt vmcnt(26)
	v_mul_f32_e32 v156, v161, v149
	v_mul_f32_e32 v149, v162, v149
	v_fmac_f32_e32 v150, v160, v143
	v_add_f32_e32 v12, v135, v12
	v_fma_f32 v143, v159, v143, -v148
	v_add_f32_e32 v138, v142, v138
	s_waitcnt lgkmcnt(2)
	v_mul_f32_e32 v158, v171, v141
	v_mul_f32_e32 v141, v172, v141
	v_add_f32_e32 v12, v12, v134
	v_fmac_f32_e32 v156, v162, v140
	v_fma_f32 v140, v161, v140, -v149
	v_add_f32_e32 v138, v138, v143
	s_waitcnt vmcnt(25)
	v_mul_f32_e32 v134, v174, v139
	v_add_f32_e32 v12, v12, v150
	v_fmac_f32_e32 v158, v172, v2
	v_fma_f32 v2, v171, v2, -v141
	v_add_f32_e32 v138, v138, v140
	v_mul_f32_e32 v163, v173, v139
	v_add_f32_e32 v12, v12, v156
	s_waitcnt vmcnt(24) lgkmcnt(1)
	v_mul_f32_e32 v148, v152, v136
	v_mul_f32_e32 v136, v153, v136
	s_waitcnt vmcnt(13)
	v_fma_f32 v134, v173, v187, -v134
	v_add_f32_e32 v2, v138, v2
	ds_read_b128 v[144:147], v1 offset:896
	ds_read_b128 v[175:178], v1 offset:912
	v_fmac_f32_e32 v163, v174, v187
	v_add_f32_e32 v12, v12, v158
	v_mul_f32_e32 v137, v154, v132
	v_mul_f32_e32 v132, v155, v132
	s_waitcnt vmcnt(10)
	v_fma_f32 v136, v152, v190, -v136
	v_add_f32_e32 v2, v2, v134
	v_fmac_f32_e32 v148, v153, v190
	v_add_f32_e32 v12, v12, v163
	s_waitcnt lgkmcnt(2)
	v_mul_f32_e32 v151, v167, v133
	v_mul_f32_e32 v133, v168, v133
	v_fma_f32 v132, v154, v189, -v132
	v_add_f32_e32 v2, v2, v136
	v_fmac_f32_e32 v137, v155, v189
	v_add_f32_e32 v12, v12, v148
	v_mul_f32_e32 v149, v169, v11
	v_mul_f32_e32 v11, v170, v11
	v_fma_f32 v133, v167, v188, -v133
	v_add_f32_e32 v2, v2, v132
	v_fmac_f32_e32 v151, v168, v188
	v_add_f32_e32 v12, v12, v137
	s_waitcnt lgkmcnt(1)
	v_mul_f32_e32 v159, v144, v10
	v_mul_f32_e32 v10, v145, v10
	s_waitcnt vmcnt(6)
	v_fma_f32 v11, v169, v194, -v11
	v_add_f32_e32 v2, v2, v133
	ds_read_b128 v[179:182], v1 offset:928
	ds_read_b64 v[8:9], v1 offset:944
	v_fmac_f32_e32 v149, v170, v194
	v_add_f32_e32 v12, v12, v151
	v_mul_f32_e32 v135, v146, v7
	v_mul_f32_e32 v7, v147, v7
	v_fma_f32 v10, v144, v193, -v10
	v_add_f32_e32 v2, v2, v11
	v_fmac_f32_e32 v159, v145, v193
	v_add_f32_e32 v11, v12, v149
	s_waitcnt lgkmcnt(2)
	v_mul_f32_e32 v157, v175, v6
	v_mul_f32_e32 v6, v176, v6
	v_fma_f32 v7, v146, v192, -v7
	v_add_f32_e32 v2, v2, v10
	v_fmac_f32_e32 v135, v147, v192
	v_add_f32_e32 v10, v11, v159
	v_mul_f32_e32 v160, v177, v5
	v_mul_f32_e32 v5, v178, v5
	v_fma_f32 v6, v175, v191, -v6
	v_add_f32_e32 v2, v2, v7
	v_fmac_f32_e32 v157, v176, v191
	v_add_f32_e32 v7, v10, v135
	s_waitcnt lgkmcnt(1)
	v_mul_f32_e32 v139, v179, v4
	v_mul_f32_e32 v4, v180, v4
	s_waitcnt vmcnt(2)
	v_fma_f32 v5, v177, v198, -v5
	v_add_f32_e32 v2, v2, v6
	v_fmac_f32_e32 v160, v178, v198
	v_add_f32_e32 v6, v7, v157
	v_mul_f32_e32 v142, v181, v3
	v_mul_f32_e32 v3, v182, v3
	v_fma_f32 v4, v179, v197, -v4
	v_add_f32_e32 v2, v2, v5
	v_fmac_f32_e32 v139, v180, v197
	v_add_f32_e32 v5, v6, v160
	s_waitcnt lgkmcnt(0)
	v_mul_f32_e32 v6, v9, v166
	v_fma_f32 v3, v181, v196, -v3
	v_add_f32_e32 v2, v2, v4
	v_mul_f32_e32 v143, v8, v166
	v_fmac_f32_e32 v142, v182, v196
	v_add_f32_e32 v4, v5, v139
	v_fma_f32 v5, v8, v195, -v6
	v_add_f32_e32 v2, v2, v3
	v_fmac_f32_e32 v143, v9, v195
	v_add_f32_e32 v3, v4, v142
	v_add_f32_e32 v2, v2, v5
	;; [unrolled: 1-line block ×3, first 2 shown]
	s_waitcnt vmcnt(1)
	v_sub_f32_e32 v2, v199, v2
	s_waitcnt vmcnt(0)
	v_sub_f32_e32 v3, v200, v3
	buffer_store_dword v2, off, s[0:3], 0 offset:216
	buffer_store_dword v3, off, s[0:3], 0 offset:220
	v_cmpx_lt_u32_e32 26, v0
	s_cbranch_execz .LBB122_315
; %bb.314:
	s_clause 0x1
	buffer_load_dword v2, off, s[0:3], 0 offset:208
	buffer_load_dword v3, off, s[0:3], 0 offset:212
	buffer_store_dword v1, off, s[0:3], 0 offset:208
	buffer_store_dword v1, off, s[0:3], 0 offset:212
	s_waitcnt vmcnt(0)
	ds_write_b64 v131, v[2:3]
.LBB122_315:
	s_or_b32 exec_lo, exec_lo, s4
	s_waitcnt lgkmcnt(0)
	s_waitcnt_vscnt null, 0x0
	s_barrier
	buffer_gl0_inv
	s_clause 0x31
	buffer_load_dword v133, off, s[0:3], 0 offset:220
	buffer_load_dword v3, off, s[0:3], 0 offset:228
	buffer_load_dword v2, off, s[0:3], 0 offset:232
	buffer_load_dword v6, off, s[0:3], 0 offset:224
	buffer_load_dword v9, off, s[0:3], 0 offset:216
	buffer_load_dword v8, off, s[0:3], 0 offset:236
	buffer_load_dword v7, off, s[0:3], 0 offset:244
	buffer_load_dword v4, off, s[0:3], 0 offset:252
	buffer_load_dword v135, off, s[0:3], 0 offset:264
	buffer_load_dword v138, off, s[0:3], 0 offset:256
	buffer_load_dword v141, off, s[0:3], 0 offset:248
	buffer_load_dword v144, off, s[0:3], 0 offset:240
	buffer_load_dword v143, off, s[0:3], 0 offset:260
	buffer_load_dword v140, off, s[0:3], 0 offset:268
	buffer_load_dword v139, off, s[0:3], 0 offset:276
	buffer_load_dword v145, off, s[0:3], 0 offset:296
	buffer_load_dword v154, off, s[0:3], 0 offset:288
	buffer_load_dword v158, off, s[0:3], 0 offset:280
	buffer_load_dword v161, off, s[0:3], 0 offset:272
	buffer_load_dword v160, off, s[0:3], 0 offset:284
	buffer_load_dword v156, off, s[0:3], 0 offset:292
	buffer_load_dword v150, off, s[0:3], 0 offset:300
	buffer_load_dword v148, off, s[0:3], 0 offset:308
	buffer_load_dword v137, off, s[0:3], 0 offset:328
	buffer_load_dword v149, off, s[0:3], 0 offset:320
	buffer_load_dword v153, off, s[0:3], 0 offset:312
	buffer_load_dword v163, off, s[0:3], 0 offset:304
	buffer_load_dword v159, off, s[0:3], 0 offset:316
	buffer_load_dword v157, off, s[0:3], 0 offset:324
	buffer_load_dword v155, off, s[0:3], 0 offset:332
	buffer_load_dword v142, off, s[0:3], 0 offset:340
	buffer_load_dword v5, off, s[0:3], 0 offset:360
	buffer_load_dword v134, off, s[0:3], 0 offset:364
	buffer_load_dword v146, off, s[0:3], 0 offset:352
	buffer_load_dword v147, off, s[0:3], 0 offset:344
	buffer_load_dword v162, off, s[0:3], 0 offset:336
	buffer_load_dword v151, off, s[0:3], 0 offset:348
	buffer_load_dword v152, off, s[0:3], 0 offset:356
	buffer_load_dword v136, off, s[0:3], 0 offset:372
	buffer_load_dword v132, off, s[0:3], 0 offset:380
	buffer_load_dword v12, off, s[0:3], 0 offset:388
	buffer_load_dword v11, off, s[0:3], 0 offset:396
	buffer_load_dword v10, off, s[0:3], 0 offset:404
	buffer_load_dword v177, off, s[0:3], 0 offset:412
	buffer_load_dword v178, off, s[0:3], 0 offset:420
	buffer_load_dword v179, off, s[0:3], 0 offset:428
	buffer_load_dword v180, off, s[0:3], 0 offset:436
	buffer_load_dword v181, off, s[0:3], 0 offset:444
	buffer_load_dword v182, off, s[0:3], 0 offset:452
	buffer_load_dword v164, off, s[0:3], 0 offset:460
	ds_read2_b64 v[165:168], v1 offset0:87 offset1:88
	s_clause 0x1
	buffer_load_dword v183, off, s[0:3], 0 offset:468
	buffer_load_dword v184, off, s[0:3], 0 offset:368
	ds_read2_b64 v[169:172], v1 offset0:89 offset1:90
	s_clause 0x2
	buffer_load_dword v185, off, s[0:3], 0 offset:392
	buffer_load_dword v186, off, s[0:3], 0 offset:384
	;; [unrolled: 1-line block ×3, first 2 shown]
	ds_read2_b64 v[173:176], v1 offset0:91 offset1:92
	s_clause 0x4
	buffer_load_dword v188, off, s[0:3], 0 offset:424
	buffer_load_dword v189, off, s[0:3], 0 offset:416
	;; [unrolled: 1-line block ×5, first 2 shown]
	s_mov_b32 s4, exec_lo
	s_waitcnt vmcnt(59) lgkmcnt(2)
	v_mul_f32_e32 v192, v165, v133
	v_mul_f32_e32 v133, v166, v133
	s_waitcnt vmcnt(58)
	v_mul_f32_e32 v194, v167, v3
	v_mul_f32_e32 v3, v168, v3
	s_waitcnt vmcnt(55)
	v_fmac_f32_e32 v192, v166, v9
	v_fma_f32 v133, v165, v9, -v133
	v_fmac_f32_e32 v194, v168, v6
	v_fma_f32 v3, v167, v6, -v3
	ds_read2_b64 v[165:168], v1 offset0:93 offset1:94
	s_clause 0x3
	buffer_load_dword v198, off, s[0:3], 0 offset:456
	buffer_load_dword v199, off, s[0:3], 0 offset:448
	;; [unrolled: 1-line block ×4, first 2 shown]
	s_waitcnt vmcnt(57) lgkmcnt(2)
	v_mul_f32_e32 v196, v171, v7
	v_mul_f32_e32 v6, v172, v7
	s_waitcnt vmcnt(51) lgkmcnt(1)
	v_mul_f32_e32 v197, v175, v143
	buffer_load_dword v202, off, s[0:3], 0 offset:208
	v_mul_f32_e32 v195, v169, v8
	v_fmac_f32_e32 v196, v172, v144
	v_fma_f32 v144, v171, v144, -v6
	v_mul_f32_e32 v6, v176, v143
	v_mul_f32_e32 v8, v170, v8
	v_fmac_f32_e32 v195, v170, v2
	v_fmac_f32_e32 v197, v176, v138
	v_fma_f32 v143, v175, v138, -v6
	buffer_load_dword v175, off, s[0:3], 0 offset:464
	v_fma_f32 v2, v169, v2, -v8
	ds_read2_b64 v[6:9], v1 offset0:95 offset1:96
	v_mul_f32_e32 v169, v173, v4
	v_mul_f32_e32 v4, v174, v4
	s_waitcnt vmcnt(52) lgkmcnt(1)
	v_mul_f32_e32 v138, v166, v140
	v_fmac_f32_e32 v169, v174, v141
	v_fma_f32 v4, v173, v141, -v4
	v_mul_f32_e32 v173, v165, v140
	s_waitcnt vmcnt(51)
	v_mul_f32_e32 v174, v167, v139
	v_mul_f32_e32 v139, v168, v139
	v_fmac_f32_e32 v173, v166, v135
	v_fma_f32 v135, v165, v135, -v138
	s_waitcnt vmcnt(47)
	v_fmac_f32_e32 v174, v168, v161
	v_fma_f32 v161, v167, v161, -v139
	ds_read2_b64 v[138:141], v1 offset0:97 offset1:98
	ds_read2_b64 v[165:168], v1 offset0:101 offset1:102
	s_waitcnt vmcnt(46) lgkmcnt(2)
	v_mul_f32_e32 v176, v6, v160
	v_mul_f32_e32 v160, v7, v160
	v_fmac_f32_e32 v176, v7, v158
	v_fma_f32 v158, v6, v158, -v160
	v_add_f32_e32 v6, 0, v133
	s_waitcnt vmcnt(45)
	v_mul_f32_e32 v133, v8, v156
	v_mul_f32_e32 v7, v9, v156
	v_add_f32_e32 v3, v6, v3
	v_add_f32_e32 v6, 0, v192
	v_fmac_f32_e32 v133, v9, v154
	v_fma_f32 v192, v8, v154, -v7
	v_add_f32_e32 v2, v3, v2
	v_add_f32_e32 v156, v6, v194
	ds_read2_b64 v[6:9], v1 offset0:99 offset1:100
	s_waitcnt vmcnt(44) lgkmcnt(2)
	v_mul_f32_e32 v194, v138, v150
	v_add_f32_e32 v2, v2, v144
	v_add_f32_e32 v3, v156, v195
	v_mul_f32_e32 v144, v139, v150
	s_waitcnt vmcnt(43)
	v_mul_f32_e32 v150, v140, v148
	v_mul_f32_e32 v148, v141, v148
	v_add_f32_e32 v2, v2, v4
	v_add_f32_e32 v3, v3, v196
	v_fmac_f32_e32 v194, v139, v145
	v_fma_f32 v195, v138, v145, -v144
	s_waitcnt vmcnt(39)
	v_fmac_f32_e32 v150, v141, v163
	v_add_f32_e32 v2, v2, v143
	v_add_f32_e32 v3, v3, v169
	v_fma_f32 v4, v140, v163, -v148
	ds_read2_b64 v[138:141], v1 offset0:103 offset1:104
	ds_read2_b64 v[169:172], v1 offset0:105 offset1:106
	s_waitcnt vmcnt(36) lgkmcnt(3)
	v_mul_f32_e32 v145, v166, v155
	v_add_f32_e32 v2, v2, v135
	v_add_f32_e32 v3, v3, v197
	v_mul_f32_e32 v135, v165, v155
	s_waitcnt lgkmcnt(2)
	v_mul_f32_e32 v143, v7, v159
	v_mul_f32_e32 v148, v6, v159
	v_add_f32_e32 v2, v2, v161
	v_add_f32_e32 v3, v3, v173
	v_fmac_f32_e32 v135, v166, v137
	v_fma_f32 v161, v165, v137, -v145
	v_mul_f32_e32 v163, v8, v157
	v_add_f32_e32 v2, v2, v158
	v_add_f32_e32 v3, v3, v174
	v_mul_f32_e32 v144, v9, v157
	v_fma_f32 v196, v6, v153, -v143
	v_fmac_f32_e32 v148, v7, v153
	v_add_f32_e32 v2, v2, v192
	v_add_f32_e32 v3, v3, v176
	s_waitcnt vmcnt(29) lgkmcnt(1)
	v_mul_f32_e32 v165, v138, v151
	v_mul_f32_e32 v137, v139, v151
	s_waitcnt vmcnt(28)
	v_mul_f32_e32 v151, v141, v152
	v_add_f32_e32 v2, v2, v195
	v_add_f32_e32 v3, v3, v133
	v_mul_f32_e32 v133, v140, v152
	v_fmac_f32_e32 v165, v139, v147
	v_fmac_f32_e32 v163, v9, v149
	v_fma_f32 v149, v8, v149, -v144
	v_add_f32_e32 v3, v3, v194
	v_fmac_f32_e32 v133, v141, v146
	v_fma_f32 v141, v138, v147, -v137
	v_add_f32_e32 v147, v2, v4
	v_mul_f32_e32 v173, v167, v142
	v_add_f32_e32 v150, v3, v150
	v_mul_f32_e32 v142, v168, v142
	ds_read2_b64 v[6:9], v1 offset0:107 offset1:108
	ds_read2_b64 v[153:156], v1 offset0:109 offset1:110
	v_add_f32_e32 v147, v147, v196
	v_fmac_f32_e32 v173, v168, v162
	v_add_f32_e32 v148, v150, v148
	v_fma_f32 v162, v167, v162, -v142
	v_fma_f32 v146, v140, v146, -v151
	v_add_f32_e32 v147, v147, v149
	s_waitcnt lgkmcnt(2)
	v_mul_f32_e32 v151, v169, v134
	v_add_f32_e32 v148, v148, v163
	v_mul_f32_e32 v134, v170, v134
	s_waitcnt vmcnt(27)
	v_mul_f32_e32 v150, v171, v136
	v_add_f32_e32 v147, v147, v161
	v_mul_f32_e32 v136, v172, v136
	v_add_f32_e32 v135, v148, v135
	v_fmac_f32_e32 v151, v170, v5
	v_fma_f32 v5, v169, v5, -v134
	v_add_f32_e32 v147, v147, v162
	ds_read2_b64 v[142:145], v1 offset0:111 offset1:112
	ds_read2_b64 v[157:160], v1 offset0:113 offset1:114
	v_add_f32_e32 v135, v135, v173
	s_waitcnt vmcnt(26) lgkmcnt(3)
	v_mul_f32_e32 v149, v6, v132
	v_mul_f32_e32 v132, v7, v132
	v_add_f32_e32 v141, v147, v141
	s_waitcnt vmcnt(14)
	v_fmac_f32_e32 v150, v172, v184
	v_add_f32_e32 v135, v135, v165
	v_mul_f32_e32 v152, v8, v12
	v_mul_f32_e32 v12, v9, v12
	v_add_f32_e32 v141, v141, v146
	s_waitcnt vmcnt(11)
	v_fma_f32 v6, v6, v187, -v132
	v_add_f32_e32 v133, v135, v133
	v_fma_f32 v135, v171, v184, -v136
	v_fmac_f32_e32 v149, v7, v187
	v_add_f32_e32 v5, v141, v5
	s_waitcnt lgkmcnt(2)
	v_mul_f32_e32 v163, v153, v11
	v_add_f32_e32 v133, v133, v151
	v_mul_f32_e32 v11, v154, v11
	v_fma_f32 v8, v8, v186, -v12
	v_add_f32_e32 v5, v5, v135
	v_fmac_f32_e32 v152, v9, v186
	v_add_f32_e32 v7, v133, v150
	v_fma_f32 v9, v153, v185, -v11
	v_mul_f32_e32 v161, v155, v10
	v_add_f32_e32 v5, v5, v6
	v_fmac_f32_e32 v163, v154, v185
	v_add_f32_e32 v6, v7, v149
	v_mul_f32_e32 v7, v156, v10
	ds_read2_b64 v[137:140], v1 offset0:115 offset1:116
	ds_read2_b64 v[1:4], v1 offset0:117 offset1:118
	v_add_f32_e32 v5, v5, v8
	s_waitcnt lgkmcnt(3)
	v_mul_f32_e32 v8, v143, v177
	v_add_f32_e32 v6, v6, v152
	s_waitcnt vmcnt(7)
	v_fma_f32 v7, v155, v191, -v7
	v_mul_f32_e32 v148, v142, v177
	v_add_f32_e32 v5, v5, v9
	v_fmac_f32_e32 v161, v156, v191
	v_add_f32_e32 v6, v6, v163
	v_mul_f32_e32 v9, v145, v178
	v_fma_f32 v8, v142, v190, -v8
	v_add_f32_e32 v5, v5, v7
	v_mul_f32_e32 v166, v144, v178
	v_fmac_f32_e32 v148, v143, v190
	v_add_f32_e32 v6, v6, v161
	s_waitcnt lgkmcnt(2)
	v_mul_f32_e32 v7, v158, v179
	v_fma_f32 v9, v144, v189, -v9
	v_add_f32_e32 v5, v5, v8
	v_mul_f32_e32 v162, v157, v179
	v_fmac_f32_e32 v166, v145, v189
	v_add_f32_e32 v6, v6, v148
	v_mul_f32_e32 v8, v160, v180
	v_fma_f32 v7, v157, v188, -v7
	v_add_f32_e32 v5, v5, v9
	v_mul_f32_e32 v167, v159, v180
	v_fmac_f32_e32 v162, v158, v188
	v_add_f32_e32 v6, v6, v166
	s_waitcnt lgkmcnt(1)
	v_mul_f32_e32 v9, v138, v181
	v_add_f32_e32 v5, v5, v7
	v_mul_f32_e32 v168, v137, v181
	v_mul_f32_e32 v7, v140, v182
	v_add_f32_e32 v6, v6, v162
	v_mul_f32_e32 v147, v139, v182
	s_waitcnt lgkmcnt(0)
	v_mul_f32_e32 v165, v1, v164
	v_mul_f32_e32 v134, v3, v183
	s_waitcnt vmcnt(5)
	v_fmac_f32_e32 v165, v2, v198
	s_waitcnt vmcnt(4)
	v_fma_f32 v7, v139, v199, -v7
	s_waitcnt vmcnt(3)
	v_fma_f32 v9, v137, v200, -v9
	;; [unrolled: 2-line block ×3, first 2 shown]
	v_fmac_f32_e32 v167, v160, v201
	v_fmac_f32_e32 v168, v138, v200
	;; [unrolled: 1-line block ×3, first 2 shown]
	v_add_f32_e32 v5, v5, v8
	v_add_f32_e32 v6, v6, v167
	v_mul_f32_e32 v8, v2, v164
	v_add_f32_e32 v5, v5, v9
	v_add_f32_e32 v6, v6, v168
	v_mul_f32_e32 v9, v4, v183
	v_fma_f32 v1, v1, v198, -v8
	s_waitcnt vmcnt(0)
	v_fmac_f32_e32 v134, v4, v175
	v_add_f32_e32 v2, v5, v7
	v_add_f32_e32 v5, v6, v147
	v_fma_f32 v3, v3, v175, -v9
	v_add_f32_e32 v1, v2, v1
	v_add_f32_e32 v2, v5, v165
	;; [unrolled: 1-line block ×4, first 2 shown]
	v_sub_f32_e32 v1, v202, v1
	v_sub_f32_e32 v2, v193, v2
	buffer_store_dword v1, off, s[0:3], 0 offset:208
	buffer_store_dword v2, off, s[0:3], 0 offset:212
	v_cmpx_lt_u32_e32 25, v0
	s_cbranch_execz .LBB122_317
; %bb.316:
	s_clause 0x1
	buffer_load_dword v1, off, s[0:3], 0 offset:200
	buffer_load_dword v2, off, s[0:3], 0 offset:204
	v_mov_b32_e32 v3, 0
	buffer_store_dword v3, off, s[0:3], 0 offset:200
	buffer_store_dword v3, off, s[0:3], 0 offset:204
	s_waitcnt vmcnt(0)
	ds_write_b64 v131, v[1:2]
.LBB122_317:
	s_or_b32 exec_lo, exec_lo, s4
	s_waitcnt lgkmcnt(0)
	s_waitcnt_vscnt null, 0x0
	s_barrier
	buffer_gl0_inv
	s_clause 0x26
	buffer_load_dword v2, off, s[0:3], 0 offset:212
	buffer_load_dword v3, off, s[0:3], 0 offset:220
	;; [unrolled: 1-line block ×39, first 2 shown]
	v_mov_b32_e32 v1, 0
	s_clause 0x2
	buffer_load_dword v172, off, s[0:3], 0 offset:372
	buffer_load_dword v173, off, s[0:3], 0 offset:380
	;; [unrolled: 1-line block ×3, first 2 shown]
	s_mov_b32 s4, exec_lo
	ds_read_b128 v[4:7], v1 offset:688
	s_clause 0x1
	buffer_load_dword v175, off, s[0:3], 0 offset:396
	buffer_load_dword v176, off, s[0:3], 0 offset:404
	ds_read_b128 v[8:11], v1 offset:704
	s_clause 0xc
	buffer_load_dword v177, off, s[0:3], 0 offset:384
	buffer_load_dword v178, off, s[0:3], 0 offset:376
	;; [unrolled: 1-line block ×13, first 2 shown]
	ds_read_b128 v[132:135], v1 offset:720
	s_waitcnt vmcnt(56) lgkmcnt(2)
	v_mul_f32_e32 v190, v5, v2
	v_mul_f32_e32 v191, v4, v2
	s_waitcnt vmcnt(55)
	v_mul_f32_e32 v192, v6, v3
	v_mul_f32_e32 v2, v7, v3
	s_waitcnt vmcnt(54) lgkmcnt(1)
	v_mul_f32_e32 v193, v8, v12
	s_waitcnt vmcnt(51)
	v_fma_f32 v190, v4, v138, -v190
	v_fmac_f32_e32 v191, v5, v138
	v_fmac_f32_e32 v192, v7, v137
	v_fma_f32 v137, v6, v137, -v2
	ds_read_b128 v[2:5], v1 offset:736
	s_clause 0x3
	buffer_load_dword v194, off, s[0:3], 0 offset:416
	buffer_load_dword v195, off, s[0:3], 0 offset:408
	buffer_load_dword v196, off, s[0:3], 0 offset:400
	buffer_load_dword v197, off, s[0:3], 0 offset:392
	s_waitcnt vmcnt(54)
	v_mul_f32_e32 v138, v10, v139
	v_mul_f32_e32 v6, v11, v139
	;; [unrolled: 1-line block ×3, first 2 shown]
	v_fmac_f32_e32 v193, v9, v136
	s_waitcnt vmcnt(48) lgkmcnt(1)
	v_mul_f32_e32 v139, v135, v145
	v_fmac_f32_e32 v138, v11, v143
	v_fma_f32 v10, v10, v143, -v6
	v_mul_f32_e32 v11, v132, v144
	v_mul_f32_e32 v6, v133, v144
	v_fma_f32 v12, v8, v136, -v12
	v_mul_f32_e32 v136, v134, v145
	v_fma_f32 v139, v134, v141, -v139
	v_fmac_f32_e32 v11, v133, v142
	v_fma_f32 v142, v132, v142, -v6
	ds_read_b128 v[6:9], v1 offset:752
	s_clause 0x3
	buffer_load_dword v198, off, s[0:3], 0 offset:448
	buffer_load_dword v199, off, s[0:3], 0 offset:440
	;; [unrolled: 1-line block ×4, first 2 shown]
	v_fmac_f32_e32 v136, v135, v141
	v_add_f32_e32 v133, 0, v190
	s_waitcnt vmcnt(51) lgkmcnt(1)
	v_mul_f32_e32 v141, v2, v146
	v_mul_f32_e32 v132, v3, v146
	s_waitcnt vmcnt(50)
	v_mul_f32_e32 v143, v4, v147
	v_fmac_f32_e32 v141, v3, v140
	v_fma_f32 v140, v2, v140, -v132
	v_mul_f32_e32 v2, v5, v147
	s_waitcnt vmcnt(46)
	v_fmac_f32_e32 v143, v5, v151
	v_fma_f32 v144, v4, v151, -v2
	ds_read_b128 v[2:5], v1 offset:768
	s_waitcnt vmcnt(45) lgkmcnt(1)
	v_mul_f32_e32 v145, v6, v152
	v_mul_f32_e32 v132, v7, v152
	s_clause 0x1
	buffer_load_dword v152, off, s[0:3], 0 offset:464
	buffer_load_dword v190, off, s[0:3], 0 offset:456
	v_fmac_f32_e32 v145, v7, v150
	v_add_f32_e32 v7, 0, v191
	buffer_load_dword v191, off, s[0:3], 0 offset:200
	v_fma_f32 v146, v6, v150, -v132
	v_add_f32_e32 v6, v133, v137
	s_waitcnt vmcnt(47)
	v_mul_f32_e32 v132, v9, v153
	v_add_f32_e32 v7, v7, v192
	v_add_f32_e32 v6, v6, v12
	v_mul_f32_e32 v12, v8, v153
	v_add_f32_e32 v133, v7, v193
	v_fma_f32 v147, v8, v149, -v132
	s_waitcnt vmcnt(45) lgkmcnt(0)
	v_mul_f32_e32 v150, v4, v155
	v_add_f32_e32 v10, v6, v10
	v_fmac_f32_e32 v12, v9, v149
	v_add_f32_e32 v137, v133, v138
	v_mul_f32_e32 v149, v2, v154
	v_mul_f32_e32 v138, v3, v154
	v_add_f32_e32 v10, v10, v142
	ds_read_b128 v[6:9], v1 offset:784
	ds_read_b128 v[132:135], v1 offset:800
	v_add_f32_e32 v11, v137, v11
	v_mul_f32_e32 v137, v5, v155
	v_add_f32_e32 v10, v10, v139
	v_fmac_f32_e32 v149, v3, v148
	v_fma_f32 v148, v2, v148, -v138
	v_add_f32_e32 v11, v11, v136
	s_waitcnt vmcnt(41)
	v_fmac_f32_e32 v150, v5, v159
	v_add_f32_e32 v10, v10, v140
	v_fma_f32 v151, v4, v159, -v137
	ds_read_b128 v[2:5], v1 offset:816
	ds_read_b128 v[136:139], v1 offset:832
	v_add_f32_e32 v11, v11, v141
	v_add_f32_e32 v10, v10, v144
	v_add_f32_e32 v11, v11, v143
	v_add_f32_e32 v10, v10, v146
	s_waitcnt vmcnt(40) lgkmcnt(3)
	v_mul_f32_e32 v153, v6, v160
	v_mul_f32_e32 v140, v7, v160
	v_add_f32_e32 v11, v11, v145
	s_waitcnt vmcnt(39)
	v_mul_f32_e32 v154, v8, v161
	v_add_f32_e32 v10, v10, v147
	v_mul_f32_e32 v141, v9, v161
	v_fmac_f32_e32 v153, v7, v158
	v_add_f32_e32 v11, v11, v12
	v_fma_f32 v158, v6, v158, -v140
	v_add_f32_e32 v10, v10, v148
	s_waitcnt vmcnt(32) lgkmcnt(1)
	v_mul_f32_e32 v12, v2, v168
	v_mul_f32_e32 v148, v3, v168
	v_add_f32_e32 v11, v11, v149
	v_mul_f32_e32 v155, v132, v162
	v_mul_f32_e32 v144, v133, v162
	v_fmac_f32_e32 v12, v3, v166
	v_add_f32_e32 v3, v10, v151
	v_add_f32_e32 v10, v11, v150
	v_fmac_f32_e32 v154, v9, v157
	v_fma_f32 v157, v8, v157, -v141
	v_mul_f32_e32 v145, v135, v163
	v_add_f32_e32 v158, v3, v158
	v_add_f32_e32 v153, v10, v153
	v_fmac_f32_e32 v155, v133, v156
	v_fma_f32 v156, v132, v156, -v144
	v_mul_f32_e32 v159, v134, v163
	v_add_f32_e32 v157, v158, v157
	v_add_f32_e32 v153, v153, v154
	v_fma_f32 v160, v134, v167, -v145
	ds_read_b128 v[6:9], v1 offset:848
	ds_read_b128 v[140:143], v1 offset:864
	v_fmac_f32_e32 v159, v135, v167
	v_add_f32_e32 v156, v157, v156
	v_add_f32_e32 v153, v153, v155
	s_waitcnt vmcnt(31)
	v_mul_f32_e32 v161, v4, v169
	v_mul_f32_e32 v149, v5, v169
	v_fma_f32 v162, v2, v166, -v148
	v_add_f32_e32 v156, v156, v160
	v_add_f32_e32 v153, v153, v159
	v_fmac_f32_e32 v161, v5, v165
	v_fma_f32 v163, v4, v165, -v149
	s_waitcnt vmcnt(30) lgkmcnt(2)
	v_mul_f32_e32 v165, v137, v170
	v_add_f32_e32 v156, v156, v162
	v_mul_f32_e32 v158, v136, v170
	v_add_f32_e32 v12, v153, v12
	s_waitcnt vmcnt(29)
	v_mul_f32_e32 v166, v139, v171
	v_fma_f32 v136, v136, v164, -v165
	v_add_f32_e32 v156, v156, v163
	v_mul_f32_e32 v154, v138, v171
	v_fmac_f32_e32 v158, v137, v164
	v_add_f32_e32 v12, v12, v161
	s_waitcnt vmcnt(28) lgkmcnt(1)
	v_mul_f32_e32 v157, v6, v172
	v_mul_f32_e32 v164, v7, v172
	s_waitcnt vmcnt(20)
	v_fma_f32 v138, v138, v180, -v166
	v_add_f32_e32 v136, v156, v136
	ds_read_b128 v[132:135], v1 offset:880
	ds_read_b128 v[144:147], v1 offset:896
	v_fmac_f32_e32 v154, v139, v180
	v_add_f32_e32 v12, v12, v158
	v_mul_f32_e32 v161, v9, v173
	v_fmac_f32_e32 v157, v7, v179
	v_fma_f32 v6, v6, v179, -v164
	v_add_f32_e32 v7, v136, v138
	v_mul_f32_e32 v155, v8, v173
	v_add_f32_e32 v12, v12, v154
	s_waitcnt lgkmcnt(2)
	v_mul_f32_e32 v136, v141, v174
	v_fma_f32 v8, v8, v178, -v161
	v_add_f32_e32 v6, v7, v6
	v_mul_f32_e32 v137, v140, v174
	v_fmac_f32_e32 v155, v9, v178
	v_add_f32_e32 v7, v12, v157
	v_mul_f32_e32 v9, v143, v175
	v_fma_f32 v12, v140, v177, -v136
	v_add_f32_e32 v6, v6, v8
	v_mul_f32_e32 v160, v142, v175
	v_fmac_f32_e32 v137, v141, v177
	v_add_f32_e32 v7, v7, v155
	s_waitcnt lgkmcnt(1)
	v_mul_f32_e32 v8, v133, v176
	v_add_f32_e32 v6, v6, v12
	v_mul_f32_e32 v159, v132, v176
	ds_read_b128 v[2:5], v1 offset:912
	ds_read_b128 v[148:151], v1 offset:928
	ds_read_b64 v[10:11], v1 offset:944
	v_add_f32_e32 v7, v7, v137
	s_waitcnt vmcnt(19)
	v_mul_f32_e32 v12, v135, v181
	v_mul_f32_e32 v139, v134, v181
	s_waitcnt vmcnt(18) lgkmcnt(3)
	v_mul_f32_e32 v165, v144, v182
	s_waitcnt vmcnt(17)
	v_mul_f32_e32 v153, v146, v183
	s_waitcnt vmcnt(16) lgkmcnt(2)
	v_mul_f32_e32 v162, v2, v184
	s_waitcnt vmcnt(15)
	;; [unrolled: 4-line block ×4, first 2 shown]
	v_fmac_f32_e32 v165, v145, v194
	s_waitcnt vmcnt(9)
	v_fma_f32 v12, v134, v195, -v12
	s_waitcnt vmcnt(8)
	v_fma_f32 v8, v132, v196, -v8
	;; [unrolled: 2-line block ×3, first 2 shown]
	v_fmac_f32_e32 v160, v143, v197
	v_fmac_f32_e32 v159, v133, v196
	v_fmac_f32_e32 v139, v135, v195
	v_add_f32_e32 v6, v6, v9
	v_add_f32_e32 v7, v7, v160
	v_mul_f32_e32 v9, v145, v182
	v_add_f32_e32 v6, v6, v8
	v_add_f32_e32 v7, v7, v159
	v_mul_f32_e32 v8, v147, v183
	v_fma_f32 v9, v144, v194, -v9
	s_waitcnt vmcnt(5)
	v_fmac_f32_e32 v166, v5, v199
	v_add_f32_e32 v6, v6, v12
	v_add_f32_e32 v7, v7, v139
	v_mul_f32_e32 v12, v3, v184
	s_waitcnt vmcnt(3)
	v_fma_f32 v8, v146, v201, -v8
	v_fmac_f32_e32 v153, v147, v201
	v_add_f32_e32 v6, v6, v9
	v_add_f32_e32 v7, v7, v165
	v_mul_f32_e32 v9, v5, v185
	v_fmac_f32_e32 v162, v3, v200
	v_fma_f32 v2, v2, v200, -v12
	v_add_f32_e32 v3, v6, v8
	v_add_f32_e32 v6, v7, v153
	v_mul_f32_e32 v7, v149, v186
	v_fma_f32 v4, v4, v199, -v9
	v_mul_f32_e32 v5, v151, v187
	v_add_f32_e32 v2, v3, v2
	v_add_f32_e32 v3, v6, v162
	v_fma_f32 v6, v148, v198, -v7
	v_fmac_f32_e32 v163, v149, v198
	v_add_f32_e32 v2, v2, v4
	v_add_f32_e32 v3, v3, v166
	v_mul_f32_e32 v4, v11, v188
	s_waitcnt vmcnt(1)
	v_fma_f32 v5, v150, v190, -v5
	v_fmac_f32_e32 v167, v151, v190
	v_add_f32_e32 v2, v2, v6
	v_add_f32_e32 v3, v3, v163
	v_fma_f32 v4, v10, v152, -v4
	v_fmac_f32_e32 v156, v11, v152
	v_add_f32_e32 v2, v2, v5
	v_add_f32_e32 v3, v3, v167
	;; [unrolled: 1-line block ×4, first 2 shown]
	s_waitcnt vmcnt(0)
	v_sub_f32_e32 v2, v191, v2
	v_sub_f32_e32 v3, v189, v3
	buffer_store_dword v2, off, s[0:3], 0 offset:200
	buffer_store_dword v3, off, s[0:3], 0 offset:204
	v_cmpx_lt_u32_e32 24, v0
	s_cbranch_execz .LBB122_319
; %bb.318:
	s_clause 0x1
	buffer_load_dword v2, off, s[0:3], 0 offset:192
	buffer_load_dword v3, off, s[0:3], 0 offset:196
	buffer_store_dword v1, off, s[0:3], 0 offset:192
	buffer_store_dword v1, off, s[0:3], 0 offset:196
	s_waitcnt vmcnt(0)
	ds_write_b64 v131, v[2:3]
.LBB122_319:
	s_or_b32 exec_lo, exec_lo, s4
	s_waitcnt lgkmcnt(0)
	s_waitcnt_vscnt null, 0x0
	s_barrier
	buffer_gl0_inv
	s_clause 0x24
	buffer_load_dword v10, off, s[0:3], 0 offset:204
	buffer_load_dword v11, off, s[0:3], 0 offset:212
	;; [unrolled: 1-line block ×37, first 2 shown]
	ds_read2_b64 v[2:5], v1 offset0:85 offset1:86
	s_clause 0x1
	buffer_load_dword v178, off, s[0:3], 0 offset:348
	buffer_load_dword v179, off, s[0:3], 0 offset:356
	ds_read2_b64 v[6:9], v1 offset0:87 offset1:88
	s_clause 0xa
	buffer_load_dword v180, off, s[0:3], 0 offset:364
	buffer_load_dword v181, off, s[0:3], 0 offset:372
	;; [unrolled: 1-line block ×11, first 2 shown]
	ds_read2_b64 v[132:135], v1 offset0:89 offset1:90
	ds_read2_b64 v[136:139], v1 offset0:91 offset1:92
	;; [unrolled: 1-line block ×3, first 2 shown]
	s_clause 0x7
	buffer_load_dword v193, off, s[0:3], 0 offset:196
	buffer_load_dword v194, off, s[0:3], 0 offset:420
	;; [unrolled: 1-line block ×8, first 2 shown]
	s_mov_b32 s4, exec_lo
	s_waitcnt vmcnt(57) lgkmcnt(4)
	v_mul_f32_e32 v191, v3, v10
	v_mul_f32_e32 v10, v2, v10
	s_waitcnt vmcnt(56)
	v_mul_f32_e32 v192, v4, v11
	v_mul_f32_e32 v11, v5, v11
	s_waitcnt vmcnt(53)
	v_fma_f32 v191, v2, v145, -v191
	v_fmac_f32_e32 v10, v3, v145
	v_fmac_f32_e32 v192, v5, v144
	v_fma_f32 v11, v4, v144, -v11
	s_waitcnt vmcnt(52) lgkmcnt(3)
	v_mul_f32_e32 v144, v6, v146
	v_mul_f32_e32 v2, v7, v146
	s_waitcnt vmcnt(51)
	v_mul_f32_e32 v3, v9, v147
	v_mul_f32_e32 v145, v8, v147
	s_waitcnt vmcnt(46) lgkmcnt(2)
	v_mul_f32_e32 v146, v132, v152
	v_fmac_f32_e32 v144, v7, v12
	v_fma_f32 v6, v6, v12, -v2
	v_fma_f32 v12, v8, v151, -v3
	v_mul_f32_e32 v2, v133, v152
	s_waitcnt vmcnt(45)
	v_mul_f32_e32 v147, v134, v153
	v_mul_f32_e32 v3, v135, v153
	s_clause 0x3
	buffer_load_dword v152, off, s[0:3], 0 offset:408
	buffer_load_dword v153, off, s[0:3], 0 offset:400
	;; [unrolled: 1-line block ×4, first 2 shown]
	v_fmac_f32_e32 v145, v9, v151
	v_fmac_f32_e32 v146, v133, v150
	v_fma_f32 v132, v132, v150, -v2
	v_fmac_f32_e32 v147, v135, v149
	v_fma_f32 v149, v134, v149, -v3
	s_waitcnt vmcnt(48) lgkmcnt(1)
	v_mul_f32_e32 v150, v136, v154
	v_mul_f32_e32 v2, v137, v154
	s_waitcnt vmcnt(47)
	v_mul_f32_e32 v151, v138, v155
	v_mul_f32_e32 v3, v139, v155
	s_waitcnt vmcnt(42) lgkmcnt(0)
	v_mul_f32_e32 v154, v140, v160
	v_mul_f32_e32 v7, v141, v160
	s_waitcnt vmcnt(41)
	v_mul_f32_e32 v155, v142, v161
	v_mul_f32_e32 v8, v143, v161
	v_fmac_f32_e32 v150, v137, v148
	v_fma_f32 v136, v136, v148, -v2
	v_fmac_f32_e32 v151, v139, v159
	v_fma_f32 v148, v138, v159, -v3
	ds_read2_b64 v[2:5], v1 offset0:95 offset1:96
	v_fmac_f32_e32 v154, v141, v158
	v_fma_f32 v140, v140, v158, -v7
	v_fmac_f32_e32 v155, v143, v157
	v_fma_f32 v141, v142, v157, -v8
	s_clause 0x7
	buffer_load_dword v157, off, s[0:3], 0 offset:440
	buffer_load_dword v158, off, s[0:3], 0 offset:432
	;; [unrolled: 1-line block ×8, first 2 shown]
	v_add_f32_e32 v7, 0, v191
	v_add_f32_e32 v8, 0, v10
	;; [unrolled: 1-line block ×4, first 2 shown]
	s_waitcnt vmcnt(48) lgkmcnt(0)
	v_mul_f32_e32 v10, v2, v162
	v_mul_f32_e32 v9, v3, v162
	v_fmac_f32_e32 v10, v3, v156
	v_fma_f32 v11, v2, v156, -v9
	v_add_f32_e32 v2, v7, v6
	v_add_f32_e32 v3, v8, v144
	ds_read2_b64 v[6:9], v1 offset0:97 offset1:98
	s_waitcnt vmcnt(47)
	v_mul_f32_e32 v156, v4, v163
	v_add_f32_e32 v12, v2, v12
	v_mul_f32_e32 v2, v5, v163
	v_add_f32_e32 v133, v3, v145
	s_waitcnt vmcnt(43)
	v_fmac_f32_e32 v156, v5, v167
	v_add_f32_e32 v12, v12, v132
	v_fma_f32 v162, v4, v167, -v2
	ds_read2_b64 v[2:5], v1 offset0:99 offset1:100
	v_add_f32_e32 v137, v133, v146
	ds_read2_b64 v[132:135], v1 offset0:101 offset1:102
	v_add_f32_e32 v12, v12, v149
	v_add_f32_e32 v137, v137, v147
	;; [unrolled: 1-line block ×3, first 2 shown]
	s_waitcnt vmcnt(42) lgkmcnt(2)
	v_mul_f32_e32 v138, v7, v168
	v_mul_f32_e32 v149, v6, v168
	s_waitcnt vmcnt(41)
	v_mul_f32_e32 v142, v9, v169
	v_fma_f32 v163, v6, v166, -v138
	v_add_f32_e32 v6, v137, v150
	v_fmac_f32_e32 v149, v7, v166
	v_add_f32_e32 v7, v12, v148
	v_mul_f32_e32 v12, v8, v169
	s_waitcnt vmcnt(40) lgkmcnt(1)
	v_mul_f32_e32 v166, v2, v170
	v_add_f32_e32 v6, v6, v151
	v_mul_f32_e32 v143, v3, v170
	v_add_f32_e32 v7, v7, v140
	ds_read2_b64 v[136:139], v1 offset0:103 offset1:104
	v_fmac_f32_e32 v166, v3, v164
	v_add_f32_e32 v6, v6, v154
	v_fma_f32 v164, v2, v164, -v143
	v_add_f32_e32 v2, v7, v141
	v_fma_f32 v148, v8, v165, -v142
	v_fmac_f32_e32 v12, v9, v165
	v_add_f32_e32 v3, v6, v155
	s_waitcnt vmcnt(39)
	v_mul_f32_e32 v144, v5, v171
	v_add_f32_e32 v11, v2, v11
	v_mul_f32_e32 v167, v4, v171
	s_waitcnt vmcnt(38) lgkmcnt(1)
	v_mul_f32_e32 v145, v133, v172
	v_add_f32_e32 v10, v3, v10
	s_waitcnt vmcnt(34)
	v_fma_f32 v155, v4, v176, -v144
	v_add_f32_e32 v11, v11, v162
	v_mul_f32_e32 v154, v132, v172
	ds_read2_b64 v[6:9], v1 offset0:105 offset1:106
	ds_read2_b64 v[140:143], v1 offset0:107 offset1:108
	v_add_f32_e32 v10, v10, v156
	v_fmac_f32_e32 v167, v5, v176
	v_add_f32_e32 v11, v11, v163
	v_fma_f32 v165, v132, v175, -v145
	s_waitcnt vmcnt(33)
	v_mul_f32_e32 v132, v135, v177
	v_add_f32_e32 v10, v10, v149
	v_fmac_f32_e32 v154, v133, v175
	v_add_f32_e32 v11, v11, v148
	v_mul_f32_e32 v162, v134, v177
	s_waitcnt vmcnt(32) lgkmcnt(2)
	v_mul_f32_e32 v133, v137, v178
	v_add_f32_e32 v10, v10, v12
	v_fma_f32 v169, v134, v174, -v132
	v_add_f32_e32 v11, v11, v164
	v_mul_f32_e32 v156, v136, v178
	v_fmac_f32_e32 v162, v135, v174
	v_add_f32_e32 v10, v10, v166
	s_waitcnt vmcnt(31)
	v_mul_f32_e32 v168, v139, v179
	v_add_f32_e32 v11, v11, v155
	v_fma_f32 v170, v136, v173, -v133
	v_mul_f32_e32 v163, v138, v179
	v_add_f32_e32 v10, v10, v167
	v_fmac_f32_e32 v156, v137, v173
	v_add_f32_e32 v11, v11, v165
	s_waitcnt vmcnt(24)
	v_fma_f32 v168, v138, v186, -v168
	s_waitcnt lgkmcnt(1)
	v_mul_f32_e32 v12, v7, v180
	v_add_f32_e32 v10, v10, v154
	ds_read2_b64 v[2:5], v1 offset0:109 offset1:110
	ds_read2_b64 v[144:147], v1 offset0:111 offset1:112
	v_add_f32_e32 v11, v11, v169
	ds_read2_b64 v[132:135], v1 offset0:113 offset1:114
	ds_read2_b64 v[148:151], v1 offset0:115 offset1:116
	v_fmac_f32_e32 v163, v139, v186
	v_add_f32_e32 v10, v10, v162
	ds_read2_b64 v[136:139], v1 offset0:117 offset1:118
	v_add_f32_e32 v11, v11, v170
	v_mul_f32_e32 v1, v6, v180
	v_mul_f32_e32 v166, v9, v181
	v_add_f32_e32 v10, v10, v156
	v_fma_f32 v6, v6, v185, -v12
	v_add_f32_e32 v11, v11, v168
	v_mul_f32_e32 v164, v8, v181
	v_fmac_f32_e32 v1, v7, v185
	v_add_f32_e32 v10, v10, v163
	s_waitcnt lgkmcnt(5)
	v_mul_f32_e32 v12, v141, v182
	v_fma_f32 v8, v8, v184, -v166
	v_add_f32_e32 v6, v11, v6
	v_mul_f32_e32 v155, v140, v182
	v_fmac_f32_e32 v164, v9, v184
	v_add_f32_e32 v1, v10, v1
	s_waitcnt vmcnt(23)
	v_mul_f32_e32 v9, v143, v187
	v_fma_f32 v10, v140, v183, -v12
	v_add_f32_e32 v6, v6, v8
	v_mul_f32_e32 v167, v142, v187
	v_fmac_f32_e32 v155, v141, v183
	v_add_f32_e32 v1, v1, v164
	s_waitcnt vmcnt(22) lgkmcnt(4)
	v_mul_f32_e32 v171, v2, v188
	v_mul_f32_e32 v8, v3, v188
	v_add_f32_e32 v6, v6, v10
	s_waitcnt vmcnt(21)
	v_mul_f32_e32 v10, v5, v189
	v_add_f32_e32 v1, v1, v155
	v_mul_f32_e32 v165, v4, v189
	s_waitcnt vmcnt(20) lgkmcnt(3)
	v_mul_f32_e32 v154, v144, v190
	s_waitcnt vmcnt(18)
	v_mul_f32_e32 v172, v146, v194
	s_waitcnt vmcnt(17) lgkmcnt(2)
	v_mul_f32_e32 v169, v132, v195
	s_waitcnt vmcnt(16)
	;; [unrolled: 4-line block ×4, first 2 shown]
	v_mul_f32_e32 v7, v138, v200
	s_waitcnt vmcnt(11)
	v_fmac_f32_e32 v154, v145, v152
	s_waitcnt vmcnt(10)
	v_fma_f32 v4, v4, v153, -v10
	s_waitcnt vmcnt(9)
	v_fmac_f32_e32 v171, v3, v201
	s_waitcnt vmcnt(8)
	v_fma_f32 v9, v142, v202, -v9
	v_fmac_f32_e32 v167, v143, v202
	v_fma_f32 v2, v2, v201, -v8
	v_fmac_f32_e32 v165, v5, v153
	v_add_f32_e32 v3, v6, v9
	v_add_f32_e32 v1, v1, v167
	v_mul_f32_e32 v6, v145, v190
	v_add_f32_e32 v2, v3, v2
	v_add_f32_e32 v1, v1, v171
	v_mul_f32_e32 v3, v147, v194
	v_fma_f32 v5, v144, v152, -v6
	v_add_f32_e32 v2, v2, v4
	v_add_f32_e32 v1, v1, v165
	v_mul_f32_e32 v4, v133, v195
	s_waitcnt vmcnt(5)
	v_fmac_f32_e32 v169, v133, v159
	s_waitcnt vmcnt(4)
	v_fma_f32 v3, v146, v160, -v3
	v_add_f32_e32 v2, v2, v5
	v_fmac_f32_e32 v172, v147, v160
	v_add_f32_e32 v1, v1, v154
	v_mul_f32_e32 v5, v135, v196
	v_fma_f32 v4, v132, v159, -v4
	v_add_f32_e32 v2, v2, v3
	v_mul_f32_e32 v3, v149, v197
	v_add_f32_e32 v1, v1, v172
	v_fma_f32 v5, v134, v158, -v5
	v_fmac_f32_e32 v162, v135, v158
	v_add_f32_e32 v2, v2, v4
	v_mul_f32_e32 v4, v151, v198
	v_add_f32_e32 v1, v1, v169
	v_fma_f32 v3, v148, v157, -v3
	v_fmac_f32_e32 v173, v149, v157
	v_add_f32_e32 v2, v2, v5
	v_mul_f32_e32 v5, v137, v199
	v_add_f32_e32 v1, v1, v162
	s_waitcnt vmcnt(1)
	v_fma_f32 v4, v150, v204, -v4
	v_fmac_f32_e32 v170, v151, v204
	v_add_f32_e32 v2, v2, v3
	v_mul_f32_e32 v3, v139, v200
	v_add_f32_e32 v1, v1, v173
	v_fma_f32 v5, v136, v203, -v5
	v_fmac_f32_e32 v156, v137, v203
	v_add_f32_e32 v2, v2, v4
	v_fma_f32 v3, v138, v161, -v3
	v_add_f32_e32 v1, v1, v170
	v_fmac_f32_e32 v7, v139, v161
	v_add_f32_e32 v2, v2, v5
	v_add_f32_e32 v1, v1, v156
	;; [unrolled: 1-line block ×4, first 2 shown]
	s_waitcnt vmcnt(0)
	v_sub_f32_e32 v2, v205, v2
	v_sub_f32_e32 v1, v193, v1
	buffer_store_dword v2, off, s[0:3], 0 offset:192
	buffer_store_dword v1, off, s[0:3], 0 offset:196
	v_cmpx_lt_u32_e32 23, v0
	s_cbranch_execz .LBB122_321
; %bb.320:
	s_clause 0x1
	buffer_load_dword v1, off, s[0:3], 0 offset:184
	buffer_load_dword v2, off, s[0:3], 0 offset:188
	v_mov_b32_e32 v3, 0
	buffer_store_dword v3, off, s[0:3], 0 offset:184
	buffer_store_dword v3, off, s[0:3], 0 offset:188
	s_waitcnt vmcnt(0)
	ds_write_b64 v131, v[1:2]
.LBB122_321:
	s_or_b32 exec_lo, exec_lo, s4
	s_waitcnt lgkmcnt(0)
	s_waitcnt_vscnt null, 0x0
	s_barrier
	buffer_gl0_inv
	s_clause 0x23
	buffer_load_dword v2, off, s[0:3], 0 offset:196
	buffer_load_dword v3, off, s[0:3], 0 offset:204
	;; [unrolled: 1-line block ×36, first 2 shown]
	v_mov_b32_e32 v1, 0
	s_clause 0x1
	buffer_load_dword v173, off, s[0:3], 0 offset:332
	buffer_load_dword v174, off, s[0:3], 0 offset:340
	s_mov_b32 s4, exec_lo
	ds_read_b128 v[4:7], v1 offset:672
	s_clause 0x7
	buffer_load_dword v175, off, s[0:3], 0 offset:348
	buffer_load_dword v176, off, s[0:3], 0 offset:356
	;; [unrolled: 1-line block ×8, first 2 shown]
	ds_read_b128 v[8:11], v1 offset:688
	s_clause 0x3
	buffer_load_dword v183, off, s[0:3], 0 offset:380
	buffer_load_dword v184, off, s[0:3], 0 offset:388
	;; [unrolled: 1-line block ×4, first 2 shown]
	ds_read_b128 v[132:135], v1 offset:704
	s_clause 0x4
	buffer_load_dword v187, off, s[0:3], 0 offset:412
	buffer_load_dword v188, off, s[0:3], 0 offset:420
	;; [unrolled: 1-line block ×5, first 2 shown]
	ds_read_b128 v[136:139], v1 offset:720
	s_waitcnt vmcnt(54) lgkmcnt(3)
	v_mul_f32_e32 v192, v5, v2
	v_mul_f32_e32 v193, v4, v2
	s_waitcnt vmcnt(53)
	v_mul_f32_e32 v194, v6, v3
	v_mul_f32_e32 v2, v7, v3
	s_waitcnt vmcnt(50)
	v_fma_f32 v192, v4, v141, -v192
	v_fmac_f32_e32 v193, v5, v141
	v_fmac_f32_e32 v194, v7, v140
	v_fma_f32 v140, v6, v140, -v2
	ds_read_b128 v[2:5], v1 offset:736
	s_waitcnt vmcnt(49) lgkmcnt(3)
	v_mul_f32_e32 v141, v8, v142
	v_mul_f32_e32 v6, v9, v142
	s_clause 0x7
	buffer_load_dword v196, off, s[0:3], 0 offset:444
	buffer_load_dword v197, off, s[0:3], 0 offset:452
	;; [unrolled: 1-line block ×8, first 2 shown]
	s_waitcnt vmcnt(56)
	v_mul_f32_e32 v142, v10, v143
	v_mul_f32_e32 v7, v11, v143
	s_waitcnt vmcnt(55) lgkmcnt(2)
	v_mul_f32_e32 v143, v132, v144
	v_mul_f32_e32 v144, v133, v144
	v_fmac_f32_e32 v141, v9, v12
	v_fma_f32 v12, v8, v12, -v6
	s_waitcnt vmcnt(54)
	v_mul_f32_e32 v6, v135, v145
	v_mul_f32_e32 v195, v134, v145
	s_waitcnt vmcnt(50)
	v_fmac_f32_e32 v142, v11, v149
	v_fma_f32 v11, v132, v148, -v144
	s_waitcnt vmcnt(49) lgkmcnt(1)
	v_mul_f32_e32 v144, v136, v150
	v_fma_f32 v132, v134, v147, -v6
	v_mul_f32_e32 v6, v137, v150
	v_fma_f32 v10, v10, v149, -v7
	v_fmac_f32_e32 v143, v133, v148
	v_fmac_f32_e32 v195, v135, v147
	s_waitcnt vmcnt(48)
	v_mul_f32_e32 v145, v138, v151
	v_mul_f32_e32 v7, v139, v151
	v_fmac_f32_e32 v144, v137, v146
	v_fma_f32 v136, v136, v146, -v6
	s_waitcnt vmcnt(43) lgkmcnt(0)
	v_mul_f32_e32 v146, v2, v156
	v_mul_f32_e32 v133, v3, v156
	s_waitcnt vmcnt(42)
	v_mul_f32_e32 v147, v4, v157
	v_mul_f32_e32 v134, v5, v157
	v_fmac_f32_e32 v145, v139, v155
	v_fma_f32 v137, v138, v155, -v7
	ds_read_b128 v[6:9], v1 offset:752
	v_fmac_f32_e32 v146, v3, v154
	v_fma_f32 v148, v2, v154, -v133
	v_fmac_f32_e32 v147, v5, v153
	v_fma_f32 v149, v4, v153, -v134
	s_clause 0x3
	buffer_load_dword v153, off, s[0:3], 0 offset:432
	buffer_load_dword v154, off, s[0:3], 0 offset:424
	;; [unrolled: 1-line block ×4, first 2 shown]
	v_add_f32_e32 v2, 0, v192
	s_clause 0x3
	buffer_load_dword v157, off, s[0:3], 0 offset:464
	buffer_load_dword v192, off, s[0:3], 0 offset:456
	;; [unrolled: 1-line block ×4, first 2 shown]
	v_add_f32_e32 v3, 0, v193
	buffer_load_dword v193, off, s[0:3], 0 offset:184
	v_add_f32_e32 v2, v2, v140
	v_add_f32_e32 v3, v3, v194
	;; [unrolled: 1-line block ×4, first 2 shown]
	s_waitcnt vmcnt(50) lgkmcnt(0)
	v_mul_f32_e32 v12, v6, v158
	v_mul_f32_e32 v4, v7, v158
	v_fmac_f32_e32 v12, v7, v152
	v_fma_f32 v140, v6, v152, -v4
	v_add_f32_e32 v6, v2, v10
	v_add_f32_e32 v7, v3, v142
	ds_read_b128 v[2:5], v1 offset:768
	v_add_f32_e32 v10, v6, v11
	s_waitcnt vmcnt(49)
	v_mul_f32_e32 v11, v8, v159
	v_mul_f32_e32 v6, v9, v159
	v_add_f32_e32 v133, v7, v143
	v_add_f32_e32 v10, v10, v132
	s_waitcnt vmcnt(45)
	v_fmac_f32_e32 v11, v9, v163
	v_fma_f32 v150, v8, v163, -v6
	ds_read_b128 v[6:9], v1 offset:784
	v_add_f32_e32 v138, v133, v195
	ds_read_b128 v[132:135], v1 offset:800
	v_add_f32_e32 v10, v10, v136
	v_add_f32_e32 v138, v138, v144
	;; [unrolled: 1-line block ×3, first 2 shown]
	s_waitcnt vmcnt(44) lgkmcnt(2)
	v_mul_f32_e32 v136, v3, v164
	v_mul_f32_e32 v151, v2, v164
	s_waitcnt vmcnt(43)
	v_mul_f32_e32 v141, v5, v165
	v_fma_f32 v152, v2, v162, -v136
	v_add_f32_e32 v2, v138, v145
	v_fmac_f32_e32 v151, v3, v162
	v_add_f32_e32 v3, v10, v148
	ds_read_b128 v[136:139], v1 offset:816
	v_mul_f32_e32 v10, v4, v165
	v_add_f32_e32 v2, v2, v146
	s_waitcnt vmcnt(42) lgkmcnt(2)
	v_mul_f32_e32 v142, v7, v166
	v_add_f32_e32 v3, v3, v149
	v_mul_f32_e32 v158, v6, v166
	s_waitcnt vmcnt(40) lgkmcnt(1)
	v_mul_f32_e32 v162, v132, v168
	v_add_f32_e32 v2, v2, v147
	v_fma_f32 v149, v6, v160, -v142
	v_add_f32_e32 v6, v3, v140
	v_fmac_f32_e32 v158, v7, v160
	s_waitcnt vmcnt(37)
	v_fmac_f32_e32 v162, v133, v171
	v_add_f32_e32 v7, v2, v12
	v_mul_f32_e32 v12, v133, v168
	v_add_f32_e32 v133, v6, v150
	v_fma_f32 v148, v4, v161, -v141
	v_fmac_f32_e32 v10, v5, v161
	v_add_f32_e32 v11, v7, v11
	v_fma_f32 v12, v132, v171, -v12
	v_add_f32_e32 v132, v133, v152
	v_mul_f32_e32 v144, v9, v167
	v_mul_f32_e32 v159, v8, v167
	v_add_f32_e32 v11, v11, v151
	ds_read_b128 v[2:5], v1 offset:832
	ds_read_b128 v[140:143], v1 offset:848
	v_add_f32_e32 v132, v132, v148
	s_waitcnt vmcnt(36)
	v_fma_f32 v160, v8, v172, -v144
	v_fmac_f32_e32 v159, v9, v172
	v_add_f32_e32 v10, v11, v10
	s_waitcnt vmcnt(35)
	v_mul_f32_e32 v133, v135, v173
	v_add_f32_e32 v167, v132, v149
	v_mul_f32_e32 v152, v134, v173
	s_waitcnt vmcnt(34) lgkmcnt(2)
	v_mul_f32_e32 v148, v137, v174
	v_add_f32_e32 v158, v10, v158
	v_fma_f32 v165, v134, v170, -v133
	v_add_f32_e32 v160, v167, v160
	v_mul_f32_e32 v161, v136, v174
	v_fmac_f32_e32 v152, v135, v170
	v_add_f32_e32 v158, v158, v159
	s_waitcnt vmcnt(33)
	v_mul_f32_e32 v164, v139, v175
	v_add_f32_e32 v12, v160, v12
	v_fma_f32 v166, v136, v169, -v148
	v_mul_f32_e32 v163, v138, v175
	v_add_f32_e32 v158, v158, v162
	v_fmac_f32_e32 v161, v137, v169
	v_add_f32_e32 v12, v12, v165
	s_waitcnt vmcnt(26)
	v_fma_f32 v164, v138, v182, -v164
	s_waitcnt lgkmcnt(1)
	v_mul_f32_e32 v168, v3, v176
	v_add_f32_e32 v152, v158, v152
	ds_read_b128 v[6:9], v1 offset:864
	ds_read_b128 v[144:147], v1 offset:880
	v_add_f32_e32 v12, v12, v166
	v_fmac_f32_e32 v163, v139, v182
	v_mul_f32_e32 v167, v2, v176
	v_add_f32_e32 v152, v152, v161
	v_mul_f32_e32 v169, v5, v177
	v_fma_f32 v2, v2, v181, -v168
	v_add_f32_e32 v12, v12, v164
	v_mul_f32_e32 v159, v4, v177
	v_fmac_f32_e32 v167, v3, v181
	v_add_f32_e32 v152, v152, v163
	s_waitcnt lgkmcnt(2)
	v_mul_f32_e32 v168, v141, v178
	v_fma_f32 v4, v4, v180, -v169
	v_add_f32_e32 v2, v12, v2
	v_mul_f32_e32 v160, v140, v178
	v_fmac_f32_e32 v159, v5, v180
	v_add_f32_e32 v12, v152, v167
	s_waitcnt vmcnt(25)
	v_mul_f32_e32 v163, v143, v183
	v_fma_f32 v140, v140, v179, -v168
	v_add_f32_e32 v2, v2, v4
	v_mul_f32_e32 v162, v142, v183
	v_fmac_f32_e32 v160, v141, v179
	v_add_f32_e32 v4, v12, v159
	s_waitcnt vmcnt(24) lgkmcnt(1)
	v_mul_f32_e32 v12, v7, v184
	v_add_f32_e32 v2, v2, v140
	ds_read_b128 v[132:135], v1 offset:896
	ds_read_b128 v[148:151], v1 offset:912
	v_mul_f32_e32 v3, v6, v184
	v_add_f32_e32 v4, v4, v160
	s_waitcnt vmcnt(23)
	v_mul_f32_e32 v140, v9, v185
	v_mul_f32_e32 v165, v8, v185
	s_waitcnt vmcnt(22) lgkmcnt(2)
	v_mul_f32_e32 v158, v144, v186
	s_waitcnt vmcnt(21)
	v_mul_f32_e32 v5, v146, v187
	ds_read_b128 v[136:139], v1 offset:928
	ds_read_b64 v[10:11], v1 offset:944
	s_waitcnt vmcnt(20) lgkmcnt(3)
	v_mul_f32_e32 v169, v132, v188
	s_waitcnt vmcnt(19)
	v_mul_f32_e32 v161, v134, v189
	s_waitcnt vmcnt(18) lgkmcnt(2)
	v_mul_f32_e32 v166, v148, v190
	s_waitcnt vmcnt(16)
	v_mul_f32_e32 v170, v150, v196
	s_waitcnt vmcnt(12)
	v_fmac_f32_e32 v158, v145, v200
	s_waitcnt vmcnt(11)
	v_fma_f32 v8, v8, v201, -v140
	s_waitcnt vmcnt(10)
	v_fma_f32 v6, v6, v202, -v12
	;; [unrolled: 2-line block ×3, first 2 shown]
	v_fmac_f32_e32 v162, v143, v203
	v_fmac_f32_e32 v3, v7, v202
	v_mul_f32_e32 v7, v145, v186
	v_fmac_f32_e32 v165, v9, v201
	v_add_f32_e32 v2, v2, v141
	v_add_f32_e32 v4, v4, v162
	s_waitcnt lgkmcnt(1)
	v_mul_f32_e32 v164, v136, v197
	v_mul_f32_e32 v171, v138, v198
	s_waitcnt lgkmcnt(0)
	v_mul_f32_e32 v152, v10, v199
	v_add_f32_e32 v2, v2, v6
	v_add_f32_e32 v3, v4, v3
	v_mul_f32_e32 v4, v147, v187
	v_fma_f32 v6, v144, v200, -v7
	v_mul_f32_e32 v7, v133, v188
	v_add_f32_e32 v2, v2, v8
	v_add_f32_e32 v3, v3, v165
	;; [unrolled: 1-line block ×4, first 2 shown]
	v_mul_f32_e32 v6, v135, v189
	s_waitcnt vmcnt(8)
	v_fmac_f32_e32 v166, v149, v153
	s_waitcnt vmcnt(7)
	v_fmac_f32_e32 v161, v135, v154
	s_waitcnt vmcnt(6)
	v_fma_f32 v7, v132, v155, -v7
	s_waitcnt vmcnt(5)
	v_fma_f32 v4, v146, v156, -v4
	v_fmac_f32_e32 v5, v147, v156
	v_fmac_f32_e32 v169, v133, v155
	s_waitcnt vmcnt(1)
	v_fmac_f32_e32 v170, v151, v205
	v_fmac_f32_e32 v164, v137, v204
	v_add_f32_e32 v2, v2, v4
	v_add_f32_e32 v3, v3, v5
	v_mul_f32_e32 v4, v149, v190
	v_fma_f32 v5, v134, v154, -v6
	v_mul_f32_e32 v6, v151, v196
	v_add_f32_e32 v2, v2, v7
	v_add_f32_e32 v3, v3, v169
	v_fma_f32 v4, v148, v153, -v4
	v_fmac_f32_e32 v171, v139, v192
	v_fma_f32 v6, v150, v205, -v6
	v_add_f32_e32 v2, v2, v5
	v_add_f32_e32 v3, v3, v161
	v_mul_f32_e32 v5, v137, v197
	v_fmac_f32_e32 v152, v11, v157
	v_add_f32_e32 v2, v2, v4
	v_add_f32_e32 v3, v3, v166
	v_mul_f32_e32 v4, v139, v198
	v_fma_f32 v5, v136, v204, -v5
	v_add_f32_e32 v2, v2, v6
	v_add_f32_e32 v3, v3, v170
	v_mul_f32_e32 v6, v11, v199
	v_fma_f32 v4, v138, v192, -v4
	v_add_f32_e32 v2, v2, v5
	v_add_f32_e32 v3, v3, v164
	v_fma_f32 v5, v10, v157, -v6
	v_add_f32_e32 v2, v2, v4
	v_add_f32_e32 v3, v3, v171
	;; [unrolled: 1-line block ×4, first 2 shown]
	s_waitcnt vmcnt(0)
	v_sub_f32_e32 v2, v193, v2
	v_sub_f32_e32 v3, v191, v3
	buffer_store_dword v2, off, s[0:3], 0 offset:184
	buffer_store_dword v3, off, s[0:3], 0 offset:188
	v_cmpx_lt_u32_e32 22, v0
	s_cbranch_execz .LBB122_323
; %bb.322:
	s_clause 0x1
	buffer_load_dword v2, off, s[0:3], 0 offset:176
	buffer_load_dword v3, off, s[0:3], 0 offset:180
	buffer_store_dword v1, off, s[0:3], 0 offset:176
	buffer_store_dword v1, off, s[0:3], 0 offset:180
	s_waitcnt vmcnt(0)
	ds_write_b64 v131, v[2:3]
.LBB122_323:
	s_or_b32 exec_lo, exec_lo, s4
	s_waitcnt lgkmcnt(0)
	s_waitcnt_vscnt null, 0x0
	s_barrier
	buffer_gl0_inv
	s_clause 0x23
	buffer_load_dword v140, off, s[0:3], 0 offset:188
	buffer_load_dword v141, off, s[0:3], 0 offset:196
	buffer_load_dword v144, off, s[0:3], 0 offset:200
	buffer_load_dword v142, off, s[0:3], 0 offset:192
	buffer_load_dword v143, off, s[0:3], 0 offset:184
	buffer_load_dword v145, off, s[0:3], 0 offset:204
	buffer_load_dword v146, off, s[0:3], 0 offset:212
	buffer_load_dword v147, off, s[0:3], 0 offset:220
	buffer_load_dword v148, off, s[0:3], 0 offset:228
	buffer_load_dword v149, off, s[0:3], 0 offset:232
	buffer_load_dword v150, off, s[0:3], 0 offset:224
	buffer_load_dword v151, off, s[0:3], 0 offset:216
	buffer_load_dword v152, off, s[0:3], 0 offset:208
	buffer_load_dword v153, off, s[0:3], 0 offset:236
	buffer_load_dword v154, off, s[0:3], 0 offset:244
	buffer_load_dword v155, off, s[0:3], 0 offset:252
	buffer_load_dword v156, off, s[0:3], 0 offset:264
	buffer_load_dword v157, off, s[0:3], 0 offset:256
	buffer_load_dword v158, off, s[0:3], 0 offset:248
	buffer_load_dword v159, off, s[0:3], 0 offset:240
	buffer_load_dword v160, off, s[0:3], 0 offset:260
	buffer_load_dword v161, off, s[0:3], 0 offset:268
	buffer_load_dword v162, off, s[0:3], 0 offset:276
	buffer_load_dword v163, off, s[0:3], 0 offset:296
	buffer_load_dword v164, off, s[0:3], 0 offset:288
	buffer_load_dword v165, off, s[0:3], 0 offset:280
	buffer_load_dword v166, off, s[0:3], 0 offset:272
	buffer_load_dword v167, off, s[0:3], 0 offset:284
	buffer_load_dword v168, off, s[0:3], 0 offset:292
	buffer_load_dword v169, off, s[0:3], 0 offset:300
	buffer_load_dword v170, off, s[0:3], 0 offset:308
	buffer_load_dword v171, off, s[0:3], 0 offset:328
	buffer_load_dword v172, off, s[0:3], 0 offset:320
	buffer_load_dword v173, off, s[0:3], 0 offset:312
	buffer_load_dword v174, off, s[0:3], 0 offset:304
	buffer_load_dword v175, off, s[0:3], 0 offset:316
	ds_read2_b64 v[5:8], v1 offset0:83 offset1:84
	s_clause 0x2
	buffer_load_dword v176, off, s[0:3], 0 offset:324
	buffer_load_dword v177, off, s[0:3], 0 offset:332
	;; [unrolled: 1-line block ×3, first 2 shown]
	ds_read2_b64 v[9:12], v1 offset0:85 offset1:86
	s_clause 0x3
	buffer_load_dword v179, off, s[0:3], 0 offset:372
	buffer_load_dword v4, off, s[0:3], 0 offset:380
	buffer_load_dword v3, off, s[0:3], 0 offset:388
	buffer_load_dword v2, off, s[0:3], 0 offset:396
	ds_read2_b64 v[132:135], v1 offset0:87 offset1:88
	s_clause 0x6
	buffer_load_dword v180, off, s[0:3], 0 offset:348
	buffer_load_dword v181, off, s[0:3], 0 offset:356
	;; [unrolled: 1-line block ×7, first 2 shown]
	ds_read2_b64 v[136:139], v1 offset0:89 offset1:90
	buffer_load_dword v190, off, s[0:3], 0 offset:180
	s_mov_b32 s4, exec_lo
	s_waitcnt vmcnt(50) lgkmcnt(3)
	v_mul_f32_e32 v187, v6, v140
	v_mul_f32_e32 v188, v5, v140
	s_waitcnt vmcnt(49)
	v_mul_f32_e32 v189, v7, v141
	v_mul_f32_e32 v140, v8, v141
	s_waitcnt vmcnt(46)
	v_fma_f32 v187, v5, v143, -v187
	v_fmac_f32_e32 v188, v6, v143
	v_fmac_f32_e32 v189, v8, v142
	v_fma_f32 v191, v7, v142, -v140
	ds_read2_b64 v[5:8], v1 offset0:91 offset1:92
	ds_read2_b64 v[140:143], v1 offset0:93 offset1:94
	s_waitcnt vmcnt(45) lgkmcnt(4)
	v_mul_f32_e32 v192, v9, v145
	v_mul_f32_e32 v145, v10, v145
	s_waitcnt vmcnt(43) lgkmcnt(3)
	v_mul_f32_e32 v194, v132, v147
	v_mul_f32_e32 v147, v133, v147
	;; [unrolled: 1-line block ×3, first 2 shown]
	v_fmac_f32_e32 v192, v10, v144
	v_fma_f32 v144, v9, v144, -v145
	s_waitcnt vmcnt(42)
	v_mul_f32_e32 v9, v135, v148
	v_mul_f32_e32 v146, v12, v146
	;; [unrolled: 1-line block ×3, first 2 shown]
	s_waitcnt vmcnt(39)
	v_fmac_f32_e32 v194, v133, v151
	v_fma_f32 v132, v132, v151, -v147
	v_fma_f32 v133, v134, v150, -v9
	s_waitcnt vmcnt(37) lgkmcnt(2)
	v_mul_f32_e32 v134, v136, v153
	v_mul_f32_e32 v9, v137, v153
	s_waitcnt vmcnt(36)
	v_mul_f32_e32 v147, v138, v154
	v_mul_f32_e32 v10, v139, v154
	v_fmac_f32_e32 v193, v12, v152
	v_fma_f32 v146, v11, v152, -v146
	s_clause 0x3
	buffer_load_dword v152, off, s[0:3], 0 offset:404
	buffer_load_dword v195, off, s[0:3], 0 offset:412
	buffer_load_dword v196, off, s[0:3], 0 offset:420
	buffer_load_dword v197, off, s[0:3], 0 offset:428
	v_fmac_f32_e32 v145, v135, v150
	s_clause 0x4
	buffer_load_dword v198, off, s[0:3], 0 offset:436
	buffer_load_dword v199, off, s[0:3], 0 offset:444
	;; [unrolled: 1-line block ×5, first 2 shown]
	v_fmac_f32_e32 v134, v137, v149
	v_fma_f32 v135, v136, v149, -v9
	s_waitcnt vmcnt(44) lgkmcnt(1)
	v_mul_f32_e32 v136, v5, v155
	v_mul_f32_e32 v9, v6, v155
	s_waitcnt vmcnt(40)
	v_fmac_f32_e32 v147, v139, v159
	v_fma_f32 v137, v138, v159, -v10
	s_waitcnt vmcnt(39)
	v_mul_f32_e32 v148, v7, v160
	v_mul_f32_e32 v10, v8, v160
	s_clause 0x3
	buffer_load_dword v154, off, s[0:3], 0 offset:392
	buffer_load_dword v155, off, s[0:3], 0 offset:384
	;; [unrolled: 1-line block ×4, first 2 shown]
	v_fmac_f32_e32 v136, v6, v158
	v_fma_f32 v138, v5, v158, -v9
	v_fmac_f32_e32 v148, v8, v157
	v_fma_f32 v149, v7, v157, -v10
	ds_read2_b64 v[5:8], v1 offset0:95 offset1:96
	s_waitcnt vmcnt(42) lgkmcnt(1)
	v_mul_f32_e32 v150, v140, v161
	v_mul_f32_e32 v9, v141, v161
	s_waitcnt vmcnt(41)
	v_mul_f32_e32 v151, v142, v162
	v_mul_f32_e32 v10, v143, v162
	v_fmac_f32_e32 v150, v141, v156
	v_fma_f32 v140, v140, v156, -v9
	s_clause 0x3
	buffer_load_dword v156, off, s[0:3], 0 offset:424
	buffer_load_dword v157, off, s[0:3], 0 offset:416
	;; [unrolled: 1-line block ×4, first 2 shown]
	v_add_f32_e32 v9, 0, v187
	s_waitcnt vmcnt(41)
	v_fmac_f32_e32 v151, v143, v166
	v_fma_f32 v141, v142, v166, -v10
	v_add_f32_e32 v10, 0, v188
	v_add_f32_e32 v139, v9, v191
	;; [unrolled: 1-line block ×3, first 2 shown]
	ds_read2_b64 v[9:12], v1 offset0:97 offset1:98
	v_add_f32_e32 v139, v139, v144
	s_waitcnt vmcnt(40) lgkmcnt(1)
	v_mul_f32_e32 v144, v5, v167
	v_mul_f32_e32 v143, v6, v167
	v_add_f32_e32 v142, v142, v192
	s_waitcnt vmcnt(39)
	v_mul_f32_e32 v191, v7, v168
	v_fmac_f32_e32 v144, v6, v165
	v_fma_f32 v162, v5, v165, -v143
	s_clause 0x5
	buffer_load_dword v165, off, s[0:3], 0 offset:456
	buffer_load_dword v166, off, s[0:3], 0 offset:448
	;; [unrolled: 1-line block ×6, first 2 shown]
	v_add_f32_e32 v5, v139, v146
	v_add_f32_e32 v6, v142, v193
	v_fmac_f32_e32 v191, v8, v164
	v_add_f32_e32 v5, v5, v132
	v_add_f32_e32 v6, v6, v194
	v_mul_f32_e32 v132, v8, v168
	s_waitcnt vmcnt(43) lgkmcnt(0)
	v_mul_f32_e32 v143, v12, v170
	v_mul_f32_e32 v168, v9, v169
	v_add_f32_e32 v5, v5, v133
	v_add_f32_e32 v133, v6, v145
	v_fma_f32 v164, v7, v164, -v132
	v_fmac_f32_e32 v168, v10, v163
	v_add_f32_e32 v139, v5, v135
	ds_read2_b64 v[5:8], v1 offset0:99 offset1:100
	v_add_f32_e32 v142, v133, v134
	ds_read2_b64 v[132:135], v1 offset0:101 offset1:102
	v_add_f32_e32 v137, v139, v137
	v_mul_f32_e32 v139, v10, v169
	v_add_f32_e32 v142, v142, v147
	v_mul_f32_e32 v169, v11, v170
	s_waitcnt vmcnt(39)
	v_fma_f32 v170, v11, v174, -v143
	v_add_f32_e32 v145, v137, v138
	v_fma_f32 v163, v9, v163, -v139
	v_add_f32_e32 v142, v142, v136
	v_fmac_f32_e32 v169, v12, v174
	ds_read2_b64 v[9:12], v1 offset0:103 offset1:104
	ds_read2_b64 v[136:139], v1 offset0:105 offset1:106
	v_add_f32_e32 v143, v145, v149
	v_add_f32_e32 v142, v142, v148
	;; [unrolled: 1-line block ×3, first 2 shown]
	s_waitcnt vmcnt(38) lgkmcnt(3)
	v_mul_f32_e32 v174, v5, v175
	v_mul_f32_e32 v145, v6, v175
	s_waitcnt vmcnt(37)
	v_mul_f32_e32 v175, v7, v176
	v_mul_f32_e32 v146, v8, v176
	v_add_f32_e32 v142, v142, v150
	v_fmac_f32_e32 v174, v6, v173
	v_fma_f32 v173, v5, v173, -v145
	v_add_f32_e32 v145, v140, v141
	v_fmac_f32_e32 v175, v8, v172
	v_fma_f32 v172, v7, v172, -v146
	v_add_f32_e32 v146, v142, v151
	s_waitcnt vmcnt(35) lgkmcnt(2)
	v_mul_f32_e32 v148, v135, v178
	v_add_f32_e32 v149, v145, v162
	s_waitcnt vmcnt(30) lgkmcnt(1)
	v_mul_f32_e32 v150, v10, v180
	v_mul_f32_e32 v176, v132, v177
	;; [unrolled: 1-line block ×3, first 2 shown]
	s_waitcnt vmcnt(24)
	v_fma_f32 v162, v134, v186, -v148
	v_add_f32_e32 v148, v146, v144
	v_add_f32_e32 v149, v149, v164
	v_mul_f32_e32 v164, v9, v180
	v_fmac_f32_e32 v176, v133, v171
	v_fma_f32 v171, v132, v171, -v147
	v_add_f32_e32 v148, v148, v191
	v_mul_f32_e32 v177, v134, v178
	v_fmac_f32_e32 v164, v10, v185
	v_add_f32_e32 v10, v149, v163
	ds_read2_b64 v[5:8], v1 offset0:107 offset1:108
	ds_read2_b64 v[140:143], v1 offset0:109 offset1:110
	v_add_f32_e32 v148, v148, v168
	v_fmac_f32_e32 v177, v135, v186
	v_mul_f32_e32 v151, v12, v181
	v_add_f32_e32 v170, v10, v170
	v_fma_f32 v163, v9, v185, -v150
	v_add_f32_e32 v169, v148, v169
	v_mul_f32_e32 v178, v11, v181
	v_fma_f32 v168, v11, v184, -v151
	v_add_f32_e32 v170, v170, v173
	s_waitcnt lgkmcnt(2)
	v_mul_f32_e32 v173, v137, v182
	v_add_f32_e32 v169, v169, v174
	ds_read2_b64 v[132:135], v1 offset0:111 offset1:112
	ds_read2_b64 v[144:147], v1 offset0:113 offset1:114
	v_fmac_f32_e32 v178, v12, v184
	v_add_f32_e32 v170, v170, v172
	ds_read2_b64 v[9:12], v1 offset0:115 offset1:116
	ds_read2_b64 v[148:151], v1 offset0:117 offset1:118
	v_add_f32_e32 v169, v169, v175
	v_mul_f32_e32 v1, v136, v182
	v_mul_f32_e32 v174, v138, v179
	v_add_f32_e32 v170, v170, v171
	v_mul_f32_e32 v179, v139, v179
	v_add_f32_e32 v169, v169, v176
	v_fma_f32 v136, v136, v183, -v173
	v_fmac_f32_e32 v1, v137, v183
	v_add_f32_e32 v162, v170, v162
	s_waitcnt lgkmcnt(5)
	v_mul_f32_e32 v172, v5, v4
	v_add_f32_e32 v169, v169, v177
	v_mul_f32_e32 v4, v6, v4
	v_mul_f32_e32 v175, v7, v3
	v_add_f32_e32 v162, v162, v163
	v_mul_f32_e32 v3, v8, v3
	v_add_f32_e32 v164, v169, v164
	s_waitcnt lgkmcnt(4)
	v_mul_f32_e32 v180, v140, v2
	v_mul_f32_e32 v2, v141, v2
	v_add_f32_e32 v162, v162, v168
	v_add_f32_e32 v164, v164, v178
	;; [unrolled: 1-line block ×4, first 2 shown]
	s_waitcnt vmcnt(22)
	v_mul_f32_e32 v171, v142, v152
	s_waitcnt vmcnt(21) lgkmcnt(3)
	v_mul_f32_e32 v176, v132, v195
	s_waitcnt vmcnt(20)
	v_mul_f32_e32 v181, v134, v196
	s_waitcnt vmcnt(19) lgkmcnt(2)
	v_mul_f32_e32 v170, v144, v197
	;; [unrolled: 4-line block ×4, first 2 shown]
	s_waitcnt vmcnt(14)
	v_mul_f32_e32 v137, v150, v153
	s_waitcnt vmcnt(13)
	v_fma_f32 v2, v140, v154, -v2
	s_waitcnt vmcnt(12)
	v_fma_f32 v3, v7, v155, -v3
	;; [unrolled: 2-line block ×4, first 2 shown]
	v_fmac_f32_e32 v174, v139, v160
	v_fmac_f32_e32 v172, v6, v159
	;; [unrolled: 1-line block ×4, first 2 shown]
	v_add_f32_e32 v5, v136, v138
	v_add_f32_e32 v1, v1, v174
	;; [unrolled: 1-line block ×4, first 2 shown]
	v_mul_f32_e32 v5, v143, v152
	s_waitcnt vmcnt(6)
	v_fmac_f32_e32 v171, v143, v161
	v_fmac_f32_e32 v176, v133, v158
	v_add_f32_e32 v3, v4, v3
	v_add_f32_e32 v1, v1, v175
	v_mul_f32_e32 v4, v133, v195
	v_fma_f32 v5, v142, v161, -v5
	v_fmac_f32_e32 v181, v135, v157
	v_add_f32_e32 v2, v3, v2
	v_add_f32_e32 v1, v1, v180
	v_mul_f32_e32 v3, v135, v196
	v_fma_f32 v4, v132, v158, -v4
	;; [unrolled: 5-line block ×3, first 2 shown]
	s_waitcnt vmcnt(5)
	v_fmac_f32_e32 v169, v149, v165
	v_add_f32_e32 v2, v2, v4
	v_add_f32_e32 v1, v1, v176
	v_mul_f32_e32 v4, v147, v198
	v_fma_f32 v5, v144, v156, -v5
	s_waitcnt vmcnt(2)
	v_fmac_f32_e32 v177, v147, v187
	v_add_f32_e32 v2, v2, v3
	v_add_f32_e32 v1, v1, v181
	v_mul_f32_e32 v3, v10, v199
	v_fma_f32 v4, v146, v187, -v4
	v_fmac_f32_e32 v182, v10, v167
	v_add_f32_e32 v2, v2, v5
	v_add_f32_e32 v1, v1, v170
	v_mul_f32_e32 v5, v12, v200
	v_fma_f32 v3, v9, v167, -v3
	;; [unrolled: 5-line block ×3, first 2 shown]
	s_waitcnt vmcnt(1)
	v_fmac_f32_e32 v137, v151, v188
	v_add_f32_e32 v2, v2, v3
	v_add_f32_e32 v1, v1, v182
	v_mul_f32_e32 v3, v151, v153
	v_fma_f32 v4, v148, v165, -v4
	v_add_f32_e32 v2, v2, v5
	v_add_f32_e32 v1, v1, v163
	v_fma_f32 v3, v150, v188, -v3
	v_add_f32_e32 v2, v2, v4
	v_add_f32_e32 v1, v1, v169
	;; [unrolled: 1-line block ×4, first 2 shown]
	s_waitcnt vmcnt(0)
	v_sub_f32_e32 v2, v189, v2
	v_sub_f32_e32 v1, v190, v1
	buffer_store_dword v2, off, s[0:3], 0 offset:176
	buffer_store_dword v1, off, s[0:3], 0 offset:180
	v_cmpx_lt_u32_e32 21, v0
	s_cbranch_execz .LBB122_325
; %bb.324:
	s_clause 0x1
	buffer_load_dword v1, off, s[0:3], 0 offset:168
	buffer_load_dword v2, off, s[0:3], 0 offset:172
	v_mov_b32_e32 v3, 0
	buffer_store_dword v3, off, s[0:3], 0 offset:168
	buffer_store_dword v3, off, s[0:3], 0 offset:172
	s_waitcnt vmcnt(0)
	ds_write_b64 v131, v[1:2]
.LBB122_325:
	s_or_b32 exec_lo, exec_lo, s4
	s_waitcnt lgkmcnt(0)
	s_waitcnt_vscnt null, 0x0
	s_barrier
	buffer_gl0_inv
	s_clause 0x25
	buffer_load_dword v2, off, s[0:3], 0 offset:180
	buffer_load_dword v3, off, s[0:3], 0 offset:188
	;; [unrolled: 1-line block ×38, first 2 shown]
	v_mov_b32_e32 v1, 0
	ds_read_b128 v[4:7], v1 offset:656
	ds_read_b128 v[8:11], v1 offset:672
	s_clause 0x10
	buffer_load_dword v175, off, s[0:3], 0 offset:332
	buffer_load_dword v176, off, s[0:3], 0 offset:340
	;; [unrolled: 1-line block ×17, first 2 shown]
	ds_read_b128 v[132:135], v1 offset:688
	ds_read_b128 v[136:139], v1 offset:704
	s_mov_b32 s4, exec_lo
	s_waitcnt vmcnt(54) lgkmcnt(3)
	v_mul_f32_e32 v192, v5, v2
	v_mul_f32_e32 v193, v4, v2
	s_waitcnt vmcnt(53)
	v_mul_f32_e32 v194, v6, v3
	v_mul_f32_e32 v2, v7, v3
	s_waitcnt vmcnt(52) lgkmcnt(2)
	v_mul_f32_e32 v195, v8, v12
	v_mul_f32_e32 v3, v9, v12
	s_waitcnt vmcnt(49)
	v_fma_f32 v12, v4, v142, -v192
	s_waitcnt vmcnt(48)
	v_mul_f32_e32 v4, v11, v143
	v_fmac_f32_e32 v193, v5, v142
	v_mul_f32_e32 v142, v10, v143
	v_fmac_f32_e32 v194, v7, v141
	v_fma_f32 v141, v6, v141, -v2
	v_fmac_f32_e32 v195, v9, v140
	v_fma_f32 v140, v8, v140, -v3
	s_waitcnt vmcnt(44)
	v_fma_f32 v10, v10, v147, -v4
	ds_read_b128 v[2:5], v1 offset:720
	ds_read_b128 v[6:9], v1 offset:736
	v_fmac_f32_e32 v142, v11, v147
	s_waitcnt vmcnt(43) lgkmcnt(3)
	v_mul_f32_e32 v11, v132, v148
	v_mul_f32_e32 v143, v133, v148
	s_waitcnt vmcnt(42)
	v_mul_f32_e32 v147, v134, v149
	v_mul_f32_e32 v148, v135, v149
	s_waitcnt vmcnt(41) lgkmcnt(2)
	v_mul_f32_e32 v149, v136, v150
	v_mul_f32_e32 v150, v137, v150
	v_fmac_f32_e32 v11, v133, v146
	v_fma_f32 v132, v132, v146, -v143
	s_waitcnt vmcnt(40)
	v_mul_f32_e32 v133, v138, v151
	v_mul_f32_e32 v143, v139, v151
	v_fmac_f32_e32 v147, v135, v145
	v_fma_f32 v134, v134, v145, -v148
	v_fmac_f32_e32 v149, v137, v144
	v_fma_f32 v135, v136, v144, -v150
	s_waitcnt vmcnt(36)
	v_fmac_f32_e32 v133, v139, v155
	v_fma_f32 v136, v138, v155, -v143
	s_clause 0x3
	buffer_load_dword v192, off, s[0:3], 0 offset:396
	buffer_load_dword v196, off, s[0:3], 0 offset:404
	;; [unrolled: 1-line block ×4, first 2 shown]
	s_waitcnt vmcnt(39) lgkmcnt(1)
	v_mul_f32_e32 v137, v2, v156
	v_mul_f32_e32 v138, v3, v156
	s_waitcnt vmcnt(38)
	v_mul_f32_e32 v139, v4, v157
	v_mul_f32_e32 v143, v5, v157
	s_waitcnt vmcnt(37) lgkmcnt(0)
	v_mul_f32_e32 v145, v7, v158
	s_clause 0x3
	buffer_load_dword v155, off, s[0:3], 0 offset:428
	buffer_load_dword v199, off, s[0:3], 0 offset:436
	;; [unrolled: 1-line block ×4, first 2 shown]
	v_fmac_f32_e32 v137, v3, v154
	v_fma_f32 v138, v2, v154, -v138
	v_mul_f32_e32 v144, v6, v158
	v_fmac_f32_e32 v139, v5, v153
	v_fma_f32 v143, v4, v153, -v143
	ds_read_b128 v[2:5], v1 offset:752
	v_fma_f32 v145, v6, v152, -v145
	s_waitcnt vmcnt(40)
	v_mul_f32_e32 v6, v9, v159
	s_clause 0x1
	buffer_load_dword v156, off, s[0:3], 0 offset:460
	buffer_load_dword v153, off, s[0:3], 0 offset:468
	v_fmac_f32_e32 v144, v7, v152
	v_mul_f32_e32 v146, v8, v159
	s_waitcnt vmcnt(38)
	v_fma_f32 v148, v8, v163, -v6
	v_add_f32_e32 v6, 0, v12
	s_clause 0x3
	buffer_load_dword v12, off, s[0:3], 0 offset:416
	buffer_load_dword v152, off, s[0:3], 0 offset:408
	;; [unrolled: 1-line block ×4, first 2 shown]
	v_add_f32_e32 v7, 0, v193
	v_fmac_f32_e32 v146, v9, v163
	v_add_f32_e32 v6, v6, v141
	v_add_f32_e32 v141, v7, v194
	;; [unrolled: 1-line block ×3, first 2 shown]
	ds_read_b128 v[6:9], v1 offset:768
	s_waitcnt vmcnt(41) lgkmcnt(1)
	v_mul_f32_e32 v150, v2, v164
	v_mul_f32_e32 v151, v3, v164
	v_add_f32_e32 v141, v141, v195
	v_add_f32_e32 v10, v140, v10
	v_fmac_f32_e32 v150, v3, v162
	v_fma_f32 v140, v2, v162, -v151
	s_clause 0x6
	buffer_load_dword v158, off, s[0:3], 0 offset:448
	buffer_load_dword v159, off, s[0:3], 0 offset:440
	;; [unrolled: 1-line block ×7, first 2 shown]
	v_add_f32_e32 v2, v141, v142
	v_add_f32_e32 v3, v10, v132
	s_waitcnt vmcnt(47)
	v_mul_f32_e32 v10, v4, v165
	v_add_f32_e32 v2, v2, v11
	v_add_f32_e32 v3, v3, v134
	v_mul_f32_e32 v11, v5, v165
	v_fmac_f32_e32 v10, v5, v161
	s_waitcnt vmcnt(45) lgkmcnt(0)
	v_mul_f32_e32 v151, v8, v167
	v_add_f32_e32 v2, v2, v147
	v_add_f32_e32 v3, v3, v135
	v_fma_f32 v11, v4, v161, -v11
	s_waitcnt vmcnt(41)
	v_fmac_f32_e32 v151, v9, v171
	v_add_f32_e32 v132, v2, v149
	v_add_f32_e32 v136, v3, v136
	ds_read_b128 v[2:5], v1 offset:784
	v_mul_f32_e32 v149, v6, v166
	v_add_f32_e32 v141, v132, v133
	v_add_f32_e32 v136, v136, v138
	v_mul_f32_e32 v138, v7, v166
	ds_read_b128 v[132:135], v1 offset:800
	v_fmac_f32_e32 v149, v7, v160
	v_add_f32_e32 v137, v141, v137
	v_mul_f32_e32 v141, v9, v167
	v_add_f32_e32 v142, v136, v143
	v_fma_f32 v160, v6, v160, -v138
	v_fma_f32 v161, v8, v171, -v141
	v_add_f32_e32 v141, v137, v139
	v_add_f32_e32 v142, v142, v145
	ds_read_b128 v[6:9], v1 offset:816
	ds_read_b128 v[136:139], v1 offset:832
	v_add_f32_e32 v141, v141, v144
	s_waitcnt vmcnt(39) lgkmcnt(3)
	v_mul_f32_e32 v166, v4, v173
	v_mul_f32_e32 v144, v5, v173
	v_add_f32_e32 v142, v142, v148
	v_mul_f32_e32 v143, v3, v172
	v_add_f32_e32 v141, v141, v146
	v_fmac_f32_e32 v166, v5, v169
	v_fma_f32 v169, v4, v169, -v144
	v_add_f32_e32 v144, v142, v140
	v_mul_f32_e32 v165, v2, v172
	v_add_f32_e32 v146, v141, v150
	v_fma_f32 v148, v2, v170, -v143
	s_waitcnt vmcnt(38) lgkmcnt(2)
	v_mul_f32_e32 v167, v132, v174
	v_add_f32_e32 v11, v144, v11
	v_fmac_f32_e32 v165, v3, v170
	v_add_f32_e32 v10, v146, v10
	v_mul_f32_e32 v145, v133, v174
	s_waitcnt vmcnt(37)
	v_mul_f32_e32 v147, v135, v175
	v_add_f32_e32 v11, v11, v160
	s_waitcnt vmcnt(36) lgkmcnt(1)
	v_mul_f32_e32 v160, v6, v176
	v_add_f32_e32 v10, v10, v149
	v_mul_f32_e32 v149, v7, v176
	v_fmac_f32_e32 v167, v133, v168
	v_fma_f32 v168, v132, v168, -v145
	s_waitcnt vmcnt(31)
	v_fmac_f32_e32 v160, v7, v181
	v_add_f32_e32 v7, v11, v161
	v_add_f32_e32 v10, v10, v151
	v_mul_f32_e32 v171, v134, v175
	s_waitcnt vmcnt(30)
	v_fma_f32 v170, v134, v182, -v147
	ds_read_b128 v[2:5], v1 offset:848
	ds_read_b128 v[140:143], v1 offset:864
	v_add_f32_e32 v174, v7, v148
	v_add_f32_e32 v165, v10, v165
	v_fmac_f32_e32 v171, v135, v182
	v_mul_f32_e32 v150, v9, v177
	v_fma_f32 v161, v6, v181, -v149
	v_add_f32_e32 v169, v174, v169
	v_add_f32_e32 v165, v165, v166
	v_mul_f32_e32 v172, v8, v177
	v_fma_f32 v173, v8, v180, -v150
	s_waitcnt lgkmcnt(2)
	v_mul_f32_e32 v175, v137, v178
	v_add_f32_e32 v168, v169, v168
	v_add_f32_e32 v165, v165, v167
	v_fmac_f32_e32 v172, v9, v180
	v_mul_f32_e32 v174, v136, v178
	s_waitcnt vmcnt(29)
	v_mul_f32_e32 v176, v139, v183
	v_add_f32_e32 v168, v168, v170
	v_add_f32_e32 v165, v165, v171
	v_fma_f32 v136, v136, v179, -v175
	v_mul_f32_e32 v166, v138, v183
	v_fmac_f32_e32 v174, v137, v179
	v_add_f32_e32 v161, v168, v161
	v_add_f32_e32 v160, v165, v160
	s_waitcnt vmcnt(28) lgkmcnt(1)
	v_mul_f32_e32 v169, v2, v184
	v_mul_f32_e32 v175, v3, v184
	s_waitcnt vmcnt(22)
	v_fma_f32 v138, v138, v190, -v176
	v_add_f32_e32 v161, v161, v173
	v_add_f32_e32 v160, v160, v172
	ds_read_b128 v[132:135], v1 offset:880
	ds_read_b128 v[144:147], v1 offset:896
	v_fmac_f32_e32 v166, v139, v190
	v_mul_f32_e32 v172, v5, v185
	v_add_f32_e32 v136, v161, v136
	v_add_f32_e32 v160, v160, v174
	v_fmac_f32_e32 v169, v3, v189
	v_fma_f32 v2, v2, v189, -v175
	v_mul_f32_e32 v167, v4, v185
	v_add_f32_e32 v3, v136, v138
	v_add_f32_e32 v136, v160, v166
	s_waitcnt lgkmcnt(2)
	v_mul_f32_e32 v138, v141, v186
	v_fma_f32 v4, v4, v188, -v172
	v_mul_f32_e32 v137, v140, v186
	v_add_f32_e32 v2, v3, v2
	v_fmac_f32_e32 v167, v5, v188
	v_add_f32_e32 v3, v136, v169
	v_fma_f32 v136, v140, v187, -v138
	v_fmac_f32_e32 v137, v141, v187
	v_add_f32_e32 v2, v2, v4
	ds_read_b128 v[6:9], v1 offset:912
	ds_read_b128 v[148:151], v1 offset:928
	ds_read_b64 v[10:11], v1 offset:944
	v_add_f32_e32 v3, v3, v167
	v_add_f32_e32 v2, v2, v136
	;; [unrolled: 1-line block ×3, first 2 shown]
	s_waitcnt vmcnt(20)
	v_mul_f32_e32 v5, v143, v192
	v_mul_f32_e32 v170, v142, v192
	s_waitcnt vmcnt(19) lgkmcnt(4)
	v_mul_f32_e32 v4, v133, v196
	v_mul_f32_e32 v171, v132, v196
	s_waitcnt vmcnt(18)
	v_mul_f32_e32 v136, v135, v197
	v_mul_f32_e32 v139, v134, v197
	s_waitcnt vmcnt(17) lgkmcnt(3)
	v_mul_f32_e32 v176, v144, v198
	s_waitcnt vmcnt(16)
	v_mul_f32_e32 v165, v146, v155
	s_waitcnt vmcnt(15) lgkmcnt(2)
	v_mul_f32_e32 v168, v6, v199
	s_waitcnt vmcnt(14)
	;; [unrolled: 4-line block ×4, first 2 shown]
	v_fmac_f32_e32 v176, v145, v12
	s_waitcnt vmcnt(9)
	v_fmac_f32_e32 v139, v135, v152
	s_waitcnt vmcnt(8)
	v_fma_f32 v4, v132, v154, -v4
	s_waitcnt vmcnt(7)
	v_fma_f32 v5, v142, v157, -v5
	v_fmac_f32_e32 v170, v143, v157
	v_fmac_f32_e32 v171, v133, v154
	v_fma_f32 v132, v134, v152, -v136
	v_add_f32_e32 v2, v2, v5
	v_add_f32_e32 v3, v3, v170
	v_mul_f32_e32 v5, v145, v198
	v_add_f32_e32 v2, v2, v4
	v_add_f32_e32 v3, v3, v171
	v_mul_f32_e32 v4, v147, v155
	v_fma_f32 v5, v144, v12, -v5
	v_mul_f32_e32 v12, v7, v199
	v_add_f32_e32 v2, v2, v132
	v_add_f32_e32 v3, v3, v139
	s_waitcnt vmcnt(4)
	v_fmac_f32_e32 v168, v7, v162
	s_waitcnt vmcnt(3)
	v_fma_f32 v4, v146, v163, -v4
	v_fmac_f32_e32 v165, v147, v163
	v_add_f32_e32 v2, v2, v5
	v_add_f32_e32 v3, v3, v176
	v_mul_f32_e32 v5, v9, v200
	v_fma_f32 v6, v6, v162, -v12
	v_fmac_f32_e32 v177, v9, v159
	v_add_f32_e32 v2, v2, v4
	v_add_f32_e32 v3, v3, v165
	v_mul_f32_e32 v4, v149, v201
	;; [unrolled: 5-line block ×3, first 2 shown]
	v_fma_f32 v4, v148, v158, -v4
	s_waitcnt vmcnt(1)
	v_fmac_f32_e32 v178, v151, v193
	v_add_f32_e32 v2, v2, v5
	v_add_f32_e32 v3, v3, v177
	v_mul_f32_e32 v5, v11, v153
	v_fma_f32 v6, v150, v193, -v6
	v_fmac_f32_e32 v161, v11, v164
	v_add_f32_e32 v2, v2, v4
	v_add_f32_e32 v3, v3, v173
	v_fma_f32 v4, v10, v164, -v5
	v_add_f32_e32 v2, v2, v6
	v_add_f32_e32 v3, v3, v178
	;; [unrolled: 1-line block ×4, first 2 shown]
	s_waitcnt vmcnt(0)
	v_sub_f32_e32 v2, v194, v2
	v_sub_f32_e32 v3, v191, v3
	buffer_store_dword v2, off, s[0:3], 0 offset:168
	buffer_store_dword v3, off, s[0:3], 0 offset:172
	v_cmpx_lt_u32_e32 20, v0
	s_cbranch_execz .LBB122_327
; %bb.326:
	s_clause 0x1
	buffer_load_dword v2, off, s[0:3], 0 offset:160
	buffer_load_dword v3, off, s[0:3], 0 offset:164
	buffer_store_dword v1, off, s[0:3], 0 offset:160
	buffer_store_dword v1, off, s[0:3], 0 offset:164
	s_waitcnt vmcnt(0)
	ds_write_b64 v131, v[2:3]
.LBB122_327:
	s_or_b32 exec_lo, exec_lo, s4
	s_waitcnt lgkmcnt(0)
	s_waitcnt_vscnt null, 0x0
	s_barrier
	buffer_gl0_inv
	s_clause 0x1e
	buffer_load_dword v2, off, s[0:3], 0 offset:172
	buffer_load_dword v3, off, s[0:3], 0 offset:180
	;; [unrolled: 1-line block ×31, first 2 shown]
	ds_read2_b64 v[4:7], v1 offset0:81 offset1:82
	s_clause 0x3
	buffer_load_dword v176, off, s[0:3], 0 offset:312
	buffer_load_dword v177, off, s[0:3], 0 offset:304
	;; [unrolled: 1-line block ×4, first 2 shown]
	ds_read2_b64 v[8:11], v1 offset0:83 offset1:84
	s_clause 0xa
	buffer_load_dword v180, off, s[0:3], 0 offset:300
	buffer_load_dword v181, off, s[0:3], 0 offset:308
	;; [unrolled: 1-line block ×11, first 2 shown]
	ds_read2_b64 v[132:135], v1 offset0:85 offset1:86
	ds_read2_b64 v[136:139], v1 offset0:87 offset1:88
	;; [unrolled: 1-line block ×4, first 2 shown]
	buffer_load_dword v191, off, s[0:3], 0 offset:164
	s_mov_b32 s4, exec_lo
	s_waitcnt vmcnt(46) lgkmcnt(5)
	v_mul_f32_e32 v192, v5, v2
	v_mul_f32_e32 v193, v4, v2
	s_waitcnt vmcnt(45)
	v_mul_f32_e32 v194, v6, v3
	v_mul_f32_e32 v2, v7, v3
	s_waitcnt vmcnt(44) lgkmcnt(4)
	v_mul_f32_e32 v195, v8, v12
	v_mul_f32_e32 v3, v9, v12
	s_waitcnt vmcnt(41)
	v_fma_f32 v12, v4, v150, -v192
	v_fmac_f32_e32 v193, v5, v150
	s_waitcnt vmcnt(40)
	v_mul_f32_e32 v150, v10, v151
	v_mul_f32_e32 v4, v11, v151
	v_fmac_f32_e32 v194, v7, v149
	s_waitcnt vmcnt(35) lgkmcnt(3)
	v_mul_f32_e32 v151, v133, v156
	v_fma_f32 v149, v6, v149, -v2
	v_fmac_f32_e32 v150, v11, v155
	v_mul_f32_e32 v11, v132, v156
	v_fma_f32 v10, v10, v155, -v4
	s_waitcnt vmcnt(34)
	v_mul_f32_e32 v155, v134, v157
	v_mul_f32_e32 v156, v135, v157
	s_waitcnt vmcnt(33) lgkmcnt(2)
	v_mul_f32_e32 v157, v136, v158
	v_mul_f32_e32 v158, v137, v158
	v_fmac_f32_e32 v11, v133, v154
	v_fma_f32 v132, v132, v154, -v151
	s_waitcnt vmcnt(32)
	v_mul_f32_e32 v133, v138, v159
	v_mul_f32_e32 v151, v139, v159
	v_fmac_f32_e32 v195, v9, v148
	v_fma_f32 v148, v8, v148, -v3
	ds_read2_b64 v[2:5], v1 offset0:93 offset1:94
	ds_read2_b64 v[6:9], v1 offset0:95 offset1:96
	v_fmac_f32_e32 v155, v135, v153
	v_fma_f32 v134, v134, v153, -v156
	v_fmac_f32_e32 v157, v137, v152
	v_fma_f32 v135, v136, v152, -v158
	s_waitcnt vmcnt(28)
	v_fmac_f32_e32 v133, v139, v163
	v_fma_f32 v136, v138, v163, -v151
	s_clause 0x7
	buffer_load_dword v151, off, s[0:3], 0 offset:356
	buffer_load_dword v152, off, s[0:3], 0 offset:364
	buffer_load_dword v153, off, s[0:3], 0 offset:372
	buffer_load_dword v154, off, s[0:3], 0 offset:380
	buffer_load_dword v156, off, s[0:3], 0 offset:376
	buffer_load_dword v158, off, s[0:3], 0 offset:368
	buffer_load_dword v159, off, s[0:3], 0 offset:360
	buffer_load_dword v163, off, s[0:3], 0 offset:352
	s_waitcnt vmcnt(35) lgkmcnt(3)
	v_mul_f32_e32 v137, v140, v164
	v_mul_f32_e32 v138, v141, v164
	s_waitcnt vmcnt(34)
	v_mul_f32_e32 v139, v142, v165
	v_mul_f32_e32 v164, v143, v165
	s_waitcnt vmcnt(33) lgkmcnt(2)
	v_mul_f32_e32 v165, v144, v166
	v_mul_f32_e32 v166, v145, v166
	v_fmac_f32_e32 v137, v141, v162
	v_fma_f32 v138, v140, v162, -v138
	s_waitcnt vmcnt(32)
	v_mul_f32_e32 v140, v146, v167
	v_mul_f32_e32 v141, v147, v167
	v_fmac_f32_e32 v139, v143, v161
	v_fmac_f32_e32 v165, v145, v160
	v_fma_f32 v143, v144, v160, -v166
	s_waitcnt vmcnt(28)
	v_fmac_f32_e32 v140, v147, v171
	v_fma_f32 v141, v146, v171, -v141
	s_waitcnt vmcnt(27) lgkmcnt(1)
	v_mul_f32_e32 v144, v2, v172
	v_mul_f32_e32 v145, v3, v172
	s_waitcnt vmcnt(26)
	v_mul_f32_e32 v146, v4, v173
	v_mul_f32_e32 v147, v5, v173
	v_fma_f32 v142, v142, v161, -v164
	s_clause 0x8
	buffer_load_dword v161, off, s[0:3], 0 offset:388
	buffer_load_dword v162, off, s[0:3], 0 offset:396
	;; [unrolled: 1-line block ×9, first 2 shown]
	v_fmac_f32_e32 v144, v3, v170
	v_fma_f32 v145, v2, v170, -v145
	buffer_load_dword v170, off, s[0:3], 0 offset:460
	v_fmac_f32_e32 v146, v5, v169
	v_fma_f32 v147, v4, v169, -v147
	s_clause 0x4
	buffer_load_dword v169, off, s[0:3], 0 offset:468
	buffer_load_dword v173, off, s[0:3], 0 offset:408
	;; [unrolled: 1-line block ×5, first 2 shown]
	v_add_f32_e32 v3, 0, v193
	v_add_f32_e32 v2, 0, v12
	s_waitcnt vmcnt(40) lgkmcnt(0)
	v_mul_f32_e32 v4, v7, v174
	v_add_f32_e32 v3, v3, v194
	v_add_f32_e32 v2, v2, v149
	v_fma_f32 v149, v6, v168, -v4
	v_add_f32_e32 v3, v3, v195
	s_clause 0x3
	buffer_load_dword v12, off, s[0:3], 0 offset:440
	buffer_load_dword v193, off, s[0:3], 0 offset:432
	;; [unrolled: 1-line block ×4, first 2 shown]
	v_add_f32_e32 v2, v2, v148
	v_mul_f32_e32 v148, v6, v174
	v_add_f32_e32 v3, v3, v150
	s_waitcnt vmcnt(43)
	v_mul_f32_e32 v150, v8, v175
	v_add_f32_e32 v2, v2, v10
	s_clause 0x2
	buffer_load_dword v10, off, s[0:3], 0 offset:464
	buffer_load_dword v199, off, s[0:3], 0 offset:456
	buffer_load_dword v200, off, s[0:3], 0 offset:448
	v_fmac_f32_e32 v148, v7, v168
	v_add_f32_e32 v3, v3, v11
	buffer_load_dword v11, off, s[0:3], 0 offset:160
	v_add_f32_e32 v2, v2, v132
	s_waitcnt vmcnt(43)
	v_fmac_f32_e32 v150, v9, v179
	v_add_f32_e32 v3, v3, v155
	v_add_f32_e32 v2, v2, v134
	;; [unrolled: 1-line block ×4, first 2 shown]
	ds_read2_b64 v[2:5], v1 offset0:97 offset1:98
	v_add_f32_e32 v133, v7, v133
	v_add_f32_e32 v132, v6, v136
	v_mul_f32_e32 v6, v9, v175
	v_add_f32_e32 v137, v133, v137
	v_add_f32_e32 v136, v132, v138
	v_fma_f32 v155, v8, v179, -v6
	ds_read2_b64 v[6:9], v1 offset0:99 offset1:100
	ds_read2_b64 v[132:135], v1 offset0:101 offset1:102
	v_add_f32_e32 v137, v137, v139
	v_add_f32_e32 v136, v136, v142
	;; [unrolled: 1-line block ×3, first 2 shown]
	s_waitcnt vmcnt(42) lgkmcnt(2)
	v_mul_f32_e32 v138, v3, v180
	v_mul_f32_e32 v157, v2, v180
	v_fma_f32 v168, v2, v178, -v138
	v_add_f32_e32 v2, v137, v165
	v_fmac_f32_e32 v157, v3, v178
	v_add_f32_e32 v3, v142, v141
	ds_read2_b64 v[136:139], v1 offset0:103 offset1:104
	s_waitcnt vmcnt(41)
	v_mul_f32_e32 v165, v4, v181
	v_add_f32_e32 v2, v2, v140
	s_waitcnt vmcnt(40) lgkmcnt(2)
	v_mul_f32_e32 v174, v6, v182
	v_mul_f32_e32 v140, v7, v182
	v_add_f32_e32 v3, v3, v145
	s_waitcnt vmcnt(38) lgkmcnt(1)
	v_mul_f32_e32 v178, v132, v184
	v_add_f32_e32 v2, v2, v144
	v_fmac_f32_e32 v174, v7, v176
	v_fma_f32 v176, v6, v176, -v140
	v_add_f32_e32 v6, v3, v147
	v_mul_f32_e32 v144, v133, v184
	v_add_f32_e32 v7, v2, v146
	s_waitcnt vmcnt(33)
	v_fmac_f32_e32 v178, v133, v189
	v_mul_f32_e32 v141, v5, v181
	v_add_f32_e32 v133, v6, v149
	v_fma_f32 v180, v132, v189, -v144
	v_add_f32_e32 v132, v7, v148
	v_fmac_f32_e32 v165, v5, v177
	v_fma_f32 v177, v4, v177, -v141
	v_add_f32_e32 v133, v133, v155
	s_waitcnt lgkmcnt(0)
	v_mul_f32_e32 v149, v137, v186
	v_add_f32_e32 v132, v132, v150
	v_mul_f32_e32 v181, v136, v186
	v_mul_f32_e32 v145, v9, v183
	v_add_f32_e32 v133, v133, v168
	v_fma_f32 v184, v136, v187, -v149
	v_add_f32_e32 v136, v132, v157
	v_mul_f32_e32 v175, v8, v183
	s_waitcnt vmcnt(32)
	v_fma_f32 v179, v8, v190, -v145
	v_add_f32_e32 v157, v133, v177
	ds_read2_b64 v[2:5], v1 offset0:105 offset1:106
	ds_read2_b64 v[140:143], v1 offset0:107 offset1:108
	v_add_f32_e32 v165, v136, v165
	v_fmac_f32_e32 v175, v9, v190
	v_mul_f32_e32 v148, v135, v185
	v_add_f32_e32 v157, v157, v176
	v_mul_f32_e32 v155, v134, v185
	v_add_f32_e32 v165, v165, v174
	v_fmac_f32_e32 v181, v137, v187
	v_fma_f32 v183, v134, v188, -v148
	v_add_f32_e32 v157, v157, v179
	v_fmac_f32_e32 v155, v135, v188
	v_add_f32_e32 v165, v165, v175
	ds_read2_b64 v[6:9], v1 offset0:109 offset1:110
	ds_read2_b64 v[144:147], v1 offset0:111 offset1:112
	v_add_f32_e32 v157, v157, v180
	v_add_f32_e32 v165, v165, v178
	v_add_f32_e32 v157, v157, v183
	v_add_f32_e32 v155, v165, v155
	v_add_f32_e32 v157, v157, v184
	v_add_f32_e32 v155, v155, v181
	s_waitcnt vmcnt(30)
	v_mul_f32_e32 v168, v138, v151
	v_mul_f32_e32 v182, v139, v151
	ds_read2_b64 v[132:135], v1 offset0:113 offset1:114
	ds_read2_b64 v[148:151], v1 offset0:115 offset1:116
	s_waitcnt vmcnt(28) lgkmcnt(5)
	v_mul_f32_e32 v174, v4, v153
	v_mul_f32_e32 v153, v5, v153
	s_waitcnt vmcnt(27) lgkmcnt(4)
	v_mul_f32_e32 v176, v140, v154
	v_mul_f32_e32 v154, v141, v154
	s_waitcnt vmcnt(23)
	v_fmac_f32_e32 v168, v139, v163
	v_fma_f32 v163, v138, v163, -v182
	ds_read2_b64 v[136:139], v1 offset0:117 offset1:118
	v_mul_f32_e32 v1, v2, v152
	v_mul_f32_e32 v152, v3, v152
	v_add_f32_e32 v155, v155, v168
	v_fma_f32 v4, v4, v158, -v153
	v_fmac_f32_e32 v174, v5, v158
	v_fmac_f32_e32 v1, v3, v159
	v_fma_f32 v2, v2, v159, -v152
	v_add_f32_e32 v152, v157, v163
	v_fma_f32 v140, v140, v156, -v154
	v_fmac_f32_e32 v176, v141, v156
	v_add_f32_e32 v1, v155, v1
	v_add_f32_e32 v2, v152, v2
	s_waitcnt vmcnt(22)
	v_mul_f32_e32 v5, v143, v161
	v_mul_f32_e32 v175, v142, v161
	v_add_f32_e32 v2, v2, v4
	v_add_f32_e32 v1, v1, v174
	s_waitcnt vmcnt(21) lgkmcnt(4)
	v_mul_f32_e32 v4, v7, v162
	v_mul_f32_e32 v177, v6, v162
	s_waitcnt vmcnt(20)
	v_mul_f32_e32 v179, v8, v164
	v_add_f32_e32 v2, v2, v140
	v_add_f32_e32 v1, v1, v176
	v_mul_f32_e32 v140, v9, v164
	s_waitcnt vmcnt(9)
	v_fma_f32 v4, v6, v197, -v4
	s_waitcnt vmcnt(8)
	v_fma_f32 v5, v142, v198, -v5
	v_fmac_f32_e32 v175, v143, v198
	v_fmac_f32_e32 v177, v7, v197
	v_fma_f32 v6, v8, v196, -v140
	s_waitcnt lgkmcnt(3)
	v_mul_f32_e32 v178, v144, v167
	v_add_f32_e32 v2, v2, v5
	v_add_f32_e32 v1, v1, v175
	v_mul_f32_e32 v5, v145, v167
	v_fmac_f32_e32 v179, v9, v196
	v_mul_f32_e32 v180, v146, v160
	v_add_f32_e32 v2, v2, v4
	v_add_f32_e32 v1, v1, v177
	v_mul_f32_e32 v4, v147, v160
	v_fma_f32 v5, v144, v173, -v5
	v_fmac_f32_e32 v178, v145, v173
	v_add_f32_e32 v2, v2, v6
	v_add_f32_e32 v1, v1, v179
	s_waitcnt lgkmcnt(2)
	v_mul_f32_e32 v6, v133, v166
	s_waitcnt vmcnt(4)
	v_fma_f32 v4, v146, v195, -v4
	v_mul_f32_e32 v182, v132, v166
	v_add_f32_e32 v2, v2, v5
	v_fmac_f32_e32 v180, v147, v195
	v_add_f32_e32 v1, v1, v178
	v_mul_f32_e32 v5, v135, v171
	v_fma_f32 v6, v132, v194, -v6
	v_add_f32_e32 v2, v2, v4
	v_mul_f32_e32 v165, v134, v171
	v_fmac_f32_e32 v182, v133, v194
	v_add_f32_e32 v1, v1, v180
	s_waitcnt lgkmcnt(1)
	v_mul_f32_e32 v4, v149, v192
	v_fma_f32 v5, v134, v193, -v5
	v_add_f32_e32 v2, v2, v6
	v_mul_f32_e32 v183, v148, v192
	v_fmac_f32_e32 v165, v135, v193
	v_add_f32_e32 v1, v1, v182
	v_mul_f32_e32 v6, v151, v172
	v_fma_f32 v4, v148, v12, -v4
	v_add_f32_e32 v2, v2, v5
	v_mul_f32_e32 v184, v150, v172
	v_fmac_f32_e32 v183, v149, v12
	v_add_f32_e32 v1, v1, v165
	s_waitcnt lgkmcnt(0)
	v_mul_f32_e32 v5, v137, v170
	s_waitcnt vmcnt(1)
	v_fma_f32 v6, v150, v200, -v6
	v_add_f32_e32 v2, v2, v4
	v_mul_f32_e32 v181, v136, v170
	v_fmac_f32_e32 v184, v151, v200
	v_add_f32_e32 v1, v1, v183
	v_mul_f32_e32 v4, v139, v169
	v_fma_f32 v5, v136, v199, -v5
	v_add_f32_e32 v2, v2, v6
	v_mul_f32_e32 v3, v138, v169
	v_fmac_f32_e32 v181, v137, v199
	v_add_f32_e32 v1, v1, v184
	v_fma_f32 v4, v138, v10, -v4
	v_add_f32_e32 v2, v2, v5
	v_fmac_f32_e32 v3, v139, v10
	v_add_f32_e32 v1, v1, v181
	v_add_f32_e32 v2, v2, v4
	;; [unrolled: 1-line block ×3, first 2 shown]
	s_waitcnt vmcnt(0)
	v_sub_f32_e32 v2, v11, v2
	v_sub_f32_e32 v1, v191, v1
	buffer_store_dword v2, off, s[0:3], 0 offset:160
	buffer_store_dword v1, off, s[0:3], 0 offset:164
	v_cmpx_lt_u32_e32 19, v0
	s_cbranch_execz .LBB122_329
; %bb.328:
	s_clause 0x1
	buffer_load_dword v1, off, s[0:3], 0 offset:152
	buffer_load_dword v2, off, s[0:3], 0 offset:156
	v_mov_b32_e32 v3, 0
	buffer_store_dword v3, off, s[0:3], 0 offset:152
	buffer_store_dword v3, off, s[0:3], 0 offset:156
	s_waitcnt vmcnt(0)
	ds_write_b64 v131, v[1:2]
.LBB122_329:
	s_or_b32 exec_lo, exec_lo, s4
	s_waitcnt lgkmcnt(0)
	s_waitcnt_vscnt null, 0x0
	s_barrier
	buffer_gl0_inv
	s_clause 0x25
	buffer_load_dword v2, off, s[0:3], 0 offset:164
	buffer_load_dword v3, off, s[0:3], 0 offset:172
	;; [unrolled: 1-line block ×38, first 2 shown]
	v_mov_b32_e32 v1, 0
	ds_read_b128 v[4:7], v1 offset:640
	ds_read_b128 v[8:11], v1 offset:656
	s_clause 0x10
	buffer_load_dword v175, off, s[0:3], 0 offset:316
	buffer_load_dword v176, off, s[0:3], 0 offset:324
	;; [unrolled: 1-line block ×17, first 2 shown]
	ds_read_b128 v[132:135], v1 offset:672
	ds_read_b128 v[136:139], v1 offset:688
	s_mov_b32 s4, exec_lo
	s_waitcnt vmcnt(54) lgkmcnt(3)
	v_mul_f32_e32 v192, v5, v2
	v_mul_f32_e32 v193, v4, v2
	s_waitcnt vmcnt(53)
	v_mul_f32_e32 v194, v6, v3
	v_mul_f32_e32 v2, v7, v3
	s_waitcnt vmcnt(52) lgkmcnt(2)
	v_mul_f32_e32 v195, v8, v12
	v_mul_f32_e32 v3, v9, v12
	s_waitcnt vmcnt(49)
	v_fma_f32 v12, v4, v142, -v192
	v_fmac_f32_e32 v193, v5, v142
	s_waitcnt vmcnt(48)
	v_mul_f32_e32 v142, v10, v143
	v_mul_f32_e32 v4, v11, v143
	v_fmac_f32_e32 v194, v7, v141
	s_waitcnt vmcnt(43) lgkmcnt(1)
	v_mul_f32_e32 v143, v133, v148
	v_fma_f32 v141, v6, v141, -v2
	v_fmac_f32_e32 v195, v9, v140
	v_fma_f32 v140, v8, v140, -v3
	v_fmac_f32_e32 v142, v11, v147
	v_fma_f32 v10, v10, v147, -v4
	ds_read_b128 v[2:5], v1 offset:704
	ds_read_b128 v[6:9], v1 offset:720
	v_mul_f32_e32 v11, v132, v148
	s_waitcnt vmcnt(42)
	v_mul_f32_e32 v147, v134, v149
	v_mul_f32_e32 v148, v135, v149
	s_waitcnt vmcnt(41) lgkmcnt(2)
	v_mul_f32_e32 v149, v136, v150
	v_fma_f32 v143, v132, v146, -v143
	s_waitcnt vmcnt(40)
	v_mul_f32_e32 v132, v139, v151
	v_mul_f32_e32 v150, v137, v150
	v_fmac_f32_e32 v11, v133, v146
	v_fmac_f32_e32 v147, v135, v145
	v_fma_f32 v145, v134, v145, -v148
	s_clause 0x3
	buffer_load_dword v192, off, s[0:3], 0 offset:380
	buffer_load_dword v196, off, s[0:3], 0 offset:388
	;; [unrolled: 1-line block ×4, first 2 shown]
	v_fmac_f32_e32 v149, v137, v144
	s_waitcnt vmcnt(40)
	v_fma_f32 v137, v138, v155, -v132
	ds_read_b128 v[132:135], v1 offset:736
	v_mul_f32_e32 v146, v138, v151
	v_fma_f32 v136, v136, v144, -v150
	s_waitcnt vmcnt(39) lgkmcnt(2)
	v_mul_f32_e32 v138, v2, v156
	v_fmac_f32_e32 v146, v139, v155
	v_mul_f32_e32 v139, v3, v156
	s_waitcnt vmcnt(37) lgkmcnt(1)
	v_mul_f32_e32 v151, v7, v158
	v_mul_f32_e32 v144, v4, v157
	v_mul_f32_e32 v148, v5, v157
	v_mul_f32_e32 v150, v6, v158
	v_fmac_f32_e32 v138, v3, v154
	v_fma_f32 v139, v2, v154, -v139
	s_waitcnt vmcnt(36)
	v_mul_f32_e32 v154, v8, v159
	v_mul_f32_e32 v2, v9, v159
	v_fma_f32 v151, v6, v152, -v151
	v_fmac_f32_e32 v144, v5, v153
	v_fma_f32 v148, v4, v153, -v148
	s_clause 0x3
	buffer_load_dword v153, off, s[0:3], 0 offset:412
	buffer_load_dword v155, off, s[0:3], 0 offset:420
	;; [unrolled: 1-line block ×4, first 2 shown]
	s_waitcnt vmcnt(35) lgkmcnt(0)
	v_mul_f32_e32 v158, v132, v164
	v_mul_f32_e32 v6, v133, v164
	v_fmac_f32_e32 v150, v7, v152
	v_fmac_f32_e32 v154, v9, v163
	v_fma_f32 v152, v8, v163, -v2
	ds_read_b128 v[2:5], v1 offset:752
	s_waitcnt vmcnt(34)
	v_mul_f32_e32 v159, v134, v165
	v_mul_f32_e32 v7, v135, v165
	buffer_load_dword v163, off, s[0:3], 0 offset:444
	v_fmac_f32_e32 v158, v133, v162
	v_fma_f32 v162, v132, v162, -v6
	v_add_f32_e32 v6, 0, v12
	s_clause 0x6
	buffer_load_dword v12, off, s[0:3], 0 offset:452
	buffer_load_dword v164, off, s[0:3], 0 offset:460
	;; [unrolled: 1-line block ×7, first 2 shown]
	v_fmac_f32_e32 v159, v135, v161
	v_fma_f32 v161, v134, v161, -v7
	v_add_f32_e32 v7, 0, v193
	v_add_f32_e32 v6, v6, v141
	;; [unrolled: 1-line block ×4, first 2 shown]
	s_waitcnt vmcnt(41) lgkmcnt(0)
	v_mul_f32_e32 v8, v3, v166
	v_add_f32_e32 v7, v7, v195
	s_clause 0x8
	buffer_load_dword v193, off, s[0:3], 0 offset:432
	buffer_load_dword v194, off, s[0:3], 0 offset:424
	;; [unrolled: 1-line block ×9, first 2 shown]
	v_add_f32_e32 v6, v6, v10
	v_add_f32_e32 v7, v7, v142
	v_mul_f32_e32 v10, v2, v166
	v_add_f32_e32 v6, v6, v143
	v_add_f32_e32 v7, v7, v11
	v_fmac_f32_e32 v10, v3, v160
	v_fma_f32 v11, v2, v160, -v8
	v_add_f32_e32 v6, v6, v145
	v_add_f32_e32 v7, v7, v147
	s_waitcnt vmcnt(49)
	v_mul_f32_e32 v145, v4, v167
	v_add_f32_e32 v6, v6, v136
	v_add_f32_e32 v7, v7, v149
	s_waitcnt vmcnt(45)
	v_fmac_f32_e32 v145, v5, v171
	v_add_f32_e32 v2, v6, v137
	v_add_f32_e32 v3, v7, v146
	ds_read_b128 v[6:9], v1 offset:768
	v_add_f32_e32 v132, v2, v139
	v_mul_f32_e32 v2, v5, v167
	v_add_f32_e32 v133, v3, v138
	v_add_f32_e32 v136, v132, v148
	v_fma_f32 v146, v4, v171, -v2
	ds_read_b128 v[2:5], v1 offset:784
	v_add_f32_e32 v137, v133, v144
	ds_read_b128 v[132:135], v1 offset:800
	v_add_f32_e32 v136, v136, v151
	v_add_f32_e32 v137, v137, v150
	;; [unrolled: 1-line block ×3, first 2 shown]
	s_waitcnt vmcnt(44) lgkmcnt(2)
	v_mul_f32_e32 v138, v7, v172
	v_mul_f32_e32 v148, v6, v172
	s_waitcnt vmcnt(43)
	v_mul_f32_e32 v150, v8, v173
	v_fma_f32 v149, v6, v170, -v138
	v_add_f32_e32 v6, v137, v154
	v_fmac_f32_e32 v148, v7, v170
	v_add_f32_e32 v7, v140, v162
	ds_read_b128 v[136:139], v1 offset:816
	s_waitcnt vmcnt(42) lgkmcnt(2)
	v_mul_f32_e32 v141, v3, v174
	v_add_f32_e32 v6, v6, v158
	v_mul_f32_e32 v152, v2, v174
	v_add_f32_e32 v7, v7, v161
	v_mul_f32_e32 v140, v9, v173
	v_fmac_f32_e32 v150, v9, v169
	v_add_f32_e32 v6, v6, v159
	v_fma_f32 v159, v2, v168, -v141
	v_add_f32_e32 v2, v7, v11
	v_fmac_f32_e32 v152, v3, v168
	v_fma_f32 v151, v8, v169, -v140
	v_add_f32_e32 v3, v6, v10
	s_waitcnt vmcnt(40) lgkmcnt(1)
	v_mul_f32_e32 v10, v133, v176
	v_add_f32_e32 v11, v2, v146
	v_mul_f32_e32 v144, v5, v175
	v_mul_f32_e32 v154, v4, v175
	;; [unrolled: 1-line block ×3, first 2 shown]
	s_waitcnt vmcnt(35)
	v_fma_f32 v161, v132, v181, -v10
	v_add_f32_e32 v10, v3, v145
	v_add_f32_e32 v11, v11, v149
	s_waitcnt vmcnt(34)
	v_fma_f32 v160, v4, v182, -v144
	ds_read_b128 v[6:9], v1 offset:832
	ds_read_b128 v[140:143], v1 offset:848
	v_fmac_f32_e32 v154, v5, v182
	v_add_f32_e32 v10, v10, v148
	v_add_f32_e32 v11, v11, v151
	v_mul_f32_e32 v132, v135, v177
	v_fmac_f32_e32 v158, v133, v181
	v_mul_f32_e32 v162, v134, v177
	v_add_f32_e32 v10, v10, v150
	v_add_f32_e32 v159, v11, v159
	s_waitcnt lgkmcnt(2)
	v_mul_f32_e32 v133, v137, v178
	v_fma_f32 v169, v134, v180, -v132
	v_mul_f32_e32 v166, v136, v178
	v_add_f32_e32 v152, v10, v152
	v_add_f32_e32 v159, v159, v160
	v_fmac_f32_e32 v162, v135, v180
	s_waitcnt vmcnt(33)
	v_mul_f32_e32 v168, v139, v183
	v_fma_f32 v170, v136, v179, -v133
	v_add_f32_e32 v152, v152, v154
	v_add_f32_e32 v159, v159, v161
	v_mul_f32_e32 v167, v138, v183
	v_fmac_f32_e32 v166, v137, v179
	s_waitcnt vmcnt(26)
	v_fma_f32 v168, v138, v190, -v168
	v_add_f32_e32 v152, v152, v158
	v_add_f32_e32 v159, v159, v169
	s_waitcnt lgkmcnt(1)
	v_mul_f32_e32 v171, v7, v184
	ds_read_b128 v[2:5], v1 offset:864
	ds_read_b128 v[144:147], v1 offset:880
	v_fmac_f32_e32 v167, v139, v190
	v_add_f32_e32 v152, v152, v162
	v_add_f32_e32 v159, v159, v170
	v_mul_f32_e32 v160, v6, v184
	v_mul_f32_e32 v172, v9, v185
	v_fma_f32 v6, v6, v189, -v171
	v_add_f32_e32 v152, v152, v166
	v_add_f32_e32 v159, v159, v168
	v_mul_f32_e32 v154, v8, v185
	v_fmac_f32_e32 v160, v7, v189
	s_waitcnt lgkmcnt(2)
	v_mul_f32_e32 v171, v141, v186
	v_add_f32_e32 v152, v152, v167
	v_fma_f32 v8, v8, v188, -v172
	v_add_f32_e32 v6, v159, v6
	v_mul_f32_e32 v161, v140, v186
	v_fmac_f32_e32 v154, v9, v188
	v_add_f32_e32 v152, v152, v160
	v_fma_f32 v140, v140, v187, -v171
	v_add_f32_e32 v6, v6, v8
	v_fmac_f32_e32 v161, v141, v187
	ds_read_b128 v[132:135], v1 offset:896
	ds_read_b128 v[148:151], v1 offset:912
	v_add_f32_e32 v8, v152, v154
	ds_read_b128 v[136:139], v1 offset:928
	ds_read_b64 v[10:11], v1 offset:944
	v_add_f32_e32 v6, v6, v140
	v_add_f32_e32 v8, v8, v161
	s_waitcnt vmcnt(24)
	v_mul_f32_e32 v167, v143, v192
	v_mul_f32_e32 v158, v142, v192
	s_waitcnt vmcnt(23) lgkmcnt(5)
	v_mul_f32_e32 v7, v2, v196
	v_mul_f32_e32 v141, v3, v196
	s_waitcnt vmcnt(22)
	v_mul_f32_e32 v140, v5, v197
	v_mul_f32_e32 v169, v4, v197
	s_waitcnt vmcnt(21) lgkmcnt(4)
	v_mul_f32_e32 v162, v144, v198
	s_waitcnt vmcnt(20)
	v_mul_f32_e32 v9, v146, v153
	s_waitcnt vmcnt(19) lgkmcnt(3)
	v_mul_f32_e32 v172, v132, v155
	s_waitcnt vmcnt(18)
	;; [unrolled: 4-line block ×3, first 2 shown]
	v_mul_f32_e32 v173, v150, v163
	s_waitcnt vmcnt(12)
	v_fmac_f32_e32 v162, v145, v199
	s_waitcnt vmcnt(11)
	v_fma_f32 v4, v4, v200, -v140
	s_waitcnt vmcnt(10)
	v_fmac_f32_e32 v7, v3, v201
	s_waitcnt vmcnt(9)
	v_fma_f32 v142, v142, v202, -v167
	v_fmac_f32_e32 v158, v143, v202
	v_fma_f32 v2, v2, v201, -v141
	v_fmac_f32_e32 v169, v5, v200
	v_mul_f32_e32 v5, v147, v153
	v_add_f32_e32 v3, v6, v142
	v_add_f32_e32 v6, v8, v158
	v_mul_f32_e32 v8, v145, v198
	s_waitcnt lgkmcnt(1)
	v_mul_f32_e32 v168, v136, v12
	v_mul_f32_e32 v174, v138, v164
	v_add_f32_e32 v2, v3, v2
	v_add_f32_e32 v3, v6, v7
	v_fma_f32 v6, v144, v199, -v8
	s_waitcnt vmcnt(6)
	v_fmac_f32_e32 v172, v133, v195
	s_waitcnt vmcnt(5)
	v_fma_f32 v5, v146, v203, -v5
	v_add_f32_e32 v2, v2, v4
	v_add_f32_e32 v3, v3, v169
	v_mul_f32_e32 v4, v133, v155
	v_fmac_f32_e32 v9, v147, v203
	v_fmac_f32_e32 v166, v135, v194
	v_add_f32_e32 v2, v2, v6
	v_add_f32_e32 v3, v3, v162
	v_mul_f32_e32 v6, v135, v156
	v_fma_f32 v4, v132, v195, -v4
	v_fmac_f32_e32 v170, v149, v193
	v_add_f32_e32 v2, v2, v5
	v_add_f32_e32 v3, v3, v9
	v_mul_f32_e32 v5, v149, v157
	v_fma_f32 v6, v134, v194, -v6
	s_waitcnt vmcnt(1)
	v_fmac_f32_e32 v173, v151, v207
	v_add_f32_e32 v2, v2, v4
	v_add_f32_e32 v3, v3, v172
	v_mul_f32_e32 v4, v151, v163
	v_fma_f32 v5, v148, v193, -v5
	v_fmac_f32_e32 v168, v137, v206
	v_add_f32_e32 v2, v2, v6
	v_add_f32_e32 v3, v3, v166
	v_mul_f32_e32 v6, v137, v12
	v_fma_f32 v4, v150, v207, -v4
	s_waitcnt lgkmcnt(0)
	v_mul_f32_e32 v159, v10, v165
	v_add_f32_e32 v2, v2, v5
	v_add_f32_e32 v3, v3, v170
	v_mul_f32_e32 v5, v139, v164
	v_fma_f32 v6, v136, v206, -v6
	v_fmac_f32_e32 v174, v139, v205
	v_add_f32_e32 v2, v2, v4
	v_add_f32_e32 v3, v3, v173
	v_mul_f32_e32 v4, v11, v165
	v_fma_f32 v5, v138, v205, -v5
	v_fmac_f32_e32 v159, v11, v204
	v_add_f32_e32 v2, v2, v6
	v_add_f32_e32 v3, v3, v168
	v_fma_f32 v4, v10, v204, -v4
	v_add_f32_e32 v2, v2, v5
	v_add_f32_e32 v3, v3, v174
	;; [unrolled: 1-line block ×4, first 2 shown]
	s_waitcnt vmcnt(0)
	v_sub_f32_e32 v2, v208, v2
	v_sub_f32_e32 v3, v191, v3
	buffer_store_dword v2, off, s[0:3], 0 offset:152
	buffer_store_dword v3, off, s[0:3], 0 offset:156
	v_cmpx_lt_u32_e32 18, v0
	s_cbranch_execz .LBB122_331
; %bb.330:
	s_clause 0x1
	buffer_load_dword v2, off, s[0:3], 0 offset:144
	buffer_load_dword v3, off, s[0:3], 0 offset:148
	buffer_store_dword v1, off, s[0:3], 0 offset:144
	buffer_store_dword v1, off, s[0:3], 0 offset:148
	s_waitcnt vmcnt(0)
	ds_write_b64 v131, v[2:3]
.LBB122_331:
	s_or_b32 exec_lo, exec_lo, s4
	s_waitcnt lgkmcnt(0)
	s_waitcnt_vscnt null, 0x0
	s_barrier
	buffer_gl0_inv
	s_clause 0x23
	buffer_load_dword v10, off, s[0:3], 0 offset:156
	buffer_load_dword v11, off, s[0:3], 0 offset:164
	;; [unrolled: 1-line block ×36, first 2 shown]
	ds_read2_b64 v[2:5], v1 offset0:79 offset1:80
	s_clause 0x1
	buffer_load_dword v181, off, s[0:3], 0 offset:292
	buffer_load_dword v182, off, s[0:3], 0 offset:300
	ds_read2_b64 v[6:9], v1 offset0:81 offset1:82
	ds_read2_b64 v[132:135], v1 offset0:83 offset1:84
	s_clause 0x7
	buffer_load_dword v183, off, s[0:3], 0 offset:308
	buffer_load_dword v184, off, s[0:3], 0 offset:316
	;; [unrolled: 1-line block ×8, first 2 shown]
	ds_read2_b64 v[136:139], v1 offset0:85 offset1:86
	ds_read2_b64 v[140:143], v1 offset0:87 offset1:88
	;; [unrolled: 1-line block ×3, first 2 shown]
	buffer_load_dword v193, off, s[0:3], 0 offset:148
	s_mov_b32 s4, exec_lo
	s_waitcnt vmcnt(46) lgkmcnt(5)
	v_mul_f32_e32 v191, v3, v10
	v_mul_f32_e32 v10, v2, v10
	s_waitcnt vmcnt(45)
	v_mul_f32_e32 v192, v4, v11
	v_mul_f32_e32 v11, v5, v11
	s_waitcnt vmcnt(42)
	v_fma_f32 v191, v2, v149, -v191
	v_fmac_f32_e32 v10, v3, v149
	v_fmac_f32_e32 v192, v5, v148
	v_fma_f32 v11, v4, v148, -v11
	s_waitcnt vmcnt(41) lgkmcnt(4)
	v_mul_f32_e32 v148, v6, v150
	v_mul_f32_e32 v149, v7, v150
	s_waitcnt vmcnt(40)
	v_mul_f32_e32 v150, v8, v151
	v_mul_f32_e32 v151, v9, v151
	s_waitcnt vmcnt(39) lgkmcnt(3)
	v_mul_f32_e32 v194, v132, v152
	v_mul_f32_e32 v152, v133, v152
	v_fmac_f32_e32 v148, v7, v12
	v_fma_f32 v12, v6, v12, -v149
	s_waitcnt vmcnt(38)
	v_mul_f32_e32 v149, v134, v153
	v_mul_f32_e32 v6, v135, v153
	ds_read2_b64 v[2:5], v1 offset0:91 offset1:92
	s_waitcnt vmcnt(34)
	v_fmac_f32_e32 v150, v9, v157
	v_fma_f32 v151, v8, v157, -v151
	v_fmac_f32_e32 v194, v133, v156
	v_fma_f32 v132, v132, v156, -v152
	;; [unrolled: 2-line block ×3, first 2 shown]
	s_clause 0x7
	buffer_load_dword v152, off, s[0:3], 0 offset:340
	buffer_load_dword v153, off, s[0:3], 0 offset:348
	buffer_load_dword v155, off, s[0:3], 0 offset:356
	buffer_load_dword v156, off, s[0:3], 0 offset:364
	buffer_load_dword v157, off, s[0:3], 0 offset:360
	buffer_load_dword v195, off, s[0:3], 0 offset:352
	buffer_load_dword v196, off, s[0:3], 0 offset:344
	buffer_load_dword v197, off, s[0:3], 0 offset:336
	s_waitcnt vmcnt(41) lgkmcnt(3)
	v_mul_f32_e32 v6, v137, v158
	s_waitcnt vmcnt(40)
	v_mul_f32_e32 v7, v139, v159
	v_mul_f32_e32 v134, v136, v158
	;; [unrolled: 1-line block ×3, first 2 shown]
	s_waitcnt vmcnt(39) lgkmcnt(2)
	v_mul_f32_e32 v158, v140, v160
	v_fma_f32 v136, v136, v154, -v6
	s_waitcnt vmcnt(34)
	v_fma_f32 v138, v138, v165, -v7
	ds_read2_b64 v[6:9], v1 offset0:93 offset1:94
	v_mul_f32_e32 v159, v141, v160
	v_fmac_f32_e32 v134, v137, v154
	v_mul_f32_e32 v137, v142, v161
	v_mul_f32_e32 v154, v143, v161
	v_fmac_f32_e32 v135, v139, v165
	v_fmac_f32_e32 v158, v141, v164
	v_fma_f32 v139, v140, v164, -v159
	v_fmac_f32_e32 v137, v143, v163
	v_fma_f32 v140, v142, v163, -v154
	s_waitcnt vmcnt(33) lgkmcnt(2)
	v_mul_f32_e32 v141, v144, v166
	v_mul_f32_e32 v142, v145, v166
	s_waitcnt vmcnt(32)
	v_mul_f32_e32 v143, v146, v167
	s_waitcnt vmcnt(31) lgkmcnt(1)
	v_mul_f32_e32 v164, v2, v168
	v_mul_f32_e32 v165, v3, v168
	;; [unrolled: 1-line block ×3, first 2 shown]
	v_fmac_f32_e32 v141, v145, v162
	v_fma_f32 v142, v144, v162, -v142
	s_waitcnt vmcnt(30)
	v_mul_f32_e32 v144, v4, v169
	v_mul_f32_e32 v145, v5, v169
	s_waitcnt vmcnt(26)
	v_fmac_f32_e32 v143, v147, v173
	v_fmac_f32_e32 v164, v3, v172
	v_fma_f32 v147, v2, v172, -v165
	s_waitcnt vmcnt(25) lgkmcnt(0)
	v_mul_f32_e32 v172, v6, v174
	v_mul_f32_e32 v2, v7, v174
	v_add_f32_e32 v3, 0, v191
	s_clause 0x3
	buffer_load_dword v154, off, s[0:3], 0 offset:372
	buffer_load_dword v159, off, s[0:3], 0 offset:380
	;; [unrolled: 1-line block ×4, first 2 shown]
	v_fma_f32 v146, v146, v173, -v163
	s_clause 0x3
	buffer_load_dword v162, off, s[0:3], 0 offset:404
	buffer_load_dword v163, off, s[0:3], 0 offset:412
	;; [unrolled: 1-line block ×4, first 2 shown]
	v_fmac_f32_e32 v144, v5, v171
	v_fma_f32 v145, v4, v171, -v145
	s_clause 0x3
	buffer_load_dword v165, off, s[0:3], 0 offset:436
	buffer_load_dword v168, off, s[0:3], 0 offset:444
	;; [unrolled: 1-line block ×4, first 2 shown]
	v_add_f32_e32 v4, 0, v10
	buffer_load_dword v10, off, s[0:3], 0 offset:468
	v_fmac_f32_e32 v172, v7, v170
	v_fma_f32 v170, v6, v170, -v2
	v_add_f32_e32 v2, v3, v11
	s_clause 0x3
	buffer_load_dword v11, off, s[0:3], 0 offset:392
	buffer_load_dword v173, off, s[0:3], 0 offset:384
	;; [unrolled: 1-line block ×4, first 2 shown]
	v_add_f32_e32 v6, v4, v192
	v_add_f32_e32 v7, v2, v12
	s_waitcnt vmcnt(41)
	v_mul_f32_e32 v2, v9, v175
	v_mul_f32_e32 v12, v8, v175
	v_add_f32_e32 v6, v6, v148
	v_add_f32_e32 v7, v7, v151
	s_waitcnt vmcnt(37)
	v_fma_f32 v175, v8, v179, -v2
	ds_read2_b64 v[2:5], v1 offset0:95 offset1:96
	v_fmac_f32_e32 v12, v9, v179
	s_clause 0x3
	buffer_load_dword v179, off, s[0:3], 0 offset:424
	buffer_load_dword v192, off, s[0:3], 0 offset:416
	;; [unrolled: 1-line block ×4, first 2 shown]
	v_add_f32_e32 v7, v7, v132
	v_add_f32_e32 v6, v6, v150
	;; [unrolled: 1-line block ×6, first 2 shown]
	ds_read2_b64 v[6:9], v1 offset0:97 offset1:98
	v_add_f32_e32 v133, v133, v134
	s_waitcnt vmcnt(40) lgkmcnt(1)
	v_mul_f32_e32 v148, v2, v180
	v_mul_f32_e32 v136, v3, v180
	s_waitcnt vmcnt(39)
	v_mul_f32_e32 v150, v4, v181
	v_fmac_f32_e32 v148, v3, v178
	v_fma_f32 v149, v2, v178, -v136
	s_clause 0x4
	buffer_load_dword v178, off, s[0:3], 0 offset:456
	buffer_load_dword v180, off, s[0:3], 0 offset:448
	;; [unrolled: 1-line block ×5, first 2 shown]
	v_add_f32_e32 v3, v133, v135
	v_add_f32_e32 v2, v132, v138
	v_mul_f32_e32 v132, v5, v181
	v_fmac_f32_e32 v150, v5, v177
	v_add_f32_e32 v3, v3, v158
	buffer_load_dword v158, off, s[0:3], 0 offset:144
	v_add_f32_e32 v2, v2, v139
	v_fma_f32 v151, v4, v177, -v132
	s_waitcnt vmcnt(44) lgkmcnt(0)
	v_mul_f32_e32 v177, v6, v182
	v_add_f32_e32 v133, v3, v137
	v_mul_f32_e32 v138, v7, v182
	v_add_f32_e32 v2, v2, v140
	s_waitcnt vmcnt(43)
	v_mul_f32_e32 v181, v8, v183
	v_mul_f32_e32 v139, v9, v183
	v_add_f32_e32 v137, v133, v141
	ds_read2_b64 v[132:135], v1 offset0:101 offset1:102
	v_add_f32_e32 v136, v2, v142
	ds_read2_b64 v[2:5], v1 offset0:99 offset1:100
	v_fmac_f32_e32 v177, v7, v176
	v_add_f32_e32 v137, v137, v143
	v_fma_f32 v176, v6, v176, -v138
	v_add_f32_e32 v136, v136, v146
	s_waitcnt vmcnt(36)
	v_fmac_f32_e32 v181, v9, v190
	v_fma_f32 v182, v8, v190, -v139
	v_add_f32_e32 v141, v137, v164
	v_add_f32_e32 v140, v136, v147
	ds_read2_b64 v[6:9], v1 offset0:103 offset1:104
	ds_read2_b64 v[136:139], v1 offset0:105 offset1:106
	v_add_f32_e32 v141, v141, v144
	v_add_f32_e32 v140, v140, v145
	;; [unrolled: 1-line block ×3, first 2 shown]
	s_waitcnt lgkmcnt(3)
	v_mul_f32_e32 v144, v133, v186
	v_add_f32_e32 v140, v140, v170
	v_mul_f32_e32 v170, v132, v186
	s_waitcnt lgkmcnt(2)
	v_mul_f32_e32 v142, v3, v184
	v_add_f32_e32 v12, v141, v12
	v_mul_f32_e32 v164, v2, v184
	v_add_f32_e32 v145, v140, v175
	v_mul_f32_e32 v143, v5, v185
	v_fma_f32 v184, v2, v189, -v142
	v_add_f32_e32 v12, v12, v148
	v_mul_f32_e32 v183, v4, v185
	v_add_f32_e32 v149, v145, v149
	v_fmac_f32_e32 v164, v3, v189
	v_fma_f32 v185, v4, v188, -v143
	v_add_f32_e32 v12, v12, v150
	v_fmac_f32_e32 v183, v5, v188
	v_add_f32_e32 v148, v149, v151
	v_fmac_f32_e32 v170, v133, v187
	ds_read2_b64 v[2:5], v1 offset0:107 offset1:108
	ds_read2_b64 v[140:143], v1 offset0:109 offset1:110
	v_add_f32_e32 v12, v12, v177
	v_add_f32_e32 v12, v12, v181
	;; [unrolled: 1-line block ×5, first 2 shown]
	s_waitcnt vmcnt(34)
	v_mul_f32_e32 v172, v134, v152
	s_waitcnt vmcnt(33) lgkmcnt(3)
	v_mul_f32_e32 v186, v6, v153
	v_mul_f32_e32 v149, v7, v153
	;; [unrolled: 1-line block ×3, first 2 shown]
	v_fma_f32 v152, v132, v187, -v144
	s_waitcnt vmcnt(32)
	v_mul_f32_e32 v187, v8, v155
	s_waitcnt vmcnt(28)
	v_fmac_f32_e32 v186, v7, v196
	v_add_f32_e32 v7, v148, v176
	s_waitcnt vmcnt(27)
	v_fma_f32 v175, v134, v197, -v146
	v_fmac_f32_e32 v172, v135, v197
	v_mul_f32_e32 v150, v9, v155
	v_fma_f32 v153, v6, v196, -v149
	v_add_f32_e32 v176, v7, v182
	ds_read2_b64 v[132:135], v1 offset0:111 offset1:112
	ds_read2_b64 v[144:147], v1 offset0:113 offset1:114
	v_add_f32_e32 v12, v12, v172
	v_fmac_f32_e32 v187, v9, v195
	v_fma_f32 v155, v8, v195, -v150
	v_add_f32_e32 v176, v176, v184
	ds_read2_b64 v[6:9], v1 offset0:115 offset1:116
	ds_read2_b64 v[148:151], v1 offset0:117 offset1:118
	s_waitcnt lgkmcnt(6)
	v_mul_f32_e32 v1, v136, v156
	v_mul_f32_e32 v156, v137, v156
	v_add_f32_e32 v12, v12, v186
	v_add_f32_e32 v176, v176, v185
	v_fmac_f32_e32 v1, v137, v157
	v_fma_f32 v136, v136, v157, -v156
	v_add_f32_e32 v12, v12, v187
	v_add_f32_e32 v152, v176, v152
	v_add_f32_e32 v1, v12, v1
	v_add_f32_e32 v152, v152, v175
	v_add_f32_e32 v152, v152, v153
	s_waitcnt vmcnt(26)
	v_mul_f32_e32 v164, v138, v154
	v_mul_f32_e32 v154, v139, v154
	s_waitcnt vmcnt(25) lgkmcnt(5)
	v_mul_f32_e32 v177, v2, v159
	s_waitcnt vmcnt(24)
	v_mul_f32_e32 v12, v5, v160
	v_add_f32_e32 v152, v152, v155
	v_mul_f32_e32 v155, v3, v159
	v_mul_f32_e32 v181, v4, v160
	s_waitcnt vmcnt(23) lgkmcnt(4)
	v_mul_f32_e32 v182, v140, v161
	s_waitcnt vmcnt(22)
	v_mul_f32_e32 v176, v142, v162
	v_add_f32_e32 v136, v152, v136
	s_waitcnt vmcnt(21) lgkmcnt(3)
	v_mul_f32_e32 v170, v132, v163
	s_waitcnt vmcnt(20)
	v_mul_f32_e32 v183, v134, v166
	s_waitcnt vmcnt(12)
	v_fma_f32 v4, v4, v173, -v12
	s_waitcnt vmcnt(11)
	v_fmac_f32_e32 v177, v3, v174
	s_waitcnt vmcnt(10)
	v_fma_f32 v138, v138, v191, -v154
	v_fmac_f32_e32 v164, v139, v191
	v_fma_f32 v2, v2, v174, -v155
	v_fmac_f32_e32 v181, v5, v173
	v_fmac_f32_e32 v182, v141, v11
	v_add_f32_e32 v3, v136, v138
	v_add_f32_e32 v1, v1, v164
	v_mul_f32_e32 v136, v141, v161
	s_waitcnt lgkmcnt(2)
	v_mul_f32_e32 v175, v144, v167
	v_mul_f32_e32 v172, v146, v165
	v_add_f32_e32 v2, v3, v2
	v_add_f32_e32 v1, v1, v177
	v_mul_f32_e32 v3, v143, v162
	v_fma_f32 v5, v140, v11, -v136
	s_waitcnt vmcnt(6)
	v_fmac_f32_e32 v176, v143, v199
	v_add_f32_e32 v2, v2, v4
	v_add_f32_e32 v1, v1, v181
	v_mul_f32_e32 v4, v133, v163
	v_fma_f32 v3, v142, v199, -v3
	v_fmac_f32_e32 v170, v133, v198
	v_add_f32_e32 v2, v2, v5
	v_add_f32_e32 v1, v1, v182
	v_mul_f32_e32 v5, v135, v166
	v_fma_f32 v4, v132, v198, -v4
	v_fmac_f32_e32 v183, v135, v192
	v_add_f32_e32 v2, v2, v3
	v_add_f32_e32 v1, v1, v176
	v_mul_f32_e32 v3, v145, v167
	v_fma_f32 v5, v134, v192, -v5
	v_fmac_f32_e32 v175, v145, v179
	v_add_f32_e32 v2, v2, v4
	v_add_f32_e32 v1, v1, v170
	v_mul_f32_e32 v4, v147, v165
	v_fma_f32 v3, v144, v179, -v3
	s_waitcnt lgkmcnt(1)
	v_mul_f32_e32 v184, v6, v168
	v_add_f32_e32 v2, v2, v5
	v_add_f32_e32 v1, v1, v183
	v_mul_f32_e32 v5, v7, v168
	s_waitcnt vmcnt(2)
	v_fma_f32 v4, v146, v200, -v4
	v_fmac_f32_e32 v172, v147, v200
	v_add_f32_e32 v2, v2, v3
	v_add_f32_e32 v1, v1, v175
	v_mul_f32_e32 v3, v9, v169
	v_fma_f32 v5, v6, v194, -v5
	v_mul_f32_e32 v153, v8, v169
	v_add_f32_e32 v2, v2, v4
	v_fmac_f32_e32 v184, v7, v194
	v_add_f32_e32 v1, v1, v172
	s_waitcnt lgkmcnt(0)
	v_mul_f32_e32 v4, v149, v171
	v_fma_f32 v3, v8, v180, -v3
	v_add_f32_e32 v2, v2, v5
	v_mul_f32_e32 v185, v148, v171
	v_fmac_f32_e32 v153, v9, v180
	v_add_f32_e32 v1, v1, v184
	v_mul_f32_e32 v5, v151, v10
	v_fma_f32 v4, v148, v178, -v4
	v_add_f32_e32 v2, v2, v3
	v_mul_f32_e32 v137, v150, v10
	v_fmac_f32_e32 v185, v149, v178
	v_add_f32_e32 v1, v1, v153
	s_waitcnt vmcnt(1)
	v_fma_f32 v3, v150, v201, -v5
	v_add_f32_e32 v2, v2, v4
	v_fmac_f32_e32 v137, v151, v201
	v_add_f32_e32 v1, v1, v185
	v_add_f32_e32 v2, v2, v3
	;; [unrolled: 1-line block ×3, first 2 shown]
	s_waitcnt vmcnt(0)
	v_sub_f32_e32 v2, v158, v2
	v_sub_f32_e32 v1, v193, v1
	buffer_store_dword v2, off, s[0:3], 0 offset:144
	buffer_store_dword v1, off, s[0:3], 0 offset:148
	v_cmpx_lt_u32_e32 17, v0
	s_cbranch_execz .LBB122_333
; %bb.332:
	s_clause 0x1
	buffer_load_dword v1, off, s[0:3], 0 offset:136
	buffer_load_dword v2, off, s[0:3], 0 offset:140
	v_mov_b32_e32 v3, 0
	buffer_store_dword v3, off, s[0:3], 0 offset:136
	buffer_store_dword v3, off, s[0:3], 0 offset:140
	s_waitcnt vmcnt(0)
	ds_write_b64 v131, v[1:2]
.LBB122_333:
	s_or_b32 exec_lo, exec_lo, s4
	s_waitcnt lgkmcnt(0)
	s_waitcnt_vscnt null, 0x0
	s_barrier
	buffer_gl0_inv
	s_clause 0x23
	buffer_load_dword v3, off, s[0:3], 0 offset:148
	buffer_load_dword v2, off, s[0:3], 0 offset:156
	;; [unrolled: 1-line block ×36, first 2 shown]
	v_mov_b32_e32 v1, 0
	s_mov_b32 s4, exec_lo
	ds_read_b128 v[4:7], v1 offset:624
	s_clause 0x1
	buffer_load_dword v181, off, s[0:3], 0 offset:284
	buffer_load_dword v182, off, s[0:3], 0 offset:292
	ds_read_b128 v[8:11], v1 offset:640
	s_clause 0x8
	buffer_load_dword v183, off, s[0:3], 0 offset:300
	buffer_load_dword v184, off, s[0:3], 0 offset:308
	;; [unrolled: 1-line block ×9, first 2 shown]
	ds_read_b128 v[132:135], v1 offset:656
	ds_read_b128 v[136:139], v1 offset:672
	buffer_load_dword v192, off, s[0:3], 0 offset:140
	ds_read_b128 v[140:143], v1 offset:688
	ds_read_b128 v[144:147], v1 offset:704
	s_waitcnt vmcnt(47) lgkmcnt(5)
	v_mul_f32_e32 v193, v5, v3
	v_mul_f32_e32 v194, v4, v3
	s_waitcnt vmcnt(46)
	v_mul_f32_e32 v195, v6, v2
	v_mul_f32_e32 v2, v7, v2
	s_waitcnt vmcnt(43)
	v_fma_f32 v193, v4, v149, -v193
	v_fmac_f32_e32 v194, v5, v149
	s_waitcnt vmcnt(42) lgkmcnt(4)
	v_mul_f32_e32 v149, v8, v150
	v_mul_f32_e32 v150, v9, v150
	v_fmac_f32_e32 v195, v7, v148
	v_fma_f32 v148, v6, v148, -v2
	s_waitcnt vmcnt(41)
	v_mul_f32_e32 v196, v10, v151
	v_mul_f32_e32 v6, v11, v151
	v_fmac_f32_e32 v149, v9, v12
	v_fma_f32 v12, v8, v12, -v150
	s_waitcnt vmcnt(40) lgkmcnt(3)
	v_mul_f32_e32 v150, v132, v152
	v_mul_f32_e32 v7, v133, v152
	s_waitcnt vmcnt(36)
	v_fmac_f32_e32 v196, v11, v156
	v_fma_f32 v10, v10, v156, -v6
	s_waitcnt vmcnt(35)
	v_mul_f32_e32 v11, v134, v157
	v_mul_f32_e32 v6, v135, v157
	ds_read_b128 v[2:5], v1 offset:720
	s_waitcnt vmcnt(34) lgkmcnt(3)
	v_mul_f32_e32 v151, v136, v158
	v_mul_f32_e32 v8, v137, v158
	s_waitcnt vmcnt(33)
	v_mul_f32_e32 v152, v138, v159
	v_mul_f32_e32 v9, v139, v159
	v_fmac_f32_e32 v150, v133, v155
	v_fma_f32 v132, v132, v155, -v7
	v_fmac_f32_e32 v11, v135, v154
	v_fma_f32 v133, v134, v154, -v6
	s_clause 0x6
	buffer_load_dword v154, off, s[0:3], 0 offset:340
	buffer_load_dword v155, off, s[0:3], 0 offset:348
	;; [unrolled: 1-line block ×7, first 2 shown]
	v_fma_f32 v134, v136, v153, -v8
	s_waitcnt vmcnt(36)
	v_fma_f32 v135, v138, v163, -v9
	ds_read_b128 v[6:9], v1 offset:736
	v_fmac_f32_e32 v151, v137, v153
	v_fmac_f32_e32 v152, v139, v163
	s_waitcnt vmcnt(35) lgkmcnt(3)
	v_mul_f32_e32 v137, v141, v164
	s_waitcnt vmcnt(34)
	v_mul_f32_e32 v138, v142, v165
	v_mul_f32_e32 v139, v143, v165
	;; [unrolled: 1-line block ×3, first 2 shown]
	s_waitcnt vmcnt(33) lgkmcnt(2)
	v_mul_f32_e32 v153, v144, v166
	v_mul_f32_e32 v163, v145, v166
	v_fma_f32 v137, v140, v162, -v137
	s_waitcnt vmcnt(32)
	v_mul_f32_e32 v140, v146, v167
	v_fmac_f32_e32 v138, v143, v161
	v_fma_f32 v139, v142, v161, -v139
	s_waitcnt vmcnt(31) lgkmcnt(1)
	v_mul_f32_e32 v142, v2, v168
	v_mul_f32_e32 v143, v3, v168
	v_fmac_f32_e32 v136, v141, v162
	v_mul_f32_e32 v141, v147, v167
	v_fmac_f32_e32 v153, v145, v160
	v_fma_f32 v144, v144, v160, -v163
	s_waitcnt vmcnt(27)
	v_fmac_f32_e32 v140, v147, v172
	s_clause 0x7
	buffer_load_dword v160, off, s[0:3], 0 offset:364
	buffer_load_dword v161, off, s[0:3], 0 offset:372
	;; [unrolled: 1-line block ×8, first 2 shown]
	v_fmac_f32_e32 v142, v3, v171
	v_fma_f32 v143, v2, v171, -v143
	s_waitcnt vmcnt(33) lgkmcnt(0)
	v_mul_f32_e32 v147, v6, v174
	v_mul_f32_e32 v2, v7, v174
	v_add_f32_e32 v3, 0, v193
	v_fma_f32 v141, v146, v172, -v141
	v_mul_f32_e32 v145, v4, v173
	v_fmac_f32_e32 v147, v7, v169
	v_fma_f32 v169, v6, v169, -v2
	v_add_f32_e32 v2, 0, v194
	v_add_f32_e32 v3, v3, v148
	v_mul_f32_e32 v146, v5, v173
	s_clause 0x1
	buffer_load_dword v168, off, s[0:3], 0 offset:396
	buffer_load_dword v171, off, s[0:3], 0 offset:404
	v_fmac_f32_e32 v145, v5, v170
	v_add_f32_e32 v2, v2, v195
	v_add_f32_e32 v6, v3, v12
	s_waitcnt vmcnt(34)
	v_mul_f32_e32 v3, v9, v175
	v_fma_f32 v146, v4, v170, -v146
	s_clause 0x5
	buffer_load_dword v170, off, s[0:3], 0 offset:412
	buffer_load_dword v172, off, s[0:3], 0 offset:420
	;; [unrolled: 1-line block ×6, first 2 shown]
	v_mul_f32_e32 v12, v8, v175
	v_add_f32_e32 v7, v2, v149
	s_waitcnt vmcnt(36)
	v_fma_f32 v148, v8, v179, -v3
	ds_read_b128 v[2:5], v1 offset:752
	s_clause 0x1
	buffer_load_dword v195, off, s[0:3], 0 offset:460
	buffer_load_dword v175, off, s[0:3], 0 offset:468
	v_fmac_f32_e32 v12, v9, v179
	v_add_f32_e32 v7, v7, v196
	s_clause 0x3
	buffer_load_dword v179, off, s[0:3], 0 offset:416
	buffer_load_dword v196, off, s[0:3], 0 offset:408
	;; [unrolled: 1-line block ×4, first 2 shown]
	v_add_f32_e32 v6, v6, v10
	v_add_f32_e32 v7, v7, v150
	;; [unrolled: 1-line block ×6, first 2 shown]
	s_waitcnt vmcnt(41) lgkmcnt(0)
	v_mul_f32_e32 v149, v2, v180
	v_mul_f32_e32 v132, v3, v180
	v_add_f32_e32 v11, v6, v134
	ds_read_b128 v[6:9], v1 offset:768
	v_fmac_f32_e32 v149, v3, v178
	v_fma_f32 v150, v2, v178, -v132
	v_add_f32_e32 v2, v10, v152
	s_clause 0x6
	buffer_load_dword v152, off, s[0:3], 0 offset:448
	buffer_load_dword v178, off, s[0:3], 0 offset:440
	;; [unrolled: 1-line block ×7, first 2 shown]
	v_add_f32_e32 v11, v11, v135
	v_add_f32_e32 v2, v2, v136
	s_waitcnt vmcnt(47)
	v_mul_f32_e32 v10, v4, v181
	v_add_f32_e32 v3, v11, v137
	v_add_f32_e32 v2, v2, v138
	v_mul_f32_e32 v11, v5, v181
	v_fmac_f32_e32 v10, v5, v177
	v_add_f32_e32 v3, v3, v139
	v_add_f32_e32 v132, v2, v153
	s_waitcnt vmcnt(46) lgkmcnt(0)
	v_mul_f32_e32 v151, v6, v182
	v_mul_f32_e32 v138, v7, v182
	s_waitcnt vmcnt(45)
	v_mul_f32_e32 v153, v8, v183
	v_add_f32_e32 v3, v3, v144
	v_add_f32_e32 v137, v132, v140
	v_mul_f32_e32 v139, v9, v183
	v_fma_f32 v11, v4, v177, -v11
	ds_read_b128 v[132:135], v1 offset:800
	v_add_f32_e32 v136, v3, v141
	v_add_f32_e32 v137, v137, v142
	ds_read_b128 v[2:5], v1 offset:784
	v_fmac_f32_e32 v151, v7, v176
	v_fma_f32 v176, v6, v176, -v138
	v_add_f32_e32 v136, v136, v143
	v_add_f32_e32 v141, v137, v145
	s_waitcnt vmcnt(38)
	v_fmac_f32_e32 v153, v9, v190
	v_fma_f32 v177, v8, v190, -v139
	v_add_f32_e32 v140, v136, v146
	ds_read_b128 v[6:9], v1 offset:816
	ds_read_b128 v[136:139], v1 offset:832
	v_add_f32_e32 v141, v141, v147
	v_add_f32_e32 v140, v140, v169
	;; [unrolled: 1-line block ×3, first 2 shown]
	s_waitcnt lgkmcnt(3)
	v_mul_f32_e32 v144, v133, v186
	v_add_f32_e32 v140, v140, v148
	v_mul_f32_e32 v182, v132, v186
	v_add_f32_e32 v12, v12, v149
	s_waitcnt lgkmcnt(2)
	v_mul_f32_e32 v142, v3, v184
	v_mul_f32_e32 v169, v2, v184
	v_add_f32_e32 v145, v140, v150
	v_mul_f32_e32 v143, v5, v185
	v_add_f32_e32 v10, v12, v10
	v_fma_f32 v148, v2, v189, -v142
	v_mul_f32_e32 v181, v4, v185
	v_add_f32_e32 v11, v145, v11
	v_fmac_f32_e32 v169, v3, v189
	v_add_f32_e32 v10, v10, v151
	v_fma_f32 v184, v4, v188, -v143
	v_fmac_f32_e32 v181, v5, v188
	v_add_f32_e32 v11, v11, v176
	s_waitcnt vmcnt(37)
	v_mul_f32_e32 v146, v135, v191
	v_add_f32_e32 v10, v10, v153
	v_fma_f32 v185, v132, v187, -v144
	v_mul_f32_e32 v183, v134, v191
	v_fmac_f32_e32 v182, v133, v187
	ds_read_b128 v[2:5], v1 offset:848
	ds_read_b128 v[140:143], v1 offset:864
	s_waitcnt vmcnt(35) lgkmcnt(3)
	v_mul_f32_e32 v12, v6, v154
	v_mul_f32_e32 v149, v7, v154
	s_waitcnt vmcnt(34)
	v_mul_f32_e32 v176, v8, v155
	v_mul_f32_e32 v150, v9, v155
	s_waitcnt vmcnt(30)
	v_fmac_f32_e32 v12, v7, v159
	v_add_f32_e32 v7, v11, v177
	v_fmac_f32_e32 v176, v9, v158
	v_fma_f32 v154, v8, v158, -v150
	v_add_f32_e32 v158, v10, v169
	s_waitcnt vmcnt(29)
	v_fma_f32 v186, v134, v197, -v146
	v_add_f32_e32 v155, v7, v148
	v_fmac_f32_e32 v183, v135, v197
	v_fma_f32 v153, v6, v159, -v149
	v_add_f32_e32 v158, v158, v181
	s_waitcnt lgkmcnt(2)
	v_mul_f32_e32 v159, v136, v156
	v_add_f32_e32 v155, v155, v184
	v_mul_f32_e32 v156, v137, v156
	ds_read_b128 v[132:135], v1 offset:880
	ds_read_b128 v[144:147], v1 offset:896
	v_add_f32_e32 v158, v158, v182
	v_fmac_f32_e32 v159, v137, v157
	v_add_f32_e32 v155, v155, v185
	v_fma_f32 v136, v136, v157, -v156
	s_waitcnt vmcnt(28)
	v_mul_f32_e32 v169, v138, v160
	v_add_f32_e32 v157, v158, v183
	v_mul_f32_e32 v160, v139, v160
	v_add_f32_e32 v155, v155, v186
	s_waitcnt vmcnt(27) lgkmcnt(3)
	v_mul_f32_e32 v177, v2, v161
	v_mul_f32_e32 v161, v3, v161
	v_add_f32_e32 v12, v157, v12
	s_waitcnt vmcnt(21)
	v_fma_f32 v138, v138, v167, -v160
	v_add_f32_e32 v153, v155, v153
	v_fmac_f32_e32 v169, v139, v167
	v_fmac_f32_e32 v177, v3, v166
	v_add_f32_e32 v12, v12, v176
	v_fma_f32 v2, v2, v166, -v161
	v_add_f32_e32 v153, v153, v154
	v_mul_f32_e32 v154, v5, v162
	v_mul_f32_e32 v181, v4, v162
	v_add_f32_e32 v12, v12, v159
	s_waitcnt lgkmcnt(2)
	v_mul_f32_e32 v137, v140, v163
	v_add_f32_e32 v136, v153, v136
	v_fma_f32 v4, v4, v165, -v154
	v_fmac_f32_e32 v181, v5, v165
	v_add_f32_e32 v12, v12, v169
	s_waitcnt vmcnt(20)
	v_mul_f32_e32 v5, v143, v168
	v_add_f32_e32 v3, v136, v138
	v_mul_f32_e32 v136, v141, v163
	v_mul_f32_e32 v156, v142, v168
	v_fmac_f32_e32 v137, v141, v164
	s_waitcnt vmcnt(19) lgkmcnt(1)
	v_mul_f32_e32 v158, v132, v171
	v_add_f32_e32 v2, v3, v2
	v_add_f32_e32 v3, v12, v177
	v_fma_f32 v12, v140, v164, -v136
	ds_read_b128 v[6:9], v1 offset:912
	ds_read_b128 v[148:151], v1 offset:928
	ds_read_b64 v[10:11], v1 offset:944
	s_waitcnt vmcnt(18)
	v_mul_f32_e32 v139, v134, v170
	v_add_f32_e32 v2, v2, v4
	v_add_f32_e32 v3, v3, v181
	v_mul_f32_e32 v4, v133, v171
	s_waitcnt vmcnt(7)
	v_fma_f32 v5, v142, v199, -v5
	v_fmac_f32_e32 v156, v143, v199
	v_add_f32_e32 v2, v2, v12
	v_add_f32_e32 v3, v3, v137
	v_mul_f32_e32 v12, v135, v170
	v_fma_f32 v4, v132, v198, -v4
	v_fmac_f32_e32 v158, v133, v198
	v_add_f32_e32 v2, v2, v5
	v_add_f32_e32 v3, v3, v156
	s_waitcnt lgkmcnt(3)
	v_mul_f32_e32 v5, v145, v172
	v_fma_f32 v12, v134, v196, -v12
	v_mul_f32_e32 v160, v144, v172
	v_add_f32_e32 v2, v2, v4
	v_fmac_f32_e32 v139, v135, v196
	v_add_f32_e32 v3, v3, v158
	v_mul_f32_e32 v4, v147, v173
	v_fma_f32 v5, v144, v179, -v5
	v_add_f32_e32 v2, v2, v12
	v_mul_f32_e32 v155, v146, v173
	v_fmac_f32_e32 v160, v145, v179
	v_add_f32_e32 v3, v3, v139
	s_waitcnt lgkmcnt(2)
	v_mul_f32_e32 v12, v7, v174
	s_waitcnt vmcnt(3)
	v_fma_f32 v4, v146, v200, -v4
	v_add_f32_e32 v2, v2, v5
	v_mul_f32_e32 v157, v6, v174
	v_fmac_f32_e32 v155, v147, v200
	v_add_f32_e32 v3, v3, v160
	v_mul_f32_e32 v5, v9, v193
	v_fma_f32 v6, v6, v180, -v12
	v_add_f32_e32 v2, v2, v4
	v_mul_f32_e32 v167, v8, v193
	v_fmac_f32_e32 v157, v7, v180
	v_add_f32_e32 v3, v3, v155
	s_waitcnt lgkmcnt(1)
	v_mul_f32_e32 v4, v149, v194
	v_fma_f32 v5, v8, v178, -v5
	v_add_f32_e32 v2, v2, v6
	v_mul_f32_e32 v162, v148, v194
	v_fmac_f32_e32 v167, v9, v178
	v_add_f32_e32 v3, v3, v157
	v_mul_f32_e32 v6, v151, v195
	v_fma_f32 v4, v148, v152, -v4
	v_add_f32_e32 v2, v2, v5
	v_mul_f32_e32 v176, v150, v195
	v_fmac_f32_e32 v162, v149, v152
	v_add_f32_e32 v3, v3, v167
	s_waitcnt lgkmcnt(0)
	v_mul_f32_e32 v5, v11, v175
	s_waitcnt vmcnt(1)
	v_fma_f32 v6, v150, v202, -v6
	v_add_f32_e32 v2, v2, v4
	v_mul_f32_e32 v153, v10, v175
	v_fmac_f32_e32 v176, v151, v202
	v_add_f32_e32 v3, v3, v162
	v_fma_f32 v4, v10, v201, -v5
	v_add_f32_e32 v2, v2, v6
	v_fmac_f32_e32 v153, v11, v201
	v_add_f32_e32 v3, v3, v176
	v_add_f32_e32 v2, v2, v4
	;; [unrolled: 1-line block ×3, first 2 shown]
	s_waitcnt vmcnt(0)
	v_sub_f32_e32 v2, v203, v2
	v_sub_f32_e32 v3, v192, v3
	buffer_store_dword v2, off, s[0:3], 0 offset:136
	buffer_store_dword v3, off, s[0:3], 0 offset:140
	v_cmpx_lt_u32_e32 16, v0
	s_cbranch_execz .LBB122_335
; %bb.334:
	s_clause 0x1
	buffer_load_dword v2, off, s[0:3], 0 offset:128
	buffer_load_dword v3, off, s[0:3], 0 offset:132
	buffer_store_dword v1, off, s[0:3], 0 offset:128
	buffer_store_dword v1, off, s[0:3], 0 offset:132
	s_waitcnt vmcnt(0)
	ds_write_b64 v131, v[2:3]
.LBB122_335:
	s_or_b32 exec_lo, exec_lo, s4
	s_waitcnt lgkmcnt(0)
	s_waitcnt_vscnt null, 0x0
	s_barrier
	buffer_gl0_inv
	s_clause 0x24
	buffer_load_dword v2, off, s[0:3], 0 offset:140
	buffer_load_dword v3, off, s[0:3], 0 offset:148
	;; [unrolled: 1-line block ×37, first 2 shown]
	ds_read2_b64 v[6:9], v1 offset0:77 offset1:78
	ds_read2_b64 v[132:135], v1 offset0:79 offset1:80
	s_clause 0x8
	buffer_load_dword v184, off, s[0:3], 0 offset:284
	buffer_load_dword v185, off, s[0:3], 0 offset:292
	;; [unrolled: 1-line block ×9, first 2 shown]
	ds_read2_b64 v[136:139], v1 offset0:81 offset1:82
	ds_read2_b64 v[140:143], v1 offset0:83 offset1:84
	;; [unrolled: 1-line block ×4, first 2 shown]
	buffer_load_dword v191, off, s[0:3], 0 offset:132
	s_mov_b32 s4, exec_lo
	s_waitcnt vmcnt(46) lgkmcnt(5)
	v_mul_f32_e32 v192, v7, v2
	v_mul_f32_e32 v2, v6, v2
	s_waitcnt vmcnt(45)
	v_mul_f32_e32 v193, v8, v3
	v_mul_f32_e32 v3, v9, v3
	s_waitcnt vmcnt(44) lgkmcnt(4)
	v_mul_f32_e32 v194, v132, v10
	v_mul_f32_e32 v10, v133, v10
	s_waitcnt vmcnt(41)
	v_fma_f32 v192, v6, v152, -v192
	v_fmac_f32_e32 v2, v7, v152
	s_waitcnt vmcnt(40)
	v_mul_f32_e32 v152, v134, v153
	v_mul_f32_e32 v6, v135, v153
	v_fmac_f32_e32 v193, v9, v12
	v_fma_f32 v3, v8, v12, -v3
	s_waitcnt vmcnt(35) lgkmcnt(3)
	v_mul_f32_e32 v12, v136, v158
	v_mul_f32_e32 v153, v137, v158
	v_fmac_f32_e32 v194, v133, v11
	v_fma_f32 v10, v132, v11, -v10
	v_fmac_f32_e32 v152, v135, v157
	v_fma_f32 v11, v134, v157, -v6
	s_waitcnt vmcnt(34)
	v_mul_f32_e32 v157, v138, v159
	v_mul_f32_e32 v158, v139, v159
	s_waitcnt vmcnt(33) lgkmcnt(2)
	v_mul_f32_e32 v159, v140, v160
	v_mul_f32_e32 v160, v141, v160
	v_fmac_f32_e32 v12, v137, v156
	v_fma_f32 v153, v136, v156, -v153
	s_waitcnt vmcnt(32)
	v_mul_f32_e32 v156, v142, v161
	v_mul_f32_e32 v136, v143, v161
	ds_read2_b64 v[6:9], v1 offset0:89 offset1:90
	ds_read2_b64 v[132:135], v1 offset0:91 offset1:92
	v_fmac_f32_e32 v157, v139, v155
	v_fma_f32 v155, v138, v155, -v158
	s_waitcnt vmcnt(31) lgkmcnt(3)
	v_mul_f32_e32 v158, v144, v162
	v_mul_f32_e32 v137, v145, v162
	s_waitcnt vmcnt(30)
	v_mul_f32_e32 v161, v146, v163
	v_mul_f32_e32 v138, v147, v163
	v_fmac_f32_e32 v159, v141, v154
	v_fma_f32 v140, v140, v154, -v160
	s_waitcnt vmcnt(26)
	v_fmac_f32_e32 v156, v143, v167
	v_fma_f32 v141, v142, v167, -v136
	s_clause 0x7
	buffer_load_dword v154, off, s[0:3], 0 offset:324
	buffer_load_dword v160, off, s[0:3], 0 offset:332
	;; [unrolled: 1-line block ×8, first 2 shown]
	v_fmac_f32_e32 v158, v145, v166
	v_fma_f32 v142, v144, v166, -v137
	v_fmac_f32_e32 v161, v147, v165
	v_fma_f32 v143, v146, v165, -v138
	s_waitcnt vmcnt(33) lgkmcnt(2)
	v_mul_f32_e32 v144, v148, v168
	v_mul_f32_e32 v145, v149, v168
	s_waitcnt vmcnt(32)
	v_mul_f32_e32 v146, v150, v169
	v_mul_f32_e32 v147, v151, v169
	ds_read2_b64 v[136:139], v1 offset0:93 offset1:94
	buffer_load_dword v165, off, s[0:3], 0 offset:356
	v_fmac_f32_e32 v144, v149, v164
	v_fma_f32 v145, v148, v164, -v145
	s_waitcnt vmcnt(32) lgkmcnt(2)
	v_mul_f32_e32 v148, v6, v170
	v_mul_f32_e32 v149, v7, v170
	s_waitcnt vmcnt(28)
	v_fmac_f32_e32 v146, v151, v174
	v_fma_f32 v147, v150, v174, -v147
	s_waitcnt vmcnt(27)
	v_mul_f32_e32 v150, v8, v175
	v_mul_f32_e32 v151, v9, v175
	v_fmac_f32_e32 v148, v7, v173
	v_fma_f32 v149, v6, v173, -v149
	s_waitcnt vmcnt(26) lgkmcnt(1)
	v_mul_f32_e32 v164, v132, v176
	v_fmac_f32_e32 v150, v9, v172
	v_fma_f32 v151, v8, v172, -v151
	s_clause 0x4
	buffer_load_dword v168, off, s[0:3], 0 offset:364
	buffer_load_dword v169, off, s[0:3], 0 offset:376
	;; [unrolled: 1-line block ×5, first 2 shown]
	v_mul_f32_e32 v166, v133, v176
	s_waitcnt vmcnt(30)
	v_mul_f32_e32 v175, v135, v177
	v_fmac_f32_e32 v164, v133, v171
	v_add_f32_e32 v2, 0, v2
	v_mul_f32_e32 v174, v134, v177
	v_fma_f32 v166, v132, v171, -v166
	s_waitcnt vmcnt(26)
	v_fma_f32 v171, v134, v181, -v175
	s_waitcnt vmcnt(25) lgkmcnt(0)
	v_mul_f32_e32 v175, v136, v182
	v_mul_f32_e32 v132, v137, v182
	v_add_f32_e32 v2, v2, v193
	ds_read2_b64 v[6:9], v1 offset0:95 offset1:96
	s_clause 0x1
	buffer_load_dword v176, off, s[0:3], 0 offset:372
	buffer_load_dword v177, off, s[0:3], 0 offset:380
	v_fmac_f32_e32 v175, v137, v180
	v_fma_f32 v180, v136, v180, -v132
	v_add_f32_e32 v132, 0, v192
	v_add_f32_e32 v2, v2, v194
	v_fmac_f32_e32 v174, v135, v181
	s_waitcnt vmcnt(26)
	v_mul_f32_e32 v181, v138, v183
	v_mul_f32_e32 v133, v139, v183
	v_add_f32_e32 v3, v132, v3
	v_add_f32_e32 v2, v2, v152
	s_clause 0x4
	buffer_load_dword v182, off, s[0:3], 0 offset:388
	buffer_load_dword v183, off, s[0:3], 0 offset:396
	;; [unrolled: 1-line block ×5, first 2 shown]
	v_add_f32_e32 v3, v3, v10
	s_clause 0x5
	buffer_load_dword v200, off, s[0:3], 0 offset:428
	buffer_load_dword v201, off, s[0:3], 0 offset:436
	buffer_load_dword v202, off, s[0:3], 0 offset:444
	buffer_load_dword v193, off, s[0:3], 0 offset:452
	buffer_load_dword v10, off, s[0:3], 0 offset:460
	buffer_load_dword v194, off, s[0:3], 0 offset:468
	v_add_f32_e32 v3, v3, v11
	v_add_f32_e32 v2, v2, v12
	s_waitcnt vmcnt(36) lgkmcnt(0)
	v_mul_f32_e32 v206, v6, v184
	v_mul_f32_e32 v132, v7, v184
	v_fmac_f32_e32 v181, v139, v179
	v_add_f32_e32 v3, v3, v153
	s_clause 0x3
	buffer_load_dword v11, off, s[0:3], 0 offset:408
	buffer_load_dword v12, off, s[0:3], 0 offset:400
	;; [unrolled: 1-line block ×4, first 2 shown]
	v_add_f32_e32 v2, v2, v157
	v_fma_f32 v179, v138, v179, -v133
	v_fmac_f32_e32 v206, v7, v178
	v_add_f32_e32 v3, v3, v155
	v_add_f32_e32 v2, v2, v159
	s_clause 0x3
	buffer_load_dword v155, off, s[0:3], 0 offset:440
	buffer_load_dword v157, off, s[0:3], 0 offset:432
	;; [unrolled: 1-line block ×4, first 2 shown]
	v_add_f32_e32 v3, v3, v140
	v_add_f32_e32 v2, v2, v156
	s_clause 0x2
	buffer_load_dword v156, off, s[0:3], 0 offset:464
	buffer_load_dword v204, off, s[0:3], 0 offset:456
	;; [unrolled: 1-line block ×3, first 2 shown]
	ds_read2_b64 v[136:139], v1 offset0:101 offset1:102
	v_add_f32_e32 v3, v3, v141
	v_add_f32_e32 v2, v2, v158
	buffer_load_dword v158, off, s[0:3], 0 offset:128
	v_add_f32_e32 v3, v3, v142
	v_add_f32_e32 v2, v2, v161
	v_fma_f32 v161, v6, v178, -v132
	ds_read2_b64 v[132:135], v1 offset0:97 offset1:98
	v_add_f32_e32 v3, v3, v143
	s_waitcnt vmcnt(47)
	v_mul_f32_e32 v178, v8, v185
	v_add_f32_e32 v2, v2, v144
	v_mul_f32_e32 v6, v9, v185
	v_add_f32_e32 v3, v3, v145
	s_waitcnt vmcnt(40)
	v_fmac_f32_e32 v178, v9, v190
	v_add_f32_e32 v2, v2, v146
	v_fma_f32 v184, v8, v190, -v6
	ds_read2_b64 v[6:9], v1 offset0:99 offset1:100
	v_add_f32_e32 v3, v3, v147
	v_add_f32_e32 v2, v2, v148
	;; [unrolled: 1-line block ×4, first 2 shown]
	s_waitcnt lgkmcnt(1)
	v_mul_f32_e32 v148, v132, v186
	v_add_f32_e32 v3, v3, v151
	v_mul_f32_e32 v140, v133, v186
	v_add_f32_e32 v2, v2, v164
	v_mul_f32_e32 v164, v134, v187
	v_fmac_f32_e32 v148, v133, v189
	v_add_f32_e32 v3, v3, v166
	v_fma_f32 v149, v132, v189, -v140
	ds_read2_b64 v[140:143], v1 offset0:103 offset1:104
	v_add_f32_e32 v2, v2, v174
	s_waitcnt lgkmcnt(1)
	v_mul_f32_e32 v133, v7, v188
	v_add_f32_e32 v3, v3, v171
	v_mul_f32_e32 v166, v6, v188
	v_mul_f32_e32 v132, v135, v187
	v_add_f32_e32 v2, v2, v175
	v_fma_f32 v174, v6, v4, -v133
	v_add_f32_e32 v3, v3, v180
	v_fmac_f32_e32 v166, v7, v4
	v_fma_f32 v150, v134, v5, -v132
	v_add_f32_e32 v7, v2, v181
	v_fmac_f32_e32 v164, v135, v5
	v_add_f32_e32 v6, v3, v179
	ds_read2_b64 v[2:5], v1 offset0:105 offset1:106
	ds_read2_b64 v[132:135], v1 offset0:107 offset1:108
	s_waitcnt vmcnt(38)
	v_mul_f32_e32 v171, v8, v154
	v_mul_f32_e32 v144, v9, v154
	s_waitcnt vmcnt(37)
	v_mul_f32_e32 v154, v136, v160
	v_mul_f32_e32 v145, v137, v160
	;; [unrolled: 3-line block ×3, first 2 shown]
	s_waitcnt vmcnt(35) lgkmcnt(2)
	v_mul_f32_e32 v162, v140, v163
	s_waitcnt vmcnt(32)
	v_fmac_f32_e32 v154, v137, v196
	v_add_f32_e32 v137, v6, v161
	v_fma_f32 v161, v136, v196, -v145
	v_add_f32_e32 v136, v7, v206
	v_fmac_f32_e32 v162, v141, v167
	s_waitcnt vmcnt(31)
	v_fma_f32 v160, v8, v197, -v144
	v_add_f32_e32 v137, v137, v184
	v_fmac_f32_e32 v171, v9, v197
	v_add_f32_e32 v136, v136, v178
	v_fmac_f32_e32 v175, v139, v195
	s_waitcnt vmcnt(30)
	v_mul_f32_e32 v178, v142, v165
	v_add_f32_e32 v137, v137, v149
	v_mul_f32_e32 v149, v141, v163
	v_mul_f32_e32 v163, v143, v165
	v_fma_f32 v165, v138, v195, -v151
	ds_read2_b64 v[6:9], v1 offset0:109 offset1:110
	ds_read2_b64 v[144:147], v1 offset0:111 offset1:112
	v_add_f32_e32 v179, v137, v150
	v_fma_f32 v167, v140, v167, -v149
	v_add_f32_e32 v140, v136, v148
	ds_read2_b64 v[136:139], v1 offset0:113 offset1:114
	ds_read2_b64 v[148:151], v1 offset0:115 offset1:116
	v_add_f32_e32 v164, v140, v164
	s_waitcnt vmcnt(25)
	v_fmac_f32_e32 v178, v143, v173
	v_fma_f32 v163, v142, v173, -v163
	v_add_f32_e32 v173, v179, v174
	ds_read2_b64 v[140:143], v1 offset0:117 offset1:118
	v_add_f32_e32 v164, v164, v166
	s_waitcnt lgkmcnt(6)
	v_mul_f32_e32 v1, v2, v168
	v_mul_f32_e32 v168, v3, v168
	v_add_f32_e32 v160, v173, v160
	v_add_f32_e32 v164, v164, v171
	v_fmac_f32_e32 v1, v3, v172
	s_waitcnt vmcnt(24)
	v_mul_f32_e32 v174, v5, v176
	v_add_f32_e32 v160, v160, v161
	v_fma_f32 v2, v2, v172, -v168
	v_add_f32_e32 v154, v164, v154
	v_mul_f32_e32 v166, v4, v176
	v_fma_f32 v4, v4, v170, -v174
	v_add_f32_e32 v160, v160, v165
	s_waitcnt vmcnt(23) lgkmcnt(5)
	v_mul_f32_e32 v173, v132, v177
	v_add_f32_e32 v154, v154, v175
	v_fmac_f32_e32 v166, v5, v170
	s_waitcnt vmcnt(22)
	v_mul_f32_e32 v5, v135, v182
	v_add_f32_e32 v160, v160, v167
	v_mul_f32_e32 v171, v134, v182
	v_add_f32_e32 v154, v154, v162
	v_fmac_f32_e32 v173, v133, v169
	s_waitcnt vmcnt(21) lgkmcnt(4)
	v_mul_f32_e32 v176, v6, v183
	v_add_f32_e32 v160, v160, v163
	v_mul_f32_e32 v163, v133, v177
	v_add_f32_e32 v154, v154, v178
	s_waitcnt vmcnt(20)
	v_mul_f32_e32 v161, v8, v198
	s_waitcnt vmcnt(19) lgkmcnt(3)
	v_mul_f32_e32 v164, v144, v192
	v_add_f32_e32 v2, v160, v2
	v_fma_f32 v132, v132, v169, -v163
	v_add_f32_e32 v1, v154, v1
	s_waitcnt vmcnt(10)
	v_fmac_f32_e32 v161, v9, v12
	s_waitcnt vmcnt(9)
	v_fmac_f32_e32 v176, v7, v152
	v_add_f32_e32 v2, v2, v4
	v_mul_f32_e32 v4, v7, v183
	v_add_f32_e32 v1, v1, v166
	s_waitcnt vmcnt(8)
	v_fma_f32 v5, v134, v153, -v5
	v_fmac_f32_e32 v171, v135, v153
	v_add_f32_e32 v2, v2, v132
	v_mul_f32_e32 v132, v9, v198
	v_add_f32_e32 v1, v1, v173
	v_fma_f32 v4, v6, v152, -v4
	v_mul_f32_e32 v179, v146, v199
	v_add_f32_e32 v2, v2, v5
	v_mul_f32_e32 v5, v145, v192
	v_add_f32_e32 v1, v1, v171
	v_fma_f32 v6, v8, v12, -v132
	v_fmac_f32_e32 v164, v145, v11
	v_add_f32_e32 v2, v2, v4
	v_mul_f32_e32 v4, v147, v199
	v_add_f32_e32 v1, v1, v176
	v_fma_f32 v5, v144, v11, -v5
	s_waitcnt lgkmcnt(2)
	v_mul_f32_e32 v165, v136, v200
	v_add_f32_e32 v2, v2, v6
	v_mul_f32_e32 v6, v137, v200
	v_add_f32_e32 v1, v1, v161
	s_waitcnt vmcnt(4)
	v_fma_f32 v4, v146, v203, -v4
	v_fmac_f32_e32 v179, v147, v203
	v_add_f32_e32 v2, v2, v5
	v_mul_f32_e32 v5, v139, v201
	v_add_f32_e32 v1, v1, v164
	v_fma_f32 v6, v136, v159, -v6
	v_mul_f32_e32 v175, v138, v201
	v_add_f32_e32 v2, v2, v4
	v_fmac_f32_e32 v165, v137, v159
	v_add_f32_e32 v1, v1, v179
	s_waitcnt lgkmcnt(1)
	v_mul_f32_e32 v4, v149, v202
	v_fma_f32 v5, v138, v157, -v5
	v_add_f32_e32 v2, v2, v6
	v_mul_f32_e32 v180, v148, v202
	v_fmac_f32_e32 v175, v139, v157
	v_add_f32_e32 v1, v1, v165
	v_mul_f32_e32 v6, v151, v193
	v_fma_f32 v4, v148, v155, -v4
	v_add_f32_e32 v2, v2, v5
	v_mul_f32_e32 v167, v150, v193
	v_fmac_f32_e32 v180, v149, v155
	v_add_f32_e32 v1, v1, v175
	s_waitcnt lgkmcnt(0)
	v_mul_f32_e32 v5, v141, v10
	s_waitcnt vmcnt(1)
	v_fma_f32 v6, v150, v205, -v6
	v_add_f32_e32 v2, v2, v4
	v_mul_f32_e32 v162, v140, v10
	v_fmac_f32_e32 v167, v151, v205
	v_add_f32_e32 v1, v1, v180
	v_mul_f32_e32 v4, v143, v194
	v_fma_f32 v5, v140, v204, -v5
	v_add_f32_e32 v2, v2, v6
	v_mul_f32_e32 v3, v142, v194
	v_fmac_f32_e32 v162, v141, v204
	v_add_f32_e32 v1, v1, v167
	v_fma_f32 v4, v142, v156, -v4
	v_add_f32_e32 v2, v2, v5
	v_fmac_f32_e32 v3, v143, v156
	v_add_f32_e32 v1, v1, v162
	v_add_f32_e32 v2, v2, v4
	;; [unrolled: 1-line block ×3, first 2 shown]
	s_waitcnt vmcnt(0)
	v_sub_f32_e32 v2, v158, v2
	v_sub_f32_e32 v1, v191, v1
	buffer_store_dword v2, off, s[0:3], 0 offset:128
	buffer_store_dword v1, off, s[0:3], 0 offset:132
	v_cmpx_lt_u32_e32 15, v0
	s_cbranch_execz .LBB122_337
; %bb.336:
	s_clause 0x1
	buffer_load_dword v1, off, s[0:3], 0 offset:120
	buffer_load_dword v2, off, s[0:3], 0 offset:124
	v_mov_b32_e32 v3, 0
	buffer_store_dword v3, off, s[0:3], 0 offset:120
	buffer_store_dword v3, off, s[0:3], 0 offset:124
	s_waitcnt vmcnt(0)
	ds_write_b64 v131, v[1:2]
.LBB122_337:
	s_or_b32 exec_lo, exec_lo, s4
	s_waitcnt lgkmcnt(0)
	s_waitcnt_vscnt null, 0x0
	s_barrier
	buffer_gl0_inv
	s_clause 0x25
	buffer_load_dword v134, off, s[0:3], 0 offset:132
	buffer_load_dword v135, off, s[0:3], 0 offset:140
	;; [unrolled: 1-line block ×38, first 2 shown]
	v_mov_b32_e32 v132, 0
	ds_read_b128 v[9:12], v132 offset:608
	ds_read_b128 v[1:4], v132 offset:624
	s_clause 0x7
	buffer_load_dword v175, off, s[0:3], 0 offset:284
	buffer_load_dword v172, off, s[0:3], 0 offset:292
	;; [unrolled: 1-line block ×8, first 2 shown]
	ds_read_b128 v[5:8], v132 offset:640
	s_clause 0x9
	buffer_load_dword v170, off, s[0:3], 0 offset:316
	buffer_load_dword v157, off, s[0:3], 0 offset:320
	buffer_load_dword v186, off, s[0:3], 0 offset:324
	buffer_load_dword v187, off, s[0:3], 0 offset:328
	buffer_load_dword v188, off, s[0:3], 0 offset:332
	buffer_load_dword v189, off, s[0:3], 0 offset:340
	buffer_load_dword v190, off, s[0:3], 0 offset:336
	buffer_load_dword v191, off, s[0:3], 0 offset:312
	buffer_load_dword v192, off, s[0:3], 0 offset:348
	buffer_load_dword v181, off, s[0:3], 0 offset:124
	ds_read_b128 v[182:185], v132 offset:656
	s_mov_b32 s4, exec_lo
	s_waitcnt vmcnt(55) lgkmcnt(3)
	v_mul_f32_e32 v193, v9, v134
	v_mul_f32_e32 v134, v10, v134
	s_waitcnt vmcnt(54)
	v_mul_f32_e32 v194, v11, v135
	v_mul_f32_e32 v135, v12, v135
	s_waitcnt vmcnt(51)
	v_fmac_f32_e32 v193, v10, v140
	v_fma_f32 v140, v9, v140, -v134
	s_waitcnt vmcnt(50) lgkmcnt(2)
	v_mul_f32_e32 v195, v1, v139
	v_mul_f32_e32 v134, v2, v139
	v_fmac_f32_e32 v194, v12, v137
	v_fma_f32 v137, v11, v137, -v135
	ds_read_b128 v[9:12], v132 offset:672
	s_waitcnt vmcnt(49)
	v_mul_f32_e32 v139, v3, v138
	v_mul_f32_e32 v135, v4, v138
	v_fmac_f32_e32 v195, v2, v133
	v_fma_f32 v138, v1, v133, -v134
	s_waitcnt vmcnt(48) lgkmcnt(2)
	v_mul_f32_e32 v196, v5, v136
	v_mul_f32_e32 v133, v6, v136
	s_waitcnt vmcnt(44)
	v_fmac_f32_e32 v139, v4, v148
	v_fma_f32 v148, v3, v148, -v135
	ds_read_b128 v[1:4], v132 offset:688
	s_waitcnt vmcnt(43)
	v_mul_f32_e32 v197, v7, v146
	v_mul_f32_e32 v134, v8, v146
	v_fmac_f32_e32 v196, v6, v144
	v_fma_f32 v144, v5, v144, -v133
	s_waitcnt vmcnt(42) lgkmcnt(2)
	v_mul_f32_e32 v146, v182, v145
	v_fmac_f32_e32 v197, v8, v142
	v_fma_f32 v142, v7, v142, -v134
	ds_read_b128 v[5:8], v132 offset:704
	v_mul_f32_e32 v133, v183, v145
	s_waitcnt vmcnt(41)
	v_mul_f32_e32 v145, v184, v143
	v_mul_f32_e32 v134, v185, v143
	s_waitcnt vmcnt(40) lgkmcnt(2)
	v_mul_f32_e32 v143, v9, v147
	v_mul_f32_e32 v147, v10, v147
	v_fmac_f32_e32 v146, v183, v141
	v_fma_f32 v141, v182, v141, -v133
	s_waitcnt vmcnt(36)
	v_fmac_f32_e32 v145, v185, v156
	v_fma_f32 v156, v184, v156, -v134
	ds_read_b128 v[133:136], v132 offset:720
	s_waitcnt vmcnt(35)
	v_mul_f32_e32 v182, v11, v155
	v_mul_f32_e32 v155, v12, v155
	v_fmac_f32_e32 v143, v10, v152
	v_fma_f32 v147, v9, v152, -v147
	s_waitcnt vmcnt(34) lgkmcnt(2)
	v_mul_f32_e32 v152, v1, v153
	v_mul_f32_e32 v153, v2, v153
	v_fmac_f32_e32 v182, v12, v150
	v_fma_f32 v150, v11, v150, -v155
	ds_read_b128 v[9:12], v132 offset:736
	v_fmac_f32_e32 v152, v2, v149
	v_fma_f32 v149, v1, v149, -v153
	s_waitcnt vmcnt(32) lgkmcnt(2)
	v_mul_f32_e32 v153, v5, v154
	v_mul_f32_e32 v1, v6, v154
	;; [unrolled: 1-line block ×4, first 2 shown]
	s_waitcnt vmcnt(27)
	v_mul_f32_e32 v2, v8, v166
	v_fmac_f32_e32 v153, v6, v163
	v_add_f32_e32 v6, 0, v193
	v_fmac_f32_e32 v155, v4, v167
	v_fma_f32 v151, v3, v167, -v151
	v_mul_f32_e32 v167, v7, v166
	s_waitcnt vmcnt(26) lgkmcnt(1)
	v_mul_f32_e32 v154, v133, v165
	v_add_f32_e32 v6, v6, v194
	v_mul_f32_e32 v3, v134, v165
	s_waitcnt vmcnt(25)
	v_mul_f32_e32 v165, v135, v164
	v_mul_f32_e32 v4, v136, v164
	s_clause 0x6
	buffer_load_dword v164, off, s[0:3], 0 offset:356
	buffer_load_dword v166, off, s[0:3], 0 offset:368
	;; [unrolled: 1-line block ×7, first 2 shown]
	v_add_f32_e32 v6, v6, v195
	v_fma_f32 v163, v5, v163, -v1
	v_fmac_f32_e32 v154, v134, v160
	v_fma_f32 v133, v133, v160, -v3
	s_waitcnt vmcnt(27) lgkmcnt(0)
	v_mul_f32_e32 v160, v9, v179
	v_mul_f32_e32 v5, v10, v179
	v_add_f32_e32 v6, v6, v139
	v_fmac_f32_e32 v167, v8, v162
	v_fma_f32 v162, v7, v162, -v2
	v_fmac_f32_e32 v165, v136, v180
	v_fma_f32 v134, v135, v180, -v4
	buffer_load_dword v179, off, s[0:3], 0 offset:380
	s_waitcnt vmcnt(27)
	v_mul_f32_e32 v180, v11, v174
	v_fmac_f32_e32 v160, v10, v176
	v_fma_f32 v176, v9, v176, -v5
	v_add_f32_e32 v5, 0, v140
	v_mul_f32_e32 v7, v12, v174
	v_add_f32_e32 v6, v6, v196
	ds_read_b128 v[1:4], v132 offset:752
	s_clause 0x1
	buffer_load_dword v193, off, s[0:3], 0 offset:388
	buffer_load_dword v194, off, s[0:3], 0 offset:396
	v_add_f32_e32 v5, v5, v137
	buffer_load_dword v174, off, s[0:3], 0 offset:404
	v_fmac_f32_e32 v180, v12, v171
	v_fma_f32 v137, v11, v171, -v7
	s_clause 0x7
	buffer_load_dword v171, off, s[0:3], 0 offset:412
	buffer_load_dword v195, off, s[0:3], 0 offset:420
	;; [unrolled: 1-line block ×8, first 2 shown]
	v_add_f32_e32 v6, v6, v197
	s_clause 0x3
	buffer_load_dword v197, off, s[0:3], 0 offset:400
	buffer_load_dword v205, off, s[0:3], 0 offset:392
	;; [unrolled: 1-line block ×4, first 2 shown]
	v_add_f32_e32 v5, v5, v138
	s_clause 0x3
	buffer_load_dword v208, off, s[0:3], 0 offset:432
	buffer_load_dword v209, off, s[0:3], 0 offset:424
	;; [unrolled: 1-line block ×4, first 2 shown]
	v_add_f32_e32 v6, v6, v146
	v_add_f32_e32 v5, v5, v148
	;; [unrolled: 1-line block ×3, first 2 shown]
	s_waitcnt vmcnt(45) lgkmcnt(0)
	v_mul_f32_e32 v138, v1, v178
	v_add_f32_e32 v5, v5, v144
	v_mul_f32_e32 v7, v2, v178
	v_add_f32_e32 v6, v6, v143
	v_fmac_f32_e32 v138, v2, v158
	v_add_f32_e32 v5, v5, v142
	v_fma_f32 v139, v1, v158, -v7
	v_add_f32_e32 v6, v6, v182
	v_add_f32_e32 v5, v5, v141
	s_waitcnt vmcnt(44)
	v_mul_f32_e32 v141, v3, v175
	v_add_f32_e32 v6, v6, v152
	v_add_f32_e32 v5, v5, v156
	s_clause 0x4
	buffer_load_dword v156, off, s[0:3], 0 offset:464
	buffer_load_dword v182, off, s[0:3], 0 offset:456
	;; [unrolled: 1-line block ×5, first 2 shown]
	v_add_f32_e32 v1, v6, v155
	s_waitcnt vmcnt(42)
	v_fmac_f32_e32 v141, v4, v177
	v_add_f32_e32 v5, v5, v147
	v_add_f32_e32 v9, v1, v153
	v_mul_f32_e32 v1, v4, v175
	v_add_f32_e32 v5, v5, v150
	v_add_f32_e32 v135, v9, v167
	v_fma_f32 v142, v3, v177, -v1
	v_add_f32_e32 v5, v5, v149
	v_add_f32_e32 v135, v135, v154
	;; [unrolled: 1-line block ×3, first 2 shown]
	ds_read_b128 v[5:8], v132 offset:768
	v_add_f32_e32 v143, v135, v165
	v_add_f32_e32 v10, v2, v163
	ds_read_b128 v[1:4], v132 offset:784
	v_add_f32_e32 v136, v10, v162
	ds_read_b128 v[9:12], v132 offset:800
	v_add_f32_e32 v133, v136, v133
	s_waitcnt lgkmcnt(2)
	v_mul_f32_e32 v140, v6, v172
	v_mul_f32_e32 v145, v5, v172
	;; [unrolled: 1-line block ×3, first 2 shown]
	v_fma_f32 v146, v5, v173, -v140
	v_add_f32_e32 v5, v133, v134
	ds_read_b128 v[133:136], v132 offset:816
	v_fmac_f32_e32 v145, v6, v173
	v_add_f32_e32 v6, v143, v160
	s_waitcnt lgkmcnt(2)
	v_mul_f32_e32 v148, v1, v168
	v_add_f32_e32 v5, v5, v176
	v_mul_f32_e32 v143, v2, v168
	s_waitcnt vmcnt(39) lgkmcnt(1)
	v_mul_f32_e32 v152, v9, v186
	v_add_f32_e32 v6, v6, v180
	v_fmac_f32_e32 v148, v2, v159
	v_add_f32_e32 v5, v5, v137
	v_fma_f32 v150, v1, v159, -v143
	v_mul_f32_e32 v143, v10, v186
	v_add_f32_e32 v1, v6, v138
	v_mul_f32_e32 v140, v8, v169
	v_add_f32_e32 v2, v5, v139
	v_fmac_f32_e32 v152, v10, v157
	v_fma_f32 v154, v9, v157, -v143
	v_add_f32_e32 v10, v1, v141
	v_fma_f32 v149, v7, v161, -v140
	v_add_f32_e32 v9, v2, v142
	v_fmac_f32_e32 v147, v8, v161
	v_mul_f32_e32 v144, v4, v170
	v_add_f32_e32 v10, v10, v145
	s_waitcnt vmcnt(36) lgkmcnt(0)
	v_mul_f32_e32 v157, v133, v189
	v_add_f32_e32 v9, v9, v146
	v_mul_f32_e32 v146, v134, v189
	v_mul_f32_e32 v151, v3, v170
	v_add_f32_e32 v10, v10, v147
	s_waitcnt vmcnt(34)
	v_fma_f32 v153, v3, v191, -v144
	ds_read_b128 v[5:8], v132 offset:832
	ds_read_b128 v[137:140], v132 offset:848
	v_fma_f32 v161, v133, v190, -v146
	v_add_f32_e32 v133, v9, v149
	v_fmac_f32_e32 v151, v4, v191
	v_add_f32_e32 v162, v10, v148
	v_mul_f32_e32 v145, v12, v188
	v_mul_f32_e32 v155, v11, v188
	v_add_f32_e32 v163, v133, v150
	s_waitcnt vmcnt(33)
	v_mul_f32_e32 v159, v136, v192
	v_add_f32_e32 v151, v162, v151
	v_fma_f32 v160, v11, v187, -v145
	v_fmac_f32_e32 v155, v12, v187
	v_add_f32_e32 v153, v163, v153
	v_mul_f32_e32 v158, v135, v192
	v_add_f32_e32 v151, v151, v152
	v_fmac_f32_e32 v157, v134, v190
	ds_read_b128 v[1:4], v132 offset:864
	ds_read_b128 v[141:144], v132 offset:880
	v_add_f32_e32 v153, v153, v154
	ds_read_b128 v[9:12], v132 offset:896
	ds_read_b128 v[145:148], v132 offset:912
	v_add_f32_e32 v151, v151, v155
	v_add_f32_e32 v153, v153, v160
	;; [unrolled: 1-line block ×4, first 2 shown]
	s_waitcnt vmcnt(31) lgkmcnt(5)
	v_mul_f32_e32 v162, v5, v164
	v_mul_f32_e32 v164, v6, v164
	s_waitcnt vmcnt(27)
	v_fma_f32 v159, v135, v185, -v159
	v_fmac_f32_e32 v158, v136, v185
	s_waitcnt vmcnt(26)
	v_mul_f32_e32 v165, v8, v198
	v_fma_f32 v5, v5, v184, -v164
	v_mul_f32_e32 v163, v7, v198
	v_add_f32_e32 v153, v153, v159
	v_fmac_f32_e32 v162, v6, v184
	v_add_f32_e32 v151, v151, v158
	s_waitcnt vmcnt(25) lgkmcnt(4)
	v_mul_f32_e32 v164, v138, v199
	v_fma_f32 v7, v7, v183, -v165
	v_add_f32_e32 v5, v153, v5
	v_mul_f32_e32 v152, v137, v199
	v_fmac_f32_e32 v163, v8, v183
	v_add_f32_e32 v151, v151, v162
	s_waitcnt vmcnt(24)
	v_mul_f32_e32 v158, v140, v179
	v_fma_f32 v137, v137, v166, -v164
	v_add_f32_e32 v5, v5, v7
	v_mul_f32_e32 v154, v139, v179
	v_fmac_f32_e32 v152, v138, v166
	v_add_f32_e32 v7, v151, v163
	ds_read_b128 v[133:136], v132 offset:928
	ds_read_b64 v[149:150], v132 offset:944
	s_waitcnt vmcnt(23) lgkmcnt(5)
	v_mul_f32_e32 v6, v1, v193
	v_mul_f32_e32 v138, v2, v193
	v_add_f32_e32 v5, v5, v137
	v_add_f32_e32 v7, v7, v152
	s_waitcnt vmcnt(22)
	v_mul_f32_e32 v137, v4, v194
	v_mul_f32_e32 v155, v3, v194
	s_waitcnt vmcnt(21) lgkmcnt(4)
	v_mul_f32_e32 v160, v141, v174
	s_waitcnt vmcnt(20)
	v_mul_f32_e32 v8, v143, v171
	s_waitcnt vmcnt(19) lgkmcnt(3)
	v_mul_f32_e32 v165, v9, v195
	s_waitcnt vmcnt(10)
	v_fmac_f32_e32 v6, v2, v206
	s_waitcnt vmcnt(9)
	v_fma_f32 v139, v139, v207, -v158
	v_fmac_f32_e32 v154, v140, v207
	v_fma_f32 v1, v1, v206, -v138
	v_fma_f32 v3, v3, v205, -v137
	v_fmac_f32_e32 v155, v4, v205
	v_add_f32_e32 v2, v5, v139
	v_add_f32_e32 v5, v7, v154
	v_mul_f32_e32 v7, v142, v174
	v_mul_f32_e32 v4, v144, v171
	v_fmac_f32_e32 v160, v142, v197
	v_add_f32_e32 v1, v2, v1
	v_add_f32_e32 v2, v5, v6
	v_fma_f32 v5, v141, v197, -v7
	s_waitcnt vmcnt(5)
	v_fma_f32 v4, v143, v211, -v4
	v_fmac_f32_e32 v8, v144, v211
	v_add_f32_e32 v1, v1, v3
	v_add_f32_e32 v2, v2, v155
	v_mul_f32_e32 v3, v10, v195
	v_mul_f32_e32 v157, v11, v200
	v_fmac_f32_e32 v165, v10, v210
	v_add_f32_e32 v1, v1, v5
	v_add_f32_e32 v2, v2, v160
	v_mul_f32_e32 v5, v12, v200
	v_fma_f32 v3, v9, v210, -v3
	s_waitcnt lgkmcnt(2)
	v_mul_f32_e32 v161, v145, v201
	v_add_f32_e32 v1, v1, v4
	v_add_f32_e32 v2, v2, v8
	v_mul_f32_e32 v4, v146, v201
	v_fma_f32 v5, v11, v209, -v5
	v_fmac_f32_e32 v157, v12, v209
	v_add_f32_e32 v1, v1, v3
	v_add_f32_e32 v2, v2, v165
	v_mul_f32_e32 v3, v148, v202
	v_fma_f32 v4, v145, v208, -v4
	v_mul_f32_e32 v167, v147, v202
	v_add_f32_e32 v1, v1, v5
	v_fmac_f32_e32 v161, v146, v208
	v_add_f32_e32 v2, v2, v157
	s_waitcnt lgkmcnt(1)
	v_mul_f32_e32 v5, v134, v196
	s_waitcnt vmcnt(1)
	v_fma_f32 v3, v147, v213, -v3
	v_add_f32_e32 v1, v1, v4
	v_mul_f32_e32 v159, v133, v196
	v_fmac_f32_e32 v167, v148, v213
	v_add_f32_e32 v2, v2, v161
	v_mul_f32_e32 v4, v136, v203
	v_fma_f32 v5, v133, v212, -v5
	v_add_f32_e32 v1, v1, v3
	v_mul_f32_e32 v168, v135, v203
	v_fmac_f32_e32 v159, v134, v212
	v_add_f32_e32 v2, v2, v167
	s_waitcnt lgkmcnt(0)
	v_mul_f32_e32 v3, v150, v204
	v_fma_f32 v4, v135, v182, -v4
	v_add_f32_e32 v1, v1, v5
	v_mul_f32_e32 v153, v149, v204
	v_fmac_f32_e32 v168, v136, v182
	v_add_f32_e32 v2, v2, v159
	v_fma_f32 v3, v149, v156, -v3
	v_add_f32_e32 v1, v1, v4
	v_fmac_f32_e32 v153, v150, v156
	v_add_f32_e32 v2, v2, v168
	v_add_f32_e32 v1, v1, v3
	;; [unrolled: 1-line block ×3, first 2 shown]
	s_waitcnt vmcnt(0)
	v_sub_f32_e32 v1, v214, v1
	v_sub_f32_e32 v2, v181, v2
	buffer_store_dword v1, off, s[0:3], 0 offset:120
	buffer_store_dword v2, off, s[0:3], 0 offset:124
	v_cmpx_lt_u32_e32 14, v0
	s_cbranch_execz .LBB122_339
; %bb.338:
	s_clause 0x1
	buffer_load_dword v1, off, s[0:3], 0 offset:112
	buffer_load_dword v2, off, s[0:3], 0 offset:116
	buffer_store_dword v132, off, s[0:3], 0 offset:112
	buffer_store_dword v132, off, s[0:3], 0 offset:116
	s_waitcnt vmcnt(0)
	ds_write_b64 v131, v[1:2]
.LBB122_339:
	s_or_b32 exec_lo, exec_lo, s4
	s_waitcnt lgkmcnt(0)
	s_waitcnt_vscnt null, 0x0
	s_barrier
	buffer_gl0_inv
	s_clause 0x2b
	buffer_load_dword v153, off, s[0:3], 0 offset:124
	buffer_load_dword v154, off, s[0:3], 0 offset:132
	;; [unrolled: 1-line block ×44, first 2 shown]
	ds_read2_b64 v[9:12], v132 offset0:75 offset1:76
	s_clause 0x1
	buffer_load_dword v181, off, s[0:3], 0 offset:292
	buffer_load_dword v175, off, s[0:3], 0 offset:300
	ds_read2_b64 v[5:8], v132 offset0:77 offset1:78
	ds_read2_b64 v[1:4], v132 offset0:79 offset1:80
	s_clause 0x7
	buffer_load_dword v176, off, s[0:3], 0 offset:308
	buffer_load_dword v165, off, s[0:3], 0 offset:316
	;; [unrolled: 1-line block ×8, first 2 shown]
	ds_read2_b64 v[182:185], v132 offset0:81 offset1:82
	buffer_load_dword v193, off, s[0:3], 0 offset:116
	s_mov_b32 s4, exec_lo
	s_waitcnt vmcnt(54) lgkmcnt(3)
	v_mul_f32_e32 v191, v9, v153
	s_waitcnt vmcnt(53)
	v_mul_f32_e32 v192, v11, v154
	v_mul_f32_e32 v153, v10, v153
	;; [unrolled: 1-line block ×3, first 2 shown]
	s_waitcnt vmcnt(50)
	v_fmac_f32_e32 v191, v10, v139
	v_fmac_f32_e32 v192, v12, v138
	v_fma_f32 v139, v9, v139, -v153
	v_fma_f32 v138, v11, v138, -v154
	ds_read2_b64 v[9:12], v132 offset0:83 offset1:84
	s_waitcnt vmcnt(49) lgkmcnt(3)
	v_mul_f32_e32 v153, v5, v136
	v_mul_f32_e32 v136, v6, v136
	s_waitcnt vmcnt(48)
	v_mul_f32_e32 v154, v7, v135
	v_mul_f32_e32 v135, v8, v135
	s_waitcnt vmcnt(47) lgkmcnt(2)
	v_mul_f32_e32 v194, v1, v134
	v_fmac_f32_e32 v153, v6, v133
	v_fma_f32 v195, v5, v133, -v136
	s_waitcnt vmcnt(46)
	v_mul_f32_e32 v196, v3, v137
	v_mul_f32_e32 v133, v2, v134
	;; [unrolled: 1-line block ×3, first 2 shown]
	s_waitcnt vmcnt(42)
	v_fmac_f32_e32 v154, v8, v145
	v_fma_f32 v137, v7, v145, -v135
	ds_read2_b64 v[5:8], v132 offset0:85 offset1:86
	v_fmac_f32_e32 v194, v2, v144
	v_fmac_f32_e32 v196, v4, v142
	v_fma_f32 v144, v1, v144, -v133
	v_fma_f32 v142, v3, v142, -v134
	ds_read2_b64 v[1:4], v132 offset0:87 offset1:88
	s_waitcnt vmcnt(41) lgkmcnt(3)
	v_mul_f32_e32 v145, v182, v143
	v_mul_f32_e32 v133, v183, v143
	s_waitcnt vmcnt(40)
	v_mul_f32_e32 v143, v184, v141
	v_mul_f32_e32 v134, v185, v141
	s_waitcnt vmcnt(39) lgkmcnt(2)
	v_mul_f32_e32 v141, v9, v146
	v_fmac_f32_e32 v145, v183, v140
	v_fma_f32 v140, v182, v140, -v133
	s_waitcnt vmcnt(34)
	v_fmac_f32_e32 v143, v185, v155
	v_fma_f32 v155, v184, v155, -v134
	ds_read2_b64 v[133:136], v132 offset0:89 offset1:90
	v_mul_f32_e32 v182, v11, v147
	v_mul_f32_e32 v147, v12, v147
	;; [unrolled: 1-line block ×3, first 2 shown]
	v_fmac_f32_e32 v141, v10, v152
	s_waitcnt vmcnt(32) lgkmcnt(2)
	v_mul_f32_e32 v183, v7, v149
	v_fmac_f32_e32 v182, v12, v150
	v_fma_f32 v147, v11, v150, -v147
	v_mul_f32_e32 v150, v5, v151
	v_mul_f32_e32 v151, v6, v151
	;; [unrolled: 1-line block ×3, first 2 shown]
	v_fma_f32 v146, v9, v152, -v146
	ds_read2_b64 v[9:12], v132 offset0:91 offset1:92
	v_fmac_f32_e32 v150, v6, v148
	v_fma_f32 v148, v5, v148, -v151
	s_waitcnt vmcnt(31) lgkmcnt(2)
	v_mul_f32_e32 v151, v1, v156
	v_mul_f32_e32 v5, v2, v156
	buffer_load_dword v152, off, s[0:3], 0 offset:340
	s_waitcnt vmcnt(28)
	v_fmac_f32_e32 v183, v8, v169
	v_fma_f32 v149, v7, v169, -v149
	s_clause 0x3
	buffer_load_dword v156, off, s[0:3], 0 offset:360
	buffer_load_dword v169, off, s[0:3], 0 offset:352
	;; [unrolled: 1-line block ×4, first 2 shown]
	s_waitcnt vmcnt(31)
	v_mul_f32_e32 v197, v3, v168
	v_mul_f32_e32 v6, v4, v168
	v_fmac_f32_e32 v151, v2, v163
	v_fma_f32 v163, v1, v163, -v5
	s_waitcnt vmcnt(30) lgkmcnt(1)
	v_mul_f32_e32 v168, v133, v160
	s_waitcnt vmcnt(29)
	v_mul_f32_e32 v198, v135, v161
	v_mul_f32_e32 v1, v134, v160
	;; [unrolled: 1-line block ×3, first 2 shown]
	s_clause 0x2
	buffer_load_dword v160, off, s[0:3], 0 offset:348
	buffer_load_dword v161, off, s[0:3], 0 offset:356
	;; [unrolled: 1-line block ×3, first 2 shown]
	v_fmac_f32_e32 v197, v4, v159
	v_fma_f32 v159, v3, v159, -v6
	v_fmac_f32_e32 v168, v134, v157
	v_fma_f32 v133, v133, v157, -v1
	s_waitcnt vmcnt(28)
	v_fma_f32 v134, v135, v180, -v2
	ds_read2_b64 v[1:4], v132 offset0:93 offset1:94
	s_waitcnt vmcnt(27) lgkmcnt(1)
	v_mul_f32_e32 v5, v10, v178
	v_add_f32_e32 v6, 0, v191
	v_fmac_f32_e32 v198, v136, v180
	v_add_f32_e32 v7, 0, v139
	v_mul_f32_e32 v135, v9, v178
	v_fma_f32 v136, v9, v174, -v5
	v_add_f32_e32 v5, v6, v192
	s_waitcnt vmcnt(26)
	v_mul_f32_e32 v157, v11, v177
	v_add_f32_e32 v6, v7, v138
	v_mul_f32_e32 v8, v12, v177
	v_fmac_f32_e32 v135, v10, v174
	v_add_f32_e32 v5, v5, v153
	s_clause 0x3
	buffer_load_dword v174, off, s[0:3], 0 offset:372
	buffer_load_dword v177, off, s[0:3], 0 offset:380
	;; [unrolled: 1-line block ×4, first 2 shown]
	v_add_f32_e32 v6, v6, v195
	v_fmac_f32_e32 v157, v12, v172
	v_fma_f32 v138, v11, v172, -v8
	v_add_f32_e32 v5, v5, v154
	s_clause 0x3
	buffer_load_dword v153, off, s[0:3], 0 offset:404
	buffer_load_dword v172, off, s[0:3], 0 offset:412
	;; [unrolled: 1-line block ×4, first 2 shown]
	v_add_f32_e32 v6, v6, v137
	s_waitcnt vmcnt(33) lgkmcnt(0)
	v_mul_f32_e32 v137, v1, v170
	v_mul_f32_e32 v7, v2, v170
	v_add_f32_e32 v5, v5, v194
	s_clause 0x3
	buffer_load_dword v154, off, s[0:3], 0 offset:436
	buffer_load_dword v195, off, s[0:3], 0 offset:444
	;; [unrolled: 1-line block ×4, first 2 shown]
	v_add_f32_e32 v6, v6, v144
	buffer_load_dword v170, off, s[0:3], 0 offset:468
	v_fmac_f32_e32 v137, v2, v166
	v_fma_f32 v139, v1, v166, -v7
	v_add_f32_e32 v5, v5, v196
	s_clause 0x3
	buffer_load_dword v166, off, s[0:3], 0 offset:392
	buffer_load_dword v194, off, s[0:3], 0 offset:384
	;; [unrolled: 1-line block ×4, first 2 shown]
	v_add_f32_e32 v1, v6, v142
	v_add_f32_e32 v5, v5, v145
	;; [unrolled: 1-line block ×3, first 2 shown]
	s_waitcnt vmcnt(41)
	v_mul_f32_e32 v140, v3, v164
	v_mul_f32_e32 v1, v4, v164
	v_add_f32_e32 v5, v5, v143
	v_add_f32_e32 v6, v6, v155
	s_waitcnt vmcnt(37)
	v_fmac_f32_e32 v140, v4, v179
	v_fma_f32 v142, v3, v179, -v1
	ds_read2_b64 v[1:4], v132 offset0:95 offset1:96
	s_clause 0x3
	buffer_load_dword v155, off, s[0:3], 0 offset:424
	buffer_load_dword v164, off, s[0:3], 0 offset:416
	;; [unrolled: 1-line block ×4, first 2 shown]
	v_add_f32_e32 v6, v6, v146
	v_add_f32_e32 v5, v5, v141
	v_add_f32_e32 v9, v6, v147
	v_add_f32_e32 v10, v5, v182
	ds_read2_b64 v[5:8], v132 offset0:97 offset1:98
	v_add_f32_e32 v9, v9, v148
	v_add_f32_e32 v10, v10, v150
	s_waitcnt vmcnt(40) lgkmcnt(1)
	v_mul_f32_e32 v141, v1, v173
	v_mul_f32_e32 v11, v2, v173
	s_waitcnt vmcnt(39)
	v_mul_f32_e32 v145, v3, v181
	v_fmac_f32_e32 v141, v2, v171
	v_fma_f32 v143, v1, v171, -v11
	v_add_f32_e32 v1, v9, v149
	s_clause 0x3
	buffer_load_dword v149, off, s[0:3], 0 offset:456
	buffer_load_dword v150, off, s[0:3], 0 offset:448
	;; [unrolled: 1-line block ×4, first 2 shown]
	v_add_f32_e32 v2, v10, v183
	v_mul_f32_e32 v9, v4, v181
	v_fmac_f32_e32 v145, v4, v167
	v_add_f32_e32 v1, v1, v163
	buffer_load_dword v163, off, s[0:3], 0 offset:464
	v_add_f32_e32 v2, v2, v151
	buffer_load_dword v151, off, s[0:3], 0 offset:112
	v_fma_f32 v146, v3, v167, -v9
	v_add_f32_e32 v1, v1, v159
	s_waitcnt vmcnt(44) lgkmcnt(0)
	v_mul_f32_e32 v147, v5, v175
	v_add_f32_e32 v10, v2, v197
	s_waitcnt vmcnt(43)
	v_mul_f32_e32 v148, v7, v176
	v_mul_f32_e32 v159, v8, v176
	v_add_f32_e32 v133, v1, v133
	ds_read2_b64 v[1:4], v132 offset0:99 offset1:100
	v_add_f32_e32 v144, v10, v168
	ds_read2_b64 v[9:12], v132 offset0:101 offset1:102
	v_fmac_f32_e32 v147, v6, v158
	v_add_f32_e32 v133, v133, v134
	v_mul_f32_e32 v134, v6, v175
	v_add_f32_e32 v144, v144, v198
	s_waitcnt vmcnt(36)
	v_fmac_f32_e32 v148, v8, v190
	v_fma_f32 v159, v7, v190, -v159
	v_add_f32_e32 v167, v133, v136
	v_fma_f32 v158, v5, v158, -v134
	v_add_f32_e32 v144, v144, v135
	ds_read2_b64 v[5:8], v132 offset0:103 offset1:104
	ds_read2_b64 v[133:136], v132 offset0:105 offset1:106
	v_add_f32_e32 v138, v167, v138
	v_add_f32_e32 v144, v144, v157
	;; [unrolled: 1-line block ×3, first 2 shown]
	s_waitcnt lgkmcnt(3)
	v_mul_f32_e32 v167, v1, v165
	v_add_f32_e32 v137, v144, v137
	v_mul_f32_e32 v165, v2, v165
	v_mul_f32_e32 v157, v3, v162
	v_add_f32_e32 v142, v138, v142
	v_mul_f32_e32 v162, v4, v162
	v_add_f32_e32 v176, v137, v140
	v_fma_f32 v165, v1, v189, -v165
	v_fmac_f32_e32 v167, v2, v189
	v_add_f32_e32 v182, v142, v143
	s_waitcnt lgkmcnt(2)
	v_mul_f32_e32 v144, v10, v186
	v_add_f32_e32 v176, v176, v141
	v_fma_f32 v162, v3, v188, -v162
	v_mul_f32_e32 v168, v9, v186
	v_add_f32_e32 v146, v182, v146
	v_fmac_f32_e32 v157, v4, v188
	v_add_f32_e32 v145, v176, v145
	v_fma_f32 v181, v9, v187, -v144
	v_fmac_f32_e32 v168, v10, v187
	ds_read2_b64 v[1:4], v132 offset0:107 offset1:108
	ds_read2_b64 v[137:140], v132 offset0:109 offset1:110
	v_add_f32_e32 v145, v145, v147
	s_waitcnt vmcnt(34)
	v_mul_f32_e32 v175, v11, v152
	v_mul_f32_e32 v152, v12, v152
	s_waitcnt vmcnt(30)
	v_fmac_f32_e32 v175, v12, v185
	v_fma_f32 v152, v11, v185, -v152
	ds_read2_b64 v[9:12], v132 offset0:111 offset1:112
	ds_read2_b64 v[141:144], v132 offset0:113 offset1:114
	s_waitcnt vmcnt(29) lgkmcnt(5)
	v_mul_f32_e32 v182, v5, v160
	v_mul_f32_e32 v160, v6, v160
	s_waitcnt vmcnt(28)
	v_mul_f32_e32 v176, v7, v161
	v_mul_f32_e32 v161, v8, v161
	v_fmac_f32_e32 v182, v6, v184
	v_add_f32_e32 v6, v146, v158
	v_fma_f32 v158, v5, v184, -v160
	v_fma_f32 v160, v7, v169, -v161
	v_add_f32_e32 v161, v145, v148
	v_fmac_f32_e32 v176, v8, v169
	v_add_f32_e32 v159, v6, v159
	ds_read2_b64 v[5:8], v132 offset0:115 offset1:116
	ds_read2_b64 v[145:148], v132 offset0:117 offset1:118
	s_waitcnt vmcnt(27) lgkmcnt(6)
	v_mul_f32_e32 v132, v133, v199
	v_add_f32_e32 v161, v161, v167
	v_add_f32_e32 v159, v159, v165
	v_mul_f32_e32 v165, v134, v199
	s_waitcnt vmcnt(26)
	v_mul_f32_e32 v169, v136, v174
	v_add_f32_e32 v157, v161, v157
	v_mul_f32_e32 v167, v135, v174
	v_add_f32_e32 v159, v159, v162
	v_fma_f32 v133, v133, v156, -v165
	v_fmac_f32_e32 v132, v134, v156
	v_add_f32_e32 v157, v157, v168
	s_waitcnt vmcnt(25) lgkmcnt(5)
	v_mul_f32_e32 v162, v1, v177
	v_add_f32_e32 v159, v159, v181
	s_waitcnt vmcnt(24)
	v_mul_f32_e32 v161, v3, v178
	s_waitcnt vmcnt(23) lgkmcnt(4)
	v_mul_f32_e32 v174, v137, v180
	v_add_f32_e32 v157, v157, v175
	s_waitcnt vmcnt(22)
	v_mul_f32_e32 v181, v139, v153
	v_add_f32_e32 v152, v159, v152
	s_waitcnt vmcnt(21) lgkmcnt(3)
	v_mul_f32_e32 v168, v9, v172
	s_waitcnt vmcnt(20)
	v_mul_f32_e32 v183, v11, v191
	v_add_f32_e32 v157, v157, v182
	s_waitcnt vmcnt(12)
	v_fmac_f32_e32 v161, v4, v194
	v_add_f32_e32 v152, v152, v158
	s_waitcnt vmcnt(10)
	v_fma_f32 v135, v135, v202, -v169
	v_fmac_f32_e32 v167, v136, v202
	v_add_f32_e32 v156, v157, v176
	v_mul_f32_e32 v157, v2, v177
	v_add_f32_e32 v152, v152, v160
	v_mul_f32_e32 v136, v4, v178
	v_fmac_f32_e32 v162, v2, v196
	v_add_f32_e32 v132, v156, v132
	v_fma_f32 v1, v1, v196, -v157
	v_add_f32_e32 v133, v152, v133
	v_fma_f32 v3, v3, v194, -v136
	v_mul_f32_e32 v4, v140, v153
	v_add_f32_e32 v132, v132, v167
	v_fmac_f32_e32 v174, v138, v166
	v_add_f32_e32 v2, v133, v135
	v_mul_f32_e32 v133, v138, v180
	s_waitcnt vmcnt(6)
	v_fma_f32 v4, v139, v203, -v4
	v_fmac_f32_e32 v181, v140, v203
	v_fmac_f32_e32 v168, v10, v179
	v_add_f32_e32 v1, v2, v1
	v_add_f32_e32 v2, v132, v162
	v_fma_f32 v132, v137, v166, -v133
	s_waitcnt lgkmcnt(2)
	v_mul_f32_e32 v159, v141, v192
	v_fmac_f32_e32 v183, v12, v164
	v_add_f32_e32 v1, v1, v3
	v_add_f32_e32 v2, v2, v161
	v_mul_f32_e32 v3, v10, v172
	v_mul_f32_e32 v175, v143, v154
	v_fmac_f32_e32 v159, v142, v155
	v_add_f32_e32 v1, v1, v132
	v_add_f32_e32 v2, v2, v174
	v_mul_f32_e32 v132, v12, v191
	v_fma_f32 v3, v9, v179, -v3
	s_waitcnt lgkmcnt(1)
	v_mul_f32_e32 v184, v5, v195
	v_add_f32_e32 v1, v1, v4
	v_add_f32_e32 v2, v2, v181
	v_mul_f32_e32 v4, v142, v192
	v_fma_f32 v9, v11, v164, -v132
	v_mul_f32_e32 v158, v7, v200
	v_add_f32_e32 v1, v1, v3
	v_add_f32_e32 v2, v2, v168
	v_mul_f32_e32 v3, v144, v154
	v_fma_f32 v4, v141, v155, -v4
	s_waitcnt vmcnt(2)
	v_fmac_f32_e32 v175, v144, v173
	v_add_f32_e32 v1, v1, v9
	v_add_f32_e32 v2, v2, v183
	v_mul_f32_e32 v9, v6, v195
	v_fma_f32 v3, v143, v173, -v3
	v_fmac_f32_e32 v184, v6, v171
	v_add_f32_e32 v1, v1, v4
	v_add_f32_e32 v2, v2, v159
	v_mul_f32_e32 v4, v8, v200
	v_fma_f32 v5, v5, v171, -v9
	s_waitcnt lgkmcnt(0)
	v_mul_f32_e32 v182, v145, v201
	v_add_f32_e32 v1, v1, v3
	v_add_f32_e32 v2, v2, v175
	v_mul_f32_e32 v3, v146, v201
	v_fma_f32 v4, v7, v150, -v4
	v_fmac_f32_e32 v158, v8, v150
	v_add_f32_e32 v1, v1, v5
	v_add_f32_e32 v2, v2, v184
	v_mul_f32_e32 v5, v148, v170
	v_fma_f32 v3, v145, v149, -v3
	v_mul_f32_e32 v134, v147, v170
	v_add_f32_e32 v1, v1, v4
	v_fmac_f32_e32 v182, v146, v149
	v_add_f32_e32 v2, v2, v158
	s_waitcnt vmcnt(1)
	v_fma_f32 v4, v147, v163, -v5
	v_fmac_f32_e32 v134, v148, v163
	v_add_f32_e32 v1, v1, v3
	v_add_f32_e32 v2, v2, v182
	;; [unrolled: 1-line block ×4, first 2 shown]
	s_waitcnt vmcnt(0)
	v_sub_f32_e32 v1, v151, v1
	v_sub_f32_e32 v2, v193, v2
	buffer_store_dword v1, off, s[0:3], 0 offset:112
	buffer_store_dword v2, off, s[0:3], 0 offset:116
	v_cmpx_lt_u32_e32 13, v0
	s_cbranch_execz .LBB122_341
; %bb.340:
	s_clause 0x1
	buffer_load_dword v1, off, s[0:3], 0 offset:104
	buffer_load_dword v2, off, s[0:3], 0 offset:108
	v_mov_b32_e32 v3, 0
	buffer_store_dword v3, off, s[0:3], 0 offset:104
	buffer_store_dword v3, off, s[0:3], 0 offset:108
	s_waitcnt vmcnt(0)
	ds_write_b64 v131, v[1:2]
.LBB122_341:
	s_or_b32 exec_lo, exec_lo, s4
	s_waitcnt lgkmcnt(0)
	s_waitcnt_vscnt null, 0x0
	s_barrier
	buffer_gl0_inv
	s_clause 0x2b
	buffer_load_dword v134, off, s[0:3], 0 offset:116
	buffer_load_dword v135, off, s[0:3], 0 offset:124
	;; [unrolled: 1-line block ×44, first 2 shown]
	v_mov_b32_e32 v132, 0
	ds_read_b128 v[9:12], v132 offset:592
	ds_read_b128 v[5:8], v132 offset:608
	s_clause 0x1
	buffer_load_dword v181, off, s[0:3], 0 offset:284
	buffer_load_dword v176, off, s[0:3], 0 offset:292
	ds_read_b128 v[1:4], v132 offset:624
	s_clause 0x9
	buffer_load_dword v175, off, s[0:3], 0 offset:300
	buffer_load_dword v163, off, s[0:3], 0 offset:308
	;; [unrolled: 1-line block ×10, first 2 shown]
	ds_read_b128 v[183:186], v132 offset:640
	s_mov_b32 s4, exec_lo
	s_waitcnt vmcnt(55) lgkmcnt(3)
	v_mul_f32_e32 v193, v9, v134
	v_mul_f32_e32 v134, v10, v134
	s_waitcnt vmcnt(54)
	v_mul_f32_e32 v194, v11, v135
	v_mul_f32_e32 v135, v12, v135
	s_waitcnt vmcnt(51)
	v_fmac_f32_e32 v193, v10, v140
	v_fma_f32 v140, v9, v140, -v134
	s_waitcnt vmcnt(50) lgkmcnt(2)
	v_mul_f32_e32 v195, v5, v139
	v_mul_f32_e32 v134, v6, v139
	v_fmac_f32_e32 v194, v12, v136
	v_fma_f32 v139, v11, v136, -v135
	ds_read_b128 v[9:12], v132 offset:656
	s_waitcnt vmcnt(49)
	v_mul_f32_e32 v196, v7, v137
	v_mul_f32_e32 v135, v8, v137
	v_fmac_f32_e32 v195, v6, v133
	v_fma_f32 v137, v5, v133, -v134
	s_waitcnt vmcnt(48) lgkmcnt(2)
	v_mul_f32_e32 v197, v1, v138
	v_mul_f32_e32 v133, v2, v138
	s_waitcnt vmcnt(44)
	v_fmac_f32_e32 v196, v8, v147
	v_fma_f32 v138, v7, v147, -v135
	ds_read_b128 v[5:8], v132 offset:672
	s_waitcnt vmcnt(43)
	v_mul_f32_e32 v147, v3, v146
	v_mul_f32_e32 v134, v4, v146
	v_fmac_f32_e32 v197, v2, v144
	v_fma_f32 v144, v1, v144, -v133
	s_waitcnt vmcnt(42) lgkmcnt(2)
	v_mul_f32_e32 v146, v183, v145
	v_mul_f32_e32 v133, v184, v145
	v_fmac_f32_e32 v147, v4, v142
	v_fma_f32 v142, v3, v142, -v134
	ds_read_b128 v[1:4], v132 offset:688
	s_waitcnt vmcnt(41)
	v_mul_f32_e32 v145, v185, v143
	v_mul_f32_e32 v134, v186, v143
	v_fmac_f32_e32 v146, v184, v141
	v_fma_f32 v141, v183, v141, -v133
	s_waitcnt vmcnt(40) lgkmcnt(2)
	v_mul_f32_e32 v143, v9, v148
	s_waitcnt vmcnt(36)
	v_fmac_f32_e32 v145, v186, v155
	v_fma_f32 v155, v185, v155, -v134
	ds_read_b128 v[133:136], v132 offset:704
	v_mul_f32_e32 v148, v10, v148
	s_waitcnt vmcnt(35)
	v_mul_f32_e32 v183, v11, v154
	v_mul_f32_e32 v154, v12, v154
	v_fmac_f32_e32 v143, v10, v152
	v_fma_f32 v148, v9, v152, -v148
	s_waitcnt vmcnt(34) lgkmcnt(2)
	v_mul_f32_e32 v152, v5, v153
	v_mul_f32_e32 v153, v6, v153
	v_fmac_f32_e32 v183, v12, v150
	v_fma_f32 v150, v11, v150, -v154
	s_waitcnt vmcnt(33)
	v_mul_f32_e32 v154, v7, v151
	v_mul_f32_e32 v151, v8, v151
	v_fmac_f32_e32 v152, v6, v149
	v_fma_f32 v149, v5, v149, -v153
	s_waitcnt vmcnt(32) lgkmcnt(1)
	v_mul_f32_e32 v153, v1, v156
	v_mul_f32_e32 v5, v2, v156
	ds_read_b128 v[9:12], v132 offset:720
	s_waitcnt vmcnt(28)
	v_fmac_f32_e32 v154, v8, v169
	v_fma_f32 v151, v7, v169, -v151
	s_clause 0x3
	buffer_load_dword v156, off, s[0:3], 0 offset:352
	buffer_load_dword v169, off, s[0:3], 0 offset:344
	;; [unrolled: 1-line block ×4, first 2 shown]
	s_waitcnt vmcnt(31)
	v_mul_f32_e32 v186, v3, v167
	v_mul_f32_e32 v6, v4, v167
	v_fmac_f32_e32 v153, v2, v165
	v_fma_f32 v165, v1, v165, -v5
	s_waitcnt vmcnt(30) lgkmcnt(1)
	v_mul_f32_e32 v167, v133, v161
	s_waitcnt vmcnt(29)
	v_mul_f32_e32 v198, v135, v162
	v_mul_f32_e32 v1, v134, v161
	;; [unrolled: 1-line block ×3, first 2 shown]
	s_clause 0x2
	buffer_load_dword v161, off, s[0:3], 0 offset:340
	buffer_load_dword v162, off, s[0:3], 0 offset:348
	;; [unrolled: 1-line block ×3, first 2 shown]
	v_fmac_f32_e32 v186, v4, v159
	v_fma_f32 v159, v3, v159, -v6
	v_fmac_f32_e32 v167, v134, v158
	v_fma_f32 v133, v133, v158, -v1
	s_waitcnt vmcnt(28)
	v_fma_f32 v134, v135, v180, -v2
	ds_read_b128 v[1:4], v132 offset:736
	v_add_f32_e32 v5, 0, v193
	s_waitcnt vmcnt(27) lgkmcnt(1)
	v_mul_f32_e32 v6, v10, v177
	v_add_f32_e32 v8, 0, v140
	v_fmac_f32_e32 v198, v136, v180
	v_mul_f32_e32 v135, v9, v177
	v_add_f32_e32 v5, v5, v194
	v_fma_f32 v140, v9, v174, -v6
	v_add_f32_e32 v6, v8, v139
	s_waitcnt vmcnt(26)
	v_mul_f32_e32 v136, v11, v178
	v_mul_f32_e32 v7, v12, v178
	v_add_f32_e32 v5, v5, v195
	v_fmac_f32_e32 v135, v10, v174
	v_add_f32_e32 v6, v6, v137
	v_fmac_f32_e32 v136, v12, v173
	v_fma_f32 v158, v11, v173, -v7
	v_add_f32_e32 v5, v5, v196
	s_clause 0x7
	buffer_load_dword v173, off, s[0:3], 0 offset:364
	buffer_load_dword v174, off, s[0:3], 0 offset:372
	;; [unrolled: 1-line block ×8, first 2 shown]
	v_add_f32_e32 v6, v6, v138
	s_clause 0x1
	buffer_load_dword v196, off, s[0:3], 0 offset:396
	buffer_load_dword v200, off, s[0:3], 0 offset:404
	s_waitcnt vmcnt(35) lgkmcnt(0)
	v_mul_f32_e32 v137, v1, v170
	v_mul_f32_e32 v7, v2, v170
	v_add_f32_e32 v5, v5, v197
	s_waitcnt vmcnt(34)
	v_mul_f32_e32 v139, v3, v166
	s_clause 0x1
	buffer_load_dword v170, off, s[0:3], 0 offset:412
	buffer_load_dword v197, off, s[0:3], 0 offset:420
	v_fmac_f32_e32 v137, v2, v168
	v_fma_f32 v138, v1, v168, -v7
	v_add_f32_e32 v1, v6, v144
	v_add_f32_e32 v2, v5, v147
	s_clause 0x3
	buffer_load_dword v168, off, s[0:3], 0 offset:428
	buffer_load_dword v201, off, s[0:3], 0 offset:436
	;; [unrolled: 1-line block ×4, first 2 shown]
	s_waitcnt vmcnt(36)
	v_fmac_f32_e32 v139, v4, v179
	buffer_load_dword v204, off, s[0:3], 0 offset:460
	v_add_f32_e32 v1, v1, v142
	v_add_f32_e32 v5, v2, v146
	v_mul_f32_e32 v2, v4, v166
	buffer_load_dword v166, off, s[0:3], 0 offset:468
	v_add_f32_e32 v6, v1, v141
	v_add_f32_e32 v5, v5, v145
	v_fma_f32 v141, v3, v179, -v2
	ds_read_b128 v[1:4], v132 offset:752
	v_add_f32_e32 v6, v6, v155
	v_add_f32_e32 v5, v5, v143
	s_clause 0x3
	buffer_load_dword v155, off, s[0:3], 0 offset:416
	buffer_load_dword v179, off, s[0:3], 0 offset:408
	;; [unrolled: 1-line block ×4, first 2 shown]
	v_add_f32_e32 v6, v6, v148
	v_add_f32_e32 v5, v5, v183
	v_add_f32_e32 v9, v6, v150
	v_add_f32_e32 v10, v5, v152
	ds_read_b128 v[5:8], v132 offset:768
	v_add_f32_e32 v9, v9, v149
	v_add_f32_e32 v10, v10, v154
	s_waitcnt vmcnt(41) lgkmcnt(1)
	v_mul_f32_e32 v142, v1, v172
	v_mul_f32_e32 v11, v2, v172
	s_waitcnt vmcnt(40)
	v_mul_f32_e32 v144, v3, v181
	v_fmac_f32_e32 v142, v2, v171
	v_fma_f32 v143, v1, v171, -v11
	v_add_f32_e32 v1, v9, v151
	v_add_f32_e32 v2, v10, v153
	s_clause 0x3
	buffer_load_dword v151, off, s[0:3], 0 offset:448
	buffer_load_dword v152, off, s[0:3], 0 offset:440
	;; [unrolled: 1-line block ×4, first 2 shown]
	v_mul_f32_e32 v9, v4, v181
	v_fmac_f32_e32 v144, v4, v164
	v_add_f32_e32 v1, v1, v165
	s_clause 0x1
	buffer_load_dword v165, off, s[0:3], 0 offset:464
	buffer_load_dword v171, off, s[0:3], 0 offset:456
	v_add_f32_e32 v2, v2, v186
	s_waitcnt vmcnt(45) lgkmcnt(0)
	v_mul_f32_e32 v146, v5, v176
	s_waitcnt vmcnt(44)
	v_mul_f32_e32 v147, v7, v175
	v_add_f32_e32 v1, v1, v159
	buffer_load_dword v159, off, s[0:3], 0 offset:104
	v_add_f32_e32 v2, v2, v167
	v_fma_f32 v145, v3, v164, -v9
	v_fmac_f32_e32 v146, v6, v157
	v_add_f32_e32 v10, v1, v133
	s_waitcnt vmcnt(38)
	v_fmac_f32_e32 v147, v8, v191
	v_add_f32_e32 v133, v2, v198
	ds_read_b128 v[1:4], v132 offset:784
	v_add_f32_e32 v134, v10, v134
	ds_read_b128 v[9:12], v132 offset:800
	v_add_f32_e32 v133, v133, v135
	v_mul_f32_e32 v135, v6, v176
	v_add_f32_e32 v134, v134, v140
	v_mul_f32_e32 v140, v8, v175
	v_add_f32_e32 v149, v133, v136
	v_fma_f32 v148, v5, v157, -v135
	v_fma_f32 v150, v7, v191, -v140
	v_add_f32_e32 v140, v134, v158
	v_add_f32_e32 v137, v149, v137
	ds_read_b128 v[5:8], v132 offset:816
	ds_read_b128 v[133:136], v132 offset:832
	v_add_f32_e32 v138, v140, v138
	v_add_f32_e32 v137, v137, v139
	s_waitcnt lgkmcnt(3)
	v_mul_f32_e32 v157, v2, v163
	v_mul_f32_e32 v149, v1, v163
	;; [unrolled: 1-line block ×3, first 2 shown]
	v_add_f32_e32 v138, v138, v141
	v_add_f32_e32 v142, v137, v142
	v_fma_f32 v157, v1, v190, -v157
	v_mul_f32_e32 v158, v3, v160
	v_fmac_f32_e32 v149, v2, v190
	v_add_f32_e32 v143, v138, v143
	v_add_f32_e32 v175, v142, v144
	s_waitcnt lgkmcnt(2)
	v_mul_f32_e32 v141, v10, v188
	v_fma_f32 v164, v3, v189, -v140
	v_mul_f32_e32 v160, v9, v188
	v_add_f32_e32 v145, v143, v145
	v_add_f32_e32 v146, v175, v146
	v_fmac_f32_e32 v158, v4, v189
	s_waitcnt vmcnt(37)
	v_mul_f32_e32 v167, v12, v192
	v_fma_f32 v172, v9, v187, -v141
	v_add_f32_e32 v145, v145, v148
	v_mul_f32_e32 v163, v11, v192
	v_fmac_f32_e32 v160, v10, v187
	ds_read_b128 v[1:4], v132 offset:848
	ds_read_b128 v[137:140], v132 offset:864
	v_add_f32_e32 v145, v145, v150
	v_add_f32_e32 v157, v145, v157
	;; [unrolled: 1-line block ×4, first 2 shown]
	s_waitcnt vmcnt(32)
	v_fma_f32 v167, v11, v185, -v167
	v_fmac_f32_e32 v163, v12, v185
	ds_read_b128 v[9:12], v132 offset:880
	ds_read_b128 v[141:144], v132 offset:896
	v_add_f32_e32 v157, v157, v167
	s_waitcnt vmcnt(31) lgkmcnt(5)
	v_mul_f32_e32 v175, v5, v161
	s_waitcnt vmcnt(30)
	v_mul_f32_e32 v176, v7, v162
	v_mul_f32_e32 v148, v6, v161
	v_mul_f32_e32 v161, v8, v162
	s_waitcnt vmcnt(29) lgkmcnt(4)
	v_mul_f32_e32 v181, v134, v199
	v_fmac_f32_e32 v175, v6, v184
	v_add_f32_e32 v6, v146, v147
	v_fmac_f32_e32 v176, v8, v169
	v_fma_f32 v161, v7, v169, -v161
	v_fma_f32 v162, v5, v184, -v148
	v_add_f32_e32 v169, v6, v149
	ds_read_b128 v[5:8], v132 offset:912
	ds_read_b128 v[145:148], v132 offset:928
	ds_read_b64 v[149:150], v132 offset:944
	v_add_f32_e32 v157, v157, v162
	v_add_f32_e32 v158, v169, v158
	v_mul_f32_e32 v169, v133, v199
	v_fma_f32 v133, v133, v156, -v181
	s_waitcnt vmcnt(28)
	v_mul_f32_e32 v164, v135, v173
	v_mul_f32_e32 v173, v136, v173
	v_add_f32_e32 v158, v158, v160
	v_fmac_f32_e32 v169, v134, v156
	v_add_f32_e32 v157, v157, v161
	s_waitcnt vmcnt(27) lgkmcnt(6)
	v_mul_f32_e32 v160, v1, v174
	v_mul_f32_e32 v167, v2, v174
	v_add_f32_e32 v156, v158, v163
	s_waitcnt vmcnt(21)
	v_fma_f32 v135, v135, v195, -v173
	v_add_f32_e32 v133, v157, v133
	v_fmac_f32_e32 v164, v136, v195
	v_mul_f32_e32 v161, v4, v177
	v_add_f32_e32 v156, v156, v175
	v_fmac_f32_e32 v160, v2, v194
	v_fma_f32 v1, v1, v194, -v167
	v_add_f32_e32 v2, v133, v135
	v_mul_f32_e32 v172, v3, v177
	v_add_f32_e32 v156, v156, v176
	s_waitcnt lgkmcnt(5)
	v_mul_f32_e32 v135, v138, v178
	v_fma_f32 v3, v3, v193, -v161
	v_add_f32_e32 v1, v2, v1
	v_mul_f32_e32 v134, v137, v178
	v_add_f32_e32 v156, v156, v169
	v_fmac_f32_e32 v172, v4, v193
	s_waitcnt vmcnt(20)
	v_mul_f32_e32 v4, v140, v196
	v_add_f32_e32 v1, v1, v3
	v_mul_f32_e32 v158, v139, v196
	v_add_f32_e32 v133, v156, v164
	v_fmac_f32_e32 v134, v138, v180
	s_waitcnt vmcnt(19) lgkmcnt(4)
	v_mul_f32_e32 v3, v10, v200
	v_mul_f32_e32 v163, v9, v200
	s_waitcnt vmcnt(18)
	v_mul_f32_e32 v136, v11, v170
	v_add_f32_e32 v2, v133, v160
	v_fma_f32 v133, v137, v180, -v135
	s_waitcnt vmcnt(7)
	v_fma_f32 v4, v139, v206, -v4
	v_fmac_f32_e32 v158, v140, v206
	v_fma_f32 v3, v9, v205, -v3
	v_add_f32_e32 v2, v2, v172
	v_add_f32_e32 v1, v1, v133
	v_mul_f32_e32 v133, v12, v170
	v_fmac_f32_e32 v163, v10, v205
	s_waitcnt lgkmcnt(3)
	v_mul_f32_e32 v173, v141, v197
	v_add_f32_e32 v2, v2, v134
	v_add_f32_e32 v1, v1, v4
	v_mul_f32_e32 v4, v142, v197
	v_fma_f32 v9, v11, v179, -v133
	v_fmac_f32_e32 v136, v12, v179
	v_add_f32_e32 v2, v2, v158
	v_add_f32_e32 v1, v1, v3
	v_mul_f32_e32 v3, v144, v168
	v_fma_f32 v4, v141, v155, -v4
	v_mul_f32_e32 v162, v143, v168
	v_add_f32_e32 v2, v2, v163
	v_add_f32_e32 v1, v1, v9
	v_fmac_f32_e32 v173, v142, v155
	s_waitcnt lgkmcnt(2)
	v_mul_f32_e32 v9, v6, v201
	v_mul_f32_e32 v174, v5, v201
	v_add_f32_e32 v2, v2, v136
	s_waitcnt vmcnt(3)
	v_fma_f32 v3, v143, v154, -v3
	v_add_f32_e32 v1, v1, v4
	v_fmac_f32_e32 v162, v144, v154
	v_mul_f32_e32 v4, v8, v202
	v_add_f32_e32 v2, v2, v173
	v_fma_f32 v5, v5, v153, -v9
	v_add_f32_e32 v1, v1, v3
	v_mul_f32_e32 v175, v7, v202
	v_fmac_f32_e32 v174, v6, v153
	v_add_f32_e32 v2, v2, v162
	s_waitcnt lgkmcnt(1)
	v_mul_f32_e32 v3, v146, v203
	v_fma_f32 v4, v7, v152, -v4
	v_add_f32_e32 v1, v1, v5
	v_mul_f32_e32 v176, v145, v203
	v_fmac_f32_e32 v175, v8, v152
	v_add_f32_e32 v2, v2, v174
	v_mul_f32_e32 v5, v148, v204
	v_fma_f32 v3, v145, v151, -v3
	v_add_f32_e32 v1, v1, v4
	v_mul_f32_e32 v177, v147, v204
	v_fmac_f32_e32 v176, v146, v151
	v_add_f32_e32 v2, v2, v175
	s_waitcnt lgkmcnt(0)
	v_mul_f32_e32 v4, v150, v166
	s_waitcnt vmcnt(1)
	v_fma_f32 v5, v147, v171, -v5
	v_add_f32_e32 v1, v1, v3
	v_mul_f32_e32 v157, v149, v166
	v_fmac_f32_e32 v177, v148, v171
	v_add_f32_e32 v2, v2, v176
	v_fma_f32 v3, v149, v165, -v4
	v_add_f32_e32 v1, v1, v5
	v_fmac_f32_e32 v157, v150, v165
	v_add_f32_e32 v2, v2, v177
	v_add_f32_e32 v1, v1, v3
	;; [unrolled: 1-line block ×3, first 2 shown]
	s_waitcnt vmcnt(0)
	v_sub_f32_e32 v1, v159, v1
	v_sub_f32_e32 v2, v182, v2
	buffer_store_dword v1, off, s[0:3], 0 offset:104
	buffer_store_dword v2, off, s[0:3], 0 offset:108
	v_cmpx_lt_u32_e32 12, v0
	s_cbranch_execz .LBB122_343
; %bb.342:
	s_clause 0x1
	buffer_load_dword v1, off, s[0:3], 0 offset:96
	buffer_load_dword v2, off, s[0:3], 0 offset:100
	buffer_store_dword v132, off, s[0:3], 0 offset:96
	buffer_store_dword v132, off, s[0:3], 0 offset:100
	s_waitcnt vmcnt(0)
	ds_write_b64 v131, v[1:2]
.LBB122_343:
	s_or_b32 exec_lo, exec_lo, s4
	s_waitcnt lgkmcnt(0)
	s_waitcnt_vscnt null, 0x0
	s_barrier
	buffer_gl0_inv
	s_clause 0x2c
	buffer_load_dword v173, off, s[0:3], 0 offset:108
	buffer_load_dword v174, off, s[0:3], 0 offset:116
	;; [unrolled: 1-line block ×45, first 2 shown]
	ds_read2_b64 v[5:8], v132 offset0:73 offset1:74
	buffer_load_dword v167, off, s[0:3], 0 offset:284
	ds_read2_b64 v[1:4], v132 offset0:75 offset1:76
	ds_read2_b64 v[183:186], v132 offset0:77 offset1:78
	s_clause 0x7
	buffer_load_dword v181, off, s[0:3], 0 offset:292
	buffer_load_dword v179, off, s[0:3], 0 offset:300
	;; [unrolled: 1-line block ×8, first 2 shown]
	ds_read2_b64 v[187:190], v132 offset0:79 offset1:80
	s_mov_b32 s4, exec_lo
	s_waitcnt vmcnt(53) lgkmcnt(3)
	v_mul_f32_e32 v191, v5, v173
	s_waitcnt vmcnt(52)
	v_mul_f32_e32 v192, v7, v174
	v_mul_f32_e32 v193, v6, v173
	;; [unrolled: 1-line block ×3, first 2 shown]
	buffer_load_dword v173, off, s[0:3], 0 offset:100
	s_waitcnt vmcnt(50)
	v_fmac_f32_e32 v191, v6, v135
	v_fmac_f32_e32 v192, v8, v134
	v_fma_f32 v193, v5, v135, -v193
	v_fma_f32 v174, v7, v134, -v174
	ds_read2_b64 v[5:8], v132 offset0:81 offset1:82
	s_waitcnt vmcnt(49) lgkmcnt(3)
	v_mul_f32_e32 v194, v1, v12
	v_mul_f32_e32 v12, v2, v12
	s_waitcnt vmcnt(48)
	v_mul_f32_e32 v195, v3, v11
	v_mul_f32_e32 v11, v4, v11
	s_waitcnt vmcnt(47) lgkmcnt(2)
	v_mul_f32_e32 v196, v183, v10
	v_fmac_f32_e32 v194, v2, v9
	v_fma_f32 v197, v1, v9, -v12
	s_waitcnt vmcnt(46)
	v_mul_f32_e32 v198, v185, v133
	v_mul_f32_e32 v9, v184, v10
	;; [unrolled: 1-line block ×3, first 2 shown]
	s_waitcnt vmcnt(42)
	v_fmac_f32_e32 v195, v4, v141
	v_fma_f32 v141, v3, v141, -v11
	ds_read2_b64 v[1:4], v132 offset0:83 offset1:84
	v_fmac_f32_e32 v196, v184, v140
	v_fmac_f32_e32 v198, v186, v138
	v_fma_f32 v140, v183, v140, -v9
	v_fma_f32 v138, v185, v138, -v10
	ds_read2_b64 v[9:12], v132 offset0:85 offset1:86
	s_waitcnt vmcnt(41) lgkmcnt(3)
	v_mul_f32_e32 v183, v187, v139
	v_mul_f32_e32 v133, v188, v139
	s_waitcnt vmcnt(40)
	v_mul_f32_e32 v139, v189, v137
	v_mul_f32_e32 v134, v190, v137
	s_waitcnt vmcnt(39) lgkmcnt(2)
	v_mul_f32_e32 v137, v5, v142
	v_fmac_f32_e32 v183, v188, v136
	v_fma_f32 v184, v187, v136, -v133
	s_waitcnt vmcnt(34)
	v_fmac_f32_e32 v139, v190, v149
	v_fma_f32 v149, v189, v149, -v134
	ds_read2_b64 v[133:136], v132 offset0:87 offset1:88
	v_mul_f32_e32 v185, v7, v143
	v_mul_f32_e32 v142, v6, v142
	;; [unrolled: 1-line block ×3, first 2 shown]
	v_fmac_f32_e32 v137, v6, v148
	v_fmac_f32_e32 v185, v8, v146
	v_fma_f32 v142, v5, v148, -v142
	v_fma_f32 v143, v7, v146, -v143
	ds_read2_b64 v[5:8], v132 offset0:89 offset1:90
	s_waitcnt vmcnt(33) lgkmcnt(3)
	v_mul_f32_e32 v146, v1, v147
	v_mul_f32_e32 v147, v2, v147
	s_waitcnt vmcnt(32)
	v_mul_f32_e32 v148, v3, v145
	v_mul_f32_e32 v145, v4, v145
	s_waitcnt vmcnt(31) lgkmcnt(2)
	v_mul_f32_e32 v186, v9, v150
	v_fmac_f32_e32 v146, v2, v144
	v_fma_f32 v144, v1, v144, -v147
	s_waitcnt vmcnt(30)
	v_mul_f32_e32 v147, v11, v151
	v_mul_f32_e32 v151, v12, v151
	s_waitcnt vmcnt(26)
	v_fmac_f32_e32 v148, v4, v158
	v_fma_f32 v145, v3, v158, -v145
	ds_read2_b64 v[1:4], v132 offset0:91 offset1:92
	v_mul_f32_e32 v150, v10, v150
	v_fmac_f32_e32 v147, v12, v155
	v_fma_f32 v151, v11, v155, -v151
	s_waitcnt vmcnt(25) lgkmcnt(2)
	v_mul_f32_e32 v155, v133, v153
	v_mul_f32_e32 v153, v134, v153
	v_fmac_f32_e32 v186, v10, v157
	v_fma_f32 v150, v9, v157, -v150
	ds_read2_b64 v[9:12], v132 offset0:93 offset1:94
	v_fmac_f32_e32 v155, v134, v152
	v_fma_f32 v133, v133, v152, -v153
	s_clause 0x1
	buffer_load_dword v152, off, s[0:3], 0 offset:324
	buffer_load_dword v153, off, s[0:3], 0 offset:332
	s_waitcnt vmcnt(26)
	v_mul_f32_e32 v157, v135, v154
	v_mul_f32_e32 v154, v136, v154
	s_waitcnt vmcnt(25) lgkmcnt(2)
	v_mul_f32_e32 v158, v5, v159
	v_mul_f32_e32 v159, v6, v159
	s_waitcnt vmcnt(21)
	v_fmac_f32_e32 v157, v136, v166
	v_fma_f32 v134, v135, v166, -v154
	s_waitcnt vmcnt(20)
	v_mul_f32_e32 v135, v7, v165
	v_mul_f32_e32 v136, v8, v165
	v_fmac_f32_e32 v158, v6, v164
	v_fma_f32 v154, v5, v164, -v159
	s_clause 0x3
	buffer_load_dword v159, off, s[0:3], 0 offset:344
	buffer_load_dword v164, off, s[0:3], 0 offset:336
	;; [unrolled: 1-line block ×4, first 2 shown]
	v_fmac_f32_e32 v135, v8, v161
	v_fma_f32 v136, v7, v161, -v136
	s_waitcnt vmcnt(23) lgkmcnt(1)
	v_mul_f32_e32 v161, v1, v162
	s_waitcnt vmcnt(22)
	v_mul_f32_e32 v187, v3, v163
	v_mul_f32_e32 v5, v2, v162
	;; [unrolled: 1-line block ×3, first 2 shown]
	s_clause 0x1
	buffer_load_dword v162, off, s[0:3], 0 offset:340
	buffer_load_dword v163, off, s[0:3], 0 offset:348
	s_waitcnt vmcnt(18) lgkmcnt(0)
	v_mul_f32_e32 v190, v11, v171
	v_fmac_f32_e32 v187, v4, v172
	v_fmac_f32_e32 v161, v2, v160
	v_fma_f32 v172, v3, v172, -v6
	v_mul_f32_e32 v6, v12, v171
	v_fma_f32 v160, v1, v160, -v5
	v_mul_f32_e32 v189, v9, v170
	v_mul_f32_e32 v5, v10, v170
	v_fmac_f32_e32 v190, v12, v168
	v_fma_f32 v168, v11, v168, -v6
	v_add_f32_e32 v6, 0, v193
	v_fmac_f32_e32 v189, v10, v169
	v_fma_f32 v169, v9, v169, -v5
	v_add_f32_e32 v5, 0, v191
	buffer_load_dword v188, off, s[0:3], 0 offset:356
	v_add_f32_e32 v6, v6, v174
	ds_read2_b64 v[1:4], v132 offset0:95 offset1:96
	s_clause 0x3
	buffer_load_dword v170, off, s[0:3], 0 offset:376
	buffer_load_dword v171, off, s[0:3], 0 offset:368
	;; [unrolled: 1-line block ×4, first 2 shown]
	v_add_f32_e32 v5, v5, v192
	s_clause 0x2
	buffer_load_dword v192, off, s[0:3], 0 offset:364
	buffer_load_dword v174, off, s[0:3], 0 offset:372
	;; [unrolled: 1-line block ×3, first 2 shown]
	v_add_f32_e32 v6, v6, v197
	v_add_f32_e32 v5, v5, v194
	;; [unrolled: 1-line block ×4, first 2 shown]
	s_clause 0x2
	buffer_load_dword v194, off, s[0:3], 0 offset:388
	buffer_load_dword v195, off, s[0:3], 0 offset:396
	;; [unrolled: 1-line block ×3, first 2 shown]
	v_add_f32_e32 v6, v6, v140
	v_add_f32_e32 v5, v5, v196
	s_clause 0x2
	buffer_load_dword v196, off, s[0:3], 0 offset:412
	buffer_load_dword v200, off, s[0:3], 0 offset:420
	buffer_load_dword v201, off, s[0:3], 0 offset:428
	s_waitcnt vmcnt(31) lgkmcnt(0)
	v_mul_f32_e32 v141, v1, v167
	v_add_f32_e32 v6, v6, v138
	v_add_f32_e32 v5, v5, v198
	s_clause 0x2
	buffer_load_dword v198, off, s[0:3], 0 offset:436
	buffer_load_dword v202, off, s[0:3], 0 offset:444
	;; [unrolled: 1-line block ×3, first 2 shown]
	v_mul_f32_e32 v7, v2, v167
	v_add_f32_e32 v6, v6, v184
	v_add_f32_e32 v5, v5, v183
	s_clause 0x1
	buffer_load_dword v183, off, s[0:3], 0 offset:460
	buffer_load_dword v184, off, s[0:3], 0 offset:468
	v_fmac_f32_e32 v141, v2, v156
	v_add_f32_e32 v6, v6, v149
	s_clause 0x3
	buffer_load_dword v149, off, s[0:3], 0 offset:408
	buffer_load_dword v204, off, s[0:3], 0 offset:400
	buffer_load_dword v205, off, s[0:3], 0 offset:392
	buffer_load_dword v206, off, s[0:3], 0 offset:384
	v_add_f32_e32 v5, v5, v139
	v_add_f32_e32 v6, v6, v142
	v_fma_f32 v142, v1, v156, -v7
	v_add_f32_e32 v5, v5, v137
	v_add_f32_e32 v6, v6, v143
	v_add_f32_e32 v5, v5, v185
	s_clause 0x3
	buffer_load_dword v185, off, s[0:3], 0 offset:440
	buffer_load_dword v207, off, s[0:3], 0 offset:432
	;; [unrolled: 1-line block ×4, first 2 shown]
	v_add_f32_e32 v6, v6, v144
	v_add_f32_e32 v5, v5, v146
	;; [unrolled: 1-line block ×3, first 2 shown]
	s_waitcnt vmcnt(43)
	v_mul_f32_e32 v145, v3, v181
	v_add_f32_e32 v5, v5, v148
	v_add_f32_e32 v6, v6, v150
	s_waitcnt vmcnt(36)
	v_fmac_f32_e32 v145, v4, v182
	v_add_f32_e32 v5, v5, v186
	s_clause 0x3
	buffer_load_dword v186, off, s[0:3], 0 offset:464
	buffer_load_dword v210, off, s[0:3], 0 offset:456
	;; [unrolled: 1-line block ×4, first 2 shown]
	v_add_f32_e32 v6, v6, v151
	v_add_f32_e32 v5, v5, v147
	;; [unrolled: 1-line block ×4, first 2 shown]
	ds_read2_b64 v[5:8], v132 offset0:97 offset1:98
	v_add_f32_e32 v9, v1, v134
	v_mul_f32_e32 v1, v4, v181
	v_add_f32_e32 v10, v2, v157
	v_add_f32_e32 v133, v9, v154
	v_fma_f32 v146, v3, v182, -v1
	ds_read2_b64 v[1:4], v132 offset0:99 offset1:100
	v_add_f32_e32 v134, v10, v158
	ds_read2_b64 v[9:12], v132 offset0:101 offset1:102
	v_add_f32_e32 v133, v133, v136
	v_add_f32_e32 v134, v134, v135
	v_add_f32_e32 v137, v133, v160
	s_waitcnt lgkmcnt(2)
	v_mul_f32_e32 v136, v6, v179
	v_mul_f32_e32 v147, v5, v179
	v_mul_f32_e32 v151, v7, v178
	v_fma_f32 v148, v5, v180, -v136
	v_add_f32_e32 v5, v134, v161
	v_fmac_f32_e32 v147, v6, v180
	v_add_f32_e32 v6, v137, v172
	ds_read2_b64 v[133:136], v132 offset0:103 offset1:104
	s_waitcnt lgkmcnt(2)
	v_mul_f32_e32 v138, v2, v177
	v_add_f32_e32 v5, v5, v187
	v_mul_f32_e32 v154, v1, v177
	v_add_f32_e32 v6, v6, v169
	v_mul_f32_e32 v137, v8, v178
	v_fma_f32 v157, v1, v175, -v138
	v_add_f32_e32 v5, v5, v189
	v_fmac_f32_e32 v154, v2, v175
	v_add_f32_e32 v1, v6, v168
	v_fma_f32 v156, v7, v176, -v137
	v_fmac_f32_e32 v151, v8, v176
	v_add_f32_e32 v2, v5, v190
	ds_read2_b64 v[5:8], v132 offset0:105 offset1:106
	ds_read2_b64 v[137:140], v132 offset0:107 offset1:108
	s_waitcnt vmcnt(38)
	v_mul_f32_e32 v155, v3, v152
	v_mul_f32_e32 v143, v4, v152
	s_waitcnt vmcnt(37) lgkmcnt(3)
	v_mul_f32_e32 v152, v9, v153
	v_mul_f32_e32 v144, v10, v153
	s_waitcnt vmcnt(34)
	v_fmac_f32_e32 v152, v10, v165
	v_add_f32_e32 v10, v1, v142
	v_fma_f32 v158, v9, v165, -v144
	v_add_f32_e32 v9, v2, v141
	s_waitcnt vmcnt(33)
	v_fma_f32 v153, v3, v166, -v143
	v_fmac_f32_e32 v155, v4, v166
	v_add_f32_e32 v10, v10, v146
	s_waitcnt vmcnt(32)
	v_mul_f32_e32 v160, v11, v162
	v_add_f32_e32 v9, v9, v145
	s_waitcnt vmcnt(31) lgkmcnt(2)
	v_mul_f32_e32 v161, v133, v163
	v_mul_f32_e32 v145, v134, v163
	v_add_f32_e32 v10, v10, v148
	v_mul_f32_e32 v146, v12, v162
	v_fmac_f32_e32 v160, v12, v164
	v_fmac_f32_e32 v161, v134, v159
	v_fma_f32 v159, v133, v159, -v145
	v_add_f32_e32 v133, v9, v147
	v_add_f32_e32 v156, v10, v156
	v_fma_f32 v164, v11, v164, -v146
	ds_read2_b64 v[1:4], v132 offset0:109 offset1:110
	ds_read2_b64 v[141:144], v132 offset0:111 offset1:112
	;; [unrolled: 1-line block ×4, first 2 shown]
	v_add_f32_e32 v151, v133, v151
	v_add_f32_e32 v156, v156, v157
	s_waitcnt vmcnt(30)
	v_mul_f32_e32 v162, v135, v188
	v_mul_f32_e32 v163, v136, v188
	v_add_f32_e32 v151, v151, v154
	v_add_f32_e32 v153, v156, v153
	s_waitcnt vmcnt(26)
	v_fmac_f32_e32 v162, v136, v199
	v_fma_f32 v136, v135, v199, -v163
	s_waitcnt vmcnt(25) lgkmcnt(5)
	v_mul_f32_e32 v157, v6, v192
	v_add_f32_e32 v151, v151, v155
	v_add_f32_e32 v153, v153, v158
	v_mul_f32_e32 v163, v5, v192
	s_waitcnt vmcnt(24)
	v_mul_f32_e32 v165, v8, v174
	v_fma_f32 v5, v5, v191, -v157
	v_add_f32_e32 v151, v151, v152
	v_add_f32_e32 v153, v153, v164
	v_mul_f32_e32 v154, v7, v174
	v_fmac_f32_e32 v163, v6, v191
	v_fma_f32 v7, v7, v171, -v165
	v_add_f32_e32 v151, v151, v160
	v_add_f32_e32 v153, v153, v159
	s_waitcnt vmcnt(23) lgkmcnt(4)
	v_mul_f32_e32 v156, v137, v193
	v_fmac_f32_e32 v154, v8, v171
	s_waitcnt vmcnt(22)
	v_mul_f32_e32 v155, v139, v194
	v_add_f32_e32 v151, v151, v161
	v_add_f32_e32 v136, v153, v136
	v_mul_f32_e32 v153, v138, v193
	v_fmac_f32_e32 v156, v138, v170
	s_waitcnt vmcnt(21) lgkmcnt(3)
	v_mul_f32_e32 v166, v1, v195
	v_add_f32_e32 v151, v151, v162
	v_add_f32_e32 v5, v136, v5
	v_mul_f32_e32 v136, v140, v194
	v_fma_f32 v137, v137, v170, -v153
	s_waitcnt vmcnt(20)
	v_mul_f32_e32 v158, v3, v197
	v_add_f32_e32 v8, v151, v163
	v_add_f32_e32 v5, v5, v7
	s_waitcnt vmcnt(8)
	v_fma_f32 v136, v139, v206, -v136
	v_fmac_f32_e32 v155, v140, v206
	v_fmac_f32_e32 v166, v2, v205
	v_add_f32_e32 v7, v8, v154
	v_mul_f32_e32 v8, v2, v195
	v_add_f32_e32 v5, v5, v137
	v_mul_f32_e32 v137, v4, v197
	s_waitcnt lgkmcnt(2)
	v_mul_f32_e32 v152, v141, v196
	v_add_f32_e32 v7, v7, v156
	v_fma_f32 v1, v1, v205, -v8
	v_add_f32_e32 v2, v5, v136
	v_fma_f32 v3, v3, v204, -v137
	v_fmac_f32_e32 v158, v4, v204
	v_add_f32_e32 v5, v7, v155
	v_mul_f32_e32 v7, v142, v196
	v_add_f32_e32 v1, v2, v1
	v_mul_f32_e32 v4, v144, v200
	v_mul_f32_e32 v167, v143, v200
	v_add_f32_e32 v2, v5, v166
	v_fma_f32 v5, v141, v149, -v7
	v_add_f32_e32 v1, v1, v3
	v_fmac_f32_e32 v152, v142, v149
	ds_read2_b64 v[132:135], v132 offset0:117 offset1:118
	v_add_f32_e32 v2, v2, v158
	s_waitcnt lgkmcnt(2)
	v_mul_f32_e32 v3, v10, v201
	s_waitcnt vmcnt(4)
	v_fma_f32 v4, v143, v209, -v4
	v_add_f32_e32 v1, v1, v5
	v_mul_f32_e32 v164, v9, v201
	v_fmac_f32_e32 v167, v144, v209
	v_add_f32_e32 v2, v2, v152
	v_mul_f32_e32 v5, v12, v198
	v_fma_f32 v3, v9, v208, -v3
	v_add_f32_e32 v1, v1, v4
	v_mul_f32_e32 v160, v11, v198
	v_fmac_f32_e32 v164, v10, v208
	v_add_f32_e32 v2, v2, v167
	s_waitcnt lgkmcnt(1)
	v_mul_f32_e32 v4, v146, v202
	v_fma_f32 v5, v11, v207, -v5
	v_add_f32_e32 v1, v1, v3
	v_mul_f32_e32 v168, v145, v202
	v_fmac_f32_e32 v160, v12, v207
	v_add_f32_e32 v2, v2, v164
	v_mul_f32_e32 v3, v148, v203
	v_fma_f32 v4, v145, v185, -v4
	v_add_f32_e32 v1, v1, v5
	v_mul_f32_e32 v159, v147, v203
	v_fmac_f32_e32 v168, v146, v185
	v_add_f32_e32 v2, v2, v160
	s_waitcnt lgkmcnt(0)
	v_mul_f32_e32 v5, v133, v183
	s_waitcnt vmcnt(1)
	v_fma_f32 v3, v147, v211, -v3
	v_add_f32_e32 v1, v1, v4
	v_mul_f32_e32 v161, v132, v183
	v_fmac_f32_e32 v159, v148, v211
	v_add_f32_e32 v2, v2, v168
	v_mul_f32_e32 v4, v135, v184
	v_fma_f32 v5, v132, v210, -v5
	v_add_f32_e32 v1, v1, v3
	v_mul_f32_e32 v6, v134, v184
	v_fmac_f32_e32 v161, v133, v210
	v_add_f32_e32 v2, v2, v159
	v_fma_f32 v3, v134, v186, -v4
	v_add_f32_e32 v1, v1, v5
	v_fmac_f32_e32 v6, v135, v186
	v_add_f32_e32 v2, v2, v161
	v_add_f32_e32 v1, v1, v3
	v_add_f32_e32 v2, v2, v6
	s_waitcnt vmcnt(0)
	v_sub_f32_e32 v1, v150, v1
	v_sub_f32_e32 v2, v173, v2
	buffer_store_dword v1, off, s[0:3], 0 offset:96
	buffer_store_dword v2, off, s[0:3], 0 offset:100
	v_cmpx_lt_u32_e32 11, v0
	s_cbranch_execz .LBB122_345
; %bb.344:
	s_clause 0x1
	buffer_load_dword v1, off, s[0:3], 0 offset:88
	buffer_load_dword v2, off, s[0:3], 0 offset:92
	v_mov_b32_e32 v3, 0
	buffer_store_dword v3, off, s[0:3], 0 offset:88
	buffer_store_dword v3, off, s[0:3], 0 offset:92
	s_waitcnt vmcnt(0)
	ds_write_b64 v131, v[1:2]
.LBB122_345:
	s_or_b32 exec_lo, exec_lo, s4
	s_waitcnt lgkmcnt(0)
	s_waitcnt_vscnt null, 0x0
	s_barrier
	buffer_gl0_inv
	s_clause 0x2c
	buffer_load_dword v11, off, s[0:3], 0 offset:100
	buffer_load_dword v12, off, s[0:3], 0 offset:108
	;; [unrolled: 1-line block ×45, first 2 shown]
	v_mov_b32_e32 v9, 0
	ds_read_b128 v[5:8], v9 offset:576
	ds_read_b128 v[1:4], v9 offset:592
	s_clause 0x9
	buffer_load_dword v180, off, s[0:3], 0 offset:276
	buffer_load_dword v177, off, s[0:3], 0 offset:284
	buffer_load_dword v173, off, s[0:3], 0 offset:292
	buffer_load_dword v169, off, s[0:3], 0 offset:300
	buffer_load_dword v167, off, s[0:3], 0 offset:308
	buffer_load_dword v158, off, s[0:3], 0 offset:304
	buffer_load_dword v161, off, s[0:3], 0 offset:296
	buffer_load_dword v174, off, s[0:3], 0 offset:288
	buffer_load_dword v179, off, s[0:3], 0 offset:280
	buffer_load_dword v183, off, s[0:3], 0 offset:92
	ds_read_b128 v[184:187], v9 offset:608
	ds_read_b128 v[188:191], v9 offset:624
	s_mov_b32 s4, exec_lo
	s_waitcnt vmcnt(54) lgkmcnt(3)
	v_mul_f32_e32 v192, v5, v11
	v_mul_f32_e32 v11, v6, v11
	s_waitcnt vmcnt(53)
	v_mul_f32_e32 v193, v7, v12
	v_mul_f32_e32 v12, v8, v12
	s_waitcnt vmcnt(52) lgkmcnt(2)
	v_mul_f32_e32 v194, v1, v132
	s_waitcnt vmcnt(49)
	v_fmac_f32_e32 v192, v6, v135
	v_fma_f32 v11, v5, v135, -v11
	s_waitcnt vmcnt(48)
	v_mul_f32_e32 v195, v3, v134
	v_mul_f32_e32 v5, v2, v132
	;; [unrolled: 1-line block ×3, first 2 shown]
	v_fmac_f32_e32 v193, v8, v133
	s_waitcnt vmcnt(43) lgkmcnt(1)
	v_mul_f32_e32 v196, v184, v142
	v_mul_f32_e32 v132, v185, v142
	v_fma_f32 v12, v7, v133, -v12
	v_fmac_f32_e32 v194, v2, v10
	v_fmac_f32_e32 v195, v4, v143
	v_fma_f32 v10, v1, v10, -v5
	v_fma_f32 v143, v3, v143, -v6
	ds_read_b128 v[1:4], v9 offset:640
	ds_read_b128 v[5:8], v9 offset:656
	s_waitcnt vmcnt(42)
	v_mul_f32_e32 v142, v186, v141
	v_mul_f32_e32 v133, v187, v141
	s_waitcnt vmcnt(41) lgkmcnt(2)
	v_mul_f32_e32 v141, v188, v139
	v_fmac_f32_e32 v196, v185, v138
	v_fma_f32 v184, v184, v138, -v132
	s_waitcnt vmcnt(40)
	v_mul_f32_e32 v185, v190, v140
	v_mul_f32_e32 v132, v189, v139
	;; [unrolled: 1-line block ×3, first 2 shown]
	v_fmac_f32_e32 v142, v187, v137
	v_fma_f32 v140, v186, v137, -v133
	v_fmac_f32_e32 v141, v189, v136
	s_waitcnt vmcnt(36)
	v_fmac_f32_e32 v185, v191, v151
	v_fma_f32 v186, v188, v136, -v132
	v_fma_f32 v151, v190, v151, -v134
	ds_read_b128 v[132:135], v9 offset:672
	ds_read_b128 v[136:139], v9 offset:688
	s_waitcnt vmcnt(35) lgkmcnt(3)
	v_mul_f32_e32 v187, v1, v149
	s_waitcnt vmcnt(34)
	v_mul_f32_e32 v188, v3, v150
	v_mul_f32_e32 v149, v2, v149
	;; [unrolled: 1-line block ×3, first 2 shown]
	s_waitcnt vmcnt(33) lgkmcnt(2)
	v_mul_f32_e32 v189, v5, v148
	v_mul_f32_e32 v148, v6, v148
	v_fmac_f32_e32 v187, v2, v146
	v_fmac_f32_e32 v188, v4, v145
	v_fma_f32 v146, v1, v146, -v149
	v_fma_f32 v145, v3, v145, -v150
	s_clause 0x1
	buffer_load_dword v149, off, s[0:3], 0 offset:316
	buffer_load_dword v150, off, s[0:3], 0 offset:324
	s_waitcnt vmcnt(34)
	v_mul_f32_e32 v190, v7, v147
	v_mul_f32_e32 v147, v8, v147
	v_fmac_f32_e32 v189, v6, v144
	v_fma_f32 v144, v5, v144, -v148
	ds_read_b128 v[1:4], v9 offset:704
	s_waitcnt vmcnt(29) lgkmcnt(2)
	v_mul_f32_e32 v148, v132, v159
	v_mul_f32_e32 v5, v133, v159
	s_waitcnt vmcnt(28)
	v_mul_f32_e32 v6, v135, v160
	v_fmac_f32_e32 v190, v8, v162
	v_fma_f32 v147, v7, v162, -v147
	v_fmac_f32_e32 v148, v133, v154
	v_fma_f32 v132, v132, v154, -v5
	v_fma_f32 v133, v134, v153, -v6
	ds_read_b128 v[5:8], v9 offset:720
	v_mul_f32_e32 v162, v134, v160
	s_waitcnt vmcnt(27) lgkmcnt(2)
	v_mul_f32_e32 v159, v136, v156
	s_waitcnt vmcnt(26)
	v_mul_f32_e32 v160, v138, v157
	v_mul_f32_e32 v156, v137, v156
	v_mul_f32_e32 v157, v139, v157
	v_fmac_f32_e32 v162, v135, v153
	v_fmac_f32_e32 v159, v137, v152
	s_waitcnt vmcnt(22)
	v_fmac_f32_e32 v160, v139, v175
	v_fma_f32 v134, v136, v152, -v156
	v_fma_f32 v135, v138, v175, -v157
	s_clause 0x5
	buffer_load_dword v152, off, s[0:3], 0 offset:332
	buffer_load_dword v153, off, s[0:3], 0 offset:340
	;; [unrolled: 1-line block ×6, first 2 shown]
	s_waitcnt vmcnt(27) lgkmcnt(1)
	v_mul_f32_e32 v136, v1, v170
	s_waitcnt vmcnt(26)
	v_mul_f32_e32 v137, v3, v171
	v_mul_f32_e32 v138, v2, v170
	;; [unrolled: 1-line block ×3, first 2 shown]
	v_add_f32_e32 v171, 0, v192
	v_fmac_f32_e32 v136, v2, v168
	v_fmac_f32_e32 v137, v4, v164
	v_fma_f32 v138, v1, v168, -v138
	v_fma_f32 v139, v3, v164, -v139
	ds_read_b128 v[1:4], v9 offset:736
	s_waitcnt vmcnt(25) lgkmcnt(1)
	v_mul_f32_e32 v164, v5, v165
	v_mul_f32_e32 v165, v6, v165
	buffer_load_dword v170, off, s[0:3], 0 offset:348
	s_waitcnt vmcnt(25)
	v_mul_f32_e32 v168, v7, v166
	v_mul_f32_e32 v166, v8, v166
	v_fmac_f32_e32 v164, v6, v163
	v_add_f32_e32 v6, 0, v11
	v_add_f32_e32 v11, v171, v193
	v_fma_f32 v163, v5, v163, -v165
	s_waitcnt vmcnt(21)
	v_fmac_f32_e32 v168, v8, v182
	v_fma_f32 v165, v7, v182, -v166
	v_add_f32_e32 v5, v6, v12
	v_add_f32_e32 v11, v11, v194
	s_clause 0x4
	buffer_load_dword v12, off, s[0:3], 0 offset:368
	buffer_load_dword v166, off, s[0:3], 0 offset:360
	;; [unrolled: 1-line block ×5, first 2 shown]
	v_add_f32_e32 v10, v5, v10
	v_add_f32_e32 v11, v11, v195
	ds_read_b128 v[5:8], v9 offset:752
	s_waitcnt vmcnt(25) lgkmcnt(1)
	v_mul_f32_e32 v192, v1, v181
	v_mul_f32_e32 v181, v2, v181
	v_add_f32_e32 v10, v10, v143
	v_add_f32_e32 v11, v11, v196
	s_clause 0x1
	buffer_load_dword v193, off, s[0:3], 0 offset:364
	buffer_load_dword v194, off, s[0:3], 0 offset:372
	v_fmac_f32_e32 v192, v2, v178
	v_fma_f32 v143, v1, v178, -v181
	v_add_f32_e32 v1, v10, v184
	v_add_f32_e32 v2, v11, v142
	buffer_load_dword v195, off, s[0:3], 0 offset:380
	s_waitcnt vmcnt(27)
	v_mul_f32_e32 v178, v3, v176
	v_mul_f32_e32 v10, v4, v176
	v_add_f32_e32 v1, v1, v140
	v_add_f32_e32 v2, v2, v141
	s_clause 0x2
	buffer_load_dword v181, off, s[0:3], 0 offset:388
	buffer_load_dword v184, off, s[0:3], 0 offset:396
	;; [unrolled: 1-line block ×3, first 2 shown]
	v_fmac_f32_e32 v178, v4, v172
	v_fma_f32 v10, v3, v172, -v10
	v_add_f32_e32 v2, v2, v185
	s_clause 0x1
	buffer_load_dword v172, off, s[0:3], 0 offset:412
	buffer_load_dword v196, off, s[0:3], 0 offset:420
	v_add_f32_e32 v1, v1, v186
	s_clause 0x2
	buffer_load_dword v185, off, s[0:3], 0 offset:428
	buffer_load_dword v186, off, s[0:3], 0 offset:436
	;; [unrolled: 1-line block ×3, first 2 shown]
	s_waitcnt vmcnt(34) lgkmcnt(0)
	v_mul_f32_e32 v11, v5, v180
	v_add_f32_e32 v2, v2, v187
	s_clause 0x2
	buffer_load_dword v187, off, s[0:3], 0 offset:452
	buffer_load_dword v198, off, s[0:3], 0 offset:460
	;; [unrolled: 1-line block ×3, first 2 shown]
	v_add_f32_e32 v1, v1, v151
	v_mul_f32_e32 v3, v6, v180
	v_fmac_f32_e32 v11, v6, v155
	v_add_f32_e32 v2, v2, v188
	s_clause 0x3
	buffer_load_dword v188, off, s[0:3], 0 offset:400
	buffer_load_dword v200, off, s[0:3], 0 offset:392
	;; [unrolled: 1-line block ×4, first 2 shown]
	v_add_f32_e32 v1, v1, v146
	v_fma_f32 v140, v5, v155, -v3
	v_add_f32_e32 v2, v2, v189
	v_add_f32_e32 v1, v1, v145
	;; [unrolled: 1-line block ×3, first 2 shown]
	s_clause 0x3
	buffer_load_dword v189, off, s[0:3], 0 offset:432
	buffer_load_dword v190, off, s[0:3], 0 offset:424
	;; [unrolled: 1-line block ×4, first 2 shown]
	v_add_f32_e32 v1, v1, v144
	s_waitcnt vmcnt(44)
	v_mul_f32_e32 v144, v7, v177
	v_add_f32_e32 v2, v2, v148
	v_add_f32_e32 v1, v1, v147
	s_waitcnt vmcnt(37)
	v_fmac_f32_e32 v144, v8, v179
	v_add_f32_e32 v2, v2, v162
	s_clause 0x4
	buffer_load_dword v162, off, s[0:3], 0 offset:464
	buffer_load_dword v205, off, s[0:3], 0 offset:456
	;; [unrolled: 1-line block ×5, first 2 shown]
	v_add_f32_e32 v1, v1, v132
	v_add_f32_e32 v2, v2, v159
	;; [unrolled: 1-line block ×6, first 2 shown]
	v_mul_f32_e32 v5, v8, v177
	v_add_f32_e32 v6, v1, v135
	ds_read_b128 v[1:4], v9 offset:768
	v_add_f32_e32 v136, v132, v137
	v_fma_f32 v145, v7, v179, -v5
	v_add_f32_e32 v133, v6, v138
	ds_read_b128 v[5:8], v9 offset:784
	v_add_f32_e32 v136, v136, v164
	v_add_f32_e32 v137, v133, v139
	ds_read_b128 v[132:135], v9 offset:800
	v_add_f32_e32 v141, v136, v168
	v_add_f32_e32 v137, v137, v163
	s_waitcnt lgkmcnt(2)
	v_mul_f32_e32 v138, v2, v173
	v_mul_f32_e32 v148, v1, v173
	;; [unrolled: 1-line block ×3, first 2 shown]
	v_fma_f32 v151, v1, v174, -v138
	v_add_f32_e32 v1, v137, v165
	v_fmac_f32_e32 v148, v2, v174
	v_add_f32_e32 v2, v141, v192
	s_waitcnt lgkmcnt(1)
	v_mul_f32_e32 v159, v5, v167
	v_mul_f32_e32 v142, v6, v167
	v_add_f32_e32 v1, v1, v143
	ds_read_b128 v[136:139], v9 offset:816
	v_add_f32_e32 v2, v2, v178
	v_fmac_f32_e32 v159, v6, v158
	v_fma_f32 v158, v5, v158, -v142
	v_add_f32_e32 v1, v1, v10
	v_mul_f32_e32 v141, v4, v169
	v_add_f32_e32 v5, v2, v11
	v_fmac_f32_e32 v155, v4, v161
	v_add_f32_e32 v6, v1, v140
	v_fma_f32 v10, v3, v161, -v141
	ds_read_b128 v[1:4], v9 offset:832
	ds_read_b128 v[140:143], v9 offset:848
	s_waitcnt vmcnt(40)
	v_mul_f32_e32 v146, v8, v149
	s_waitcnt vmcnt(39) lgkmcnt(3)
	v_mul_f32_e32 v163, v132, v150
	v_mul_f32_e32 v11, v133, v150
	v_mul_f32_e32 v160, v7, v149
	s_waitcnt vmcnt(38)
	v_mul_f32_e32 v164, v134, v152
	s_waitcnt vmcnt(34)
	v_fmac_f32_e32 v163, v133, v157
	v_fma_f32 v157, v132, v157, -v11
	v_add_f32_e32 v11, v6, v145
	v_add_f32_e32 v133, v5, v144
	s_waitcnt vmcnt(33)
	v_fma_f32 v161, v7, v175, -v146
	v_fmac_f32_e32 v160, v8, v175
	v_fmac_f32_e32 v164, v135, v156
	v_add_f32_e32 v11, v11, v151
	v_add_f32_e32 v132, v133, v148
	v_mul_f32_e32 v133, v135, v152
	s_waitcnt lgkmcnt(2)
	v_mul_f32_e32 v152, v136, v153
	v_mul_f32_e32 v148, v137, v153
	v_add_f32_e32 v10, v11, v10
	v_add_f32_e32 v132, v132, v155
	v_fma_f32 v156, v134, v156, -v133
	s_waitcnt vmcnt(32)
	v_mul_f32_e32 v153, v139, v170
	v_fmac_f32_e32 v152, v137, v154
	v_add_f32_e32 v158, v10, v158
	v_add_f32_e32 v159, v132, v159
	v_fma_f32 v154, v136, v154, -v148
	v_mul_f32_e32 v155, v138, v170
	ds_read_b128 v[5:8], v9 offset:864
	ds_read_b128 v[144:147], v9 offset:880
	v_add_f32_e32 v158, v158, v161
	v_add_f32_e32 v159, v159, v160
	s_waitcnt vmcnt(28)
	v_fma_f32 v153, v138, v182, -v153
	s_waitcnt vmcnt(27) lgkmcnt(3)
	v_mul_f32_e32 v165, v2, v191
	v_fmac_f32_e32 v155, v139, v182
	v_add_f32_e32 v157, v158, v157
	v_add_f32_e32 v159, v159, v163
	v_mul_f32_e32 v160, v1, v191
	v_fma_f32 v1, v1, v171, -v165
	ds_read_b128 v[132:135], v9 offset:896
	ds_read_b128 v[148:151], v9 offset:912
	v_add_f32_e32 v156, v157, v156
	v_add_f32_e32 v159, v159, v164
	s_waitcnt vmcnt(26)
	v_mul_f32_e32 v167, v4, v193
	v_mul_f32_e32 v161, v3, v193
	v_fmac_f32_e32 v160, v2, v171
	v_add_f32_e32 v154, v156, v154
	v_add_f32_e32 v152, v159, v152
	s_waitcnt vmcnt(25) lgkmcnt(4)
	v_mul_f32_e32 v163, v140, v194
	v_mul_f32_e32 v165, v141, v194
	v_fma_f32 v3, v3, v166, -v167
	v_add_f32_e32 v153, v154, v153
	v_add_f32_e32 v152, v152, v155
	v_fmac_f32_e32 v161, v4, v166
	s_waitcnt vmcnt(24)
	v_mul_f32_e32 v154, v143, v195
	v_fmac_f32_e32 v163, v141, v12
	v_add_f32_e32 v1, v153, v1
	v_add_f32_e32 v152, v152, v160
	v_fma_f32 v12, v140, v12, -v165
	v_mul_f32_e32 v158, v142, v195
	s_waitcnt vmcnt(23) lgkmcnt(3)
	v_mul_f32_e32 v140, v6, v181
	v_add_f32_e32 v1, v1, v3
	v_add_f32_e32 v3, v152, v161
	v_mul_f32_e32 v2, v5, v181
	s_waitcnt vmcnt(22)
	v_mul_f32_e32 v164, v7, v184
	s_waitcnt vmcnt(21) lgkmcnt(2)
	v_mul_f32_e32 v157, v144, v176
	v_add_f32_e32 v1, v1, v12
	v_add_f32_e32 v3, v3, v163
	v_mul_f32_e32 v12, v8, v184
	s_waitcnt vmcnt(9)
	v_fma_f32 v141, v142, v202, -v154
	v_fmac_f32_e32 v158, v143, v202
	v_fma_f32 v5, v5, v201, -v140
	v_fmac_f32_e32 v2, v6, v201
	v_mul_f32_e32 v6, v145, v176
	v_add_f32_e32 v1, v1, v141
	v_add_f32_e32 v3, v3, v158
	v_fma_f32 v7, v7, v200, -v12
	v_fmac_f32_e32 v164, v8, v200
	v_mul_f32_e32 v4, v146, v172
	v_add_f32_e32 v1, v1, v5
	v_add_f32_e32 v2, v3, v2
	v_mul_f32_e32 v3, v147, v172
	v_fma_f32 v5, v144, v188, -v6
	v_fmac_f32_e32 v157, v145, v188
	v_add_f32_e32 v1, v1, v7
	v_add_f32_e32 v2, v2, v164
	s_waitcnt lgkmcnt(1)
	v_mul_f32_e32 v6, v133, v196
	s_waitcnt vmcnt(5)
	v_fma_f32 v3, v146, v204, -v3
	ds_read_b128 v[136:139], v9 offset:928
	ds_read_b64 v[10:11], v9 offset:944
	v_add_f32_e32 v1, v1, v5
	v_mul_f32_e32 v166, v132, v196
	v_fmac_f32_e32 v4, v147, v204
	v_add_f32_e32 v2, v2, v157
	v_mul_f32_e32 v5, v135, v185
	v_fma_f32 v6, v132, v203, -v6
	v_add_f32_e32 v1, v1, v3
	v_mul_f32_e32 v156, v134, v185
	v_fmac_f32_e32 v166, v133, v203
	v_add_f32_e32 v2, v2, v4
	s_waitcnt lgkmcnt(2)
	v_mul_f32_e32 v3, v149, v186
	v_fma_f32 v4, v134, v190, -v5
	v_add_f32_e32 v1, v1, v6
	v_mul_f32_e32 v159, v148, v186
	v_fmac_f32_e32 v156, v135, v190
	v_add_f32_e32 v2, v2, v166
	v_mul_f32_e32 v5, v151, v197
	v_fma_f32 v3, v148, v189, -v3
	v_add_f32_e32 v1, v1, v4
	v_mul_f32_e32 v167, v150, v197
	v_fmac_f32_e32 v159, v149, v189
	v_add_f32_e32 v2, v2, v156
	s_waitcnt lgkmcnt(1)
	v_mul_f32_e32 v4, v137, v187
	s_waitcnt vmcnt(1)
	v_fma_f32 v5, v150, v207, -v5
	v_add_f32_e32 v1, v1, v3
	v_mul_f32_e32 v155, v136, v187
	v_fmac_f32_e32 v167, v151, v207
	v_add_f32_e32 v2, v2, v159
	v_mul_f32_e32 v3, v139, v198
	v_fma_f32 v4, v136, v206, -v4
	v_add_f32_e32 v1, v1, v5
	v_mul_f32_e32 v168, v138, v198
	v_fmac_f32_e32 v155, v137, v206
	v_add_f32_e32 v2, v2, v167
	s_waitcnt lgkmcnt(0)
	v_mul_f32_e32 v5, v11, v199
	v_fma_f32 v3, v138, v205, -v3
	v_add_f32_e32 v1, v1, v4
	v_mul_f32_e32 v153, v10, v199
	v_fmac_f32_e32 v168, v139, v205
	v_add_f32_e32 v2, v2, v155
	v_fma_f32 v4, v10, v162, -v5
	v_add_f32_e32 v1, v1, v3
	v_fmac_f32_e32 v153, v11, v162
	v_add_f32_e32 v2, v2, v168
	v_add_f32_e32 v1, v1, v4
	;; [unrolled: 1-line block ×3, first 2 shown]
	s_waitcnt vmcnt(0)
	v_sub_f32_e32 v1, v208, v1
	v_sub_f32_e32 v2, v183, v2
	buffer_store_dword v1, off, s[0:3], 0 offset:88
	buffer_store_dword v2, off, s[0:3], 0 offset:92
	v_cmpx_lt_u32_e32 10, v0
	s_cbranch_execz .LBB122_347
; %bb.346:
	s_clause 0x1
	buffer_load_dword v1, off, s[0:3], 0 offset:80
	buffer_load_dword v2, off, s[0:3], 0 offset:84
	buffer_store_dword v9, off, s[0:3], 0 offset:80
	buffer_store_dword v9, off, s[0:3], 0 offset:84
	s_waitcnt vmcnt(0)
	ds_write_b64 v131, v[1:2]
.LBB122_347:
	s_or_b32 exec_lo, exec_lo, s4
	s_waitcnt lgkmcnt(0)
	s_waitcnt_vscnt null, 0x0
	s_barrier
	buffer_gl0_inv
	s_clause 0x33
	buffer_load_dword v166, off, s[0:3], 0 offset:92
	buffer_load_dword v167, off, s[0:3], 0 offset:100
	;; [unrolled: 1-line block ×52, first 2 shown]
	ds_read2_b64 v[175:178], v9 offset0:71 offset1:72
	ds_read2_b64 v[179:182], v9 offset0:73 offset1:74
	;; [unrolled: 1-line block ×3, first 2 shown]
	s_clause 0x1
	buffer_load_dword v172, off, s[0:3], 0 offset:284
	buffer_load_dword v173, off, s[0:3], 0 offset:292
	ds_read2_b64 v[187:190], v9 offset0:77 offset1:78
	s_mov_b32 s4, exec_lo
	s_waitcnt vmcnt(53) lgkmcnt(3)
	v_mul_f32_e32 v191, v175, v166
	v_mul_f32_e32 v192, v176, v166
	s_waitcnt vmcnt(52)
	v_mul_f32_e32 v193, v177, v167
	v_mul_f32_e32 v167, v178, v167
	buffer_load_dword v166, off, s[0:3], 0 offset:84
	s_waitcnt vmcnt(50)
	v_fmac_f32_e32 v191, v176, v7
	v_fma_f32 v192, v175, v7, -v192
	v_fmac_f32_e32 v193, v178, v5
	v_fma_f32 v167, v177, v5, -v167
	ds_read2_b64 v[175:178], v9 offset0:79 offset1:80
	s_waitcnt vmcnt(49) lgkmcnt(3)
	v_mul_f32_e32 v194, v179, v2
	s_waitcnt vmcnt(48)
	v_mul_f32_e32 v195, v181, v3
	v_mul_f32_e32 v2, v180, v2
	;; [unrolled: 1-line block ×3, first 2 shown]
	s_waitcnt vmcnt(47) lgkmcnt(2)
	v_mul_f32_e32 v196, v183, v6
	v_mul_f32_e32 v5, v184, v6
	v_fmac_f32_e32 v194, v180, v1
	v_fma_f32 v197, v179, v1, -v2
	s_waitcnt vmcnt(46)
	v_mul_f32_e32 v198, v185, v4
	v_mul_f32_e32 v6, v186, v4
	s_waitcnt vmcnt(42)
	v_fma_f32 v199, v181, v133, -v3
	ds_read2_b64 v[1:4], v9 offset0:81 offset1:82
	v_fmac_f32_e32 v195, v182, v133
	v_fmac_f32_e32 v196, v184, v132
	v_fma_f32 v183, v183, v132, -v5
	v_fmac_f32_e32 v198, v186, v11
	v_fma_f32 v11, v185, v11, -v6
	ds_read2_b64 v[179:182], v9 offset0:83 offset1:84
	s_waitcnt vmcnt(41) lgkmcnt(3)
	v_mul_f32_e32 v184, v187, v12
	v_mul_f32_e32 v5, v188, v12
	s_waitcnt vmcnt(40)
	v_mul_f32_e32 v12, v189, v10
	v_mul_f32_e32 v6, v190, v10
	s_waitcnt vmcnt(39) lgkmcnt(2)
	v_mul_f32_e32 v10, v175, v134
	v_fmac_f32_e32 v184, v188, v8
	v_fma_f32 v185, v187, v8, -v5
	v_mul_f32_e32 v132, v176, v134
	s_waitcnt vmcnt(38)
	v_mul_f32_e32 v133, v178, v135
	s_waitcnt vmcnt(34)
	v_fmac_f32_e32 v12, v190, v141
	v_fma_f32 v141, v189, v141, -v6
	ds_read2_b64 v[5:8], v9 offset0:85 offset1:86
	v_mul_f32_e32 v186, v177, v135
	v_fmac_f32_e32 v10, v176, v140
	v_fma_f32 v140, v175, v140, -v132
	v_fma_f32 v175, v177, v138, -v133
	ds_read2_b64 v[132:135], v9 offset0:87 offset1:88
	v_fmac_f32_e32 v186, v178, v138
	s_waitcnt vmcnt(33) lgkmcnt(3)
	v_mul_f32_e32 v176, v1, v139
	v_mul_f32_e32 v138, v2, v139
	s_waitcnt vmcnt(32)
	v_mul_f32_e32 v177, v3, v137
	v_mul_f32_e32 v137, v4, v137
	s_waitcnt vmcnt(31) lgkmcnt(2)
	v_mul_f32_e32 v178, v179, v142
	v_fmac_f32_e32 v176, v2, v136
	v_fma_f32 v187, v1, v136, -v138
	v_mul_f32_e32 v136, v180, v142
	s_waitcnt vmcnt(30)
	v_mul_f32_e32 v188, v181, v143
	v_mul_f32_e32 v138, v182, v143
	s_waitcnt vmcnt(26)
	v_fmac_f32_e32 v177, v4, v149
	v_fma_f32 v142, v3, v149, -v137
	ds_read2_b64 v[1:4], v9 offset0:89 offset1:90
	v_fmac_f32_e32 v178, v180, v148
	v_fma_f32 v143, v179, v148, -v136
	s_waitcnt vmcnt(25) lgkmcnt(2)
	v_mul_f32_e32 v148, v5, v147
	v_fmac_f32_e32 v188, v182, v146
	v_fma_f32 v146, v181, v146, -v138
	ds_read2_b64 v[136:139], v9 offset0:91 offset1:92
	v_mul_f32_e32 v147, v6, v147
	s_waitcnt vmcnt(24)
	v_mul_f32_e32 v149, v7, v145
	v_mul_f32_e32 v145, v8, v145
	s_waitcnt vmcnt(23) lgkmcnt(2)
	v_mul_f32_e32 v179, v132, v150
	v_fmac_f32_e32 v148, v6, v144
	v_mul_f32_e32 v6, v133, v150
	v_fma_f32 v5, v5, v144, -v147
	s_waitcnt vmcnt(22)
	v_mul_f32_e32 v144, v134, v151
	v_mul_f32_e32 v147, v135, v151
	s_waitcnt vmcnt(18)
	v_fmac_f32_e32 v149, v8, v158
	v_fma_f32 v7, v7, v158, -v145
	v_fmac_f32_e32 v179, v133, v157
	v_fma_f32 v6, v132, v157, -v6
	s_clause 0x5
	buffer_load_dword v145, off, s[0:3], 0 offset:308
	buffer_load_dword v150, off, s[0:3], 0 offset:312
	buffer_load_dword v151, off, s[0:3], 0 offset:316
	buffer_load_dword v157, off, s[0:3], 0 offset:328
	buffer_load_dword v158, off, s[0:3], 0 offset:320
	buffer_load_dword v180, off, s[0:3], 0 offset:304
	v_fma_f32 v132, v134, v153, -v147
	s_waitcnt vmcnt(23) lgkmcnt(1)
	v_mul_f32_e32 v133, v1, v154
	s_waitcnt vmcnt(22)
	v_mul_f32_e32 v147, v3, v155
	v_mul_f32_e32 v8, v2, v154
	v_mul_f32_e32 v134, v4, v155
	v_fmac_f32_e32 v144, v135, v153
	v_fmac_f32_e32 v133, v2, v152
	s_waitcnt vmcnt(18)
	v_fmac_f32_e32 v147, v4, v165
	v_fma_f32 v135, v1, v152, -v8
	v_fma_f32 v152, v3, v165, -v134
	s_waitcnt vmcnt(17) lgkmcnt(0)
	v_mul_f32_e32 v165, v136, v163
	v_mul_f32_e32 v8, v137, v163
	s_clause 0x1
	buffer_load_dword v153, off, s[0:3], 0 offset:324
	buffer_load_dword v154, off, s[0:3], 0 offset:332
	ds_read2_b64 v[1:4], v9 offset0:93 offset1:94
	buffer_load_dword v155, off, s[0:3], 0 offset:340
	s_waitcnt vmcnt(19)
	v_mul_f32_e32 v181, v138, v164
	v_mul_f32_e32 v134, v139, v164
	v_fmac_f32_e32 v165, v137, v162
	v_fma_f32 v136, v136, v162, -v8
	s_clause 0x5
	buffer_load_dword v162, off, s[0:3], 0 offset:360
	buffer_load_dword v163, off, s[0:3], 0 offset:352
	;; [unrolled: 1-line block ×6, first 2 shown]
	v_fmac_f32_e32 v181, v139, v161
	v_fma_f32 v161, v138, v161, -v134
	v_add_f32_e32 v8, 0, v191
	v_add_f32_e32 v134, 0, v192
	;; [unrolled: 1-line block ×4, first 2 shown]
	buffer_load_dword v167, off, s[0:3], 0 offset:364
	s_waitcnt vmcnt(25) lgkmcnt(0)
	v_mul_f32_e32 v137, v2, v160
	v_add_f32_e32 v8, v8, v194
	v_add_f32_e32 v134, v134, v197
	s_waitcnt vmcnt(24)
	v_mul_f32_e32 v138, v4, v159
	s_clause 0x3
	buffer_load_dword v191, off, s[0:3], 0 offset:372
	buffer_load_dword v192, off, s[0:3], 0 offset:380
	;; [unrolled: 1-line block ×4, first 2 shown]
	v_add_f32_e32 v8, v8, v195
	v_add_f32_e32 v134, v134, v199
	v_mul_f32_e32 v195, v1, v160
	v_mul_f32_e32 v160, v3, v159
	v_add_f32_e32 v8, v8, v196
	v_add_f32_e32 v134, v134, v183
	v_fmac_f32_e32 v195, v2, v156
	v_fma_f32 v156, v1, v156, -v137
	s_clause 0x3
	buffer_load_dword v159, off, s[0:3], 0 offset:404
	buffer_load_dword v183, off, s[0:3], 0 offset:412
	;; [unrolled: 1-line block ×4, first 2 shown]
	v_add_f32_e32 v1, v8, v198
	v_add_f32_e32 v2, v134, v11
	s_waitcnt vmcnt(27)
	v_fmac_f32_e32 v160, v4, v174
	v_fma_f32 v11, v3, v174, -v138
	s_clause 0x1
	buffer_load_dword v174, off, s[0:3], 0 offset:436
	buffer_load_dword v198, off, s[0:3], 0 offset:444
	v_add_f32_e32 v1, v1, v184
	v_add_f32_e32 v2, v2, v185
	s_clause 0x6
	buffer_load_dword v184, off, s[0:3], 0 offset:452
	buffer_load_dword v185, off, s[0:3], 0 offset:460
	;; [unrolled: 1-line block ×7, first 2 shown]
	v_add_f32_e32 v1, v1, v12
	v_add_f32_e32 v2, v2, v141
	;; [unrolled: 1-line block ×6, first 2 shown]
	s_clause 0x3
	buffer_load_dword v175, off, s[0:3], 0 offset:424
	buffer_load_dword v186, off, s[0:3], 0 offset:416
	;; [unrolled: 1-line block ×4, first 2 shown]
	v_add_f32_e32 v1, v1, v176
	v_add_f32_e32 v2, v2, v187
	;; [unrolled: 1-line block ×3, first 2 shown]
	s_clause 0x4
	buffer_load_dword v176, off, s[0:3], 0 offset:456
	buffer_load_dword v177, off, s[0:3], 0 offset:448
	;; [unrolled: 1-line block ×5, first 2 shown]
	v_add_f32_e32 v2, v2, v142
	v_add_f32_e32 v1, v1, v178
	buffer_load_dword v178, off, s[0:3], 0 offset:464
	v_add_f32_e32 v2, v2, v143
	v_add_f32_e32 v1, v1, v188
	;; [unrolled: 1-line block ×5, first 2 shown]
	ds_read2_b64 v[1:4], v9 offset0:95 offset1:96
	v_add_f32_e32 v5, v5, v7
	v_add_f32_e32 v7, v8, v149
	;; [unrolled: 1-line block ×4, first 2 shown]
	ds_read2_b64 v[5:8], v9 offset0:97 offset1:98
	v_add_f32_e32 v10, v10, v132
	v_add_f32_e32 v12, v12, v144
	;; [unrolled: 1-line block ×4, first 2 shown]
	s_waitcnt vmcnt(44) lgkmcnt(1)
	v_mul_f32_e32 v148, v3, v173
	v_mul_f32_e32 v134, v4, v173
	;; [unrolled: 1-line block ×3, first 2 shown]
	v_add_f32_e32 v10, v10, v152
	v_add_f32_e32 v12, v12, v147
	v_mul_f32_e32 v132, v2, v172
	v_fmac_f32_e32 v148, v4, v170
	v_fma_f32 v149, v3, v170, -v134
	v_add_f32_e32 v10, v10, v136
	v_add_f32_e32 v12, v12, v165
	s_waitcnt lgkmcnt(0)
	v_mul_f32_e32 v152, v5, v169
	v_mul_f32_e32 v137, v6, v169
	v_fmac_f32_e32 v146, v2, v171
	v_fma_f32 v144, v1, v171, -v132
	ds_read2_b64 v[1:4], v9 offset0:99 offset1:100
	ds_read2_b64 v[132:135], v9 offset0:101 offset1:102
	v_add_f32_e32 v10, v10, v161
	v_fmac_f32_e32 v152, v6, v168
	v_fma_f32 v168, v5, v168, -v137
	v_add_f32_e32 v12, v12, v181
	v_add_f32_e32 v10, v10, v156
	;; [unrolled: 1-line block ×9, first 2 shown]
	s_waitcnt vmcnt(42)
	v_mul_f32_e32 v170, v7, v145
	v_mul_f32_e32 v138, v8, v145
	s_waitcnt vmcnt(40) lgkmcnt(1)
	v_mul_f32_e32 v161, v1, v151
	v_mul_f32_e32 v140, v2, v151
	s_waitcnt vmcnt(37)
	v_fmac_f32_e32 v170, v8, v180
	v_fma_f32 v169, v7, v180, -v138
	ds_read2_b64 v[5:8], v9 offset0:103 offset1:104
	ds_read2_b64 v[136:139], v9 offset0:105 offset1:106
	v_fmac_f32_e32 v161, v2, v150
	v_fma_f32 v150, v1, v150, -v140
	s_waitcnt vmcnt(36)
	v_mul_f32_e32 v151, v3, v153
	v_mul_f32_e32 v141, v4, v153
	s_waitcnt vmcnt(35) lgkmcnt(2)
	v_mul_f32_e32 v153, v132, v154
	v_mul_f32_e32 v145, v133, v154
	s_waitcnt vmcnt(34)
	v_mul_f32_e32 v12, v135, v155
	v_mul_f32_e32 v156, v134, v155
	v_fmac_f32_e32 v151, v4, v158
	v_fmac_f32_e32 v153, v133, v157
	v_fma_f32 v155, v132, v157, -v145
	s_waitcnt vmcnt(29) lgkmcnt(1)
	v_mul_f32_e32 v149, v5, v189
	v_fma_f32 v157, v134, v182, -v12
	v_mul_f32_e32 v12, v6, v189
	v_fma_f32 v154, v3, v158, -v141
	s_waitcnt vmcnt(28)
	v_mul_f32_e32 v148, v7, v190
	v_fmac_f32_e32 v149, v6, v164
	v_add_f32_e32 v6, v10, v168
	v_mul_f32_e32 v158, v8, v190
	v_add_f32_e32 v10, v11, v152
	v_fmac_f32_e32 v148, v8, v163
	ds_read2_b64 v[1:4], v9 offset0:107 offset1:108
	ds_read2_b64 v[140:143], v9 offset0:109 offset1:110
	v_add_f32_e32 v160, v6, v169
	v_fma_f32 v158, v7, v163, -v158
	v_add_f32_e32 v163, v10, v170
	v_fmac_f32_e32 v156, v135, v182
	v_fma_f32 v152, v5, v164, -v12
	v_add_f32_e32 v150, v160, v150
	s_waitcnt vmcnt(27) lgkmcnt(2)
	v_mul_f32_e32 v160, v137, v167
	v_add_f32_e32 v161, v163, v161
	v_mul_f32_e32 v164, v136, v167
	s_waitcnt vmcnt(26)
	v_mul_f32_e32 v165, v139, v191
	v_add_f32_e32 v150, v150, v154
	v_fma_f32 v136, v136, v162, -v160
	v_add_f32_e32 v151, v161, v151
	v_mul_f32_e32 v163, v138, v191
	v_fmac_f32_e32 v164, v137, v162
	v_add_f32_e32 v150, v150, v155
	ds_read2_b64 v[132:135], v9 offset0:111 offset1:112
	ds_read2_b64 v[144:147], v9 offset0:113 offset1:114
	v_add_f32_e32 v151, v151, v153
	s_waitcnt vmcnt(25) lgkmcnt(3)
	v_mul_f32_e32 v154, v1, v192
	s_waitcnt vmcnt(24)
	v_mul_f32_e32 v161, v3, v193
	v_add_f32_e32 v150, v150, v157
	s_waitcnt vmcnt(23) lgkmcnt(2)
	v_mul_f32_e32 v167, v140, v194
	v_add_f32_e32 v151, v151, v156
	s_waitcnt vmcnt(22)
	v_mul_f32_e32 v155, v142, v159
	s_waitcnt vmcnt(12)
	v_fmac_f32_e32 v161, v4, v201
	v_add_f32_e32 v150, v150, v152
	s_waitcnt vmcnt(10)
	v_fma_f32 v138, v138, v203, -v165
	v_add_f32_e32 v149, v151, v149
	v_fmac_f32_e32 v163, v139, v203
	v_fmac_f32_e32 v154, v2, v202
	v_add_f32_e32 v150, v150, v158
	v_fmac_f32_e32 v167, v141, v200
	v_add_f32_e32 v148, v149, v148
	v_mul_f32_e32 v149, v2, v192
	ds_read2_b64 v[5:8], v9 offset0:115 offset1:116
	ds_read2_b64 v[9:12], v9 offset0:117 offset1:118
	v_add_f32_e32 v136, v150, v136
	s_waitcnt lgkmcnt(3)
	v_mul_f32_e32 v153, v132, v183
	v_add_f32_e32 v139, v148, v164
	v_mul_f32_e32 v148, v4, v193
	v_fma_f32 v1, v1, v202, -v149
	v_add_f32_e32 v2, v136, v138
	v_mul_f32_e32 v138, v141, v194
	v_add_f32_e32 v136, v139, v163
	v_fma_f32 v3, v3, v201, -v148
	v_mul_f32_e32 v4, v143, v159
	v_add_f32_e32 v1, v2, v1
	s_waitcnt vmcnt(6)
	v_fmac_f32_e32 v155, v143, v205
	v_add_f32_e32 v2, v136, v154
	v_fma_f32 v136, v140, v200, -v138
	v_fma_f32 v4, v142, v205, -v4
	v_add_f32_e32 v1, v1, v3
	v_mul_f32_e32 v3, v133, v183
	v_add_f32_e32 v2, v2, v161
	v_mul_f32_e32 v168, v134, v196
	v_fmac_f32_e32 v153, v133, v204
	v_add_f32_e32 v1, v1, v136
	v_mul_f32_e32 v136, v135, v196
	v_add_f32_e32 v2, v2, v167
	v_fma_f32 v3, v132, v204, -v3
	s_waitcnt lgkmcnt(2)
	v_mul_f32_e32 v157, v144, v197
	v_add_f32_e32 v1, v1, v4
	v_mul_f32_e32 v4, v145, v197
	v_add_f32_e32 v2, v2, v155
	v_fma_f32 v132, v134, v186, -v136
	v_fmac_f32_e32 v168, v135, v186
	v_add_f32_e32 v1, v1, v3
	v_mul_f32_e32 v3, v147, v174
	v_add_f32_e32 v2, v2, v153
	v_fma_f32 v4, v144, v175, -v4
	v_mul_f32_e32 v156, v146, v174
	v_add_f32_e32 v1, v1, v132
	v_fmac_f32_e32 v157, v145, v175
	v_add_f32_e32 v2, v2, v168
	s_waitcnt lgkmcnt(1)
	v_mul_f32_e32 v132, v6, v198
	s_waitcnt vmcnt(2)
	v_fma_f32 v3, v146, v206, -v3
	v_add_f32_e32 v1, v1, v4
	v_mul_f32_e32 v169, v5, v198
	v_fmac_f32_e32 v156, v147, v206
	v_add_f32_e32 v2, v2, v157
	v_mul_f32_e32 v4, v8, v184
	v_fma_f32 v5, v5, v187, -v132
	v_add_f32_e32 v1, v1, v3
	v_mul_f32_e32 v152, v7, v184
	v_fmac_f32_e32 v169, v6, v187
	v_add_f32_e32 v2, v2, v156
	s_waitcnt lgkmcnt(0)
	v_mul_f32_e32 v3, v10, v185
	v_fma_f32 v4, v7, v177, -v4
	v_add_f32_e32 v1, v1, v5
	v_mul_f32_e32 v151, v9, v185
	v_fmac_f32_e32 v152, v8, v177
	v_add_f32_e32 v2, v2, v169
	v_mul_f32_e32 v5, v12, v199
	v_fma_f32 v3, v9, v176, -v3
	v_add_f32_e32 v1, v1, v4
	v_mul_f32_e32 v137, v11, v199
	v_fmac_f32_e32 v151, v10, v176
	v_add_f32_e32 v2, v2, v152
	s_waitcnt vmcnt(0)
	v_fma_f32 v4, v11, v178, -v5
	v_add_f32_e32 v1, v1, v3
	v_fmac_f32_e32 v137, v12, v178
	v_add_f32_e32 v2, v2, v151
	v_add_f32_e32 v1, v1, v4
	;; [unrolled: 1-line block ×3, first 2 shown]
	v_sub_f32_e32 v1, v207, v1
	v_sub_f32_e32 v2, v166, v2
	buffer_store_dword v1, off, s[0:3], 0 offset:80
	buffer_store_dword v2, off, s[0:3], 0 offset:84
	v_cmpx_lt_u32_e32 9, v0
	s_cbranch_execz .LBB122_349
; %bb.348:
	s_clause 0x1
	buffer_load_dword v1, off, s[0:3], 0 offset:72
	buffer_load_dword v2, off, s[0:3], 0 offset:76
	v_mov_b32_e32 v3, 0
	buffer_store_dword v3, off, s[0:3], 0 offset:72
	buffer_store_dword v3, off, s[0:3], 0 offset:76
	s_waitcnt vmcnt(0)
	ds_write_b64 v131, v[1:2]
.LBB122_349:
	s_or_b32 exec_lo, exec_lo, s4
	s_waitcnt lgkmcnt(0)
	s_waitcnt_vscnt null, 0x0
	s_barrier
	buffer_gl0_inv
	s_clause 0x33
	buffer_load_dword v11, off, s[0:3], 0 offset:84
	buffer_load_dword v12, off, s[0:3], 0 offset:92
	;; [unrolled: 1-line block ×52, first 2 shown]
	v_mov_b32_e32 v9, 0
	ds_read_b128 v[5:8], v9 offset:560
	ds_read_b128 v[1:4], v9 offset:576
	;; [unrolled: 1-line block ×3, first 2 shown]
	s_clause 0x2
	buffer_load_dword v181, off, s[0:3], 0 offset:276
	buffer_load_dword v182, off, s[0:3], 0 offset:284
	;; [unrolled: 1-line block ×3, first 2 shown]
	ds_read_b128 v[188:191], v9 offset:608
	s_mov_b32 s4, exec_lo
	s_waitcnt vmcnt(54) lgkmcnt(3)
	v_mul_f32_e32 v192, v5, v11
	s_waitcnt vmcnt(53)
	v_mul_f32_e32 v193, v7, v12
	v_mul_f32_e32 v11, v6, v11
	;; [unrolled: 1-line block ×3, first 2 shown]
	s_waitcnt vmcnt(50)
	v_fmac_f32_e32 v192, v6, v137
	v_fmac_f32_e32 v193, v8, v135
	v_fma_f32 v11, v5, v137, -v11
	v_fma_f32 v12, v7, v135, -v12
	ds_read_b128 v[5:8], v9 offset:624
	s_waitcnt vmcnt(49) lgkmcnt(3)
	v_mul_f32_e32 v194, v1, v132
	s_waitcnt vmcnt(48)
	v_mul_f32_e32 v195, v3, v133
	v_mul_f32_e32 v132, v2, v132
	;; [unrolled: 1-line block ×3, first 2 shown]
	s_waitcnt vmcnt(47) lgkmcnt(2)
	v_mul_f32_e32 v196, v184, v136
	v_mul_f32_e32 v135, v185, v136
	v_fmac_f32_e32 v194, v2, v10
	v_fma_f32 v10, v1, v10, -v132
	s_waitcnt vmcnt(46)
	v_mul_f32_e32 v197, v186, v134
	v_mul_f32_e32 v132, v187, v134
	s_waitcnt vmcnt(42)
	v_fmac_f32_e32 v195, v4, v143
	v_fma_f32 v143, v3, v143, -v133
	ds_read_b128 v[1:4], v9 offset:640
	v_fmac_f32_e32 v196, v185, v142
	v_fma_f32 v142, v184, v142, -v135
	v_fmac_f32_e32 v197, v187, v140
	v_fma_f32 v140, v186, v140, -v132
	ds_read_b128 v[132:135], v9 offset:656
	s_waitcnt vmcnt(41) lgkmcnt(3)
	v_mul_f32_e32 v184, v188, v141
	v_mul_f32_e32 v136, v189, v141
	s_waitcnt vmcnt(40)
	v_mul_f32_e32 v141, v190, v139
	v_mul_f32_e32 v137, v191, v139
	s_waitcnt vmcnt(39) lgkmcnt(2)
	v_mul_f32_e32 v185, v5, v144
	v_fmac_f32_e32 v184, v189, v138
	v_fma_f32 v186, v188, v138, -v136
	s_waitcnt vmcnt(38)
	v_mul_f32_e32 v187, v7, v145
	v_mul_f32_e32 v144, v6, v144
	;; [unrolled: 1-line block ×3, first 2 shown]
	s_waitcnt vmcnt(34)
	v_fmac_f32_e32 v141, v191, v151
	v_fma_f32 v151, v190, v151, -v137
	ds_read_b128 v[136:139], v9 offset:672
	v_fmac_f32_e32 v185, v6, v150
	v_fmac_f32_e32 v187, v8, v148
	v_fma_f32 v144, v5, v150, -v144
	v_fma_f32 v145, v7, v148, -v145
	ds_read_b128 v[5:8], v9 offset:688
	s_waitcnt vmcnt(33) lgkmcnt(3)
	v_mul_f32_e32 v148, v1, v149
	v_mul_f32_e32 v149, v2, v149
	s_waitcnt vmcnt(32)
	v_mul_f32_e32 v150, v3, v147
	v_mul_f32_e32 v147, v4, v147
	s_waitcnt vmcnt(31) lgkmcnt(2)
	v_mul_f32_e32 v188, v132, v152
	v_fmac_f32_e32 v148, v2, v146
	v_fma_f32 v146, v1, v146, -v149
	s_waitcnt vmcnt(30)
	v_mul_f32_e32 v149, v134, v153
	v_mul_f32_e32 v153, v135, v153
	;; [unrolled: 1-line block ×3, first 2 shown]
	s_waitcnt vmcnt(26)
	v_fmac_f32_e32 v150, v4, v160
	v_fma_f32 v147, v3, v160, -v147
	v_fmac_f32_e32 v149, v135, v157
	v_fma_f32 v153, v134, v157, -v153
	s_waitcnt vmcnt(25) lgkmcnt(1)
	v_mul_f32_e32 v157, v136, v158
	v_mul_f32_e32 v158, v137, v158
	ds_read_b128 v[1:4], v9 offset:704
	v_fmac_f32_e32 v188, v133, v159
	v_fma_f32 v152, v132, v159, -v152
	s_waitcnt vmcnt(24)
	v_mul_f32_e32 v159, v138, v156
	v_mul_f32_e32 v156, v139, v156
	s_waitcnt vmcnt(23) lgkmcnt(1)
	v_mul_f32_e32 v160, v5, v161
	v_fmac_f32_e32 v157, v137, v154
	v_fma_f32 v136, v136, v154, -v158
	v_mul_f32_e32 v154, v6, v161
	ds_read_b128 v[132:135], v9 offset:720
	s_waitcnt vmcnt(22)
	v_mul_f32_e32 v137, v7, v163
	v_mul_f32_e32 v158, v8, v163
	s_waitcnt vmcnt(18)
	v_fmac_f32_e32 v159, v139, v171
	v_fma_f32 v138, v138, v171, -v156
	v_fmac_f32_e32 v160, v6, v170
	v_fma_f32 v5, v5, v170, -v154
	s_clause 0x5
	buffer_load_dword v139, off, s[0:3], 0 offset:300
	buffer_load_dword v154, off, s[0:3], 0 offset:304
	;; [unrolled: 1-line block ×6, first 2 shown]
	v_fmac_f32_e32 v137, v8, v169
	v_fma_f32 v6, v7, v169, -v158
	s_clause 0x1
	buffer_load_dword v158, off, s[0:3], 0 offset:316
	buffer_load_dword v169, off, s[0:3], 0 offset:324
	s_waitcnt vmcnt(25) lgkmcnt(1)
	v_mul_f32_e32 v171, v1, v167
	s_waitcnt vmcnt(24)
	v_mul_f32_e32 v189, v3, v168
	v_mul_f32_e32 v7, v2, v167
	;; [unrolled: 1-line block ×3, first 2 shown]
	buffer_load_dword v167, off, s[0:3], 0 offset:332
	v_fmac_f32_e32 v171, v2, v165
	s_waitcnt vmcnt(21)
	v_fmac_f32_e32 v189, v4, v179
	v_fma_f32 v165, v1, v165, -v7
	v_fma_f32 v168, v3, v179, -v8
	ds_read_b128 v[1:4], v9 offset:736
	s_waitcnt vmcnt(20) lgkmcnt(1)
	v_mul_f32_e32 v179, v132, v177
	s_waitcnt vmcnt(19)
	v_mul_f32_e32 v190, v134, v178
	v_mul_f32_e32 v7, v133, v177
	;; [unrolled: 1-line block ×3, first 2 shown]
	s_clause 0x4
	buffer_load_dword v177, off, s[0:3], 0 offset:352
	buffer_load_dword v178, off, s[0:3], 0 offset:344
	;; [unrolled: 1-line block ×5, first 2 shown]
	v_fmac_f32_e32 v179, v133, v176
	v_fmac_f32_e32 v190, v135, v175
	v_fma_f32 v176, v132, v176, -v7
	v_add_f32_e32 v7, 0, v192
	v_fma_f32 v175, v134, v175, -v8
	buffer_load_dword v192, off, s[0:3], 0 offset:348
	v_add_f32_e32 v8, 0, v11
	v_add_f32_e32 v7, v7, v193
	buffer_load_dword v193, off, s[0:3], 0 offset:356
	v_add_f32_e32 v8, v8, v12
	v_add_f32_e32 v7, v7, v194
	s_waitcnt vmcnt(25) lgkmcnt(0)
	v_mul_f32_e32 v11, v1, v174
	v_mul_f32_e32 v12, v2, v174
	s_waitcnt vmcnt(24)
	v_mul_f32_e32 v174, v3, v173
	v_mul_f32_e32 v132, v4, v173
	v_fmac_f32_e32 v11, v2, v172
	v_add_f32_e32 v2, v7, v195
	v_fma_f32 v12, v1, v172, -v12
	s_clause 0x2
	buffer_load_dword v172, off, s[0:3], 0 offset:364
	buffer_load_dword v173, off, s[0:3], 0 offset:372
	buffer_load_dword v194, off, s[0:3], 0 offset:380
	v_add_f32_e32 v1, v8, v10
	buffer_load_dword v195, off, s[0:3], 0 offset:396
	v_add_f32_e32 v2, v2, v196
	s_waitcnt vmcnt(23)
	v_fmac_f32_e32 v174, v4, v180
	v_fma_f32 v10, v3, v180, -v132
	s_clause 0x5
	buffer_load_dword v180, off, s[0:3], 0 offset:388
	buffer_load_dword v196, off, s[0:3], 0 offset:384
	;; [unrolled: 1-line block ×6, first 2 shown]
	v_add_f32_e32 v1, v1, v143
	v_add_f32_e32 v2, v2, v197
	s_clause 0x1
	buffer_load_dword v197, off, s[0:3], 0 offset:412
	buffer_load_dword v204, off, s[0:3], 0 offset:420
	v_add_f32_e32 v1, v1, v142
	v_add_f32_e32 v2, v2, v184
	;; [unrolled: 1-line block ×6, first 2 shown]
	s_clause 0x5
	buffer_load_dword v184, off, s[0:3], 0 offset:428
	buffer_load_dword v186, off, s[0:3], 0 offset:436
	;; [unrolled: 1-line block ×6, first 2 shown]
	v_add_f32_e32 v2, v2, v187
	s_clause 0x3
	buffer_load_dword v187, off, s[0:3], 0 offset:416
	buffer_load_dword v208, off, s[0:3], 0 offset:408
	;; [unrolled: 1-line block ×4, first 2 shown]
	v_add_f32_e32 v1, v1, v151
	v_add_f32_e32 v2, v2, v148
	;; [unrolled: 1-line block ×6, first 2 shown]
	s_clause 0x3
	buffer_load_dword v188, off, s[0:3], 0 offset:448
	buffer_load_dword v211, off, s[0:3], 0 offset:440
	;; [unrolled: 1-line block ×4, first 2 shown]
	v_add_f32_e32 v1, v1, v146
	v_add_f32_e32 v2, v2, v149
	;; [unrolled: 1-line block ×5, first 2 shown]
	s_clause 0x1
	buffer_load_dword v152, off, s[0:3], 0 offset:464
	buffer_load_dword v214, off, s[0:3], 0 offset:456
	v_add_f32_e32 v7, v2, v159
	v_add_f32_e32 v1, v1, v153
	buffer_load_dword v153, off, s[0:3], 0 offset:72
	v_add_f32_e32 v7, v7, v160
	v_add_f32_e32 v1, v1, v136
	;; [unrolled: 1-line block ×4, first 2 shown]
	ds_read_b128 v[1:4], v9 offset:752
	v_add_f32_e32 v132, v132, v171
	v_add_f32_e32 v5, v8, v5
	;; [unrolled: 1-line block ×4, first 2 shown]
	ds_read_b128 v[5:8], v9 offset:768
	v_add_f32_e32 v136, v136, v179
	v_add_f32_e32 v133, v133, v165
	;; [unrolled: 1-line block ×4, first 2 shown]
	s_waitcnt vmcnt(47) lgkmcnt(1)
	v_mul_f32_e32 v140, v1, v181
	s_waitcnt vmcnt(46)
	v_mul_f32_e32 v144, v3, v182
	v_mul_f32_e32 v134, v2, v181
	;; [unrolled: 1-line block ×3, first 2 shown]
	v_add_f32_e32 v137, v137, v176
	v_fmac_f32_e32 v140, v2, v166
	v_fmac_f32_e32 v144, v4, v164
	v_fma_f32 v141, v1, v166, -v134
	v_fma_f32 v145, v3, v164, -v135
	v_add_f32_e32 v143, v137, v175
	ds_read_b128 v[1:4], v9 offset:784
	ds_read_b128 v[132:135], v9 offset:800
	s_waitcnt lgkmcnt(2)
	v_mul_f32_e32 v148, v5, v162
	v_mul_f32_e32 v138, v6, v162
	v_add_f32_e32 v12, v143, v12
	v_add_f32_e32 v11, v142, v11
	v_fmac_f32_e32 v148, v6, v155
	v_fma_f32 v150, v5, v155, -v138
	v_add_f32_e32 v10, v12, v10
	v_add_f32_e32 v11, v11, v174
	;; [unrolled: 1-line block ×8, first 2 shown]
	s_waitcnt vmcnt(44)
	v_mul_f32_e32 v149, v7, v139
	v_mul_f32_e32 v139, v8, v139
	s_waitcnt vmcnt(42) lgkmcnt(1)
	v_mul_f32_e32 v155, v1, v156
	v_mul_f32_e32 v142, v2, v156
	s_waitcnt vmcnt(39)
	v_fmac_f32_e32 v149, v8, v170
	v_fma_f32 v151, v7, v170, -v139
	ds_read_b128 v[5:8], v9 offset:816
	ds_read_b128 v[136:139], v9 offset:832
	s_waitcnt vmcnt(37) lgkmcnt(2)
	v_mul_f32_e32 v157, v132, v169
	v_mul_f32_e32 v146, v133, v169
	;; [unrolled: 1-line block ×3, first 2 shown]
	v_fmac_f32_e32 v155, v2, v154
	v_fma_f32 v154, v1, v154, -v142
	v_fmac_f32_e32 v157, v133, v161
	v_fma_f32 v159, v132, v161, -v146
	v_add_f32_e32 v10, v10, v151
	v_mul_f32_e32 v156, v3, v158
	v_fma_f32 v158, v3, v163, -v143
	s_waitcnt vmcnt(36)
	v_mul_f32_e32 v147, v135, v167
	v_mul_f32_e32 v12, v134, v167
	v_add_f32_e32 v154, v10, v154
	v_fmac_f32_e32 v156, v4, v163
	ds_read_b128 v[1:4], v9 offset:848
	ds_read_b128 v[140:143], v9 offset:864
	s_waitcnt vmcnt(32)
	v_fma_f32 v160, v134, v198, -v147
	v_fmac_f32_e32 v12, v135, v198
	v_add_f32_e32 v154, v154, v158
	s_waitcnt vmcnt(31) lgkmcnt(3)
	v_mul_f32_e32 v161, v5, v199
	v_mul_f32_e32 v148, v6, v199
	ds_read_b128 v[132:135], v9 offset:880
	ds_read_b128 v[144:147], v9 offset:896
	s_waitcnt vmcnt(30)
	v_mul_f32_e32 v150, v8, v192
	v_add_f32_e32 v154, v154, v159
	v_fmac_f32_e32 v161, v6, v191
	v_add_f32_e32 v6, v11, v149
	v_fma_f32 v163, v5, v191, -v148
	v_mul_f32_e32 v162, v7, v192
	v_add_f32_e32 v154, v154, v160
	v_fma_f32 v164, v7, v178, -v150
	v_add_f32_e32 v155, v6, v155
	s_waitcnt vmcnt(29) lgkmcnt(4)
	v_mul_f32_e32 v165, v137, v193
	v_fmac_f32_e32 v162, v8, v178
	v_add_f32_e32 v154, v154, v163
	ds_read_b128 v[5:8], v9 offset:912
	ds_read_b128 v[148:151], v9 offset:928
	ds_read_b64 v[10:11], v9 offset:944
	v_add_f32_e32 v155, v155, v156
	v_mul_f32_e32 v156, v136, v193
	s_waitcnt vmcnt(28)
	v_mul_f32_e32 v166, v139, v172
	v_fma_f32 v136, v136, v177, -v165
	v_add_f32_e32 v154, v154, v164
	v_add_f32_e32 v155, v155, v157
	v_mul_f32_e32 v158, v138, v172
	v_fmac_f32_e32 v156, v137, v177
	s_waitcnt vmcnt(27) lgkmcnt(6)
	v_mul_f32_e32 v157, v1, v173
	v_mul_f32_e32 v165, v2, v173
	v_add_f32_e32 v12, v155, v12
	s_waitcnt vmcnt(20)
	v_fma_f32 v138, v138, v202, -v166
	v_add_f32_e32 v136, v154, v136
	v_fmac_f32_e32 v158, v139, v202
	v_fmac_f32_e32 v157, v2, v201
	v_add_f32_e32 v12, v12, v161
	v_fma_f32 v1, v1, v201, -v165
	v_add_f32_e32 v2, v136, v138
	v_mul_f32_e32 v159, v3, v194
	s_waitcnt lgkmcnt(5)
	v_mul_f32_e32 v136, v141, v180
	v_add_f32_e32 v12, v12, v162
	v_mul_f32_e32 v162, v4, v194
	v_add_f32_e32 v1, v2, v1
	v_mul_f32_e32 v137, v140, v180
	v_fmac_f32_e32 v159, v4, v200
	v_add_f32_e32 v12, v12, v156
	v_fma_f32 v3, v3, v200, -v162
	v_mul_f32_e32 v4, v143, v195
	v_mul_f32_e32 v155, v142, v195
	v_fmac_f32_e32 v137, v141, v196
	v_add_f32_e32 v12, v12, v158
	v_add_f32_e32 v1, v1, v3
	s_waitcnt vmcnt(19) lgkmcnt(4)
	v_mul_f32_e32 v3, v133, v203
	s_waitcnt vmcnt(7)
	v_fma_f32 v4, v142, v210, -v4
	v_mul_f32_e32 v160, v132, v203
	v_add_f32_e32 v2, v12, v157
	v_fma_f32 v12, v140, v196, -v136
	v_fmac_f32_e32 v155, v143, v210
	v_fma_f32 v3, v132, v209, -v3
	v_mul_f32_e32 v139, v134, v197
	v_add_f32_e32 v2, v2, v159
	v_add_f32_e32 v1, v1, v12
	v_mul_f32_e32 v12, v135, v197
	v_fmac_f32_e32 v160, v133, v209
	s_waitcnt lgkmcnt(3)
	v_mul_f32_e32 v166, v144, v204
	v_add_f32_e32 v2, v2, v137
	v_add_f32_e32 v1, v1, v4
	v_mul_f32_e32 v4, v145, v204
	v_fma_f32 v12, v134, v208, -v12
	v_fmac_f32_e32 v139, v135, v208
	v_add_f32_e32 v2, v2, v155
	v_add_f32_e32 v1, v1, v3
	v_mul_f32_e32 v3, v147, v184
	v_fma_f32 v4, v144, v187, -v4
	v_mul_f32_e32 v161, v146, v184
	v_add_f32_e32 v2, v2, v160
	v_add_f32_e32 v1, v1, v12
	v_fmac_f32_e32 v166, v145, v187
	s_waitcnt lgkmcnt(2)
	v_mul_f32_e32 v12, v6, v186
	s_waitcnt vmcnt(3)
	v_fma_f32 v3, v146, v213, -v3
	v_add_f32_e32 v2, v2, v139
	v_add_f32_e32 v1, v1, v4
	v_mul_f32_e32 v163, v5, v186
	v_fmac_f32_e32 v161, v147, v213
	v_mul_f32_e32 v4, v8, v205
	v_add_f32_e32 v2, v2, v166
	v_fma_f32 v5, v5, v212, -v12
	v_add_f32_e32 v1, v1, v3
	v_mul_f32_e32 v167, v7, v205
	v_fmac_f32_e32 v163, v6, v212
	v_add_f32_e32 v2, v2, v161
	s_waitcnt lgkmcnt(1)
	v_mul_f32_e32 v3, v149, v206
	v_fma_f32 v4, v7, v211, -v4
	v_add_f32_e32 v1, v1, v5
	v_mul_f32_e32 v164, v148, v206
	v_fmac_f32_e32 v167, v8, v211
	v_add_f32_e32 v2, v2, v163
	v_mul_f32_e32 v5, v151, v207
	v_fma_f32 v3, v148, v188, -v3
	v_add_f32_e32 v1, v1, v4
	v_mul_f32_e32 v168, v150, v207
	v_fmac_f32_e32 v164, v149, v188
	v_add_f32_e32 v2, v2, v167
	s_waitcnt lgkmcnt(0)
	v_mul_f32_e32 v4, v11, v185
	s_waitcnt vmcnt(1)
	v_fma_f32 v5, v150, v214, -v5
	v_add_f32_e32 v1, v1, v3
	v_mul_f32_e32 v154, v10, v185
	v_fmac_f32_e32 v168, v151, v214
	v_add_f32_e32 v2, v2, v164
	v_fma_f32 v3, v10, v152, -v4
	v_add_f32_e32 v1, v1, v5
	v_fmac_f32_e32 v154, v11, v152
	v_add_f32_e32 v2, v2, v168
	v_add_f32_e32 v1, v1, v3
	v_add_f32_e32 v2, v2, v154
	s_waitcnt vmcnt(0)
	v_sub_f32_e32 v1, v153, v1
	v_sub_f32_e32 v2, v183, v2
	buffer_store_dword v1, off, s[0:3], 0 offset:72
	buffer_store_dword v2, off, s[0:3], 0 offset:76
	v_cmpx_lt_u32_e32 8, v0
	s_cbranch_execz .LBB122_351
; %bb.350:
	s_clause 0x1
	buffer_load_dword v1, off, s[0:3], 0 offset:64
	buffer_load_dword v2, off, s[0:3], 0 offset:68
	buffer_store_dword v9, off, s[0:3], 0 offset:64
	buffer_store_dword v9, off, s[0:3], 0 offset:68
	s_waitcnt vmcnt(0)
	ds_write_b64 v131, v[1:2]
.LBB122_351:
	s_or_b32 exec_lo, exec_lo, s4
	s_waitcnt lgkmcnt(0)
	s_waitcnt_vscnt null, 0x0
	s_barrier
	buffer_gl0_inv
	s_clause 0x35
	buffer_load_dword v1, off, s[0:3], 0 offset:76
	buffer_load_dword v3, off, s[0:3], 0 offset:84
	;; [unrolled: 1-line block ×54, first 2 shown]
	ds_read2_b64 v[176:179], v9 offset0:69 offset1:70
	ds_read2_b64 v[180:183], v9 offset0:71 offset1:72
	;; [unrolled: 1-line block ×4, first 2 shown]
	buffer_load_dword v170, off, s[0:3], 0 offset:68
	s_mov_b32 s4, exec_lo
	s_waitcnt vmcnt(54) lgkmcnt(3)
	v_mul_f32_e32 v192, v176, v1
	v_mul_f32_e32 v1, v177, v1
	s_waitcnt vmcnt(53)
	v_mul_f32_e32 v193, v178, v3
	v_mul_f32_e32 v3, v179, v3
	s_waitcnt vmcnt(52) lgkmcnt(2)
	v_mul_f32_e32 v194, v180, v5
	v_mul_f32_e32 v5, v181, v5
	s_waitcnt vmcnt(49)
	v_fma_f32 v195, v176, v7, -v1
	s_waitcnt vmcnt(48)
	v_mul_f32_e32 v1, v183, v6
	v_fmac_f32_e32 v192, v177, v7
	v_fmac_f32_e32 v193, v179, v4
	v_fma_f32 v197, v178, v4, -v3
	v_fmac_f32_e32 v194, v181, v2
	v_fma_f32 v180, v180, v2, -v5
	s_waitcnt vmcnt(44)
	v_fma_f32 v181, v182, v135, -v1
	ds_read2_b64 v[1:4], v9 offset0:77 offset1:78
	ds_read2_b64 v[176:179], v9 offset0:79 offset1:80
	v_mul_f32_e32 v196, v182, v6
	s_waitcnt vmcnt(43) lgkmcnt(3)
	v_mul_f32_e32 v182, v184, v134
	v_mul_f32_e32 v5, v185, v134
	s_waitcnt vmcnt(42)
	v_mul_f32_e32 v6, v187, v133
	s_waitcnt vmcnt(41) lgkmcnt(2)
	v_mul_f32_e32 v198, v188, v12
	v_fmac_f32_e32 v196, v183, v135
	v_mul_f32_e32 v183, v186, v133
	v_fmac_f32_e32 v182, v185, v11
	v_fma_f32 v11, v184, v11, -v5
	s_waitcnt vmcnt(40)
	v_mul_f32_e32 v184, v190, v132
	v_mul_f32_e32 v5, v189, v12
	;; [unrolled: 1-line block ×3, first 2 shown]
	v_fmac_f32_e32 v183, v187, v10
	v_fma_f32 v10, v186, v10, -v6
	v_fmac_f32_e32 v198, v189, v8
	s_waitcnt vmcnt(36)
	v_fmac_f32_e32 v184, v191, v143
	v_fma_f32 v12, v188, v8, -v5
	v_fma_f32 v143, v190, v143, -v7
	ds_read2_b64 v[5:8], v9 offset0:81 offset1:82
	ds_read2_b64 v[132:135], v9 offset0:83 offset1:84
	s_waitcnt vmcnt(35) lgkmcnt(3)
	v_mul_f32_e32 v185, v1, v142
	v_mul_f32_e32 v142, v2, v142
	s_waitcnt vmcnt(34)
	v_mul_f32_e32 v186, v3, v141
	v_mul_f32_e32 v141, v4, v141
	s_waitcnt vmcnt(33) lgkmcnt(2)
	v_mul_f32_e32 v187, v176, v139
	v_fmac_f32_e32 v185, v2, v138
	v_fma_f32 v142, v1, v138, -v142
	s_waitcnt vmcnt(32)
	v_mul_f32_e32 v188, v178, v140
	v_mul_f32_e32 v1, v177, v139
	;; [unrolled: 1-line block ×3, first 2 shown]
	v_fmac_f32_e32 v186, v4, v137
	v_fma_f32 v140, v3, v137, -v141
	v_fmac_f32_e32 v187, v177, v136
	s_waitcnt vmcnt(28)
	v_fmac_f32_e32 v188, v179, v150
	v_fma_f32 v141, v176, v136, -v1
	v_fma_f32 v150, v178, v150, -v2
	ds_read2_b64 v[1:4], v9 offset0:85 offset1:86
	ds_read2_b64 v[136:139], v9 offset0:87 offset1:88
	s_waitcnt vmcnt(27) lgkmcnt(3)
	v_mul_f32_e32 v176, v5, v149
	v_mul_f32_e32 v149, v6, v149
	s_waitcnt vmcnt(26)
	v_mul_f32_e32 v177, v7, v148
	v_mul_f32_e32 v148, v8, v148
	s_waitcnt vmcnt(25) lgkmcnt(2)
	v_mul_f32_e32 v178, v132, v147
	v_mul_f32_e32 v147, v133, v147
	v_fmac_f32_e32 v176, v6, v146
	v_fma_f32 v146, v5, v146, -v149
	s_waitcnt vmcnt(24)
	v_mul_f32_e32 v149, v134, v151
	v_mul_f32_e32 v5, v135, v151
	v_fmac_f32_e32 v177, v8, v145
	v_fma_f32 v145, v7, v145, -v148
	v_fmac_f32_e32 v178, v133, v144
	v_fma_f32 v144, v132, v144, -v147
	s_waitcnt vmcnt(20)
	v_fmac_f32_e32 v149, v135, v158
	v_fma_f32 v147, v134, v158, -v5
	ds_read2_b64 v[5:8], v9 offset0:89 offset1:90
	ds_read2_b64 v[132:135], v9 offset0:91 offset1:92
	s_waitcnt vmcnt(19) lgkmcnt(3)
	v_mul_f32_e32 v151, v2, v157
	v_mul_f32_e32 v148, v1, v157
	s_waitcnt vmcnt(18)
	v_mul_f32_e32 v157, v3, v156
	v_mul_f32_e32 v156, v4, v156
	s_waitcnt vmcnt(17) lgkmcnt(2)
	v_mul_f32_e32 v158, v136, v155
	v_fma_f32 v151, v1, v154, -v151
	s_waitcnt vmcnt(16)
	v_mul_f32_e32 v1, v139, v159
	v_mul_f32_e32 v155, v137, v155
	v_fmac_f32_e32 v148, v2, v154
	v_mul_f32_e32 v154, v138, v159
	v_fmac_f32_e32 v157, v4, v153
	v_fma_f32 v153, v3, v153, -v156
	s_clause 0x4
	buffer_load_dword v156, off, s[0:3], 0 offset:292
	buffer_load_dword v159, off, s[0:3], 0 offset:312
	;; [unrolled: 1-line block ×5, first 2 shown]
	v_fmac_f32_e32 v158, v137, v152
	s_waitcnt vmcnt(17)
	v_fma_f32 v137, v138, v167, -v1
	ds_read2_b64 v[1:4], v9 offset0:93 offset1:94
	v_fmac_f32_e32 v154, v139, v167
	v_fma_f32 v136, v136, v152, -v155
	s_waitcnt vmcnt(16) lgkmcnt(2)
	v_mul_f32_e32 v138, v5, v165
	v_mul_f32_e32 v139, v6, v165
	s_waitcnt vmcnt(15)
	v_mul_f32_e32 v152, v7, v164
	v_mul_f32_e32 v155, v8, v164
	buffer_load_dword v164, off, s[0:3], 0 offset:308
	v_fmac_f32_e32 v138, v6, v163
	v_fma_f32 v139, v5, v163, -v139
	buffer_load_dword v163, off, s[0:3], 0 offset:300
	v_fmac_f32_e32 v152, v8, v161
	v_fma_f32 v155, v7, v161, -v155
	s_waitcnt vmcnt(16) lgkmcnt(1)
	v_mul_f32_e32 v161, v132, v162
	v_mul_f32_e32 v5, v133, v162
	s_waitcnt vmcnt(15)
	v_mul_f32_e32 v6, v135, v166
	v_mul_f32_e32 v162, v134, v166
	v_fmac_f32_e32 v161, v133, v160
	v_fma_f32 v160, v132, v160, -v5
	s_waitcnt vmcnt(10)
	v_fma_f32 v165, v134, v175, -v6
	ds_read2_b64 v[5:8], v9 offset0:95 offset1:96
	s_waitcnt vmcnt(9) lgkmcnt(1)
	v_mul_f32_e32 v166, v1, v174
	v_mul_f32_e32 v132, v2, v174
	s_waitcnt vmcnt(8)
	v_mul_f32_e32 v191, v3, v173
	v_fmac_f32_e32 v162, v135, v175
	s_clause 0x2
	buffer_load_dword v167, off, s[0:3], 0 offset:316
	buffer_load_dword v174, off, s[0:3], 0 offset:324
	;; [unrolled: 1-line block ×3, first 2 shown]
	v_fmac_f32_e32 v166, v2, v172
	v_fma_f32 v172, v1, v172, -v132
	v_mul_f32_e32 v1, v4, v173
	v_fmac_f32_e32 v191, v4, v171
	v_add_f32_e32 v2, 0, v195
	s_clause 0x3
	buffer_load_dword v173, off, s[0:3], 0 offset:344
	buffer_load_dword v199, off, s[0:3], 0 offset:336
	;; [unrolled: 1-line block ×4, first 2 shown]
	v_fma_f32 v171, v3, v171, -v1
	v_add_f32_e32 v1, 0, v192
	v_add_f32_e32 v2, v2, v197
	buffer_load_dword v192, off, s[0:3], 0 offset:340
	v_add_f32_e32 v1, v1, v193
	v_add_f32_e32 v2, v2, v180
	s_waitcnt lgkmcnt(0)
	v_mul_f32_e32 v3, v6, v169
	v_add_f32_e32 v1, v1, v194
	s_clause 0x1
	buffer_load_dword v193, off, s[0:3], 0 offset:348
	buffer_load_dword v194, off, s[0:3], 0 offset:356
	v_add_f32_e32 v2, v2, v181
	v_add_f32_e32 v1, v1, v196
	;; [unrolled: 1-line block ×3, first 2 shown]
	v_fma_f32 v11, v5, v168, -v3
	v_add_f32_e32 v1, v1, v182
	s_clause 0x5
	buffer_load_dword v180, off, s[0:3], 0 offset:376
	buffer_load_dword v181, off, s[0:3], 0 offset:368
	;; [unrolled: 1-line block ×6, first 2 shown]
	v_add_f32_e32 v2, v2, v10
	v_add_f32_e32 v1, v1, v183
	buffer_load_dword v183, off, s[0:3], 0 offset:364
	v_mul_f32_e32 v10, v5, v169
	v_add_f32_e32 v2, v2, v12
	v_add_f32_e32 v1, v1, v198
	v_fmac_f32_e32 v10, v6, v168
	v_add_f32_e32 v2, v2, v143
	v_add_f32_e32 v1, v1, v184
	s_clause 0x2
	buffer_load_dword v184, off, s[0:3], 0 offset:388
	buffer_load_dword v198, off, s[0:3], 0 offset:396
	buffer_load_dword v202, off, s[0:3], 0 offset:404
	v_add_f32_e32 v2, v2, v142
	v_add_f32_e32 v1, v1, v185
	s_clause 0x2
	buffer_load_dword v185, off, s[0:3], 0 offset:412
	buffer_load_dword v203, off, s[0:3], 0 offset:420
	buffer_load_dword v204, off, s[0:3], 0 offset:428
	;; [unrolled: 6-line block ×3, first 2 shown]
	buffer_load_dword v207, off, s[0:3], 0 offset:468
	v_add_f32_e32 v2, v2, v141
	v_add_f32_e32 v1, v1, v187
	buffer_load_dword v187, off, s[0:3], 0 offset:460
	v_add_f32_e32 v2, v2, v150
	v_add_f32_e32 v1, v1, v188
	;; [unrolled: 1-line block ×4, first 2 shown]
	s_clause 0x3
	buffer_load_dword v176, off, s[0:3], 0 offset:408
	buffer_load_dword v188, off, s[0:3], 0 offset:400
	;; [unrolled: 1-line block ×4, first 2 shown]
	v_add_f32_e32 v2, v2, v145
	v_add_f32_e32 v1, v1, v177
	;; [unrolled: 1-line block ×4, first 2 shown]
	s_clause 0x7
	buffer_load_dword v177, off, s[0:3], 0 offset:440
	buffer_load_dword v178, off, s[0:3], 0 offset:432
	;; [unrolled: 1-line block ×8, first 2 shown]
	v_add_f32_e32 v2, v2, v147
	v_add_f32_e32 v1, v1, v149
	v_add_f32_e32 v2, v2, v151
	v_add_f32_e32 v1, v1, v148
	v_add_f32_e32 v2, v2, v153
	v_add_f32_e32 v1, v1, v157
	v_add_f32_e32 v5, v2, v136
	v_add_f32_e32 v6, v1, v158
	ds_read2_b64 v[1:4], v9 offset0:97 offset1:98
	v_add_f32_e32 v12, v5, v137
	v_add_f32_e32 v132, v6, v154
	;; [unrolled: 1-line block ×4, first 2 shown]
	ds_read2_b64 v[132:135], v9 offset0:101 offset1:102
	v_add_f32_e32 v12, v12, v155
	v_add_f32_e32 v136, v136, v152
	;; [unrolled: 1-line block ×3, first 2 shown]
	s_waitcnt vmcnt(46)
	v_mul_f32_e32 v148, v7, v156
	v_mul_f32_e32 v5, v8, v156
	s_waitcnt vmcnt(42)
	v_fmac_f32_e32 v148, v8, v190
	v_fma_f32 v149, v7, v190, -v5
	ds_read2_b64 v[5:8], v9 offset0:99 offset1:100
	s_waitcnt vmcnt(41) lgkmcnt(2)
	v_mul_f32_e32 v140, v4, v164
	s_waitcnt vmcnt(40)
	v_mul_f32_e32 v137, v2, v163
	v_mul_f32_e32 v150, v1, v163
	v_fma_f32 v155, v3, v179, -v140
	v_fma_f32 v151, v1, v189, -v137
	v_add_f32_e32 v1, v136, v161
	v_fmac_f32_e32 v150, v2, v189
	v_add_f32_e32 v2, v12, v165
	ds_read2_b64 v[136:139], v9 offset0:103 offset1:104
	v_mul_f32_e32 v12, v3, v164
	v_add_f32_e32 v1, v1, v162
	v_add_f32_e32 v2, v2, v172
	s_waitcnt vmcnt(39) lgkmcnt(1)
	v_mul_f32_e32 v141, v6, v167
	v_mul_f32_e32 v152, v5, v167
	v_add_f32_e32 v1, v1, v166
	s_waitcnt vmcnt(37)
	v_mul_f32_e32 v154, v132, v175
	v_fmac_f32_e32 v12, v4, v179
	v_fma_f32 v156, v5, v159, -v141
	v_add_f32_e32 v5, v2, v171
	v_fmac_f32_e32 v152, v6, v159
	v_add_f32_e32 v6, v1, v191
	v_mul_f32_e32 v144, v8, v174
	v_mul_f32_e32 v145, v133, v175
	v_add_f32_e32 v11, v5, v11
	s_waitcnt vmcnt(34)
	v_fmac_f32_e32 v154, v133, v200
	v_add_f32_e32 v10, v6, v10
	v_mul_f32_e32 v153, v7, v174
	s_waitcnt vmcnt(33)
	v_fma_f32 v157, v7, v201, -v144
	v_add_f32_e32 v11, v11, v149
	ds_read2_b64 v[1:4], v9 offset0:105 offset1:106
	ds_read2_b64 v[140:143], v9 offset0:107 offset1:108
	v_add_f32_e32 v10, v10, v148
	v_fmac_f32_e32 v153, v8, v201
	v_fma_f32 v158, v132, v200, -v145
	s_waitcnt vmcnt(31) lgkmcnt(2)
	v_mul_f32_e32 v160, v136, v193
	v_add_f32_e32 v11, v11, v151
	s_waitcnt vmcnt(30)
	v_mul_f32_e32 v161, v138, v194
	v_add_f32_e32 v10, v10, v150
	v_mul_f32_e32 v133, v137, v193
	v_fmac_f32_e32 v160, v137, v173
	v_add_f32_e32 v137, v11, v155
	v_mul_f32_e32 v162, v139, v194
	v_mul_f32_e32 v132, v135, v192
	;; [unrolled: 1-line block ×3, first 2 shown]
	v_fma_f32 v136, v136, v173, -v133
	s_waitcnt vmcnt(26)
	v_fmac_f32_e32 v161, v139, v195
	v_add_f32_e32 v139, v10, v12
	v_add_f32_e32 v137, v137, v156
	v_fma_f32 v163, v134, v199, -v132
	v_fmac_f32_e32 v159, v135, v199
	v_fma_f32 v138, v138, v195, -v162
	v_add_f32_e32 v139, v139, v152
	v_add_f32_e32 v137, v137, v157
	s_waitcnt vmcnt(23) lgkmcnt(1)
	v_mul_f32_e32 v156, v2, v183
	ds_read2_b64 v[5:8], v9 offset0:109 offset1:110
	ds_read2_b64 v[144:147], v9 offset0:111 offset1:112
	v_mul_f32_e32 v155, v1, v183
	v_add_f32_e32 v139, v139, v153
	v_add_f32_e32 v137, v137, v158
	v_mul_f32_e32 v162, v4, v196
	v_fma_f32 v1, v1, v182, -v156
	v_mul_f32_e32 v152, v3, v196
	v_add_f32_e32 v139, v139, v154
	v_add_f32_e32 v137, v137, v163
	v_fmac_f32_e32 v155, v2, v182
	v_fma_f32 v3, v3, v181, -v162
	s_waitcnt lgkmcnt(2)
	v_mul_f32_e32 v157, v140, v197
	v_add_f32_e32 v139, v139, v159
	v_add_f32_e32 v136, v137, v136
	v_fmac_f32_e32 v152, v4, v181
	s_waitcnt vmcnt(22)
	v_mul_f32_e32 v153, v142, v184
	v_fmac_f32_e32 v157, v141, v180
	v_add_f32_e32 v139, v139, v160
	v_add_f32_e32 v136, v136, v138
	ds_read2_b64 v[132:135], v9 offset0:113 offset1:114
	ds_read2_b64 v[148:151], v9 offset0:115 offset1:116
	s_waitcnt vmcnt(21) lgkmcnt(3)
	v_mul_f32_e32 v164, v5, v198
	s_waitcnt vmcnt(20)
	v_mul_f32_e32 v158, v7, v202
	v_add_f32_e32 v138, v139, v161
	v_mul_f32_e32 v139, v141, v197
	v_add_f32_e32 v1, v136, v1
	v_mul_f32_e32 v136, v143, v184
	s_waitcnt vmcnt(19) lgkmcnt(2)
	v_mul_f32_e32 v154, v144, v185
	v_add_f32_e32 v4, v138, v155
	v_fma_f32 v138, v140, v180, -v139
	v_add_f32_e32 v1, v1, v3
	s_waitcnt vmcnt(9)
	v_fmac_f32_e32 v164, v6, v208
	s_waitcnt vmcnt(8)
	v_fma_f32 v136, v142, v209, -v136
	v_add_f32_e32 v3, v4, v152
	v_mul_f32_e32 v4, v6, v198
	v_add_f32_e32 v1, v1, v138
	v_fmac_f32_e32 v153, v143, v209
	v_mul_f32_e32 v138, v8, v202
	v_add_f32_e32 v3, v3, v157
	v_fma_f32 v4, v5, v208, -v4
	v_add_f32_e32 v1, v1, v136
	v_mul_f32_e32 v5, v145, v185
	v_fma_f32 v6, v7, v188, -v138
	v_add_f32_e32 v3, v3, v153
	v_fmac_f32_e32 v158, v8, v188
	v_add_f32_e32 v1, v1, v4
	v_mul_f32_e32 v4, v147, v203
	v_fma_f32 v5, v144, v176, -v5
	v_add_f32_e32 v3, v3, v164
	v_mul_f32_e32 v165, v146, v203
	v_add_f32_e32 v1, v1, v6
	v_fmac_f32_e32 v154, v145, v176
	ds_read2_b64 v[9:12], v9 offset0:117 offset1:118
	v_add_f32_e32 v3, v3, v158
	s_waitcnt lgkmcnt(2)
	v_mul_f32_e32 v6, v133, v204
	s_waitcnt vmcnt(4)
	v_fma_f32 v4, v146, v211, -v4
	v_add_f32_e32 v1, v1, v5
	v_mul_f32_e32 v163, v132, v204
	v_fmac_f32_e32 v165, v147, v211
	v_add_f32_e32 v3, v3, v154
	v_mul_f32_e32 v5, v135, v186
	v_fma_f32 v6, v132, v210, -v6
	v_add_f32_e32 v1, v1, v4
	v_mul_f32_e32 v159, v134, v186
	v_fmac_f32_e32 v163, v133, v210
	v_add_f32_e32 v3, v3, v165
	s_waitcnt lgkmcnt(1)
	v_mul_f32_e32 v4, v149, v205
	v_fma_f32 v5, v134, v178, -v5
	v_add_f32_e32 v1, v1, v6
	v_mul_f32_e32 v166, v148, v205
	v_fmac_f32_e32 v159, v135, v178
	v_add_f32_e32 v3, v3, v163
	v_mul_f32_e32 v6, v151, v206
	v_fma_f32 v4, v148, v177, -v4
	v_add_f32_e32 v1, v1, v5
	v_mul_f32_e32 v137, v150, v206
	v_fmac_f32_e32 v166, v149, v177
	v_add_f32_e32 v3, v3, v159
	s_waitcnt lgkmcnt(0)
	v_mul_f32_e32 v5, v10, v187
	s_waitcnt vmcnt(1)
	v_fma_f32 v6, v150, v214, -v6
	v_add_f32_e32 v1, v1, v4
	v_mul_f32_e32 v160, v9, v187
	v_fmac_f32_e32 v137, v151, v214
	v_add_f32_e32 v3, v3, v166
	v_mul_f32_e32 v4, v12, v207
	v_fma_f32 v5, v9, v213, -v5
	v_add_f32_e32 v1, v1, v6
	v_mul_f32_e32 v2, v11, v207
	v_fmac_f32_e32 v160, v10, v213
	v_add_f32_e32 v3, v3, v137
	v_fma_f32 v4, v11, v212, -v4
	v_add_f32_e32 v1, v1, v5
	v_fmac_f32_e32 v2, v12, v212
	v_add_f32_e32 v3, v3, v160
	v_add_f32_e32 v1, v1, v4
	;; [unrolled: 1-line block ×3, first 2 shown]
	s_waitcnt vmcnt(0)
	v_sub_f32_e32 v1, v215, v1
	v_sub_f32_e32 v2, v170, v2
	buffer_store_dword v1, off, s[0:3], 0 offset:64
	buffer_store_dword v2, off, s[0:3], 0 offset:68
	v_cmpx_lt_u32_e32 7, v0
	s_cbranch_execz .LBB122_353
; %bb.352:
	s_clause 0x1
	buffer_load_dword v1, off, s[0:3], 0 offset:56
	buffer_load_dword v2, off, s[0:3], 0 offset:60
	v_mov_b32_e32 v3, 0
	buffer_store_dword v3, off, s[0:3], 0 offset:56
	buffer_store_dword v3, off, s[0:3], 0 offset:60
	s_waitcnt vmcnt(0)
	ds_write_b64 v131, v[1:2]
.LBB122_353:
	s_or_b32 exec_lo, exec_lo, s4
	s_waitcnt lgkmcnt(0)
	s_waitcnt_vscnt null, 0x0
	s_barrier
	buffer_gl0_inv
	s_clause 0x35
	buffer_load_dword v2, off, s[0:3], 0 offset:68
	buffer_load_dword v4, off, s[0:3], 0 offset:76
	;; [unrolled: 1-line block ×54, first 2 shown]
	v_mov_b32_e32 v1, 0
	ds_read_b128 v[176:179], v1 offset:544
	ds_read_b128 v[180:183], v1 offset:560
	buffer_load_dword v173, off, s[0:3], 0 offset:60
	ds_read_b128 v[184:187], v1 offset:576
	ds_read_b128 v[188:191], v1 offset:592
	s_mov_b32 s4, exec_lo
	s_waitcnt vmcnt(54) lgkmcnt(3)
	v_mul_f32_e32 v192, v176, v2
	v_mul_f32_e32 v2, v177, v2
	s_waitcnt vmcnt(53)
	v_mul_f32_e32 v193, v178, v4
	v_mul_f32_e32 v4, v179, v4
	s_waitcnt vmcnt(52) lgkmcnt(2)
	v_mul_f32_e32 v194, v180, v6
	v_mul_f32_e32 v6, v181, v6
	s_waitcnt vmcnt(49)
	v_fma_f32 v195, v176, v8, -v2
	s_waitcnt vmcnt(48)
	v_mul_f32_e32 v2, v183, v7
	v_fmac_f32_e32 v192, v177, v8
	v_fmac_f32_e32 v193, v179, v5
	v_fma_f32 v197, v178, v5, -v4
	v_fmac_f32_e32 v194, v181, v3
	v_fma_f32 v180, v180, v3, -v6
	s_waitcnt vmcnt(44)
	v_fma_f32 v181, v182, v135, -v2
	ds_read_b128 v[2:5], v1 offset:608
	ds_read_b128 v[176:179], v1 offset:624
	v_mul_f32_e32 v196, v182, v7
	s_waitcnt vmcnt(43) lgkmcnt(3)
	v_mul_f32_e32 v182, v184, v133
	v_mul_f32_e32 v6, v185, v133
	s_waitcnt vmcnt(42)
	v_mul_f32_e32 v7, v187, v134
	s_waitcnt vmcnt(41) lgkmcnt(2)
	v_mul_f32_e32 v198, v188, v132
	v_fmac_f32_e32 v196, v183, v135
	v_mul_f32_e32 v183, v186, v134
	v_mul_f32_e32 v8, v189, v132
	v_fmac_f32_e32 v182, v185, v11
	v_fma_f32 v11, v184, v11, -v6
	s_waitcnt vmcnt(40)
	v_mul_f32_e32 v184, v190, v12
	v_mul_f32_e32 v6, v191, v12
	v_fmac_f32_e32 v183, v187, v10
	v_fma_f32 v10, v186, v10, -v7
	v_fmac_f32_e32 v198, v189, v9
	v_fma_f32 v12, v188, v9, -v8
	s_waitcnt vmcnt(36)
	v_fmac_f32_e32 v184, v191, v143
	v_fma_f32 v143, v190, v143, -v6
	ds_read_b128 v[6:9], v1 offset:640
	ds_read_b128 v[132:135], v1 offset:656
	s_waitcnt vmcnt(35) lgkmcnt(3)
	v_mul_f32_e32 v185, v2, v142
	v_mul_f32_e32 v142, v3, v142
	s_waitcnt vmcnt(34)
	v_mul_f32_e32 v186, v4, v141
	v_mul_f32_e32 v141, v5, v141
	s_waitcnt vmcnt(33) lgkmcnt(2)
	v_mul_f32_e32 v187, v176, v139
	v_fmac_f32_e32 v185, v3, v138
	v_fma_f32 v142, v2, v138, -v142
	s_waitcnt vmcnt(32)
	v_mul_f32_e32 v188, v178, v140
	v_mul_f32_e32 v2, v177, v139
	v_mul_f32_e32 v3, v179, v140
	v_fmac_f32_e32 v186, v5, v137
	v_fma_f32 v140, v4, v137, -v141
	v_fmac_f32_e32 v187, v177, v136
	s_waitcnt vmcnt(28)
	v_fmac_f32_e32 v188, v179, v151
	v_fma_f32 v141, v176, v136, -v2
	v_fma_f32 v151, v178, v151, -v3
	ds_read_b128 v[2:5], v1 offset:672
	ds_read_b128 v[136:139], v1 offset:688
	s_waitcnt vmcnt(27) lgkmcnt(3)
	v_mul_f32_e32 v176, v6, v150
	v_mul_f32_e32 v150, v7, v150
	s_waitcnt vmcnt(26)
	v_mul_f32_e32 v177, v8, v149
	v_mul_f32_e32 v149, v9, v149
	s_waitcnt vmcnt(25) lgkmcnt(2)
	v_mul_f32_e32 v178, v132, v148
	v_fmac_f32_e32 v176, v7, v146
	v_fma_f32 v146, v6, v146, -v150
	v_fmac_f32_e32 v177, v9, v145
	v_fma_f32 v145, v8, v145, -v149
	s_clause 0x4
	buffer_load_dword v149, off, s[0:3], 0 offset:284
	buffer_load_dword v150, off, s[0:3], 0 offset:304
	;; [unrolled: 1-line block ×5, first 2 shown]
	v_mul_f32_e32 v148, v133, v148
	s_waitcnt vmcnt(29)
	v_mul_f32_e32 v6, v135, v147
	v_mul_f32_e32 v191, v134, v147
	v_fmac_f32_e32 v178, v133, v144
	v_fma_f32 v132, v132, v144, -v148
	s_waitcnt vmcnt(24)
	v_fma_f32 v134, v134, v160, -v6
	ds_read_b128 v[6:9], v1 offset:704
	buffer_load_dword v148, off, s[0:3], 0 offset:292
	s_waitcnt lgkmcnt(2)
	v_mul_f32_e32 v133, v2, v152
	v_mul_f32_e32 v144, v3, v152
	v_fmac_f32_e32 v191, v135, v160
	s_waitcnt vmcnt(24)
	v_mul_f32_e32 v135, v4, v158
	v_mul_f32_e32 v147, v5, v158
	v_fmac_f32_e32 v133, v3, v156
	v_fma_f32 v144, v2, v156, -v144
	s_waitcnt vmcnt(23) lgkmcnt(1)
	v_mul_f32_e32 v152, v136, v155
	v_mul_f32_e32 v2, v137, v155
	s_waitcnt vmcnt(22)
	v_mul_f32_e32 v3, v139, v159
	v_fmac_f32_e32 v135, v5, v154
	v_fma_f32 v147, v4, v154, -v147
	s_clause 0x1
	buffer_load_dword v154, off, s[0:3], 0 offset:300
	buffer_load_dword v155, off, s[0:3], 0 offset:308
	v_mul_f32_e32 v156, v138, v159
	v_fmac_f32_e32 v152, v137, v153
	v_fma_f32 v136, v136, v153, -v2
	s_clause 0x1
	buffer_load_dword v153, off, s[0:3], 0 offset:316
	buffer_load_dword v158, off, s[0:3], 0 offset:324
	v_add_f32_e32 v137, 0, v192
	s_waitcnt vmcnt(22)
	v_fma_f32 v138, v138, v167, -v3
	ds_read_b128 v[2:5], v1 offset:720
	v_fmac_f32_e32 v156, v139, v167
	s_waitcnt vmcnt(21) lgkmcnt(1)
	v_mul_f32_e32 v139, v6, v166
	v_mul_f32_e32 v159, v7, v166
	v_add_f32_e32 v137, v137, v193
	v_add_f32_e32 v166, 0, v195
	s_waitcnt vmcnt(20)
	v_mul_f32_e32 v160, v8, v165
	v_mul_f32_e32 v165, v9, v165
	v_fmac_f32_e32 v139, v7, v164
	v_fma_f32 v159, v6, v164, -v159
	v_add_f32_e32 v6, v166, v197
	v_add_f32_e32 v7, v137, v194
	v_fmac_f32_e32 v160, v9, v163
	v_fma_f32 v163, v8, v163, -v165
	s_clause 0x3
	buffer_load_dword v164, off, s[0:3], 0 offset:336
	buffer_load_dword v165, off, s[0:3], 0 offset:328
	;; [unrolled: 1-line block ×4, first 2 shown]
	v_add_f32_e32 v6, v6, v180
	v_add_f32_e32 v137, v7, v196
	s_clause 0x2
	buffer_load_dword v180, off, s[0:3], 0 offset:332
	buffer_load_dword v192, off, s[0:3], 0 offset:340
	;; [unrolled: 1-line block ×3, first 2 shown]
	v_add_f32_e32 v181, v6, v181
	ds_read_b128 v[6:9], v1 offset:736
	v_add_f32_e32 v137, v137, v182
	s_waitcnt vmcnt(26) lgkmcnt(1)
	v_mul_f32_e32 v182, v2, v161
	v_mul_f32_e32 v161, v3, v161
	v_add_f32_e32 v11, v181, v11
	s_waitcnt vmcnt(25)
	v_mul_f32_e32 v181, v4, v162
	v_mul_f32_e32 v162, v5, v162
	v_fmac_f32_e32 v182, v3, v157
	v_add_f32_e32 v3, v137, v183
	v_fma_f32 v137, v2, v157, -v161
	v_add_f32_e32 v2, v11, v10
	s_waitcnt vmcnt(20)
	v_fmac_f32_e32 v181, v5, v175
	v_fma_f32 v157, v4, v175, -v162
	v_add_f32_e32 v10, v3, v198
	s_clause 0x4
	buffer_load_dword v161, off, s[0:3], 0 offset:368
	buffer_load_dword v162, off, s[0:3], 0 offset:360
	;; [unrolled: 1-line block ×5, first 2 shown]
	v_add_f32_e32 v12, v2, v12
	ds_read_b128 v[2:5], v1 offset:752
	v_add_f32_e32 v10, v10, v184
	s_clause 0x1
	buffer_load_dword v184, off, s[0:3], 0 offset:364
	buffer_load_dword v195, off, s[0:3], 0 offset:372
	s_waitcnt vmcnt(26) lgkmcnt(1)
	v_mul_f32_e32 v194, v6, v174
	v_mul_f32_e32 v174, v7, v174
	v_add_f32_e32 v12, v12, v143
	v_add_f32_e32 v10, v10, v185
	buffer_load_dword v185, off, s[0:3], 0 offset:380
	v_fmac_f32_e32 v194, v7, v172
	v_fma_f32 v143, v6, v172, -v174
	s_waitcnt vmcnt(26)
	v_mul_f32_e32 v172, v8, v171
	v_add_f32_e32 v7, v10, v186
	v_mul_f32_e32 v10, v9, v171
	v_add_f32_e32 v6, v12, v142
	s_clause 0x2
	buffer_load_dword v12, off, s[0:3], 0 offset:388
	buffer_load_dword v174, off, s[0:3], 0 offset:396
	;; [unrolled: 1-line block ×3, first 2 shown]
	v_add_f32_e32 v7, v7, v187
	v_fmac_f32_e32 v172, v9, v170
	v_fma_f32 v10, v8, v170, -v10
	s_clause 0x1
	buffer_load_dword v170, off, s[0:3], 0 offset:412
	buffer_load_dword v186, off, s[0:3], 0 offset:420
	v_add_f32_e32 v6, v6, v140
	v_add_f32_e32 v7, v7, v188
	s_clause 0x2
	buffer_load_dword v187, off, s[0:3], 0 offset:428
	buffer_load_dword v188, off, s[0:3], 0 offset:436
	buffer_load_dword v196, off, s[0:3], 0 offset:444
	s_waitcnt lgkmcnt(0)
	v_mul_f32_e32 v140, v2, v169
	v_mul_f32_e32 v8, v3, v169
	v_add_f32_e32 v6, v6, v141
	v_add_f32_e32 v7, v7, v176
	s_clause 0x2
	buffer_load_dword v176, off, s[0:3], 0 offset:452
	buffer_load_dword v197, off, s[0:3], 0 offset:460
	;; [unrolled: 1-line block ×3, first 2 shown]
	v_fmac_f32_e32 v140, v3, v168
	v_fma_f32 v141, v2, v168, -v8
	v_add_f32_e32 v6, v6, v151
	v_add_f32_e32 v7, v7, v177
	s_clause 0x3
	buffer_load_dword v177, off, s[0:3], 0 offset:400
	buffer_load_dword v199, off, s[0:3], 0 offset:392
	;; [unrolled: 1-line block ×4, first 2 shown]
	v_add_f32_e32 v6, v6, v146
	v_add_f32_e32 v7, v7, v178
	;; [unrolled: 1-line block ×4, first 2 shown]
	s_clause 0x8
	buffer_load_dword v178, off, s[0:3], 0 offset:432
	buffer_load_dword v191, off, s[0:3], 0 offset:424
	;; [unrolled: 1-line block ×9, first 2 shown]
	v_add_f32_e32 v6, v6, v132
	v_add_f32_e32 v7, v7, v133
	;; [unrolled: 1-line block ×11, first 2 shown]
	ds_read_b128 v[6:9], v1 offset:768
	v_add_f32_e32 v136, v132, v160
	v_add_f32_e32 v133, v3, v159
	v_add_f32_e32 v136, v136, v182
	v_add_f32_e32 v138, v133, v163
	ds_read_b128 v[132:135], v1 offset:800
	v_add_f32_e32 v142, v136, v181
	v_add_f32_e32 v137, v138, v137
	s_waitcnt vmcnt(48)
	v_mul_f32_e32 v144, v4, v149
	v_mul_f32_e32 v2, v5, v149
	s_waitcnt vmcnt(44)
	v_fmac_f32_e32 v144, v5, v190
	v_fma_f32 v145, v4, v190, -v2
	ds_read_b128 v[2:5], v1 offset:784
	s_waitcnt vmcnt(43) lgkmcnt(2)
	v_mul_f32_e32 v139, v7, v148
	v_mul_f32_e32 v149, v6, v148
	v_fma_f32 v148, v6, v189, -v139
	v_add_f32_e32 v6, v137, v157
	v_fmac_f32_e32 v149, v7, v189
	v_add_f32_e32 v7, v142, v194
	ds_read_b128 v[136:139], v1 offset:816
	v_add_f32_e32 v6, v6, v143
	s_waitcnt vmcnt(42)
	v_mul_f32_e32 v151, v8, v154
	v_add_f32_e32 v7, v7, v172
	s_waitcnt vmcnt(41) lgkmcnt(1)
	v_mul_f32_e32 v152, v2, v155
	v_mul_f32_e32 v143, v3, v155
	v_add_f32_e32 v6, v6, v10
	s_waitcnt vmcnt(39)
	v_mul_f32_e32 v147, v133, v158
	v_mul_f32_e32 v142, v9, v154
	v_fmac_f32_e32 v152, v3, v150
	v_mul_f32_e32 v154, v4, v153
	v_add_f32_e32 v3, v6, v141
	v_mul_f32_e32 v146, v5, v153
	v_mul_f32_e32 v153, v132, v158
	v_fma_f32 v155, v2, v150, -v143
	v_add_f32_e32 v2, v7, v140
	v_fma_f32 v10, v8, v179, -v142
	v_fmac_f32_e32 v151, v9, v179
	ds_read_b128 v[6:9], v1 offset:832
	ds_read_b128 v[140:143], v1 offset:848
	s_waitcnt vmcnt(36)
	v_fma_f32 v157, v132, v166, -v147
	v_add_f32_e32 v132, v3, v145
	v_fmac_f32_e32 v153, v133, v166
	v_add_f32_e32 v133, v2, v144
	s_waitcnt vmcnt(35)
	v_fma_f32 v156, v4, v167, -v146
	v_fmac_f32_e32 v154, v5, v167
	v_add_f32_e32 v132, v132, v148
	s_waitcnt vmcnt(34)
	v_mul_f32_e32 v158, v134, v180
	v_add_f32_e32 v133, v133, v149
	v_mul_f32_e32 v149, v135, v180
	s_waitcnt vmcnt(33) lgkmcnt(2)
	v_mul_f32_e32 v159, v136, v192
	v_add_f32_e32 v10, v132, v10
	v_mul_f32_e32 v148, v137, v192
	v_add_f32_e32 v133, v133, v151
	v_fmac_f32_e32 v158, v135, v165
	v_fma_f32 v165, v134, v165, -v149
	v_add_f32_e32 v155, v10, v155
	s_waitcnt vmcnt(32)
	v_mul_f32_e32 v163, v139, v193
	v_add_f32_e32 v152, v133, v152
	v_fmac_f32_e32 v159, v137, v164
	v_fma_f32 v164, v136, v164, -v148
	v_add_f32_e32 v155, v155, v156
	v_mul_f32_e32 v160, v138, v193
	v_add_f32_e32 v152, v152, v154
	s_waitcnt vmcnt(28)
	v_fma_f32 v163, v138, v11, -v163
	s_waitcnt vmcnt(27) lgkmcnt(1)
	v_mul_f32_e32 v166, v7, v183
	v_add_f32_e32 v155, v155, v157
	ds_read_b128 v[2:5], v1 offset:864
	ds_read_b128 v[144:147], v1 offset:880
	v_add_f32_e32 v152, v152, v153
	v_fmac_f32_e32 v160, v139, v11
	v_mul_f32_e32 v154, v6, v183
	v_add_f32_e32 v155, v155, v165
	s_waitcnt vmcnt(26)
	v_mul_f32_e32 v167, v9, v184
	v_add_f32_e32 v152, v152, v158
	v_fma_f32 v6, v6, v175, -v166
	v_mul_f32_e32 v156, v8, v184
	v_add_f32_e32 v155, v155, v164
	v_fmac_f32_e32 v154, v7, v175
	v_add_f32_e32 v152, v152, v159
	s_waitcnt vmcnt(25) lgkmcnt(2)
	v_mul_f32_e32 v166, v141, v195
	v_fma_f32 v8, v8, v162, -v167
	v_add_f32_e32 v155, v155, v163
	v_mul_f32_e32 v153, v140, v195
	v_add_f32_e32 v152, v152, v160
	v_fmac_f32_e32 v156, v9, v162
	s_waitcnt vmcnt(24)
	v_mul_f32_e32 v160, v143, v185
	v_add_f32_e32 v6, v155, v6
	v_fma_f32 v140, v140, v161, -v166
	v_add_f32_e32 v152, v152, v154
	v_mul_f32_e32 v157, v142, v185
	v_fmac_f32_e32 v153, v141, v161
	v_add_f32_e32 v6, v6, v8
	s_waitcnt vmcnt(23) lgkmcnt(1)
	v_mul_f32_e32 v7, v2, v12
	v_add_f32_e32 v8, v152, v156
	v_mul_f32_e32 v12, v3, v12
	ds_read_b128 v[132:135], v1 offset:896
	ds_read_b128 v[148:151], v1 offset:912
	v_add_f32_e32 v6, v6, v140
	s_waitcnt vmcnt(9)
	v_fma_f32 v141, v142, v201, -v160
	v_fmac_f32_e32 v157, v143, v201
	v_add_f32_e32 v8, v8, v153
	v_mul_f32_e32 v140, v5, v174
	v_fmac_f32_e32 v7, v3, v200
	v_fma_f32 v2, v2, v200, -v12
	v_add_f32_e32 v3, v6, v141
	v_mul_f32_e32 v158, v4, v174
	v_add_f32_e32 v6, v8, v157
	s_waitcnt lgkmcnt(2)
	v_mul_f32_e32 v8, v145, v171
	v_fma_f32 v4, v4, v199, -v140
	v_add_f32_e32 v2, v3, v2
	v_mul_f32_e32 v165, v144, v171
	v_fmac_f32_e32 v158, v5, v199
	v_add_f32_e32 v3, v6, v7
	v_mul_f32_e32 v5, v147, v170
	v_fma_f32 v6, v144, v177, -v8
	v_add_f32_e32 v2, v2, v4
	v_mul_f32_e32 v9, v146, v170
	v_fmac_f32_e32 v165, v145, v177
	v_add_f32_e32 v3, v3, v158
	s_waitcnt lgkmcnt(1)
	v_mul_f32_e32 v4, v133, v186
	s_waitcnt vmcnt(5)
	v_fma_f32 v5, v146, v203, -v5
	v_add_f32_e32 v2, v2, v6
	ds_read_b128 v[136:139], v1 offset:928
	ds_read_b64 v[10:11], v1 offset:944
	v_mul_f32_e32 v162, v132, v186
	v_fmac_f32_e32 v9, v147, v203
	v_add_f32_e32 v3, v3, v165
	v_mul_f32_e32 v6, v135, v187
	v_fma_f32 v4, v132, v202, -v4
	v_add_f32_e32 v2, v2, v5
	v_mul_f32_e32 v159, v134, v187
	v_fmac_f32_e32 v162, v133, v202
	v_add_f32_e32 v3, v3, v9
	s_waitcnt lgkmcnt(2)
	v_mul_f32_e32 v5, v149, v188
	v_fma_f32 v6, v134, v191, -v6
	v_add_f32_e32 v2, v2, v4
	v_mul_f32_e32 v164, v148, v188
	v_fmac_f32_e32 v159, v135, v191
	v_add_f32_e32 v3, v3, v162
	v_mul_f32_e32 v4, v151, v196
	v_fma_f32 v5, v148, v178, -v5
	v_add_f32_e32 v2, v2, v6
	v_mul_f32_e32 v167, v150, v196
	v_fmac_f32_e32 v164, v149, v178
	v_add_f32_e32 v3, v3, v159
	s_waitcnt lgkmcnt(1)
	v_mul_f32_e32 v6, v137, v176
	s_waitcnt vmcnt(1)
	v_fma_f32 v4, v150, v207, -v4
	v_add_f32_e32 v2, v2, v5
	v_mul_f32_e32 v163, v136, v176
	v_fmac_f32_e32 v167, v151, v207
	v_add_f32_e32 v3, v3, v164
	v_mul_f32_e32 v5, v139, v197
	v_fma_f32 v6, v136, v206, -v6
	v_add_f32_e32 v2, v2, v4
	v_mul_f32_e32 v168, v138, v197
	v_fmac_f32_e32 v163, v137, v206
	v_add_f32_e32 v3, v3, v167
	s_waitcnt lgkmcnt(0)
	v_mul_f32_e32 v4, v11, v198
	v_fma_f32 v5, v138, v205, -v5
	v_add_f32_e32 v2, v2, v6
	v_mul_f32_e32 v154, v10, v198
	v_fmac_f32_e32 v168, v139, v205
	v_add_f32_e32 v3, v3, v163
	v_fma_f32 v4, v10, v204, -v4
	v_add_f32_e32 v2, v2, v5
	v_fmac_f32_e32 v154, v11, v204
	v_add_f32_e32 v3, v3, v168
	v_add_f32_e32 v2, v2, v4
	;; [unrolled: 1-line block ×3, first 2 shown]
	s_waitcnt vmcnt(0)
	v_sub_f32_e32 v2, v208, v2
	v_sub_f32_e32 v3, v173, v3
	buffer_store_dword v2, off, s[0:3], 0 offset:56
	buffer_store_dword v3, off, s[0:3], 0 offset:60
	v_cmpx_lt_u32_e32 6, v0
	s_cbranch_execz .LBB122_355
; %bb.354:
	s_clause 0x1
	buffer_load_dword v2, off, s[0:3], 0 offset:48
	buffer_load_dword v3, off, s[0:3], 0 offset:52
	buffer_store_dword v1, off, s[0:3], 0 offset:48
	buffer_store_dword v1, off, s[0:3], 0 offset:52
	s_waitcnt vmcnt(0)
	ds_write_b64 v131, v[2:3]
.LBB122_355:
	s_or_b32 exec_lo, exec_lo, s4
	s_waitcnt lgkmcnt(0)
	s_waitcnt_vscnt null, 0x0
	s_barrier
	buffer_gl0_inv
	s_clause 0x3b
	buffer_load_dword v167, off, s[0:3], 0 offset:60
	buffer_load_dword v2, off, s[0:3], 0 offset:72
	;; [unrolled: 1-line block ×60, first 2 shown]
	ds_read2_b64 v[181:184], v1 offset0:67 offset1:68
	ds_read2_b64 v[185:188], v1 offset0:69 offset1:70
	;; [unrolled: 1-line block ×3, first 2 shown]
	s_mov_b32 s4, exec_lo
	s_waitcnt vmcnt(59) lgkmcnt(2)
	v_mul_f32_e32 v193, v181, v167
	v_mul_f32_e32 v194, v182, v167
	buffer_load_dword v167, off, s[0:3], 0 offset:52
	s_waitcnt vmcnt(56)
	v_mul_f32_e32 v195, v183, v6
	v_mul_f32_e32 v6, v184, v6
	v_fmac_f32_e32 v193, v182, v7
	v_fma_f32 v194, v181, v7, -v194
	s_waitcnt vmcnt(55) lgkmcnt(1)
	v_mul_f32_e32 v197, v185, v5
	v_fmac_f32_e32 v195, v184, v4
	v_fma_f32 v196, v183, v4, -v6
	v_mul_f32_e32 v181, v186, v5
	ds_read2_b64 v[4:7], v1 offset0:73 offset1:74
	v_fmac_f32_e32 v197, v186, v2
	s_waitcnt vmcnt(49) lgkmcnt(1)
	v_mul_f32_e32 v201, v189, v133
	v_mul_f32_e32 v199, v187, v3
	v_fma_f32 v198, v185, v2, -v181
	v_mul_f32_e32 v2, v188, v3
	ds_read2_b64 v[181:184], v1 offset0:75 offset1:76
	v_fmac_f32_e32 v201, v190, v12
	v_fmac_f32_e32 v199, v188, v134
	v_fma_f32 v200, v187, v134, -v2
	v_mul_f32_e32 v2, v190, v133
	ds_read2_b64 v[185:188], v1 offset0:77 offset1:78
	v_fma_f32 v12, v189, v12, -v2
	s_waitcnt vmcnt(48)
	v_mul_f32_e32 v189, v191, v132
	v_mul_f32_e32 v2, v192, v132
	s_waitcnt vmcnt(47) lgkmcnt(2)
	v_mul_f32_e32 v190, v4, v11
	v_fmac_f32_e32 v189, v192, v10
	v_fma_f32 v10, v191, v10, -v2
	v_mul_f32_e32 v2, v5, v11
	s_waitcnt vmcnt(46)
	v_mul_f32_e32 v191, v6, v9
	v_fmac_f32_e32 v190, v5, v8
	s_waitcnt vmcnt(41) lgkmcnt(1)
	v_mul_f32_e32 v192, v181, v141
	v_fma_f32 v11, v4, v8, -v2
	v_mul_f32_e32 v2, v7, v9
	v_fmac_f32_e32 v191, v7, v142
	v_fmac_f32_e32 v192, v182, v139
	s_waitcnt vmcnt(39) lgkmcnt(0)
	v_mul_f32_e32 v132, v186, v138
	v_fma_f32 v142, v6, v142, -v2
	v_mul_f32_e32 v6, v182, v141
	ds_read2_b64 v[2:5], v1 offset0:79 offset1:80
	v_mul_f32_e32 v141, v183, v140
	v_fma_f32 v139, v181, v139, -v6
	v_mul_f32_e32 v6, v184, v140
	v_fmac_f32_e32 v141, v184, v137
	v_mul_f32_e32 v140, v185, v138
	v_fma_f32 v138, v185, v135, -v132
	s_waitcnt vmcnt(38)
	v_mul_f32_e32 v181, v187, v136
	v_fma_f32 v137, v183, v137, -v6
	ds_read2_b64 v[6:9], v1 offset0:81 offset1:82
	v_mul_f32_e32 v132, v188, v136
	v_fmac_f32_e32 v140, v186, v135
	s_waitcnt vmcnt(34)
	v_fmac_f32_e32 v181, v188, v149
	v_fma_f32 v136, v187, v149, -v132
	ds_read2_b64 v[132:135], v1 offset0:83 offset1:84
	s_waitcnt vmcnt(33) lgkmcnt(2)
	v_mul_f32_e32 v149, v2, v148
	v_mul_f32_e32 v148, v3, v148
	v_fmac_f32_e32 v149, v3, v146
	v_fma_f32 v146, v2, v146, -v148
	s_waitcnt vmcnt(32)
	v_mul_f32_e32 v148, v4, v147
	v_mul_f32_e32 v2, v5, v147
	s_waitcnt vmcnt(31) lgkmcnt(1)
	v_mul_f32_e32 v147, v6, v145
	v_fmac_f32_e32 v148, v5, v144
	v_fma_f32 v144, v4, v144, -v2
	v_mul_f32_e32 v2, v7, v145
	s_waitcnt vmcnt(30)
	v_mul_f32_e32 v145, v8, v150
	v_mul_f32_e32 v150, v9, v150
	v_fmac_f32_e32 v147, v7, v143
	v_fma_f32 v143, v6, v143, -v2
	ds_read2_b64 v[2:5], v1 offset0:85 offset1:86
	s_waitcnt vmcnt(26)
	v_fmac_f32_e32 v145, v9, v158
	v_fma_f32 v150, v8, v158, -v150
	ds_read2_b64 v[6:9], v1 offset0:87 offset1:88
	s_waitcnt vmcnt(25) lgkmcnt(2)
	v_mul_f32_e32 v158, v132, v156
	v_mul_f32_e32 v156, v133, v156
	v_fmac_f32_e32 v158, v133, v154
	s_waitcnt vmcnt(24)
	v_mul_f32_e32 v133, v134, v155
	v_fma_f32 v132, v132, v154, -v156
	v_mul_f32_e32 v154, v135, v155
	buffer_load_dword v156, off, s[0:3], 0 offset:300
	v_fmac_f32_e32 v133, v135, v152
	buffer_load_dword v135, off, s[0:3], 0 offset:292
	v_fma_f32 v134, v134, v152, -v154
	s_waitcnt vmcnt(25) lgkmcnt(1)
	v_mul_f32_e32 v152, v2, v153
	v_mul_f32_e32 v153, v3, v153
	s_waitcnt vmcnt(24)
	v_mul_f32_e32 v154, v4, v157
	v_mul_f32_e32 v155, v5, v157
	v_fmac_f32_e32 v152, v3, v151
	v_fma_f32 v151, v2, v151, -v153
	s_waitcnt vmcnt(20)
	v_fmac_f32_e32 v154, v5, v166
	v_fma_f32 v153, v4, v166, -v155
	ds_read2_b64 v[2:5], v1 offset0:89 offset1:90
	s_waitcnt vmcnt(19) lgkmcnt(1)
	v_mul_f32_e32 v155, v6, v165
	v_mul_f32_e32 v157, v7, v165
	s_waitcnt vmcnt(18)
	v_mul_f32_e32 v165, v8, v164
	v_mul_f32_e32 v164, v9, v164
	buffer_load_dword v166, off, s[0:3], 0 offset:308
	v_fmac_f32_e32 v155, v7, v163
	v_fma_f32 v157, v6, v163, -v157
	v_add_f32_e32 v6, 0, v193
	v_add_f32_e32 v7, 0, v194
	v_fmac_f32_e32 v165, v9, v162
	v_fma_f32 v162, v8, v162, -v164
	s_clause 0x3
	buffer_load_dword v163, off, s[0:3], 0 offset:328
	buffer_load_dword v164, off, s[0:3], 0 offset:320
	;; [unrolled: 1-line block ×4, first 2 shown]
	v_add_f32_e32 v6, v6, v195
	v_add_f32_e32 v7, v7, v196
	s_clause 0x3
	buffer_load_dword v184, off, s[0:3], 0 offset:316
	buffer_load_dword v185, off, s[0:3], 0 offset:324
	;; [unrolled: 1-line block ×4, first 2 shown]
	v_add_f32_e32 v6, v6, v197
	v_add_f32_e32 v7, v7, v198
	s_waitcnt vmcnt(26) lgkmcnt(0)
	v_mul_f32_e32 v188, v2, v160
	v_mul_f32_e32 v8, v3, v160
	s_waitcnt vmcnt(25)
	v_mul_f32_e32 v160, v4, v161
	v_add_f32_e32 v6, v6, v199
	v_add_f32_e32 v7, v7, v200
	v_mul_f32_e32 v9, v5, v161
	v_fmac_f32_e32 v188, v3, v159
	v_fma_f32 v159, v2, v159, -v8
	v_add_f32_e32 v6, v6, v201
	v_add_f32_e32 v7, v7, v12
	s_waitcnt vmcnt(20)
	v_fmac_f32_e32 v160, v5, v175
	v_fma_f32 v161, v4, v175, -v9
	ds_read2_b64 v[2:5], v1 offset0:91 offset1:92
	v_add_f32_e32 v6, v6, v189
	v_add_f32_e32 v7, v7, v10
	s_clause 0x3
	buffer_load_dword v12, off, s[0:3], 0 offset:360
	buffer_load_dword v175, off, s[0:3], 0 offset:352
	;; [unrolled: 1-line block ×4, first 2 shown]
	v_add_f32_e32 v6, v6, v190
	v_add_f32_e32 v10, v7, v11
	s_clause 0x2
	buffer_load_dword v11, off, s[0:3], 0 offset:348
	buffer_load_dword v189, off, s[0:3], 0 offset:356
	;; [unrolled: 1-line block ×3, first 2 shown]
	v_add_f32_e32 v191, v6, v191
	ds_read2_b64 v[6:9], v1 offset0:93 offset1:94
	v_add_f32_e32 v10, v10, v142
	v_add_f32_e32 v191, v191, v192
	;; [unrolled: 1-line block ×3, first 2 shown]
	s_waitcnt vmcnt(26) lgkmcnt(1)
	v_mul_f32_e32 v142, v2, v174
	v_mul_f32_e32 v174, v3, v174
	s_waitcnt vmcnt(25)
	v_mul_f32_e32 v139, v5, v173
	v_mul_f32_e32 v192, v4, v173
	v_fmac_f32_e32 v142, v3, v172
	v_fma_f32 v172, v2, v172, -v174
	v_add_f32_e32 v2, v191, v141
	v_add_f32_e32 v3, v10, v137
	v_fma_f32 v141, v4, v170, -v139
	s_clause 0x3
	buffer_load_dword v10, off, s[0:3], 0 offset:372
	buffer_load_dword v173, off, s[0:3], 0 offset:380
	;; [unrolled: 1-line block ×4, first 2 shown]
	v_fmac_f32_e32 v192, v5, v170
	v_add_f32_e32 v2, v2, v140
	v_add_f32_e32 v3, v3, v138
	s_waitcnt lgkmcnt(0)
	v_mul_f32_e32 v140, v6, v169
	v_mul_f32_e32 v4, v7, v169
	s_clause 0x3
	buffer_load_dword v170, off, s[0:3], 0 offset:404
	buffer_load_dword v195, off, s[0:3], 0 offset:412
	;; [unrolled: 1-line block ×4, first 2 shown]
	v_add_f32_e32 v2, v2, v181
	v_add_f32_e32 v3, v3, v136
	s_clause 0x4
	buffer_load_dword v181, off, s[0:3], 0 offset:436
	buffer_load_dword v198, off, s[0:3], 0 offset:444
	;; [unrolled: 1-line block ×5, first 2 shown]
	v_fmac_f32_e32 v140, v7, v168
	v_add_f32_e32 v2, v2, v149
	v_add_f32_e32 v3, v3, v146
	v_fma_f32 v146, v6, v168, -v4
	s_clause 0x3
	buffer_load_dword v168, off, s[0:3], 0 offset:392
	buffer_load_dword v201, off, s[0:3], 0 offset:384
	;; [unrolled: 1-line block ×4, first 2 shown]
	v_add_f32_e32 v6, v2, v148
	v_add_f32_e32 v2, v3, v144
	;; [unrolled: 1-line block ×4, first 2 shown]
	s_waitcnt vmcnt(41)
	v_mul_f32_e32 v2, v9, v171
	v_mul_f32_e32 v143, v8, v171
	v_add_f32_e32 v6, v6, v145
	v_add_f32_e32 v7, v7, v150
	s_waitcnt vmcnt(37)
	v_fma_f32 v144, v8, v180, -v2
	ds_read2_b64 v[2:5], v1 offset0:95 offset1:96
	v_fmac_f32_e32 v143, v9, v180
	s_clause 0x3
	buffer_load_dword v171, off, s[0:3], 0 offset:424
	buffer_load_dword v180, off, s[0:3], 0 offset:416
	;; [unrolled: 1-line block ×4, first 2 shown]
	v_add_f32_e32 v7, v7, v132
	v_add_f32_e32 v6, v6, v158
	;; [unrolled: 1-line block ×4, first 2 shown]
	ds_read2_b64 v[6:9], v1 offset0:97 offset1:98
	v_add_f32_e32 v132, v132, v151
	v_add_f32_e32 v133, v133, v152
	s_waitcnt vmcnt(40) lgkmcnt(1)
	v_mul_f32_e32 v145, v2, v179
	v_mul_f32_e32 v134, v3, v179
	v_fmac_f32_e32 v145, v3, v178
	v_fma_f32 v147, v2, v178, -v134
	v_add_f32_e32 v2, v132, v153
	v_add_f32_e32 v3, v133, v154
	s_clause 0x3
	buffer_load_dword v152, off, s[0:3], 0 offset:456
	buffer_load_dword v153, off, s[0:3], 0 offset:448
	buffer_load_dword v154, off, s[0:3], 0 offset:440
	buffer_load_dword v158, off, s[0:3], 0 offset:432
	v_add_f32_e32 v2, v2, v157
	buffer_load_dword v157, off, s[0:3], 0 offset:464
	v_add_f32_e32 v3, v3, v155
	buffer_load_dword v155, off, s[0:3], 0 offset:48
	v_add_f32_e32 v2, v2, v162
	v_add_f32_e32 v133, v3, v165
	;; [unrolled: 1-line block ×13, first 2 shown]
	s_waitcnt vmcnt(44) lgkmcnt(0)
	v_mul_f32_e32 v150, v6, v156
	v_mul_f32_e32 v138, v7, v156
	s_waitcnt vmcnt(43)
	v_mul_f32_e32 v148, v4, v135
	v_mul_f32_e32 v132, v5, v135
	v_fmac_f32_e32 v150, v7, v176
	v_fma_f32 v156, v6, v176, -v138
	v_fmac_f32_e32 v148, v5, v177
	v_fma_f32 v149, v4, v177, -v132
	ds_read2_b64 v[2:5], v1 offset0:99 offset1:100
	ds_read2_b64 v[132:135], v1 offset0:101 offset1:102
	v_add_f32_e32 v177, v144, v147
	v_add_f32_e32 v149, v177, v149
	s_waitcnt vmcnt(42)
	v_mul_f32_e32 v151, v8, v166
	v_mul_f32_e32 v139, v9, v166
	s_waitcnt vmcnt(38)
	v_fmac_f32_e32 v151, v9, v183
	v_fma_f32 v160, v8, v183, -v139
	ds_read2_b64 v[6:9], v1 offset0:103 offset1:104
	ds_read2_b64 v[136:139], v1 offset0:105 offset1:106
	s_waitcnt vmcnt(36) lgkmcnt(3)
	v_mul_f32_e32 v162, v4, v185
	v_mul_f32_e32 v165, v5, v185
	;; [unrolled: 1-line block ×4, first 2 shown]
	s_waitcnt vmcnt(35) lgkmcnt(2)
	v_mul_f32_e32 v166, v132, v186
	v_fmac_f32_e32 v162, v5, v164
	v_fma_f32 v164, v4, v164, -v165
	v_add_f32_e32 v165, v140, v143
	v_fma_f32 v161, v2, v182, -v161
	v_fmac_f32_e32 v159, v3, v182
	v_mul_f32_e32 v146, v133, v186
	s_waitcnt vmcnt(34)
	v_mul_f32_e32 v176, v135, v187
	v_add_f32_e32 v165, v165, v145
	v_fmac_f32_e32 v166, v133, v163
	v_mul_f32_e32 v172, v134, v187
	v_fma_f32 v163, v132, v163, -v146
	ds_read2_b64 v[2:5], v1 offset0:107 offset1:108
	ds_read2_b64 v[140:143], v1 offset0:109 offset1:110
	v_add_f32_e32 v148, v165, v148
	s_waitcnt vmcnt(30)
	v_fma_f32 v176, v134, v194, -v176
	v_fmac_f32_e32 v172, v135, v194
	v_add_f32_e32 v148, v148, v150
	s_waitcnt vmcnt(29) lgkmcnt(3)
	v_mul_f32_e32 v177, v6, v11
	v_mul_f32_e32 v11, v7, v11
	s_waitcnt vmcnt(28)
	v_mul_f32_e32 v165, v8, v189
	v_mul_f32_e32 v178, v9, v189
	ds_read2_b64 v[132:135], v1 offset0:111 offset1:112
	ds_read2_b64 v[144:147], v1 offset0:113 offset1:114
	v_fmac_f32_e32 v177, v7, v193
	v_add_f32_e32 v7, v149, v156
	v_fmac_f32_e32 v165, v9, v175
	v_fma_f32 v156, v8, v175, -v178
	v_add_f32_e32 v175, v148, v151
	v_fma_f32 v11, v6, v193, -v11
	v_add_f32_e32 v160, v7, v160
	ds_read2_b64 v[6:9], v1 offset0:115 offset1:116
	ds_read2_b64 v[148:151], v1 offset0:117 offset1:118
	s_waitcnt vmcnt(27) lgkmcnt(6)
	v_mul_f32_e32 v1, v136, v190
	v_add_f32_e32 v159, v175, v159
	v_add_f32_e32 v160, v160, v161
	v_mul_f32_e32 v161, v137, v190
	v_fmac_f32_e32 v1, v137, v12
	v_add_f32_e32 v159, v159, v162
	v_add_f32_e32 v160, v160, v164
	s_waitcnt vmcnt(26)
	v_mul_f32_e32 v175, v138, v10
	v_mul_f32_e32 v10, v139, v10
	v_add_f32_e32 v159, v159, v166
	v_fma_f32 v12, v136, v12, -v161
	v_add_f32_e32 v160, v160, v163
	s_waitcnt vmcnt(25) lgkmcnt(5)
	v_mul_f32_e32 v164, v2, v173
	s_waitcnt vmcnt(24)
	v_mul_f32_e32 v162, v4, v174
	v_add_f32_e32 v159, v159, v172
	s_waitcnt vmcnt(23) lgkmcnt(4)
	v_mul_f32_e32 v178, v140, v191
	v_add_f32_e32 v160, v160, v176
	s_waitcnt vmcnt(22)
	v_mul_f32_e32 v163, v142, v170
	s_waitcnt vmcnt(21) lgkmcnt(3)
	v_mul_f32_e32 v166, v132, v195
	v_add_f32_e32 v159, v159, v177
	s_waitcnt vmcnt(20)
	v_mul_f32_e32 v179, v134, v196
	v_add_f32_e32 v11, v160, v11
	s_waitcnt vmcnt(12)
	v_fmac_f32_e32 v162, v5, v201
	s_waitcnt vmcnt(11)
	v_fmac_f32_e32 v164, v3, v202
	v_add_f32_e32 v137, v159, v165
	s_waitcnt vmcnt(10)
	v_fma_f32 v10, v138, v203, -v10
	v_add_f32_e32 v11, v11, v156
	v_mul_f32_e32 v156, v3, v173
	v_fmac_f32_e32 v175, v139, v203
	v_add_f32_e32 v1, v137, v1
	v_fmac_f32_e32 v178, v141, v168
	v_add_f32_e32 v11, v11, v12
	v_mul_f32_e32 v12, v5, v174
	v_fma_f32 v2, v2, v202, -v156
	v_add_f32_e32 v1, v1, v175
	s_waitcnt lgkmcnt(2)
	v_mul_f32_e32 v176, v144, v197
	v_add_f32_e32 v3, v11, v10
	v_mul_f32_e32 v10, v141, v191
	v_fma_f32 v4, v4, v201, -v12
	v_add_f32_e32 v1, v1, v164
	s_waitcnt vmcnt(7)
	v_fmac_f32_e32 v166, v133, v204
	v_add_f32_e32 v2, v3, v2
	v_mul_f32_e32 v3, v143, v170
	v_fma_f32 v5, v140, v168, -v10
	v_add_f32_e32 v1, v1, v162
	s_waitcnt vmcnt(6)
	v_fmac_f32_e32 v163, v143, v205
	v_add_f32_e32 v2, v2, v4
	v_mul_f32_e32 v4, v133, v195
	v_fma_f32 v3, v142, v205, -v3
	v_add_f32_e32 v1, v1, v178
	v_fmac_f32_e32 v179, v135, v180
	v_add_f32_e32 v2, v2, v5
	v_mul_f32_e32 v5, v135, v196
	v_fma_f32 v4, v132, v204, -v4
	v_add_f32_e32 v1, v1, v163
	v_mul_f32_e32 v172, v146, v181
	v_add_f32_e32 v2, v2, v3
	v_mul_f32_e32 v3, v145, v197
	v_fma_f32 v5, v134, v180, -v5
	v_add_f32_e32 v1, v1, v166
	v_fmac_f32_e32 v176, v145, v171
	v_add_f32_e32 v2, v2, v4
	v_mul_f32_e32 v4, v147, v181
	v_fma_f32 v3, v144, v171, -v3
	v_add_f32_e32 v1, v1, v179
	s_waitcnt lgkmcnt(1)
	v_mul_f32_e32 v182, v6, v198
	v_add_f32_e32 v2, v2, v5
	v_mul_f32_e32 v5, v7, v198
	s_waitcnt vmcnt(2)
	v_fma_f32 v4, v146, v158, -v4
	v_fmac_f32_e32 v172, v147, v158
	v_add_f32_e32 v1, v1, v176
	v_add_f32_e32 v2, v2, v3
	v_mul_f32_e32 v3, v9, v199
	v_fma_f32 v5, v6, v154, -v5
	v_mul_f32_e32 v160, v8, v199
	v_fmac_f32_e32 v182, v7, v154
	v_add_f32_e32 v2, v2, v4
	v_add_f32_e32 v1, v1, v172
	s_waitcnt lgkmcnt(0)
	v_mul_f32_e32 v4, v149, v200
	v_fma_f32 v3, v8, v153, -v3
	v_mul_f32_e32 v177, v148, v200
	v_add_f32_e32 v2, v2, v5
	v_fmac_f32_e32 v160, v9, v153
	v_add_f32_e32 v1, v1, v182
	v_mul_f32_e32 v5, v151, v169
	v_fma_f32 v4, v148, v152, -v4
	v_add_f32_e32 v2, v2, v3
	v_mul_f32_e32 v136, v150, v169
	v_fmac_f32_e32 v177, v149, v152
	v_add_f32_e32 v1, v1, v160
	s_waitcnt vmcnt(1)
	v_fma_f32 v3, v150, v157, -v5
	v_add_f32_e32 v2, v2, v4
	v_fmac_f32_e32 v136, v151, v157
	v_add_f32_e32 v1, v1, v177
	v_add_f32_e32 v2, v2, v3
	;; [unrolled: 1-line block ×3, first 2 shown]
	s_waitcnt vmcnt(0)
	v_sub_f32_e32 v2, v155, v2
	v_sub_f32_e32 v1, v167, v1
	buffer_store_dword v2, off, s[0:3], 0 offset:48
	buffer_store_dword v1, off, s[0:3], 0 offset:52
	v_cmpx_lt_u32_e32 5, v0
	s_cbranch_execz .LBB122_357
; %bb.356:
	s_clause 0x1
	buffer_load_dword v1, off, s[0:3], 0 offset:40
	buffer_load_dword v2, off, s[0:3], 0 offset:44
	v_mov_b32_e32 v3, 0
	buffer_store_dword v3, off, s[0:3], 0 offset:40
	buffer_store_dword v3, off, s[0:3], 0 offset:44
	s_waitcnt vmcnt(0)
	ds_write_b64 v131, v[1:2]
.LBB122_357:
	s_or_b32 exec_lo, exec_lo, s4
	s_waitcnt lgkmcnt(0)
	s_waitcnt_vscnt null, 0x0
	s_barrier
	buffer_gl0_inv
	s_clause 0x3b
	buffer_load_dword v9, off, s[0:3], 0 offset:52
	buffer_load_dword v2, off, s[0:3], 0 offset:64
	;; [unrolled: 1-line block ×60, first 2 shown]
	v_mov_b32_e32 v1, 0
	ds_read_b128 v[177:180], v1 offset:528
	ds_read_b128 v[181:184], v1 offset:544
	;; [unrolled: 1-line block ×3, first 2 shown]
	buffer_load_dword v194, off, s[0:3], 0 offset:44
	s_mov_b32 s4, exec_lo
	s_waitcnt vmcnt(60) lgkmcnt(2)
	v_mul_f32_e32 v193, v177, v9
	v_mul_f32_e32 v9, v178, v9
	s_waitcnt vmcnt(56)
	v_mul_f32_e32 v195, v179, v6
	v_mul_f32_e32 v6, v180, v6
	v_fmac_f32_e32 v193, v178, v7
	v_fma_f32 v9, v177, v7, -v9
	s_waitcnt vmcnt(55) lgkmcnt(1)
	v_mul_f32_e32 v197, v181, v5
	v_fmac_f32_e32 v195, v180, v4
	v_fma_f32 v196, v179, v4, -v6
	v_mul_f32_e32 v177, v182, v5
	ds_read_b128 v[4:7], v1 offset:576
	v_fmac_f32_e32 v197, v182, v2
	s_waitcnt vmcnt(54)
	v_mul_f32_e32 v199, v183, v3
	s_waitcnt vmcnt(49) lgkmcnt(1)
	v_mul_f32_e32 v200, v185, v166
	v_fma_f32 v198, v181, v2, -v177
	v_mul_f32_e32 v2, v184, v3
	ds_read_b128 v[177:180], v1 offset:592
	v_fmac_f32_e32 v199, v184, v167
	v_fmac_f32_e32 v200, v186, v162
	v_add_f32_e32 v9, 0, v9
	v_fma_f32 v167, v183, v167, -v2
	v_mul_f32_e32 v2, v186, v166
	ds_read_b128 v[181:184], v1 offset:608
	v_add_f32_e32 v9, v9, v196
	v_fma_f32 v166, v185, v162, -v2
	s_waitcnt vmcnt(48)
	v_mul_f32_e32 v185, v187, v163
	v_mul_f32_e32 v2, v188, v163
	v_add_f32_e32 v9, v9, v198
	s_waitcnt vmcnt(47) lgkmcnt(2)
	v_mul_f32_e32 v186, v4, v158
	v_fmac_f32_e32 v185, v188, v154
	v_fma_f32 v154, v187, v154, -v2
	v_mul_f32_e32 v2, v5, v158
	v_fmac_f32_e32 v186, v5, v142
	s_waitcnt vmcnt(46)
	v_mul_f32_e32 v187, v6, v151
	v_fma_f32 v142, v4, v142, -v2
	v_mul_f32_e32 v2, v7, v151
	s_waitcnt vmcnt(42)
	v_fmac_f32_e32 v187, v7, v165
	s_waitcnt vmcnt(41) lgkmcnt(1)
	v_mul_f32_e32 v151, v177, v164
	v_mul_f32_e32 v7, v178, v164
	v_fma_f32 v6, v6, v165, -v2
	ds_read_b128 v[2:5], v1 offset:624
	ds_read_b128 v[162:165], v1 offset:640
	v_fmac_f32_e32 v151, v178, v157
	v_fma_f32 v177, v177, v157, -v7
	s_waitcnt vmcnt(40)
	v_mul_f32_e32 v178, v179, v159
	v_mul_f32_e32 v7, v180, v159
	v_fmac_f32_e32 v178, v180, v149
	v_fma_f32 v179, v179, v149, -v7
	s_waitcnt vmcnt(39) lgkmcnt(2)
	v_mul_f32_e32 v180, v181, v155
	v_mul_f32_e32 v7, v182, v155
	s_waitcnt vmcnt(38)
	v_mul_f32_e32 v155, v183, v147
	v_fmac_f32_e32 v180, v182, v137
	v_fma_f32 v137, v181, v137, -v7
	v_mul_f32_e32 v7, v184, v147
	s_waitcnt vmcnt(34)
	v_fmac_f32_e32 v155, v184, v161
	s_waitcnt vmcnt(33) lgkmcnt(1)
	v_mul_f32_e32 v181, v2, v160
	s_waitcnt vmcnt(30) lgkmcnt(0)
	v_mul_f32_e32 v184, v164, v144
	v_fma_f32 v161, v183, v161, -v7
	v_mul_f32_e32 v7, v3, v160
	ds_read_b128 v[157:160], v1 offset:656
	v_mul_f32_e32 v183, v4, v152
	v_fmac_f32_e32 v181, v3, v150
	s_waitcnt vmcnt(26)
	v_fmac_f32_e32 v184, v165, v156
	v_fma_f32 v182, v2, v150, -v7
	v_mul_f32_e32 v2, v5, v152
	v_fmac_f32_e32 v183, v5, v140
	v_mul_f32_e32 v152, v162, v148
	v_mul_f32_e32 v7, v165, v144
	v_fma_f32 v140, v4, v140, -v2
	v_mul_f32_e32 v2, v163, v148
	v_fmac_f32_e32 v152, v163, v133
	v_fma_f32 v144, v164, v156, -v7
	ds_read_b128 v[147:150], v1 offset:688
	v_fma_f32 v133, v162, v133, -v2
	ds_read_b128 v[2:5], v1 offset:672
	s_waitcnt vmcnt(25) lgkmcnt(2)
	v_mul_f32_e32 v156, v157, v153
	v_mul_f32_e32 v7, v158, v153
	s_waitcnt vmcnt(24)
	v_mul_f32_e32 v153, v159, v145
	v_fmac_f32_e32 v156, v158, v143
	v_fma_f32 v143, v157, v143, -v7
	v_mul_f32_e32 v7, v160, v145
	v_fmac_f32_e32 v153, v160, v135
	s_clause 0x1
	buffer_load_dword v145, off, s[0:3], 0 offset:284
	buffer_load_dword v158, off, s[0:3], 0 offset:292
	v_fma_f32 v135, v159, v135, -v7
	buffer_load_dword v159, off, s[0:3], 0 offset:300
	s_waitcnt vmcnt(26) lgkmcnt(0)
	v_mul_f32_e32 v157, v2, v138
	v_mul_f32_e32 v7, v3, v138
	s_waitcnt vmcnt(25)
	v_mul_f32_e32 v138, v4, v136
	v_mul_f32_e32 v136, v5, v136
	v_fmac_f32_e32 v157, v3, v12
	v_fma_f32 v12, v2, v12, -v7
	s_waitcnt vmcnt(21)
	v_fmac_f32_e32 v138, v5, v146
	v_fma_f32 v136, v4, v146, -v136
	ds_read_b128 v[2:5], v1 offset:704
	s_waitcnt vmcnt(20)
	v_mul_f32_e32 v146, v147, v141
	v_mul_f32_e32 v7, v148, v141
	s_waitcnt vmcnt(19)
	v_mul_f32_e32 v141, v149, v139
	v_mul_f32_e32 v139, v150, v139
	v_fmac_f32_e32 v146, v148, v134
	v_fma_f32 v134, v147, v134, -v7
	v_add_f32_e32 v7, 0, v193
	v_fmac_f32_e32 v141, v150, v132
	v_fma_f32 v132, v149, v132, -v139
	s_clause 0x6
	buffer_load_dword v147, off, s[0:3], 0 offset:320
	buffer_load_dword v148, off, s[0:3], 0 offset:312
	;; [unrolled: 1-line block ×7, first 2 shown]
	v_add_f32_e32 v7, v7, v195
	buffer_load_dword v163, off, s[0:3], 0 offset:332
	v_add_f32_e32 v7, v7, v197
	s_waitcnt vmcnt(26) lgkmcnt(0)
	v_mul_f32_e32 v164, v2, v11
	v_mul_f32_e32 v11, v3, v11
	s_waitcnt vmcnt(25)
	v_mul_f32_e32 v165, v4, v10
	v_add_f32_e32 v7, v7, v199
	v_mul_f32_e32 v10, v5, v10
	v_fmac_f32_e32 v164, v3, v8
	v_fma_f32 v11, v2, v8, -v11
	v_add_f32_e32 v8, v9, v167
	v_add_f32_e32 v7, v7, v200
	s_waitcnt vmcnt(21)
	v_fmac_f32_e32 v165, v5, v189
	v_fma_f32 v10, v4, v189, -v10
	ds_read_b128 v[2:5], v1 offset:720
	v_add_f32_e32 v8, v8, v166
	v_add_f32_e32 v7, v7, v185
	s_clause 0x3
	buffer_load_dword v166, off, s[0:3], 0 offset:352
	buffer_load_dword v167, off, s[0:3], 0 offset:344
	;; [unrolled: 1-line block ×4, first 2 shown]
	v_add_f32_e32 v8, v8, v154
	v_add_f32_e32 v8, v8, v142
	;; [unrolled: 1-line block ×3, first 2 shown]
	s_clause 0x2
	buffer_load_dword v154, off, s[0:3], 0 offset:340
	buffer_load_dword v185, off, s[0:3], 0 offset:348
	;; [unrolled: 1-line block ×3, first 2 shown]
	v_add_f32_e32 v193, v8, v6
	v_add_f32_e32 v142, v142, v187
	ds_read_b128 v[6:9], v1 offset:736
	s_waitcnt vmcnt(27) lgkmcnt(1)
	v_mul_f32_e32 v187, v2, v176
	v_mul_f32_e32 v176, v3, v176
	v_add_f32_e32 v177, v193, v177
	s_waitcnt vmcnt(26)
	v_mul_f32_e32 v193, v4, v175
	v_mul_f32_e32 v175, v5, v175
	v_fmac_f32_e32 v187, v3, v174
	v_add_f32_e32 v3, v142, v151
	v_add_f32_e32 v142, v177, v179
	v_fma_f32 v151, v2, v174, -v176
	v_fmac_f32_e32 v193, v5, v172
	v_fma_f32 v172, v4, v172, -v175
	v_add_f32_e32 v2, v3, v178
	v_add_f32_e32 v3, v142, v137
	s_clause 0x7
	buffer_load_dword v174, off, s[0:3], 0 offset:364
	buffer_load_dword v175, off, s[0:3], 0 offset:372
	;; [unrolled: 1-line block ×8, first 2 shown]
	v_add_f32_e32 v2, v2, v180
	v_add_f32_e32 v3, v3, v161
	s_waitcnt vmcnt(33) lgkmcnt(0)
	v_mul_f32_e32 v142, v6, v171
	v_mul_f32_e32 v4, v7, v171
	s_clause 0x1
	buffer_load_dword v161, off, s[0:3], 0 offset:396
	buffer_load_dword v180, off, s[0:3], 0 offset:404
	v_add_f32_e32 v2, v2, v155
	v_add_f32_e32 v3, v3, v182
	v_fmac_f32_e32 v142, v7, v169
	v_fma_f32 v169, v6, v169, -v4
	s_clause 0x1
	buffer_load_dword v155, off, s[0:3], 0 offset:412
	buffer_load_dword v171, off, s[0:3], 0 offset:420
	v_add_f32_e32 v2, v2, v181
	v_add_f32_e32 v3, v3, v140
	s_clause 0x3
	buffer_load_dword v181, off, s[0:3], 0 offset:428
	buffer_load_dword v182, off, s[0:3], 0 offset:436
	;; [unrolled: 1-line block ×4, first 2 shown]
	s_waitcnt vmcnt(40)
	v_mul_f32_e32 v140, v8, v168
	v_add_f32_e32 v2, v2, v183
	v_add_f32_e32 v6, v3, v133
	v_mul_f32_e32 v3, v9, v168
	buffer_load_dword v183, off, s[0:3], 0 offset:460
	s_waitcnt vmcnt(37)
	v_fmac_f32_e32 v140, v9, v191
	v_add_f32_e32 v7, v2, v152
	v_add_f32_e32 v6, v6, v144
	v_fma_f32 v168, v8, v191, -v3
	ds_read_b128 v[2:5], v1 offset:752
	buffer_load_dword v152, off, s[0:3], 0 offset:468
	v_add_f32_e32 v7, v7, v184
	v_add_f32_e32 v6, v6, v143
	;; [unrolled: 1-line block ×3, first 2 shown]
	s_clause 0x3
	buffer_load_dword v156, off, s[0:3], 0 offset:416
	buffer_load_dword v184, off, s[0:3], 0 offset:408
	;; [unrolled: 1-line block ×4, first 2 shown]
	v_add_f32_e32 v6, v6, v135
	v_add_f32_e32 v133, v7, v153
	;; [unrolled: 1-line block ×3, first 2 shown]
	ds_read_b128 v[6:9], v1 offset:768
	v_add_f32_e32 v133, v133, v157
	v_add_f32_e32 v12, v12, v136
	s_waitcnt vmcnt(41) lgkmcnt(1)
	v_mul_f32_e32 v143, v2, v192
	v_mul_f32_e32 v135, v3, v192
	v_fmac_f32_e32 v143, v3, v190
	v_fma_f32 v144, v2, v190, -v135
	v_add_f32_e32 v3, v12, v134
	s_clause 0x6
	buffer_load_dword v12, off, s[0:3], 0 offset:448
	buffer_load_dword v153, off, s[0:3], 0 offset:440
	;; [unrolled: 1-line block ×7, first 2 shown]
	v_add_f32_e32 v2, v133, v138
	v_add_f32_e32 v3, v3, v132
	;; [unrolled: 1-line block ×18, first 2 shown]
	s_waitcnt vmcnt(46)
	v_mul_f32_e32 v11, v4, v145
	v_mul_f32_e32 v132, v5, v145
	s_waitcnt vmcnt(45) lgkmcnt(0)
	v_mul_f32_e32 v151, v6, v158
	v_mul_f32_e32 v137, v7, v158
	s_waitcnt vmcnt(44)
	v_mul_f32_e32 v158, v8, v159
	v_mul_f32_e32 v138, v9, v159
	v_fmac_f32_e32 v11, v5, v173
	v_fma_f32 v145, v4, v173, -v132
	ds_read_b128 v[2:5], v1 offset:784
	ds_read_b128 v[132:135], v1 offset:800
	v_fmac_f32_e32 v151, v7, v170
	v_fma_f32 v159, v6, v170, -v137
	v_add_f32_e32 v10, v10, v145
	v_add_f32_e32 v11, v144, v11
	;; [unrolled: 1-line block ×4, first 2 shown]
	s_waitcnt vmcnt(40)
	v_fmac_f32_e32 v158, v9, v139
	v_fma_f32 v164, v8, v139, -v138
	ds_read_b128 v[6:9], v1 offset:816
	ds_read_b128 v[136:139], v1 offset:832
	s_waitcnt vmcnt(39) lgkmcnt(3)
	v_mul_f32_e32 v165, v2, v150
	v_mul_f32_e32 v146, v3, v150
	s_waitcnt vmcnt(38)
	v_mul_f32_e32 v169, v4, v160
	v_mul_f32_e32 v142, v5, v160
	s_waitcnt vmcnt(37) lgkmcnt(2)
	v_mul_f32_e32 v160, v132, v162
	v_mul_f32_e32 v150, v133, v162
	v_fmac_f32_e32 v165, v3, v149
	v_fma_f32 v149, v2, v149, -v146
	v_fmac_f32_e32 v169, v5, v148
	v_fma_f32 v162, v4, v148, -v142
	s_waitcnt vmcnt(36)
	v_mul_f32_e32 v168, v134, v163
	v_mul_f32_e32 v146, v135, v163
	v_fma_f32 v163, v132, v147, -v150
	v_fmac_f32_e32 v160, v133, v147
	ds_read_b128 v[2:5], v1 offset:848
	ds_read_b128 v[140:143], v1 offset:864
	s_waitcnt vmcnt(32)
	v_fma_f32 v170, v134, v189, -v146
	v_fmac_f32_e32 v168, v135, v189
	ds_read_b128 v[132:135], v1 offset:880
	ds_read_b128 v[144:147], v1 offset:896
	s_waitcnt vmcnt(31) lgkmcnt(5)
	v_mul_f32_e32 v159, v6, v154
	v_mul_f32_e32 v148, v7, v154
	s_waitcnt vmcnt(30)
	v_mul_f32_e32 v150, v9, v185
	v_mul_f32_e32 v172, v8, v185
	v_fmac_f32_e32 v159, v7, v188
	v_add_f32_e32 v7, v10, v164
	v_add_f32_e32 v10, v11, v158
	v_fma_f32 v154, v6, v188, -v148
	v_fma_f32 v158, v8, v167, -v150
	v_fmac_f32_e32 v172, v9, v167
	v_add_f32_e32 v164, v7, v149
	v_add_f32_e32 v165, v10, v165
	ds_read_b128 v[6:9], v1 offset:912
	ds_read_b128 v[148:151], v1 offset:928
	ds_read_b64 v[10:11], v1 offset:944
	s_waitcnt vmcnt(28) lgkmcnt(7)
	v_mul_f32_e32 v173, v139, v174
	v_add_f32_e32 v162, v164, v162
	v_add_f32_e32 v165, v165, v169
	v_mul_f32_e32 v169, v137, v186
	v_mul_f32_e32 v164, v136, v186
	;; [unrolled: 1-line block ×3, first 2 shown]
	v_add_f32_e32 v162, v162, v163
	v_add_f32_e32 v160, v165, v160
	v_fma_f32 v136, v136, v166, -v169
	v_fmac_f32_e32 v164, v137, v166
	s_waitcnt vmcnt(27) lgkmcnt(6)
	v_mul_f32_e32 v163, v2, v175
	v_add_f32_e32 v162, v162, v170
	v_add_f32_e32 v160, v160, v168
	v_mul_f32_e32 v169, v3, v175
	s_waitcnt vmcnt(21)
	v_fma_f32 v138, v138, v196, -v173
	v_fmac_f32_e32 v167, v139, v196
	v_add_f32_e32 v154, v162, v154
	v_add_f32_e32 v159, v160, v159
	v_fmac_f32_e32 v163, v3, v195
	v_fma_f32 v2, v2, v195, -v169
	v_mul_f32_e32 v165, v4, v176
	v_add_f32_e32 v154, v154, v158
	v_add_f32_e32 v158, v159, v172
	v_mul_f32_e32 v159, v5, v176
	s_waitcnt lgkmcnt(5)
	v_mul_f32_e32 v137, v140, v177
	v_fmac_f32_e32 v165, v5, v179
	v_add_f32_e32 v136, v154, v136
	v_add_f32_e32 v154, v158, v164
	v_fma_f32 v4, v4, v179, -v159
	s_waitcnt vmcnt(20)
	v_mul_f32_e32 v5, v143, v161
	v_mul_f32_e32 v166, v142, v161
	v_add_f32_e32 v3, v136, v138
	v_add_f32_e32 v136, v154, v167
	v_mul_f32_e32 v138, v141, v177
	v_fmac_f32_e32 v137, v141, v178
	s_waitcnt vmcnt(19) lgkmcnt(4)
	v_mul_f32_e32 v168, v132, v180
	v_add_f32_e32 v2, v3, v2
	v_add_f32_e32 v3, v136, v163
	v_fma_f32 v136, v140, v178, -v138
	s_waitcnt vmcnt(18)
	v_mul_f32_e32 v139, v134, v155
	s_waitcnt vmcnt(8)
	v_fmac_f32_e32 v168, v133, v191
	v_add_f32_e32 v2, v2, v4
	v_add_f32_e32 v3, v3, v165
	v_mul_f32_e32 v4, v133, v180
	s_waitcnt vmcnt(7)
	v_fma_f32 v5, v142, v199, -v5
	v_fmac_f32_e32 v166, v143, v199
	v_add_f32_e32 v2, v2, v136
	v_add_f32_e32 v3, v3, v137
	v_mul_f32_e32 v136, v135, v155
	v_fma_f32 v4, v132, v191, -v4
	s_waitcnt lgkmcnt(3)
	v_mul_f32_e32 v170, v144, v171
	v_add_f32_e32 v2, v2, v5
	v_add_f32_e32 v3, v3, v166
	v_mul_f32_e32 v5, v145, v171
	v_fma_f32 v132, v134, v184, -v136
	v_fmac_f32_e32 v139, v135, v184
	v_add_f32_e32 v2, v2, v4
	v_add_f32_e32 v3, v3, v168
	v_mul_f32_e32 v4, v147, v181
	v_fma_f32 v5, v144, v156, -v5
	v_mul_f32_e32 v160, v146, v181
	v_add_f32_e32 v2, v2, v132
	v_fmac_f32_e32 v170, v145, v156
	v_add_f32_e32 v3, v3, v139
	s_waitcnt lgkmcnt(2)
	v_mul_f32_e32 v132, v7, v182
	s_waitcnt vmcnt(3)
	v_fma_f32 v4, v146, v190, -v4
	v_add_f32_e32 v2, v2, v5
	v_mul_f32_e32 v162, v6, v182
	v_fmac_f32_e32 v160, v147, v190
	v_add_f32_e32 v3, v3, v170
	v_mul_f32_e32 v5, v9, v197
	v_fma_f32 v6, v6, v157, -v132
	v_add_f32_e32 v2, v2, v4
	v_mul_f32_e32 v173, v8, v197
	v_fmac_f32_e32 v162, v7, v157
	v_add_f32_e32 v3, v3, v160
	s_waitcnt lgkmcnt(1)
	v_mul_f32_e32 v4, v149, v198
	v_fma_f32 v5, v8, v153, -v5
	v_add_f32_e32 v2, v2, v6
	v_mul_f32_e32 v172, v148, v198
	v_fmac_f32_e32 v173, v9, v153
	v_add_f32_e32 v3, v3, v162
	v_mul_f32_e32 v6, v151, v183
	v_fma_f32 v4, v148, v12, -v4
	v_add_f32_e32 v2, v2, v5
	v_mul_f32_e32 v174, v150, v183
	v_fmac_f32_e32 v172, v149, v12
	v_add_f32_e32 v3, v3, v173
	s_waitcnt lgkmcnt(0)
	v_mul_f32_e32 v5, v11, v152
	s_waitcnt vmcnt(1)
	v_fma_f32 v6, v150, v200, -v6
	v_add_f32_e32 v2, v2, v4
	v_mul_f32_e32 v158, v10, v152
	v_fmac_f32_e32 v174, v151, v200
	v_add_f32_e32 v3, v3, v172
	v_fma_f32 v4, v10, v192, -v5
	v_add_f32_e32 v2, v2, v6
	v_fmac_f32_e32 v158, v11, v192
	v_add_f32_e32 v3, v3, v174
	v_add_f32_e32 v2, v2, v4
	;; [unrolled: 1-line block ×3, first 2 shown]
	s_waitcnt vmcnt(0)
	v_sub_f32_e32 v2, v201, v2
	v_sub_f32_e32 v3, v194, v3
	buffer_store_dword v2, off, s[0:3], 0 offset:40
	buffer_store_dword v3, off, s[0:3], 0 offset:44
	v_cmpx_lt_u32_e32 4, v0
	s_cbranch_execz .LBB122_359
; %bb.358:
	s_clause 0x1
	buffer_load_dword v2, off, s[0:3], 0 offset:32
	buffer_load_dword v3, off, s[0:3], 0 offset:36
	buffer_store_dword v1, off, s[0:3], 0 offset:32
	buffer_store_dword v1, off, s[0:3], 0 offset:36
	s_waitcnt vmcnt(0)
	ds_write_b64 v131, v[2:3]
.LBB122_359:
	s_or_b32 exec_lo, exec_lo, s4
	s_waitcnt lgkmcnt(0)
	s_waitcnt_vscnt null, 0x0
	s_barrier
	buffer_gl0_inv
	s_clause 0x3c
	buffer_load_dword v9, off, s[0:3], 0 offset:44
	buffer_load_dword v10, off, s[0:3], 0 offset:52
	;; [unrolled: 1-line block ×61, first 2 shown]
	ds_read2_b64 v[177:180], v1 offset0:65 offset1:66
	ds_read2_b64 v[181:184], v1 offset0:67 offset1:68
	buffer_load_dword v192, off, s[0:3], 0 offset:36
	s_mov_b32 s4, exec_lo
	s_waitcnt vmcnt(61) lgkmcnt(1)
	v_mul_f32_e32 v190, v177, v9
	v_mul_f32_e32 v9, v178, v9
	s_waitcnt vmcnt(60)
	v_mul_f32_e32 v191, v179, v10
	v_mul_f32_e32 v10, v180, v10
	s_waitcnt vmcnt(57)
	v_fmac_f32_e32 v190, v178, v6
	v_fma_f32 v193, v177, v6, -v9
	v_fmac_f32_e32 v191, v180, v5
	v_fma_f32 v194, v179, v5, -v10
	ds_read2_b64 v[177:180], v1 offset0:69 offset1:70
	s_waitcnt vmcnt(56) lgkmcnt(1)
	v_mul_f32_e32 v195, v181, v4
	v_mul_f32_e32 v4, v182, v4
	s_waitcnt vmcnt(55)
	v_mul_f32_e32 v196, v183, v3
	v_mul_f32_e32 v3, v184, v3
	v_fmac_f32_e32 v195, v182, v2
	v_fma_f32 v181, v181, v2, -v4
	s_waitcnt vmcnt(51)
	v_fmac_f32_e32 v196, v184, v167
	v_fma_f32 v167, v183, v167, -v3
	ds_read2_b64 v[2:5], v1 offset0:71 offset1:72
	s_waitcnt vmcnt(50) lgkmcnt(1)
	v_mul_f32_e32 v182, v177, v166
	v_mul_f32_e32 v6, v178, v166
	s_waitcnt vmcnt(49)
	v_mul_f32_e32 v166, v179, v164
	v_mul_f32_e32 v9, v180, v164
	v_fmac_f32_e32 v182, v178, v160
	v_fma_f32 v160, v177, v160, -v6
	v_fmac_f32_e32 v166, v180, v153
	v_fma_f32 v153, v179, v153, -v9
	ds_read2_b64 v[177:180], v1 offset0:73 offset1:74
	s_waitcnt vmcnt(48) lgkmcnt(1)
	v_mul_f32_e32 v183, v2, v158
	v_mul_f32_e32 v6, v3, v158
	s_waitcnt vmcnt(47)
	v_mul_f32_e32 v184, v4, v156
	v_mul_f32_e32 v9, v5, v156
	v_fmac_f32_e32 v183, v3, v139
	v_fma_f32 v139, v2, v139, -v6
	s_waitcnt vmcnt(43)
	v_fmac_f32_e32 v184, v5, v165
	v_fma_f32 v197, v4, v165, -v9
	ds_read2_b64 v[2:5], v1 offset0:75 offset1:76
	s_waitcnt vmcnt(42) lgkmcnt(1)
	v_mul_f32_e32 v198, v177, v163
	v_mul_f32_e32 v6, v178, v163
	s_waitcnt vmcnt(41)
	v_mul_f32_e32 v199, v179, v162
	v_mul_f32_e32 v9, v180, v162
	ds_read2_b64 v[162:165], v1 offset0:77 offset1:78
	v_fmac_f32_e32 v198, v178, v154
	v_fma_f32 v154, v177, v154, -v6
	v_fmac_f32_e32 v199, v180, v148
	v_fma_f32 v177, v179, v148, -v9
	s_waitcnt vmcnt(40) lgkmcnt(1)
	v_mul_f32_e32 v178, v2, v152
	v_mul_f32_e32 v6, v3, v152
	s_waitcnt vmcnt(39)
	v_mul_f32_e32 v152, v4, v150
	v_mul_f32_e32 v9, v5, v150
	v_fmac_f32_e32 v178, v3, v135
	v_fma_f32 v135, v2, v135, -v6
	s_waitcnt vmcnt(35)
	v_fmac_f32_e32 v152, v5, v161
	v_fma_f32 v161, v4, v161, -v9
	ds_read2_b64 v[2:5], v1 offset0:79 offset1:80
	s_waitcnt vmcnt(34) lgkmcnt(1)
	v_mul_f32_e32 v179, v162, v159
	v_mul_f32_e32 v6, v163, v159
	s_waitcnt vmcnt(33)
	v_mul_f32_e32 v180, v164, v157
	v_mul_f32_e32 v9, v165, v157
	ds_read2_b64 v[156:159], v1 offset0:81 offset1:82
	v_fmac_f32_e32 v179, v163, v146
	v_fma_f32 v146, v162, v146, -v6
	v_fmac_f32_e32 v180, v165, v141
	v_fma_f32 v141, v164, v141, -v9
	;; [unrolled: 23-line block ×3, first 2 shown]
	s_waitcnt vmcnt(24) lgkmcnt(1)
	v_mul_f32_e32 v156, v2, v138
	v_mul_f32_e32 v6, v3, v138
	s_waitcnt vmcnt(23)
	v_mul_f32_e32 v138, v4, v137
	v_mul_f32_e32 v9, v5, v137
	v_fmac_f32_e32 v156, v3, v8
	v_fma_f32 v137, v2, v8, -v6
	s_waitcnt vmcnt(19)
	v_fmac_f32_e32 v138, v5, v147
	v_fma_f32 v147, v4, v147, -v9
	ds_read2_b64 v[2:5], v1 offset0:87 offset1:88
	s_waitcnt vmcnt(18) lgkmcnt(1)
	v_mul_f32_e32 v157, v148, v144
	v_mul_f32_e32 v6, v149, v144
	s_waitcnt vmcnt(17)
	v_mul_f32_e32 v144, v150, v142
	v_mul_f32_e32 v8, v151, v142
	v_fmac_f32_e32 v157, v149, v134
	v_fma_f32 v134, v148, v134, -v6
	v_fmac_f32_e32 v144, v151, v12
	v_fma_f32 v12, v150, v12, -v8
	ds_read2_b64 v[8:11], v1 offset0:89 offset1:90
	s_waitcnt vmcnt(16) lgkmcnt(1)
	v_mul_f32_e32 v142, v2, v133
	v_mul_f32_e32 v6, v3, v133
	s_waitcnt vmcnt(15)
	v_mul_f32_e32 v133, v4, v132
	v_mul_f32_e32 v132, v5, v132
	v_fmac_f32_e32 v142, v3, v7
	v_fma_f32 v148, v2, v7, -v6
	s_waitcnt vmcnt(11)
	v_fmac_f32_e32 v133, v5, v176
	v_fma_f32 v132, v4, v176, -v132
	ds_read2_b64 v[2:5], v1 offset0:91 offset1:92
	s_waitcnt vmcnt(10) lgkmcnt(1)
	v_mul_f32_e32 v149, v8, v175
	v_mul_f32_e32 v6, v9, v175
	s_waitcnt vmcnt(9)
	v_mul_f32_e32 v7, v11, v174
	v_mul_f32_e32 v150, v10, v174
	buffer_load_dword v174, off, s[0:3], 0 offset:292
	v_fmac_f32_e32 v149, v9, v173
	v_fma_f32 v151, v8, v173, -v6
	v_fma_f32 v10, v10, v170, -v7
	ds_read2_b64 v[6:9], v1 offset0:93 offset1:94
	v_fmac_f32_e32 v150, v11, v170
	buffer_load_dword v11, off, s[0:3], 0 offset:284
	s_waitcnt vmcnt(10) lgkmcnt(1)
	v_mul_f32_e32 v158, v2, v172
	v_mul_f32_e32 v159, v3, v172
	s_waitcnt vmcnt(9)
	v_mul_f32_e32 v165, v4, v171
	v_mul_f32_e32 v170, v5, v171
	v_fmac_f32_e32 v158, v3, v169
	v_fma_f32 v159, v2, v169, -v159
	s_waitcnt vmcnt(5)
	v_fmac_f32_e32 v165, v5, v187
	v_fma_f32 v169, v4, v187, -v170
	ds_read2_b64 v[2:5], v1 offset0:95 offset1:96
	s_waitcnt vmcnt(4) lgkmcnt(1)
	v_mul_f32_e32 v170, v6, v188
	v_mul_f32_e32 v171, v7, v188
	s_waitcnt vmcnt(3)
	v_mul_f32_e32 v172, v8, v189
	v_mul_f32_e32 v173, v9, v189
	v_fmac_f32_e32 v170, v7, v186
	v_fma_f32 v171, v6, v186, -v171
	v_fmac_f32_e32 v172, v9, v185
	v_fma_f32 v173, v8, v185, -v173
	s_clause 0x4
	buffer_load_dword v175, off, s[0:3], 0 offset:312
	buffer_load_dword v176, off, s[0:3], 0 offset:304
	;; [unrolled: 1-line block ×5, first 2 shown]
	v_add_f32_e32 v7, 0, v190
	v_add_f32_e32 v6, 0, v193
	s_clause 0x1
	buffer_load_dword v188, off, s[0:3], 0 offset:308
	buffer_load_dword v189, off, s[0:3], 0 offset:316
	v_add_f32_e32 v7, v7, v191
	v_add_f32_e32 v6, v6, v194
	v_add_f32_e32 v7, v7, v195
	v_add_f32_e32 v6, v6, v181
	s_clause 0x1
	buffer_load_dword v181, off, s[0:3], 0 offset:324
	buffer_load_dword v190, off, s[0:3], 0 offset:332
	v_add_f32_e32 v7, v7, v196
	v_add_f32_e32 v6, v6, v167
	;; [unrolled: 1-line block ×4, first 2 shown]
	s_clause 0x3
	buffer_load_dword v160, off, s[0:3], 0 offset:344
	buffer_load_dword v167, off, s[0:3], 0 offset:336
	;; [unrolled: 1-line block ×4, first 2 shown]
	v_add_f32_e32 v7, v7, v166
	v_add_f32_e32 v6, v6, v153
	s_clause 0x2
	buffer_load_dword v153, off, s[0:3], 0 offset:340
	buffer_load_dword v166, off, s[0:3], 0 offset:348
	;; [unrolled: 1-line block ×3, first 2 shown]
	v_add_f32_e32 v7, v7, v183
	v_add_f32_e32 v6, v6, v139
	;; [unrolled: 1-line block ×6, first 2 shown]
	s_clause 0x4
	buffer_load_dword v154, off, s[0:3], 0 offset:376
	buffer_load_dword v183, off, s[0:3], 0 offset:368
	;; [unrolled: 1-line block ×5, first 2 shown]
	v_add_f32_e32 v7, v7, v199
	v_add_f32_e32 v6, v6, v177
	buffer_load_dword v177, off, s[0:3], 0 offset:364
	v_add_f32_e32 v7, v7, v178
	v_add_f32_e32 v6, v6, v135
	buffer_load_dword v178, off, s[0:3], 0 offset:380
	v_add_f32_e32 v7, v7, v152
	v_add_f32_e32 v6, v6, v161
	s_clause 0x4
	buffer_load_dword v161, off, s[0:3], 0 offset:388
	buffer_load_dword v196, off, s[0:3], 0 offset:396
	;; [unrolled: 1-line block ×5, first 2 shown]
	v_add_f32_e32 v7, v7, v179
	v_add_f32_e32 v6, v6, v146
	s_clause 0x3
	buffer_load_dword v179, off, s[0:3], 0 offset:428
	buffer_load_dword v199, off, s[0:3], 0 offset:436
	;; [unrolled: 1-line block ×4, first 2 shown]
	v_add_f32_e32 v7, v7, v180
	v_add_f32_e32 v6, v6, v141
	buffer_load_dword v180, off, s[0:3], 0 offset:452
	v_add_f32_e32 v7, v7, v162
	v_add_f32_e32 v6, v6, v143
	buffer_load_dword v162, off, s[0:3], 0 offset:468
	v_add_f32_e32 v7, v7, v145
	v_add_f32_e32 v6, v6, v155
	;; [unrolled: 1-line block ×3, first 2 shown]
	s_clause 0x3
	buffer_load_dword v155, off, s[0:3], 0 offset:408
	buffer_load_dword v163, off, s[0:3], 0 offset:400
	;; [unrolled: 1-line block ×4, first 2 shown]
	v_add_f32_e32 v6, v6, v140
	v_add_f32_e32 v7, v7, v164
	;; [unrolled: 1-line block ×4, first 2 shown]
	s_clause 0x6
	buffer_load_dword v156, off, s[0:3], 0 offset:440
	buffer_load_dword v164, off, s[0:3], 0 offset:432
	;; [unrolled: 1-line block ×7, first 2 shown]
	v_add_f32_e32 v6, v6, v137
	v_add_f32_e32 v7, v7, v138
	;; [unrolled: 1-line block ×4, first 2 shown]
	buffer_load_dword v157, off, s[0:3], 0 offset:32
	v_add_f32_e32 v6, v6, v134
	v_add_f32_e32 v7, v7, v144
	;; [unrolled: 1-line block ×3, first 2 shown]
	s_waitcnt vmcnt(46) lgkmcnt(0)
	v_mul_f32_e32 v12, v2, v11
	v_mul_f32_e32 v8, v3, v11
	v_fmac_f32_e32 v12, v3, v168
	v_fma_f32 v11, v2, v168, -v8
	v_add_f32_e32 v2, v6, v148
	v_add_f32_e32 v3, v7, v142
	ds_read2_b64 v[6:9], v1 offset0:97 offset1:98
	v_mul_f32_e32 v148, v4, v174
	v_add_f32_e32 v132, v2, v132
	v_mul_f32_e32 v2, v5, v174
	v_add_f32_e32 v133, v3, v133
	v_add_f32_e32 v136, v132, v151
	;; [unrolled: 1-line block ×3, first 2 shown]
	ds_read2_b64 v[132:135], v1 offset0:101 offset1:102
	v_add_f32_e32 v10, v136, v10
	v_add_f32_e32 v137, v137, v150
	s_waitcnt vmcnt(42)
	v_fmac_f32_e32 v148, v5, v186
	v_fma_f32 v168, v4, v186, -v2
	ds_read2_b64 v[2:5], v1 offset0:99 offset1:100
	s_waitcnt vmcnt(41) lgkmcnt(2)
	v_mul_f32_e32 v136, v7, v187
	v_mul_f32_e32 v149, v6, v187
	v_add_f32_e32 v10, v10, v159
	s_waitcnt vmcnt(40)
	v_mul_f32_e32 v140, v9, v188
	v_fma_f32 v150, v6, v185, -v136
	v_add_f32_e32 v6, v137, v158
	v_fmac_f32_e32 v149, v7, v185
	v_add_f32_e32 v7, v10, v169
	v_mul_f32_e32 v10, v8, v188
	ds_read2_b64 v[136:139], v1 offset0:103 offset1:104
	v_add_f32_e32 v6, v6, v165
	v_fma_f32 v151, v8, v176, -v140
	v_add_f32_e32 v7, v7, v171
	v_fmac_f32_e32 v10, v9, v176
	s_waitcnt vmcnt(37) lgkmcnt(2)
	v_mul_f32_e32 v145, v133, v190
	v_add_f32_e32 v6, v6, v170
	v_mul_f32_e32 v165, v132, v190
	s_waitcnt lgkmcnt(1)
	v_mul_f32_e32 v141, v3, v189
	v_mul_f32_e32 v158, v2, v189
	;; [unrolled: 1-line block ×4, first 2 shown]
	s_waitcnt vmcnt(34)
	v_fma_f32 v171, v132, v191, -v145
	v_fma_f32 v169, v2, v175, -v141
	v_add_f32_e32 v2, v7, v173
	v_fmac_f32_e32 v158, v3, v175
	v_add_f32_e32 v3, v6, v172
	s_waitcnt vmcnt(33)
	v_fma_f32 v170, v4, v193, -v144
	ds_read2_b64 v[6:9], v1 offset0:105 offset1:106
	ds_read2_b64 v[140:143], v1 offset0:107 offset1:108
	v_add_f32_e32 v11, v2, v11
	v_fmac_f32_e32 v159, v5, v193
	v_add_f32_e32 v12, v3, v12
	s_waitcnt vmcnt(32)
	v_mul_f32_e32 v132, v135, v153
	v_fmac_f32_e32 v165, v133, v191
	v_add_f32_e32 v11, v11, v168
	v_mul_f32_e32 v168, v134, v153
	v_add_f32_e32 v12, v12, v148
	s_waitcnt vmcnt(31) lgkmcnt(2)
	v_mul_f32_e32 v153, v136, v166
	v_mul_f32_e32 v133, v137, v166
	v_add_f32_e32 v11, v11, v150
	v_fmac_f32_e32 v168, v135, v167
	v_add_f32_e32 v12, v12, v149
	v_fma_f32 v167, v134, v167, -v132
	s_waitcnt vmcnt(30)
	v_mul_f32_e32 v166, v139, v182
	v_add_f32_e32 v11, v11, v151
	v_fmac_f32_e32 v153, v137, v160
	v_add_f32_e32 v10, v12, v10
	v_fma_f32 v160, v136, v160, -v133
	v_mul_f32_e32 v172, v138, v182
	v_add_f32_e32 v11, v11, v169
	s_waitcnt vmcnt(26)
	v_fma_f32 v166, v138, v194, -v166
	v_add_f32_e32 v10, v10, v158
	s_waitcnt vmcnt(24) lgkmcnt(1)
	v_mul_f32_e32 v12, v7, v177
	ds_read2_b64 v[2:5], v1 offset0:109 offset1:110
	ds_read2_b64 v[144:147], v1 offset0:111 offset1:112
	v_add_f32_e32 v11, v11, v170
	ds_read2_b64 v[132:135], v1 offset0:113 offset1:114
	ds_read2_b64 v[148:151], v1 offset0:115 offset1:116
	v_add_f32_e32 v10, v10, v159
	v_fmac_f32_e32 v172, v139, v194
	ds_read2_b64 v[136:139], v1 offset0:117 offset1:118
	v_add_f32_e32 v11, v11, v171
	v_mul_f32_e32 v1, v6, v177
	v_add_f32_e32 v10, v10, v165
	v_mul_f32_e32 v169, v9, v195
	v_fma_f32 v6, v6, v184, -v12
	v_add_f32_e32 v11, v11, v167
	v_mul_f32_e32 v158, v8, v195
	v_add_f32_e32 v10, v10, v168
	v_fmac_f32_e32 v1, v7, v184
	s_waitcnt vmcnt(23) lgkmcnt(5)
	v_mul_f32_e32 v12, v141, v178
	v_add_f32_e32 v11, v11, v160
	v_fma_f32 v8, v8, v183, -v169
	v_add_f32_e32 v10, v10, v153
	v_mul_f32_e32 v170, v140, v178
	v_fmac_f32_e32 v158, v9, v183
	v_add_f32_e32 v11, v11, v166
	s_waitcnt vmcnt(22)
	v_mul_f32_e32 v9, v143, v161
	v_add_f32_e32 v10, v10, v172
	v_mul_f32_e32 v159, v142, v161
	v_fmac_f32_e32 v170, v141, v154
	v_add_f32_e32 v6, v11, v6
	s_waitcnt vmcnt(21) lgkmcnt(4)
	v_mul_f32_e32 v173, v2, v196
	v_add_f32_e32 v1, v10, v1
	v_fma_f32 v10, v140, v154, -v12
	s_waitcnt vmcnt(8)
	v_fma_f32 v9, v142, v203, -v9
	v_add_f32_e32 v6, v6, v8
	v_mul_f32_e32 v8, v3, v196
	v_add_f32_e32 v1, v1, v158
	v_fmac_f32_e32 v159, v143, v203
	v_fmac_f32_e32 v173, v3, v202
	v_add_f32_e32 v6, v6, v10
	v_mul_f32_e32 v10, v5, v152
	v_add_f32_e32 v1, v1, v170
	v_fma_f32 v2, v2, v202, -v8
	v_mul_f32_e32 v171, v4, v152
	v_add_f32_e32 v3, v6, v9
	s_waitcnt lgkmcnt(3)
	v_mul_f32_e32 v6, v145, v197
	v_add_f32_e32 v1, v1, v159
	v_fma_f32 v4, v4, v163, -v10
	v_mul_f32_e32 v165, v144, v197
	v_add_f32_e32 v2, v3, v2
	v_fmac_f32_e32 v171, v5, v163
	v_add_f32_e32 v1, v1, v173
	v_mul_f32_e32 v3, v147, v198
	v_fma_f32 v5, v144, v155, -v6
	v_add_f32_e32 v2, v2, v4
	v_mul_f32_e32 v174, v146, v198
	v_fmac_f32_e32 v165, v145, v155
	v_add_f32_e32 v1, v1, v171
	s_waitcnt lgkmcnt(2)
	v_mul_f32_e32 v4, v133, v179
	s_waitcnt vmcnt(4)
	v_fma_f32 v3, v146, v205, -v3
	v_add_f32_e32 v2, v2, v5
	v_mul_f32_e32 v167, v132, v179
	v_fmac_f32_e32 v174, v147, v205
	v_add_f32_e32 v1, v1, v165
	v_mul_f32_e32 v5, v135, v199
	v_fma_f32 v4, v132, v204, -v4
	v_add_f32_e32 v2, v2, v3
	v_mul_f32_e32 v168, v134, v199
	v_fmac_f32_e32 v167, v133, v204
	v_add_f32_e32 v1, v1, v174
	s_waitcnt lgkmcnt(1)
	v_mul_f32_e32 v3, v149, v200
	v_fma_f32 v5, v134, v164, -v5
	v_add_f32_e32 v2, v2, v4
	v_mul_f32_e32 v175, v148, v200
	v_fmac_f32_e32 v168, v135, v164
	v_add_f32_e32 v1, v1, v167
	v_mul_f32_e32 v4, v151, v180
	v_fma_f32 v3, v148, v156, -v3
	v_add_f32_e32 v2, v2, v5
	v_mul_f32_e32 v160, v150, v180
	v_fmac_f32_e32 v175, v149, v156
	v_add_f32_e32 v1, v1, v168
	s_waitcnt lgkmcnt(0)
	v_mul_f32_e32 v5, v137, v201
	s_waitcnt vmcnt(1)
	v_fma_f32 v4, v150, v208, -v4
	v_add_f32_e32 v2, v2, v3
	v_mul_f32_e32 v153, v136, v201
	v_fmac_f32_e32 v160, v151, v208
	v_add_f32_e32 v1, v1, v175
	v_mul_f32_e32 v3, v139, v162
	v_fma_f32 v5, v136, v207, -v5
	v_add_f32_e32 v2, v2, v4
	v_mul_f32_e32 v7, v138, v162
	v_fmac_f32_e32 v153, v137, v207
	v_add_f32_e32 v1, v1, v160
	v_fma_f32 v3, v138, v206, -v3
	v_add_f32_e32 v2, v2, v5
	v_fmac_f32_e32 v7, v139, v206
	v_add_f32_e32 v1, v1, v153
	v_add_f32_e32 v2, v2, v3
	v_add_f32_e32 v1, v1, v7
	s_waitcnt vmcnt(0)
	v_sub_f32_e32 v2, v157, v2
	v_sub_f32_e32 v1, v192, v1
	buffer_store_dword v2, off, s[0:3], 0 offset:32
	buffer_store_dword v1, off, s[0:3], 0 offset:36
	v_cmpx_lt_u32_e32 3, v0
	s_cbranch_execz .LBB122_361
; %bb.360:
	s_clause 0x1
	buffer_load_dword v1, off, s[0:3], 0 offset:24
	buffer_load_dword v2, off, s[0:3], 0 offset:28
	v_mov_b32_e32 v3, 0
	buffer_store_dword v3, off, s[0:3], 0 offset:24
	buffer_store_dword v3, off, s[0:3], 0 offset:28
	s_waitcnt vmcnt(0)
	ds_write_b64 v131, v[1:2]
.LBB122_361:
	s_or_b32 exec_lo, exec_lo, s4
	s_waitcnt lgkmcnt(0)
	s_waitcnt_vscnt null, 0x0
	s_barrier
	buffer_gl0_inv
	s_clause 0x3c
	buffer_load_dword v2, off, s[0:3], 0 offset:36
	buffer_load_dword v3, off, s[0:3], 0 offset:44
	;; [unrolled: 1-line block ×61, first 2 shown]
	v_mov_b32_e32 v1, 0
	ds_read_b128 v[180:183], v1 offset:512
	ds_read_b128 v[184:187], v1 offset:528
	buffer_load_dword v178, off, s[0:3], 0 offset:28
	s_mov_b32 s4, exec_lo
	s_waitcnt vmcnt(61) lgkmcnt(1)
	v_mul_f32_e32 v191, v180, v2
	v_mul_f32_e32 v2, v181, v2
	s_waitcnt vmcnt(60)
	v_mul_f32_e32 v192, v182, v3
	v_mul_f32_e32 v3, v183, v3
	s_waitcnt vmcnt(59) lgkmcnt(0)
	v_mul_f32_e32 v193, v184, v4
	v_mul_f32_e32 v194, v185, v4
	s_waitcnt vmcnt(58)
	v_mul_f32_e32 v195, v186, v5
	v_mul_f32_e32 v196, v187, v5
	s_waitcnt vmcnt(55)
	v_fmac_f32_e32 v191, v181, v8
	v_fma_f32 v8, v180, v8, -v2
	v_fmac_f32_e32 v192, v183, v7
	v_fma_f32 v7, v182, v7, -v3
	ds_read_b128 v[2:5], v1 offset:544
	ds_read_b128 v[180:183], v1 offset:560
	v_fmac_f32_e32 v193, v185, v6
	v_fma_f32 v6, v184, v6, -v194
	s_waitcnt vmcnt(51)
	v_fma_f32 v184, v186, v162, -v196
	v_fmac_f32_e32 v195, v187, v162
	v_add_f32_e32 v8, 0, v8
	v_add_f32_e32 v7, v8, v7
	;; [unrolled: 1-line block ×3, first 2 shown]
	s_waitcnt vmcnt(50) lgkmcnt(1)
	v_mul_f32_e32 v185, v2, v159
	v_mul_f32_e32 v159, v3, v159
	s_waitcnt vmcnt(49)
	v_mul_f32_e32 v186, v4, v157
	v_mul_f32_e32 v157, v5, v157
	s_waitcnt vmcnt(48) lgkmcnt(0)
	v_mul_f32_e32 v187, v180, v154
	v_fmac_f32_e32 v185, v3, v141
	v_fma_f32 v141, v2, v141, -v159
	v_fmac_f32_e32 v186, v5, v137
	v_fma_f32 v157, v4, v137, -v157
	ds_read_b128 v[2:5], v1 offset:576
	v_mul_f32_e32 v154, v181, v154
	s_waitcnt vmcnt(47)
	v_mul_f32_e32 v194, v182, v152
	v_mul_f32_e32 v152, v183, v152
	v_fmac_f32_e32 v187, v181, v132
	v_fma_f32 v132, v180, v132, -v154
	s_waitcnt vmcnt(43)
	v_fmac_f32_e32 v194, v183, v167
	v_fma_f32 v159, v182, v167, -v152
	ds_read_b128 v[180:183], v1 offset:592
	s_waitcnt vmcnt(42) lgkmcnt(1)
	v_mul_f32_e32 v167, v2, v166
	v_mul_f32_e32 v137, v3, v166
	s_waitcnt vmcnt(41)
	v_mul_f32_e32 v166, v4, v165
	v_mul_f32_e32 v152, v5, v165
	v_fmac_f32_e32 v167, v3, v147
	v_fma_f32 v147, v2, v147, -v137
	v_fmac_f32_e32 v166, v5, v144
	v_fma_f32 v144, v4, v144, -v152
	ds_read_b128 v[2:5], v1 offset:608
	s_waitcnt vmcnt(40) lgkmcnt(1)
	v_mul_f32_e32 v165, v180, v163
	s_waitcnt vmcnt(39)
	v_mul_f32_e32 v196, v182, v161
	v_mul_f32_e32 v161, v183, v161
	;; [unrolled: 1-line block ×3, first 2 shown]
	v_fmac_f32_e32 v165, v181, v138
	s_waitcnt vmcnt(35)
	v_fmac_f32_e32 v196, v183, v164
	v_fma_f32 v181, v182, v164, -v161
	ds_read_b128 v[161:164], v1 offset:624
	v_fma_f32 v180, v180, v138, -v154
	s_waitcnt vmcnt(34) lgkmcnt(1)
	v_mul_f32_e32 v182, v2, v160
	v_mul_f32_e32 v137, v3, v160
	s_waitcnt vmcnt(33)
	v_mul_f32_e32 v160, v4, v158
	v_mul_f32_e32 v138, v5, v158
	v_fmac_f32_e32 v182, v3, v142
	v_fma_f32 v142, v2, v142, -v137
	v_fmac_f32_e32 v160, v5, v139
	v_fma_f32 v197, v4, v139, -v138
	ds_read_b128 v[2:5], v1 offset:640
	s_waitcnt vmcnt(32) lgkmcnt(1)
	v_mul_f32_e32 v158, v161, v155
	v_mul_f32_e32 v152, v162, v155
	s_waitcnt vmcnt(31)
	v_mul_f32_e32 v183, v163, v153
	v_mul_f32_e32 v153, v164, v153
	v_fmac_f32_e32 v158, v162, v133
	v_fma_f32 v133, v161, v133, -v152
	s_waitcnt vmcnt(27)
	v_fmac_f32_e32 v183, v164, v156
	v_fma_f32 v156, v163, v156, -v153
	ds_read_b128 v[152:155], v1 offset:656
	s_waitcnt vmcnt(26) lgkmcnt(1)
	v_mul_f32_e32 v161, v2, v151
	v_mul_f32_e32 v137, v3, v151
	s_waitcnt vmcnt(25)
	v_mul_f32_e32 v151, v4, v150
	v_mul_f32_e32 v138, v5, v150
	v_fmac_f32_e32 v161, v3, v136
	v_fma_f32 v162, v2, v136, -v137
	v_fmac_f32_e32 v151, v5, v134
	v_fma_f32 v134, v4, v134, -v138
	ds_read_b128 v[2:5], v1 offset:672
	s_waitcnt vmcnt(24) lgkmcnt(1)
	v_mul_f32_e32 v150, v152, v148
	v_mul_f32_e32 v139, v153, v148
	s_waitcnt vmcnt(23)
	v_mul_f32_e32 v148, v154, v146
	v_mul_f32_e32 v146, v155, v146
	v_fmac_f32_e32 v150, v153, v10
	v_fma_f32 v10, v152, v10, -v139
	ds_read_b128 v[136:139], v1 offset:688
	s_waitcnt vmcnt(19)
	v_fmac_f32_e32 v148, v155, v149
	v_fma_f32 v146, v154, v149, -v146
	buffer_load_dword v149, off, s[0:3], 0 offset:276
	s_waitcnt vmcnt(18) lgkmcnt(1)
	v_mul_f32_e32 v153, v4, v143
	v_mul_f32_e32 v143, v5, v143
	;; [unrolled: 1-line block ×4, first 2 shown]
	v_fmac_f32_e32 v153, v5, v11
	v_fma_f32 v11, v4, v11, -v143
	s_clause 0x4
	buffer_load_dword v143, off, s[0:3], 0 offset:284
	buffer_load_dword v155, off, s[0:3], 0 offset:304
	;; [unrolled: 1-line block ×5, first 2 shown]
	s_waitcnt vmcnt(22) lgkmcnt(0)
	v_mul_f32_e32 v154, v136, v140
	v_mul_f32_e32 v140, v137, v140
	v_fmac_f32_e32 v152, v3, v135
	v_fma_f32 v135, v2, v135, -v145
	s_waitcnt vmcnt(21)
	v_mul_f32_e32 v2, v139, v12
	v_mul_f32_e32 v145, v138, v12
	v_fmac_f32_e32 v154, v137, v9
	v_fma_f32 v12, v136, v9, -v140
	v_add_f32_e32 v9, 0, v191
	s_waitcnt vmcnt(17)
	v_fma_f32 v136, v138, v176, -v2
	ds_read_b128 v[2:5], v1 offset:704
	buffer_load_dword v137, off, s[0:3], 0 offset:292
	v_add_f32_e32 v138, v6, v184
	v_add_f32_e32 v8, v9, v192
	v_fmac_f32_e32 v145, v139, v176
	s_clause 0x2
	buffer_load_dword v140, off, s[0:3], 0 offset:300
	buffer_load_dword v176, off, s[0:3], 0 offset:308
	;; [unrolled: 1-line block ×3, first 2 shown]
	v_add_f32_e32 v138, v138, v141
	v_add_f32_e32 v7, v8, v193
	;; [unrolled: 1-line block ×4, first 2 shown]
	ds_read_b128 v[6:9], v1 offset:720
	buffer_load_dword v157, off, s[0:3], 0 offset:324
	v_add_f32_e32 v139, v139, v185
	s_waitcnt vmcnt(21) lgkmcnt(1)
	v_mul_f32_e32 v141, v2, v175
	v_mul_f32_e32 v175, v3, v175
	s_waitcnt vmcnt(20)
	v_mul_f32_e32 v185, v4, v174
	v_mul_f32_e32 v174, v5, v174
	v_fmac_f32_e32 v141, v3, v173
	v_fma_f32 v173, v2, v173, -v175
	v_add_f32_e32 v2, v139, v186
	v_fmac_f32_e32 v185, v5, v172
	v_fma_f32 v172, v4, v172, -v174
	s_clause 0x3
	buffer_load_dword v174, off, s[0:3], 0 offset:336
	buffer_load_dword v175, off, s[0:3], 0 offset:328
	;; [unrolled: 1-line block ×4, first 2 shown]
	v_add_f32_e32 v3, v138, v132
	v_add_f32_e32 v2, v2, v187
	s_waitcnt vmcnt(23) lgkmcnt(0)
	v_mul_f32_e32 v139, v6, v170
	v_add_f32_e32 v132, v3, v159
	s_clause 0x2
	buffer_load_dword v159, off, s[0:3], 0 offset:332
	buffer_load_dword v187, off, s[0:3], 0 offset:340
	;; [unrolled: 1-line block ×3, first 2 shown]
	v_add_f32_e32 v138, v2, v194
	ds_read_b128 v[2:5], v1 offset:736
	v_fmac_f32_e32 v139, v7, v168
	v_add_f32_e32 v132, v132, v147
	v_mul_f32_e32 v147, v7, v170
	v_add_f32_e32 v138, v138, v167
	s_waitcnt vmcnt(25)
	v_mul_f32_e32 v167, v8, v169
	v_mul_f32_e32 v169, v9, v169
	v_add_f32_e32 v7, v132, v144
	v_fma_f32 v144, v6, v168, -v147
	v_add_f32_e32 v6, v138, v166
	s_waitcnt vmcnt(21)
	v_fmac_f32_e32 v167, v9, v189
	v_fma_f32 v147, v8, v189, -v169
	v_add_f32_e32 v132, v7, v180
	s_clause 0x4
	buffer_load_dword v166, off, s[0:3], 0 offset:368
	buffer_load_dword v168, off, s[0:3], 0 offset:360
	;; [unrolled: 1-line block ×5, first 2 shown]
	v_add_f32_e32 v138, v6, v165
	ds_read_b128 v[6:9], v1 offset:752
	v_add_f32_e32 v132, v132, v181
	v_add_f32_e32 v138, v138, v196
	s_waitcnt vmcnt(25) lgkmcnt(1)
	v_mul_f32_e32 v181, v3, v190
	v_mul_f32_e32 v165, v2, v190
	v_add_f32_e32 v132, v132, v142
	s_clause 0x2
	buffer_load_dword v189, off, s[0:3], 0 offset:364
	buffer_load_dword v190, off, s[0:3], 0 offset:372
	;; [unrolled: 1-line block ×3, first 2 shown]
	v_fma_f32 v142, v2, v188, -v181
	v_add_f32_e32 v2, v138, v182
	v_fmac_f32_e32 v165, v3, v188
	v_add_f32_e32 v3, v132, v197
	s_waitcnt vmcnt(27)
	v_mul_f32_e32 v181, v4, v179
	s_clause 0x1
	buffer_load_dword v182, off, s[0:3], 0 offset:388
	buffer_load_dword v188, off, s[0:3], 0 offset:396
	v_add_f32_e32 v2, v2, v160
	v_mul_f32_e32 v132, v5, v179
	v_add_f32_e32 v3, v3, v133
	s_clause 0x2
	buffer_load_dword v160, off, s[0:3], 0 offset:404
	buffer_load_dword v179, off, s[0:3], 0 offset:412
	;; [unrolled: 1-line block ×3, first 2 shown]
	v_add_f32_e32 v2, v2, v158
	v_fmac_f32_e32 v181, v5, v177
	v_add_f32_e32 v3, v3, v156
	s_clause 0x2
	buffer_load_dword v156, off, s[0:3], 0 offset:428
	buffer_load_dword v158, off, s[0:3], 0 offset:436
	;; [unrolled: 1-line block ×3, first 2 shown]
	v_fma_f32 v177, v4, v177, -v132
	v_add_f32_e32 v2, v2, v183
	v_add_f32_e32 v3, v3, v162
	s_clause 0x2
	buffer_load_dword v162, off, s[0:3], 0 offset:452
	buffer_load_dword v183, off, s[0:3], 0 offset:460
	;; [unrolled: 1-line block ×3, first 2 shown]
	v_add_f32_e32 v2, v2, v161
	s_clause 0x7
	buffer_load_dword v161, off, s[0:3], 0 offset:400
	buffer_load_dword v197, off, s[0:3], 0 offset:392
	buffer_load_dword v199, off, s[0:3], 0 offset:384
	buffer_load_dword v200, off, s[0:3], 0 offset:376
	buffer_load_dword v201, off, s[0:3], 0 offset:432
	buffer_load_dword v202, off, s[0:3], 0 offset:424
	buffer_load_dword v203, off, s[0:3], 0 offset:416
	buffer_load_dword v204, off, s[0:3], 0 offset:408
	v_add_f32_e32 v3, v3, v134
	v_add_f32_e32 v2, v2, v151
	;; [unrolled: 1-line block ×8, first 2 shown]
	s_clause 0x3
	buffer_load_dword v152, off, s[0:3], 0 offset:464
	buffer_load_dword v205, off, s[0:3], 0 offset:456
	;; [unrolled: 1-line block ×4, first 2 shown]
	v_add_f32_e32 v3, v3, v11
	v_add_f32_e32 v2, v2, v153
	buffer_load_dword v153, off, s[0:3], 0 offset:24
	v_add_f32_e32 v3, v3, v12
	v_add_f32_e32 v2, v2, v154
	s_waitcnt vmcnt(49) lgkmcnt(0)
	v_mul_f32_e32 v10, v6, v149
	v_mul_f32_e32 v4, v7, v149
	v_fmac_f32_e32 v10, v7, v171
	v_fma_f32 v11, v6, v171, -v4
	v_add_f32_e32 v6, v3, v136
	v_add_f32_e32 v7, v2, v145
	ds_read_b128 v[2:5], v1 offset:768
	v_add_f32_e32 v12, v6, v173
	s_waitcnt vmcnt(48)
	v_mul_f32_e32 v145, v8, v143
	v_mul_f32_e32 v6, v9, v143
	v_add_f32_e32 v132, v7, v141
	v_add_f32_e32 v12, v12, v172
	s_waitcnt vmcnt(44)
	v_fmac_f32_e32 v145, v9, v198
	v_fma_f32 v146, v8, v198, -v6
	ds_read_b128 v[6:9], v1 offset:784
	v_add_f32_e32 v136, v132, v185
	v_add_f32_e32 v12, v12, v144
	ds_read_b128 v[132:135], v1 offset:800
	v_add_f32_e32 v136, v136, v139
	v_add_f32_e32 v12, v12, v147
	s_waitcnt vmcnt(43) lgkmcnt(2)
	v_mul_f32_e32 v148, v2, v137
	v_mul_f32_e32 v137, v3, v137
	v_fmac_f32_e32 v148, v3, v164
	v_fma_f32 v149, v2, v164, -v137
	v_add_f32_e32 v2, v136, v167
	v_add_f32_e32 v3, v12, v142
	ds_read_b128 v[136:139], v1 offset:816
	s_waitcnt vmcnt(42)
	v_mul_f32_e32 v12, v4, v140
	s_waitcnt vmcnt(41) lgkmcnt(2)
	v_mul_f32_e32 v141, v7, v176
	v_add_f32_e32 v2, v2, v165
	v_add_f32_e32 v3, v3, v177
	v_mul_f32_e32 v154, v6, v176
	v_mul_f32_e32 v140, v5, v140
	v_fma_f32 v151, v6, v155, -v141
	v_add_f32_e32 v2, v2, v181
	v_add_f32_e32 v6, v3, v11
	v_fmac_f32_e32 v154, v7, v155
	s_waitcnt vmcnt(39) lgkmcnt(1)
	v_mul_f32_e32 v165, v132, v157
	v_fma_f32 v150, v4, v163, -v140
	v_add_f32_e32 v7, v2, v10
	v_mul_f32_e32 v10, v133, v157
	v_add_f32_e32 v11, v6, v146
	v_fmac_f32_e32 v12, v5, v163
	v_mul_f32_e32 v144, v9, v184
	v_mul_f32_e32 v164, v8, v184
	s_waitcnt vmcnt(36)
	v_fma_f32 v157, v132, v186, -v10
	v_add_f32_e32 v10, v7, v145
	v_add_f32_e32 v11, v11, v149
	s_waitcnt vmcnt(35)
	v_fma_f32 v155, v8, v191, -v144
	ds_read_b128 v[2:5], v1 offset:832
	ds_read_b128 v[140:143], v1 offset:848
	v_fmac_f32_e32 v164, v9, v191
	v_add_f32_e32 v10, v10, v148
	v_add_f32_e32 v11, v11, v150
	s_waitcnt vmcnt(34)
	v_mul_f32_e32 v132, v135, v159
	v_fmac_f32_e32 v165, v133, v186
	v_mul_f32_e32 v163, v134, v159
	v_add_f32_e32 v10, v10, v12
	v_add_f32_e32 v12, v11, v151
	s_waitcnt vmcnt(33) lgkmcnt(2)
	v_mul_f32_e32 v133, v137, v187
	v_fma_f32 v172, v134, v175, -v132
	v_mul_f32_e32 v159, v136, v187
	v_add_f32_e32 v154, v10, v154
	v_add_f32_e32 v12, v12, v155
	v_fmac_f32_e32 v163, v135, v175
	s_waitcnt vmcnt(32)
	v_mul_f32_e32 v167, v138, v192
	v_mul_f32_e32 v171, v139, v192
	v_add_f32_e32 v154, v154, v164
	v_add_f32_e32 v12, v12, v157
	v_fma_f32 v173, v136, v174, -v133
	v_fmac_f32_e32 v159, v137, v174
	s_waitcnt vmcnt(28)
	v_fmac_f32_e32 v167, v139, v170
	v_add_f32_e32 v154, v154, v165
	v_add_f32_e32 v12, v12, v172
	v_fma_f32 v170, v138, v170, -v171
	s_waitcnt vmcnt(27) lgkmcnt(1)
	v_mul_f32_e32 v171, v3, v180
	ds_read_b128 v[6:9], v1 offset:864
	ds_read_b128 v[144:147], v1 offset:880
	v_add_f32_e32 v154, v154, v163
	v_add_f32_e32 v12, v12, v173
	v_mul_f32_e32 v155, v2, v180
	s_waitcnt vmcnt(26)
	v_mul_f32_e32 v174, v5, v189
	v_fma_f32 v2, v2, v169, -v171
	v_add_f32_e32 v154, v154, v159
	v_add_f32_e32 v12, v12, v170
	v_mul_f32_e32 v164, v4, v189
	v_fmac_f32_e32 v155, v3, v169
	s_waitcnt vmcnt(25) lgkmcnt(2)
	v_mul_f32_e32 v171, v141, v190
	v_add_f32_e32 v154, v154, v167
	v_fma_f32 v4, v4, v168, -v174
	v_add_f32_e32 v2, v12, v2
	v_mul_f32_e32 v157, v140, v190
	v_fmac_f32_e32 v164, v5, v168
	v_add_f32_e32 v12, v154, v155
	s_waitcnt vmcnt(24)
	v_mul_f32_e32 v167, v143, v193
	v_fma_f32 v140, v140, v166, -v171
	v_add_f32_e32 v2, v2, v4
	v_mul_f32_e32 v165, v142, v193
	v_fmac_f32_e32 v157, v141, v166
	v_add_f32_e32 v4, v12, v164
	s_waitcnt vmcnt(23) lgkmcnt(1)
	v_mul_f32_e32 v12, v7, v182
	v_add_f32_e32 v2, v2, v140
	ds_read_b128 v[132:135], v1 offset:896
	ds_read_b128 v[148:151], v1 offset:912
	s_waitcnt vmcnt(9)
	v_fma_f32 v141, v142, v200, -v167
	v_mul_f32_e32 v3, v6, v182
	v_fmac_f32_e32 v165, v143, v200
	v_add_f32_e32 v4, v4, v157
	v_mul_f32_e32 v140, v9, v188
	v_fma_f32 v6, v6, v199, -v12
	v_add_f32_e32 v2, v2, v141
	v_mul_f32_e32 v169, v8, v188
	v_fmac_f32_e32 v3, v7, v199
	v_add_f32_e32 v4, v4, v165
	s_waitcnt lgkmcnt(2)
	v_mul_f32_e32 v7, v145, v160
	v_fma_f32 v8, v8, v197, -v140
	v_add_f32_e32 v2, v2, v6
	v_mul_f32_e32 v163, v144, v160
	v_fmac_f32_e32 v169, v9, v197
	v_add_f32_e32 v3, v4, v3
	v_mul_f32_e32 v4, v147, v179
	v_fma_f32 v6, v144, v161, -v7
	v_add_f32_e32 v2, v2, v8
	v_mul_f32_e32 v5, v146, v179
	v_fmac_f32_e32 v163, v145, v161
	v_add_f32_e32 v3, v3, v169
	s_waitcnt lgkmcnt(1)
	v_mul_f32_e32 v7, v133, v194
	s_waitcnt vmcnt(5)
	v_fma_f32 v4, v146, v204, -v4
	v_add_f32_e32 v2, v2, v6
	ds_read_b128 v[136:139], v1 offset:928
	ds_read_b64 v[10:11], v1 offset:944
	v_mul_f32_e32 v168, v132, v194
	v_fmac_f32_e32 v5, v147, v204
	v_add_f32_e32 v3, v3, v163
	v_mul_f32_e32 v6, v135, v156
	v_fma_f32 v7, v132, v203, -v7
	v_add_f32_e32 v2, v2, v4
	v_mul_f32_e32 v159, v134, v156
	v_fmac_f32_e32 v168, v133, v203
	v_add_f32_e32 v3, v3, v5
	s_waitcnt lgkmcnt(2)
	v_mul_f32_e32 v4, v149, v158
	v_fma_f32 v5, v134, v202, -v6
	v_add_f32_e32 v2, v2, v7
	v_mul_f32_e32 v172, v148, v158
	v_fmac_f32_e32 v159, v135, v202
	v_add_f32_e32 v3, v3, v168
	v_mul_f32_e32 v6, v151, v195
	v_fma_f32 v4, v148, v201, -v4
	v_add_f32_e32 v2, v2, v5
	v_mul_f32_e32 v173, v150, v195
	v_fmac_f32_e32 v172, v149, v201
	v_add_f32_e32 v3, v3, v159
	s_waitcnt lgkmcnt(1)
	v_mul_f32_e32 v5, v137, v162
	s_waitcnt vmcnt(1)
	v_fma_f32 v6, v150, v207, -v6
	v_add_f32_e32 v2, v2, v4
	v_mul_f32_e32 v170, v136, v162
	v_fmac_f32_e32 v173, v151, v207
	v_add_f32_e32 v3, v3, v172
	v_mul_f32_e32 v4, v139, v183
	v_fma_f32 v5, v136, v206, -v5
	v_add_f32_e32 v2, v2, v6
	v_mul_f32_e32 v174, v138, v183
	v_fmac_f32_e32 v170, v137, v206
	v_add_f32_e32 v3, v3, v173
	s_waitcnt lgkmcnt(0)
	v_mul_f32_e32 v6, v11, v196
	v_fma_f32 v4, v138, v205, -v4
	v_add_f32_e32 v2, v2, v5
	v_mul_f32_e32 v154, v10, v196
	v_fmac_f32_e32 v174, v139, v205
	v_add_f32_e32 v3, v3, v170
	v_fma_f32 v5, v10, v152, -v6
	v_add_f32_e32 v2, v2, v4
	v_fmac_f32_e32 v154, v11, v152
	v_add_f32_e32 v3, v3, v174
	v_add_f32_e32 v2, v2, v5
	;; [unrolled: 1-line block ×3, first 2 shown]
	s_waitcnt vmcnt(0)
	v_sub_f32_e32 v2, v153, v2
	v_sub_f32_e32 v3, v178, v3
	buffer_store_dword v2, off, s[0:3], 0 offset:24
	buffer_store_dword v3, off, s[0:3], 0 offset:28
	v_cmpx_lt_u32_e32 2, v0
	s_cbranch_execz .LBB122_363
; %bb.362:
	s_clause 0x1
	buffer_load_dword v2, off, s[0:3], 0 offset:16
	buffer_load_dword v3, off, s[0:3], 0 offset:20
	buffer_store_dword v1, off, s[0:3], 0 offset:16
	buffer_store_dword v1, off, s[0:3], 0 offset:20
	s_waitcnt vmcnt(0)
	ds_write_b64 v131, v[2:3]
.LBB122_363:
	s_or_b32 exec_lo, exec_lo, s4
	s_waitcnt lgkmcnt(0)
	s_waitcnt_vscnt null, 0x0
	s_barrier
	buffer_gl0_inv
	s_clause 0x34
	buffer_load_dword v167, off, s[0:3], 0 offset:28
	buffer_load_dword v168, off, s[0:3], 0 offset:36
	;; [unrolled: 1-line block ×53, first 2 shown]
	ds_read2_b64 v[175:178], v1 offset0:63 offset1:64
	ds_read2_b64 v[179:182], v1 offset0:65 offset1:66
	;; [unrolled: 1-line block ×4, first 2 shown]
	s_mov_b32 s4, exec_lo
	s_waitcnt vmcnt(52) lgkmcnt(3)
	v_mul_f32_e32 v170, v175, v167
	v_mul_f32_e32 v191, v176, v167
	s_waitcnt vmcnt(51)
	v_mul_f32_e32 v167, v177, v168
	v_mul_f32_e32 v192, v178, v168
	buffer_load_dword v168, off, s[0:3], 0 offset:20
	s_waitcnt vmcnt(49)
	v_fmac_f32_e32 v170, v176, v6
	v_fma_f32 v191, v175, v6, -v191
	v_fmac_f32_e32 v167, v178, v5
	v_fma_f32 v192, v177, v5, -v192
	ds_read2_b64 v[175:178], v1 offset0:71 offset1:72
	s_waitcnt vmcnt(48) lgkmcnt(3)
	v_mul_f32_e32 v193, v179, v4
	v_mul_f32_e32 v4, v180, v4
	s_waitcnt vmcnt(47)
	v_mul_f32_e32 v194, v181, v3
	v_mul_f32_e32 v3, v182, v3
	s_waitcnt vmcnt(46) lgkmcnt(2)
	v_mul_f32_e32 v195, v183, v8
	v_fmac_f32_e32 v193, v180, v2
	v_fma_f32 v197, v179, v2, -v4
	s_waitcnt vmcnt(41)
	v_fmac_f32_e32 v194, v182, v133
	v_fma_f32 v133, v181, v133, -v3
	ds_read2_b64 v[2:5], v1 offset0:73 offset1:74
	ds_read2_b64 v[179:182], v1 offset0:75 offset1:76
	v_mul_f32_e32 v6, v184, v8
	v_mul_f32_e32 v196, v185, v7
	;; [unrolled: 1-line block ×3, first 2 shown]
	v_fmac_f32_e32 v195, v184, v132
	v_fma_f32 v132, v183, v132, -v6
	v_fmac_f32_e32 v196, v186, v11
	v_fma_f32 v11, v185, v11, -v7
	s_waitcnt vmcnt(40) lgkmcnt(3)
	v_mul_f32_e32 v183, v187, v12
	v_mul_f32_e32 v6, v188, v12
	s_waitcnt vmcnt(39)
	v_mul_f32_e32 v12, v189, v10
	v_mul_f32_e32 v7, v190, v10
	s_waitcnt vmcnt(34) lgkmcnt(2)
	v_mul_f32_e32 v185, v175, v164
	v_fmac_f32_e32 v183, v188, v9
	v_fma_f32 v184, v187, v9, -v6
	v_fmac_f32_e32 v12, v190, v165
	v_fma_f32 v165, v189, v165, -v7
	ds_read2_b64 v[6:9], v1 offset0:77 offset1:78
	v_mul_f32_e32 v164, v176, v164
	s_waitcnt vmcnt(33)
	v_mul_f32_e32 v186, v177, v163
	v_mul_f32_e32 v163, v178, v163
	s_waitcnt vmcnt(32) lgkmcnt(2)
	v_mul_f32_e32 v187, v2, v162
	v_mul_f32_e32 v162, v3, v162
	v_fmac_f32_e32 v185, v176, v157
	v_fma_f32 v164, v175, v157, -v164
	s_waitcnt vmcnt(31)
	v_mul_f32_e32 v175, v4, v161
	v_mul_f32_e32 v157, v5, v161
	v_fmac_f32_e32 v186, v178, v153
	v_fma_f32 v153, v177, v153, -v163
	s_waitcnt vmcnt(30) lgkmcnt(1)
	v_mul_f32_e32 v161, v179, v158
	v_mul_f32_e32 v163, v180, v158
	s_waitcnt vmcnt(29)
	v_mul_f32_e32 v176, v181, v159
	v_mul_f32_e32 v177, v182, v159
	buffer_load_dword v10, off, s[0:3], 0 offset:236
	v_fmac_f32_e32 v187, v3, v143
	v_fma_f32 v143, v2, v143, -v162
	s_waitcnt vmcnt(26)
	v_fmac_f32_e32 v175, v5, v160
	v_fma_f32 v162, v4, v160, -v157
	ds_read2_b64 v[2:5], v1 offset0:79 offset1:80
	ds_read2_b64 v[157:160], v1 offset0:81 offset1:82
	v_fmac_f32_e32 v161, v180, v156
	v_fma_f32 v156, v179, v156, -v163
	v_fmac_f32_e32 v176, v182, v154
	v_fma_f32 v154, v181, v154, -v177
	s_clause 0x4
	buffer_load_dword v163, off, s[0:3], 0 offset:244
	buffer_load_dword v177, off, s[0:3], 0 offset:264
	;; [unrolled: 1-line block ×5, first 2 shown]
	s_waitcnt vmcnt(30) lgkmcnt(2)
	v_mul_f32_e32 v181, v6, v149
	v_mul_f32_e32 v149, v7, v149
	s_waitcnt vmcnt(29)
	v_mul_f32_e32 v182, v8, v147
	v_mul_f32_e32 v147, v9, v147
	v_fmac_f32_e32 v181, v7, v139
	v_fma_f32 v139, v6, v139, -v149
	s_waitcnt vmcnt(25)
	v_fmac_f32_e32 v182, v9, v155
	v_fma_f32 v147, v8, v155, -v147
	ds_read2_b64 v[6:9], v1 offset0:83 offset1:84
	s_waitcnt vmcnt(24) lgkmcnt(2)
	v_mul_f32_e32 v149, v2, v152
	v_mul_f32_e32 v152, v3, v152
	s_waitcnt vmcnt(23)
	v_mul_f32_e32 v155, v4, v151
	v_mul_f32_e32 v151, v5, v151
	v_fmac_f32_e32 v149, v3, v144
	v_fma_f32 v144, v2, v144, -v152
	s_waitcnt vmcnt(22) lgkmcnt(1)
	v_mul_f32_e32 v152, v157, v148
	v_mul_f32_e32 v2, v158, v148
	v_fmac_f32_e32 v155, v5, v140
	v_fma_f32 v140, v4, v140, -v151
	s_waitcnt vmcnt(21)
	v_mul_f32_e32 v148, v159, v142
	v_mul_f32_e32 v3, v160, v142
	s_clause 0x1
	buffer_load_dword v142, off, s[0:3], 0 offset:252
	buffer_load_dword v151, off, s[0:3], 0 offset:260
	v_fmac_f32_e32 v152, v158, v135
	v_fma_f32 v135, v157, v135, -v2
	s_waitcnt vmcnt(19)
	v_fmac_f32_e32 v148, v160, v150
	v_fma_f32 v150, v159, v150, -v3
	ds_read2_b64 v[2:5], v1 offset0:85 offset1:86
	s_waitcnt vmcnt(18) lgkmcnt(1)
	v_mul_f32_e32 v157, v6, v146
	v_mul_f32_e32 v146, v7, v146
	s_waitcnt vmcnt(17)
	v_mul_f32_e32 v158, v8, v145
	v_mul_f32_e32 v145, v9, v145
	v_fmac_f32_e32 v157, v7, v141
	v_fma_f32 v141, v6, v141, -v146
	v_fmac_f32_e32 v158, v9, v136
	v_fma_f32 v136, v8, v136, -v145
	ds_read2_b64 v[6:9], v1 offset0:87 offset1:88
	buffer_load_dword v145, off, s[0:3], 0 offset:268
	s_waitcnt vmcnt(16) lgkmcnt(1)
	v_mul_f32_e32 v159, v4, v137
	v_mul_f32_e32 v137, v5, v137
	;; [unrolled: 1-line block ×4, first 2 shown]
	s_waitcnt vmcnt(12)
	v_fmac_f32_e32 v159, v5, v174
	v_fma_f32 v137, v4, v174, -v137
	buffer_load_dword v174, off, s[0:3], 0 offset:276
	v_fmac_f32_e32 v146, v3, v134
	v_fma_f32 v134, v2, v134, -v138
	s_waitcnt vmcnt(12) lgkmcnt(0)
	v_mul_f32_e32 v138, v6, v173
	v_mul_f32_e32 v160, v7, v173
	s_waitcnt vmcnt(11)
	v_mul_f32_e32 v173, v8, v172
	v_mul_f32_e32 v172, v9, v172
	ds_read2_b64 v[2:5], v1 offset0:89 offset1:90
	v_fmac_f32_e32 v138, v7, v171
	v_fma_f32 v160, v6, v171, -v160
	v_fmac_f32_e32 v173, v9, v169
	v_fma_f32 v169, v8, v169, -v172
	s_clause 0x4
	buffer_load_dword v171, off, s[0:3], 0 offset:296
	buffer_load_dword v172, off, s[0:3], 0 offset:288
	;; [unrolled: 1-line block ×5, first 2 shown]
	v_add_f32_e32 v6, 0, v191
	v_add_f32_e32 v7, 0, v170
	buffer_load_dword v191, off, s[0:3], 0 offset:292
	v_add_f32_e32 v6, v6, v192
	v_add_f32_e32 v7, v7, v167
	s_clause 0x1
	buffer_load_dword v167, off, s[0:3], 0 offset:300
	buffer_load_dword v170, off, s[0:3], 0 offset:308
	v_add_f32_e32 v6, v6, v197
	v_add_f32_e32 v7, v7, v193
	;; [unrolled: 1-line block ×4, first 2 shown]
	s_clause 0x3
	buffer_load_dword v192, off, s[0:3], 0 offset:328
	buffer_load_dword v193, off, s[0:3], 0 offset:320
	;; [unrolled: 1-line block ×4, first 2 shown]
	v_add_f32_e32 v6, v6, v132
	v_add_f32_e32 v7, v7, v195
	;; [unrolled: 1-line block ×4, first 2 shown]
	s_clause 0x3
	buffer_load_dword v11, off, s[0:3], 0 offset:316
	buffer_load_dword v195, off, s[0:3], 0 offset:324
	;; [unrolled: 1-line block ×4, first 2 shown]
	v_add_f32_e32 v6, v6, v184
	v_add_f32_e32 v7, v7, v183
	;; [unrolled: 1-line block ×14, first 2 shown]
	s_waitcnt vmcnt(25) lgkmcnt(0)
	v_mul_f32_e32 v132, v2, v10
	v_mul_f32_e32 v8, v3, v10
	v_fmac_f32_e32 v132, v3, v166
	s_waitcnt vmcnt(24)
	v_mul_f32_e32 v10, v4, v163
	v_mul_f32_e32 v9, v5, v163
	v_fma_f32 v133, v2, v166, -v8
	s_waitcnt vmcnt(20)
	v_fmac_f32_e32 v10, v5, v180
	v_fma_f32 v12, v4, v180, -v9
	ds_read2_b64 v[2:5], v1 offset0:91 offset1:92
	s_clause 0x6
	buffer_load_dword v163, off, s[0:3], 0 offset:360
	buffer_load_dword v164, off, s[0:3], 0 offset:352
	buffer_load_dword v165, off, s[0:3], 0 offset:344
	buffer_load_dword v166, off, s[0:3], 0 offset:336
	buffer_load_dword v153, off, s[0:3], 0 offset:348
	buffer_load_dword v180, off, s[0:3], 0 offset:356
	buffer_load_dword v183, off, s[0:3], 0 offset:364
	ds_read2_b64 v[6:9], v1 offset0:93 offset1:94
	s_waitcnt vmcnt(26) lgkmcnt(1)
	v_mul_f32_e32 v175, v2, v142
	v_mul_f32_e32 v142, v3, v142
	s_waitcnt vmcnt(25)
	v_mul_f32_e32 v162, v4, v151
	v_mul_f32_e32 v151, v5, v151
	v_fmac_f32_e32 v175, v3, v179
	v_add_f32_e32 v3, v143, v176
	v_fma_f32 v142, v2, v179, -v142
	v_add_f32_e32 v2, v156, v154
	v_fma_f32 v143, v4, v178, -v151
	s_clause 0x3
	buffer_load_dword v154, off, s[0:3], 0 offset:372
	buffer_load_dword v156, off, s[0:3], 0 offset:380
	;; [unrolled: 1-line block ×4, first 2 shown]
	v_add_f32_e32 v3, v3, v181
	v_fmac_f32_e32 v162, v5, v178
	v_add_f32_e32 v2, v2, v139
	s_clause 0x3
	buffer_load_dword v178, off, s[0:3], 0 offset:404
	buffer_load_dword v179, off, s[0:3], 0 offset:412
	;; [unrolled: 1-line block ×4, first 2 shown]
	v_add_f32_e32 v3, v3, v182
	s_waitcnt vmcnt(32) lgkmcnt(0)
	v_mul_f32_e32 v4, v7, v145
	v_add_f32_e32 v2, v2, v147
	v_mul_f32_e32 v147, v6, v145
	s_clause 0x3
	buffer_load_dword v182, off, s[0:3], 0 offset:436
	buffer_load_dword v185, off, s[0:3], 0 offset:444
	;; [unrolled: 1-line block ×4, first 2 shown]
	v_add_f32_e32 v3, v3, v149
	buffer_load_dword v199, off, s[0:3], 0 offset:468
	v_add_f32_e32 v2, v2, v144
	v_fmac_f32_e32 v147, v7, v177
	v_fma_f32 v144, v6, v177, -v4
	v_add_f32_e32 v6, v3, v155
	s_clause 0x3
	buffer_load_dword v155, off, s[0:3], 0 offset:392
	buffer_load_dword v177, off, s[0:3], 0 offset:384
	;; [unrolled: 1-line block ×4, first 2 shown]
	v_add_f32_e32 v2, v2, v140
	v_add_f32_e32 v6, v6, v152
	;; [unrolled: 1-line block ×3, first 2 shown]
	s_waitcnt vmcnt(40)
	v_mul_f32_e32 v2, v9, v174
	v_mul_f32_e32 v140, v8, v174
	v_add_f32_e32 v6, v6, v148
	v_add_f32_e32 v7, v7, v150
	;; [unrolled: 1-line block ×4, first 2 shown]
	s_waitcnt vmcnt(36)
	v_fma_f32 v145, v8, v189, -v2
	ds_read2_b64 v[2:5], v1 offset0:95 offset1:96
	v_fmac_f32_e32 v140, v9, v189
	s_clause 0x3
	buffer_load_dword v152, off, s[0:3], 0 offset:424
	buffer_load_dword v174, off, s[0:3], 0 offset:416
	;; [unrolled: 1-line block ×4, first 2 shown]
	v_add_f32_e32 v135, v7, v136
	v_add_f32_e32 v136, v6, v158
	ds_read2_b64 v[6:9], v1 offset0:97 offset1:98
	v_add_f32_e32 v134, v135, v134
	v_add_f32_e32 v136, v136, v146
	s_waitcnt vmcnt(39) lgkmcnt(1)
	v_mul_f32_e32 v148, v2, v190
	v_mul_f32_e32 v135, v3, v190
	s_waitcnt vmcnt(38)
	v_mul_f32_e32 v149, v4, v191
	v_fmac_f32_e32 v148, v3, v188
	v_fma_f32 v146, v2, v188, -v135
	v_add_f32_e32 v3, v136, v159
	s_clause 0x3
	buffer_load_dword v157, off, s[0:3], 0 offset:456
	buffer_load_dword v158, off, s[0:3], 0 offset:448
	;; [unrolled: 1-line block ×4, first 2 shown]
	v_add_f32_e32 v2, v134, v137
	buffer_load_dword v190, off, s[0:3], 0 offset:16
	v_mul_f32_e32 v134, v5, v191
	v_add_f32_e32 v3, v3, v138
	v_fmac_f32_e32 v149, v5, v172
	v_add_f32_e32 v2, v2, v160
	buffer_load_dword v160, off, s[0:3], 0 offset:464
	v_fma_f32 v150, v4, v172, -v134
	v_add_f32_e32 v135, v3, v173
	s_waitcnt vmcnt(43) lgkmcnt(0)
	v_mul_f32_e32 v151, v6, v167
	v_add_f32_e32 v2, v2, v169
	v_add_f32_e32 v137, v135, v132
	v_fmac_f32_e32 v151, v7, v171
	v_add_f32_e32 v136, v2, v133
	ds_read2_b64 v[2:5], v1 offset0:99 offset1:100
	ds_read2_b64 v[132:135], v1 offset0:101 offset1:102
	v_add_f32_e32 v10, v137, v10
	s_waitcnt vmcnt(42)
	v_mul_f32_e32 v137, v9, v170
	v_add_f32_e32 v12, v136, v12
	v_mul_f32_e32 v136, v7, v167
	v_mul_f32_e32 v167, v8, v170
	v_add_f32_e32 v10, v10, v175
	s_waitcnt vmcnt(38)
	v_fma_f32 v170, v8, v197, -v137
	v_add_f32_e32 v12, v12, v142
	v_fma_f32 v169, v6, v171, -v136
	v_fmac_f32_e32 v167, v9, v197
	ds_read2_b64 v[6:9], v1 offset0:103 offset1:104
	ds_read2_b64 v[136:139], v1 offset0:105 offset1:106
	v_add_f32_e32 v10, v10, v162
	v_add_f32_e32 v12, v12, v143
	;; [unrolled: 1-line block ×4, first 2 shown]
	s_waitcnt vmcnt(36) lgkmcnt(3)
	v_mul_f32_e32 v162, v4, v195
	s_waitcnt vmcnt(35) lgkmcnt(2)
	v_mul_f32_e32 v172, v132, v198
	v_mul_f32_e32 v144, v133, v198
	v_add_f32_e32 v10, v10, v140
	v_add_f32_e32 v12, v12, v145
	v_mul_f32_e32 v141, v5, v195
	v_fmac_f32_e32 v172, v133, v192
	v_fma_f32 v191, v132, v192, -v144
	v_add_f32_e32 v10, v10, v148
	v_add_f32_e32 v12, v12, v146
	v_mul_f32_e32 v171, v2, v11
	v_mul_f32_e32 v11, v3, v11
	v_fmac_f32_e32 v162, v5, v193
	v_add_f32_e32 v10, v10, v149
	v_add_f32_e32 v12, v12, v150
	v_fma_f32 v175, v4, v193, -v141
	v_fma_f32 v11, v2, v194, -v11
	v_fmac_f32_e32 v171, v3, v194
	v_add_f32_e32 v10, v10, v151
	s_waitcnt vmcnt(34)
	v_mul_f32_e32 v173, v134, v196
	v_mul_f32_e32 v145, v135, v196
	ds_read2_b64 v[2:5], v1 offset0:107 offset1:108
	ds_read2_b64 v[140:143], v1 offset0:109 offset1:110
	v_add_f32_e32 v10, v10, v167
	v_add_f32_e32 v10, v10, v171
	;; [unrolled: 1-line block ×4, first 2 shown]
	s_waitcnt vmcnt(29) lgkmcnt(3)
	v_mul_f32_e32 v192, v6, v153
	s_waitcnt vmcnt(28)
	v_mul_f32_e32 v193, v8, v180
	v_mul_f32_e32 v148, v7, v153
	;; [unrolled: 1-line block ×3, first 2 shown]
	v_fmac_f32_e32 v173, v135, v166
	v_fmac_f32_e32 v192, v7, v165
	v_add_f32_e32 v7, v12, v169
	v_fmac_f32_e32 v193, v9, v164
	v_fma_f32 v153, v8, v164, -v149
	v_fma_f32 v166, v134, v166, -v145
	;; [unrolled: 1-line block ×3, first 2 shown]
	v_add_f32_e32 v164, v7, v170
	v_add_f32_e32 v10, v10, v173
	ds_read2_b64 v[132:135], v1 offset0:111 offset1:112
	ds_read2_b64 v[144:147], v1 offset0:113 offset1:114
	;; [unrolled: 1-line block ×4, first 2 shown]
	s_waitcnt vmcnt(27) lgkmcnt(6)
	v_mul_f32_e32 v1, v136, v183
	v_add_f32_e32 v11, v164, v11
	v_mul_f32_e32 v164, v137, v183
	v_add_f32_e32 v10, v10, v192
	v_fmac_f32_e32 v1, v137, v163
	v_add_f32_e32 v11, v11, v175
	v_fma_f32 v136, v136, v163, -v164
	v_add_f32_e32 v10, v10, v193
	v_add_f32_e32 v11, v11, v191
	;; [unrolled: 1-line block ×3, first 2 shown]
	s_waitcnt vmcnt(26)
	v_mul_f32_e32 v165, v138, v154
	v_add_f32_e32 v11, v11, v166
	v_mul_f32_e32 v154, v139, v154
	s_waitcnt vmcnt(25) lgkmcnt(5)
	v_mul_f32_e32 v167, v2, v156
	s_waitcnt vmcnt(24)
	v_mul_f32_e32 v10, v5, v161
	v_mul_f32_e32 v162, v4, v161
	v_add_f32_e32 v11, v11, v12
	s_waitcnt vmcnt(23) lgkmcnt(4)
	v_mul_f32_e32 v169, v140, v176
	s_waitcnt vmcnt(22)
	v_mul_f32_e32 v170, v142, v178
	s_waitcnt vmcnt(21) lgkmcnt(3)
	v_mul_f32_e32 v171, v132, v179
	s_waitcnt vmcnt(20)
	v_mul_f32_e32 v172, v134, v181
	v_add_f32_e32 v11, v11, v153
	v_mul_f32_e32 v153, v3, v156
	s_waitcnt vmcnt(19) lgkmcnt(2)
	v_mul_f32_e32 v166, v144, v184
	s_waitcnt vmcnt(18)
	v_mul_f32_e32 v173, v146, v182
	s_waitcnt vmcnt(17) lgkmcnt(1)
	v_mul_f32_e32 v175, v6, v185
	v_add_f32_e32 v11, v11, v136
	s_waitcnt vmcnt(13)
	v_fmac_f32_e32 v169, v141, v155
	s_waitcnt vmcnt(12)
	v_fma_f32 v4, v4, v177, -v10
	s_waitcnt vmcnt(11)
	v_fmac_f32_e32 v167, v3, v200
	s_waitcnt vmcnt(10)
	v_fma_f32 v138, v138, v201, -v154
	v_fmac_f32_e32 v165, v139, v201
	v_fma_f32 v2, v2, v200, -v153
	v_fmac_f32_e32 v162, v5, v177
	v_mul_f32_e32 v12, v8, v186
	v_add_f32_e32 v3, v11, v138
	v_add_f32_e32 v1, v1, v165
	v_mul_f32_e32 v11, v141, v176
	s_waitcnt lgkmcnt(0)
	v_mul_f32_e32 v180, v148, v187
	v_mul_f32_e32 v137, v150, v199
	v_add_f32_e32 v2, v3, v2
	v_add_f32_e32 v1, v1, v167
	v_mul_f32_e32 v3, v143, v178
	v_fma_f32 v5, v140, v155, -v11
	v_add_f32_e32 v2, v2, v4
	v_add_f32_e32 v1, v1, v162
	v_mul_f32_e32 v4, v133, v179
	s_waitcnt vmcnt(8)
	v_fmac_f32_e32 v172, v135, v174
	s_waitcnt vmcnt(7)
	v_fmac_f32_e32 v171, v133, v189
	s_waitcnt vmcnt(6)
	v_fma_f32 v3, v142, v202, -v3
	v_add_f32_e32 v2, v2, v5
	v_fmac_f32_e32 v170, v143, v202
	v_add_f32_e32 v1, v1, v169
	v_mul_f32_e32 v5, v135, v181
	v_fma_f32 v4, v132, v189, -v4
	v_add_f32_e32 v2, v2, v3
	v_mul_f32_e32 v3, v145, v184
	v_add_f32_e32 v1, v1, v170
	v_fma_f32 v5, v134, v174, -v5
	v_fmac_f32_e32 v166, v145, v152
	v_add_f32_e32 v2, v2, v4
	v_mul_f32_e32 v4, v147, v182
	v_add_f32_e32 v1, v1, v171
	v_fma_f32 v3, v144, v152, -v3
	v_add_f32_e32 v2, v2, v5
	v_mul_f32_e32 v5, v7, v185
	v_add_f32_e32 v1, v1, v172
	v_add_f32_e32 v2, v2, v3
	v_mul_f32_e32 v3, v9, v186
	v_add_f32_e32 v1, v1, v166
	s_waitcnt vmcnt(4)
	v_fmac_f32_e32 v12, v9, v158
	s_waitcnt vmcnt(3)
	v_fma_f32 v5, v6, v159, -v5
	s_waitcnt vmcnt(2)
	v_fma_f32 v4, v146, v188, -v4
	v_fmac_f32_e32 v173, v147, v188
	v_fmac_f32_e32 v175, v7, v159
	v_fma_f32 v3, v8, v158, -v3
	v_fmac_f32_e32 v180, v149, v157
	v_add_f32_e32 v2, v2, v4
	v_add_f32_e32 v1, v1, v173
	v_mul_f32_e32 v4, v149, v187
	s_waitcnt vmcnt(0)
	v_fmac_f32_e32 v137, v151, v160
	v_add_f32_e32 v2, v2, v5
	v_add_f32_e32 v1, v1, v175
	v_mul_f32_e32 v5, v151, v199
	v_fma_f32 v4, v148, v157, -v4
	v_add_f32_e32 v2, v2, v3
	v_add_f32_e32 v1, v1, v12
	v_fma_f32 v3, v150, v160, -v5
	v_add_f32_e32 v2, v2, v4
	v_add_f32_e32 v1, v1, v180
	;; [unrolled: 1-line block ×4, first 2 shown]
	v_sub_f32_e32 v2, v190, v2
	v_sub_f32_e32 v1, v168, v1
	buffer_store_dword v2, off, s[0:3], 0 offset:16
	buffer_store_dword v1, off, s[0:3], 0 offset:20
	v_cmpx_lt_u32_e32 1, v0
	s_cbranch_execz .LBB122_365
; %bb.364:
	s_clause 0x1
	buffer_load_dword v1, off, s[0:3], 0 offset:8
	buffer_load_dword v2, off, s[0:3], 0 offset:12
	v_mov_b32_e32 v3, 0
	buffer_store_dword v3, off, s[0:3], 0 offset:8
	buffer_store_dword v3, off, s[0:3], 0 offset:12
	s_waitcnt vmcnt(0)
	ds_write_b64 v131, v[1:2]
.LBB122_365:
	s_or_b32 exec_lo, exec_lo, s4
	s_waitcnt lgkmcnt(0)
	s_waitcnt_vscnt null, 0x0
	s_barrier
	buffer_gl0_inv
	s_clause 0x34
	buffer_load_dword v2, off, s[0:3], 0 offset:20
	buffer_load_dword v3, off, s[0:3], 0 offset:28
	;; [unrolled: 1-line block ×53, first 2 shown]
	v_mov_b32_e32 v1, 0
	ds_read_b128 v[175:178], v1 offset:496
	ds_read_b128 v[179:182], v1 offset:512
	;; [unrolled: 1-line block ×4, first 2 shown]
	buffer_load_dword v174, off, s[0:3], 0 offset:12
	s_mov_b32 s4, exec_lo
	s_waitcnt vmcnt(53) lgkmcnt(3)
	v_mul_f32_e32 v191, v175, v2
	v_mul_f32_e32 v2, v176, v2
	s_waitcnt vmcnt(52)
	v_mul_f32_e32 v192, v177, v3
	v_mul_f32_e32 v3, v178, v3
	s_waitcnt vmcnt(49)
	v_fmac_f32_e32 v191, v176, v8
	v_fma_f32 v193, v175, v8, -v2
	v_fmac_f32_e32 v192, v178, v7
	v_fma_f32 v194, v177, v7, -v3
	ds_read_b128 v[175:178], v1 offset:560
	s_waitcnt vmcnt(48) lgkmcnt(3)
	v_mul_f32_e32 v195, v179, v6
	v_mul_f32_e32 v2, v180, v6
	s_waitcnt vmcnt(47)
	v_mul_f32_e32 v3, v182, v5
	v_mul_f32_e32 v196, v181, v5
	s_waitcnt vmcnt(46) lgkmcnt(2)
	v_mul_f32_e32 v6, v184, v10
	s_waitcnt vmcnt(45)
	v_mul_f32_e32 v7, v186, v9
	v_fmac_f32_e32 v195, v180, v4
	v_fma_f32 v179, v179, v4, -v2
	s_waitcnt vmcnt(41)
	v_fma_f32 v180, v181, v135, -v3
	ds_read_b128 v[2:5], v1 offset:576
	v_mul_f32_e32 v197, v183, v10
	v_mul_f32_e32 v10, v185, v9
	v_fmac_f32_e32 v196, v182, v135
	v_fma_f32 v181, v183, v134, -v6
	v_fma_f32 v182, v185, v132, -v7
	ds_read_b128 v[6:9], v1 offset:592
	v_fmac_f32_e32 v10, v186, v132
	s_waitcnt vmcnt(40) lgkmcnt(3)
	v_mul_f32_e32 v183, v187, v133
	v_mul_f32_e32 v132, v188, v133
	v_fmac_f32_e32 v197, v184, v134
	s_waitcnt vmcnt(39)
	v_mul_f32_e32 v184, v189, v12
	v_mul_f32_e32 v12, v190, v12
	v_fmac_f32_e32 v183, v188, v11
	v_fma_f32 v11, v187, v11, -v132
	ds_read_b128 v[132:135], v1 offset:608
	s_waitcnt vmcnt(35)
	v_fmac_f32_e32 v184, v190, v167
	v_fma_f32 v12, v189, v167, -v12
	s_waitcnt vmcnt(34) lgkmcnt(3)
	v_mul_f32_e32 v167, v175, v166
	v_mul_f32_e32 v166, v176, v166
	s_waitcnt vmcnt(33)
	v_mul_f32_e32 v186, v177, v165
	v_mul_f32_e32 v165, v178, v165
	s_waitcnt vmcnt(32) lgkmcnt(2)
	v_mul_f32_e32 v187, v2, v164
	v_mul_f32_e32 v164, v3, v164
	v_fmac_f32_e32 v167, v176, v159
	v_fma_f32 v166, v175, v159, -v166
	s_waitcnt vmcnt(31)
	v_mul_f32_e32 v175, v4, v163
	v_mul_f32_e32 v159, v5, v163
	v_fmac_f32_e32 v186, v178, v155
	v_fma_f32 v155, v177, v155, -v165
	s_waitcnt vmcnt(30) lgkmcnt(1)
	v_mul_f32_e32 v163, v6, v160
	v_mul_f32_e32 v165, v7, v160
	s_waitcnt vmcnt(29)
	v_mul_f32_e32 v176, v8, v161
	v_mul_f32_e32 v177, v9, v161
	buffer_load_dword v185, off, s[0:3], 0 offset:228
	v_fmac_f32_e32 v187, v3, v145
	v_fma_f32 v145, v2, v145, -v164
	s_waitcnt vmcnt(26)
	v_fmac_f32_e32 v175, v5, v162
	v_fma_f32 v164, v4, v162, -v159
	ds_read_b128 v[2:5], v1 offset:624
	ds_read_b128 v[159:162], v1 offset:640
	v_fmac_f32_e32 v163, v7, v158
	v_fma_f32 v158, v6, v158, -v165
	v_fmac_f32_e32 v176, v9, v156
	v_fma_f32 v156, v8, v156, -v177
	s_clause 0x4
	buffer_load_dword v165, off, s[0:3], 0 offset:236
	buffer_load_dword v177, off, s[0:3], 0 offset:256
	;; [unrolled: 1-line block ×5, first 2 shown]
	s_waitcnt vmcnt(30) lgkmcnt(2)
	v_mul_f32_e32 v190, v132, v151
	v_mul_f32_e32 v6, v133, v151
	s_waitcnt vmcnt(29)
	v_mul_f32_e32 v7, v135, v149
	v_mul_f32_e32 v151, v134, v149
	v_fmac_f32_e32 v190, v133, v141
	v_fma_f32 v132, v132, v141, -v6
	s_waitcnt vmcnt(25)
	v_fma_f32 v133, v134, v157, -v7
	ds_read_b128 v[6:9], v1 offset:656
	v_fmac_f32_e32 v151, v135, v157
	s_waitcnt vmcnt(24) lgkmcnt(2)
	v_mul_f32_e32 v134, v2, v154
	v_mul_f32_e32 v135, v3, v154
	s_waitcnt vmcnt(23)
	v_mul_f32_e32 v141, v4, v153
	v_mul_f32_e32 v149, v5, v153
	v_fmac_f32_e32 v134, v3, v146
	v_fma_f32 v135, v2, v146, -v135
	s_waitcnt vmcnt(22) lgkmcnt(1)
	v_mul_f32_e32 v146, v159, v150
	v_mul_f32_e32 v2, v160, v150
	v_fmac_f32_e32 v141, v5, v142
	v_fma_f32 v142, v4, v142, -v149
	s_waitcnt vmcnt(21)
	v_mul_f32_e32 v149, v161, v144
	v_mul_f32_e32 v3, v162, v144
	s_clause 0x1
	buffer_load_dword v144, off, s[0:3], 0 offset:244
	buffer_load_dword v150, off, s[0:3], 0 offset:252
	v_fmac_f32_e32 v146, v160, v137
	v_fma_f32 v137, v159, v137, -v2
	s_waitcnt vmcnt(19)
	v_fmac_f32_e32 v149, v162, v152
	v_fma_f32 v152, v161, v152, -v3
	ds_read_b128 v[2:5], v1 offset:672
	s_waitcnt vmcnt(18) lgkmcnt(1)
	v_mul_f32_e32 v153, v6, v148
	v_mul_f32_e32 v148, v7, v148
	s_waitcnt vmcnt(17)
	v_mul_f32_e32 v154, v8, v147
	v_mul_f32_e32 v147, v9, v147
	buffer_load_dword v162, off, s[0:3], 0 offset:268
	v_fmac_f32_e32 v153, v7, v143
	v_fma_f32 v143, v6, v143, -v148
	v_fmac_f32_e32 v154, v9, v138
	v_fma_f32 v138, v8, v138, -v147
	ds_read_b128 v[6:9], v1 offset:688
	buffer_load_dword v147, off, s[0:3], 0 offset:260
	s_waitcnt vmcnt(18) lgkmcnt(1)
	v_mul_f32_e32 v148, v2, v140
	v_mul_f32_e32 v140, v3, v140
	s_waitcnt vmcnt(17)
	v_mul_f32_e32 v157, v4, v139
	v_mul_f32_e32 v139, v5, v139
	v_fmac_f32_e32 v148, v3, v136
	v_fma_f32 v136, v2, v136, -v140
	s_waitcnt vmcnt(13)
	v_fmac_f32_e32 v157, v5, v173
	v_fma_f32 v139, v4, v173, -v139
	ds_read_b128 v[2:5], v1 offset:704
	s_waitcnt vmcnt(12) lgkmcnt(1)
	v_mul_f32_e32 v140, v6, v172
	v_mul_f32_e32 v159, v7, v172
	s_waitcnt vmcnt(11)
	v_mul_f32_e32 v160, v8, v171
	v_mul_f32_e32 v161, v9, v171
	v_fmac_f32_e32 v140, v7, v170
	v_fma_f32 v159, v6, v170, -v159
	v_fmac_f32_e32 v160, v9, v169
	v_fma_f32 v161, v8, v169, -v161
	s_clause 0x4
	buffer_load_dword v169, off, s[0:3], 0 offset:288
	buffer_load_dword v170, off, s[0:3], 0 offset:280
	;; [unrolled: 1-line block ×5, first 2 shown]
	v_add_f32_e32 v6, 0, v191
	v_add_f32_e32 v7, 0, v193
	buffer_load_dword v191, off, s[0:3], 0 offset:284
	v_add_f32_e32 v6, v6, v192
	v_add_f32_e32 v7, v7, v194
	;; [unrolled: 1-line block ×4, first 2 shown]
	s_clause 0x1
	buffer_load_dword v179, off, s[0:3], 0 offset:292
	buffer_load_dword v192, off, s[0:3], 0 offset:300
	v_add_f32_e32 v6, v6, v196
	v_add_f32_e32 v7, v7, v180
	s_clause 0x3
	buffer_load_dword v180, off, s[0:3], 0 offset:320
	buffer_load_dword v193, off, s[0:3], 0 offset:312
	;; [unrolled: 1-line block ×4, first 2 shown]
	v_add_f32_e32 v6, v6, v197
	v_add_f32_e32 v7, v7, v181
	;; [unrolled: 1-line block ×4, first 2 shown]
	s_clause 0x3
	buffer_load_dword v10, off, s[0:3], 0 offset:308
	buffer_load_dword v181, off, s[0:3], 0 offset:316
	;; [unrolled: 1-line block ×4, first 2 shown]
	v_add_f32_e32 v6, v6, v183
	v_add_f32_e32 v7, v7, v11
	;; [unrolled: 1-line block ×13, first 2 shown]
	s_waitcnt vmcnt(25) lgkmcnt(0)
	v_mul_f32_e32 v183, v2, v185
	v_mul_f32_e32 v8, v3, v185
	v_fmac_f32_e32 v183, v3, v168
	s_waitcnt vmcnt(24)
	v_mul_f32_e32 v11, v4, v165
	v_mul_f32_e32 v9, v5, v165
	v_fma_f32 v165, v2, v168, -v8
	s_waitcnt vmcnt(20)
	v_fmac_f32_e32 v11, v5, v189
	v_fma_f32 v12, v4, v189, -v9
	ds_read_b128 v[2:5], v1 offset:720
	s_clause 0x6
	buffer_load_dword v166, off, s[0:3], 0 offset:352
	buffer_load_dword v167, off, s[0:3], 0 offset:344
	;; [unrolled: 1-line block ×7, first 2 shown]
	ds_read_b128 v[6:9], v1 offset:736
	s_waitcnt vmcnt(26) lgkmcnt(1)
	v_mul_f32_e32 v175, v2, v144
	v_mul_f32_e32 v144, v3, v144
	s_waitcnt vmcnt(25)
	v_mul_f32_e32 v164, v4, v150
	v_mul_f32_e32 v150, v5, v150
	v_fmac_f32_e32 v175, v3, v188
	v_add_f32_e32 v3, v145, v163
	v_add_f32_e32 v145, v158, v156
	v_fma_f32 v144, v2, v188, -v144
	v_fmac_f32_e32 v164, v5, v178
	v_fma_f32 v150, v4, v178, -v150
	v_add_f32_e32 v2, v3, v176
	v_add_f32_e32 v3, v145, v132
	s_clause 0x7
	buffer_load_dword v156, off, s[0:3], 0 offset:364
	buffer_load_dword v158, off, s[0:3], 0 offset:372
	;; [unrolled: 1-line block ×8, first 2 shown]
	v_add_f32_e32 v2, v2, v190
	v_add_f32_e32 v3, v3, v133
	s_waitcnt vmcnt(31) lgkmcnt(0)
	v_mul_f32_e32 v145, v6, v147
	v_mul_f32_e32 v4, v7, v147
	s_clause 0x1
	buffer_load_dword v190, off, s[0:3], 0 offset:396
	buffer_load_dword v197, off, s[0:3], 0 offset:404
	v_add_f32_e32 v2, v2, v151
	v_add_f32_e32 v3, v3, v135
	v_fmac_f32_e32 v145, v7, v177
	v_fma_f32 v147, v6, v177, -v4
	s_clause 0x1
	buffer_load_dword v198, off, s[0:3], 0 offset:412
	buffer_load_dword v199, off, s[0:3], 0 offset:420
	v_add_f32_e32 v2, v2, v134
	v_add_f32_e32 v3, v3, v142
	s_clause 0x4
	buffer_load_dword v177, off, s[0:3], 0 offset:428
	buffer_load_dword v200, off, s[0:3], 0 offset:436
	;; [unrolled: 1-line block ×5, first 2 shown]
	v_add_f32_e32 v2, v2, v141
	v_add_f32_e32 v6, v3, v137
	v_mul_f32_e32 v3, v9, v162
	v_mul_f32_e32 v141, v8, v162
	buffer_load_dword v162, off, s[0:3], 0 offset:468
	v_add_f32_e32 v7, v2, v146
	v_add_f32_e32 v6, v6, v152
	;; [unrolled: 1-line block ×4, first 2 shown]
	s_waitcnt vmcnt(37)
	v_fma_f32 v142, v8, v172, -v3
	ds_read_b128 v[2:5], v1 offset:752
	v_fmac_f32_e32 v141, v9, v172
	v_add_f32_e32 v7, v7, v153
	s_clause 0x3
	buffer_load_dword v152, off, s[0:3], 0 offset:416
	buffer_load_dword v153, off, s[0:3], 0 offset:408
	;; [unrolled: 1-line block ×4, first 2 shown]
	v_add_f32_e32 v6, v6, v138
	v_add_f32_e32 v132, v7, v154
	;; [unrolled: 1-line block ×3, first 2 shown]
	ds_read_b128 v[6:9], v1 offset:768
	v_add_f32_e32 v132, v132, v148
	v_add_f32_e32 v133, v133, v139
	s_waitcnt vmcnt(40) lgkmcnt(1)
	v_mul_f32_e32 v143, v2, v173
	v_mul_f32_e32 v134, v3, v173
	s_waitcnt vmcnt(39)
	v_mul_f32_e32 v148, v4, v191
	v_fmac_f32_e32 v143, v3, v171
	v_fma_f32 v146, v2, v171, -v134
	v_add_f32_e32 v2, v132, v157
	v_add_f32_e32 v3, v133, v159
	s_clause 0x3
	buffer_load_dword v154, off, s[0:3], 0 offset:448
	buffer_load_dword v157, off, s[0:3], 0 offset:440
	;; [unrolled: 1-line block ×4, first 2 shown]
	v_mul_f32_e32 v132, v5, v191
	s_waitcnt vmcnt(42) lgkmcnt(0)
	v_mul_f32_e32 v151, v6, v179
	v_add_f32_e32 v2, v2, v140
	v_add_f32_e32 v3, v3, v161
	s_clause 0x1
	buffer_load_dword v161, off, s[0:3], 0 offset:464
	buffer_load_dword v173, off, s[0:3], 0 offset:456
	v_mul_f32_e32 v136, v7, v179
	s_waitcnt vmcnt(43)
	v_mul_f32_e32 v137, v9, v192
	v_add_f32_e32 v2, v2, v160
	buffer_load_dword v160, off, s[0:3], 0 offset:8
	v_add_f32_e32 v3, v3, v165
	v_mul_f32_e32 v165, v8, v192
	v_fmac_f32_e32 v148, v5, v170
	v_add_f32_e32 v133, v2, v183
	v_fma_f32 v149, v4, v170, -v132
	v_add_f32_e32 v12, v3, v12
	ds_read_b128 v[2:5], v1 offset:784
	v_fmac_f32_e32 v151, v7, v169
	v_add_f32_e32 v11, v133, v11
	ds_read_b128 v[132:135], v1 offset:800
	v_add_f32_e32 v12, v12, v144
	v_fma_f32 v169, v6, v169, -v136
	s_waitcnt vmcnt(40)
	v_fmac_f32_e32 v165, v9, v195
	v_add_f32_e32 v11, v11, v175
	v_add_f32_e32 v12, v12, v150
	v_fma_f32 v150, v8, v195, -v137
	ds_read_b128 v[6:9], v1 offset:816
	ds_read_b128 v[136:139], v1 offset:832
	v_add_f32_e32 v11, v11, v164
	v_add_f32_e32 v12, v12, v147
	;; [unrolled: 1-line block ×4, first 2 shown]
	s_waitcnt vmcnt(39) lgkmcnt(3)
	v_mul_f32_e32 v164, v2, v10
	v_mul_f32_e32 v10, v3, v10
	v_add_f32_e32 v11, v11, v141
	s_waitcnt vmcnt(38)
	v_mul_f32_e32 v140, v5, v181
	v_add_f32_e32 v12, v12, v146
	v_mul_f32_e32 v170, v4, v181
	v_fma_f32 v10, v2, v194, -v10
	v_add_f32_e32 v11, v11, v143
	v_fmac_f32_e32 v164, v3, v194
	v_add_f32_e32 v12, v12, v149
	s_waitcnt vmcnt(37) lgkmcnt(2)
	v_mul_f32_e32 v175, v132, v196
	v_mul_f32_e32 v144, v133, v196
	v_add_f32_e32 v11, v11, v148
	v_fma_f32 v181, v4, v193, -v140
	v_add_f32_e32 v12, v12, v169
	v_fmac_f32_e32 v170, v5, v193
	s_waitcnt vmcnt(36)
	v_mul_f32_e32 v145, v135, v182
	v_add_f32_e32 v11, v11, v151
	v_fmac_f32_e32 v175, v133, v180
	v_fma_f32 v180, v132, v180, -v144
	v_mul_f32_e32 v179, v134, v182
	ds_read_b128 v[2:5], v1 offset:848
	ds_read_b128 v[140:143], v1 offset:864
	v_add_f32_e32 v11, v11, v165
	v_add_f32_e32 v164, v11, v164
	;; [unrolled: 1-line block ×4, first 2 shown]
	s_waitcnt vmcnt(31) lgkmcnt(3)
	v_mul_f32_e32 v169, v6, v155
	v_mul_f32_e32 v148, v7, v155
	v_fma_f32 v182, v134, v184, -v145
	v_fmac_f32_e32 v179, v135, v184
	s_waitcnt vmcnt(30)
	v_mul_f32_e32 v149, v9, v185
	v_fmac_f32_e32 v169, v7, v168
	v_add_f32_e32 v7, v12, v150
	v_fma_f32 v12, v6, v168, -v148
	v_mul_f32_e32 v183, v8, v185
	v_add_f32_e32 v164, v164, v179
	v_fma_f32 v155, v8, v167, -v149
	v_add_f32_e32 v165, v7, v10
	s_waitcnt vmcnt(29) lgkmcnt(2)
	v_mul_f32_e32 v170, v137, v186
	v_fmac_f32_e32 v183, v9, v167
	v_mul_f32_e32 v167, v136, v186
	v_add_f32_e32 v164, v164, v169
	v_add_f32_e32 v165, v165, v181
	v_fma_f32 v136, v136, v166, -v170
	ds_read_b128 v[132:135], v1 offset:880
	ds_read_b128 v[144:147], v1 offset:896
	v_fmac_f32_e32 v167, v137, v166
	ds_read_b128 v[6:9], v1 offset:912
	ds_read_b128 v[148:151], v1 offset:928
	ds_read_b64 v[10:11], v1 offset:944
	v_add_f32_e32 v165, v165, v180
	v_add_f32_e32 v165, v165, v182
	s_waitcnt vmcnt(28)
	v_mul_f32_e32 v168, v138, v156
	v_mul_f32_e32 v156, v139, v156
	v_add_f32_e32 v12, v165, v12
	s_waitcnt vmcnt(27) lgkmcnt(6)
	v_mul_f32_e32 v180, v2, v158
	v_mul_f32_e32 v158, v3, v158
	s_waitcnt vmcnt(26)
	v_mul_f32_e32 v175, v4, v163
	v_mul_f32_e32 v163, v5, v163
	v_add_f32_e32 v12, v12, v155
	v_add_f32_e32 v155, v164, v183
	s_waitcnt vmcnt(21)
	v_fma_f32 v138, v138, v189, -v156
	v_fmac_f32_e32 v168, v139, v189
	v_fmac_f32_e32 v180, v3, v188
	v_add_f32_e32 v12, v12, v136
	v_add_f32_e32 v136, v155, v167
	v_fma_f32 v2, v2, v188, -v158
	v_fma_f32 v4, v4, v187, -v163
	s_waitcnt lgkmcnt(5)
	v_mul_f32_e32 v137, v140, v176
	v_add_f32_e32 v3, v12, v138
	v_add_f32_e32 v12, v136, v168
	v_mul_f32_e32 v136, v141, v176
	v_fmac_f32_e32 v175, v5, v187
	s_waitcnt vmcnt(20)
	v_mul_f32_e32 v5, v143, v190
	v_add_f32_e32 v2, v3, v2
	v_add_f32_e32 v3, v12, v180
	v_fma_f32 v12, v140, v178, -v136
	v_mul_f32_e32 v166, v142, v190
	v_fmac_f32_e32 v137, v141, v178
	v_add_f32_e32 v2, v2, v4
	v_add_f32_e32 v3, v3, v175
	s_waitcnt vmcnt(19) lgkmcnt(4)
	v_mul_f32_e32 v4, v133, v197
	v_mul_f32_e32 v170, v132, v197
	s_waitcnt vmcnt(18)
	v_mul_f32_e32 v139, v134, v198
	v_add_f32_e32 v2, v2, v12
	v_add_f32_e32 v3, v3, v137
	v_mul_f32_e32 v12, v135, v198
	s_waitcnt vmcnt(17) lgkmcnt(3)
	v_mul_f32_e32 v156, v144, v199
	s_waitcnt vmcnt(16)
	v_mul_f32_e32 v165, v146, v177
	s_waitcnt vmcnt(15) lgkmcnt(2)
	v_mul_f32_e32 v169, v6, v200
	s_waitcnt vmcnt(14)
	;; [unrolled: 4-line block ×3, first 2 shown]
	v_fma_f32 v12, v134, v153, -v12
	s_waitcnt vmcnt(8)
	v_fma_f32 v4, v132, v172, -v4
	s_waitcnt vmcnt(7)
	v_fma_f32 v5, v142, v204, -v5
	v_fmac_f32_e32 v166, v143, v204
	v_fmac_f32_e32 v170, v133, v172
	v_fmac_f32_e32 v139, v135, v153
	v_fmac_f32_e32 v156, v145, v152
	v_add_f32_e32 v2, v2, v5
	v_add_f32_e32 v3, v3, v166
	v_mul_f32_e32 v5, v145, v199
	v_mul_f32_e32 v181, v150, v203
	s_waitcnt lgkmcnt(0)
	v_mul_f32_e32 v155, v10, v162
	v_add_f32_e32 v2, v2, v4
	v_add_f32_e32 v3, v3, v170
	v_mul_f32_e32 v4, v147, v177
	v_fma_f32 v5, v144, v152, -v5
	v_add_f32_e32 v2, v2, v12
	v_add_f32_e32 v3, v3, v139
	v_mul_f32_e32 v12, v7, v200
	v_add_f32_e32 v2, v2, v5
	v_add_f32_e32 v3, v3, v156
	v_mul_f32_e32 v5, v9, v201
	s_waitcnt vmcnt(6)
	v_fmac_f32_e32 v164, v149, v154
	s_waitcnt vmcnt(5)
	v_fmac_f32_e32 v179, v9, v157
	s_waitcnt vmcnt(4)
	v_fma_f32 v6, v6, v159, -v12
	s_waitcnt vmcnt(3)
	v_fma_f32 v4, v146, v171, -v4
	v_fmac_f32_e32 v165, v147, v171
	v_fmac_f32_e32 v169, v7, v159
	v_fma_f32 v5, v8, v157, -v5
	s_waitcnt vmcnt(2)
	v_fmac_f32_e32 v155, v11, v161
	v_add_f32_e32 v2, v2, v4
	v_add_f32_e32 v3, v3, v165
	v_mul_f32_e32 v4, v149, v202
	s_waitcnt vmcnt(1)
	v_fmac_f32_e32 v181, v151, v173
	v_add_f32_e32 v2, v2, v6
	v_add_f32_e32 v3, v3, v169
	v_mul_f32_e32 v6, v151, v203
	v_fma_f32 v4, v148, v154, -v4
	v_add_f32_e32 v2, v2, v5
	v_add_f32_e32 v3, v3, v179
	v_mul_f32_e32 v5, v11, v162
	v_fma_f32 v6, v150, v173, -v6
	v_add_f32_e32 v2, v2, v4
	v_add_f32_e32 v3, v3, v164
	v_fma_f32 v4, v10, v161, -v5
	v_add_f32_e32 v2, v2, v6
	v_add_f32_e32 v3, v3, v181
	;; [unrolled: 1-line block ×4, first 2 shown]
	s_waitcnt vmcnt(0)
	v_sub_f32_e32 v2, v160, v2
	v_sub_f32_e32 v3, v174, v3
	buffer_store_dword v2, off, s[0:3], 0 offset:8
	buffer_store_dword v3, off, s[0:3], 0 offset:12
	v_cmpx_ne_u32_e32 0, v0
	s_cbranch_execz .LBB122_367
; %bb.366:
	s_clause 0x1
	buffer_load_dword v2, off, s[0:3], 0
	buffer_load_dword v3, off, s[0:3], 0 offset:4
	buffer_store_dword v1, off, s[0:3], 0
	buffer_store_dword v1, off, s[0:3], 0 offset:4
	s_waitcnt vmcnt(0)
	ds_write_b64 v131, v[2:3]
.LBB122_367:
	s_or_b32 exec_lo, exec_lo, s4
	s_waitcnt lgkmcnt(0)
	s_waitcnt_vscnt null, 0x0
	s_barrier
	buffer_gl0_inv
	s_clause 0x3c
	buffer_load_dword v141, off, s[0:3], 0 offset:12
	buffer_load_dword v0, off, s[0:3], 0 offset:24
	;; [unrolled: 1-line block ×61, first 2 shown]
	ds_read2_b64 v[175:178], v1 offset0:61 offset1:62
	ds_read2_b64 v[179:182], v1 offset0:63 offset1:64
	;; [unrolled: 1-line block ×3, first 2 shown]
	s_and_b32 vcc_lo, exec_lo, s16
	s_waitcnt vmcnt(60) lgkmcnt(2)
	v_mul_f32_e32 v174, v175, v141
	v_mul_f32_e32 v193, v176, v141
	buffer_load_dword v141, off, s[0:3], 0 offset:4
	s_waitcnt vmcnt(57)
	v_mul_f32_e32 v194, v177, v5
	v_mul_f32_e32 v5, v178, v5
	v_fmac_f32_e32 v174, v176, v6
	v_fma_f32 v193, v175, v6, -v193
	s_waitcnt vmcnt(56) lgkmcnt(1)
	v_mul_f32_e32 v196, v179, v4
	v_fmac_f32_e32 v194, v178, v3
	v_fma_f32 v195, v177, v3, -v5
	v_mul_f32_e32 v175, v180, v4
	ds_read2_b64 v[3:6], v1 offset0:67 offset1:68
	v_fmac_f32_e32 v196, v180, v0
	s_waitcnt vmcnt(50) lgkmcnt(1)
	v_mul_f32_e32 v180, v183, v131
	v_fma_f32 v0, v179, v0, -v175
	v_mul_f32_e32 v179, v181, v2
	v_mul_f32_e32 v2, v182, v2
	ds_read2_b64 v[175:178], v1 offset0:69 offset1:70
	v_fmac_f32_e32 v180, v184, v11
	v_fmac_f32_e32 v179, v182, v132
	v_fma_f32 v132, v181, v132, -v2
	v_mul_f32_e32 v2, v184, v131
	s_waitcnt vmcnt(49)
	v_mul_f32_e32 v181, v185, v12
	v_fma_f32 v131, v183, v11, -v2
	v_mul_f32_e32 v2, v186, v12
	v_fmac_f32_e32 v181, v186, v9
	s_waitcnt vmcnt(48) lgkmcnt(1)
	v_mul_f32_e32 v183, v3, v10
	v_fma_f32 v182, v185, v9, -v2
	v_mul_f32_e32 v2, v4, v10
	ds_read2_b64 v[9:12], v1 offset0:71 offset1:72
	s_waitcnt vmcnt(47)
	v_mul_f32_e32 v185, v5, v8
	s_waitcnt vmcnt(42) lgkmcnt(1)
	v_mul_f32_e32 v186, v175, v164
	v_fmac_f32_e32 v183, v4, v7
	v_fma_f32 v184, v3, v7, -v2
	v_mul_f32_e32 v2, v6, v8
	v_fmac_f32_e32 v185, v6, v165
	v_mul_f32_e32 v6, v176, v164
	v_fmac_f32_e32 v186, v176, v160
	s_waitcnt vmcnt(41)
	v_mul_f32_e32 v164, v177, v161
	v_fma_f32 v165, v5, v165, -v2
	ds_read2_b64 v[2:5], v1 offset0:73 offset1:74
	v_fma_f32 v160, v175, v160, -v6
	v_mul_f32_e32 v6, v178, v161
	v_fmac_f32_e32 v164, v178, v154
	v_fma_f32 v161, v177, v154, -v6
	ds_read2_b64 v[175:178], v1 offset0:75 offset1:76
	s_waitcnt vmcnt(40) lgkmcnt(2)
	v_mul_f32_e32 v197, v9, v158
	v_mul_f32_e32 v6, v10, v158
	v_fmac_f32_e32 v197, v10, v143
	v_fma_f32 v10, v9, v143, -v6
	s_waitcnt vmcnt(39)
	v_mul_f32_e32 v6, v12, v151
	v_mul_f32_e32 v143, v11, v151
	s_waitcnt vmcnt(34) lgkmcnt(1)
	v_mul_f32_e32 v151, v3, v162
	v_fma_f32 v11, v11, v163, -v6
	ds_read2_b64 v[6:9], v1 offset0:77 offset1:78
	v_fmac_f32_e32 v143, v12, v163
	v_mul_f32_e32 v12, v2, v162
	v_fma_f32 v151, v2, v155, -v151
	s_waitcnt vmcnt(33)
	v_mul_f32_e32 v158, v4, v156
	v_mul_f32_e32 v2, v5, v156
	s_waitcnt vmcnt(32) lgkmcnt(1)
	v_mul_f32_e32 v162, v175, v152
	v_mul_f32_e32 v152, v176, v152
	v_fmac_f32_e32 v12, v3, v155
	v_fmac_f32_e32 v158, v5, v147
	v_fma_f32 v147, v4, v147, -v2
	ds_read2_b64 v[2:5], v1 offset0:79 offset1:80
	v_fmac_f32_e32 v162, v176, v137
	v_fma_f32 v152, v175, v137, -v152
	s_waitcnt vmcnt(31)
	v_mul_f32_e32 v163, v177, v145
	v_mul_f32_e32 v137, v178, v145
	s_waitcnt vmcnt(27)
	v_fmac_f32_e32 v163, v178, v159
	v_fma_f32 v145, v177, v159, -v137
	s_waitcnt vmcnt(26) lgkmcnt(1)
	v_mul_f32_e32 v159, v6, v157
	v_mul_f32_e32 v137, v7, v157
	ds_read2_b64 v[154:157], v1 offset0:81 offset1:82
	s_waitcnt vmcnt(25)
	v_mul_f32_e32 v175, v8, v149
	v_fmac_f32_e32 v159, v7, v148
	v_fma_f32 v148, v6, v148, -v137
	v_mul_f32_e32 v6, v9, v149
	v_fmac_f32_e32 v175, v9, v140
	s_waitcnt vmcnt(24) lgkmcnt(1)
	v_mul_f32_e32 v149, v2, v146
	v_mul_f32_e32 v137, v3, v146
	v_fma_f32 v140, v8, v140, -v6
	ds_read2_b64 v[6:9], v1 offset0:83 offset1:84
	s_waitcnt vmcnt(23)
	v_mul_f32_e32 v146, v4, v138
	v_fmac_f32_e32 v149, v3, v134
	v_fma_f32 v134, v2, v134, -v137
	v_mul_f32_e32 v2, v5, v138
	s_waitcnt vmcnt(19)
	v_fmac_f32_e32 v146, v5, v153
	v_fma_f32 v153, v4, v153, -v2
	s_waitcnt vmcnt(18) lgkmcnt(1)
	v_mul_f32_e32 v176, v154, v150
	v_mul_f32_e32 v137, v155, v150
	ds_read2_b64 v[2:5], v1 offset0:85 offset1:86
	s_waitcnt vmcnt(17)
	v_mul_f32_e32 v150, v156, v144
	v_fmac_f32_e32 v176, v155, v142
	v_fma_f32 v142, v154, v142, -v137
	v_mul_f32_e32 v137, v157, v144
	v_fmac_f32_e32 v150, v157, v136
	s_waitcnt vmcnt(16) lgkmcnt(1)
	v_mul_f32_e32 v154, v6, v139
	v_mul_f32_e32 v155, v7, v139
	v_fma_f32 v144, v156, v136, -v137
	ds_read2_b64 v[136:139], v1 offset0:87 offset1:88
	v_fmac_f32_e32 v154, v7, v133
	v_fma_f32 v133, v6, v133, -v155
	s_waitcnt vmcnt(15)
	v_mul_f32_e32 v155, v8, v135
	v_mul_f32_e32 v6, v9, v135
	s_waitcnt vmcnt(11)
	v_fmac_f32_e32 v155, v9, v173
	v_fma_f32 v135, v8, v173, -v6
	ds_read2_b64 v[6:9], v1 offset0:89 offset1:90
	s_waitcnt vmcnt(10) lgkmcnt(2)
	v_mul_f32_e32 v156, v2, v172
	v_mul_f32_e32 v157, v3, v172
	buffer_load_dword v173, off, s[0:3], 0 offset:260
	v_fmac_f32_e32 v156, v3, v170
	v_fma_f32 v157, v2, v170, -v157
	s_waitcnt vmcnt(10)
	v_mul_f32_e32 v170, v4, v171
	v_mul_f32_e32 v2, v5, v171
	s_waitcnt vmcnt(9) lgkmcnt(1)
	v_mul_f32_e32 v171, v136, v169
	s_waitcnt vmcnt(8)
	v_mul_f32_e32 v3, v139, v168
	v_fmac_f32_e32 v170, v5, v167
	v_fma_f32 v167, v4, v167, -v2
	v_mul_f32_e32 v2, v137, v169
	v_mul_f32_e32 v169, v138, v168
	buffer_load_dword v168, off, s[0:3], 0 offset:252
	v_fmac_f32_e32 v171, v137, v166
	s_waitcnt vmcnt(5)
	v_fma_f32 v137, v138, v190, -v3
	v_fma_f32 v136, v136, v166, -v2
	v_fmac_f32_e32 v169, v139, v190
	ds_read2_b64 v[2:5], v1 offset0:91 offset1:92
	s_waitcnt vmcnt(4) lgkmcnt(1)
	v_mul_f32_e32 v138, v6, v191
	v_mul_f32_e32 v139, v7, v191
	s_waitcnt vmcnt(3)
	v_mul_f32_e32 v166, v8, v192
	v_mul_f32_e32 v172, v9, v192
	v_fmac_f32_e32 v138, v7, v189
	v_fma_f32 v139, v6, v189, -v139
	v_fmac_f32_e32 v166, v9, v188
	v_fma_f32 v172, v8, v188, -v172
	s_clause 0x4
	buffer_load_dword v177, off, s[0:3], 0 offset:280
	buffer_load_dword v178, off, s[0:3], 0 offset:272
	buffer_load_dword v188, off, s[0:3], 0 offset:264
	buffer_load_dword v6, off, s[0:3], 0 offset:256
	buffer_load_dword v189, off, s[0:3], 0 offset:268
	s_waitcnt vmcnt(6) lgkmcnt(0)
	v_mul_f32_e32 v8, v5, v173
	s_waitcnt vmcnt(5)
	v_mul_f32_e32 v190, v2, v168
	v_mul_f32_e32 v7, v3, v168
	;; [unrolled: 1-line block ×3, first 2 shown]
	v_fmac_f32_e32 v190, v3, v187
	v_fma_f32 v173, v2, v187, -v7
	s_waitcnt vmcnt(1)
	v_fmac_f32_e32 v168, v5, v6
	v_fma_f32 v187, v4, v6, -v8
	ds_read2_b64 v[2:5], v1 offset0:93 offset1:94
	ds_read2_b64 v[6:9], v1 offset0:95 offset1:96
	s_waitcnt vmcnt(0) lgkmcnt(1)
	v_mul_f32_e32 v191, v2, v189
	v_mul_f32_e32 v189, v3, v189
	v_fmac_f32_e32 v191, v3, v188
	v_fma_f32 v188, v2, v188, -v189
	buffer_load_dword v2, off, s[0:3], 0 offset:276
	v_add_f32_e32 v3, 0, v174
	buffer_load_dword v174, off, s[0:3], 0 offset:292
	v_add_f32_e32 v3, v3, v194
	v_add_f32_e32 v3, v3, v196
	;; [unrolled: 1-line block ×24, first 2 shown]
	s_waitcnt vmcnt(1)
	v_mul_f32_e32 v189, v4, v2
	v_mul_f32_e32 v2, v5, v2
	v_fmac_f32_e32 v189, v5, v178
	v_fma_f32 v178, v4, v178, -v2
	buffer_load_dword v2, off, s[0:3], 0 offset:284
	v_add_f32_e32 v4, 0, v193
	s_clause 0x3
	buffer_load_dword v179, off, s[0:3], 0 offset:312
	buffer_load_dword v192, off, s[0:3], 0 offset:304
	;; [unrolled: 1-line block ×4, first 2 shown]
	v_add_f32_e32 v4, v4, v195
	s_clause 0x2
	buffer_load_dword v195, off, s[0:3], 0 offset:300
	buffer_load_dword v180, off, s[0:3], 0 offset:308
	;; [unrolled: 1-line block ×3, first 2 shown]
	v_add_f32_e32 v0, v4, v0
	v_add_f32_e32 v0, v0, v132
	;; [unrolled: 1-line block ×4, first 2 shown]
	s_clause 0x1
	buffer_load_dword v181, off, s[0:3], 0 offset:324
	buffer_load_dword v182, off, s[0:3], 0 offset:332
	v_add_f32_e32 v0, v0, v184
	v_add_f32_e32 v0, v0, v165
	s_clause 0x3
	buffer_load_dword v165, off, s[0:3], 0 offset:344
	buffer_load_dword v183, off, s[0:3], 0 offset:336
	;; [unrolled: 1-line block ×4, first 2 shown]
	v_add_f32_e32 v0, v0, v160
	buffer_load_dword v160, off, s[0:3], 0 offset:340
	v_add_f32_e32 v0, v0, v161
	v_add_f32_e32 v0, v0, v10
	s_clause 0x1
	buffer_load_dword v10, off, s[0:3], 0 offset:348
	buffer_load_dword v161, off, s[0:3], 0 offset:356
	v_add_f32_e32 v0, v0, v11
	s_clause 0x7
	buffer_load_dword v11, off, s[0:3], 0 offset:376
	buffer_load_dword v164, off, s[0:3], 0 offset:368
	;; [unrolled: 1-line block ×8, first 2 shown]
	v_add_f32_e32 v0, v0, v151
	s_clause 0x5
	buffer_load_dword v199, off, s[0:3], 0 offset:396
	buffer_load_dword v200, off, s[0:3], 0 offset:404
	;; [unrolled: 1-line block ×6, first 2 shown]
	v_add_f32_e32 v0, v0, v147
	s_waitcnt vmcnt(31) lgkmcnt(0)
	v_mul_f32_e32 v151, v8, v174
	v_add_f32_e32 v0, v0, v152
	v_add_f32_e32 v0, v0, v145
	;; [unrolled: 1-line block ×4, first 2 shown]
	s_clause 0xb
	buffer_load_dword v140, off, s[0:3], 0 offset:444
	buffer_load_dword v203, off, s[0:3], 0 offset:452
	;; [unrolled: 1-line block ×12, first 2 shown]
	v_add_f32_e32 v0, v0, v134
	s_clause 0x2
	buffer_load_dword v154, off, s[0:3], 0 offset:464
	buffer_load_dword v155, off, s[0:3], 0 offset:456
	;; [unrolled: 1-line block ×3, first 2 shown]
	v_add_f32_e32 v0, v0, v153
	v_add_f32_e32 v0, v0, v142
	;; [unrolled: 1-line block ×6, first 2 shown]
	buffer_load_dword v157, off, s[0:3], 0
	v_add_f32_e32 v0, v0, v167
	v_add_f32_e32 v0, v0, v136
	;; [unrolled: 1-line block ×9, first 2 shown]
	s_waitcnt vmcnt(46)
	v_mul_f32_e32 v150, v6, v2
	v_mul_f32_e32 v2, v7, v2
	s_waitcnt vmcnt(42)
	v_fmac_f32_e32 v151, v9, v194
	v_fmac_f32_e32 v150, v7, v177
	v_fma_f32 v146, v6, v177, -v2
	v_add_f32_e32 v6, v3, v170
	ds_read2_b64 v[2:5], v1 offset0:97 offset1:98
	v_add_f32_e32 v0, v0, v146
	v_add_f32_e32 v131, v6, v171
	v_mul_f32_e32 v6, v9, v174
	v_add_f32_e32 v135, v131, v169
	v_fma_f32 v152, v8, v194, -v6
	ds_read2_b64 v[6:9], v1 offset0:99 offset1:100
	ds_read2_b64 v[131:134], v1 offset0:101 offset1:102
	v_add_f32_e32 v135, v135, v138
	v_add_f32_e32 v0, v0, v152
	;; [unrolled: 1-line block ×3, first 2 shown]
	s_waitcnt vmcnt(41) lgkmcnt(2)
	v_mul_f32_e32 v136, v3, v195
	v_mul_f32_e32 v139, v2, v195
	s_waitcnt vmcnt(40)
	v_mul_f32_e32 v156, v4, v180
	v_fma_f32 v153, v2, v193, -v136
	v_add_f32_e32 v2, v142, v190
	ds_read2_b64 v[135:138], v1 offset0:103 offset1:104
	v_fmac_f32_e32 v139, v3, v193
	v_mul_f32_e32 v3, v5, v180
	v_add_f32_e32 v0, v0, v153
	s_waitcnt vmcnt(39) lgkmcnt(2)
	v_mul_f32_e32 v142, v7, v196
	v_add_f32_e32 v2, v2, v168
	v_mul_f32_e32 v166, v6, v196
	s_waitcnt vmcnt(37) lgkmcnt(1)
	v_mul_f32_e32 v168, v131, v182
	v_fma_f32 v169, v4, v192, -v3
	v_fma_f32 v170, v6, v179, -v142
	v_add_f32_e32 v6, v2, v191
	v_fmac_f32_e32 v166, v7, v179
	v_mul_f32_e32 v7, v132, v182
	s_waitcnt vmcnt(34)
	v_fmac_f32_e32 v168, v132, v184
	v_mul_f32_e32 v167, v8, v181
	v_add_f32_e32 v132, v6, v189
	v_mul_f32_e32 v147, v9, v181
	v_fma_f32 v172, v131, v184, -v7
	v_fmac_f32_e32 v156, v5, v192
	s_waitcnt vmcnt(32)
	v_mul_f32_e32 v173, v133, v160
	v_add_f32_e32 v131, v132, v150
	v_mul_f32_e32 v132, v134, v160
	s_waitcnt vmcnt(31) lgkmcnt(0)
	v_mul_f32_e32 v160, v135, v10
	s_waitcnt vmcnt(30)
	v_mul_f32_e32 v174, v137, v161
	v_mul_f32_e32 v10, v136, v10
	v_add_f32_e32 v131, v131, v151
	v_mul_f32_e32 v161, v138, v161
	v_add_f32_e32 v0, v0, v169
	ds_read2_b64 v[2:5], v1 offset0:105 offset1:106
	ds_read2_b64 v[142:145], v1 offset0:107 offset1:108
	v_fmac_f32_e32 v167, v9, v185
	v_add_f32_e32 v139, v131, v139
	v_fma_f32 v171, v8, v185, -v147
	ds_read2_b64 v[6:9], v1 offset0:109 offset1:110
	ds_read2_b64 v[146:149], v1 offset0:111 offset1:112
	v_fmac_f32_e32 v173, v134, v183
	v_fma_f32 v177, v133, v183, -v132
	v_fmac_f32_e32 v160, v136, v165
	v_fma_f32 v10, v135, v165, -v10
	ds_read2_b64 v[131:134], v1 offset0:113 offset1:114
	ds_read2_b64 v[150:153], v1 offset0:115 offset1:116
	s_waitcnt vmcnt(26)
	v_fmac_f32_e32 v174, v138, v197
	v_fma_f32 v161, v137, v197, -v161
	ds_read2_b64 v[135:138], v1 offset0:117 offset1:118
	v_add_f32_e32 v1, v139, v156
	v_add_f32_e32 v0, v0, v170
	;; [unrolled: 1-line block ×4, first 2 shown]
	s_waitcnt vmcnt(25) lgkmcnt(6)
	v_mul_f32_e32 v139, v2, v12
	v_mul_f32_e32 v12, v3, v12
	s_waitcnt vmcnt(24)
	v_mul_f32_e32 v156, v4, v158
	v_add_f32_e32 v1, v1, v167
	v_add_f32_e32 v0, v0, v172
	v_mul_f32_e32 v158, v5, v158
	v_fma_f32 v2, v2, v186, -v12
	v_fmac_f32_e32 v139, v3, v186
	v_add_f32_e32 v1, v1, v168
	v_add_f32_e32 v0, v0, v177
	s_waitcnt vmcnt(23) lgkmcnt(5)
	v_mul_f32_e32 v3, v143, v198
	v_fma_f32 v4, v4, v164, -v158
	v_mul_f32_e32 v165, v142, v198
	v_add_f32_e32 v1, v1, v173
	v_add_f32_e32 v0, v0, v10
	v_fmac_f32_e32 v156, v5, v164
	v_fma_f32 v3, v142, v11, -v3
	s_waitcnt vmcnt(22)
	v_mul_f32_e32 v166, v144, v162
	v_add_f32_e32 v1, v1, v160
	v_add_f32_e32 v0, v0, v161
	v_fmac_f32_e32 v165, v143, v11
	s_waitcnt vmcnt(21) lgkmcnt(4)
	v_mul_f32_e32 v167, v6, v199
	s_waitcnt vmcnt(8)
	v_fmac_f32_e32 v166, v145, v208
	v_add_f32_e32 v1, v1, v174
	v_add_f32_e32 v0, v0, v2
	v_mul_f32_e32 v2, v145, v162
	v_mul_f32_e32 v169, v8, v200
	v_fmac_f32_e32 v167, v7, v207
	v_add_f32_e32 v1, v1, v139
	v_add_f32_e32 v0, v0, v4
	v_mul_f32_e32 v4, v7, v199
	v_fma_f32 v2, v144, v208, -v2
	s_waitcnt lgkmcnt(3)
	v_mul_f32_e32 v170, v146, v163
	v_add_f32_e32 v1, v1, v156
	v_add_f32_e32 v0, v0, v3
	v_mul_f32_e32 v3, v9, v200
	v_fma_f32 v4, v6, v207, -v4
	v_fmac_f32_e32 v169, v9, v206
	v_add_f32_e32 v1, v1, v165
	v_add_f32_e32 v0, v0, v2
	v_mul_f32_e32 v2, v147, v163
	v_fma_f32 v3, v8, v206, -v3
	v_mul_f32_e32 v168, v148, v201
	v_add_f32_e32 v1, v1, v166
	v_add_f32_e32 v0, v0, v4
	v_mul_f32_e32 v4, v149, v201
	v_fma_f32 v2, v146, v205, -v2
	v_fmac_f32_e32 v170, v147, v205
	v_add_f32_e32 v1, v1, v167
	v_add_f32_e32 v0, v0, v3
	s_waitcnt lgkmcnt(2)
	v_mul_f32_e32 v3, v132, v202
	s_waitcnt vmcnt(4)
	v_fma_f32 v4, v148, v211, -v4
	v_mul_f32_e32 v171, v131, v202
	v_add_f32_e32 v1, v1, v169
	v_add_f32_e32 v0, v0, v2
	v_fmac_f32_e32 v168, v149, v211
	v_mul_f32_e32 v2, v134, v159
	v_fma_f32 v3, v131, v210, -v3
	v_add_f32_e32 v1, v1, v170
	v_add_f32_e32 v0, v0, v4
	v_mul_f32_e32 v172, v133, v159
	v_fmac_f32_e32 v171, v132, v210
	s_waitcnt lgkmcnt(1)
	v_mul_f32_e32 v4, v151, v140
	v_add_f32_e32 v1, v1, v168
	v_fma_f32 v2, v133, v209, -v2
	v_add_f32_e32 v0, v0, v3
	v_mul_f32_e32 v173, v150, v140
	v_fmac_f32_e32 v172, v134, v209
	v_add_f32_e32 v1, v1, v171
	v_mul_f32_e32 v3, v153, v203
	v_fma_f32 v4, v150, v176, -v4
	v_add_f32_e32 v0, v0, v2
	v_mul_f32_e32 v177, v152, v203
	v_fmac_f32_e32 v173, v151, v176
	v_add_f32_e32 v1, v1, v172
	s_waitcnt lgkmcnt(0)
	v_mul_f32_e32 v2, v136, v175
	s_waitcnt vmcnt(1)
	v_fma_f32 v3, v152, v212, -v3
	v_add_f32_e32 v0, v0, v4
	v_mul_f32_e32 v10, v135, v175
	v_fmac_f32_e32 v177, v153, v212
	v_add_f32_e32 v1, v1, v173
	v_mul_f32_e32 v4, v138, v204
	v_fma_f32 v2, v135, v155, -v2
	v_add_f32_e32 v0, v0, v3
	v_mul_f32_e32 v160, v137, v204
	v_fmac_f32_e32 v10, v136, v155
	v_add_f32_e32 v1, v1, v177
	v_fma_f32 v3, v137, v154, -v4
	v_add_f32_e32 v0, v0, v2
	v_fmac_f32_e32 v160, v138, v154
	v_add_f32_e32 v1, v1, v10
	v_add_f32_e32 v0, v0, v3
	;; [unrolled: 1-line block ×3, first 2 shown]
	s_waitcnt vmcnt(0)
	v_sub_f32_e32 v0, v157, v0
	v_sub_f32_e32 v1, v141, v1
	buffer_store_dword v0, off, s[0:3], 0
	buffer_store_dword v1, off, s[0:3], 0 offset:4
	s_cbranch_vccz .LBB122_484
; %bb.368:
	v_mov_b32_e32 v0, 0
	global_load_dword v1, v0, s[12:13] offset:228
	s_waitcnt vmcnt(0)
	v_add_nc_u32_e32 v1, -1, v1
	v_cmp_ne_u32_e32 vcc_lo, 57, v1
	s_cbranch_vccz .LBB122_370
; %bb.369:
	v_lshlrev_b32_e32 v1, 3, v1
	s_clause 0x3
	buffer_load_dword v2, v1, s[0:3], 0 offen
	buffer_load_dword v3, v1, s[0:3], 0 offen offset:4
	buffer_load_dword v4, off, s[0:3], 0 offset:456
	buffer_load_dword v5, off, s[0:3], 0 offset:460
	s_waitcnt vmcnt(3)
	buffer_store_dword v2, off, s[0:3], 0 offset:456
	s_waitcnt vmcnt(2)
	buffer_store_dword v3, off, s[0:3], 0 offset:460
	s_waitcnt vmcnt(1)
	buffer_store_dword v4, v1, s[0:3], 0 offen
	s_waitcnt vmcnt(0)
	buffer_store_dword v5, v1, s[0:3], 0 offen offset:4
.LBB122_370:
	global_load_dword v0, v0, s[12:13] offset:224
	s_waitcnt vmcnt(0)
	v_add_nc_u32_e32 v0, -1, v0
	v_cmp_eq_u32_e32 vcc_lo, 56, v0
	s_cbranch_vccnz .LBB122_372
; %bb.371:
	v_lshlrev_b32_e32 v0, 3, v0
	s_clause 0x3
	buffer_load_dword v1, v0, s[0:3], 0 offen
	buffer_load_dword v2, v0, s[0:3], 0 offen offset:4
	buffer_load_dword v3, off, s[0:3], 0 offset:452
	buffer_load_dword v4, off, s[0:3], 0 offset:448
	s_waitcnt vmcnt(3)
	buffer_store_dword v1, off, s[0:3], 0 offset:448
	s_waitcnt vmcnt(2)
	buffer_store_dword v2, off, s[0:3], 0 offset:452
	s_waitcnt vmcnt(1)
	buffer_store_dword v3, v0, s[0:3], 0 offen offset:4
	s_waitcnt vmcnt(0)
	buffer_store_dword v4, v0, s[0:3], 0 offen
.LBB122_372:
	v_mov_b32_e32 v0, 0
	global_load_dword v1, v0, s[12:13] offset:220
	s_waitcnt vmcnt(0)
	v_add_nc_u32_e32 v1, -1, v1
	v_cmp_eq_u32_e32 vcc_lo, 55, v1
	s_cbranch_vccnz .LBB122_374
; %bb.373:
	v_lshlrev_b32_e32 v1, 3, v1
	s_clause 0x3
	buffer_load_dword v2, v1, s[0:3], 0 offen
	buffer_load_dword v3, v1, s[0:3], 0 offen offset:4
	buffer_load_dword v4, off, s[0:3], 0 offset:440
	buffer_load_dword v5, off, s[0:3], 0 offset:444
	s_waitcnt vmcnt(3)
	buffer_store_dword v2, off, s[0:3], 0 offset:440
	s_waitcnt vmcnt(2)
	buffer_store_dword v3, off, s[0:3], 0 offset:444
	s_waitcnt vmcnt(1)
	buffer_store_dword v4, v1, s[0:3], 0 offen
	s_waitcnt vmcnt(0)
	buffer_store_dword v5, v1, s[0:3], 0 offen offset:4
.LBB122_374:
	global_load_dword v0, v0, s[12:13] offset:216
	s_waitcnt vmcnt(0)
	v_add_nc_u32_e32 v0, -1, v0
	v_cmp_eq_u32_e32 vcc_lo, 54, v0
	s_cbranch_vccnz .LBB122_376
; %bb.375:
	v_lshlrev_b32_e32 v0, 3, v0
	s_clause 0x3
	buffer_load_dword v1, v0, s[0:3], 0 offen
	buffer_load_dword v2, v0, s[0:3], 0 offen offset:4
	buffer_load_dword v3, off, s[0:3], 0 offset:436
	buffer_load_dword v4, off, s[0:3], 0 offset:432
	s_waitcnt vmcnt(3)
	buffer_store_dword v1, off, s[0:3], 0 offset:432
	s_waitcnt vmcnt(2)
	buffer_store_dword v2, off, s[0:3], 0 offset:436
	s_waitcnt vmcnt(1)
	buffer_store_dword v3, v0, s[0:3], 0 offen offset:4
	s_waitcnt vmcnt(0)
	buffer_store_dword v4, v0, s[0:3], 0 offen
.LBB122_376:
	v_mov_b32_e32 v0, 0
	global_load_dword v1, v0, s[12:13] offset:212
	s_waitcnt vmcnt(0)
	v_add_nc_u32_e32 v1, -1, v1
	v_cmp_eq_u32_e32 vcc_lo, 53, v1
	s_cbranch_vccnz .LBB122_378
; %bb.377:
	v_lshlrev_b32_e32 v1, 3, v1
	s_clause 0x3
	buffer_load_dword v2, v1, s[0:3], 0 offen
	buffer_load_dword v3, v1, s[0:3], 0 offen offset:4
	buffer_load_dword v4, off, s[0:3], 0 offset:424
	buffer_load_dword v5, off, s[0:3], 0 offset:428
	s_waitcnt vmcnt(3)
	buffer_store_dword v2, off, s[0:3], 0 offset:424
	s_waitcnt vmcnt(2)
	buffer_store_dword v3, off, s[0:3], 0 offset:428
	s_waitcnt vmcnt(1)
	buffer_store_dword v4, v1, s[0:3], 0 offen
	s_waitcnt vmcnt(0)
	buffer_store_dword v5, v1, s[0:3], 0 offen offset:4
.LBB122_378:
	;; [unrolled: 43-line block ×28, first 2 shown]
	global_load_dword v0, v0, s[12:13]
	s_waitcnt vmcnt(0)
	v_add_nc_u32_e32 v0, -1, v0
	v_cmp_eq_u32_e32 vcc_lo, 0, v0
	s_cbranch_vccnz .LBB122_484
; %bb.483:
	v_lshlrev_b32_e32 v0, 3, v0
	s_clause 0x3
	buffer_load_dword v1, v0, s[0:3], 0 offen
	buffer_load_dword v2, v0, s[0:3], 0 offen offset:4
	buffer_load_dword v3, off, s[0:3], 0 offset:4
	buffer_load_dword v4, off, s[0:3], 0
	s_waitcnt vmcnt(3)
	buffer_store_dword v1, off, s[0:3], 0
	s_waitcnt vmcnt(2)
	buffer_store_dword v2, off, s[0:3], 0 offset:4
	s_waitcnt vmcnt(1)
	buffer_store_dword v3, v0, s[0:3], 0 offen offset:4
	s_waitcnt vmcnt(0)
	buffer_store_dword v4, v0, s[0:3], 0 offen
.LBB122_484:
	s_clause 0x1
	buffer_load_dword v0, off, s[0:3], 0
	buffer_load_dword v1, off, s[0:3], 0 offset:4
	s_waitcnt vmcnt(0)
	flat_store_dwordx2 v[13:14], v[0:1]
	s_clause 0x1
	buffer_load_dword v0, off, s[0:3], 0 offset:8
	buffer_load_dword v1, off, s[0:3], 0 offset:12
	s_waitcnt vmcnt(0)
	flat_store_dwordx2 v[15:16], v[0:1]
	s_clause 0x1
	buffer_load_dword v0, off, s[0:3], 0 offset:16
	;; [unrolled: 5-line block ×58, first 2 shown]
	buffer_load_dword v1, off, s[0:3], 0 offset:468
	s_waitcnt vmcnt(0)
	flat_store_dwordx2 v[129:130], v[0:1]
	s_endpgm
	.section	.rodata,"a",@progbits
	.p2align	6, 0x0
	.amdhsa_kernel _ZN9rocsolver6v33100L18getri_kernel_smallILi59E19rocblas_complex_numIfEPKPS3_EEvT1_iilPiilS8_bb
		.amdhsa_group_segment_fixed_size 952
		.amdhsa_private_segment_fixed_size 480
		.amdhsa_kernarg_size 60
		.amdhsa_user_sgpr_count 6
		.amdhsa_user_sgpr_private_segment_buffer 1
		.amdhsa_user_sgpr_dispatch_ptr 0
		.amdhsa_user_sgpr_queue_ptr 0
		.amdhsa_user_sgpr_kernarg_segment_ptr 1
		.amdhsa_user_sgpr_dispatch_id 0
		.amdhsa_user_sgpr_flat_scratch_init 0
		.amdhsa_user_sgpr_private_segment_size 0
		.amdhsa_wavefront_size32 1
		.amdhsa_uses_dynamic_stack 0
		.amdhsa_system_sgpr_private_segment_wavefront_offset 1
		.amdhsa_system_sgpr_workgroup_id_x 1
		.amdhsa_system_sgpr_workgroup_id_y 0
		.amdhsa_system_sgpr_workgroup_id_z 0
		.amdhsa_system_sgpr_workgroup_info 0
		.amdhsa_system_vgpr_workitem_id 0
		.amdhsa_next_free_vgpr 252
		.amdhsa_next_free_sgpr 20
		.amdhsa_reserve_vcc 1
		.amdhsa_reserve_flat_scratch 0
		.amdhsa_float_round_mode_32 0
		.amdhsa_float_round_mode_16_64 0
		.amdhsa_float_denorm_mode_32 3
		.amdhsa_float_denorm_mode_16_64 3
		.amdhsa_dx10_clamp 1
		.amdhsa_ieee_mode 1
		.amdhsa_fp16_overflow 0
		.amdhsa_workgroup_processor_mode 1
		.amdhsa_memory_ordered 1
		.amdhsa_forward_progress 1
		.amdhsa_shared_vgpr_count 0
		.amdhsa_exception_fp_ieee_invalid_op 0
		.amdhsa_exception_fp_denorm_src 0
		.amdhsa_exception_fp_ieee_div_zero 0
		.amdhsa_exception_fp_ieee_overflow 0
		.amdhsa_exception_fp_ieee_underflow 0
		.amdhsa_exception_fp_ieee_inexact 0
		.amdhsa_exception_int_div_zero 0
	.end_amdhsa_kernel
	.section	.text._ZN9rocsolver6v33100L18getri_kernel_smallILi59E19rocblas_complex_numIfEPKPS3_EEvT1_iilPiilS8_bb,"axG",@progbits,_ZN9rocsolver6v33100L18getri_kernel_smallILi59E19rocblas_complex_numIfEPKPS3_EEvT1_iilPiilS8_bb,comdat
.Lfunc_end122:
	.size	_ZN9rocsolver6v33100L18getri_kernel_smallILi59E19rocblas_complex_numIfEPKPS3_EEvT1_iilPiilS8_bb, .Lfunc_end122-_ZN9rocsolver6v33100L18getri_kernel_smallILi59E19rocblas_complex_numIfEPKPS3_EEvT1_iilPiilS8_bb
                                        ; -- End function
	.set _ZN9rocsolver6v33100L18getri_kernel_smallILi59E19rocblas_complex_numIfEPKPS3_EEvT1_iilPiilS8_bb.num_vgpr, 252
	.set _ZN9rocsolver6v33100L18getri_kernel_smallILi59E19rocblas_complex_numIfEPKPS3_EEvT1_iilPiilS8_bb.num_agpr, 0
	.set _ZN9rocsolver6v33100L18getri_kernel_smallILi59E19rocblas_complex_numIfEPKPS3_EEvT1_iilPiilS8_bb.numbered_sgpr, 20
	.set _ZN9rocsolver6v33100L18getri_kernel_smallILi59E19rocblas_complex_numIfEPKPS3_EEvT1_iilPiilS8_bb.num_named_barrier, 0
	.set _ZN9rocsolver6v33100L18getri_kernel_smallILi59E19rocblas_complex_numIfEPKPS3_EEvT1_iilPiilS8_bb.private_seg_size, 480
	.set _ZN9rocsolver6v33100L18getri_kernel_smallILi59E19rocblas_complex_numIfEPKPS3_EEvT1_iilPiilS8_bb.uses_vcc, 1
	.set _ZN9rocsolver6v33100L18getri_kernel_smallILi59E19rocblas_complex_numIfEPKPS3_EEvT1_iilPiilS8_bb.uses_flat_scratch, 0
	.set _ZN9rocsolver6v33100L18getri_kernel_smallILi59E19rocblas_complex_numIfEPKPS3_EEvT1_iilPiilS8_bb.has_dyn_sized_stack, 0
	.set _ZN9rocsolver6v33100L18getri_kernel_smallILi59E19rocblas_complex_numIfEPKPS3_EEvT1_iilPiilS8_bb.has_recursion, 0
	.set _ZN9rocsolver6v33100L18getri_kernel_smallILi59E19rocblas_complex_numIfEPKPS3_EEvT1_iilPiilS8_bb.has_indirect_call, 0
	.section	.AMDGPU.csdata,"",@progbits
; Kernel info:
; codeLenInByte = 128128
; TotalNumSgprs: 22
; NumVgprs: 252
; ScratchSize: 480
; MemoryBound: 0
; FloatMode: 240
; IeeeMode: 1
; LDSByteSize: 952 bytes/workgroup (compile time only)
; SGPRBlocks: 0
; VGPRBlocks: 31
; NumSGPRsForWavesPerEU: 22
; NumVGPRsForWavesPerEU: 252
; Occupancy: 4
; WaveLimiterHint : 1
; COMPUTE_PGM_RSRC2:SCRATCH_EN: 1
; COMPUTE_PGM_RSRC2:USER_SGPR: 6
; COMPUTE_PGM_RSRC2:TRAP_HANDLER: 0
; COMPUTE_PGM_RSRC2:TGID_X_EN: 1
; COMPUTE_PGM_RSRC2:TGID_Y_EN: 0
; COMPUTE_PGM_RSRC2:TGID_Z_EN: 0
; COMPUTE_PGM_RSRC2:TIDIG_COMP_CNT: 0
	.section	.text._ZN9rocsolver6v33100L18getri_kernel_smallILi60E19rocblas_complex_numIfEPKPS3_EEvT1_iilPiilS8_bb,"axG",@progbits,_ZN9rocsolver6v33100L18getri_kernel_smallILi60E19rocblas_complex_numIfEPKPS3_EEvT1_iilPiilS8_bb,comdat
	.globl	_ZN9rocsolver6v33100L18getri_kernel_smallILi60E19rocblas_complex_numIfEPKPS3_EEvT1_iilPiilS8_bb ; -- Begin function _ZN9rocsolver6v33100L18getri_kernel_smallILi60E19rocblas_complex_numIfEPKPS3_EEvT1_iilPiilS8_bb
	.p2align	8
	.type	_ZN9rocsolver6v33100L18getri_kernel_smallILi60E19rocblas_complex_numIfEPKPS3_EEvT1_iilPiilS8_bb,@function
_ZN9rocsolver6v33100L18getri_kernel_smallILi60E19rocblas_complex_numIfEPKPS3_EEvT1_iilPiilS8_bb: ; @_ZN9rocsolver6v33100L18getri_kernel_smallILi60E19rocblas_complex_numIfEPKPS3_EEvT1_iilPiilS8_bb
; %bb.0:
	s_add_u32 s0, s0, s7
	s_addc_u32 s1, s1, 0
	s_mov_b32 s7, exec_lo
	v_cmpx_gt_u32_e32 60, v0
	s_cbranch_execz .LBB123_254
; %bb.1:
	s_clause 0x2
	s_load_dword s17, s[4:5], 0x38
	s_load_dwordx2 s[12:13], s[4:5], 0x0
	s_load_dwordx4 s[8:11], s[4:5], 0x28
	s_waitcnt lgkmcnt(0)
	s_bitcmp1_b32 s17, 8
	s_cselect_b32 s16, -1, 0
	s_ashr_i32 s7, s6, 31
	s_lshl_b64 s[14:15], s[6:7], 3
	s_add_u32 s12, s12, s14
	s_addc_u32 s13, s13, s15
	s_load_dwordx2 s[14:15], s[12:13], 0x0
	s_bfe_u32 s12, s17, 0x10008
	s_cmp_eq_u32 s12, 0
                                        ; implicit-def: $sgpr12_sgpr13
	s_cbranch_scc1 .LBB123_3
; %bb.2:
	s_clause 0x1
	s_load_dword s12, s[4:5], 0x20
	s_load_dwordx2 s[18:19], s[4:5], 0x18
	s_mul_i32 s13, s8, s7
	s_mul_hi_u32 s17, s8, s6
	s_mul_i32 s9, s9, s6
	s_add_i32 s13, s17, s13
	s_mul_i32 s8, s8, s6
	s_add_i32 s9, s13, s9
	s_lshl_b64 s[8:9], s[8:9], 2
	s_waitcnt lgkmcnt(0)
	s_ashr_i32 s13, s12, 31
	s_add_u32 s17, s18, s8
	s_addc_u32 s18, s19, s9
	s_lshl_b64 s[8:9], s[12:13], 2
	s_add_u32 s12, s17, s8
	s_addc_u32 s13, s18, s9
.LBB123_3:
	s_clause 0x1
	s_load_dwordx2 s[8:9], s[4:5], 0x8
	s_load_dword s17, s[4:5], 0x38
	v_lshlrev_b32_e32 v3, 3, v0
	s_waitcnt lgkmcnt(0)
	s_ashr_i32 s5, s8, 31
	s_mov_b32 s4, s8
	v_add3_u32 v4, s9, s9, v0
	s_lshl_b64 s[4:5], s[4:5], 3
	s_add_u32 s4, s14, s4
	s_addc_u32 s5, s15, s5
	v_add_co_u32 v13, s8, s4, v3
	v_add_co_ci_u32_e64 v14, null, s5, 0, s8
	s_mov_b32 s14, s9
	s_ashr_i32 s15, s9, 31
	v_ashrrev_i32_e32 v5, 31, v4
	flat_load_dwordx2 v[1:2], v[13:14]
	s_lshl_b64 s[14:15], s[14:15], 3
	s_bitcmp0_b32 s17, 0
	v_add_co_u32 v15, vcc_lo, v13, s14
	v_add_co_ci_u32_e64 v16, null, s15, v14, vcc_lo
	v_lshlrev_b64 v[5:6], 3, v[4:5]
	v_add_nc_u32_e32 v4, s9, v4
	s_waitcnt vmcnt(0) lgkmcnt(0)
	buffer_store_dword v2, off, s[0:3], 0 offset:4
	buffer_store_dword v1, off, s[0:3], 0
	flat_load_dwordx2 v[1:2], v[15:16]
	v_add_co_u32 v17, vcc_lo, s4, v5
	v_add_co_ci_u32_e64 v18, null, s5, v6, vcc_lo
	v_ashrrev_i32_e32 v5, 31, v4
	s_waitcnt vmcnt(0) lgkmcnt(0)
	buffer_store_dword v2, off, s[0:3], 0 offset:12
	buffer_store_dword v1, off, s[0:3], 0 offset:8
	flat_load_dwordx2 v[1:2], v[17:18]
	v_lshlrev_b64 v[5:6], 3, v[4:5]
	v_add_nc_u32_e32 v4, s9, v4
	s_waitcnt vmcnt(0) lgkmcnt(0)
	buffer_store_dword v2, off, s[0:3], 0 offset:20
	buffer_store_dword v1, off, s[0:3], 0 offset:16
	v_add_co_u32 v19, vcc_lo, s4, v5
	v_add_co_ci_u32_e64 v20, null, s5, v6, vcc_lo
	v_ashrrev_i32_e32 v5, 31, v4
	flat_load_dwordx2 v[1:2], v[19:20]
	s_waitcnt vmcnt(0) lgkmcnt(0)
	buffer_store_dword v2, off, s[0:3], 0 offset:28
	buffer_store_dword v1, off, s[0:3], 0 offset:24
	v_lshlrev_b64 v[5:6], 3, v[4:5]
	v_add_nc_u32_e32 v4, s9, v4
	v_add_co_u32 v21, vcc_lo, s4, v5
	v_add_co_ci_u32_e64 v22, null, s5, v6, vcc_lo
	v_ashrrev_i32_e32 v5, 31, v4
	flat_load_dwordx2 v[1:2], v[21:22]
	s_waitcnt vmcnt(0) lgkmcnt(0)
	buffer_store_dword v2, off, s[0:3], 0 offset:36
	buffer_store_dword v1, off, s[0:3], 0 offset:32
	v_lshlrev_b64 v[5:6], 3, v[4:5]
	v_add_nc_u32_e32 v4, s9, v4
	;; [unrolled: 9-line block ×55, first 2 shown]
	v_add_co_u32 v129, vcc_lo, s4, v5
	v_add_co_ci_u32_e64 v130, null, s5, v6, vcc_lo
	v_ashrrev_i32_e32 v5, 31, v4
	flat_load_dwordx2 v[1:2], v[129:130]
	s_waitcnt vmcnt(0) lgkmcnt(0)
	buffer_store_dword v2, off, s[0:3], 0 offset:468
	buffer_store_dword v1, off, s[0:3], 0 offset:464
	v_lshlrev_b64 v[4:5], 3, v[4:5]
	v_add_co_u32 v131, vcc_lo, s4, v4
	v_add_co_ci_u32_e64 v132, null, s5, v5, vcc_lo
	s_mov_b32 s5, -1
	flat_load_dwordx2 v[1:2], v[131:132]
	s_waitcnt vmcnt(0) lgkmcnt(0)
	buffer_store_dword v2, off, s[0:3], 0 offset:476
	buffer_store_dword v1, off, s[0:3], 0 offset:472
	s_cbranch_scc1 .LBB123_252
; %bb.4:
	v_cmp_eq_u32_e64 s4, 0, v0
	s_and_saveexec_b32 s5, s4
; %bb.5:
	v_mov_b32_e32 v1, 0
	ds_write_b32 v1, v1 offset:960
; %bb.6:
	s_or_b32 exec_lo, exec_lo, s5
	v_lshl_add_u32 v5, v0, 3, 0
	s_waitcnt lgkmcnt(0)
	s_waitcnt_vscnt null, 0x0
	s_barrier
	buffer_gl0_inv
	s_clause 0x1
	buffer_load_dword v1, v5, s[0:3], 0 offen
	buffer_load_dword v2, v5, s[0:3], 0 offen offset:4
	s_waitcnt vmcnt(1)
	v_cmp_eq_f32_e32 vcc_lo, 0, v1
	s_waitcnt vmcnt(0)
	v_cmp_eq_f32_e64 s5, 0, v2
	s_and_b32 s5, vcc_lo, s5
	s_and_saveexec_b32 s8, s5
	s_cbranch_execz .LBB123_10
; %bb.7:
	v_mov_b32_e32 v1, 0
	s_mov_b32 s9, 0
	ds_read_b32 v2, v1 offset:960
	s_waitcnt lgkmcnt(0)
	v_readfirstlane_b32 s5, v2
	v_add_nc_u32_e32 v2, 1, v0
	s_cmp_eq_u32 s5, 0
	v_cmp_gt_i32_e32 vcc_lo, s5, v2
	s_cselect_b32 s14, -1, 0
	s_or_b32 s14, s14, vcc_lo
	s_and_b32 exec_lo, exec_lo, s14
	s_cbranch_execz .LBB123_10
; %bb.8:
	v_mov_b32_e32 v4, s5
.LBB123_9:                              ; =>This Inner Loop Header: Depth=1
	ds_cmpst_rtn_b32 v4, v1, v4, v2 offset:960
	s_waitcnt lgkmcnt(0)
	v_cmp_ne_u32_e32 vcc_lo, 0, v4
	v_cmp_le_i32_e64 s5, v4, v2
	s_and_b32 s5, vcc_lo, s5
	s_and_b32 s5, exec_lo, s5
	s_or_b32 s9, s5, s9
	s_andn2_b32 exec_lo, exec_lo, s9
	s_cbranch_execnz .LBB123_9
.LBB123_10:
	s_or_b32 exec_lo, exec_lo, s8
	v_mov_b32_e32 v1, 0
	s_barrier
	buffer_gl0_inv
	ds_read_b32 v2, v1 offset:960
	s_and_saveexec_b32 s5, s4
	s_cbranch_execz .LBB123_12
; %bb.11:
	s_lshl_b64 s[8:9], s[6:7], 2
	s_add_u32 s8, s10, s8
	s_addc_u32 s9, s11, s9
	s_waitcnt lgkmcnt(0)
	global_store_dword v1, v2, s[8:9]
.LBB123_12:
	s_or_b32 exec_lo, exec_lo, s5
	s_waitcnt lgkmcnt(0)
	v_cmp_ne_u32_e32 vcc_lo, 0, v2
	s_mov_b32 s5, 0
	s_cbranch_vccnz .LBB123_252
; %bb.13:
	s_clause 0x1
	buffer_load_dword v2, v5, s[0:3], 0 offen
	buffer_load_dword v4, v5, s[0:3], 0 offen offset:4
                                        ; implicit-def: $vgpr7
                                        ; implicit-def: $vgpr6
                                        ; implicit-def: $vgpr1
	s_waitcnt vmcnt(0)
	v_cmp_ngt_f32_e64 s5, |v2|, |v4|
	s_and_saveexec_b32 s8, s5
	s_xor_b32 s5, exec_lo, s8
	s_cbranch_execz .LBB123_15
; %bb.14:
	v_div_scale_f32 v1, null, v4, v4, v2
	v_div_scale_f32 v8, vcc_lo, v2, v4, v2
	v_rcp_f32_e32 v6, v1
	v_fma_f32 v7, -v1, v6, 1.0
	v_fmac_f32_e32 v6, v7, v6
	v_mul_f32_e32 v7, v8, v6
	v_fma_f32 v9, -v1, v7, v8
	v_fmac_f32_e32 v7, v9, v6
	v_fma_f32 v1, -v1, v7, v8
	v_div_fmas_f32 v1, v1, v6, v7
	v_div_fixup_f32 v1, v1, v4, v2
	v_fmac_f32_e32 v4, v2, v1
	v_div_scale_f32 v2, null, v4, v4, 1.0
	v_rcp_f32_e32 v6, v2
	v_fma_f32 v7, -v2, v6, 1.0
	v_fmac_f32_e32 v6, v7, v6
	v_div_scale_f32 v7, vcc_lo, 1.0, v4, 1.0
	v_mul_f32_e32 v8, v7, v6
	v_fma_f32 v9, -v2, v8, v7
	v_fmac_f32_e32 v8, v9, v6
	v_fma_f32 v2, -v2, v8, v7
	v_div_fmas_f32 v2, v2, v6, v8
	v_div_fixup_f32 v2, v2, v4, 1.0
                                        ; implicit-def: $vgpr4
	v_mul_f32_e32 v7, v1, v2
	v_xor_b32_e32 v6, 0x80000000, v2
                                        ; implicit-def: $vgpr2
	v_xor_b32_e32 v1, 0x80000000, v7
.LBB123_15:
	s_andn2_saveexec_b32 s5, s5
	s_cbranch_execz .LBB123_17
; %bb.16:
	v_div_scale_f32 v1, null, v2, v2, v4
	v_div_scale_f32 v8, vcc_lo, v4, v2, v4
	v_rcp_f32_e32 v6, v1
	v_fma_f32 v7, -v1, v6, 1.0
	v_fmac_f32_e32 v6, v7, v6
	v_mul_f32_e32 v7, v8, v6
	v_fma_f32 v9, -v1, v7, v8
	v_fmac_f32_e32 v7, v9, v6
	v_fma_f32 v1, -v1, v7, v8
	v_div_fmas_f32 v1, v1, v6, v7
	v_div_fixup_f32 v6, v1, v2, v4
	v_fmac_f32_e32 v2, v4, v6
	v_div_scale_f32 v1, null, v2, v2, 1.0
	v_div_scale_f32 v8, vcc_lo, 1.0, v2, 1.0
	v_rcp_f32_e32 v4, v1
	v_fma_f32 v7, -v1, v4, 1.0
	v_fmac_f32_e32 v4, v7, v4
	v_mul_f32_e32 v7, v8, v4
	v_fma_f32 v9, -v1, v7, v8
	v_fmac_f32_e32 v7, v9, v4
	v_fma_f32 v1, -v1, v7, v8
	v_div_fmas_f32 v1, v1, v4, v7
	v_div_fixup_f32 v7, v1, v2, 1.0
	v_xor_b32_e32 v1, 0x80000000, v7
	v_mul_f32_e64 v6, v6, -v7
.LBB123_17:
	s_or_b32 exec_lo, exec_lo, s5
	buffer_store_dword v7, v5, s[0:3], 0 offen
	buffer_store_dword v6, v5, s[0:3], 0 offen offset:4
	s_clause 0x1
	buffer_load_dword v8, off, s[0:3], 0 offset:12
	buffer_load_dword v7, off, s[0:3], 0 offset:8
	v_xor_b32_e32 v2, 0x80000000, v6
	v_add_nc_u32_e32 v4, 0x1e0, v3
	s_waitcnt vmcnt(0)
	ds_write2_b64 v3, v[1:2], v[7:8] offset1:60
	s_waitcnt lgkmcnt(0)
	s_waitcnt_vscnt null, 0x0
	s_barrier
	buffer_gl0_inv
	s_and_saveexec_b32 s5, s4
	s_cbranch_execz .LBB123_19
; %bb.18:
	s_clause 0x1
	buffer_load_dword v8, v5, s[0:3], 0 offen offset:4
	buffer_load_dword v9, v5, s[0:3], 0 offen
	ds_read_b64 v[1:2], v4
	v_mov_b32_e32 v6, 0
	ds_read_b64 v[6:7], v6 offset:8
	s_waitcnt vmcnt(1) lgkmcnt(1)
	v_mul_f32_e32 v10, v1, v8
	v_mul_f32_e32 v8, v2, v8
	s_waitcnt vmcnt(0)
	v_fmac_f32_e32 v10, v2, v9
	v_fma_f32 v1, v1, v9, -v8
	v_add_f32_e32 v2, 0, v10
	v_add_f32_e32 v1, 0, v1
	s_waitcnt lgkmcnt(0)
	v_mul_f32_e32 v8, v2, v7
	v_mul_f32_e32 v7, v1, v7
	v_fma_f32 v1, v1, v6, -v8
	v_fmac_f32_e32 v7, v2, v6
	buffer_store_dword v1, off, s[0:3], 0 offset:8
	buffer_store_dword v7, off, s[0:3], 0 offset:12
.LBB123_19:
	s_or_b32 exec_lo, exec_lo, s5
	s_waitcnt_vscnt null, 0x0
	s_barrier
	buffer_gl0_inv
	s_clause 0x1
	buffer_load_dword v1, off, s[0:3], 0 offset:16
	buffer_load_dword v2, off, s[0:3], 0 offset:20
	s_mov_b32 s5, exec_lo
	s_waitcnt vmcnt(0)
	ds_write_b64 v4, v[1:2]
	s_waitcnt lgkmcnt(0)
	s_barrier
	buffer_gl0_inv
	v_cmpx_gt_u32_e32 2, v0
	s_cbranch_execz .LBB123_23
; %bb.20:
	s_clause 0x1
	buffer_load_dword v6, v5, s[0:3], 0 offen offset:4
	buffer_load_dword v5, v5, s[0:3], 0 offen
	ds_read_b64 v[1:2], v4
	s_waitcnt vmcnt(1) lgkmcnt(0)
	v_mul_f32_e32 v7, v2, v6
	v_mul_f32_e32 v6, v1, v6
	s_waitcnt vmcnt(0)
	v_fma_f32 v1, v1, v5, -v7
	v_fmac_f32_e32 v6, v2, v5
	v_add_f32_e32 v2, 0, v1
	v_add_f32_e32 v1, 0, v6
	s_and_saveexec_b32 s8, s4
	s_cbranch_execz .LBB123_22
; %bb.21:
	s_clause 0x1
	buffer_load_dword v7, off, s[0:3], 0 offset:12
	buffer_load_dword v8, off, s[0:3], 0 offset:8
	v_mov_b32_e32 v5, 0
	ds_read_b64 v[5:6], v5 offset:488
	s_waitcnt vmcnt(1) lgkmcnt(0)
	v_mul_f32_e32 v9, v5, v7
	v_mul_f32_e32 v7, v6, v7
	s_waitcnt vmcnt(0)
	v_fmac_f32_e32 v9, v6, v8
	v_fma_f32 v5, v5, v8, -v7
	v_add_f32_e32 v1, v1, v9
	v_add_f32_e32 v2, v2, v5
.LBB123_22:
	s_or_b32 exec_lo, exec_lo, s8
	v_mov_b32_e32 v5, 0
	ds_read_b64 v[5:6], v5 offset:16
	s_waitcnt lgkmcnt(0)
	v_mul_f32_e32 v7, v1, v6
	v_mul_f32_e32 v6, v2, v6
	v_fma_f32 v2, v2, v5, -v7
	v_fmac_f32_e32 v6, v1, v5
	buffer_store_dword v2, off, s[0:3], 0 offset:16
	buffer_store_dword v6, off, s[0:3], 0 offset:20
.LBB123_23:
	s_or_b32 exec_lo, exec_lo, s5
	s_waitcnt_vscnt null, 0x0
	s_barrier
	buffer_gl0_inv
	s_clause 0x1
	buffer_load_dword v5, off, s[0:3], 0 offset:24
	buffer_load_dword v6, off, s[0:3], 0 offset:28
	v_add_nc_u32_e32 v1, -1, v0
	s_mov_b32 s4, exec_lo
	s_waitcnt vmcnt(0)
	ds_write_b64 v4, v[5:6]
	s_waitcnt lgkmcnt(0)
	s_barrier
	buffer_gl0_inv
	v_cmpx_gt_u32_e32 3, v0
	s_cbranch_execz .LBB123_27
; %bb.24:
	v_add_nc_u32_e32 v5, -1, v0
	v_add_nc_u32_e32 v6, 0x1e0, v3
	v_mov_b32_e32 v7, v3
	v_mov_b32_e32 v2, 0
	;; [unrolled: 1-line block ×3, first 2 shown]
	s_mov_b32 s5, 0
	.p2align	6
.LBB123_25:                             ; =>This Inner Loop Header: Depth=1
	s_clause 0x1
	buffer_load_dword v11, v7, s[0:3], 0 offen offset:4
	buffer_load_dword v12, v7, s[0:3], 0 offen
	ds_read_b64 v[9:10], v6
	v_add_nc_u32_e32 v5, 1, v5
	v_add_nc_u32_e32 v6, 8, v6
	;; [unrolled: 1-line block ×3, first 2 shown]
	v_cmp_lt_u32_e32 vcc_lo, 1, v5
	s_or_b32 s5, vcc_lo, s5
	s_waitcnt vmcnt(1) lgkmcnt(0)
	v_mul_f32_e32 v133, v10, v11
	v_mul_f32_e32 v11, v9, v11
	s_waitcnt vmcnt(0)
	v_fma_f32 v9, v9, v12, -v133
	v_fmac_f32_e32 v11, v10, v12
	v_add_f32_e32 v8, v8, v9
	v_add_f32_e32 v2, v2, v11
	s_andn2_b32 exec_lo, exec_lo, s5
	s_cbranch_execnz .LBB123_25
; %bb.26:
	s_or_b32 exec_lo, exec_lo, s5
	v_mov_b32_e32 v5, 0
	ds_read_b64 v[5:6], v5 offset:24
	s_waitcnt lgkmcnt(0)
	v_mul_f32_e32 v7, v2, v6
	v_mul_f32_e32 v6, v8, v6
	v_fma_f32 v7, v8, v5, -v7
	v_fmac_f32_e32 v6, v2, v5
	buffer_store_dword v7, off, s[0:3], 0 offset:24
	buffer_store_dword v6, off, s[0:3], 0 offset:28
.LBB123_27:
	s_or_b32 exec_lo, exec_lo, s4
	s_waitcnt_vscnt null, 0x0
	s_barrier
	buffer_gl0_inv
	s_clause 0x1
	buffer_load_dword v5, off, s[0:3], 0 offset:32
	buffer_load_dword v6, off, s[0:3], 0 offset:36
	s_mov_b32 s4, exec_lo
	s_waitcnt vmcnt(0)
	ds_write_b64 v4, v[5:6]
	s_waitcnt lgkmcnt(0)
	s_barrier
	buffer_gl0_inv
	v_cmpx_gt_u32_e32 4, v0
	s_cbranch_execz .LBB123_31
; %bb.28:
	v_add_nc_u32_e32 v5, -1, v0
	v_add_nc_u32_e32 v6, 0x1e0, v3
	v_mov_b32_e32 v7, v3
	v_mov_b32_e32 v2, 0
	;; [unrolled: 1-line block ×3, first 2 shown]
	s_mov_b32 s5, 0
	.p2align	6
.LBB123_29:                             ; =>This Inner Loop Header: Depth=1
	s_clause 0x1
	buffer_load_dword v11, v7, s[0:3], 0 offen offset:4
	buffer_load_dword v12, v7, s[0:3], 0 offen
	ds_read_b64 v[9:10], v6
	v_add_nc_u32_e32 v5, 1, v5
	v_add_nc_u32_e32 v6, 8, v6
	v_add_nc_u32_e32 v7, 8, v7
	v_cmp_lt_u32_e32 vcc_lo, 2, v5
	s_or_b32 s5, vcc_lo, s5
	s_waitcnt vmcnt(1) lgkmcnt(0)
	v_mul_f32_e32 v133, v10, v11
	v_mul_f32_e32 v11, v9, v11
	s_waitcnt vmcnt(0)
	v_fma_f32 v9, v9, v12, -v133
	v_fmac_f32_e32 v11, v10, v12
	v_add_f32_e32 v8, v8, v9
	v_add_f32_e32 v2, v2, v11
	s_andn2_b32 exec_lo, exec_lo, s5
	s_cbranch_execnz .LBB123_29
; %bb.30:
	s_or_b32 exec_lo, exec_lo, s5
	v_mov_b32_e32 v5, 0
	ds_read_b64 v[5:6], v5 offset:32
	s_waitcnt lgkmcnt(0)
	v_mul_f32_e32 v7, v2, v6
	v_mul_f32_e32 v6, v8, v6
	v_fma_f32 v7, v8, v5, -v7
	v_fmac_f32_e32 v6, v2, v5
	buffer_store_dword v7, off, s[0:3], 0 offset:32
	buffer_store_dword v6, off, s[0:3], 0 offset:36
.LBB123_31:
	s_or_b32 exec_lo, exec_lo, s4
	s_waitcnt_vscnt null, 0x0
	s_barrier
	buffer_gl0_inv
	s_clause 0x1
	buffer_load_dword v5, off, s[0:3], 0 offset:40
	buffer_load_dword v6, off, s[0:3], 0 offset:44
	s_mov_b32 s4, exec_lo
	s_waitcnt vmcnt(0)
	ds_write_b64 v4, v[5:6]
	s_waitcnt lgkmcnt(0)
	s_barrier
	buffer_gl0_inv
	v_cmpx_gt_u32_e32 5, v0
	s_cbranch_execz .LBB123_35
; %bb.32:
	v_add_nc_u32_e32 v5, -1, v0
	v_add_nc_u32_e32 v6, 0x1e0, v3
	v_mov_b32_e32 v7, v3
	v_mov_b32_e32 v2, 0
	;; [unrolled: 1-line block ×3, first 2 shown]
	s_mov_b32 s5, 0
	.p2align	6
.LBB123_33:                             ; =>This Inner Loop Header: Depth=1
	s_clause 0x1
	buffer_load_dword v11, v7, s[0:3], 0 offen offset:4
	buffer_load_dword v12, v7, s[0:3], 0 offen
	ds_read_b64 v[9:10], v6
	v_add_nc_u32_e32 v5, 1, v5
	v_add_nc_u32_e32 v6, 8, v6
	;; [unrolled: 1-line block ×3, first 2 shown]
	v_cmp_lt_u32_e32 vcc_lo, 3, v5
	s_or_b32 s5, vcc_lo, s5
	s_waitcnt vmcnt(1) lgkmcnt(0)
	v_mul_f32_e32 v133, v10, v11
	v_mul_f32_e32 v11, v9, v11
	s_waitcnt vmcnt(0)
	v_fma_f32 v9, v9, v12, -v133
	v_fmac_f32_e32 v11, v10, v12
	v_add_f32_e32 v8, v8, v9
	v_add_f32_e32 v2, v2, v11
	s_andn2_b32 exec_lo, exec_lo, s5
	s_cbranch_execnz .LBB123_33
; %bb.34:
	s_or_b32 exec_lo, exec_lo, s5
	v_mov_b32_e32 v5, 0
	ds_read_b64 v[5:6], v5 offset:40
	s_waitcnt lgkmcnt(0)
	v_mul_f32_e32 v7, v2, v6
	v_mul_f32_e32 v6, v8, v6
	v_fma_f32 v7, v8, v5, -v7
	v_fmac_f32_e32 v6, v2, v5
	buffer_store_dword v7, off, s[0:3], 0 offset:40
	buffer_store_dword v6, off, s[0:3], 0 offset:44
.LBB123_35:
	s_or_b32 exec_lo, exec_lo, s4
	s_waitcnt_vscnt null, 0x0
	s_barrier
	buffer_gl0_inv
	s_clause 0x1
	buffer_load_dword v5, off, s[0:3], 0 offset:48
	buffer_load_dword v6, off, s[0:3], 0 offset:52
	s_mov_b32 s4, exec_lo
	s_waitcnt vmcnt(0)
	ds_write_b64 v4, v[5:6]
	s_waitcnt lgkmcnt(0)
	s_barrier
	buffer_gl0_inv
	v_cmpx_gt_u32_e32 6, v0
	s_cbranch_execz .LBB123_39
; %bb.36:
	v_add_nc_u32_e32 v5, -1, v0
	v_add_nc_u32_e32 v6, 0x1e0, v3
	v_mov_b32_e32 v7, v3
	v_mov_b32_e32 v2, 0
	;; [unrolled: 1-line block ×3, first 2 shown]
	s_mov_b32 s5, 0
	.p2align	6
.LBB123_37:                             ; =>This Inner Loop Header: Depth=1
	s_clause 0x1
	buffer_load_dword v11, v7, s[0:3], 0 offen offset:4
	buffer_load_dword v12, v7, s[0:3], 0 offen
	ds_read_b64 v[9:10], v6
	v_add_nc_u32_e32 v5, 1, v5
	v_add_nc_u32_e32 v6, 8, v6
	;; [unrolled: 1-line block ×3, first 2 shown]
	v_cmp_lt_u32_e32 vcc_lo, 4, v5
	s_or_b32 s5, vcc_lo, s5
	s_waitcnt vmcnt(1) lgkmcnt(0)
	v_mul_f32_e32 v133, v10, v11
	v_mul_f32_e32 v11, v9, v11
	s_waitcnt vmcnt(0)
	v_fma_f32 v9, v9, v12, -v133
	v_fmac_f32_e32 v11, v10, v12
	v_add_f32_e32 v8, v8, v9
	v_add_f32_e32 v2, v2, v11
	s_andn2_b32 exec_lo, exec_lo, s5
	s_cbranch_execnz .LBB123_37
; %bb.38:
	s_or_b32 exec_lo, exec_lo, s5
	v_mov_b32_e32 v5, 0
	ds_read_b64 v[5:6], v5 offset:48
	s_waitcnt lgkmcnt(0)
	v_mul_f32_e32 v7, v2, v6
	v_mul_f32_e32 v6, v8, v6
	v_fma_f32 v7, v8, v5, -v7
	v_fmac_f32_e32 v6, v2, v5
	buffer_store_dword v7, off, s[0:3], 0 offset:48
	buffer_store_dword v6, off, s[0:3], 0 offset:52
.LBB123_39:
	s_or_b32 exec_lo, exec_lo, s4
	s_waitcnt_vscnt null, 0x0
	s_barrier
	buffer_gl0_inv
	s_clause 0x1
	buffer_load_dword v5, off, s[0:3], 0 offset:56
	buffer_load_dword v6, off, s[0:3], 0 offset:60
	s_mov_b32 s4, exec_lo
	s_waitcnt vmcnt(0)
	ds_write_b64 v4, v[5:6]
	s_waitcnt lgkmcnt(0)
	s_barrier
	buffer_gl0_inv
	v_cmpx_gt_u32_e32 7, v0
	s_cbranch_execz .LBB123_43
; %bb.40:
	v_add_nc_u32_e32 v5, -1, v0
	v_add_nc_u32_e32 v6, 0x1e0, v3
	v_mov_b32_e32 v7, v3
	v_mov_b32_e32 v2, 0
	;; [unrolled: 1-line block ×3, first 2 shown]
	s_mov_b32 s5, 0
	.p2align	6
.LBB123_41:                             ; =>This Inner Loop Header: Depth=1
	s_clause 0x1
	buffer_load_dword v11, v7, s[0:3], 0 offen offset:4
	buffer_load_dword v12, v7, s[0:3], 0 offen
	ds_read_b64 v[9:10], v6
	v_add_nc_u32_e32 v5, 1, v5
	v_add_nc_u32_e32 v6, 8, v6
	;; [unrolled: 1-line block ×3, first 2 shown]
	v_cmp_lt_u32_e32 vcc_lo, 5, v5
	s_or_b32 s5, vcc_lo, s5
	s_waitcnt vmcnt(1) lgkmcnt(0)
	v_mul_f32_e32 v133, v10, v11
	v_mul_f32_e32 v11, v9, v11
	s_waitcnt vmcnt(0)
	v_fma_f32 v9, v9, v12, -v133
	v_fmac_f32_e32 v11, v10, v12
	v_add_f32_e32 v8, v8, v9
	v_add_f32_e32 v2, v2, v11
	s_andn2_b32 exec_lo, exec_lo, s5
	s_cbranch_execnz .LBB123_41
; %bb.42:
	s_or_b32 exec_lo, exec_lo, s5
	v_mov_b32_e32 v5, 0
	ds_read_b64 v[5:6], v5 offset:56
	s_waitcnt lgkmcnt(0)
	v_mul_f32_e32 v7, v2, v6
	v_mul_f32_e32 v6, v8, v6
	v_fma_f32 v7, v8, v5, -v7
	v_fmac_f32_e32 v6, v2, v5
	buffer_store_dword v7, off, s[0:3], 0 offset:56
	buffer_store_dword v6, off, s[0:3], 0 offset:60
.LBB123_43:
	s_or_b32 exec_lo, exec_lo, s4
	s_waitcnt_vscnt null, 0x0
	s_barrier
	buffer_gl0_inv
	s_clause 0x1
	buffer_load_dword v5, off, s[0:3], 0 offset:64
	buffer_load_dword v6, off, s[0:3], 0 offset:68
	s_mov_b32 s4, exec_lo
	s_waitcnt vmcnt(0)
	ds_write_b64 v4, v[5:6]
	s_waitcnt lgkmcnt(0)
	s_barrier
	buffer_gl0_inv
	v_cmpx_gt_u32_e32 8, v0
	s_cbranch_execz .LBB123_47
; %bb.44:
	v_add_nc_u32_e32 v5, -1, v0
	v_add_nc_u32_e32 v6, 0x1e0, v3
	v_mov_b32_e32 v7, v3
	v_mov_b32_e32 v2, 0
	v_mov_b32_e32 v8, 0
	s_mov_b32 s5, 0
	.p2align	6
.LBB123_45:                             ; =>This Inner Loop Header: Depth=1
	s_clause 0x1
	buffer_load_dword v11, v7, s[0:3], 0 offen offset:4
	buffer_load_dword v12, v7, s[0:3], 0 offen
	ds_read_b64 v[9:10], v6
	v_add_nc_u32_e32 v5, 1, v5
	v_add_nc_u32_e32 v6, 8, v6
	;; [unrolled: 1-line block ×3, first 2 shown]
	v_cmp_lt_u32_e32 vcc_lo, 6, v5
	s_or_b32 s5, vcc_lo, s5
	s_waitcnt vmcnt(1) lgkmcnt(0)
	v_mul_f32_e32 v133, v10, v11
	v_mul_f32_e32 v11, v9, v11
	s_waitcnt vmcnt(0)
	v_fma_f32 v9, v9, v12, -v133
	v_fmac_f32_e32 v11, v10, v12
	v_add_f32_e32 v8, v8, v9
	v_add_f32_e32 v2, v2, v11
	s_andn2_b32 exec_lo, exec_lo, s5
	s_cbranch_execnz .LBB123_45
; %bb.46:
	s_or_b32 exec_lo, exec_lo, s5
	v_mov_b32_e32 v5, 0
	ds_read_b64 v[5:6], v5 offset:64
	s_waitcnt lgkmcnt(0)
	v_mul_f32_e32 v7, v2, v6
	v_mul_f32_e32 v6, v8, v6
	v_fma_f32 v7, v8, v5, -v7
	v_fmac_f32_e32 v6, v2, v5
	buffer_store_dword v7, off, s[0:3], 0 offset:64
	buffer_store_dword v6, off, s[0:3], 0 offset:68
.LBB123_47:
	s_or_b32 exec_lo, exec_lo, s4
	s_waitcnt_vscnt null, 0x0
	s_barrier
	buffer_gl0_inv
	s_clause 0x1
	buffer_load_dword v5, off, s[0:3], 0 offset:72
	buffer_load_dword v6, off, s[0:3], 0 offset:76
	s_mov_b32 s4, exec_lo
	s_waitcnt vmcnt(0)
	ds_write_b64 v4, v[5:6]
	s_waitcnt lgkmcnt(0)
	s_barrier
	buffer_gl0_inv
	v_cmpx_gt_u32_e32 9, v0
	s_cbranch_execz .LBB123_51
; %bb.48:
	v_add_nc_u32_e32 v5, -1, v0
	v_add_nc_u32_e32 v6, 0x1e0, v3
	v_mov_b32_e32 v7, v3
	v_mov_b32_e32 v2, 0
	;; [unrolled: 1-line block ×3, first 2 shown]
	s_mov_b32 s5, 0
	.p2align	6
.LBB123_49:                             ; =>This Inner Loop Header: Depth=1
	s_clause 0x1
	buffer_load_dword v11, v7, s[0:3], 0 offen offset:4
	buffer_load_dword v12, v7, s[0:3], 0 offen
	ds_read_b64 v[9:10], v6
	v_add_nc_u32_e32 v5, 1, v5
	v_add_nc_u32_e32 v6, 8, v6
	;; [unrolled: 1-line block ×3, first 2 shown]
	v_cmp_lt_u32_e32 vcc_lo, 7, v5
	s_or_b32 s5, vcc_lo, s5
	s_waitcnt vmcnt(1) lgkmcnt(0)
	v_mul_f32_e32 v133, v10, v11
	v_mul_f32_e32 v11, v9, v11
	s_waitcnt vmcnt(0)
	v_fma_f32 v9, v9, v12, -v133
	v_fmac_f32_e32 v11, v10, v12
	v_add_f32_e32 v8, v8, v9
	v_add_f32_e32 v2, v2, v11
	s_andn2_b32 exec_lo, exec_lo, s5
	s_cbranch_execnz .LBB123_49
; %bb.50:
	s_or_b32 exec_lo, exec_lo, s5
	v_mov_b32_e32 v5, 0
	ds_read_b64 v[5:6], v5 offset:72
	s_waitcnt lgkmcnt(0)
	v_mul_f32_e32 v7, v2, v6
	v_mul_f32_e32 v6, v8, v6
	v_fma_f32 v7, v8, v5, -v7
	v_fmac_f32_e32 v6, v2, v5
	buffer_store_dword v7, off, s[0:3], 0 offset:72
	buffer_store_dword v6, off, s[0:3], 0 offset:76
.LBB123_51:
	s_or_b32 exec_lo, exec_lo, s4
	s_waitcnt_vscnt null, 0x0
	s_barrier
	buffer_gl0_inv
	s_clause 0x1
	buffer_load_dword v5, off, s[0:3], 0 offset:80
	buffer_load_dword v6, off, s[0:3], 0 offset:84
	s_mov_b32 s4, exec_lo
	s_waitcnt vmcnt(0)
	ds_write_b64 v4, v[5:6]
	s_waitcnt lgkmcnt(0)
	s_barrier
	buffer_gl0_inv
	v_cmpx_gt_u32_e32 10, v0
	s_cbranch_execz .LBB123_55
; %bb.52:
	v_add_nc_u32_e32 v5, -1, v0
	v_add_nc_u32_e32 v6, 0x1e0, v3
	v_mov_b32_e32 v7, v3
	v_mov_b32_e32 v2, 0
	v_mov_b32_e32 v8, 0
	s_mov_b32 s5, 0
	.p2align	6
.LBB123_53:                             ; =>This Inner Loop Header: Depth=1
	s_clause 0x1
	buffer_load_dword v11, v7, s[0:3], 0 offen offset:4
	buffer_load_dword v12, v7, s[0:3], 0 offen
	ds_read_b64 v[9:10], v6
	v_add_nc_u32_e32 v5, 1, v5
	v_add_nc_u32_e32 v6, 8, v6
	v_add_nc_u32_e32 v7, 8, v7
	v_cmp_lt_u32_e32 vcc_lo, 8, v5
	s_or_b32 s5, vcc_lo, s5
	s_waitcnt vmcnt(1) lgkmcnt(0)
	v_mul_f32_e32 v133, v10, v11
	v_mul_f32_e32 v11, v9, v11
	s_waitcnt vmcnt(0)
	v_fma_f32 v9, v9, v12, -v133
	v_fmac_f32_e32 v11, v10, v12
	v_add_f32_e32 v8, v8, v9
	v_add_f32_e32 v2, v2, v11
	s_andn2_b32 exec_lo, exec_lo, s5
	s_cbranch_execnz .LBB123_53
; %bb.54:
	s_or_b32 exec_lo, exec_lo, s5
	v_mov_b32_e32 v5, 0
	ds_read_b64 v[5:6], v5 offset:80
	s_waitcnt lgkmcnt(0)
	v_mul_f32_e32 v7, v2, v6
	v_mul_f32_e32 v6, v8, v6
	v_fma_f32 v7, v8, v5, -v7
	v_fmac_f32_e32 v6, v2, v5
	buffer_store_dword v7, off, s[0:3], 0 offset:80
	buffer_store_dword v6, off, s[0:3], 0 offset:84
.LBB123_55:
	s_or_b32 exec_lo, exec_lo, s4
	s_waitcnt_vscnt null, 0x0
	s_barrier
	buffer_gl0_inv
	s_clause 0x1
	buffer_load_dword v5, off, s[0:3], 0 offset:88
	buffer_load_dword v6, off, s[0:3], 0 offset:92
	s_mov_b32 s4, exec_lo
	s_waitcnt vmcnt(0)
	ds_write_b64 v4, v[5:6]
	s_waitcnt lgkmcnt(0)
	s_barrier
	buffer_gl0_inv
	v_cmpx_gt_u32_e32 11, v0
	s_cbranch_execz .LBB123_59
; %bb.56:
	v_add_nc_u32_e32 v5, -1, v0
	v_add_nc_u32_e32 v6, 0x1e0, v3
	v_mov_b32_e32 v7, v3
	v_mov_b32_e32 v2, 0
	;; [unrolled: 1-line block ×3, first 2 shown]
	s_mov_b32 s5, 0
	.p2align	6
.LBB123_57:                             ; =>This Inner Loop Header: Depth=1
	s_clause 0x1
	buffer_load_dword v11, v7, s[0:3], 0 offen offset:4
	buffer_load_dword v12, v7, s[0:3], 0 offen
	ds_read_b64 v[9:10], v6
	v_add_nc_u32_e32 v5, 1, v5
	v_add_nc_u32_e32 v6, 8, v6
	;; [unrolled: 1-line block ×3, first 2 shown]
	v_cmp_lt_u32_e32 vcc_lo, 9, v5
	s_or_b32 s5, vcc_lo, s5
	s_waitcnt vmcnt(1) lgkmcnt(0)
	v_mul_f32_e32 v133, v10, v11
	v_mul_f32_e32 v11, v9, v11
	s_waitcnt vmcnt(0)
	v_fma_f32 v9, v9, v12, -v133
	v_fmac_f32_e32 v11, v10, v12
	v_add_f32_e32 v8, v8, v9
	v_add_f32_e32 v2, v2, v11
	s_andn2_b32 exec_lo, exec_lo, s5
	s_cbranch_execnz .LBB123_57
; %bb.58:
	s_or_b32 exec_lo, exec_lo, s5
	v_mov_b32_e32 v5, 0
	ds_read_b64 v[5:6], v5 offset:88
	s_waitcnt lgkmcnt(0)
	v_mul_f32_e32 v7, v2, v6
	v_mul_f32_e32 v6, v8, v6
	v_fma_f32 v7, v8, v5, -v7
	v_fmac_f32_e32 v6, v2, v5
	buffer_store_dword v7, off, s[0:3], 0 offset:88
	buffer_store_dword v6, off, s[0:3], 0 offset:92
.LBB123_59:
	s_or_b32 exec_lo, exec_lo, s4
	s_waitcnt_vscnt null, 0x0
	s_barrier
	buffer_gl0_inv
	s_clause 0x1
	buffer_load_dword v5, off, s[0:3], 0 offset:96
	buffer_load_dword v6, off, s[0:3], 0 offset:100
	s_mov_b32 s4, exec_lo
	s_waitcnt vmcnt(0)
	ds_write_b64 v4, v[5:6]
	s_waitcnt lgkmcnt(0)
	s_barrier
	buffer_gl0_inv
	v_cmpx_gt_u32_e32 12, v0
	s_cbranch_execz .LBB123_63
; %bb.60:
	v_add_nc_u32_e32 v5, -1, v0
	v_add_nc_u32_e32 v6, 0x1e0, v3
	v_mov_b32_e32 v7, v3
	v_mov_b32_e32 v2, 0
	v_mov_b32_e32 v8, 0
	s_mov_b32 s5, 0
	.p2align	6
.LBB123_61:                             ; =>This Inner Loop Header: Depth=1
	s_clause 0x1
	buffer_load_dword v11, v7, s[0:3], 0 offen offset:4
	buffer_load_dword v12, v7, s[0:3], 0 offen
	ds_read_b64 v[9:10], v6
	v_add_nc_u32_e32 v5, 1, v5
	v_add_nc_u32_e32 v6, 8, v6
	;; [unrolled: 1-line block ×3, first 2 shown]
	v_cmp_lt_u32_e32 vcc_lo, 10, v5
	s_or_b32 s5, vcc_lo, s5
	s_waitcnt vmcnt(1) lgkmcnt(0)
	v_mul_f32_e32 v133, v10, v11
	v_mul_f32_e32 v11, v9, v11
	s_waitcnt vmcnt(0)
	v_fma_f32 v9, v9, v12, -v133
	v_fmac_f32_e32 v11, v10, v12
	v_add_f32_e32 v8, v8, v9
	v_add_f32_e32 v2, v2, v11
	s_andn2_b32 exec_lo, exec_lo, s5
	s_cbranch_execnz .LBB123_61
; %bb.62:
	s_or_b32 exec_lo, exec_lo, s5
	v_mov_b32_e32 v5, 0
	ds_read_b64 v[5:6], v5 offset:96
	s_waitcnt lgkmcnt(0)
	v_mul_f32_e32 v7, v2, v6
	v_mul_f32_e32 v6, v8, v6
	v_fma_f32 v7, v8, v5, -v7
	v_fmac_f32_e32 v6, v2, v5
	buffer_store_dword v7, off, s[0:3], 0 offset:96
	buffer_store_dword v6, off, s[0:3], 0 offset:100
.LBB123_63:
	s_or_b32 exec_lo, exec_lo, s4
	s_waitcnt_vscnt null, 0x0
	s_barrier
	buffer_gl0_inv
	s_clause 0x1
	buffer_load_dword v5, off, s[0:3], 0 offset:104
	buffer_load_dword v6, off, s[0:3], 0 offset:108
	s_mov_b32 s4, exec_lo
	s_waitcnt vmcnt(0)
	ds_write_b64 v4, v[5:6]
	s_waitcnt lgkmcnt(0)
	s_barrier
	buffer_gl0_inv
	v_cmpx_gt_u32_e32 13, v0
	s_cbranch_execz .LBB123_67
; %bb.64:
	v_add_nc_u32_e32 v5, -1, v0
	v_add_nc_u32_e32 v6, 0x1e0, v3
	v_mov_b32_e32 v7, v3
	v_mov_b32_e32 v2, 0
	;; [unrolled: 1-line block ×3, first 2 shown]
	s_mov_b32 s5, 0
	.p2align	6
.LBB123_65:                             ; =>This Inner Loop Header: Depth=1
	s_clause 0x1
	buffer_load_dword v11, v7, s[0:3], 0 offen offset:4
	buffer_load_dword v12, v7, s[0:3], 0 offen
	ds_read_b64 v[9:10], v6
	v_add_nc_u32_e32 v5, 1, v5
	v_add_nc_u32_e32 v6, 8, v6
	;; [unrolled: 1-line block ×3, first 2 shown]
	v_cmp_lt_u32_e32 vcc_lo, 11, v5
	s_or_b32 s5, vcc_lo, s5
	s_waitcnt vmcnt(1) lgkmcnt(0)
	v_mul_f32_e32 v133, v10, v11
	v_mul_f32_e32 v11, v9, v11
	s_waitcnt vmcnt(0)
	v_fma_f32 v9, v9, v12, -v133
	v_fmac_f32_e32 v11, v10, v12
	v_add_f32_e32 v8, v8, v9
	v_add_f32_e32 v2, v2, v11
	s_andn2_b32 exec_lo, exec_lo, s5
	s_cbranch_execnz .LBB123_65
; %bb.66:
	s_or_b32 exec_lo, exec_lo, s5
	v_mov_b32_e32 v5, 0
	ds_read_b64 v[5:6], v5 offset:104
	s_waitcnt lgkmcnt(0)
	v_mul_f32_e32 v7, v2, v6
	v_mul_f32_e32 v6, v8, v6
	v_fma_f32 v7, v8, v5, -v7
	v_fmac_f32_e32 v6, v2, v5
	buffer_store_dword v7, off, s[0:3], 0 offset:104
	buffer_store_dword v6, off, s[0:3], 0 offset:108
.LBB123_67:
	s_or_b32 exec_lo, exec_lo, s4
	s_waitcnt_vscnt null, 0x0
	s_barrier
	buffer_gl0_inv
	s_clause 0x1
	buffer_load_dword v5, off, s[0:3], 0 offset:112
	buffer_load_dword v6, off, s[0:3], 0 offset:116
	s_mov_b32 s4, exec_lo
	s_waitcnt vmcnt(0)
	ds_write_b64 v4, v[5:6]
	s_waitcnt lgkmcnt(0)
	s_barrier
	buffer_gl0_inv
	v_cmpx_gt_u32_e32 14, v0
	s_cbranch_execz .LBB123_71
; %bb.68:
	v_add_nc_u32_e32 v5, -1, v0
	v_add_nc_u32_e32 v6, 0x1e0, v3
	v_mov_b32_e32 v7, v3
	v_mov_b32_e32 v2, 0
	;; [unrolled: 1-line block ×3, first 2 shown]
	s_mov_b32 s5, 0
	.p2align	6
.LBB123_69:                             ; =>This Inner Loop Header: Depth=1
	s_clause 0x1
	buffer_load_dword v11, v7, s[0:3], 0 offen offset:4
	buffer_load_dword v12, v7, s[0:3], 0 offen
	ds_read_b64 v[9:10], v6
	v_add_nc_u32_e32 v5, 1, v5
	v_add_nc_u32_e32 v6, 8, v6
	;; [unrolled: 1-line block ×3, first 2 shown]
	v_cmp_lt_u32_e32 vcc_lo, 12, v5
	s_or_b32 s5, vcc_lo, s5
	s_waitcnt vmcnt(1) lgkmcnt(0)
	v_mul_f32_e32 v133, v10, v11
	v_mul_f32_e32 v11, v9, v11
	s_waitcnt vmcnt(0)
	v_fma_f32 v9, v9, v12, -v133
	v_fmac_f32_e32 v11, v10, v12
	v_add_f32_e32 v8, v8, v9
	v_add_f32_e32 v2, v2, v11
	s_andn2_b32 exec_lo, exec_lo, s5
	s_cbranch_execnz .LBB123_69
; %bb.70:
	s_or_b32 exec_lo, exec_lo, s5
	v_mov_b32_e32 v5, 0
	ds_read_b64 v[5:6], v5 offset:112
	s_waitcnt lgkmcnt(0)
	v_mul_f32_e32 v7, v2, v6
	v_mul_f32_e32 v6, v8, v6
	v_fma_f32 v7, v8, v5, -v7
	v_fmac_f32_e32 v6, v2, v5
	buffer_store_dword v7, off, s[0:3], 0 offset:112
	buffer_store_dword v6, off, s[0:3], 0 offset:116
.LBB123_71:
	s_or_b32 exec_lo, exec_lo, s4
	s_waitcnt_vscnt null, 0x0
	s_barrier
	buffer_gl0_inv
	s_clause 0x1
	buffer_load_dword v5, off, s[0:3], 0 offset:120
	buffer_load_dword v6, off, s[0:3], 0 offset:124
	s_mov_b32 s4, exec_lo
	s_waitcnt vmcnt(0)
	ds_write_b64 v4, v[5:6]
	s_waitcnt lgkmcnt(0)
	s_barrier
	buffer_gl0_inv
	v_cmpx_gt_u32_e32 15, v0
	s_cbranch_execz .LBB123_75
; %bb.72:
	v_add_nc_u32_e32 v5, -1, v0
	v_add_nc_u32_e32 v6, 0x1e0, v3
	v_mov_b32_e32 v7, v3
	v_mov_b32_e32 v2, 0
	;; [unrolled: 1-line block ×3, first 2 shown]
	s_mov_b32 s5, 0
	.p2align	6
.LBB123_73:                             ; =>This Inner Loop Header: Depth=1
	s_clause 0x1
	buffer_load_dword v11, v7, s[0:3], 0 offen offset:4
	buffer_load_dword v12, v7, s[0:3], 0 offen
	ds_read_b64 v[9:10], v6
	v_add_nc_u32_e32 v5, 1, v5
	v_add_nc_u32_e32 v6, 8, v6
	;; [unrolled: 1-line block ×3, first 2 shown]
	v_cmp_lt_u32_e32 vcc_lo, 13, v5
	s_or_b32 s5, vcc_lo, s5
	s_waitcnt vmcnt(1) lgkmcnt(0)
	v_mul_f32_e32 v133, v10, v11
	v_mul_f32_e32 v11, v9, v11
	s_waitcnt vmcnt(0)
	v_fma_f32 v9, v9, v12, -v133
	v_fmac_f32_e32 v11, v10, v12
	v_add_f32_e32 v8, v8, v9
	v_add_f32_e32 v2, v2, v11
	s_andn2_b32 exec_lo, exec_lo, s5
	s_cbranch_execnz .LBB123_73
; %bb.74:
	s_or_b32 exec_lo, exec_lo, s5
	v_mov_b32_e32 v5, 0
	ds_read_b64 v[5:6], v5 offset:120
	s_waitcnt lgkmcnt(0)
	v_mul_f32_e32 v7, v2, v6
	v_mul_f32_e32 v6, v8, v6
	v_fma_f32 v7, v8, v5, -v7
	v_fmac_f32_e32 v6, v2, v5
	buffer_store_dword v7, off, s[0:3], 0 offset:120
	buffer_store_dword v6, off, s[0:3], 0 offset:124
.LBB123_75:
	s_or_b32 exec_lo, exec_lo, s4
	s_waitcnt_vscnt null, 0x0
	s_barrier
	buffer_gl0_inv
	s_clause 0x1
	buffer_load_dword v5, off, s[0:3], 0 offset:128
	buffer_load_dword v6, off, s[0:3], 0 offset:132
	s_mov_b32 s4, exec_lo
	s_waitcnt vmcnt(0)
	ds_write_b64 v4, v[5:6]
	s_waitcnt lgkmcnt(0)
	s_barrier
	buffer_gl0_inv
	v_cmpx_gt_u32_e32 16, v0
	s_cbranch_execz .LBB123_79
; %bb.76:
	v_add_nc_u32_e32 v5, -1, v0
	v_add_nc_u32_e32 v6, 0x1e0, v3
	v_mov_b32_e32 v7, v3
	v_mov_b32_e32 v2, 0
	;; [unrolled: 1-line block ×3, first 2 shown]
	s_mov_b32 s5, 0
	.p2align	6
.LBB123_77:                             ; =>This Inner Loop Header: Depth=1
	s_clause 0x1
	buffer_load_dword v11, v7, s[0:3], 0 offen offset:4
	buffer_load_dword v12, v7, s[0:3], 0 offen
	ds_read_b64 v[9:10], v6
	v_add_nc_u32_e32 v5, 1, v5
	v_add_nc_u32_e32 v6, 8, v6
	;; [unrolled: 1-line block ×3, first 2 shown]
	v_cmp_lt_u32_e32 vcc_lo, 14, v5
	s_or_b32 s5, vcc_lo, s5
	s_waitcnt vmcnt(1) lgkmcnt(0)
	v_mul_f32_e32 v133, v10, v11
	v_mul_f32_e32 v11, v9, v11
	s_waitcnt vmcnt(0)
	v_fma_f32 v9, v9, v12, -v133
	v_fmac_f32_e32 v11, v10, v12
	v_add_f32_e32 v8, v8, v9
	v_add_f32_e32 v2, v2, v11
	s_andn2_b32 exec_lo, exec_lo, s5
	s_cbranch_execnz .LBB123_77
; %bb.78:
	s_or_b32 exec_lo, exec_lo, s5
	v_mov_b32_e32 v5, 0
	ds_read_b64 v[5:6], v5 offset:128
	s_waitcnt lgkmcnt(0)
	v_mul_f32_e32 v7, v2, v6
	v_mul_f32_e32 v6, v8, v6
	v_fma_f32 v7, v8, v5, -v7
	v_fmac_f32_e32 v6, v2, v5
	buffer_store_dword v7, off, s[0:3], 0 offset:128
	buffer_store_dword v6, off, s[0:3], 0 offset:132
.LBB123_79:
	s_or_b32 exec_lo, exec_lo, s4
	s_waitcnt_vscnt null, 0x0
	s_barrier
	buffer_gl0_inv
	s_clause 0x1
	buffer_load_dword v5, off, s[0:3], 0 offset:136
	buffer_load_dword v6, off, s[0:3], 0 offset:140
	s_mov_b32 s4, exec_lo
	s_waitcnt vmcnt(0)
	ds_write_b64 v4, v[5:6]
	s_waitcnt lgkmcnt(0)
	s_barrier
	buffer_gl0_inv
	v_cmpx_gt_u32_e32 17, v0
	s_cbranch_execz .LBB123_83
; %bb.80:
	v_add_nc_u32_e32 v5, -1, v0
	v_add_nc_u32_e32 v6, 0x1e0, v3
	v_mov_b32_e32 v7, v3
	v_mov_b32_e32 v2, 0
	;; [unrolled: 1-line block ×3, first 2 shown]
	s_mov_b32 s5, 0
	.p2align	6
.LBB123_81:                             ; =>This Inner Loop Header: Depth=1
	s_clause 0x1
	buffer_load_dword v11, v7, s[0:3], 0 offen offset:4
	buffer_load_dword v12, v7, s[0:3], 0 offen
	ds_read_b64 v[9:10], v6
	v_add_nc_u32_e32 v5, 1, v5
	v_add_nc_u32_e32 v6, 8, v6
	;; [unrolled: 1-line block ×3, first 2 shown]
	v_cmp_lt_u32_e32 vcc_lo, 15, v5
	s_or_b32 s5, vcc_lo, s5
	s_waitcnt vmcnt(1) lgkmcnt(0)
	v_mul_f32_e32 v133, v10, v11
	v_mul_f32_e32 v11, v9, v11
	s_waitcnt vmcnt(0)
	v_fma_f32 v9, v9, v12, -v133
	v_fmac_f32_e32 v11, v10, v12
	v_add_f32_e32 v8, v8, v9
	v_add_f32_e32 v2, v2, v11
	s_andn2_b32 exec_lo, exec_lo, s5
	s_cbranch_execnz .LBB123_81
; %bb.82:
	s_or_b32 exec_lo, exec_lo, s5
	v_mov_b32_e32 v5, 0
	ds_read_b64 v[5:6], v5 offset:136
	s_waitcnt lgkmcnt(0)
	v_mul_f32_e32 v7, v2, v6
	v_mul_f32_e32 v6, v8, v6
	v_fma_f32 v7, v8, v5, -v7
	v_fmac_f32_e32 v6, v2, v5
	buffer_store_dword v7, off, s[0:3], 0 offset:136
	buffer_store_dword v6, off, s[0:3], 0 offset:140
.LBB123_83:
	s_or_b32 exec_lo, exec_lo, s4
	s_waitcnt_vscnt null, 0x0
	s_barrier
	buffer_gl0_inv
	s_clause 0x1
	buffer_load_dword v5, off, s[0:3], 0 offset:144
	buffer_load_dword v6, off, s[0:3], 0 offset:148
	s_mov_b32 s4, exec_lo
	s_waitcnt vmcnt(0)
	ds_write_b64 v4, v[5:6]
	s_waitcnt lgkmcnt(0)
	s_barrier
	buffer_gl0_inv
	v_cmpx_gt_u32_e32 18, v0
	s_cbranch_execz .LBB123_87
; %bb.84:
	v_add_nc_u32_e32 v5, -1, v0
	v_add_nc_u32_e32 v6, 0x1e0, v3
	v_mov_b32_e32 v7, v3
	v_mov_b32_e32 v2, 0
	;; [unrolled: 1-line block ×3, first 2 shown]
	s_mov_b32 s5, 0
	.p2align	6
.LBB123_85:                             ; =>This Inner Loop Header: Depth=1
	s_clause 0x1
	buffer_load_dword v11, v7, s[0:3], 0 offen offset:4
	buffer_load_dword v12, v7, s[0:3], 0 offen
	ds_read_b64 v[9:10], v6
	v_add_nc_u32_e32 v5, 1, v5
	v_add_nc_u32_e32 v6, 8, v6
	;; [unrolled: 1-line block ×3, first 2 shown]
	v_cmp_lt_u32_e32 vcc_lo, 16, v5
	s_or_b32 s5, vcc_lo, s5
	s_waitcnt vmcnt(1) lgkmcnt(0)
	v_mul_f32_e32 v133, v10, v11
	v_mul_f32_e32 v11, v9, v11
	s_waitcnt vmcnt(0)
	v_fma_f32 v9, v9, v12, -v133
	v_fmac_f32_e32 v11, v10, v12
	v_add_f32_e32 v8, v8, v9
	v_add_f32_e32 v2, v2, v11
	s_andn2_b32 exec_lo, exec_lo, s5
	s_cbranch_execnz .LBB123_85
; %bb.86:
	s_or_b32 exec_lo, exec_lo, s5
	v_mov_b32_e32 v5, 0
	ds_read_b64 v[5:6], v5 offset:144
	s_waitcnt lgkmcnt(0)
	v_mul_f32_e32 v7, v2, v6
	v_mul_f32_e32 v6, v8, v6
	v_fma_f32 v7, v8, v5, -v7
	v_fmac_f32_e32 v6, v2, v5
	buffer_store_dword v7, off, s[0:3], 0 offset:144
	buffer_store_dword v6, off, s[0:3], 0 offset:148
.LBB123_87:
	s_or_b32 exec_lo, exec_lo, s4
	s_waitcnt_vscnt null, 0x0
	s_barrier
	buffer_gl0_inv
	s_clause 0x1
	buffer_load_dword v5, off, s[0:3], 0 offset:152
	buffer_load_dword v6, off, s[0:3], 0 offset:156
	s_mov_b32 s4, exec_lo
	s_waitcnt vmcnt(0)
	ds_write_b64 v4, v[5:6]
	s_waitcnt lgkmcnt(0)
	s_barrier
	buffer_gl0_inv
	v_cmpx_gt_u32_e32 19, v0
	s_cbranch_execz .LBB123_91
; %bb.88:
	v_add_nc_u32_e32 v5, -1, v0
	v_add_nc_u32_e32 v6, 0x1e0, v3
	v_mov_b32_e32 v7, v3
	v_mov_b32_e32 v2, 0
	;; [unrolled: 1-line block ×3, first 2 shown]
	s_mov_b32 s5, 0
	.p2align	6
.LBB123_89:                             ; =>This Inner Loop Header: Depth=1
	s_clause 0x1
	buffer_load_dword v11, v7, s[0:3], 0 offen offset:4
	buffer_load_dword v12, v7, s[0:3], 0 offen
	ds_read_b64 v[9:10], v6
	v_add_nc_u32_e32 v5, 1, v5
	v_add_nc_u32_e32 v6, 8, v6
	;; [unrolled: 1-line block ×3, first 2 shown]
	v_cmp_lt_u32_e32 vcc_lo, 17, v5
	s_or_b32 s5, vcc_lo, s5
	s_waitcnt vmcnt(1) lgkmcnt(0)
	v_mul_f32_e32 v133, v10, v11
	v_mul_f32_e32 v11, v9, v11
	s_waitcnt vmcnt(0)
	v_fma_f32 v9, v9, v12, -v133
	v_fmac_f32_e32 v11, v10, v12
	v_add_f32_e32 v8, v8, v9
	v_add_f32_e32 v2, v2, v11
	s_andn2_b32 exec_lo, exec_lo, s5
	s_cbranch_execnz .LBB123_89
; %bb.90:
	s_or_b32 exec_lo, exec_lo, s5
	v_mov_b32_e32 v5, 0
	ds_read_b64 v[5:6], v5 offset:152
	s_waitcnt lgkmcnt(0)
	v_mul_f32_e32 v7, v2, v6
	v_mul_f32_e32 v6, v8, v6
	v_fma_f32 v7, v8, v5, -v7
	v_fmac_f32_e32 v6, v2, v5
	buffer_store_dword v7, off, s[0:3], 0 offset:152
	buffer_store_dword v6, off, s[0:3], 0 offset:156
.LBB123_91:
	s_or_b32 exec_lo, exec_lo, s4
	s_waitcnt_vscnt null, 0x0
	s_barrier
	buffer_gl0_inv
	s_clause 0x1
	buffer_load_dword v5, off, s[0:3], 0 offset:160
	buffer_load_dword v6, off, s[0:3], 0 offset:164
	s_mov_b32 s4, exec_lo
	s_waitcnt vmcnt(0)
	ds_write_b64 v4, v[5:6]
	s_waitcnt lgkmcnt(0)
	s_barrier
	buffer_gl0_inv
	v_cmpx_gt_u32_e32 20, v0
	s_cbranch_execz .LBB123_95
; %bb.92:
	v_add_nc_u32_e32 v5, -1, v0
	v_add_nc_u32_e32 v6, 0x1e0, v3
	v_mov_b32_e32 v7, v3
	v_mov_b32_e32 v2, 0
	;; [unrolled: 1-line block ×3, first 2 shown]
	s_mov_b32 s5, 0
	.p2align	6
.LBB123_93:                             ; =>This Inner Loop Header: Depth=1
	s_clause 0x1
	buffer_load_dword v11, v7, s[0:3], 0 offen offset:4
	buffer_load_dword v12, v7, s[0:3], 0 offen
	ds_read_b64 v[9:10], v6
	v_add_nc_u32_e32 v5, 1, v5
	v_add_nc_u32_e32 v6, 8, v6
	;; [unrolled: 1-line block ×3, first 2 shown]
	v_cmp_lt_u32_e32 vcc_lo, 18, v5
	s_or_b32 s5, vcc_lo, s5
	s_waitcnt vmcnt(1) lgkmcnt(0)
	v_mul_f32_e32 v133, v10, v11
	v_mul_f32_e32 v11, v9, v11
	s_waitcnt vmcnt(0)
	v_fma_f32 v9, v9, v12, -v133
	v_fmac_f32_e32 v11, v10, v12
	v_add_f32_e32 v8, v8, v9
	v_add_f32_e32 v2, v2, v11
	s_andn2_b32 exec_lo, exec_lo, s5
	s_cbranch_execnz .LBB123_93
; %bb.94:
	s_or_b32 exec_lo, exec_lo, s5
	v_mov_b32_e32 v5, 0
	ds_read_b64 v[5:6], v5 offset:160
	s_waitcnt lgkmcnt(0)
	v_mul_f32_e32 v7, v2, v6
	v_mul_f32_e32 v6, v8, v6
	v_fma_f32 v7, v8, v5, -v7
	v_fmac_f32_e32 v6, v2, v5
	buffer_store_dword v7, off, s[0:3], 0 offset:160
	buffer_store_dword v6, off, s[0:3], 0 offset:164
.LBB123_95:
	s_or_b32 exec_lo, exec_lo, s4
	s_waitcnt_vscnt null, 0x0
	s_barrier
	buffer_gl0_inv
	s_clause 0x1
	buffer_load_dword v5, off, s[0:3], 0 offset:168
	buffer_load_dword v6, off, s[0:3], 0 offset:172
	s_mov_b32 s4, exec_lo
	s_waitcnt vmcnt(0)
	ds_write_b64 v4, v[5:6]
	s_waitcnt lgkmcnt(0)
	s_barrier
	buffer_gl0_inv
	v_cmpx_gt_u32_e32 21, v0
	s_cbranch_execz .LBB123_99
; %bb.96:
	v_add_nc_u32_e32 v5, -1, v0
	v_add_nc_u32_e32 v6, 0x1e0, v3
	v_mov_b32_e32 v7, v3
	v_mov_b32_e32 v2, 0
	;; [unrolled: 1-line block ×3, first 2 shown]
	s_mov_b32 s5, 0
	.p2align	6
.LBB123_97:                             ; =>This Inner Loop Header: Depth=1
	s_clause 0x1
	buffer_load_dword v11, v7, s[0:3], 0 offen offset:4
	buffer_load_dword v12, v7, s[0:3], 0 offen
	ds_read_b64 v[9:10], v6
	v_add_nc_u32_e32 v5, 1, v5
	v_add_nc_u32_e32 v6, 8, v6
	;; [unrolled: 1-line block ×3, first 2 shown]
	v_cmp_lt_u32_e32 vcc_lo, 19, v5
	s_or_b32 s5, vcc_lo, s5
	s_waitcnt vmcnt(1) lgkmcnt(0)
	v_mul_f32_e32 v133, v10, v11
	v_mul_f32_e32 v11, v9, v11
	s_waitcnt vmcnt(0)
	v_fma_f32 v9, v9, v12, -v133
	v_fmac_f32_e32 v11, v10, v12
	v_add_f32_e32 v8, v8, v9
	v_add_f32_e32 v2, v2, v11
	s_andn2_b32 exec_lo, exec_lo, s5
	s_cbranch_execnz .LBB123_97
; %bb.98:
	s_or_b32 exec_lo, exec_lo, s5
	v_mov_b32_e32 v5, 0
	ds_read_b64 v[5:6], v5 offset:168
	s_waitcnt lgkmcnt(0)
	v_mul_f32_e32 v7, v2, v6
	v_mul_f32_e32 v6, v8, v6
	v_fma_f32 v7, v8, v5, -v7
	v_fmac_f32_e32 v6, v2, v5
	buffer_store_dword v7, off, s[0:3], 0 offset:168
	buffer_store_dword v6, off, s[0:3], 0 offset:172
.LBB123_99:
	s_or_b32 exec_lo, exec_lo, s4
	s_waitcnt_vscnt null, 0x0
	s_barrier
	buffer_gl0_inv
	s_clause 0x1
	buffer_load_dword v5, off, s[0:3], 0 offset:176
	buffer_load_dword v6, off, s[0:3], 0 offset:180
	s_mov_b32 s4, exec_lo
	s_waitcnt vmcnt(0)
	ds_write_b64 v4, v[5:6]
	s_waitcnt lgkmcnt(0)
	s_barrier
	buffer_gl0_inv
	v_cmpx_gt_u32_e32 22, v0
	s_cbranch_execz .LBB123_103
; %bb.100:
	v_add_nc_u32_e32 v5, -1, v0
	v_add_nc_u32_e32 v6, 0x1e0, v3
	v_mov_b32_e32 v7, v3
	v_mov_b32_e32 v2, 0
	;; [unrolled: 1-line block ×3, first 2 shown]
	s_mov_b32 s5, 0
	.p2align	6
.LBB123_101:                            ; =>This Inner Loop Header: Depth=1
	s_clause 0x1
	buffer_load_dword v11, v7, s[0:3], 0 offen offset:4
	buffer_load_dword v12, v7, s[0:3], 0 offen
	ds_read_b64 v[9:10], v6
	v_add_nc_u32_e32 v5, 1, v5
	v_add_nc_u32_e32 v6, 8, v6
	;; [unrolled: 1-line block ×3, first 2 shown]
	v_cmp_lt_u32_e32 vcc_lo, 20, v5
	s_or_b32 s5, vcc_lo, s5
	s_waitcnt vmcnt(1) lgkmcnt(0)
	v_mul_f32_e32 v133, v10, v11
	v_mul_f32_e32 v11, v9, v11
	s_waitcnt vmcnt(0)
	v_fma_f32 v9, v9, v12, -v133
	v_fmac_f32_e32 v11, v10, v12
	v_add_f32_e32 v8, v8, v9
	v_add_f32_e32 v2, v2, v11
	s_andn2_b32 exec_lo, exec_lo, s5
	s_cbranch_execnz .LBB123_101
; %bb.102:
	s_or_b32 exec_lo, exec_lo, s5
	v_mov_b32_e32 v5, 0
	ds_read_b64 v[5:6], v5 offset:176
	s_waitcnt lgkmcnt(0)
	v_mul_f32_e32 v7, v2, v6
	v_mul_f32_e32 v6, v8, v6
	v_fma_f32 v7, v8, v5, -v7
	v_fmac_f32_e32 v6, v2, v5
	buffer_store_dword v7, off, s[0:3], 0 offset:176
	buffer_store_dword v6, off, s[0:3], 0 offset:180
.LBB123_103:
	s_or_b32 exec_lo, exec_lo, s4
	s_waitcnt_vscnt null, 0x0
	s_barrier
	buffer_gl0_inv
	s_clause 0x1
	buffer_load_dword v5, off, s[0:3], 0 offset:184
	buffer_load_dword v6, off, s[0:3], 0 offset:188
	s_mov_b32 s4, exec_lo
	s_waitcnt vmcnt(0)
	ds_write_b64 v4, v[5:6]
	s_waitcnt lgkmcnt(0)
	s_barrier
	buffer_gl0_inv
	v_cmpx_gt_u32_e32 23, v0
	s_cbranch_execz .LBB123_107
; %bb.104:
	v_add_nc_u32_e32 v5, -1, v0
	v_add_nc_u32_e32 v6, 0x1e0, v3
	v_mov_b32_e32 v7, v3
	v_mov_b32_e32 v2, 0
	;; [unrolled: 1-line block ×3, first 2 shown]
	s_mov_b32 s5, 0
	.p2align	6
.LBB123_105:                            ; =>This Inner Loop Header: Depth=1
	s_clause 0x1
	buffer_load_dword v11, v7, s[0:3], 0 offen offset:4
	buffer_load_dword v12, v7, s[0:3], 0 offen
	ds_read_b64 v[9:10], v6
	v_add_nc_u32_e32 v5, 1, v5
	v_add_nc_u32_e32 v6, 8, v6
	v_add_nc_u32_e32 v7, 8, v7
	v_cmp_lt_u32_e32 vcc_lo, 21, v5
	s_or_b32 s5, vcc_lo, s5
	s_waitcnt vmcnt(1) lgkmcnt(0)
	v_mul_f32_e32 v133, v10, v11
	v_mul_f32_e32 v11, v9, v11
	s_waitcnt vmcnt(0)
	v_fma_f32 v9, v9, v12, -v133
	v_fmac_f32_e32 v11, v10, v12
	v_add_f32_e32 v8, v8, v9
	v_add_f32_e32 v2, v2, v11
	s_andn2_b32 exec_lo, exec_lo, s5
	s_cbranch_execnz .LBB123_105
; %bb.106:
	s_or_b32 exec_lo, exec_lo, s5
	v_mov_b32_e32 v5, 0
	ds_read_b64 v[5:6], v5 offset:184
	s_waitcnt lgkmcnt(0)
	v_mul_f32_e32 v7, v2, v6
	v_mul_f32_e32 v6, v8, v6
	v_fma_f32 v7, v8, v5, -v7
	v_fmac_f32_e32 v6, v2, v5
	buffer_store_dword v7, off, s[0:3], 0 offset:184
	buffer_store_dword v6, off, s[0:3], 0 offset:188
.LBB123_107:
	s_or_b32 exec_lo, exec_lo, s4
	s_waitcnt_vscnt null, 0x0
	s_barrier
	buffer_gl0_inv
	s_clause 0x1
	buffer_load_dword v5, off, s[0:3], 0 offset:192
	buffer_load_dword v6, off, s[0:3], 0 offset:196
	s_mov_b32 s4, exec_lo
	s_waitcnt vmcnt(0)
	ds_write_b64 v4, v[5:6]
	s_waitcnt lgkmcnt(0)
	s_barrier
	buffer_gl0_inv
	v_cmpx_gt_u32_e32 24, v0
	s_cbranch_execz .LBB123_111
; %bb.108:
	v_add_nc_u32_e32 v5, -1, v0
	v_add_nc_u32_e32 v6, 0x1e0, v3
	v_mov_b32_e32 v7, v3
	v_mov_b32_e32 v2, 0
	;; [unrolled: 1-line block ×3, first 2 shown]
	s_mov_b32 s5, 0
	.p2align	6
.LBB123_109:                            ; =>This Inner Loop Header: Depth=1
	s_clause 0x1
	buffer_load_dword v11, v7, s[0:3], 0 offen offset:4
	buffer_load_dword v12, v7, s[0:3], 0 offen
	ds_read_b64 v[9:10], v6
	v_add_nc_u32_e32 v5, 1, v5
	v_add_nc_u32_e32 v6, 8, v6
	v_add_nc_u32_e32 v7, 8, v7
	v_cmp_lt_u32_e32 vcc_lo, 22, v5
	s_or_b32 s5, vcc_lo, s5
	s_waitcnt vmcnt(1) lgkmcnt(0)
	v_mul_f32_e32 v133, v10, v11
	v_mul_f32_e32 v11, v9, v11
	s_waitcnt vmcnt(0)
	v_fma_f32 v9, v9, v12, -v133
	v_fmac_f32_e32 v11, v10, v12
	v_add_f32_e32 v8, v8, v9
	v_add_f32_e32 v2, v2, v11
	s_andn2_b32 exec_lo, exec_lo, s5
	s_cbranch_execnz .LBB123_109
; %bb.110:
	s_or_b32 exec_lo, exec_lo, s5
	v_mov_b32_e32 v5, 0
	ds_read_b64 v[5:6], v5 offset:192
	s_waitcnt lgkmcnt(0)
	v_mul_f32_e32 v7, v2, v6
	v_mul_f32_e32 v6, v8, v6
	v_fma_f32 v7, v8, v5, -v7
	v_fmac_f32_e32 v6, v2, v5
	buffer_store_dword v7, off, s[0:3], 0 offset:192
	buffer_store_dword v6, off, s[0:3], 0 offset:196
.LBB123_111:
	s_or_b32 exec_lo, exec_lo, s4
	s_waitcnt_vscnt null, 0x0
	s_barrier
	buffer_gl0_inv
	s_clause 0x1
	buffer_load_dword v5, off, s[0:3], 0 offset:200
	buffer_load_dword v6, off, s[0:3], 0 offset:204
	s_mov_b32 s4, exec_lo
	s_waitcnt vmcnt(0)
	ds_write_b64 v4, v[5:6]
	s_waitcnt lgkmcnt(0)
	s_barrier
	buffer_gl0_inv
	v_cmpx_gt_u32_e32 25, v0
	s_cbranch_execz .LBB123_115
; %bb.112:
	v_add_nc_u32_e32 v5, -1, v0
	v_add_nc_u32_e32 v6, 0x1e0, v3
	v_mov_b32_e32 v7, v3
	v_mov_b32_e32 v2, 0
	;; [unrolled: 1-line block ×3, first 2 shown]
	s_mov_b32 s5, 0
	.p2align	6
.LBB123_113:                            ; =>This Inner Loop Header: Depth=1
	s_clause 0x1
	buffer_load_dword v11, v7, s[0:3], 0 offen offset:4
	buffer_load_dword v12, v7, s[0:3], 0 offen
	ds_read_b64 v[9:10], v6
	v_add_nc_u32_e32 v5, 1, v5
	v_add_nc_u32_e32 v6, 8, v6
	;; [unrolled: 1-line block ×3, first 2 shown]
	v_cmp_lt_u32_e32 vcc_lo, 23, v5
	s_or_b32 s5, vcc_lo, s5
	s_waitcnt vmcnt(1) lgkmcnt(0)
	v_mul_f32_e32 v133, v10, v11
	v_mul_f32_e32 v11, v9, v11
	s_waitcnt vmcnt(0)
	v_fma_f32 v9, v9, v12, -v133
	v_fmac_f32_e32 v11, v10, v12
	v_add_f32_e32 v8, v8, v9
	v_add_f32_e32 v2, v2, v11
	s_andn2_b32 exec_lo, exec_lo, s5
	s_cbranch_execnz .LBB123_113
; %bb.114:
	s_or_b32 exec_lo, exec_lo, s5
	v_mov_b32_e32 v5, 0
	ds_read_b64 v[5:6], v5 offset:200
	s_waitcnt lgkmcnt(0)
	v_mul_f32_e32 v7, v2, v6
	v_mul_f32_e32 v6, v8, v6
	v_fma_f32 v7, v8, v5, -v7
	v_fmac_f32_e32 v6, v2, v5
	buffer_store_dword v7, off, s[0:3], 0 offset:200
	buffer_store_dword v6, off, s[0:3], 0 offset:204
.LBB123_115:
	s_or_b32 exec_lo, exec_lo, s4
	s_waitcnt_vscnt null, 0x0
	s_barrier
	buffer_gl0_inv
	s_clause 0x1
	buffer_load_dword v5, off, s[0:3], 0 offset:208
	buffer_load_dword v6, off, s[0:3], 0 offset:212
	s_mov_b32 s4, exec_lo
	s_waitcnt vmcnt(0)
	ds_write_b64 v4, v[5:6]
	s_waitcnt lgkmcnt(0)
	s_barrier
	buffer_gl0_inv
	v_cmpx_gt_u32_e32 26, v0
	s_cbranch_execz .LBB123_119
; %bb.116:
	v_add_nc_u32_e32 v5, -1, v0
	v_add_nc_u32_e32 v6, 0x1e0, v3
	v_mov_b32_e32 v7, v3
	v_mov_b32_e32 v2, 0
	;; [unrolled: 1-line block ×3, first 2 shown]
	s_mov_b32 s5, 0
	.p2align	6
.LBB123_117:                            ; =>This Inner Loop Header: Depth=1
	s_clause 0x1
	buffer_load_dword v11, v7, s[0:3], 0 offen offset:4
	buffer_load_dword v12, v7, s[0:3], 0 offen
	ds_read_b64 v[9:10], v6
	v_add_nc_u32_e32 v5, 1, v5
	v_add_nc_u32_e32 v6, 8, v6
	;; [unrolled: 1-line block ×3, first 2 shown]
	v_cmp_lt_u32_e32 vcc_lo, 24, v5
	s_or_b32 s5, vcc_lo, s5
	s_waitcnt vmcnt(1) lgkmcnt(0)
	v_mul_f32_e32 v133, v10, v11
	v_mul_f32_e32 v11, v9, v11
	s_waitcnt vmcnt(0)
	v_fma_f32 v9, v9, v12, -v133
	v_fmac_f32_e32 v11, v10, v12
	v_add_f32_e32 v8, v8, v9
	v_add_f32_e32 v2, v2, v11
	s_andn2_b32 exec_lo, exec_lo, s5
	s_cbranch_execnz .LBB123_117
; %bb.118:
	s_or_b32 exec_lo, exec_lo, s5
	v_mov_b32_e32 v5, 0
	ds_read_b64 v[5:6], v5 offset:208
	s_waitcnt lgkmcnt(0)
	v_mul_f32_e32 v7, v2, v6
	v_mul_f32_e32 v6, v8, v6
	v_fma_f32 v7, v8, v5, -v7
	v_fmac_f32_e32 v6, v2, v5
	buffer_store_dword v7, off, s[0:3], 0 offset:208
	buffer_store_dword v6, off, s[0:3], 0 offset:212
.LBB123_119:
	s_or_b32 exec_lo, exec_lo, s4
	s_waitcnt_vscnt null, 0x0
	s_barrier
	buffer_gl0_inv
	s_clause 0x1
	buffer_load_dword v5, off, s[0:3], 0 offset:216
	buffer_load_dword v6, off, s[0:3], 0 offset:220
	s_mov_b32 s4, exec_lo
	s_waitcnt vmcnt(0)
	ds_write_b64 v4, v[5:6]
	s_waitcnt lgkmcnt(0)
	s_barrier
	buffer_gl0_inv
	v_cmpx_gt_u32_e32 27, v0
	s_cbranch_execz .LBB123_123
; %bb.120:
	v_add_nc_u32_e32 v5, -1, v0
	v_add_nc_u32_e32 v6, 0x1e0, v3
	v_mov_b32_e32 v7, v3
	v_mov_b32_e32 v2, 0
	;; [unrolled: 1-line block ×3, first 2 shown]
	s_mov_b32 s5, 0
	.p2align	6
.LBB123_121:                            ; =>This Inner Loop Header: Depth=1
	s_clause 0x1
	buffer_load_dword v11, v7, s[0:3], 0 offen offset:4
	buffer_load_dword v12, v7, s[0:3], 0 offen
	ds_read_b64 v[9:10], v6
	v_add_nc_u32_e32 v5, 1, v5
	v_add_nc_u32_e32 v6, 8, v6
	;; [unrolled: 1-line block ×3, first 2 shown]
	v_cmp_lt_u32_e32 vcc_lo, 25, v5
	s_or_b32 s5, vcc_lo, s5
	s_waitcnt vmcnt(1) lgkmcnt(0)
	v_mul_f32_e32 v133, v10, v11
	v_mul_f32_e32 v11, v9, v11
	s_waitcnt vmcnt(0)
	v_fma_f32 v9, v9, v12, -v133
	v_fmac_f32_e32 v11, v10, v12
	v_add_f32_e32 v8, v8, v9
	v_add_f32_e32 v2, v2, v11
	s_andn2_b32 exec_lo, exec_lo, s5
	s_cbranch_execnz .LBB123_121
; %bb.122:
	s_or_b32 exec_lo, exec_lo, s5
	v_mov_b32_e32 v5, 0
	ds_read_b64 v[5:6], v5 offset:216
	s_waitcnt lgkmcnt(0)
	v_mul_f32_e32 v7, v2, v6
	v_mul_f32_e32 v6, v8, v6
	v_fma_f32 v7, v8, v5, -v7
	v_fmac_f32_e32 v6, v2, v5
	buffer_store_dword v7, off, s[0:3], 0 offset:216
	buffer_store_dword v6, off, s[0:3], 0 offset:220
.LBB123_123:
	s_or_b32 exec_lo, exec_lo, s4
	s_waitcnt_vscnt null, 0x0
	s_barrier
	buffer_gl0_inv
	s_clause 0x1
	buffer_load_dword v5, off, s[0:3], 0 offset:224
	buffer_load_dword v6, off, s[0:3], 0 offset:228
	s_mov_b32 s4, exec_lo
	s_waitcnt vmcnt(0)
	ds_write_b64 v4, v[5:6]
	s_waitcnt lgkmcnt(0)
	s_barrier
	buffer_gl0_inv
	v_cmpx_gt_u32_e32 28, v0
	s_cbranch_execz .LBB123_127
; %bb.124:
	v_add_nc_u32_e32 v5, -1, v0
	v_add_nc_u32_e32 v6, 0x1e0, v3
	v_mov_b32_e32 v7, v3
	v_mov_b32_e32 v2, 0
	;; [unrolled: 1-line block ×3, first 2 shown]
	s_mov_b32 s5, 0
	.p2align	6
.LBB123_125:                            ; =>This Inner Loop Header: Depth=1
	s_clause 0x1
	buffer_load_dword v11, v7, s[0:3], 0 offen offset:4
	buffer_load_dword v12, v7, s[0:3], 0 offen
	ds_read_b64 v[9:10], v6
	v_add_nc_u32_e32 v5, 1, v5
	v_add_nc_u32_e32 v6, 8, v6
	;; [unrolled: 1-line block ×3, first 2 shown]
	v_cmp_lt_u32_e32 vcc_lo, 26, v5
	s_or_b32 s5, vcc_lo, s5
	s_waitcnt vmcnt(1) lgkmcnt(0)
	v_mul_f32_e32 v133, v10, v11
	v_mul_f32_e32 v11, v9, v11
	s_waitcnt vmcnt(0)
	v_fma_f32 v9, v9, v12, -v133
	v_fmac_f32_e32 v11, v10, v12
	v_add_f32_e32 v8, v8, v9
	v_add_f32_e32 v2, v2, v11
	s_andn2_b32 exec_lo, exec_lo, s5
	s_cbranch_execnz .LBB123_125
; %bb.126:
	s_or_b32 exec_lo, exec_lo, s5
	v_mov_b32_e32 v5, 0
	ds_read_b64 v[5:6], v5 offset:224
	s_waitcnt lgkmcnt(0)
	v_mul_f32_e32 v7, v2, v6
	v_mul_f32_e32 v6, v8, v6
	v_fma_f32 v7, v8, v5, -v7
	v_fmac_f32_e32 v6, v2, v5
	buffer_store_dword v7, off, s[0:3], 0 offset:224
	buffer_store_dword v6, off, s[0:3], 0 offset:228
.LBB123_127:
	s_or_b32 exec_lo, exec_lo, s4
	s_waitcnt_vscnt null, 0x0
	s_barrier
	buffer_gl0_inv
	s_clause 0x1
	buffer_load_dword v5, off, s[0:3], 0 offset:232
	buffer_load_dword v6, off, s[0:3], 0 offset:236
	s_mov_b32 s4, exec_lo
	s_waitcnt vmcnt(0)
	ds_write_b64 v4, v[5:6]
	s_waitcnt lgkmcnt(0)
	s_barrier
	buffer_gl0_inv
	v_cmpx_gt_u32_e32 29, v0
	s_cbranch_execz .LBB123_131
; %bb.128:
	v_add_nc_u32_e32 v5, -1, v0
	v_add_nc_u32_e32 v6, 0x1e0, v3
	v_mov_b32_e32 v7, v3
	v_mov_b32_e32 v2, 0
	;; [unrolled: 1-line block ×3, first 2 shown]
	s_mov_b32 s5, 0
	.p2align	6
.LBB123_129:                            ; =>This Inner Loop Header: Depth=1
	s_clause 0x1
	buffer_load_dword v11, v7, s[0:3], 0 offen offset:4
	buffer_load_dword v12, v7, s[0:3], 0 offen
	ds_read_b64 v[9:10], v6
	v_add_nc_u32_e32 v5, 1, v5
	v_add_nc_u32_e32 v6, 8, v6
	;; [unrolled: 1-line block ×3, first 2 shown]
	v_cmp_lt_u32_e32 vcc_lo, 27, v5
	s_or_b32 s5, vcc_lo, s5
	s_waitcnt vmcnt(1) lgkmcnt(0)
	v_mul_f32_e32 v133, v10, v11
	v_mul_f32_e32 v11, v9, v11
	s_waitcnt vmcnt(0)
	v_fma_f32 v9, v9, v12, -v133
	v_fmac_f32_e32 v11, v10, v12
	v_add_f32_e32 v8, v8, v9
	v_add_f32_e32 v2, v2, v11
	s_andn2_b32 exec_lo, exec_lo, s5
	s_cbranch_execnz .LBB123_129
; %bb.130:
	s_or_b32 exec_lo, exec_lo, s5
	v_mov_b32_e32 v5, 0
	ds_read_b64 v[5:6], v5 offset:232
	s_waitcnt lgkmcnt(0)
	v_mul_f32_e32 v7, v2, v6
	v_mul_f32_e32 v6, v8, v6
	v_fma_f32 v7, v8, v5, -v7
	v_fmac_f32_e32 v6, v2, v5
	buffer_store_dword v7, off, s[0:3], 0 offset:232
	buffer_store_dword v6, off, s[0:3], 0 offset:236
.LBB123_131:
	s_or_b32 exec_lo, exec_lo, s4
	s_waitcnt_vscnt null, 0x0
	s_barrier
	buffer_gl0_inv
	s_clause 0x1
	buffer_load_dword v5, off, s[0:3], 0 offset:240
	buffer_load_dword v6, off, s[0:3], 0 offset:244
	s_mov_b32 s4, exec_lo
	s_waitcnt vmcnt(0)
	ds_write_b64 v4, v[5:6]
	s_waitcnt lgkmcnt(0)
	s_barrier
	buffer_gl0_inv
	v_cmpx_gt_u32_e32 30, v0
	s_cbranch_execz .LBB123_135
; %bb.132:
	v_add_nc_u32_e32 v5, -1, v0
	v_add_nc_u32_e32 v6, 0x1e0, v3
	v_mov_b32_e32 v7, v3
	v_mov_b32_e32 v2, 0
	;; [unrolled: 1-line block ×3, first 2 shown]
	s_mov_b32 s5, 0
	.p2align	6
.LBB123_133:                            ; =>This Inner Loop Header: Depth=1
	s_clause 0x1
	buffer_load_dword v11, v7, s[0:3], 0 offen offset:4
	buffer_load_dword v12, v7, s[0:3], 0 offen
	ds_read_b64 v[9:10], v6
	v_add_nc_u32_e32 v5, 1, v5
	v_add_nc_u32_e32 v6, 8, v6
	;; [unrolled: 1-line block ×3, first 2 shown]
	v_cmp_lt_u32_e32 vcc_lo, 28, v5
	s_or_b32 s5, vcc_lo, s5
	s_waitcnt vmcnt(1) lgkmcnt(0)
	v_mul_f32_e32 v133, v10, v11
	v_mul_f32_e32 v11, v9, v11
	s_waitcnt vmcnt(0)
	v_fma_f32 v9, v9, v12, -v133
	v_fmac_f32_e32 v11, v10, v12
	v_add_f32_e32 v8, v8, v9
	v_add_f32_e32 v2, v2, v11
	s_andn2_b32 exec_lo, exec_lo, s5
	s_cbranch_execnz .LBB123_133
; %bb.134:
	s_or_b32 exec_lo, exec_lo, s5
	v_mov_b32_e32 v5, 0
	ds_read_b64 v[5:6], v5 offset:240
	s_waitcnt lgkmcnt(0)
	v_mul_f32_e32 v7, v2, v6
	v_mul_f32_e32 v6, v8, v6
	v_fma_f32 v7, v8, v5, -v7
	v_fmac_f32_e32 v6, v2, v5
	buffer_store_dword v7, off, s[0:3], 0 offset:240
	buffer_store_dword v6, off, s[0:3], 0 offset:244
.LBB123_135:
	s_or_b32 exec_lo, exec_lo, s4
	s_waitcnt_vscnt null, 0x0
	s_barrier
	buffer_gl0_inv
	s_clause 0x1
	buffer_load_dword v5, off, s[0:3], 0 offset:248
	buffer_load_dword v6, off, s[0:3], 0 offset:252
	s_mov_b32 s4, exec_lo
	s_waitcnt vmcnt(0)
	ds_write_b64 v4, v[5:6]
	s_waitcnt lgkmcnt(0)
	s_barrier
	buffer_gl0_inv
	v_cmpx_gt_u32_e32 31, v0
	s_cbranch_execz .LBB123_139
; %bb.136:
	v_add_nc_u32_e32 v5, -1, v0
	v_add_nc_u32_e32 v6, 0x1e0, v3
	v_mov_b32_e32 v7, v3
	v_mov_b32_e32 v2, 0
	;; [unrolled: 1-line block ×3, first 2 shown]
	s_mov_b32 s5, 0
	.p2align	6
.LBB123_137:                            ; =>This Inner Loop Header: Depth=1
	s_clause 0x1
	buffer_load_dword v11, v7, s[0:3], 0 offen offset:4
	buffer_load_dword v12, v7, s[0:3], 0 offen
	ds_read_b64 v[9:10], v6
	v_add_nc_u32_e32 v5, 1, v5
	v_add_nc_u32_e32 v6, 8, v6
	;; [unrolled: 1-line block ×3, first 2 shown]
	v_cmp_lt_u32_e32 vcc_lo, 29, v5
	s_or_b32 s5, vcc_lo, s5
	s_waitcnt vmcnt(1) lgkmcnt(0)
	v_mul_f32_e32 v133, v10, v11
	v_mul_f32_e32 v11, v9, v11
	s_waitcnt vmcnt(0)
	v_fma_f32 v9, v9, v12, -v133
	v_fmac_f32_e32 v11, v10, v12
	v_add_f32_e32 v8, v8, v9
	v_add_f32_e32 v2, v2, v11
	s_andn2_b32 exec_lo, exec_lo, s5
	s_cbranch_execnz .LBB123_137
; %bb.138:
	s_or_b32 exec_lo, exec_lo, s5
	v_mov_b32_e32 v5, 0
	ds_read_b64 v[5:6], v5 offset:248
	s_waitcnt lgkmcnt(0)
	v_mul_f32_e32 v7, v2, v6
	v_mul_f32_e32 v6, v8, v6
	v_fma_f32 v7, v8, v5, -v7
	v_fmac_f32_e32 v6, v2, v5
	buffer_store_dword v7, off, s[0:3], 0 offset:248
	buffer_store_dword v6, off, s[0:3], 0 offset:252
.LBB123_139:
	s_or_b32 exec_lo, exec_lo, s4
	s_waitcnt_vscnt null, 0x0
	s_barrier
	buffer_gl0_inv
	s_clause 0x1
	buffer_load_dword v5, off, s[0:3], 0 offset:256
	buffer_load_dword v6, off, s[0:3], 0 offset:260
	s_mov_b32 s4, exec_lo
	s_waitcnt vmcnt(0)
	ds_write_b64 v4, v[5:6]
	s_waitcnt lgkmcnt(0)
	s_barrier
	buffer_gl0_inv
	v_cmpx_gt_u32_e32 32, v0
	s_cbranch_execz .LBB123_143
; %bb.140:
	v_add_nc_u32_e32 v5, -1, v0
	v_add_nc_u32_e32 v6, 0x1e0, v3
	v_mov_b32_e32 v7, v3
	v_mov_b32_e32 v2, 0
	;; [unrolled: 1-line block ×3, first 2 shown]
	s_mov_b32 s5, 0
	.p2align	6
.LBB123_141:                            ; =>This Inner Loop Header: Depth=1
	s_clause 0x1
	buffer_load_dword v11, v7, s[0:3], 0 offen offset:4
	buffer_load_dword v12, v7, s[0:3], 0 offen
	ds_read_b64 v[9:10], v6
	v_add_nc_u32_e32 v5, 1, v5
	v_add_nc_u32_e32 v6, 8, v6
	;; [unrolled: 1-line block ×3, first 2 shown]
	v_cmp_lt_u32_e32 vcc_lo, 30, v5
	s_or_b32 s5, vcc_lo, s5
	s_waitcnt vmcnt(1) lgkmcnt(0)
	v_mul_f32_e32 v133, v10, v11
	v_mul_f32_e32 v11, v9, v11
	s_waitcnt vmcnt(0)
	v_fma_f32 v9, v9, v12, -v133
	v_fmac_f32_e32 v11, v10, v12
	v_add_f32_e32 v8, v8, v9
	v_add_f32_e32 v2, v2, v11
	s_andn2_b32 exec_lo, exec_lo, s5
	s_cbranch_execnz .LBB123_141
; %bb.142:
	s_or_b32 exec_lo, exec_lo, s5
	v_mov_b32_e32 v5, 0
	ds_read_b64 v[5:6], v5 offset:256
	s_waitcnt lgkmcnt(0)
	v_mul_f32_e32 v7, v2, v6
	v_mul_f32_e32 v6, v8, v6
	v_fma_f32 v7, v8, v5, -v7
	v_fmac_f32_e32 v6, v2, v5
	buffer_store_dword v7, off, s[0:3], 0 offset:256
	buffer_store_dword v6, off, s[0:3], 0 offset:260
.LBB123_143:
	s_or_b32 exec_lo, exec_lo, s4
	s_waitcnt_vscnt null, 0x0
	s_barrier
	buffer_gl0_inv
	s_clause 0x1
	buffer_load_dword v5, off, s[0:3], 0 offset:264
	buffer_load_dword v6, off, s[0:3], 0 offset:268
	s_mov_b32 s4, exec_lo
	s_waitcnt vmcnt(0)
	ds_write_b64 v4, v[5:6]
	s_waitcnt lgkmcnt(0)
	s_barrier
	buffer_gl0_inv
	v_cmpx_gt_u32_e32 33, v0
	s_cbranch_execz .LBB123_147
; %bb.144:
	v_add_nc_u32_e32 v5, -1, v0
	v_add_nc_u32_e32 v6, 0x1e0, v3
	v_mov_b32_e32 v7, v3
	v_mov_b32_e32 v2, 0
	;; [unrolled: 1-line block ×3, first 2 shown]
	s_mov_b32 s5, 0
	.p2align	6
.LBB123_145:                            ; =>This Inner Loop Header: Depth=1
	s_clause 0x1
	buffer_load_dword v11, v7, s[0:3], 0 offen offset:4
	buffer_load_dword v12, v7, s[0:3], 0 offen
	ds_read_b64 v[9:10], v6
	v_add_nc_u32_e32 v5, 1, v5
	v_add_nc_u32_e32 v6, 8, v6
	;; [unrolled: 1-line block ×3, first 2 shown]
	v_cmp_lt_u32_e32 vcc_lo, 31, v5
	s_or_b32 s5, vcc_lo, s5
	s_waitcnt vmcnt(1) lgkmcnt(0)
	v_mul_f32_e32 v133, v10, v11
	v_mul_f32_e32 v11, v9, v11
	s_waitcnt vmcnt(0)
	v_fma_f32 v9, v9, v12, -v133
	v_fmac_f32_e32 v11, v10, v12
	v_add_f32_e32 v8, v8, v9
	v_add_f32_e32 v2, v2, v11
	s_andn2_b32 exec_lo, exec_lo, s5
	s_cbranch_execnz .LBB123_145
; %bb.146:
	s_or_b32 exec_lo, exec_lo, s5
	v_mov_b32_e32 v5, 0
	ds_read_b64 v[5:6], v5 offset:264
	s_waitcnt lgkmcnt(0)
	v_mul_f32_e32 v7, v2, v6
	v_mul_f32_e32 v6, v8, v6
	v_fma_f32 v7, v8, v5, -v7
	v_fmac_f32_e32 v6, v2, v5
	buffer_store_dword v7, off, s[0:3], 0 offset:264
	buffer_store_dword v6, off, s[0:3], 0 offset:268
.LBB123_147:
	s_or_b32 exec_lo, exec_lo, s4
	s_waitcnt_vscnt null, 0x0
	s_barrier
	buffer_gl0_inv
	s_clause 0x1
	buffer_load_dword v5, off, s[0:3], 0 offset:272
	buffer_load_dword v6, off, s[0:3], 0 offset:276
	s_mov_b32 s4, exec_lo
	s_waitcnt vmcnt(0)
	ds_write_b64 v4, v[5:6]
	s_waitcnt lgkmcnt(0)
	s_barrier
	buffer_gl0_inv
	v_cmpx_gt_u32_e32 34, v0
	s_cbranch_execz .LBB123_151
; %bb.148:
	v_add_nc_u32_e32 v5, -1, v0
	v_add_nc_u32_e32 v6, 0x1e0, v3
	v_mov_b32_e32 v7, v3
	v_mov_b32_e32 v2, 0
	;; [unrolled: 1-line block ×3, first 2 shown]
	s_mov_b32 s5, 0
	.p2align	6
.LBB123_149:                            ; =>This Inner Loop Header: Depth=1
	s_clause 0x1
	buffer_load_dword v11, v7, s[0:3], 0 offen offset:4
	buffer_load_dword v12, v7, s[0:3], 0 offen
	ds_read_b64 v[9:10], v6
	v_add_nc_u32_e32 v5, 1, v5
	v_add_nc_u32_e32 v6, 8, v6
	;; [unrolled: 1-line block ×3, first 2 shown]
	v_cmp_lt_u32_e32 vcc_lo, 32, v5
	s_or_b32 s5, vcc_lo, s5
	s_waitcnt vmcnt(1) lgkmcnt(0)
	v_mul_f32_e32 v133, v10, v11
	v_mul_f32_e32 v11, v9, v11
	s_waitcnt vmcnt(0)
	v_fma_f32 v9, v9, v12, -v133
	v_fmac_f32_e32 v11, v10, v12
	v_add_f32_e32 v8, v8, v9
	v_add_f32_e32 v2, v2, v11
	s_andn2_b32 exec_lo, exec_lo, s5
	s_cbranch_execnz .LBB123_149
; %bb.150:
	s_or_b32 exec_lo, exec_lo, s5
	v_mov_b32_e32 v5, 0
	ds_read_b64 v[5:6], v5 offset:272
	s_waitcnt lgkmcnt(0)
	v_mul_f32_e32 v7, v2, v6
	v_mul_f32_e32 v6, v8, v6
	v_fma_f32 v7, v8, v5, -v7
	v_fmac_f32_e32 v6, v2, v5
	buffer_store_dword v7, off, s[0:3], 0 offset:272
	buffer_store_dword v6, off, s[0:3], 0 offset:276
.LBB123_151:
	s_or_b32 exec_lo, exec_lo, s4
	s_waitcnt_vscnt null, 0x0
	s_barrier
	buffer_gl0_inv
	s_clause 0x1
	buffer_load_dword v5, off, s[0:3], 0 offset:280
	buffer_load_dword v6, off, s[0:3], 0 offset:284
	s_mov_b32 s4, exec_lo
	s_waitcnt vmcnt(0)
	ds_write_b64 v4, v[5:6]
	s_waitcnt lgkmcnt(0)
	s_barrier
	buffer_gl0_inv
	v_cmpx_gt_u32_e32 35, v0
	s_cbranch_execz .LBB123_155
; %bb.152:
	v_add_nc_u32_e32 v5, -1, v0
	v_add_nc_u32_e32 v6, 0x1e0, v3
	v_mov_b32_e32 v7, v3
	v_mov_b32_e32 v2, 0
	;; [unrolled: 1-line block ×3, first 2 shown]
	s_mov_b32 s5, 0
	.p2align	6
.LBB123_153:                            ; =>This Inner Loop Header: Depth=1
	s_clause 0x1
	buffer_load_dword v11, v7, s[0:3], 0 offen offset:4
	buffer_load_dword v12, v7, s[0:3], 0 offen
	ds_read_b64 v[9:10], v6
	v_add_nc_u32_e32 v5, 1, v5
	v_add_nc_u32_e32 v6, 8, v6
	;; [unrolled: 1-line block ×3, first 2 shown]
	v_cmp_lt_u32_e32 vcc_lo, 33, v5
	s_or_b32 s5, vcc_lo, s5
	s_waitcnt vmcnt(1) lgkmcnt(0)
	v_mul_f32_e32 v133, v10, v11
	v_mul_f32_e32 v11, v9, v11
	s_waitcnt vmcnt(0)
	v_fma_f32 v9, v9, v12, -v133
	v_fmac_f32_e32 v11, v10, v12
	v_add_f32_e32 v8, v8, v9
	v_add_f32_e32 v2, v2, v11
	s_andn2_b32 exec_lo, exec_lo, s5
	s_cbranch_execnz .LBB123_153
; %bb.154:
	s_or_b32 exec_lo, exec_lo, s5
	v_mov_b32_e32 v5, 0
	ds_read_b64 v[5:6], v5 offset:280
	s_waitcnt lgkmcnt(0)
	v_mul_f32_e32 v7, v2, v6
	v_mul_f32_e32 v6, v8, v6
	v_fma_f32 v7, v8, v5, -v7
	v_fmac_f32_e32 v6, v2, v5
	buffer_store_dword v7, off, s[0:3], 0 offset:280
	buffer_store_dword v6, off, s[0:3], 0 offset:284
.LBB123_155:
	s_or_b32 exec_lo, exec_lo, s4
	s_waitcnt_vscnt null, 0x0
	s_barrier
	buffer_gl0_inv
	s_clause 0x1
	buffer_load_dword v5, off, s[0:3], 0 offset:288
	buffer_load_dword v6, off, s[0:3], 0 offset:292
	s_mov_b32 s4, exec_lo
	s_waitcnt vmcnt(0)
	ds_write_b64 v4, v[5:6]
	s_waitcnt lgkmcnt(0)
	s_barrier
	buffer_gl0_inv
	v_cmpx_gt_u32_e32 36, v0
	s_cbranch_execz .LBB123_159
; %bb.156:
	v_add_nc_u32_e32 v5, -1, v0
	v_add_nc_u32_e32 v6, 0x1e0, v3
	v_mov_b32_e32 v7, v3
	v_mov_b32_e32 v2, 0
	;; [unrolled: 1-line block ×3, first 2 shown]
	s_mov_b32 s5, 0
	.p2align	6
.LBB123_157:                            ; =>This Inner Loop Header: Depth=1
	s_clause 0x1
	buffer_load_dword v11, v7, s[0:3], 0 offen offset:4
	buffer_load_dword v12, v7, s[0:3], 0 offen
	ds_read_b64 v[9:10], v6
	v_add_nc_u32_e32 v5, 1, v5
	v_add_nc_u32_e32 v6, 8, v6
	;; [unrolled: 1-line block ×3, first 2 shown]
	v_cmp_lt_u32_e32 vcc_lo, 34, v5
	s_or_b32 s5, vcc_lo, s5
	s_waitcnt vmcnt(1) lgkmcnt(0)
	v_mul_f32_e32 v133, v10, v11
	v_mul_f32_e32 v11, v9, v11
	s_waitcnt vmcnt(0)
	v_fma_f32 v9, v9, v12, -v133
	v_fmac_f32_e32 v11, v10, v12
	v_add_f32_e32 v8, v8, v9
	v_add_f32_e32 v2, v2, v11
	s_andn2_b32 exec_lo, exec_lo, s5
	s_cbranch_execnz .LBB123_157
; %bb.158:
	s_or_b32 exec_lo, exec_lo, s5
	v_mov_b32_e32 v5, 0
	ds_read_b64 v[5:6], v5 offset:288
	s_waitcnt lgkmcnt(0)
	v_mul_f32_e32 v7, v2, v6
	v_mul_f32_e32 v6, v8, v6
	v_fma_f32 v7, v8, v5, -v7
	v_fmac_f32_e32 v6, v2, v5
	buffer_store_dword v7, off, s[0:3], 0 offset:288
	buffer_store_dword v6, off, s[0:3], 0 offset:292
.LBB123_159:
	s_or_b32 exec_lo, exec_lo, s4
	s_waitcnt_vscnt null, 0x0
	s_barrier
	buffer_gl0_inv
	s_clause 0x1
	buffer_load_dword v5, off, s[0:3], 0 offset:296
	buffer_load_dword v6, off, s[0:3], 0 offset:300
	s_mov_b32 s4, exec_lo
	s_waitcnt vmcnt(0)
	ds_write_b64 v4, v[5:6]
	s_waitcnt lgkmcnt(0)
	s_barrier
	buffer_gl0_inv
	v_cmpx_gt_u32_e32 37, v0
	s_cbranch_execz .LBB123_163
; %bb.160:
	v_add_nc_u32_e32 v5, -1, v0
	v_add_nc_u32_e32 v6, 0x1e0, v3
	v_mov_b32_e32 v7, v3
	v_mov_b32_e32 v2, 0
	;; [unrolled: 1-line block ×3, first 2 shown]
	s_mov_b32 s5, 0
	.p2align	6
.LBB123_161:                            ; =>This Inner Loop Header: Depth=1
	s_clause 0x1
	buffer_load_dword v11, v7, s[0:3], 0 offen offset:4
	buffer_load_dword v12, v7, s[0:3], 0 offen
	ds_read_b64 v[9:10], v6
	v_add_nc_u32_e32 v5, 1, v5
	v_add_nc_u32_e32 v6, 8, v6
	;; [unrolled: 1-line block ×3, first 2 shown]
	v_cmp_lt_u32_e32 vcc_lo, 35, v5
	s_or_b32 s5, vcc_lo, s5
	s_waitcnt vmcnt(1) lgkmcnt(0)
	v_mul_f32_e32 v133, v10, v11
	v_mul_f32_e32 v11, v9, v11
	s_waitcnt vmcnt(0)
	v_fma_f32 v9, v9, v12, -v133
	v_fmac_f32_e32 v11, v10, v12
	v_add_f32_e32 v8, v8, v9
	v_add_f32_e32 v2, v2, v11
	s_andn2_b32 exec_lo, exec_lo, s5
	s_cbranch_execnz .LBB123_161
; %bb.162:
	s_or_b32 exec_lo, exec_lo, s5
	v_mov_b32_e32 v5, 0
	ds_read_b64 v[5:6], v5 offset:296
	s_waitcnt lgkmcnt(0)
	v_mul_f32_e32 v7, v2, v6
	v_mul_f32_e32 v6, v8, v6
	v_fma_f32 v7, v8, v5, -v7
	v_fmac_f32_e32 v6, v2, v5
	buffer_store_dword v7, off, s[0:3], 0 offset:296
	buffer_store_dword v6, off, s[0:3], 0 offset:300
.LBB123_163:
	s_or_b32 exec_lo, exec_lo, s4
	s_waitcnt_vscnt null, 0x0
	s_barrier
	buffer_gl0_inv
	s_clause 0x1
	buffer_load_dword v5, off, s[0:3], 0 offset:304
	buffer_load_dword v6, off, s[0:3], 0 offset:308
	s_mov_b32 s4, exec_lo
	s_waitcnt vmcnt(0)
	ds_write_b64 v4, v[5:6]
	s_waitcnt lgkmcnt(0)
	s_barrier
	buffer_gl0_inv
	v_cmpx_gt_u32_e32 38, v0
	s_cbranch_execz .LBB123_167
; %bb.164:
	v_add_nc_u32_e32 v5, -1, v0
	v_add_nc_u32_e32 v6, 0x1e0, v3
	v_mov_b32_e32 v7, v3
	v_mov_b32_e32 v2, 0
	;; [unrolled: 1-line block ×3, first 2 shown]
	s_mov_b32 s5, 0
	.p2align	6
.LBB123_165:                            ; =>This Inner Loop Header: Depth=1
	s_clause 0x1
	buffer_load_dword v11, v7, s[0:3], 0 offen offset:4
	buffer_load_dword v12, v7, s[0:3], 0 offen
	ds_read_b64 v[9:10], v6
	v_add_nc_u32_e32 v5, 1, v5
	v_add_nc_u32_e32 v6, 8, v6
	v_add_nc_u32_e32 v7, 8, v7
	v_cmp_lt_u32_e32 vcc_lo, 36, v5
	s_or_b32 s5, vcc_lo, s5
	s_waitcnt vmcnt(1) lgkmcnt(0)
	v_mul_f32_e32 v133, v10, v11
	v_mul_f32_e32 v11, v9, v11
	s_waitcnt vmcnt(0)
	v_fma_f32 v9, v9, v12, -v133
	v_fmac_f32_e32 v11, v10, v12
	v_add_f32_e32 v8, v8, v9
	v_add_f32_e32 v2, v2, v11
	s_andn2_b32 exec_lo, exec_lo, s5
	s_cbranch_execnz .LBB123_165
; %bb.166:
	s_or_b32 exec_lo, exec_lo, s5
	v_mov_b32_e32 v5, 0
	ds_read_b64 v[5:6], v5 offset:304
	s_waitcnt lgkmcnt(0)
	v_mul_f32_e32 v7, v2, v6
	v_mul_f32_e32 v6, v8, v6
	v_fma_f32 v7, v8, v5, -v7
	v_fmac_f32_e32 v6, v2, v5
	buffer_store_dword v7, off, s[0:3], 0 offset:304
	buffer_store_dword v6, off, s[0:3], 0 offset:308
.LBB123_167:
	s_or_b32 exec_lo, exec_lo, s4
	s_waitcnt_vscnt null, 0x0
	s_barrier
	buffer_gl0_inv
	s_clause 0x1
	buffer_load_dword v5, off, s[0:3], 0 offset:312
	buffer_load_dword v6, off, s[0:3], 0 offset:316
	s_mov_b32 s4, exec_lo
	s_waitcnt vmcnt(0)
	ds_write_b64 v4, v[5:6]
	s_waitcnt lgkmcnt(0)
	s_barrier
	buffer_gl0_inv
	v_cmpx_gt_u32_e32 39, v0
	s_cbranch_execz .LBB123_171
; %bb.168:
	v_add_nc_u32_e32 v5, -1, v0
	v_add_nc_u32_e32 v6, 0x1e0, v3
	v_mov_b32_e32 v7, v3
	v_mov_b32_e32 v2, 0
	v_mov_b32_e32 v8, 0
	s_mov_b32 s5, 0
	.p2align	6
.LBB123_169:                            ; =>This Inner Loop Header: Depth=1
	s_clause 0x1
	buffer_load_dword v11, v7, s[0:3], 0 offen offset:4
	buffer_load_dword v12, v7, s[0:3], 0 offen
	ds_read_b64 v[9:10], v6
	v_add_nc_u32_e32 v5, 1, v5
	v_add_nc_u32_e32 v6, 8, v6
	;; [unrolled: 1-line block ×3, first 2 shown]
	v_cmp_lt_u32_e32 vcc_lo, 37, v5
	s_or_b32 s5, vcc_lo, s5
	s_waitcnt vmcnt(1) lgkmcnt(0)
	v_mul_f32_e32 v133, v10, v11
	v_mul_f32_e32 v11, v9, v11
	s_waitcnt vmcnt(0)
	v_fma_f32 v9, v9, v12, -v133
	v_fmac_f32_e32 v11, v10, v12
	v_add_f32_e32 v8, v8, v9
	v_add_f32_e32 v2, v2, v11
	s_andn2_b32 exec_lo, exec_lo, s5
	s_cbranch_execnz .LBB123_169
; %bb.170:
	s_or_b32 exec_lo, exec_lo, s5
	v_mov_b32_e32 v5, 0
	ds_read_b64 v[5:6], v5 offset:312
	s_waitcnt lgkmcnt(0)
	v_mul_f32_e32 v7, v2, v6
	v_mul_f32_e32 v6, v8, v6
	v_fma_f32 v7, v8, v5, -v7
	v_fmac_f32_e32 v6, v2, v5
	buffer_store_dword v7, off, s[0:3], 0 offset:312
	buffer_store_dword v6, off, s[0:3], 0 offset:316
.LBB123_171:
	s_or_b32 exec_lo, exec_lo, s4
	s_waitcnt_vscnt null, 0x0
	s_barrier
	buffer_gl0_inv
	s_clause 0x1
	buffer_load_dword v5, off, s[0:3], 0 offset:320
	buffer_load_dword v6, off, s[0:3], 0 offset:324
	s_mov_b32 s4, exec_lo
	s_waitcnt vmcnt(0)
	ds_write_b64 v4, v[5:6]
	s_waitcnt lgkmcnt(0)
	s_barrier
	buffer_gl0_inv
	v_cmpx_gt_u32_e32 40, v0
	s_cbranch_execz .LBB123_175
; %bb.172:
	v_add_nc_u32_e32 v5, -1, v0
	v_add_nc_u32_e32 v6, 0x1e0, v3
	v_mov_b32_e32 v7, v3
	v_mov_b32_e32 v2, 0
	;; [unrolled: 1-line block ×3, first 2 shown]
	s_mov_b32 s5, 0
	.p2align	6
.LBB123_173:                            ; =>This Inner Loop Header: Depth=1
	s_clause 0x1
	buffer_load_dword v11, v7, s[0:3], 0 offen offset:4
	buffer_load_dword v12, v7, s[0:3], 0 offen
	ds_read_b64 v[9:10], v6
	v_add_nc_u32_e32 v5, 1, v5
	v_add_nc_u32_e32 v6, 8, v6
	;; [unrolled: 1-line block ×3, first 2 shown]
	v_cmp_lt_u32_e32 vcc_lo, 38, v5
	s_or_b32 s5, vcc_lo, s5
	s_waitcnt vmcnt(1) lgkmcnt(0)
	v_mul_f32_e32 v133, v10, v11
	v_mul_f32_e32 v11, v9, v11
	s_waitcnt vmcnt(0)
	v_fma_f32 v9, v9, v12, -v133
	v_fmac_f32_e32 v11, v10, v12
	v_add_f32_e32 v8, v8, v9
	v_add_f32_e32 v2, v2, v11
	s_andn2_b32 exec_lo, exec_lo, s5
	s_cbranch_execnz .LBB123_173
; %bb.174:
	s_or_b32 exec_lo, exec_lo, s5
	v_mov_b32_e32 v5, 0
	ds_read_b64 v[5:6], v5 offset:320
	s_waitcnt lgkmcnt(0)
	v_mul_f32_e32 v7, v2, v6
	v_mul_f32_e32 v6, v8, v6
	v_fma_f32 v7, v8, v5, -v7
	v_fmac_f32_e32 v6, v2, v5
	buffer_store_dword v7, off, s[0:3], 0 offset:320
	buffer_store_dword v6, off, s[0:3], 0 offset:324
.LBB123_175:
	s_or_b32 exec_lo, exec_lo, s4
	s_waitcnt_vscnt null, 0x0
	s_barrier
	buffer_gl0_inv
	s_clause 0x1
	buffer_load_dword v5, off, s[0:3], 0 offset:328
	buffer_load_dword v6, off, s[0:3], 0 offset:332
	s_mov_b32 s4, exec_lo
	s_waitcnt vmcnt(0)
	ds_write_b64 v4, v[5:6]
	s_waitcnt lgkmcnt(0)
	s_barrier
	buffer_gl0_inv
	v_cmpx_gt_u32_e32 41, v0
	s_cbranch_execz .LBB123_179
; %bb.176:
	v_add_nc_u32_e32 v5, -1, v0
	v_add_nc_u32_e32 v6, 0x1e0, v3
	v_mov_b32_e32 v7, v3
	v_mov_b32_e32 v2, 0
	;; [unrolled: 1-line block ×3, first 2 shown]
	s_mov_b32 s5, 0
	.p2align	6
.LBB123_177:                            ; =>This Inner Loop Header: Depth=1
	s_clause 0x1
	buffer_load_dword v11, v7, s[0:3], 0 offen offset:4
	buffer_load_dword v12, v7, s[0:3], 0 offen
	ds_read_b64 v[9:10], v6
	v_add_nc_u32_e32 v5, 1, v5
	v_add_nc_u32_e32 v6, 8, v6
	;; [unrolled: 1-line block ×3, first 2 shown]
	v_cmp_lt_u32_e32 vcc_lo, 39, v5
	s_or_b32 s5, vcc_lo, s5
	s_waitcnt vmcnt(1) lgkmcnt(0)
	v_mul_f32_e32 v133, v10, v11
	v_mul_f32_e32 v11, v9, v11
	s_waitcnt vmcnt(0)
	v_fma_f32 v9, v9, v12, -v133
	v_fmac_f32_e32 v11, v10, v12
	v_add_f32_e32 v8, v8, v9
	v_add_f32_e32 v2, v2, v11
	s_andn2_b32 exec_lo, exec_lo, s5
	s_cbranch_execnz .LBB123_177
; %bb.178:
	s_or_b32 exec_lo, exec_lo, s5
	v_mov_b32_e32 v5, 0
	ds_read_b64 v[5:6], v5 offset:328
	s_waitcnt lgkmcnt(0)
	v_mul_f32_e32 v7, v2, v6
	v_mul_f32_e32 v6, v8, v6
	v_fma_f32 v7, v8, v5, -v7
	v_fmac_f32_e32 v6, v2, v5
	buffer_store_dword v7, off, s[0:3], 0 offset:328
	buffer_store_dword v6, off, s[0:3], 0 offset:332
.LBB123_179:
	s_or_b32 exec_lo, exec_lo, s4
	s_waitcnt_vscnt null, 0x0
	s_barrier
	buffer_gl0_inv
	s_clause 0x1
	buffer_load_dword v5, off, s[0:3], 0 offset:336
	buffer_load_dword v6, off, s[0:3], 0 offset:340
	s_mov_b32 s4, exec_lo
	s_waitcnt vmcnt(0)
	ds_write_b64 v4, v[5:6]
	s_waitcnt lgkmcnt(0)
	s_barrier
	buffer_gl0_inv
	v_cmpx_gt_u32_e32 42, v0
	s_cbranch_execz .LBB123_183
; %bb.180:
	v_add_nc_u32_e32 v5, -1, v0
	v_add_nc_u32_e32 v6, 0x1e0, v3
	v_mov_b32_e32 v7, v3
	v_mov_b32_e32 v2, 0
	;; [unrolled: 1-line block ×3, first 2 shown]
	s_mov_b32 s5, 0
	.p2align	6
.LBB123_181:                            ; =>This Inner Loop Header: Depth=1
	s_clause 0x1
	buffer_load_dword v11, v7, s[0:3], 0 offen offset:4
	buffer_load_dword v12, v7, s[0:3], 0 offen
	ds_read_b64 v[9:10], v6
	v_add_nc_u32_e32 v5, 1, v5
	v_add_nc_u32_e32 v6, 8, v6
	;; [unrolled: 1-line block ×3, first 2 shown]
	v_cmp_lt_u32_e32 vcc_lo, 40, v5
	s_or_b32 s5, vcc_lo, s5
	s_waitcnt vmcnt(1) lgkmcnt(0)
	v_mul_f32_e32 v133, v10, v11
	v_mul_f32_e32 v11, v9, v11
	s_waitcnt vmcnt(0)
	v_fma_f32 v9, v9, v12, -v133
	v_fmac_f32_e32 v11, v10, v12
	v_add_f32_e32 v8, v8, v9
	v_add_f32_e32 v2, v2, v11
	s_andn2_b32 exec_lo, exec_lo, s5
	s_cbranch_execnz .LBB123_181
; %bb.182:
	s_or_b32 exec_lo, exec_lo, s5
	v_mov_b32_e32 v5, 0
	ds_read_b64 v[5:6], v5 offset:336
	s_waitcnt lgkmcnt(0)
	v_mul_f32_e32 v7, v2, v6
	v_mul_f32_e32 v6, v8, v6
	v_fma_f32 v7, v8, v5, -v7
	v_fmac_f32_e32 v6, v2, v5
	buffer_store_dword v7, off, s[0:3], 0 offset:336
	buffer_store_dword v6, off, s[0:3], 0 offset:340
.LBB123_183:
	s_or_b32 exec_lo, exec_lo, s4
	s_waitcnt_vscnt null, 0x0
	s_barrier
	buffer_gl0_inv
	s_clause 0x1
	buffer_load_dword v5, off, s[0:3], 0 offset:344
	buffer_load_dword v6, off, s[0:3], 0 offset:348
	s_mov_b32 s4, exec_lo
	s_waitcnt vmcnt(0)
	ds_write_b64 v4, v[5:6]
	s_waitcnt lgkmcnt(0)
	s_barrier
	buffer_gl0_inv
	v_cmpx_gt_u32_e32 43, v0
	s_cbranch_execz .LBB123_187
; %bb.184:
	v_add_nc_u32_e32 v5, -1, v0
	v_add_nc_u32_e32 v6, 0x1e0, v3
	v_mov_b32_e32 v7, v3
	v_mov_b32_e32 v2, 0
	v_mov_b32_e32 v8, 0
	s_mov_b32 s5, 0
	.p2align	6
.LBB123_185:                            ; =>This Inner Loop Header: Depth=1
	s_clause 0x1
	buffer_load_dword v11, v7, s[0:3], 0 offen offset:4
	buffer_load_dword v12, v7, s[0:3], 0 offen
	ds_read_b64 v[9:10], v6
	v_add_nc_u32_e32 v5, 1, v5
	v_add_nc_u32_e32 v6, 8, v6
	;; [unrolled: 1-line block ×3, first 2 shown]
	v_cmp_lt_u32_e32 vcc_lo, 41, v5
	s_or_b32 s5, vcc_lo, s5
	s_waitcnt vmcnt(1) lgkmcnt(0)
	v_mul_f32_e32 v133, v10, v11
	v_mul_f32_e32 v11, v9, v11
	s_waitcnt vmcnt(0)
	v_fma_f32 v9, v9, v12, -v133
	v_fmac_f32_e32 v11, v10, v12
	v_add_f32_e32 v8, v8, v9
	v_add_f32_e32 v2, v2, v11
	s_andn2_b32 exec_lo, exec_lo, s5
	s_cbranch_execnz .LBB123_185
; %bb.186:
	s_or_b32 exec_lo, exec_lo, s5
	v_mov_b32_e32 v5, 0
	ds_read_b64 v[5:6], v5 offset:344
	s_waitcnt lgkmcnt(0)
	v_mul_f32_e32 v7, v2, v6
	v_mul_f32_e32 v6, v8, v6
	v_fma_f32 v7, v8, v5, -v7
	v_fmac_f32_e32 v6, v2, v5
	buffer_store_dword v7, off, s[0:3], 0 offset:344
	buffer_store_dword v6, off, s[0:3], 0 offset:348
.LBB123_187:
	s_or_b32 exec_lo, exec_lo, s4
	s_waitcnt_vscnt null, 0x0
	s_barrier
	buffer_gl0_inv
	s_clause 0x1
	buffer_load_dword v5, off, s[0:3], 0 offset:352
	buffer_load_dword v6, off, s[0:3], 0 offset:356
	s_mov_b32 s4, exec_lo
	s_waitcnt vmcnt(0)
	ds_write_b64 v4, v[5:6]
	s_waitcnt lgkmcnt(0)
	s_barrier
	buffer_gl0_inv
	v_cmpx_gt_u32_e32 44, v0
	s_cbranch_execz .LBB123_191
; %bb.188:
	v_add_nc_u32_e32 v5, -1, v0
	v_add_nc_u32_e32 v6, 0x1e0, v3
	v_mov_b32_e32 v7, v3
	v_mov_b32_e32 v2, 0
	;; [unrolled: 1-line block ×3, first 2 shown]
	s_mov_b32 s5, 0
	.p2align	6
.LBB123_189:                            ; =>This Inner Loop Header: Depth=1
	s_clause 0x1
	buffer_load_dword v11, v7, s[0:3], 0 offen offset:4
	buffer_load_dword v12, v7, s[0:3], 0 offen
	ds_read_b64 v[9:10], v6
	v_add_nc_u32_e32 v5, 1, v5
	v_add_nc_u32_e32 v6, 8, v6
	v_add_nc_u32_e32 v7, 8, v7
	v_cmp_lt_u32_e32 vcc_lo, 42, v5
	s_or_b32 s5, vcc_lo, s5
	s_waitcnt vmcnt(1) lgkmcnt(0)
	v_mul_f32_e32 v133, v10, v11
	v_mul_f32_e32 v11, v9, v11
	s_waitcnt vmcnt(0)
	v_fma_f32 v9, v9, v12, -v133
	v_fmac_f32_e32 v11, v10, v12
	v_add_f32_e32 v8, v8, v9
	v_add_f32_e32 v2, v2, v11
	s_andn2_b32 exec_lo, exec_lo, s5
	s_cbranch_execnz .LBB123_189
; %bb.190:
	s_or_b32 exec_lo, exec_lo, s5
	v_mov_b32_e32 v5, 0
	ds_read_b64 v[5:6], v5 offset:352
	s_waitcnt lgkmcnt(0)
	v_mul_f32_e32 v7, v2, v6
	v_mul_f32_e32 v6, v8, v6
	v_fma_f32 v7, v8, v5, -v7
	v_fmac_f32_e32 v6, v2, v5
	buffer_store_dword v7, off, s[0:3], 0 offset:352
	buffer_store_dword v6, off, s[0:3], 0 offset:356
.LBB123_191:
	s_or_b32 exec_lo, exec_lo, s4
	s_waitcnt_vscnt null, 0x0
	s_barrier
	buffer_gl0_inv
	s_clause 0x1
	buffer_load_dword v5, off, s[0:3], 0 offset:360
	buffer_load_dword v6, off, s[0:3], 0 offset:364
	s_mov_b32 s4, exec_lo
	s_waitcnt vmcnt(0)
	ds_write_b64 v4, v[5:6]
	s_waitcnt lgkmcnt(0)
	s_barrier
	buffer_gl0_inv
	v_cmpx_gt_u32_e32 45, v0
	s_cbranch_execz .LBB123_195
; %bb.192:
	v_add_nc_u32_e32 v5, -1, v0
	v_add_nc_u32_e32 v6, 0x1e0, v3
	v_mov_b32_e32 v7, v3
	v_mov_b32_e32 v2, 0
	;; [unrolled: 1-line block ×3, first 2 shown]
	s_mov_b32 s5, 0
	.p2align	6
.LBB123_193:                            ; =>This Inner Loop Header: Depth=1
	s_clause 0x1
	buffer_load_dword v11, v7, s[0:3], 0 offen offset:4
	buffer_load_dword v12, v7, s[0:3], 0 offen
	ds_read_b64 v[9:10], v6
	v_add_nc_u32_e32 v5, 1, v5
	v_add_nc_u32_e32 v6, 8, v6
	;; [unrolled: 1-line block ×3, first 2 shown]
	v_cmp_lt_u32_e32 vcc_lo, 43, v5
	s_or_b32 s5, vcc_lo, s5
	s_waitcnt vmcnt(1) lgkmcnt(0)
	v_mul_f32_e32 v133, v10, v11
	v_mul_f32_e32 v11, v9, v11
	s_waitcnt vmcnt(0)
	v_fma_f32 v9, v9, v12, -v133
	v_fmac_f32_e32 v11, v10, v12
	v_add_f32_e32 v8, v8, v9
	v_add_f32_e32 v2, v2, v11
	s_andn2_b32 exec_lo, exec_lo, s5
	s_cbranch_execnz .LBB123_193
; %bb.194:
	s_or_b32 exec_lo, exec_lo, s5
	v_mov_b32_e32 v5, 0
	ds_read_b64 v[5:6], v5 offset:360
	s_waitcnt lgkmcnt(0)
	v_mul_f32_e32 v7, v2, v6
	v_mul_f32_e32 v6, v8, v6
	v_fma_f32 v7, v8, v5, -v7
	v_fmac_f32_e32 v6, v2, v5
	buffer_store_dword v7, off, s[0:3], 0 offset:360
	buffer_store_dword v6, off, s[0:3], 0 offset:364
.LBB123_195:
	s_or_b32 exec_lo, exec_lo, s4
	s_waitcnt_vscnt null, 0x0
	s_barrier
	buffer_gl0_inv
	s_clause 0x1
	buffer_load_dword v5, off, s[0:3], 0 offset:368
	buffer_load_dword v6, off, s[0:3], 0 offset:372
	s_mov_b32 s4, exec_lo
	s_waitcnt vmcnt(0)
	ds_write_b64 v4, v[5:6]
	s_waitcnt lgkmcnt(0)
	s_barrier
	buffer_gl0_inv
	v_cmpx_gt_u32_e32 46, v0
	s_cbranch_execz .LBB123_199
; %bb.196:
	v_add_nc_u32_e32 v5, -1, v0
	v_add_nc_u32_e32 v6, 0x1e0, v3
	v_mov_b32_e32 v7, v3
	v_mov_b32_e32 v2, 0
	;; [unrolled: 1-line block ×3, first 2 shown]
	s_mov_b32 s5, 0
	.p2align	6
.LBB123_197:                            ; =>This Inner Loop Header: Depth=1
	s_clause 0x1
	buffer_load_dword v11, v7, s[0:3], 0 offen offset:4
	buffer_load_dword v12, v7, s[0:3], 0 offen
	ds_read_b64 v[9:10], v6
	v_add_nc_u32_e32 v5, 1, v5
	v_add_nc_u32_e32 v6, 8, v6
	;; [unrolled: 1-line block ×3, first 2 shown]
	v_cmp_lt_u32_e32 vcc_lo, 44, v5
	s_or_b32 s5, vcc_lo, s5
	s_waitcnt vmcnt(1) lgkmcnt(0)
	v_mul_f32_e32 v133, v10, v11
	v_mul_f32_e32 v11, v9, v11
	s_waitcnt vmcnt(0)
	v_fma_f32 v9, v9, v12, -v133
	v_fmac_f32_e32 v11, v10, v12
	v_add_f32_e32 v8, v8, v9
	v_add_f32_e32 v2, v2, v11
	s_andn2_b32 exec_lo, exec_lo, s5
	s_cbranch_execnz .LBB123_197
; %bb.198:
	s_or_b32 exec_lo, exec_lo, s5
	v_mov_b32_e32 v5, 0
	ds_read_b64 v[5:6], v5 offset:368
	s_waitcnt lgkmcnt(0)
	v_mul_f32_e32 v7, v2, v6
	v_mul_f32_e32 v6, v8, v6
	v_fma_f32 v7, v8, v5, -v7
	v_fmac_f32_e32 v6, v2, v5
	buffer_store_dword v7, off, s[0:3], 0 offset:368
	buffer_store_dword v6, off, s[0:3], 0 offset:372
.LBB123_199:
	s_or_b32 exec_lo, exec_lo, s4
	s_waitcnt_vscnt null, 0x0
	s_barrier
	buffer_gl0_inv
	s_clause 0x1
	buffer_load_dword v5, off, s[0:3], 0 offset:376
	buffer_load_dword v6, off, s[0:3], 0 offset:380
	s_mov_b32 s4, exec_lo
	s_waitcnt vmcnt(0)
	ds_write_b64 v4, v[5:6]
	s_waitcnt lgkmcnt(0)
	s_barrier
	buffer_gl0_inv
	v_cmpx_gt_u32_e32 47, v0
	s_cbranch_execz .LBB123_203
; %bb.200:
	v_add_nc_u32_e32 v5, -1, v0
	v_add_nc_u32_e32 v6, 0x1e0, v3
	v_mov_b32_e32 v7, v3
	v_mov_b32_e32 v2, 0
	;; [unrolled: 1-line block ×3, first 2 shown]
	s_mov_b32 s5, 0
	.p2align	6
.LBB123_201:                            ; =>This Inner Loop Header: Depth=1
	s_clause 0x1
	buffer_load_dword v11, v7, s[0:3], 0 offen offset:4
	buffer_load_dword v12, v7, s[0:3], 0 offen
	ds_read_b64 v[9:10], v6
	v_add_nc_u32_e32 v5, 1, v5
	v_add_nc_u32_e32 v6, 8, v6
	;; [unrolled: 1-line block ×3, first 2 shown]
	v_cmp_lt_u32_e32 vcc_lo, 45, v5
	s_or_b32 s5, vcc_lo, s5
	s_waitcnt vmcnt(1) lgkmcnt(0)
	v_mul_f32_e32 v133, v10, v11
	v_mul_f32_e32 v11, v9, v11
	s_waitcnt vmcnt(0)
	v_fma_f32 v9, v9, v12, -v133
	v_fmac_f32_e32 v11, v10, v12
	v_add_f32_e32 v8, v8, v9
	v_add_f32_e32 v2, v2, v11
	s_andn2_b32 exec_lo, exec_lo, s5
	s_cbranch_execnz .LBB123_201
; %bb.202:
	s_or_b32 exec_lo, exec_lo, s5
	v_mov_b32_e32 v5, 0
	ds_read_b64 v[5:6], v5 offset:376
	s_waitcnt lgkmcnt(0)
	v_mul_f32_e32 v7, v2, v6
	v_mul_f32_e32 v6, v8, v6
	v_fma_f32 v7, v8, v5, -v7
	v_fmac_f32_e32 v6, v2, v5
	buffer_store_dword v7, off, s[0:3], 0 offset:376
	buffer_store_dword v6, off, s[0:3], 0 offset:380
.LBB123_203:
	s_or_b32 exec_lo, exec_lo, s4
	s_waitcnt_vscnt null, 0x0
	s_barrier
	buffer_gl0_inv
	s_clause 0x1
	buffer_load_dword v5, off, s[0:3], 0 offset:384
	buffer_load_dword v6, off, s[0:3], 0 offset:388
	s_mov_b32 s4, exec_lo
	s_waitcnt vmcnt(0)
	ds_write_b64 v4, v[5:6]
	s_waitcnt lgkmcnt(0)
	s_barrier
	buffer_gl0_inv
	v_cmpx_gt_u32_e32 48, v0
	s_cbranch_execz .LBB123_207
; %bb.204:
	v_add_nc_u32_e32 v5, -1, v0
	v_add_nc_u32_e32 v6, 0x1e0, v3
	v_mov_b32_e32 v7, v3
	v_mov_b32_e32 v2, 0
	v_mov_b32_e32 v8, 0
	s_mov_b32 s5, 0
	.p2align	6
.LBB123_205:                            ; =>This Inner Loop Header: Depth=1
	s_clause 0x1
	buffer_load_dword v11, v7, s[0:3], 0 offen offset:4
	buffer_load_dword v12, v7, s[0:3], 0 offen
	ds_read_b64 v[9:10], v6
	v_add_nc_u32_e32 v5, 1, v5
	v_add_nc_u32_e32 v6, 8, v6
	;; [unrolled: 1-line block ×3, first 2 shown]
	v_cmp_lt_u32_e32 vcc_lo, 46, v5
	s_or_b32 s5, vcc_lo, s5
	s_waitcnt vmcnt(1) lgkmcnt(0)
	v_mul_f32_e32 v133, v10, v11
	v_mul_f32_e32 v11, v9, v11
	s_waitcnt vmcnt(0)
	v_fma_f32 v9, v9, v12, -v133
	v_fmac_f32_e32 v11, v10, v12
	v_add_f32_e32 v8, v8, v9
	v_add_f32_e32 v2, v2, v11
	s_andn2_b32 exec_lo, exec_lo, s5
	s_cbranch_execnz .LBB123_205
; %bb.206:
	s_or_b32 exec_lo, exec_lo, s5
	v_mov_b32_e32 v5, 0
	ds_read_b64 v[5:6], v5 offset:384
	s_waitcnt lgkmcnt(0)
	v_mul_f32_e32 v7, v2, v6
	v_mul_f32_e32 v6, v8, v6
	v_fma_f32 v7, v8, v5, -v7
	v_fmac_f32_e32 v6, v2, v5
	buffer_store_dword v7, off, s[0:3], 0 offset:384
	buffer_store_dword v6, off, s[0:3], 0 offset:388
.LBB123_207:
	s_or_b32 exec_lo, exec_lo, s4
	s_waitcnt_vscnt null, 0x0
	s_barrier
	buffer_gl0_inv
	s_clause 0x1
	buffer_load_dword v5, off, s[0:3], 0 offset:392
	buffer_load_dword v6, off, s[0:3], 0 offset:396
	s_mov_b32 s4, exec_lo
	s_waitcnt vmcnt(0)
	ds_write_b64 v4, v[5:6]
	s_waitcnt lgkmcnt(0)
	s_barrier
	buffer_gl0_inv
	v_cmpx_gt_u32_e32 49, v0
	s_cbranch_execz .LBB123_211
; %bb.208:
	v_add_nc_u32_e32 v5, -1, v0
	v_add_nc_u32_e32 v6, 0x1e0, v3
	v_mov_b32_e32 v7, v3
	v_mov_b32_e32 v2, 0
	;; [unrolled: 1-line block ×3, first 2 shown]
	s_mov_b32 s5, 0
	.p2align	6
.LBB123_209:                            ; =>This Inner Loop Header: Depth=1
	s_clause 0x1
	buffer_load_dword v11, v7, s[0:3], 0 offen offset:4
	buffer_load_dword v12, v7, s[0:3], 0 offen
	ds_read_b64 v[9:10], v6
	v_add_nc_u32_e32 v5, 1, v5
	v_add_nc_u32_e32 v6, 8, v6
	;; [unrolled: 1-line block ×3, first 2 shown]
	v_cmp_lt_u32_e32 vcc_lo, 47, v5
	s_or_b32 s5, vcc_lo, s5
	s_waitcnt vmcnt(1) lgkmcnt(0)
	v_mul_f32_e32 v133, v10, v11
	v_mul_f32_e32 v11, v9, v11
	s_waitcnt vmcnt(0)
	v_fma_f32 v9, v9, v12, -v133
	v_fmac_f32_e32 v11, v10, v12
	v_add_f32_e32 v8, v8, v9
	v_add_f32_e32 v2, v2, v11
	s_andn2_b32 exec_lo, exec_lo, s5
	s_cbranch_execnz .LBB123_209
; %bb.210:
	s_or_b32 exec_lo, exec_lo, s5
	v_mov_b32_e32 v5, 0
	ds_read_b64 v[5:6], v5 offset:392
	s_waitcnt lgkmcnt(0)
	v_mul_f32_e32 v7, v2, v6
	v_mul_f32_e32 v6, v8, v6
	v_fma_f32 v7, v8, v5, -v7
	v_fmac_f32_e32 v6, v2, v5
	buffer_store_dword v7, off, s[0:3], 0 offset:392
	buffer_store_dword v6, off, s[0:3], 0 offset:396
.LBB123_211:
	s_or_b32 exec_lo, exec_lo, s4
	s_waitcnt_vscnt null, 0x0
	s_barrier
	buffer_gl0_inv
	s_clause 0x1
	buffer_load_dword v5, off, s[0:3], 0 offset:400
	buffer_load_dword v6, off, s[0:3], 0 offset:404
	s_mov_b32 s4, exec_lo
	s_waitcnt vmcnt(0)
	ds_write_b64 v4, v[5:6]
	s_waitcnt lgkmcnt(0)
	s_barrier
	buffer_gl0_inv
	v_cmpx_gt_u32_e32 50, v0
	s_cbranch_execz .LBB123_215
; %bb.212:
	v_add_nc_u32_e32 v5, -1, v0
	v_add_nc_u32_e32 v6, 0x1e0, v3
	v_mov_b32_e32 v7, v3
	v_mov_b32_e32 v2, 0
	;; [unrolled: 1-line block ×3, first 2 shown]
	s_mov_b32 s5, 0
	.p2align	6
.LBB123_213:                            ; =>This Inner Loop Header: Depth=1
	s_clause 0x1
	buffer_load_dword v11, v7, s[0:3], 0 offen offset:4
	buffer_load_dword v12, v7, s[0:3], 0 offen
	ds_read_b64 v[9:10], v6
	v_add_nc_u32_e32 v5, 1, v5
	v_add_nc_u32_e32 v6, 8, v6
	;; [unrolled: 1-line block ×3, first 2 shown]
	v_cmp_lt_u32_e32 vcc_lo, 48, v5
	s_or_b32 s5, vcc_lo, s5
	s_waitcnt vmcnt(1) lgkmcnt(0)
	v_mul_f32_e32 v133, v10, v11
	v_mul_f32_e32 v11, v9, v11
	s_waitcnt vmcnt(0)
	v_fma_f32 v9, v9, v12, -v133
	v_fmac_f32_e32 v11, v10, v12
	v_add_f32_e32 v8, v8, v9
	v_add_f32_e32 v2, v2, v11
	s_andn2_b32 exec_lo, exec_lo, s5
	s_cbranch_execnz .LBB123_213
; %bb.214:
	s_or_b32 exec_lo, exec_lo, s5
	v_mov_b32_e32 v5, 0
	ds_read_b64 v[5:6], v5 offset:400
	s_waitcnt lgkmcnt(0)
	v_mul_f32_e32 v7, v2, v6
	v_mul_f32_e32 v6, v8, v6
	v_fma_f32 v7, v8, v5, -v7
	v_fmac_f32_e32 v6, v2, v5
	buffer_store_dword v7, off, s[0:3], 0 offset:400
	buffer_store_dword v6, off, s[0:3], 0 offset:404
.LBB123_215:
	s_or_b32 exec_lo, exec_lo, s4
	s_waitcnt_vscnt null, 0x0
	s_barrier
	buffer_gl0_inv
	s_clause 0x1
	buffer_load_dword v5, off, s[0:3], 0 offset:408
	buffer_load_dword v6, off, s[0:3], 0 offset:412
	s_mov_b32 s4, exec_lo
	s_waitcnt vmcnt(0)
	ds_write_b64 v4, v[5:6]
	s_waitcnt lgkmcnt(0)
	s_barrier
	buffer_gl0_inv
	v_cmpx_gt_u32_e32 51, v0
	s_cbranch_execz .LBB123_219
; %bb.216:
	v_add_nc_u32_e32 v5, -1, v0
	v_add_nc_u32_e32 v6, 0x1e0, v3
	v_mov_b32_e32 v7, v3
	v_mov_b32_e32 v2, 0
	;; [unrolled: 1-line block ×3, first 2 shown]
	s_mov_b32 s5, 0
	.p2align	6
.LBB123_217:                            ; =>This Inner Loop Header: Depth=1
	s_clause 0x1
	buffer_load_dword v11, v7, s[0:3], 0 offen offset:4
	buffer_load_dword v12, v7, s[0:3], 0 offen
	ds_read_b64 v[9:10], v6
	v_add_nc_u32_e32 v5, 1, v5
	v_add_nc_u32_e32 v6, 8, v6
	;; [unrolled: 1-line block ×3, first 2 shown]
	v_cmp_lt_u32_e32 vcc_lo, 49, v5
	s_or_b32 s5, vcc_lo, s5
	s_waitcnt vmcnt(1) lgkmcnt(0)
	v_mul_f32_e32 v133, v10, v11
	v_mul_f32_e32 v11, v9, v11
	s_waitcnt vmcnt(0)
	v_fma_f32 v9, v9, v12, -v133
	v_fmac_f32_e32 v11, v10, v12
	v_add_f32_e32 v8, v8, v9
	v_add_f32_e32 v2, v2, v11
	s_andn2_b32 exec_lo, exec_lo, s5
	s_cbranch_execnz .LBB123_217
; %bb.218:
	s_or_b32 exec_lo, exec_lo, s5
	v_mov_b32_e32 v5, 0
	ds_read_b64 v[5:6], v5 offset:408
	s_waitcnt lgkmcnt(0)
	v_mul_f32_e32 v7, v2, v6
	v_mul_f32_e32 v6, v8, v6
	v_fma_f32 v7, v8, v5, -v7
	v_fmac_f32_e32 v6, v2, v5
	buffer_store_dword v7, off, s[0:3], 0 offset:408
	buffer_store_dword v6, off, s[0:3], 0 offset:412
.LBB123_219:
	s_or_b32 exec_lo, exec_lo, s4
	s_waitcnt_vscnt null, 0x0
	s_barrier
	buffer_gl0_inv
	s_clause 0x1
	buffer_load_dword v5, off, s[0:3], 0 offset:416
	buffer_load_dword v6, off, s[0:3], 0 offset:420
	s_mov_b32 s4, exec_lo
	s_waitcnt vmcnt(0)
	ds_write_b64 v4, v[5:6]
	s_waitcnt lgkmcnt(0)
	s_barrier
	buffer_gl0_inv
	v_cmpx_gt_u32_e32 52, v0
	s_cbranch_execz .LBB123_223
; %bb.220:
	v_add_nc_u32_e32 v5, -1, v0
	v_add_nc_u32_e32 v6, 0x1e0, v3
	v_mov_b32_e32 v7, v3
	v_mov_b32_e32 v2, 0
	;; [unrolled: 1-line block ×3, first 2 shown]
	s_mov_b32 s5, 0
	.p2align	6
.LBB123_221:                            ; =>This Inner Loop Header: Depth=1
	s_clause 0x1
	buffer_load_dword v11, v7, s[0:3], 0 offen offset:4
	buffer_load_dword v12, v7, s[0:3], 0 offen
	ds_read_b64 v[9:10], v6
	v_add_nc_u32_e32 v5, 1, v5
	v_add_nc_u32_e32 v6, 8, v6
	;; [unrolled: 1-line block ×3, first 2 shown]
	v_cmp_lt_u32_e32 vcc_lo, 50, v5
	s_or_b32 s5, vcc_lo, s5
	s_waitcnt vmcnt(1) lgkmcnt(0)
	v_mul_f32_e32 v133, v10, v11
	v_mul_f32_e32 v11, v9, v11
	s_waitcnt vmcnt(0)
	v_fma_f32 v9, v9, v12, -v133
	v_fmac_f32_e32 v11, v10, v12
	v_add_f32_e32 v8, v8, v9
	v_add_f32_e32 v2, v2, v11
	s_andn2_b32 exec_lo, exec_lo, s5
	s_cbranch_execnz .LBB123_221
; %bb.222:
	s_or_b32 exec_lo, exec_lo, s5
	v_mov_b32_e32 v5, 0
	ds_read_b64 v[5:6], v5 offset:416
	s_waitcnt lgkmcnt(0)
	v_mul_f32_e32 v7, v2, v6
	v_mul_f32_e32 v6, v8, v6
	v_fma_f32 v7, v8, v5, -v7
	v_fmac_f32_e32 v6, v2, v5
	buffer_store_dword v7, off, s[0:3], 0 offset:416
	buffer_store_dword v6, off, s[0:3], 0 offset:420
.LBB123_223:
	s_or_b32 exec_lo, exec_lo, s4
	s_waitcnt_vscnt null, 0x0
	s_barrier
	buffer_gl0_inv
	s_clause 0x1
	buffer_load_dword v5, off, s[0:3], 0 offset:424
	buffer_load_dword v6, off, s[0:3], 0 offset:428
	s_mov_b32 s4, exec_lo
	s_waitcnt vmcnt(0)
	ds_write_b64 v4, v[5:6]
	s_waitcnt lgkmcnt(0)
	s_barrier
	buffer_gl0_inv
	v_cmpx_gt_u32_e32 53, v0
	s_cbranch_execz .LBB123_227
; %bb.224:
	v_add_nc_u32_e32 v5, -1, v0
	v_add_nc_u32_e32 v6, 0x1e0, v3
	v_mov_b32_e32 v7, v3
	v_mov_b32_e32 v2, 0
	;; [unrolled: 1-line block ×3, first 2 shown]
	s_mov_b32 s5, 0
	.p2align	6
.LBB123_225:                            ; =>This Inner Loop Header: Depth=1
	s_clause 0x1
	buffer_load_dword v11, v7, s[0:3], 0 offen offset:4
	buffer_load_dword v12, v7, s[0:3], 0 offen
	ds_read_b64 v[9:10], v6
	v_add_nc_u32_e32 v5, 1, v5
	v_add_nc_u32_e32 v6, 8, v6
	;; [unrolled: 1-line block ×3, first 2 shown]
	v_cmp_lt_u32_e32 vcc_lo, 51, v5
	s_or_b32 s5, vcc_lo, s5
	s_waitcnt vmcnt(1) lgkmcnt(0)
	v_mul_f32_e32 v133, v10, v11
	v_mul_f32_e32 v11, v9, v11
	s_waitcnt vmcnt(0)
	v_fma_f32 v9, v9, v12, -v133
	v_fmac_f32_e32 v11, v10, v12
	v_add_f32_e32 v8, v8, v9
	v_add_f32_e32 v2, v2, v11
	s_andn2_b32 exec_lo, exec_lo, s5
	s_cbranch_execnz .LBB123_225
; %bb.226:
	s_or_b32 exec_lo, exec_lo, s5
	v_mov_b32_e32 v5, 0
	ds_read_b64 v[5:6], v5 offset:424
	s_waitcnt lgkmcnt(0)
	v_mul_f32_e32 v7, v2, v6
	v_mul_f32_e32 v6, v8, v6
	v_fma_f32 v7, v8, v5, -v7
	v_fmac_f32_e32 v6, v2, v5
	buffer_store_dword v7, off, s[0:3], 0 offset:424
	buffer_store_dword v6, off, s[0:3], 0 offset:428
.LBB123_227:
	s_or_b32 exec_lo, exec_lo, s4
	s_waitcnt_vscnt null, 0x0
	s_barrier
	buffer_gl0_inv
	s_clause 0x1
	buffer_load_dword v5, off, s[0:3], 0 offset:432
	buffer_load_dword v6, off, s[0:3], 0 offset:436
	s_mov_b32 s4, exec_lo
	s_waitcnt vmcnt(0)
	ds_write_b64 v4, v[5:6]
	s_waitcnt lgkmcnt(0)
	s_barrier
	buffer_gl0_inv
	v_cmpx_gt_u32_e32 54, v0
	s_cbranch_execz .LBB123_231
; %bb.228:
	v_add_nc_u32_e32 v5, -1, v0
	v_add_nc_u32_e32 v6, 0x1e0, v3
	v_mov_b32_e32 v7, v3
	v_mov_b32_e32 v2, 0
	;; [unrolled: 1-line block ×3, first 2 shown]
	s_mov_b32 s5, 0
	.p2align	6
.LBB123_229:                            ; =>This Inner Loop Header: Depth=1
	s_clause 0x1
	buffer_load_dword v11, v7, s[0:3], 0 offen offset:4
	buffer_load_dword v12, v7, s[0:3], 0 offen
	ds_read_b64 v[9:10], v6
	v_add_nc_u32_e32 v5, 1, v5
	v_add_nc_u32_e32 v6, 8, v6
	;; [unrolled: 1-line block ×3, first 2 shown]
	v_cmp_lt_u32_e32 vcc_lo, 52, v5
	s_or_b32 s5, vcc_lo, s5
	s_waitcnt vmcnt(1) lgkmcnt(0)
	v_mul_f32_e32 v133, v10, v11
	v_mul_f32_e32 v11, v9, v11
	s_waitcnt vmcnt(0)
	v_fma_f32 v9, v9, v12, -v133
	v_fmac_f32_e32 v11, v10, v12
	v_add_f32_e32 v8, v8, v9
	v_add_f32_e32 v2, v2, v11
	s_andn2_b32 exec_lo, exec_lo, s5
	s_cbranch_execnz .LBB123_229
; %bb.230:
	s_or_b32 exec_lo, exec_lo, s5
	v_mov_b32_e32 v5, 0
	ds_read_b64 v[5:6], v5 offset:432
	s_waitcnt lgkmcnt(0)
	v_mul_f32_e32 v7, v2, v6
	v_mul_f32_e32 v6, v8, v6
	v_fma_f32 v7, v8, v5, -v7
	v_fmac_f32_e32 v6, v2, v5
	buffer_store_dword v7, off, s[0:3], 0 offset:432
	buffer_store_dword v6, off, s[0:3], 0 offset:436
.LBB123_231:
	s_or_b32 exec_lo, exec_lo, s4
	s_waitcnt_vscnt null, 0x0
	s_barrier
	buffer_gl0_inv
	s_clause 0x1
	buffer_load_dword v5, off, s[0:3], 0 offset:440
	buffer_load_dword v6, off, s[0:3], 0 offset:444
	s_mov_b32 s4, exec_lo
	s_waitcnt vmcnt(0)
	ds_write_b64 v4, v[5:6]
	s_waitcnt lgkmcnt(0)
	s_barrier
	buffer_gl0_inv
	v_cmpx_gt_u32_e32 55, v0
	s_cbranch_execz .LBB123_235
; %bb.232:
	v_add_nc_u32_e32 v5, -1, v0
	v_add_nc_u32_e32 v6, 0x1e0, v3
	v_mov_b32_e32 v7, v3
	v_mov_b32_e32 v2, 0
	;; [unrolled: 1-line block ×3, first 2 shown]
	s_mov_b32 s5, 0
	.p2align	6
.LBB123_233:                            ; =>This Inner Loop Header: Depth=1
	s_clause 0x1
	buffer_load_dword v11, v7, s[0:3], 0 offen offset:4
	buffer_load_dword v12, v7, s[0:3], 0 offen
	ds_read_b64 v[9:10], v6
	v_add_nc_u32_e32 v5, 1, v5
	v_add_nc_u32_e32 v6, 8, v6
	;; [unrolled: 1-line block ×3, first 2 shown]
	v_cmp_lt_u32_e32 vcc_lo, 53, v5
	s_or_b32 s5, vcc_lo, s5
	s_waitcnt vmcnt(1) lgkmcnt(0)
	v_mul_f32_e32 v133, v10, v11
	v_mul_f32_e32 v11, v9, v11
	s_waitcnt vmcnt(0)
	v_fma_f32 v9, v9, v12, -v133
	v_fmac_f32_e32 v11, v10, v12
	v_add_f32_e32 v8, v8, v9
	v_add_f32_e32 v2, v2, v11
	s_andn2_b32 exec_lo, exec_lo, s5
	s_cbranch_execnz .LBB123_233
; %bb.234:
	s_or_b32 exec_lo, exec_lo, s5
	v_mov_b32_e32 v5, 0
	ds_read_b64 v[5:6], v5 offset:440
	s_waitcnt lgkmcnt(0)
	v_mul_f32_e32 v7, v2, v6
	v_mul_f32_e32 v6, v8, v6
	v_fma_f32 v7, v8, v5, -v7
	v_fmac_f32_e32 v6, v2, v5
	buffer_store_dword v7, off, s[0:3], 0 offset:440
	buffer_store_dword v6, off, s[0:3], 0 offset:444
.LBB123_235:
	s_or_b32 exec_lo, exec_lo, s4
	s_waitcnt_vscnt null, 0x0
	s_barrier
	buffer_gl0_inv
	s_clause 0x1
	buffer_load_dword v5, off, s[0:3], 0 offset:448
	buffer_load_dword v6, off, s[0:3], 0 offset:452
	s_mov_b32 s4, exec_lo
	s_waitcnt vmcnt(0)
	ds_write_b64 v4, v[5:6]
	s_waitcnt lgkmcnt(0)
	s_barrier
	buffer_gl0_inv
	v_cmpx_gt_u32_e32 56, v0
	s_cbranch_execz .LBB123_239
; %bb.236:
	v_add_nc_u32_e32 v5, -1, v0
	v_add_nc_u32_e32 v6, 0x1e0, v3
	v_mov_b32_e32 v7, v3
	v_mov_b32_e32 v2, 0
	;; [unrolled: 1-line block ×3, first 2 shown]
	s_mov_b32 s5, 0
	.p2align	6
.LBB123_237:                            ; =>This Inner Loop Header: Depth=1
	s_clause 0x1
	buffer_load_dword v11, v7, s[0:3], 0 offen offset:4
	buffer_load_dword v12, v7, s[0:3], 0 offen
	ds_read_b64 v[9:10], v6
	v_add_nc_u32_e32 v5, 1, v5
	v_add_nc_u32_e32 v6, 8, v6
	;; [unrolled: 1-line block ×3, first 2 shown]
	v_cmp_lt_u32_e32 vcc_lo, 54, v5
	s_or_b32 s5, vcc_lo, s5
	s_waitcnt vmcnt(1) lgkmcnt(0)
	v_mul_f32_e32 v133, v10, v11
	v_mul_f32_e32 v11, v9, v11
	s_waitcnt vmcnt(0)
	v_fma_f32 v9, v9, v12, -v133
	v_fmac_f32_e32 v11, v10, v12
	v_add_f32_e32 v8, v8, v9
	v_add_f32_e32 v2, v2, v11
	s_andn2_b32 exec_lo, exec_lo, s5
	s_cbranch_execnz .LBB123_237
; %bb.238:
	s_or_b32 exec_lo, exec_lo, s5
	v_mov_b32_e32 v5, 0
	ds_read_b64 v[5:6], v5 offset:448
	s_waitcnt lgkmcnt(0)
	v_mul_f32_e32 v7, v2, v6
	v_mul_f32_e32 v6, v8, v6
	v_fma_f32 v7, v8, v5, -v7
	v_fmac_f32_e32 v6, v2, v5
	buffer_store_dword v7, off, s[0:3], 0 offset:448
	buffer_store_dword v6, off, s[0:3], 0 offset:452
.LBB123_239:
	s_or_b32 exec_lo, exec_lo, s4
	s_waitcnt_vscnt null, 0x0
	s_barrier
	buffer_gl0_inv
	s_clause 0x1
	buffer_load_dword v5, off, s[0:3], 0 offset:456
	buffer_load_dword v6, off, s[0:3], 0 offset:460
	s_mov_b32 s4, exec_lo
	s_waitcnt vmcnt(0)
	ds_write_b64 v4, v[5:6]
	s_waitcnt lgkmcnt(0)
	s_barrier
	buffer_gl0_inv
	v_cmpx_gt_u32_e32 57, v0
	s_cbranch_execz .LBB123_243
; %bb.240:
	v_add_nc_u32_e32 v5, -1, v0
	v_add_nc_u32_e32 v6, 0x1e0, v3
	v_mov_b32_e32 v7, v3
	v_mov_b32_e32 v2, 0
	;; [unrolled: 1-line block ×3, first 2 shown]
	s_mov_b32 s5, 0
	.p2align	6
.LBB123_241:                            ; =>This Inner Loop Header: Depth=1
	s_clause 0x1
	buffer_load_dword v11, v7, s[0:3], 0 offen offset:4
	buffer_load_dword v12, v7, s[0:3], 0 offen
	ds_read_b64 v[9:10], v6
	v_add_nc_u32_e32 v5, 1, v5
	v_add_nc_u32_e32 v6, 8, v6
	;; [unrolled: 1-line block ×3, first 2 shown]
	v_cmp_lt_u32_e32 vcc_lo, 55, v5
	s_or_b32 s5, vcc_lo, s5
	s_waitcnt vmcnt(1) lgkmcnt(0)
	v_mul_f32_e32 v133, v10, v11
	v_mul_f32_e32 v11, v9, v11
	s_waitcnt vmcnt(0)
	v_fma_f32 v9, v9, v12, -v133
	v_fmac_f32_e32 v11, v10, v12
	v_add_f32_e32 v8, v8, v9
	v_add_f32_e32 v2, v2, v11
	s_andn2_b32 exec_lo, exec_lo, s5
	s_cbranch_execnz .LBB123_241
; %bb.242:
	s_or_b32 exec_lo, exec_lo, s5
	v_mov_b32_e32 v5, 0
	ds_read_b64 v[5:6], v5 offset:456
	s_waitcnt lgkmcnt(0)
	v_mul_f32_e32 v7, v2, v6
	v_mul_f32_e32 v6, v8, v6
	v_fma_f32 v7, v8, v5, -v7
	v_fmac_f32_e32 v6, v2, v5
	buffer_store_dword v7, off, s[0:3], 0 offset:456
	buffer_store_dword v6, off, s[0:3], 0 offset:460
.LBB123_243:
	s_or_b32 exec_lo, exec_lo, s4
	s_waitcnt_vscnt null, 0x0
	s_barrier
	buffer_gl0_inv
	s_clause 0x1
	buffer_load_dword v5, off, s[0:3], 0 offset:464
	buffer_load_dword v6, off, s[0:3], 0 offset:468
	s_mov_b32 s4, exec_lo
	s_waitcnt vmcnt(0)
	ds_write_b64 v4, v[5:6]
	s_waitcnt lgkmcnt(0)
	s_barrier
	buffer_gl0_inv
	v_cmpx_gt_u32_e32 58, v0
	s_cbranch_execz .LBB123_247
; %bb.244:
	v_add_nc_u32_e32 v5, -1, v0
	v_add_nc_u32_e32 v6, 0x1e0, v3
	v_mov_b32_e32 v7, v3
	v_mov_b32_e32 v2, 0
	;; [unrolled: 1-line block ×3, first 2 shown]
	s_mov_b32 s5, 0
	.p2align	6
.LBB123_245:                            ; =>This Inner Loop Header: Depth=1
	s_clause 0x1
	buffer_load_dword v11, v7, s[0:3], 0 offen offset:4
	buffer_load_dword v12, v7, s[0:3], 0 offen
	ds_read_b64 v[9:10], v6
	v_add_nc_u32_e32 v5, 1, v5
	v_add_nc_u32_e32 v6, 8, v6
	;; [unrolled: 1-line block ×3, first 2 shown]
	v_cmp_lt_u32_e32 vcc_lo, 56, v5
	s_or_b32 s5, vcc_lo, s5
	s_waitcnt vmcnt(1) lgkmcnt(0)
	v_mul_f32_e32 v133, v10, v11
	v_mul_f32_e32 v11, v9, v11
	s_waitcnt vmcnt(0)
	v_fma_f32 v9, v9, v12, -v133
	v_fmac_f32_e32 v11, v10, v12
	v_add_f32_e32 v8, v8, v9
	v_add_f32_e32 v2, v2, v11
	s_andn2_b32 exec_lo, exec_lo, s5
	s_cbranch_execnz .LBB123_245
; %bb.246:
	s_or_b32 exec_lo, exec_lo, s5
	v_mov_b32_e32 v5, 0
	ds_read_b64 v[5:6], v5 offset:464
	s_waitcnt lgkmcnt(0)
	v_mul_f32_e32 v7, v2, v6
	v_mul_f32_e32 v6, v8, v6
	v_fma_f32 v7, v8, v5, -v7
	v_fmac_f32_e32 v6, v2, v5
	buffer_store_dword v7, off, s[0:3], 0 offset:464
	buffer_store_dword v6, off, s[0:3], 0 offset:468
.LBB123_247:
	s_or_b32 exec_lo, exec_lo, s4
	s_waitcnt_vscnt null, 0x0
	s_barrier
	buffer_gl0_inv
	s_clause 0x1
	buffer_load_dword v5, off, s[0:3], 0 offset:472
	buffer_load_dword v6, off, s[0:3], 0 offset:476
	s_mov_b32 s4, exec_lo
	s_waitcnt vmcnt(0)
	ds_write_b64 v4, v[5:6]
	s_waitcnt lgkmcnt(0)
	s_barrier
	buffer_gl0_inv
	v_cmpx_ne_u32_e32 59, v0
	s_cbranch_execz .LBB123_251
; %bb.248:
	v_mov_b32_e32 v2, 0
	v_mov_b32_e32 v5, 0
	s_mov_b32 s5, 0
	.p2align	6
.LBB123_249:                            ; =>This Inner Loop Header: Depth=1
	s_clause 0x1
	buffer_load_dword v8, v3, s[0:3], 0 offen offset:4
	buffer_load_dword v9, v3, s[0:3], 0 offen
	ds_read_b64 v[6:7], v4
	v_add_nc_u32_e32 v1, 1, v1
	v_add_nc_u32_e32 v4, 8, v4
	;; [unrolled: 1-line block ×3, first 2 shown]
	v_cmp_lt_u32_e32 vcc_lo, 57, v1
	s_or_b32 s5, vcc_lo, s5
	s_waitcnt vmcnt(1) lgkmcnt(0)
	v_mul_f32_e32 v10, v7, v8
	v_mul_f32_e32 v8, v6, v8
	s_waitcnt vmcnt(0)
	v_fma_f32 v6, v6, v9, -v10
	v_fmac_f32_e32 v8, v7, v9
	v_add_f32_e32 v5, v5, v6
	v_add_f32_e32 v2, v2, v8
	s_andn2_b32 exec_lo, exec_lo, s5
	s_cbranch_execnz .LBB123_249
; %bb.250:
	s_or_b32 exec_lo, exec_lo, s5
	v_mov_b32_e32 v1, 0
	ds_read_b64 v[3:4], v1 offset:472
	s_waitcnt lgkmcnt(0)
	v_mul_f32_e32 v1, v2, v4
	v_mul_f32_e32 v4, v5, v4
	v_fma_f32 v1, v5, v3, -v1
	v_fmac_f32_e32 v4, v2, v3
	buffer_store_dword v1, off, s[0:3], 0 offset:472
	buffer_store_dword v4, off, s[0:3], 0 offset:476
.LBB123_251:
	s_or_b32 exec_lo, exec_lo, s4
	s_mov_b32 s5, -1
	s_waitcnt_vscnt null, 0x0
	s_barrier
	buffer_gl0_inv
.LBB123_252:
	s_and_b32 vcc_lo, exec_lo, s5
	s_cbranch_vccz .LBB123_254
; %bb.253:
	s_lshl_b64 s[4:5], s[6:7], 2
	v_mov_b32_e32 v1, 0
	s_add_u32 s4, s10, s4
	s_addc_u32 s5, s11, s5
	global_load_dword v1, v1, s[4:5]
	s_waitcnt vmcnt(0)
	v_cmp_ne_u32_e32 vcc_lo, 0, v1
	s_cbranch_vccz .LBB123_255
.LBB123_254:
	s_endpgm
.LBB123_255:
	v_lshl_add_u32 v133, v0, 3, 0x1e0
	s_mov_b32 s4, exec_lo
	v_cmpx_eq_u32_e32 59, v0
	s_cbranch_execz .LBB123_257
; %bb.256:
	s_clause 0x1
	buffer_load_dword v1, off, s[0:3], 0 offset:464
	buffer_load_dword v2, off, s[0:3], 0 offset:468
	v_mov_b32_e32 v3, 0
	buffer_store_dword v3, off, s[0:3], 0 offset:464
	buffer_store_dword v3, off, s[0:3], 0 offset:468
	s_waitcnt vmcnt(0)
	ds_write_b64 v133, v[1:2]
.LBB123_257:
	s_or_b32 exec_lo, exec_lo, s4
	s_waitcnt lgkmcnt(0)
	s_waitcnt_vscnt null, 0x0
	s_barrier
	buffer_gl0_inv
	s_clause 0x3
	buffer_load_dword v4, off, s[0:3], 0 offset:476
	buffer_load_dword v5, off, s[0:3], 0 offset:472
	;; [unrolled: 1-line block ×4, first 2 shown]
	v_mov_b32_e32 v1, 0
	s_mov_b32 s4, exec_lo
	ds_read_b64 v[2:3], v1 offset:952
	s_waitcnt vmcnt(3) lgkmcnt(0)
	v_mul_f32_e32 v8, v3, v4
	v_mul_f32_e32 v4, v2, v4
	s_waitcnt vmcnt(2)
	v_fma_f32 v2, v2, v5, -v8
	v_fmac_f32_e32 v4, v3, v5
	v_add_f32_e32 v2, 0, v2
	v_add_f32_e32 v3, 0, v4
	s_waitcnt vmcnt(1)
	v_sub_f32_e32 v2, v6, v2
	s_waitcnt vmcnt(0)
	v_sub_f32_e32 v3, v7, v3
	buffer_store_dword v2, off, s[0:3], 0 offset:464
	buffer_store_dword v3, off, s[0:3], 0 offset:468
	v_cmpx_lt_u32_e32 57, v0
	s_cbranch_execz .LBB123_259
; %bb.258:
	s_clause 0x1
	buffer_load_dword v2, off, s[0:3], 0 offset:456
	buffer_load_dword v3, off, s[0:3], 0 offset:460
	buffer_store_dword v1, off, s[0:3], 0 offset:456
	buffer_store_dword v1, off, s[0:3], 0 offset:460
	s_waitcnt vmcnt(0)
	ds_write_b64 v133, v[2:3]
.LBB123_259:
	s_or_b32 exec_lo, exec_lo, s4
	s_waitcnt lgkmcnt(0)
	s_waitcnt_vscnt null, 0x0
	s_barrier
	buffer_gl0_inv
	s_clause 0x5
	buffer_load_dword v5, off, s[0:3], 0 offset:468
	buffer_load_dword v6, off, s[0:3], 0 offset:476
	;; [unrolled: 1-line block ×6, first 2 shown]
	ds_read_b128 v[1:4], v1 offset:944
	s_mov_b32 s4, exec_lo
	s_waitcnt vmcnt(5) lgkmcnt(0)
	v_mul_f32_e32 v11, v2, v5
	v_mul_f32_e32 v5, v1, v5
	s_waitcnt vmcnt(4)
	v_mul_f32_e32 v12, v3, v6
	v_mul_f32_e32 v6, v4, v6
	s_waitcnt vmcnt(3)
	v_fma_f32 v1, v1, v7, -v11
	v_fmac_f32_e32 v5, v2, v7
	s_waitcnt vmcnt(2)
	v_fmac_f32_e32 v12, v4, v8
	v_fma_f32 v2, v3, v8, -v6
	v_add_f32_e32 v1, 0, v1
	v_add_f32_e32 v3, 0, v5
	;; [unrolled: 1-line block ×4, first 2 shown]
	s_waitcnt vmcnt(1)
	v_sub_f32_e32 v1, v9, v1
	s_waitcnt vmcnt(0)
	v_sub_f32_e32 v2, v10, v2
	buffer_store_dword v1, off, s[0:3], 0 offset:456
	buffer_store_dword v2, off, s[0:3], 0 offset:460
	v_cmpx_lt_u32_e32 56, v0
	s_cbranch_execz .LBB123_261
; %bb.260:
	s_clause 0x1
	buffer_load_dword v1, off, s[0:3], 0 offset:448
	buffer_load_dword v2, off, s[0:3], 0 offset:452
	v_mov_b32_e32 v3, 0
	buffer_store_dword v3, off, s[0:3], 0 offset:448
	buffer_store_dword v3, off, s[0:3], 0 offset:452
	s_waitcnt vmcnt(0)
	ds_write_b64 v133, v[1:2]
.LBB123_261:
	s_or_b32 exec_lo, exec_lo, s4
	s_waitcnt lgkmcnt(0)
	s_waitcnt_vscnt null, 0x0
	s_barrier
	buffer_gl0_inv
	s_clause 0x7
	buffer_load_dword v8, off, s[0:3], 0 offset:460
	buffer_load_dword v9, off, s[0:3], 0 offset:468
	;; [unrolled: 1-line block ×8, first 2 shown]
	v_mov_b32_e32 v1, 0
	ds_read2_b64 v[2:5], v1 offset0:117 offset1:118
	ds_read_b64 v[6:7], v1 offset:952
	s_mov_b32 s4, exec_lo
	s_waitcnt vmcnt(7) lgkmcnt(1)
	v_mul_f32_e32 v137, v3, v8
	v_mul_f32_e32 v8, v2, v8
	s_waitcnt vmcnt(6)
	v_mul_f32_e32 v138, v4, v9
	v_mul_f32_e32 v9, v5, v9
	s_waitcnt vmcnt(5) lgkmcnt(0)
	v_mul_f32_e32 v139, v6, v10
	s_waitcnt vmcnt(4)
	v_fma_f32 v2, v2, v11, -v137
	v_fmac_f32_e32 v8, v3, v11
	v_mul_f32_e32 v3, v7, v10
	s_waitcnt vmcnt(3)
	v_fma_f32 v4, v4, v12, -v9
	v_fmac_f32_e32 v138, v5, v12
	v_add_f32_e32 v2, 0, v2
	v_add_f32_e32 v5, 0, v8
	s_waitcnt vmcnt(2)
	v_fma_f32 v3, v6, v134, -v3
	v_fmac_f32_e32 v139, v7, v134
	v_add_f32_e32 v2, v2, v4
	v_add_f32_e32 v4, v5, v138
	;; [unrolled: 1-line block ×4, first 2 shown]
	s_waitcnt vmcnt(1)
	v_sub_f32_e32 v2, v135, v2
	s_waitcnt vmcnt(0)
	v_sub_f32_e32 v3, v136, v3
	buffer_store_dword v2, off, s[0:3], 0 offset:448
	buffer_store_dword v3, off, s[0:3], 0 offset:452
	v_cmpx_lt_u32_e32 55, v0
	s_cbranch_execz .LBB123_263
; %bb.262:
	s_clause 0x1
	buffer_load_dword v2, off, s[0:3], 0 offset:440
	buffer_load_dword v3, off, s[0:3], 0 offset:444
	buffer_store_dword v1, off, s[0:3], 0 offset:440
	buffer_store_dword v1, off, s[0:3], 0 offset:444
	s_waitcnt vmcnt(0)
	ds_write_b64 v133, v[2:3]
.LBB123_263:
	s_or_b32 exec_lo, exec_lo, s4
	s_waitcnt lgkmcnt(0)
	s_waitcnt_vscnt null, 0x0
	s_barrier
	buffer_gl0_inv
	s_clause 0x9
	buffer_load_dword v10, off, s[0:3], 0 offset:452
	buffer_load_dword v11, off, s[0:3], 0 offset:460
	buffer_load_dword v12, off, s[0:3], 0 offset:468
	buffer_load_dword v134, off, s[0:3], 0 offset:476
	buffer_load_dword v135, off, s[0:3], 0 offset:448
	buffer_load_dword v136, off, s[0:3], 0 offset:456
	buffer_load_dword v137, off, s[0:3], 0 offset:464
	buffer_load_dword v138, off, s[0:3], 0 offset:472
	buffer_load_dword v139, off, s[0:3], 0 offset:440
	buffer_load_dword v140, off, s[0:3], 0 offset:444
	ds_read_b128 v[2:5], v1 offset:928
	ds_read_b128 v[6:9], v1 offset:944
	s_mov_b32 s4, exec_lo
	s_waitcnt vmcnt(9) lgkmcnt(1)
	v_mul_f32_e32 v1, v2, v10
	v_mul_f32_e32 v10, v3, v10
	s_waitcnt vmcnt(8)
	v_mul_f32_e32 v141, v4, v11
	v_mul_f32_e32 v11, v5, v11
	s_waitcnt vmcnt(7) lgkmcnt(0)
	v_mul_f32_e32 v142, v6, v12
	s_waitcnt vmcnt(5)
	v_fmac_f32_e32 v1, v3, v135
	v_fma_f32 v2, v2, v135, -v10
	v_mul_f32_e32 v3, v7, v12
	s_waitcnt vmcnt(4)
	v_fma_f32 v4, v4, v136, -v11
	v_fmac_f32_e32 v141, v5, v136
	v_add_f32_e32 v1, 0, v1
	v_add_f32_e32 v2, 0, v2
	v_mul_f32_e32 v5, v9, v134
	s_waitcnt vmcnt(3)
	v_fma_f32 v3, v6, v137, -v3
	v_mul_f32_e32 v143, v8, v134
	v_fmac_f32_e32 v142, v7, v137
	v_add_f32_e32 v2, v2, v4
	v_add_f32_e32 v1, v1, v141
	s_waitcnt vmcnt(2)
	v_fma_f32 v4, v8, v138, -v5
	v_fmac_f32_e32 v143, v9, v138
	v_add_f32_e32 v2, v2, v3
	v_add_f32_e32 v1, v1, v142
	;; [unrolled: 1-line block ×4, first 2 shown]
	s_waitcnt vmcnt(1)
	v_sub_f32_e32 v2, v139, v2
	s_waitcnt vmcnt(0)
	v_sub_f32_e32 v1, v140, v1
	buffer_store_dword v2, off, s[0:3], 0 offset:440
	buffer_store_dword v1, off, s[0:3], 0 offset:444
	v_cmpx_lt_u32_e32 54, v0
	s_cbranch_execz .LBB123_265
; %bb.264:
	s_clause 0x1
	buffer_load_dword v1, off, s[0:3], 0 offset:432
	buffer_load_dword v2, off, s[0:3], 0 offset:436
	v_mov_b32_e32 v3, 0
	buffer_store_dword v3, off, s[0:3], 0 offset:432
	buffer_store_dword v3, off, s[0:3], 0 offset:436
	s_waitcnt vmcnt(0)
	ds_write_b64 v133, v[1:2]
.LBB123_265:
	s_or_b32 exec_lo, exec_lo, s4
	s_waitcnt lgkmcnt(0)
	s_waitcnt_vscnt null, 0x0
	s_barrier
	buffer_gl0_inv
	s_clause 0xb
	buffer_load_dword v12, off, s[0:3], 0 offset:444
	buffer_load_dword v134, off, s[0:3], 0 offset:452
	;; [unrolled: 1-line block ×12, first 2 shown]
	v_mov_b32_e32 v1, 0
	ds_read2_b64 v[2:5], v1 offset0:115 offset1:116
	ds_read2_b64 v[6:9], v1 offset0:117 offset1:118
	ds_read_b64 v[10:11], v1 offset:952
	s_mov_b32 s4, exec_lo
	s_waitcnt vmcnt(11) lgkmcnt(2)
	v_mul_f32_e32 v145, v2, v12
	v_mul_f32_e32 v12, v3, v12
	s_waitcnt vmcnt(10)
	v_mul_f32_e32 v146, v4, v134
	v_mul_f32_e32 v134, v5, v134
	s_waitcnt vmcnt(9) lgkmcnt(1)
	v_mul_f32_e32 v147, v6, v135
	s_waitcnt vmcnt(6)
	v_fmac_f32_e32 v145, v3, v138
	v_fma_f32 v2, v2, v138, -v12
	v_mul_f32_e32 v3, v7, v135
	s_waitcnt vmcnt(5)
	v_fma_f32 v4, v4, v139, -v134
	v_fmac_f32_e32 v146, v5, v139
	v_add_f32_e32 v5, 0, v145
	v_add_f32_e32 v2, 0, v2
	v_mul_f32_e32 v12, v9, v136
	s_waitcnt vmcnt(4)
	v_fma_f32 v3, v6, v140, -v3
	v_mul_f32_e32 v148, v8, v136
	v_fmac_f32_e32 v147, v7, v140
	v_add_f32_e32 v2, v2, v4
	v_add_f32_e32 v4, v5, v146
	s_waitcnt lgkmcnt(0)
	v_mul_f32_e32 v5, v11, v137
	s_waitcnt vmcnt(3)
	v_fma_f32 v6, v8, v141, -v12
	v_mul_f32_e32 v149, v10, v137
	v_add_f32_e32 v2, v2, v3
	v_fmac_f32_e32 v148, v9, v141
	v_add_f32_e32 v3, v4, v147
	s_waitcnt vmcnt(2)
	v_fma_f32 v4, v10, v142, -v5
	v_fmac_f32_e32 v149, v11, v142
	v_add_f32_e32 v2, v2, v6
	v_add_f32_e32 v3, v3, v148
	;; [unrolled: 1-line block ×4, first 2 shown]
	s_waitcnt vmcnt(1)
	v_sub_f32_e32 v2, v143, v2
	s_waitcnt vmcnt(0)
	v_sub_f32_e32 v3, v144, v3
	buffer_store_dword v2, off, s[0:3], 0 offset:432
	buffer_store_dword v3, off, s[0:3], 0 offset:436
	v_cmpx_lt_u32_e32 53, v0
	s_cbranch_execz .LBB123_267
; %bb.266:
	s_clause 0x1
	buffer_load_dword v2, off, s[0:3], 0 offset:424
	buffer_load_dword v3, off, s[0:3], 0 offset:428
	buffer_store_dword v1, off, s[0:3], 0 offset:424
	buffer_store_dword v1, off, s[0:3], 0 offset:428
	s_waitcnt vmcnt(0)
	ds_write_b64 v133, v[2:3]
.LBB123_267:
	s_or_b32 exec_lo, exec_lo, s4
	s_waitcnt lgkmcnt(0)
	s_waitcnt_vscnt null, 0x0
	s_barrier
	buffer_gl0_inv
	s_clause 0xd
	buffer_load_dword v10, off, s[0:3], 0 offset:436
	buffer_load_dword v11, off, s[0:3], 0 offset:444
	buffer_load_dword v12, off, s[0:3], 0 offset:452
	buffer_load_dword v138, off, s[0:3], 0 offset:460
	buffer_load_dword v139, off, s[0:3], 0 offset:468
	buffer_load_dword v140, off, s[0:3], 0 offset:476
	buffer_load_dword v141, off, s[0:3], 0 offset:432
	buffer_load_dword v142, off, s[0:3], 0 offset:440
	buffer_load_dword v143, off, s[0:3], 0 offset:448
	buffer_load_dword v144, off, s[0:3], 0 offset:456
	buffer_load_dword v145, off, s[0:3], 0 offset:464
	buffer_load_dword v146, off, s[0:3], 0 offset:472
	buffer_load_dword v147, off, s[0:3], 0 offset:424
	buffer_load_dword v148, off, s[0:3], 0 offset:428
	ds_read_b128 v[2:5], v1 offset:912
	ds_read_b128 v[6:9], v1 offset:928
	;; [unrolled: 1-line block ×3, first 2 shown]
	s_mov_b32 s4, exec_lo
	s_waitcnt vmcnt(13) lgkmcnt(2)
	v_mul_f32_e32 v1, v2, v10
	v_mul_f32_e32 v10, v3, v10
	s_waitcnt vmcnt(12)
	v_mul_f32_e32 v149, v4, v11
	v_mul_f32_e32 v11, v5, v11
	s_waitcnt vmcnt(11) lgkmcnt(1)
	v_mul_f32_e32 v150, v6, v12
	s_waitcnt vmcnt(10)
	v_mul_f32_e32 v151, v8, v138
	s_waitcnt vmcnt(7)
	v_fma_f32 v2, v2, v141, -v10
	v_fmac_f32_e32 v1, v3, v141
	v_mul_f32_e32 v3, v7, v12
	s_waitcnt vmcnt(6)
	v_fma_f32 v4, v4, v142, -v11
	v_fmac_f32_e32 v149, v5, v142
	v_add_f32_e32 v2, 0, v2
	v_add_f32_e32 v1, 0, v1
	v_mul_f32_e32 v5, v9, v138
	s_waitcnt vmcnt(5)
	v_fma_f32 v3, v6, v143, -v3
	v_fmac_f32_e32 v150, v7, v143
	v_add_f32_e32 v2, v2, v4
	v_add_f32_e32 v1, v1, v149
	s_waitcnt lgkmcnt(0)
	v_mul_f32_e32 v4, v135, v139
	s_waitcnt vmcnt(4)
	v_fma_f32 v5, v8, v144, -v5
	v_mul_f32_e32 v152, v134, v139
	v_add_f32_e32 v2, v2, v3
	v_fmac_f32_e32 v151, v9, v144
	v_add_f32_e32 v1, v1, v150
	v_mul_f32_e32 v3, v137, v140
	s_waitcnt vmcnt(3)
	v_fma_f32 v4, v134, v145, -v4
	v_add_f32_e32 v2, v2, v5
	v_mul_f32_e32 v153, v136, v140
	v_fmac_f32_e32 v152, v135, v145
	v_add_f32_e32 v1, v1, v151
	s_waitcnt vmcnt(2)
	v_fma_f32 v3, v136, v146, -v3
	v_add_f32_e32 v2, v2, v4
	v_fmac_f32_e32 v153, v137, v146
	v_add_f32_e32 v1, v1, v152
	v_add_f32_e32 v2, v2, v3
	;; [unrolled: 1-line block ×3, first 2 shown]
	s_waitcnt vmcnt(1)
	v_sub_f32_e32 v2, v147, v2
	s_waitcnt vmcnt(0)
	v_sub_f32_e32 v1, v148, v1
	buffer_store_dword v2, off, s[0:3], 0 offset:424
	buffer_store_dword v1, off, s[0:3], 0 offset:428
	v_cmpx_lt_u32_e32 52, v0
	s_cbranch_execz .LBB123_269
; %bb.268:
	s_clause 0x1
	buffer_load_dword v1, off, s[0:3], 0 offset:416
	buffer_load_dword v2, off, s[0:3], 0 offset:420
	v_mov_b32_e32 v3, 0
	buffer_store_dword v3, off, s[0:3], 0 offset:416
	buffer_store_dword v3, off, s[0:3], 0 offset:420
	s_waitcnt vmcnt(0)
	ds_write_b64 v133, v[1:2]
.LBB123_269:
	s_or_b32 exec_lo, exec_lo, s4
	s_waitcnt lgkmcnt(0)
	s_waitcnt_vscnt null, 0x0
	s_barrier
	buffer_gl0_inv
	s_clause 0xf
	buffer_load_dword v12, off, s[0:3], 0 offset:428
	buffer_load_dword v138, off, s[0:3], 0 offset:436
	;; [unrolled: 1-line block ×16, first 2 shown]
	v_mov_b32_e32 v1, 0
	ds_read2_b64 v[2:5], v1 offset0:113 offset1:114
	ds_read2_b64 v[6:9], v1 offset0:115 offset1:116
	;; [unrolled: 1-line block ×3, first 2 shown]
	ds_read_b64 v[10:11], v1 offset:952
	s_mov_b32 s4, exec_lo
	s_waitcnt vmcnt(15) lgkmcnt(3)
	v_mul_f32_e32 v153, v2, v12
	v_mul_f32_e32 v12, v3, v12
	s_waitcnt vmcnt(14)
	v_mul_f32_e32 v154, v4, v138
	v_mul_f32_e32 v138, v5, v138
	s_waitcnt vmcnt(13) lgkmcnt(2)
	v_mul_f32_e32 v155, v6, v139
	s_waitcnt vmcnt(12)
	v_mul_f32_e32 v156, v8, v140
	s_waitcnt vmcnt(11) lgkmcnt(1)
	v_mul_f32_e32 v157, v134, v141
	s_waitcnt vmcnt(8)
	v_fma_f32 v2, v2, v144, -v12
	v_fmac_f32_e32 v153, v3, v144
	v_mul_f32_e32 v3, v7, v139
	s_waitcnt vmcnt(7)
	v_fma_f32 v4, v4, v145, -v138
	v_fmac_f32_e32 v154, v5, v145
	v_add_f32_e32 v2, 0, v2
	v_add_f32_e32 v5, 0, v153
	v_mul_f32_e32 v12, v9, v140
	s_waitcnt vmcnt(6)
	v_fma_f32 v3, v6, v146, -v3
	v_fmac_f32_e32 v155, v7, v146
	v_add_f32_e32 v2, v2, v4
	v_add_f32_e32 v4, v5, v154
	;; [unrolled: 6-line block ×3, first 2 shown]
	v_mul_f32_e32 v4, v137, v142
	s_waitcnt vmcnt(4)
	v_fma_f32 v5, v134, v148, -v5
	v_mul_f32_e32 v158, v136, v142
	v_add_f32_e32 v2, v2, v6
	v_fmac_f32_e32 v157, v135, v148
	v_add_f32_e32 v3, v3, v156
	s_waitcnt lgkmcnt(0)
	v_mul_f32_e32 v6, v11, v143
	s_waitcnt vmcnt(3)
	v_fma_f32 v4, v136, v149, -v4
	v_add_f32_e32 v2, v2, v5
	v_mul_f32_e32 v159, v10, v143
	v_fmac_f32_e32 v158, v137, v149
	v_add_f32_e32 v3, v3, v157
	s_waitcnt vmcnt(2)
	v_fma_f32 v5, v10, v150, -v6
	v_add_f32_e32 v2, v2, v4
	v_fmac_f32_e32 v159, v11, v150
	v_add_f32_e32 v3, v3, v158
	v_add_f32_e32 v2, v2, v5
	;; [unrolled: 1-line block ×3, first 2 shown]
	s_waitcnt vmcnt(1)
	v_sub_f32_e32 v2, v151, v2
	s_waitcnt vmcnt(0)
	v_sub_f32_e32 v3, v152, v3
	buffer_store_dword v2, off, s[0:3], 0 offset:416
	buffer_store_dword v3, off, s[0:3], 0 offset:420
	v_cmpx_lt_u32_e32 51, v0
	s_cbranch_execz .LBB123_271
; %bb.270:
	s_clause 0x1
	buffer_load_dword v2, off, s[0:3], 0 offset:408
	buffer_load_dword v3, off, s[0:3], 0 offset:412
	buffer_store_dword v1, off, s[0:3], 0 offset:408
	buffer_store_dword v1, off, s[0:3], 0 offset:412
	s_waitcnt vmcnt(0)
	ds_write_b64 v133, v[2:3]
.LBB123_271:
	s_or_b32 exec_lo, exec_lo, s4
	s_waitcnt lgkmcnt(0)
	s_waitcnt_vscnt null, 0x0
	s_barrier
	buffer_gl0_inv
	s_clause 0x11
	buffer_load_dword v10, off, s[0:3], 0 offset:420
	buffer_load_dword v11, off, s[0:3], 0 offset:428
	;; [unrolled: 1-line block ×18, first 2 shown]
	ds_read_b128 v[2:5], v1 offset:896
	ds_read_b128 v[6:9], v1 offset:912
	;; [unrolled: 1-line block ×4, first 2 shown]
	s_mov_b32 s4, exec_lo
	s_waitcnt vmcnt(17) lgkmcnt(3)
	v_mul_f32_e32 v1, v2, v10
	v_mul_f32_e32 v10, v3, v10
	s_waitcnt vmcnt(16)
	v_mul_f32_e32 v157, v4, v11
	v_mul_f32_e32 v11, v5, v11
	s_waitcnt vmcnt(15) lgkmcnt(2)
	v_mul_f32_e32 v158, v6, v12
	s_waitcnt vmcnt(14)
	v_mul_f32_e32 v159, v8, v142
	s_waitcnt vmcnt(13) lgkmcnt(1)
	v_mul_f32_e32 v160, v134, v143
	s_waitcnt vmcnt(12)
	v_mul_f32_e32 v161, v136, v144
	s_waitcnt vmcnt(9)
	v_fma_f32 v2, v2, v147, -v10
	v_fmac_f32_e32 v1, v3, v147
	v_mul_f32_e32 v3, v7, v12
	s_waitcnt vmcnt(8)
	v_fma_f32 v4, v4, v148, -v11
	v_fmac_f32_e32 v157, v5, v148
	v_add_f32_e32 v2, 0, v2
	v_add_f32_e32 v1, 0, v1
	v_mul_f32_e32 v5, v9, v142
	s_waitcnt vmcnt(7)
	v_fma_f32 v3, v6, v149, -v3
	v_fmac_f32_e32 v158, v7, v149
	v_add_f32_e32 v2, v2, v4
	v_add_f32_e32 v1, v1, v157
	;; [unrolled: 6-line block ×4, first 2 shown]
	s_waitcnt lgkmcnt(0)
	v_mul_f32_e32 v5, v139, v145
	s_waitcnt vmcnt(4)
	v_fma_f32 v3, v136, v152, -v3
	v_mul_f32_e32 v162, v138, v145
	v_add_f32_e32 v2, v2, v4
	v_fmac_f32_e32 v161, v137, v152
	v_add_f32_e32 v1, v1, v160
	v_mul_f32_e32 v4, v141, v146
	s_waitcnt vmcnt(3)
	v_fma_f32 v5, v138, v153, -v5
	v_add_f32_e32 v2, v2, v3
	v_mul_f32_e32 v163, v140, v146
	v_fmac_f32_e32 v162, v139, v153
	v_add_f32_e32 v1, v1, v161
	s_waitcnt vmcnt(2)
	v_fma_f32 v3, v140, v154, -v4
	v_add_f32_e32 v2, v2, v5
	v_fmac_f32_e32 v163, v141, v154
	v_add_f32_e32 v1, v1, v162
	v_add_f32_e32 v2, v2, v3
	;; [unrolled: 1-line block ×3, first 2 shown]
	s_waitcnt vmcnt(1)
	v_sub_f32_e32 v2, v155, v2
	s_waitcnt vmcnt(0)
	v_sub_f32_e32 v1, v156, v1
	buffer_store_dword v2, off, s[0:3], 0 offset:408
	buffer_store_dword v1, off, s[0:3], 0 offset:412
	v_cmpx_lt_u32_e32 50, v0
	s_cbranch_execz .LBB123_273
; %bb.272:
	s_clause 0x1
	buffer_load_dword v1, off, s[0:3], 0 offset:400
	buffer_load_dword v2, off, s[0:3], 0 offset:404
	v_mov_b32_e32 v3, 0
	buffer_store_dword v3, off, s[0:3], 0 offset:400
	buffer_store_dword v3, off, s[0:3], 0 offset:404
	s_waitcnt vmcnt(0)
	ds_write_b64 v133, v[1:2]
.LBB123_273:
	s_or_b32 exec_lo, exec_lo, s4
	s_waitcnt lgkmcnt(0)
	s_waitcnt_vscnt null, 0x0
	s_barrier
	buffer_gl0_inv
	s_clause 0x13
	buffer_load_dword v12, off, s[0:3], 0 offset:412
	buffer_load_dword v142, off, s[0:3], 0 offset:420
	;; [unrolled: 1-line block ×20, first 2 shown]
	v_mov_b32_e32 v1, 0
	ds_read2_b64 v[2:5], v1 offset0:111 offset1:112
	ds_read2_b64 v[6:9], v1 offset0:113 offset1:114
	;; [unrolled: 1-line block ×4, first 2 shown]
	ds_read_b64 v[10:11], v1 offset:952
	s_mov_b32 s4, exec_lo
	s_waitcnt vmcnt(19) lgkmcnt(4)
	v_mul_f32_e32 v161, v2, v12
	v_mul_f32_e32 v12, v3, v12
	s_waitcnt vmcnt(18)
	v_mul_f32_e32 v162, v4, v142
	v_mul_f32_e32 v142, v5, v142
	s_waitcnt vmcnt(17) lgkmcnt(3)
	v_mul_f32_e32 v163, v6, v143
	s_waitcnt vmcnt(16)
	v_mul_f32_e32 v164, v8, v144
	s_waitcnt vmcnt(15) lgkmcnt(2)
	v_mul_f32_e32 v165, v134, v145
	s_waitcnt vmcnt(14)
	;; [unrolled: 4-line block ×3, first 2 shown]
	v_fma_f32 v2, v2, v150, -v12
	v_fmac_f32_e32 v161, v3, v150
	v_mul_f32_e32 v3, v7, v143
	s_waitcnt vmcnt(9)
	v_fma_f32 v4, v4, v151, -v142
	v_fmac_f32_e32 v162, v5, v151
	v_add_f32_e32 v2, 0, v2
	v_add_f32_e32 v5, 0, v161
	v_mul_f32_e32 v12, v9, v144
	s_waitcnt vmcnt(8)
	v_fma_f32 v3, v6, v152, -v3
	v_fmac_f32_e32 v163, v7, v152
	v_add_f32_e32 v2, v2, v4
	v_add_f32_e32 v4, v5, v162
	;; [unrolled: 6-line block ×5, first 2 shown]
	v_mul_f32_e32 v5, v141, v148
	s_waitcnt vmcnt(4)
	v_fma_f32 v6, v138, v156, -v6
	v_mul_f32_e32 v168, v140, v148
	v_add_f32_e32 v2, v2, v4
	v_fmac_f32_e32 v167, v139, v156
	v_add_f32_e32 v3, v3, v166
	s_waitcnt lgkmcnt(0)
	v_mul_f32_e32 v4, v11, v149
	s_waitcnt vmcnt(3)
	v_fma_f32 v5, v140, v157, -v5
	v_add_f32_e32 v2, v2, v6
	v_mul_f32_e32 v169, v10, v149
	v_fmac_f32_e32 v168, v141, v157
	v_add_f32_e32 v3, v3, v167
	s_waitcnt vmcnt(2)
	v_fma_f32 v4, v10, v158, -v4
	v_add_f32_e32 v2, v2, v5
	v_fmac_f32_e32 v169, v11, v158
	v_add_f32_e32 v3, v3, v168
	v_add_f32_e32 v2, v2, v4
	;; [unrolled: 1-line block ×3, first 2 shown]
	s_waitcnt vmcnt(1)
	v_sub_f32_e32 v2, v159, v2
	s_waitcnt vmcnt(0)
	v_sub_f32_e32 v3, v160, v3
	buffer_store_dword v2, off, s[0:3], 0 offset:400
	buffer_store_dword v3, off, s[0:3], 0 offset:404
	v_cmpx_lt_u32_e32 49, v0
	s_cbranch_execz .LBB123_275
; %bb.274:
	s_clause 0x1
	buffer_load_dword v2, off, s[0:3], 0 offset:392
	buffer_load_dword v3, off, s[0:3], 0 offset:396
	buffer_store_dword v1, off, s[0:3], 0 offset:392
	buffer_store_dword v1, off, s[0:3], 0 offset:396
	s_waitcnt vmcnt(0)
	ds_write_b64 v133, v[2:3]
.LBB123_275:
	s_or_b32 exec_lo, exec_lo, s4
	s_waitcnt lgkmcnt(0)
	s_waitcnt_vscnt null, 0x0
	s_barrier
	buffer_gl0_inv
	s_clause 0x15
	buffer_load_dword v10, off, s[0:3], 0 offset:404
	buffer_load_dword v11, off, s[0:3], 0 offset:412
	;; [unrolled: 1-line block ×22, first 2 shown]
	ds_read_b128 v[2:5], v1 offset:880
	ds_read_b128 v[6:9], v1 offset:896
	ds_read_b128 v[134:137], v1 offset:912
	ds_read_b128 v[138:141], v1 offset:928
	ds_read_b128 v[142:145], v1 offset:944
	s_mov_b32 s4, exec_lo
	s_waitcnt vmcnt(21) lgkmcnt(4)
	v_mul_f32_e32 v1, v2, v10
	v_mul_f32_e32 v10, v3, v10
	s_waitcnt vmcnt(20)
	v_mul_f32_e32 v165, v4, v11
	v_mul_f32_e32 v11, v5, v11
	s_waitcnt vmcnt(19) lgkmcnt(3)
	v_mul_f32_e32 v166, v6, v12
	s_waitcnt vmcnt(18)
	v_mul_f32_e32 v167, v8, v146
	s_waitcnt vmcnt(17) lgkmcnt(2)
	v_mul_f32_e32 v168, v134, v147
	s_waitcnt vmcnt(16)
	;; [unrolled: 4-line block ×3, first 2 shown]
	v_mul_f32_e32 v171, v140, v150
	s_waitcnt vmcnt(11)
	v_fma_f32 v2, v2, v153, -v10
	v_fmac_f32_e32 v1, v3, v153
	v_mul_f32_e32 v3, v7, v12
	s_waitcnt vmcnt(10)
	v_fma_f32 v4, v4, v154, -v11
	v_fmac_f32_e32 v165, v5, v154
	v_add_f32_e32 v2, 0, v2
	v_add_f32_e32 v1, 0, v1
	v_mul_f32_e32 v5, v9, v146
	s_waitcnt vmcnt(9)
	v_fma_f32 v3, v6, v155, -v3
	v_fmac_f32_e32 v166, v7, v155
	v_add_f32_e32 v2, v2, v4
	v_add_f32_e32 v1, v1, v165
	;; [unrolled: 6-line block ×6, first 2 shown]
	s_waitcnt lgkmcnt(0)
	v_mul_f32_e32 v3, v143, v151
	s_waitcnt vmcnt(4)
	v_fma_f32 v4, v140, v160, -v4
	v_mul_f32_e32 v172, v142, v151
	v_add_f32_e32 v2, v2, v5
	v_fmac_f32_e32 v171, v141, v160
	v_add_f32_e32 v1, v1, v170
	v_mul_f32_e32 v5, v145, v152
	s_waitcnt vmcnt(3)
	v_fma_f32 v3, v142, v161, -v3
	v_add_f32_e32 v2, v2, v4
	v_mul_f32_e32 v173, v144, v152
	v_fmac_f32_e32 v172, v143, v161
	v_add_f32_e32 v1, v1, v171
	s_waitcnt vmcnt(2)
	v_fma_f32 v4, v144, v162, -v5
	v_add_f32_e32 v2, v2, v3
	v_fmac_f32_e32 v173, v145, v162
	v_add_f32_e32 v1, v1, v172
	v_add_f32_e32 v2, v2, v4
	;; [unrolled: 1-line block ×3, first 2 shown]
	s_waitcnt vmcnt(1)
	v_sub_f32_e32 v2, v163, v2
	s_waitcnt vmcnt(0)
	v_sub_f32_e32 v1, v164, v1
	buffer_store_dword v2, off, s[0:3], 0 offset:392
	buffer_store_dword v1, off, s[0:3], 0 offset:396
	v_cmpx_lt_u32_e32 48, v0
	s_cbranch_execz .LBB123_277
; %bb.276:
	s_clause 0x1
	buffer_load_dword v1, off, s[0:3], 0 offset:384
	buffer_load_dword v2, off, s[0:3], 0 offset:388
	v_mov_b32_e32 v3, 0
	buffer_store_dword v3, off, s[0:3], 0 offset:384
	buffer_store_dword v3, off, s[0:3], 0 offset:388
	s_waitcnt vmcnt(0)
	ds_write_b64 v133, v[1:2]
.LBB123_277:
	s_or_b32 exec_lo, exec_lo, s4
	s_waitcnt lgkmcnt(0)
	s_waitcnt_vscnt null, 0x0
	s_barrier
	buffer_gl0_inv
	s_clause 0x17
	buffer_load_dword v12, off, s[0:3], 0 offset:396
	buffer_load_dword v146, off, s[0:3], 0 offset:404
	;; [unrolled: 1-line block ×24, first 2 shown]
	v_mov_b32_e32 v1, 0
	ds_read2_b64 v[2:5], v1 offset0:109 offset1:110
	ds_read2_b64 v[6:9], v1 offset0:111 offset1:112
	;; [unrolled: 1-line block ×5, first 2 shown]
	ds_read_b64 v[10:11], v1 offset:952
	s_mov_b32 s4, exec_lo
	s_waitcnt vmcnt(23) lgkmcnt(5)
	v_mul_f32_e32 v169, v2, v12
	v_mul_f32_e32 v12, v3, v12
	s_waitcnt vmcnt(22)
	v_mul_f32_e32 v170, v4, v146
	v_mul_f32_e32 v146, v5, v146
	s_waitcnt vmcnt(21) lgkmcnt(4)
	v_mul_f32_e32 v171, v6, v147
	s_waitcnt vmcnt(20)
	v_mul_f32_e32 v172, v8, v148
	s_waitcnt vmcnt(19) lgkmcnt(3)
	v_mul_f32_e32 v173, v134, v149
	s_waitcnt vmcnt(18)
	;; [unrolled: 4-line block ×4, first 2 shown]
	v_fma_f32 v2, v2, v156, -v12
	v_fmac_f32_e32 v169, v3, v156
	v_mul_f32_e32 v3, v7, v147
	s_waitcnt vmcnt(11)
	v_fma_f32 v4, v4, v157, -v146
	v_fmac_f32_e32 v170, v5, v157
	v_add_f32_e32 v2, 0, v2
	v_add_f32_e32 v5, 0, v169
	v_mul_f32_e32 v12, v9, v148
	s_waitcnt vmcnt(10)
	v_fma_f32 v3, v6, v158, -v3
	v_fmac_f32_e32 v171, v7, v158
	v_add_f32_e32 v2, v2, v4
	v_add_f32_e32 v4, v5, v170
	v_mul_f32_e32 v5, v135, v149
	s_waitcnt vmcnt(9)
	v_fma_f32 v6, v8, v159, -v12
	v_fmac_f32_e32 v172, v9, v159
	v_add_f32_e32 v2, v2, v3
	v_add_f32_e32 v3, v4, v171
	v_mul_f32_e32 v4, v137, v150
	s_waitcnt vmcnt(8)
	v_fma_f32 v5, v134, v160, -v5
	v_fmac_f32_e32 v173, v135, v160
	v_add_f32_e32 v2, v2, v6
	v_add_f32_e32 v3, v3, v172
	v_mul_f32_e32 v6, v139, v151
	s_waitcnt vmcnt(7)
	v_fma_f32 v4, v136, v161, -v4
	v_fmac_f32_e32 v174, v137, v161
	v_add_f32_e32 v2, v2, v5
	v_add_f32_e32 v3, v3, v173
	v_mul_f32_e32 v5, v141, v152
	s_waitcnt vmcnt(6)
	v_fma_f32 v6, v138, v162, -v6
	v_fmac_f32_e32 v175, v139, v162
	v_add_f32_e32 v2, v2, v4
	v_add_f32_e32 v3, v3, v174
	v_mul_f32_e32 v4, v143, v153
	s_waitcnt vmcnt(5)
	v_fma_f32 v5, v140, v163, -v5
	v_fmac_f32_e32 v176, v141, v163
	v_add_f32_e32 v2, v2, v6
	v_add_f32_e32 v3, v3, v175
	v_mul_f32_e32 v6, v145, v154
	s_waitcnt vmcnt(4)
	v_fma_f32 v4, v142, v164, -v4
	v_mul_f32_e32 v178, v144, v154
	v_add_f32_e32 v2, v2, v5
	v_fmac_f32_e32 v177, v143, v164
	v_add_f32_e32 v3, v3, v176
	s_waitcnt lgkmcnt(0)
	v_mul_f32_e32 v5, v11, v155
	s_waitcnt vmcnt(3)
	v_fma_f32 v6, v144, v165, -v6
	v_add_f32_e32 v2, v2, v4
	v_mul_f32_e32 v179, v10, v155
	v_fmac_f32_e32 v178, v145, v165
	v_add_f32_e32 v3, v3, v177
	s_waitcnt vmcnt(2)
	v_fma_f32 v4, v10, v166, -v5
	v_add_f32_e32 v2, v2, v6
	v_fmac_f32_e32 v179, v11, v166
	v_add_f32_e32 v3, v3, v178
	v_add_f32_e32 v2, v2, v4
	;; [unrolled: 1-line block ×3, first 2 shown]
	s_waitcnt vmcnt(1)
	v_sub_f32_e32 v2, v167, v2
	s_waitcnt vmcnt(0)
	v_sub_f32_e32 v3, v168, v3
	buffer_store_dword v2, off, s[0:3], 0 offset:384
	buffer_store_dword v3, off, s[0:3], 0 offset:388
	v_cmpx_lt_u32_e32 47, v0
	s_cbranch_execz .LBB123_279
; %bb.278:
	s_clause 0x1
	buffer_load_dword v2, off, s[0:3], 0 offset:376
	buffer_load_dword v3, off, s[0:3], 0 offset:380
	buffer_store_dword v1, off, s[0:3], 0 offset:376
	buffer_store_dword v1, off, s[0:3], 0 offset:380
	s_waitcnt vmcnt(0)
	ds_write_b64 v133, v[2:3]
.LBB123_279:
	s_or_b32 exec_lo, exec_lo, s4
	s_waitcnt lgkmcnt(0)
	s_waitcnt_vscnt null, 0x0
	s_barrier
	buffer_gl0_inv
	s_clause 0x19
	buffer_load_dword v10, off, s[0:3], 0 offset:388
	buffer_load_dword v11, off, s[0:3], 0 offset:396
	;; [unrolled: 1-line block ×26, first 2 shown]
	ds_read_b128 v[2:5], v1 offset:864
	ds_read_b128 v[6:9], v1 offset:880
	;; [unrolled: 1-line block ×6, first 2 shown]
	s_mov_b32 s4, exec_lo
	s_waitcnt vmcnt(25) lgkmcnt(5)
	v_mul_f32_e32 v1, v2, v10
	v_mul_f32_e32 v10, v3, v10
	s_waitcnt vmcnt(24)
	v_mul_f32_e32 v173, v4, v11
	v_mul_f32_e32 v11, v5, v11
	s_waitcnt vmcnt(23) lgkmcnt(4)
	v_mul_f32_e32 v174, v6, v12
	s_waitcnt vmcnt(22)
	v_mul_f32_e32 v175, v8, v150
	s_waitcnt vmcnt(21) lgkmcnt(3)
	v_mul_f32_e32 v176, v134, v151
	s_waitcnt vmcnt(20)
	;; [unrolled: 4-line block ×4, first 2 shown]
	v_mul_f32_e32 v181, v144, v156
	s_waitcnt vmcnt(13)
	v_fma_f32 v2, v2, v159, -v10
	v_fmac_f32_e32 v1, v3, v159
	v_mul_f32_e32 v3, v7, v12
	s_waitcnt vmcnt(12)
	v_fma_f32 v4, v4, v160, -v11
	v_fmac_f32_e32 v173, v5, v160
	v_add_f32_e32 v2, 0, v2
	v_add_f32_e32 v1, 0, v1
	v_mul_f32_e32 v5, v9, v150
	s_waitcnt vmcnt(11)
	v_fma_f32 v3, v6, v161, -v3
	v_fmac_f32_e32 v174, v7, v161
	v_add_f32_e32 v2, v2, v4
	v_add_f32_e32 v1, v1, v173
	;; [unrolled: 6-line block ×8, first 2 shown]
	s_waitcnt lgkmcnt(0)
	v_mul_f32_e32 v4, v147, v157
	s_waitcnt vmcnt(4)
	v_fma_f32 v5, v144, v168, -v5
	v_mul_f32_e32 v182, v146, v157
	v_add_f32_e32 v2, v2, v3
	v_fmac_f32_e32 v181, v145, v168
	v_add_f32_e32 v1, v1, v180
	v_mul_f32_e32 v3, v149, v158
	s_waitcnt vmcnt(3)
	v_fma_f32 v4, v146, v169, -v4
	v_add_f32_e32 v2, v2, v5
	v_mul_f32_e32 v183, v148, v158
	v_fmac_f32_e32 v182, v147, v169
	v_add_f32_e32 v1, v1, v181
	s_waitcnt vmcnt(2)
	v_fma_f32 v3, v148, v170, -v3
	v_add_f32_e32 v2, v2, v4
	v_fmac_f32_e32 v183, v149, v170
	v_add_f32_e32 v1, v1, v182
	v_add_f32_e32 v2, v2, v3
	;; [unrolled: 1-line block ×3, first 2 shown]
	s_waitcnt vmcnt(1)
	v_sub_f32_e32 v2, v171, v2
	s_waitcnt vmcnt(0)
	v_sub_f32_e32 v1, v172, v1
	buffer_store_dword v2, off, s[0:3], 0 offset:376
	buffer_store_dword v1, off, s[0:3], 0 offset:380
	v_cmpx_lt_u32_e32 46, v0
	s_cbranch_execz .LBB123_281
; %bb.280:
	s_clause 0x1
	buffer_load_dword v1, off, s[0:3], 0 offset:368
	buffer_load_dword v2, off, s[0:3], 0 offset:372
	v_mov_b32_e32 v3, 0
	buffer_store_dword v3, off, s[0:3], 0 offset:368
	buffer_store_dword v3, off, s[0:3], 0 offset:372
	s_waitcnt vmcnt(0)
	ds_write_b64 v133, v[1:2]
.LBB123_281:
	s_or_b32 exec_lo, exec_lo, s4
	s_waitcnt lgkmcnt(0)
	s_waitcnt_vscnt null, 0x0
	s_barrier
	buffer_gl0_inv
	s_clause 0x1b
	buffer_load_dword v12, off, s[0:3], 0 offset:380
	buffer_load_dword v150, off, s[0:3], 0 offset:388
	;; [unrolled: 1-line block ×28, first 2 shown]
	v_mov_b32_e32 v1, 0
	ds_read2_b64 v[2:5], v1 offset0:107 offset1:108
	ds_read2_b64 v[6:9], v1 offset0:109 offset1:110
	;; [unrolled: 1-line block ×6, first 2 shown]
	ds_read_b64 v[10:11], v1 offset:952
	s_mov_b32 s4, exec_lo
	s_waitcnt vmcnt(27) lgkmcnt(6)
	v_mul_f32_e32 v177, v2, v12
	v_mul_f32_e32 v12, v3, v12
	s_waitcnt vmcnt(26)
	v_mul_f32_e32 v178, v4, v150
	v_mul_f32_e32 v150, v5, v150
	s_waitcnt vmcnt(25) lgkmcnt(5)
	v_mul_f32_e32 v179, v6, v151
	s_waitcnt vmcnt(24)
	v_mul_f32_e32 v180, v8, v152
	s_waitcnt vmcnt(23) lgkmcnt(4)
	v_mul_f32_e32 v181, v134, v153
	s_waitcnt vmcnt(22)
	;; [unrolled: 4-line block ×5, first 2 shown]
	v_fma_f32 v2, v2, v162, -v12
	v_fmac_f32_e32 v177, v3, v162
	v_mul_f32_e32 v3, v7, v151
	s_waitcnt vmcnt(13)
	v_fma_f32 v4, v4, v163, -v150
	v_fmac_f32_e32 v178, v5, v163
	v_add_f32_e32 v2, 0, v2
	v_add_f32_e32 v5, 0, v177
	v_mul_f32_e32 v12, v9, v152
	s_waitcnt vmcnt(12)
	v_fma_f32 v3, v6, v164, -v3
	v_fmac_f32_e32 v179, v7, v164
	v_add_f32_e32 v2, v2, v4
	v_add_f32_e32 v4, v5, v178
	;; [unrolled: 6-line block ×9, first 2 shown]
	v_mul_f32_e32 v4, v149, v160
	s_waitcnt vmcnt(4)
	v_fma_f32 v5, v146, v172, -v5
	v_mul_f32_e32 v188, v148, v160
	v_add_f32_e32 v2, v2, v6
	v_fmac_f32_e32 v187, v147, v172
	v_add_f32_e32 v3, v3, v186
	s_waitcnt lgkmcnt(0)
	v_mul_f32_e32 v6, v11, v161
	s_waitcnt vmcnt(3)
	v_fma_f32 v4, v148, v173, -v4
	v_add_f32_e32 v2, v2, v5
	v_mul_f32_e32 v189, v10, v161
	v_fmac_f32_e32 v188, v149, v173
	v_add_f32_e32 v3, v3, v187
	s_waitcnt vmcnt(2)
	v_fma_f32 v5, v10, v174, -v6
	v_add_f32_e32 v2, v2, v4
	v_fmac_f32_e32 v189, v11, v174
	v_add_f32_e32 v3, v3, v188
	v_add_f32_e32 v2, v2, v5
	;; [unrolled: 1-line block ×3, first 2 shown]
	s_waitcnt vmcnt(1)
	v_sub_f32_e32 v2, v175, v2
	s_waitcnt vmcnt(0)
	v_sub_f32_e32 v3, v176, v3
	buffer_store_dword v2, off, s[0:3], 0 offset:368
	buffer_store_dword v3, off, s[0:3], 0 offset:372
	v_cmpx_lt_u32_e32 45, v0
	s_cbranch_execz .LBB123_283
; %bb.282:
	s_clause 0x1
	buffer_load_dword v2, off, s[0:3], 0 offset:360
	buffer_load_dword v3, off, s[0:3], 0 offset:364
	buffer_store_dword v1, off, s[0:3], 0 offset:360
	buffer_store_dword v1, off, s[0:3], 0 offset:364
	s_waitcnt vmcnt(0)
	ds_write_b64 v133, v[2:3]
.LBB123_283:
	s_or_b32 exec_lo, exec_lo, s4
	s_waitcnt lgkmcnt(0)
	s_waitcnt_vscnt null, 0x0
	s_barrier
	buffer_gl0_inv
	s_clause 0x1d
	buffer_load_dword v10, off, s[0:3], 0 offset:372
	buffer_load_dword v11, off, s[0:3], 0 offset:380
	;; [unrolled: 1-line block ×30, first 2 shown]
	ds_read_b128 v[2:5], v1 offset:848
	ds_read_b128 v[6:9], v1 offset:864
	;; [unrolled: 1-line block ×7, first 2 shown]
	s_mov_b32 s4, exec_lo
	s_waitcnt vmcnt(29) lgkmcnt(6)
	v_mul_f32_e32 v1, v2, v10
	v_mul_f32_e32 v10, v3, v10
	s_waitcnt vmcnt(28)
	v_mul_f32_e32 v181, v4, v11
	v_mul_f32_e32 v11, v5, v11
	s_waitcnt vmcnt(27) lgkmcnt(5)
	v_mul_f32_e32 v182, v6, v12
	s_waitcnt vmcnt(26)
	v_mul_f32_e32 v183, v8, v154
	s_waitcnt vmcnt(25) lgkmcnt(4)
	v_mul_f32_e32 v184, v134, v155
	s_waitcnt vmcnt(24)
	;; [unrolled: 4-line block ×5, first 2 shown]
	v_mul_f32_e32 v191, v148, v162
	s_waitcnt vmcnt(15)
	v_fma_f32 v2, v2, v165, -v10
	v_fmac_f32_e32 v1, v3, v165
	v_mul_f32_e32 v3, v7, v12
	s_waitcnt vmcnt(14)
	v_fma_f32 v4, v4, v166, -v11
	v_fmac_f32_e32 v181, v5, v166
	v_add_f32_e32 v2, 0, v2
	v_add_f32_e32 v1, 0, v1
	v_mul_f32_e32 v5, v9, v154
	s_waitcnt vmcnt(13)
	v_fma_f32 v3, v6, v167, -v3
	v_fmac_f32_e32 v182, v7, v167
	v_add_f32_e32 v2, v2, v4
	v_add_f32_e32 v1, v1, v181
	;; [unrolled: 6-line block ×10, first 2 shown]
	s_waitcnt lgkmcnt(0)
	v_mul_f32_e32 v5, v151, v163
	s_waitcnt vmcnt(4)
	v_fma_f32 v3, v148, v176, -v3
	v_mul_f32_e32 v192, v150, v163
	v_add_f32_e32 v2, v2, v4
	v_fmac_f32_e32 v191, v149, v176
	v_add_f32_e32 v1, v1, v190
	v_mul_f32_e32 v4, v153, v164
	s_waitcnt vmcnt(3)
	v_fma_f32 v5, v150, v177, -v5
	v_add_f32_e32 v2, v2, v3
	v_mul_f32_e32 v193, v152, v164
	v_fmac_f32_e32 v192, v151, v177
	v_add_f32_e32 v1, v1, v191
	s_waitcnt vmcnt(2)
	v_fma_f32 v3, v152, v178, -v4
	v_add_f32_e32 v2, v2, v5
	v_fmac_f32_e32 v193, v153, v178
	v_add_f32_e32 v1, v1, v192
	v_add_f32_e32 v2, v2, v3
	;; [unrolled: 1-line block ×3, first 2 shown]
	s_waitcnt vmcnt(1)
	v_sub_f32_e32 v2, v179, v2
	s_waitcnt vmcnt(0)
	v_sub_f32_e32 v1, v180, v1
	buffer_store_dword v2, off, s[0:3], 0 offset:360
	buffer_store_dword v1, off, s[0:3], 0 offset:364
	v_cmpx_lt_u32_e32 44, v0
	s_cbranch_execz .LBB123_285
; %bb.284:
	s_clause 0x1
	buffer_load_dword v1, off, s[0:3], 0 offset:352
	buffer_load_dword v2, off, s[0:3], 0 offset:356
	v_mov_b32_e32 v3, 0
	buffer_store_dword v3, off, s[0:3], 0 offset:352
	buffer_store_dword v3, off, s[0:3], 0 offset:356
	s_waitcnt vmcnt(0)
	ds_write_b64 v133, v[1:2]
.LBB123_285:
	s_or_b32 exec_lo, exec_lo, s4
	s_waitcnt lgkmcnt(0)
	s_waitcnt_vscnt null, 0x0
	s_barrier
	buffer_gl0_inv
	s_clause 0x1f
	buffer_load_dword v12, off, s[0:3], 0 offset:364
	buffer_load_dword v154, off, s[0:3], 0 offset:372
	;; [unrolled: 1-line block ×32, first 2 shown]
	v_mov_b32_e32 v1, 0
	ds_read2_b64 v[2:5], v1 offset0:105 offset1:106
	ds_read2_b64 v[6:9], v1 offset0:107 offset1:108
	ds_read2_b64 v[134:137], v1 offset0:109 offset1:110
	ds_read2_b64 v[138:141], v1 offset0:111 offset1:112
	ds_read2_b64 v[142:145], v1 offset0:113 offset1:114
	ds_read2_b64 v[146:149], v1 offset0:115 offset1:116
	ds_read2_b64 v[150:153], v1 offset0:117 offset1:118
	ds_read_b64 v[10:11], v1 offset:952
	s_mov_b32 s4, exec_lo
	s_waitcnt vmcnt(31) lgkmcnt(7)
	v_mul_f32_e32 v185, v2, v12
	v_mul_f32_e32 v12, v3, v12
	s_waitcnt vmcnt(30)
	v_mul_f32_e32 v186, v4, v154
	v_mul_f32_e32 v154, v5, v154
	s_waitcnt vmcnt(29) lgkmcnt(6)
	v_mul_f32_e32 v187, v6, v155
	s_waitcnt vmcnt(28)
	v_mul_f32_e32 v188, v8, v156
	s_waitcnt vmcnt(27) lgkmcnt(5)
	v_mul_f32_e32 v189, v134, v157
	s_waitcnt vmcnt(26)
	;; [unrolled: 4-line block ×6, first 2 shown]
	v_fma_f32 v2, v2, v168, -v12
	v_fmac_f32_e32 v185, v3, v168
	v_mul_f32_e32 v3, v7, v155
	s_waitcnt vmcnt(15)
	v_fma_f32 v4, v4, v169, -v154
	v_fmac_f32_e32 v186, v5, v169
	v_add_f32_e32 v2, 0, v2
	v_add_f32_e32 v5, 0, v185
	v_mul_f32_e32 v12, v9, v156
	s_waitcnt vmcnt(14)
	v_fma_f32 v3, v6, v170, -v3
	v_fmac_f32_e32 v187, v7, v170
	v_add_f32_e32 v2, v2, v4
	v_add_f32_e32 v4, v5, v186
	;; [unrolled: 6-line block ×11, first 2 shown]
	v_mul_f32_e32 v5, v153, v166
	s_waitcnt vmcnt(4)
	v_fma_f32 v6, v150, v180, -v6
	v_mul_f32_e32 v198, v152, v166
	v_add_f32_e32 v2, v2, v4
	v_fmac_f32_e32 v197, v151, v180
	v_add_f32_e32 v3, v3, v196
	s_waitcnt lgkmcnt(0)
	v_mul_f32_e32 v4, v11, v167
	s_waitcnt vmcnt(3)
	v_fma_f32 v5, v152, v181, -v5
	v_add_f32_e32 v2, v2, v6
	v_mul_f32_e32 v199, v10, v167
	v_fmac_f32_e32 v198, v153, v181
	v_add_f32_e32 v3, v3, v197
	s_waitcnt vmcnt(2)
	v_fma_f32 v4, v10, v182, -v4
	v_add_f32_e32 v2, v2, v5
	v_fmac_f32_e32 v199, v11, v182
	v_add_f32_e32 v3, v3, v198
	v_add_f32_e32 v2, v2, v4
	;; [unrolled: 1-line block ×3, first 2 shown]
	s_waitcnt vmcnt(1)
	v_sub_f32_e32 v2, v183, v2
	s_waitcnt vmcnt(0)
	v_sub_f32_e32 v3, v184, v3
	buffer_store_dword v2, off, s[0:3], 0 offset:352
	buffer_store_dword v3, off, s[0:3], 0 offset:356
	v_cmpx_lt_u32_e32 43, v0
	s_cbranch_execz .LBB123_287
; %bb.286:
	s_clause 0x1
	buffer_load_dword v2, off, s[0:3], 0 offset:344
	buffer_load_dword v3, off, s[0:3], 0 offset:348
	buffer_store_dword v1, off, s[0:3], 0 offset:344
	buffer_store_dword v1, off, s[0:3], 0 offset:348
	s_waitcnt vmcnt(0)
	ds_write_b64 v133, v[2:3]
.LBB123_287:
	s_or_b32 exec_lo, exec_lo, s4
	s_waitcnt lgkmcnt(0)
	s_waitcnt_vscnt null, 0x0
	s_barrier
	buffer_gl0_inv
	s_clause 0x21
	buffer_load_dword v10, off, s[0:3], 0 offset:356
	buffer_load_dword v11, off, s[0:3], 0 offset:364
	buffer_load_dword v12, off, s[0:3], 0 offset:372
	buffer_load_dword v158, off, s[0:3], 0 offset:380
	buffer_load_dword v159, off, s[0:3], 0 offset:388
	buffer_load_dword v160, off, s[0:3], 0 offset:396
	buffer_load_dword v161, off, s[0:3], 0 offset:404
	buffer_load_dword v162, off, s[0:3], 0 offset:412
	buffer_load_dword v163, off, s[0:3], 0 offset:420
	buffer_load_dword v164, off, s[0:3], 0 offset:428
	buffer_load_dword v165, off, s[0:3], 0 offset:436
	buffer_load_dword v166, off, s[0:3], 0 offset:444
	buffer_load_dword v167, off, s[0:3], 0 offset:452
	buffer_load_dword v168, off, s[0:3], 0 offset:460
	buffer_load_dword v169, off, s[0:3], 0 offset:468
	buffer_load_dword v170, off, s[0:3], 0 offset:476
	buffer_load_dword v171, off, s[0:3], 0 offset:352
	buffer_load_dword v172, off, s[0:3], 0 offset:360
	buffer_load_dword v173, off, s[0:3], 0 offset:368
	buffer_load_dword v174, off, s[0:3], 0 offset:376
	buffer_load_dword v175, off, s[0:3], 0 offset:384
	buffer_load_dword v176, off, s[0:3], 0 offset:392
	buffer_load_dword v177, off, s[0:3], 0 offset:400
	buffer_load_dword v178, off, s[0:3], 0 offset:408
	buffer_load_dword v179, off, s[0:3], 0 offset:416
	buffer_load_dword v180, off, s[0:3], 0 offset:424
	buffer_load_dword v181, off, s[0:3], 0 offset:432
	buffer_load_dword v182, off, s[0:3], 0 offset:440
	buffer_load_dword v183, off, s[0:3], 0 offset:448
	buffer_load_dword v184, off, s[0:3], 0 offset:456
	buffer_load_dword v185, off, s[0:3], 0 offset:464
	buffer_load_dword v186, off, s[0:3], 0 offset:472
	buffer_load_dword v187, off, s[0:3], 0 offset:344
	buffer_load_dword v188, off, s[0:3], 0 offset:348
	ds_read_b128 v[2:5], v1 offset:832
	ds_read_b128 v[6:9], v1 offset:848
	;; [unrolled: 1-line block ×8, first 2 shown]
	s_mov_b32 s4, exec_lo
	s_waitcnt vmcnt(33) lgkmcnt(7)
	v_mul_f32_e32 v1, v2, v10
	v_mul_f32_e32 v10, v3, v10
	s_waitcnt vmcnt(32)
	v_mul_f32_e32 v189, v4, v11
	v_mul_f32_e32 v11, v5, v11
	s_waitcnt vmcnt(31) lgkmcnt(6)
	v_mul_f32_e32 v190, v6, v12
	s_waitcnt vmcnt(30)
	v_mul_f32_e32 v191, v8, v158
	s_waitcnt vmcnt(29) lgkmcnt(5)
	v_mul_f32_e32 v192, v134, v159
	s_waitcnt vmcnt(28)
	;; [unrolled: 4-line block ×6, first 2 shown]
	v_mul_f32_e32 v201, v152, v168
	s_waitcnt vmcnt(17)
	v_fma_f32 v2, v2, v171, -v10
	v_fmac_f32_e32 v1, v3, v171
	v_mul_f32_e32 v3, v7, v12
	s_waitcnt vmcnt(16)
	v_fma_f32 v4, v4, v172, -v11
	v_fmac_f32_e32 v189, v5, v172
	v_add_f32_e32 v2, 0, v2
	v_add_f32_e32 v1, 0, v1
	v_mul_f32_e32 v5, v9, v158
	s_waitcnt vmcnt(15)
	v_fma_f32 v3, v6, v173, -v3
	v_fmac_f32_e32 v190, v7, v173
	v_add_f32_e32 v2, v2, v4
	v_add_f32_e32 v1, v1, v189
	;; [unrolled: 6-line block ×12, first 2 shown]
	s_waitcnt lgkmcnt(0)
	v_mul_f32_e32 v3, v155, v169
	s_waitcnt vmcnt(4)
	v_fma_f32 v4, v152, v184, -v4
	v_mul_f32_e32 v202, v154, v169
	v_add_f32_e32 v2, v2, v5
	v_fmac_f32_e32 v201, v153, v184
	v_add_f32_e32 v1, v1, v200
	v_mul_f32_e32 v5, v157, v170
	s_waitcnt vmcnt(3)
	v_fma_f32 v3, v154, v185, -v3
	v_add_f32_e32 v2, v2, v4
	v_mul_f32_e32 v203, v156, v170
	v_fmac_f32_e32 v202, v155, v185
	v_add_f32_e32 v1, v1, v201
	s_waitcnt vmcnt(2)
	v_fma_f32 v4, v156, v186, -v5
	v_add_f32_e32 v2, v2, v3
	v_fmac_f32_e32 v203, v157, v186
	v_add_f32_e32 v1, v1, v202
	v_add_f32_e32 v2, v2, v4
	;; [unrolled: 1-line block ×3, first 2 shown]
	s_waitcnt vmcnt(1)
	v_sub_f32_e32 v2, v187, v2
	s_waitcnt vmcnt(0)
	v_sub_f32_e32 v1, v188, v1
	buffer_store_dword v2, off, s[0:3], 0 offset:344
	buffer_store_dword v1, off, s[0:3], 0 offset:348
	v_cmpx_lt_u32_e32 42, v0
	s_cbranch_execz .LBB123_289
; %bb.288:
	s_clause 0x1
	buffer_load_dword v1, off, s[0:3], 0 offset:336
	buffer_load_dword v2, off, s[0:3], 0 offset:340
	v_mov_b32_e32 v3, 0
	buffer_store_dword v3, off, s[0:3], 0 offset:336
	buffer_store_dword v3, off, s[0:3], 0 offset:340
	s_waitcnt vmcnt(0)
	ds_write_b64 v133, v[1:2]
.LBB123_289:
	s_or_b32 exec_lo, exec_lo, s4
	s_waitcnt lgkmcnt(0)
	s_waitcnt_vscnt null, 0x0
	s_barrier
	buffer_gl0_inv
	s_clause 0x23
	buffer_load_dword v12, off, s[0:3], 0 offset:348
	buffer_load_dword v158, off, s[0:3], 0 offset:356
	;; [unrolled: 1-line block ×36, first 2 shown]
	v_mov_b32_e32 v1, 0
	ds_read2_b64 v[2:5], v1 offset0:103 offset1:104
	ds_read2_b64 v[6:9], v1 offset0:105 offset1:106
	;; [unrolled: 1-line block ×8, first 2 shown]
	ds_read_b64 v[10:11], v1 offset:952
	s_mov_b32 s4, exec_lo
	s_waitcnt vmcnt(35) lgkmcnt(8)
	v_mul_f32_e32 v193, v2, v12
	v_mul_f32_e32 v12, v3, v12
	s_waitcnt vmcnt(34)
	v_mul_f32_e32 v194, v4, v158
	v_mul_f32_e32 v158, v5, v158
	s_waitcnt vmcnt(33) lgkmcnt(7)
	v_mul_f32_e32 v195, v6, v159
	s_waitcnt vmcnt(32)
	v_mul_f32_e32 v196, v8, v160
	s_waitcnt vmcnt(31) lgkmcnt(6)
	v_mul_f32_e32 v197, v134, v161
	s_waitcnt vmcnt(30)
	v_mul_f32_e32 v198, v136, v162
	s_waitcnt vmcnt(29) lgkmcnt(5)
	v_mul_f32_e32 v199, v138, v163
	s_waitcnt vmcnt(28)
	v_mul_f32_e32 v200, v140, v164
	s_waitcnt vmcnt(27) lgkmcnt(4)
	v_mul_f32_e32 v201, v142, v165
	s_waitcnt vmcnt(26)
	v_mul_f32_e32 v202, v144, v166
	s_waitcnt vmcnt(25) lgkmcnt(3)
	v_mul_f32_e32 v203, v146, v167
	s_waitcnt vmcnt(24)
	v_mul_f32_e32 v204, v148, v168
	s_waitcnt vmcnt(23) lgkmcnt(2)
	v_mul_f32_e32 v205, v150, v169
	s_waitcnt vmcnt(22)
	v_mul_f32_e32 v206, v152, v170
	s_waitcnt vmcnt(21) lgkmcnt(1)
	v_mul_f32_e32 v207, v154, v171
	s_waitcnt vmcnt(18)
	v_fma_f32 v2, v2, v174, -v12
	v_fmac_f32_e32 v193, v3, v174
	v_mul_f32_e32 v3, v7, v159
	s_waitcnt vmcnt(17)
	v_fma_f32 v4, v4, v175, -v158
	v_fmac_f32_e32 v194, v5, v175
	v_add_f32_e32 v2, 0, v2
	v_add_f32_e32 v5, 0, v193
	v_mul_f32_e32 v12, v9, v160
	s_waitcnt vmcnt(16)
	v_fma_f32 v3, v6, v176, -v3
	v_fmac_f32_e32 v195, v7, v176
	v_add_f32_e32 v2, v2, v4
	v_add_f32_e32 v4, v5, v194
	v_mul_f32_e32 v5, v135, v161
	s_waitcnt vmcnt(15)
	v_fma_f32 v6, v8, v177, -v12
	v_fmac_f32_e32 v196, v9, v177
	v_add_f32_e32 v2, v2, v3
	v_add_f32_e32 v3, v4, v195
	v_mul_f32_e32 v4, v137, v162
	s_waitcnt vmcnt(14)
	v_fma_f32 v5, v134, v178, -v5
	v_fmac_f32_e32 v197, v135, v178
	v_add_f32_e32 v2, v2, v6
	v_add_f32_e32 v3, v3, v196
	v_mul_f32_e32 v6, v139, v163
	s_waitcnt vmcnt(13)
	v_fma_f32 v4, v136, v179, -v4
	v_fmac_f32_e32 v198, v137, v179
	v_add_f32_e32 v2, v2, v5
	v_add_f32_e32 v3, v3, v197
	v_mul_f32_e32 v5, v141, v164
	s_waitcnt vmcnt(12)
	v_fma_f32 v6, v138, v180, -v6
	v_fmac_f32_e32 v199, v139, v180
	v_add_f32_e32 v2, v2, v4
	v_add_f32_e32 v3, v3, v198
	v_mul_f32_e32 v4, v143, v165
	s_waitcnt vmcnt(11)
	v_fma_f32 v5, v140, v181, -v5
	v_fmac_f32_e32 v200, v141, v181
	v_add_f32_e32 v2, v2, v6
	v_add_f32_e32 v3, v3, v199
	v_mul_f32_e32 v6, v145, v166
	s_waitcnt vmcnt(10)
	v_fma_f32 v4, v142, v182, -v4
	v_fmac_f32_e32 v201, v143, v182
	v_add_f32_e32 v2, v2, v5
	v_add_f32_e32 v3, v3, v200
	v_mul_f32_e32 v5, v147, v167
	s_waitcnt vmcnt(9)
	v_fma_f32 v6, v144, v183, -v6
	v_fmac_f32_e32 v202, v145, v183
	v_add_f32_e32 v2, v2, v4
	v_add_f32_e32 v3, v3, v201
	v_mul_f32_e32 v4, v149, v168
	s_waitcnt vmcnt(8)
	v_fma_f32 v5, v146, v184, -v5
	v_fmac_f32_e32 v203, v147, v184
	v_add_f32_e32 v2, v2, v6
	v_add_f32_e32 v3, v3, v202
	v_mul_f32_e32 v6, v151, v169
	s_waitcnt vmcnt(7)
	v_fma_f32 v4, v148, v185, -v4
	v_fmac_f32_e32 v204, v149, v185
	v_add_f32_e32 v2, v2, v5
	v_add_f32_e32 v3, v3, v203
	v_mul_f32_e32 v5, v153, v170
	s_waitcnt vmcnt(6)
	v_fma_f32 v6, v150, v186, -v6
	v_fmac_f32_e32 v205, v151, v186
	v_add_f32_e32 v2, v2, v4
	v_add_f32_e32 v3, v3, v204
	v_mul_f32_e32 v4, v155, v171
	s_waitcnt vmcnt(5)
	v_fma_f32 v5, v152, v187, -v5
	v_fmac_f32_e32 v206, v153, v187
	v_add_f32_e32 v2, v2, v6
	v_add_f32_e32 v3, v3, v205
	v_mul_f32_e32 v6, v157, v172
	s_waitcnt vmcnt(4)
	v_fma_f32 v4, v154, v188, -v4
	v_mul_f32_e32 v208, v156, v172
	v_add_f32_e32 v2, v2, v5
	v_fmac_f32_e32 v207, v155, v188
	v_add_f32_e32 v3, v3, v206
	s_waitcnt lgkmcnt(0)
	v_mul_f32_e32 v5, v11, v173
	s_waitcnt vmcnt(3)
	v_fma_f32 v6, v156, v189, -v6
	v_add_f32_e32 v2, v2, v4
	v_mul_f32_e32 v209, v10, v173
	v_fmac_f32_e32 v208, v157, v189
	v_add_f32_e32 v3, v3, v207
	s_waitcnt vmcnt(2)
	v_fma_f32 v4, v10, v190, -v5
	v_add_f32_e32 v2, v2, v6
	v_fmac_f32_e32 v209, v11, v190
	v_add_f32_e32 v3, v3, v208
	v_add_f32_e32 v2, v2, v4
	;; [unrolled: 1-line block ×3, first 2 shown]
	s_waitcnt vmcnt(1)
	v_sub_f32_e32 v2, v191, v2
	s_waitcnt vmcnt(0)
	v_sub_f32_e32 v3, v192, v3
	buffer_store_dword v2, off, s[0:3], 0 offset:336
	buffer_store_dword v3, off, s[0:3], 0 offset:340
	v_cmpx_lt_u32_e32 41, v0
	s_cbranch_execz .LBB123_291
; %bb.290:
	s_clause 0x1
	buffer_load_dword v2, off, s[0:3], 0 offset:328
	buffer_load_dword v3, off, s[0:3], 0 offset:332
	buffer_store_dword v1, off, s[0:3], 0 offset:328
	buffer_store_dword v1, off, s[0:3], 0 offset:332
	s_waitcnt vmcnt(0)
	ds_write_b64 v133, v[2:3]
.LBB123_291:
	s_or_b32 exec_lo, exec_lo, s4
	s_waitcnt lgkmcnt(0)
	s_waitcnt_vscnt null, 0x0
	s_barrier
	buffer_gl0_inv
	s_clause 0x25
	buffer_load_dword v10, off, s[0:3], 0 offset:340
	buffer_load_dword v11, off, s[0:3], 0 offset:348
	;; [unrolled: 1-line block ×38, first 2 shown]
	ds_read_b128 v[2:5], v1 offset:816
	ds_read_b128 v[6:9], v1 offset:832
	;; [unrolled: 1-line block ×9, first 2 shown]
	s_mov_b32 s4, exec_lo
	s_waitcnt vmcnt(37) lgkmcnt(8)
	v_mul_f32_e32 v1, v2, v10
	v_mul_f32_e32 v10, v3, v10
	s_waitcnt vmcnt(36)
	v_mul_f32_e32 v197, v4, v11
	v_mul_f32_e32 v11, v5, v11
	s_waitcnt vmcnt(35) lgkmcnt(7)
	v_mul_f32_e32 v198, v6, v12
	s_waitcnt vmcnt(34)
	v_mul_f32_e32 v199, v8, v162
	s_waitcnt vmcnt(33) lgkmcnt(6)
	v_mul_f32_e32 v200, v134, v163
	s_waitcnt vmcnt(32)
	;; [unrolled: 4-line block ×7, first 2 shown]
	v_mul_f32_e32 v211, v156, v174
	s_waitcnt vmcnt(19)
	v_fma_f32 v2, v2, v177, -v10
	v_fmac_f32_e32 v1, v3, v177
	v_mul_f32_e32 v3, v7, v12
	s_waitcnt vmcnt(18)
	v_fma_f32 v4, v4, v178, -v11
	v_fmac_f32_e32 v197, v5, v178
	v_add_f32_e32 v2, 0, v2
	v_add_f32_e32 v1, 0, v1
	v_mul_f32_e32 v5, v9, v162
	s_waitcnt vmcnt(17)
	v_fma_f32 v3, v6, v179, -v3
	v_fmac_f32_e32 v198, v7, v179
	v_add_f32_e32 v2, v2, v4
	v_add_f32_e32 v1, v1, v197
	;; [unrolled: 6-line block ×14, first 2 shown]
	s_waitcnt lgkmcnt(0)
	v_mul_f32_e32 v4, v159, v175
	s_waitcnt vmcnt(4)
	v_fma_f32 v5, v156, v192, -v5
	v_mul_f32_e32 v212, v158, v175
	v_add_f32_e32 v2, v2, v3
	v_fmac_f32_e32 v211, v157, v192
	v_add_f32_e32 v1, v1, v210
	v_mul_f32_e32 v3, v161, v176
	s_waitcnt vmcnt(3)
	v_fma_f32 v4, v158, v193, -v4
	v_add_f32_e32 v2, v2, v5
	v_mul_f32_e32 v213, v160, v176
	v_fmac_f32_e32 v212, v159, v193
	v_add_f32_e32 v1, v1, v211
	s_waitcnt vmcnt(2)
	v_fma_f32 v3, v160, v194, -v3
	v_add_f32_e32 v2, v2, v4
	v_fmac_f32_e32 v213, v161, v194
	v_add_f32_e32 v1, v1, v212
	v_add_f32_e32 v2, v2, v3
	;; [unrolled: 1-line block ×3, first 2 shown]
	s_waitcnt vmcnt(1)
	v_sub_f32_e32 v2, v195, v2
	s_waitcnt vmcnt(0)
	v_sub_f32_e32 v1, v196, v1
	buffer_store_dword v2, off, s[0:3], 0 offset:328
	buffer_store_dword v1, off, s[0:3], 0 offset:332
	v_cmpx_lt_u32_e32 40, v0
	s_cbranch_execz .LBB123_293
; %bb.292:
	s_clause 0x1
	buffer_load_dword v1, off, s[0:3], 0 offset:320
	buffer_load_dword v2, off, s[0:3], 0 offset:324
	v_mov_b32_e32 v3, 0
	buffer_store_dword v3, off, s[0:3], 0 offset:320
	buffer_store_dword v3, off, s[0:3], 0 offset:324
	s_waitcnt vmcnt(0)
	ds_write_b64 v133, v[1:2]
.LBB123_293:
	s_or_b32 exec_lo, exec_lo, s4
	s_waitcnt lgkmcnt(0)
	s_waitcnt_vscnt null, 0x0
	s_barrier
	buffer_gl0_inv
	s_clause 0x27
	buffer_load_dword v12, off, s[0:3], 0 offset:332
	buffer_load_dword v162, off, s[0:3], 0 offset:340
	;; [unrolled: 1-line block ×40, first 2 shown]
	v_mov_b32_e32 v1, 0
	ds_read2_b64 v[2:5], v1 offset0:101 offset1:102
	ds_read2_b64 v[6:9], v1 offset0:103 offset1:104
	;; [unrolled: 1-line block ×9, first 2 shown]
	ds_read_b64 v[10:11], v1 offset:952
	s_mov_b32 s4, exec_lo
	s_waitcnt vmcnt(39) lgkmcnt(9)
	v_mul_f32_e32 v201, v2, v12
	v_mul_f32_e32 v12, v3, v12
	s_waitcnt vmcnt(38)
	v_mul_f32_e32 v202, v4, v162
	v_mul_f32_e32 v162, v5, v162
	s_waitcnt vmcnt(37) lgkmcnt(8)
	v_mul_f32_e32 v203, v6, v163
	s_waitcnt vmcnt(36)
	v_mul_f32_e32 v204, v8, v164
	s_waitcnt vmcnt(35) lgkmcnt(7)
	v_mul_f32_e32 v205, v134, v165
	s_waitcnt vmcnt(34)
	;; [unrolled: 4-line block ×8, first 2 shown]
	v_fma_f32 v2, v2, v180, -v12
	v_fmac_f32_e32 v201, v3, v180
	v_mul_f32_e32 v3, v7, v163
	s_waitcnt vmcnt(19)
	v_fma_f32 v4, v4, v181, -v162
	v_fmac_f32_e32 v202, v5, v181
	v_add_f32_e32 v2, 0, v2
	v_add_f32_e32 v5, 0, v201
	v_mul_f32_e32 v12, v9, v164
	s_waitcnt vmcnt(18)
	v_fma_f32 v3, v6, v182, -v3
	v_fmac_f32_e32 v203, v7, v182
	v_add_f32_e32 v2, v2, v4
	v_add_f32_e32 v4, v5, v202
	;; [unrolled: 6-line block ×15, first 2 shown]
	v_mul_f32_e32 v4, v161, v178
	s_waitcnt vmcnt(4)
	v_fma_f32 v5, v158, v196, -v5
	v_mul_f32_e32 v218, v160, v178
	v_add_f32_e32 v2, v2, v6
	v_fmac_f32_e32 v217, v159, v196
	v_add_f32_e32 v3, v3, v216
	s_waitcnt lgkmcnt(0)
	v_mul_f32_e32 v6, v11, v179
	s_waitcnt vmcnt(3)
	v_fma_f32 v4, v160, v197, -v4
	v_add_f32_e32 v2, v2, v5
	v_mul_f32_e32 v219, v10, v179
	v_fmac_f32_e32 v218, v161, v197
	v_add_f32_e32 v3, v3, v217
	s_waitcnt vmcnt(2)
	v_fma_f32 v5, v10, v198, -v6
	v_add_f32_e32 v2, v2, v4
	v_fmac_f32_e32 v219, v11, v198
	v_add_f32_e32 v3, v3, v218
	v_add_f32_e32 v2, v2, v5
	v_add_f32_e32 v3, v3, v219
	s_waitcnt vmcnt(1)
	v_sub_f32_e32 v2, v199, v2
	s_waitcnt vmcnt(0)
	v_sub_f32_e32 v3, v200, v3
	buffer_store_dword v2, off, s[0:3], 0 offset:320
	buffer_store_dword v3, off, s[0:3], 0 offset:324
	v_cmpx_lt_u32_e32 39, v0
	s_cbranch_execz .LBB123_295
; %bb.294:
	s_clause 0x1
	buffer_load_dword v2, off, s[0:3], 0 offset:312
	buffer_load_dword v3, off, s[0:3], 0 offset:316
	buffer_store_dword v1, off, s[0:3], 0 offset:312
	buffer_store_dword v1, off, s[0:3], 0 offset:316
	s_waitcnt vmcnt(0)
	ds_write_b64 v133, v[2:3]
.LBB123_295:
	s_or_b32 exec_lo, exec_lo, s4
	s_waitcnt lgkmcnt(0)
	s_waitcnt_vscnt null, 0x0
	s_barrier
	buffer_gl0_inv
	s_clause 0x29
	buffer_load_dword v10, off, s[0:3], 0 offset:324
	buffer_load_dword v11, off, s[0:3], 0 offset:332
	buffer_load_dword v12, off, s[0:3], 0 offset:340
	buffer_load_dword v166, off, s[0:3], 0 offset:348
	buffer_load_dword v167, off, s[0:3], 0 offset:356
	buffer_load_dword v168, off, s[0:3], 0 offset:364
	buffer_load_dword v169, off, s[0:3], 0 offset:372
	buffer_load_dword v170, off, s[0:3], 0 offset:380
	buffer_load_dword v171, off, s[0:3], 0 offset:388
	buffer_load_dword v172, off, s[0:3], 0 offset:396
	buffer_load_dword v173, off, s[0:3], 0 offset:404
	buffer_load_dword v174, off, s[0:3], 0 offset:412
	buffer_load_dword v175, off, s[0:3], 0 offset:420
	buffer_load_dword v176, off, s[0:3], 0 offset:428
	buffer_load_dword v177, off, s[0:3], 0 offset:436
	buffer_load_dword v178, off, s[0:3], 0 offset:444
	buffer_load_dword v179, off, s[0:3], 0 offset:452
	buffer_load_dword v180, off, s[0:3], 0 offset:460
	buffer_load_dword v181, off, s[0:3], 0 offset:468
	buffer_load_dword v182, off, s[0:3], 0 offset:476
	buffer_load_dword v183, off, s[0:3], 0 offset:320
	buffer_load_dword v184, off, s[0:3], 0 offset:328
	buffer_load_dword v185, off, s[0:3], 0 offset:336
	buffer_load_dword v186, off, s[0:3], 0 offset:344
	buffer_load_dword v187, off, s[0:3], 0 offset:352
	buffer_load_dword v188, off, s[0:3], 0 offset:360
	buffer_load_dword v189, off, s[0:3], 0 offset:368
	buffer_load_dword v190, off, s[0:3], 0 offset:376
	buffer_load_dword v191, off, s[0:3], 0 offset:384
	buffer_load_dword v192, off, s[0:3], 0 offset:392
	buffer_load_dword v193, off, s[0:3], 0 offset:400
	buffer_load_dword v194, off, s[0:3], 0 offset:408
	buffer_load_dword v195, off, s[0:3], 0 offset:416
	buffer_load_dword v196, off, s[0:3], 0 offset:424
	buffer_load_dword v197, off, s[0:3], 0 offset:432
	buffer_load_dword v198, off, s[0:3], 0 offset:440
	buffer_load_dword v199, off, s[0:3], 0 offset:448
	buffer_load_dword v200, off, s[0:3], 0 offset:456
	buffer_load_dword v201, off, s[0:3], 0 offset:464
	buffer_load_dword v202, off, s[0:3], 0 offset:472
	buffer_load_dword v203, off, s[0:3], 0 offset:312
	buffer_load_dword v204, off, s[0:3], 0 offset:316
	ds_read_b128 v[2:5], v1 offset:800
	ds_read_b128 v[6:9], v1 offset:816
	;; [unrolled: 1-line block ×10, first 2 shown]
	s_mov_b32 s4, exec_lo
	s_waitcnt vmcnt(41) lgkmcnt(9)
	v_mul_f32_e32 v1, v2, v10
	v_mul_f32_e32 v10, v3, v10
	s_waitcnt vmcnt(40)
	v_mul_f32_e32 v205, v4, v11
	v_mul_f32_e32 v11, v5, v11
	s_waitcnt vmcnt(39) lgkmcnt(8)
	v_mul_f32_e32 v206, v6, v12
	s_waitcnt vmcnt(38)
	v_mul_f32_e32 v207, v8, v166
	s_waitcnt vmcnt(37) lgkmcnt(7)
	v_mul_f32_e32 v208, v134, v167
	s_waitcnt vmcnt(36)
	;; [unrolled: 4-line block ×8, first 2 shown]
	v_mul_f32_e32 v221, v160, v180
	s_waitcnt vmcnt(21)
	v_fma_f32 v2, v2, v183, -v10
	v_fmac_f32_e32 v1, v3, v183
	v_mul_f32_e32 v3, v7, v12
	s_waitcnt vmcnt(20)
	v_fma_f32 v4, v4, v184, -v11
	v_fmac_f32_e32 v205, v5, v184
	v_add_f32_e32 v2, 0, v2
	v_add_f32_e32 v1, 0, v1
	v_mul_f32_e32 v5, v9, v166
	s_waitcnt vmcnt(19)
	v_fma_f32 v3, v6, v185, -v3
	v_fmac_f32_e32 v206, v7, v185
	v_add_f32_e32 v2, v2, v4
	v_add_f32_e32 v1, v1, v205
	;; [unrolled: 6-line block ×16, first 2 shown]
	s_waitcnt lgkmcnt(0)
	v_mul_f32_e32 v5, v163, v181
	s_waitcnt vmcnt(4)
	v_fma_f32 v3, v160, v200, -v3
	v_mul_f32_e32 v222, v162, v181
	v_add_f32_e32 v2, v2, v4
	v_fmac_f32_e32 v221, v161, v200
	v_add_f32_e32 v1, v1, v220
	v_mul_f32_e32 v4, v165, v182
	s_waitcnt vmcnt(3)
	v_fma_f32 v5, v162, v201, -v5
	v_add_f32_e32 v2, v2, v3
	v_mul_f32_e32 v223, v164, v182
	v_fmac_f32_e32 v222, v163, v201
	v_add_f32_e32 v1, v1, v221
	s_waitcnt vmcnt(2)
	v_fma_f32 v3, v164, v202, -v4
	v_add_f32_e32 v2, v2, v5
	v_fmac_f32_e32 v223, v165, v202
	v_add_f32_e32 v1, v1, v222
	v_add_f32_e32 v2, v2, v3
	;; [unrolled: 1-line block ×3, first 2 shown]
	s_waitcnt vmcnt(1)
	v_sub_f32_e32 v2, v203, v2
	s_waitcnt vmcnt(0)
	v_sub_f32_e32 v1, v204, v1
	buffer_store_dword v2, off, s[0:3], 0 offset:312
	buffer_store_dword v1, off, s[0:3], 0 offset:316
	v_cmpx_lt_u32_e32 38, v0
	s_cbranch_execz .LBB123_297
; %bb.296:
	s_clause 0x1
	buffer_load_dword v1, off, s[0:3], 0 offset:304
	buffer_load_dword v2, off, s[0:3], 0 offset:308
	v_mov_b32_e32 v3, 0
	buffer_store_dword v3, off, s[0:3], 0 offset:304
	buffer_store_dword v3, off, s[0:3], 0 offset:308
	s_waitcnt vmcnt(0)
	ds_write_b64 v133, v[1:2]
.LBB123_297:
	s_or_b32 exec_lo, exec_lo, s4
	s_waitcnt lgkmcnt(0)
	s_waitcnt_vscnt null, 0x0
	s_barrier
	buffer_gl0_inv
	s_clause 0x2b
	buffer_load_dword v12, off, s[0:3], 0 offset:316
	buffer_load_dword v166, off, s[0:3], 0 offset:324
	;; [unrolled: 1-line block ×44, first 2 shown]
	v_mov_b32_e32 v1, 0
	ds_read2_b64 v[2:5], v1 offset0:99 offset1:100
	ds_read2_b64 v[6:9], v1 offset0:101 offset1:102
	;; [unrolled: 1-line block ×10, first 2 shown]
	ds_read_b64 v[10:11], v1 offset:952
	s_mov_b32 s4, exec_lo
	s_waitcnt vmcnt(43) lgkmcnt(10)
	v_mul_f32_e32 v209, v2, v12
	v_mul_f32_e32 v12, v3, v12
	s_waitcnt vmcnt(42)
	v_mul_f32_e32 v210, v4, v166
	v_mul_f32_e32 v166, v5, v166
	s_waitcnt vmcnt(41) lgkmcnt(9)
	v_mul_f32_e32 v211, v6, v167
	s_waitcnt vmcnt(40)
	v_mul_f32_e32 v212, v8, v168
	s_waitcnt vmcnt(39) lgkmcnt(8)
	v_mul_f32_e32 v213, v134, v169
	s_waitcnt vmcnt(38)
	;; [unrolled: 4-line block ×9, first 2 shown]
	v_fma_f32 v2, v2, v186, -v12
	v_fmac_f32_e32 v209, v3, v186
	v_mul_f32_e32 v3, v7, v167
	s_waitcnt vmcnt(21)
	v_fma_f32 v4, v4, v187, -v166
	v_fmac_f32_e32 v210, v5, v187
	v_add_f32_e32 v2, 0, v2
	v_add_f32_e32 v5, 0, v209
	v_mul_f32_e32 v12, v9, v168
	s_waitcnt vmcnt(20)
	v_fma_f32 v3, v6, v188, -v3
	v_fmac_f32_e32 v211, v7, v188
	v_add_f32_e32 v2, v2, v4
	v_add_f32_e32 v4, v5, v210
	;; [unrolled: 6-line block ×17, first 2 shown]
	v_mul_f32_e32 v5, v165, v184
	s_waitcnt vmcnt(4)
	v_fma_f32 v6, v162, v204, -v6
	v_mul_f32_e32 v228, v164, v184
	v_add_f32_e32 v2, v2, v4
	v_fmac_f32_e32 v227, v163, v204
	v_add_f32_e32 v3, v3, v226
	s_waitcnt lgkmcnt(0)
	v_mul_f32_e32 v4, v11, v185
	s_waitcnt vmcnt(3)
	v_fma_f32 v5, v164, v205, -v5
	v_add_f32_e32 v2, v2, v6
	v_mul_f32_e32 v229, v10, v185
	v_fmac_f32_e32 v228, v165, v205
	v_add_f32_e32 v3, v3, v227
	s_waitcnt vmcnt(2)
	v_fma_f32 v4, v10, v206, -v4
	v_add_f32_e32 v2, v2, v5
	v_fmac_f32_e32 v229, v11, v206
	v_add_f32_e32 v3, v3, v228
	v_add_f32_e32 v2, v2, v4
	v_add_f32_e32 v3, v3, v229
	s_waitcnt vmcnt(1)
	v_sub_f32_e32 v2, v207, v2
	s_waitcnt vmcnt(0)
	v_sub_f32_e32 v3, v208, v3
	buffer_store_dword v2, off, s[0:3], 0 offset:304
	buffer_store_dword v3, off, s[0:3], 0 offset:308
	v_cmpx_lt_u32_e32 37, v0
	s_cbranch_execz .LBB123_299
; %bb.298:
	s_clause 0x1
	buffer_load_dword v2, off, s[0:3], 0 offset:296
	buffer_load_dword v3, off, s[0:3], 0 offset:300
	buffer_store_dword v1, off, s[0:3], 0 offset:296
	buffer_store_dword v1, off, s[0:3], 0 offset:300
	s_waitcnt vmcnt(0)
	ds_write_b64 v133, v[2:3]
.LBB123_299:
	s_or_b32 exec_lo, exec_lo, s4
	s_waitcnt lgkmcnt(0)
	s_waitcnt_vscnt null, 0x0
	s_barrier
	buffer_gl0_inv
	s_clause 0x2d
	buffer_load_dword v10, off, s[0:3], 0 offset:308
	buffer_load_dword v11, off, s[0:3], 0 offset:316
	;; [unrolled: 1-line block ×46, first 2 shown]
	ds_read_b128 v[2:5], v1 offset:784
	ds_read_b128 v[6:9], v1 offset:800
	;; [unrolled: 1-line block ×11, first 2 shown]
	s_mov_b32 s4, exec_lo
	s_waitcnt vmcnt(45) lgkmcnt(10)
	v_mul_f32_e32 v1, v2, v10
	v_mul_f32_e32 v10, v3, v10
	s_waitcnt vmcnt(44)
	v_mul_f32_e32 v213, v4, v11
	v_mul_f32_e32 v11, v5, v11
	s_waitcnt vmcnt(43) lgkmcnt(9)
	v_mul_f32_e32 v214, v6, v12
	s_waitcnt vmcnt(42)
	v_mul_f32_e32 v215, v8, v170
	s_waitcnt vmcnt(41) lgkmcnt(8)
	v_mul_f32_e32 v216, v134, v171
	s_waitcnt vmcnt(40)
	;; [unrolled: 4-line block ×9, first 2 shown]
	v_mul_f32_e32 v231, v164, v186
	s_waitcnt vmcnt(23)
	v_fma_f32 v2, v2, v189, -v10
	v_fmac_f32_e32 v1, v3, v189
	v_mul_f32_e32 v3, v7, v12
	s_waitcnt vmcnt(22)
	v_fma_f32 v4, v4, v190, -v11
	v_fmac_f32_e32 v213, v5, v190
	v_add_f32_e32 v2, 0, v2
	v_add_f32_e32 v1, 0, v1
	v_mul_f32_e32 v5, v9, v170
	s_waitcnt vmcnt(21)
	v_fma_f32 v3, v6, v191, -v3
	v_fmac_f32_e32 v214, v7, v191
	v_add_f32_e32 v2, v2, v4
	v_add_f32_e32 v1, v1, v213
	;; [unrolled: 6-line block ×18, first 2 shown]
	s_waitcnt lgkmcnt(0)
	v_mul_f32_e32 v3, v167, v187
	s_waitcnt vmcnt(4)
	v_fma_f32 v4, v164, v208, -v4
	v_mul_f32_e32 v232, v166, v187
	v_add_f32_e32 v2, v2, v5
	v_fmac_f32_e32 v231, v165, v208
	v_add_f32_e32 v1, v1, v230
	v_mul_f32_e32 v5, v169, v188
	s_waitcnt vmcnt(3)
	v_fma_f32 v3, v166, v209, -v3
	v_add_f32_e32 v2, v2, v4
	v_mul_f32_e32 v233, v168, v188
	v_fmac_f32_e32 v232, v167, v209
	v_add_f32_e32 v1, v1, v231
	s_waitcnt vmcnt(2)
	v_fma_f32 v4, v168, v210, -v5
	v_add_f32_e32 v2, v2, v3
	v_fmac_f32_e32 v233, v169, v210
	v_add_f32_e32 v1, v1, v232
	v_add_f32_e32 v2, v2, v4
	;; [unrolled: 1-line block ×3, first 2 shown]
	s_waitcnt vmcnt(1)
	v_sub_f32_e32 v2, v211, v2
	s_waitcnt vmcnt(0)
	v_sub_f32_e32 v1, v212, v1
	buffer_store_dword v2, off, s[0:3], 0 offset:296
	buffer_store_dword v1, off, s[0:3], 0 offset:300
	v_cmpx_lt_u32_e32 36, v0
	s_cbranch_execz .LBB123_301
; %bb.300:
	s_clause 0x1
	buffer_load_dword v1, off, s[0:3], 0 offset:288
	buffer_load_dword v2, off, s[0:3], 0 offset:292
	v_mov_b32_e32 v3, 0
	buffer_store_dword v3, off, s[0:3], 0 offset:288
	buffer_store_dword v3, off, s[0:3], 0 offset:292
	s_waitcnt vmcnt(0)
	ds_write_b64 v133, v[1:2]
.LBB123_301:
	s_or_b32 exec_lo, exec_lo, s4
	s_waitcnt lgkmcnt(0)
	s_waitcnt_vscnt null, 0x0
	s_barrier
	buffer_gl0_inv
	s_clause 0x2f
	buffer_load_dword v12, off, s[0:3], 0 offset:300
	buffer_load_dword v170, off, s[0:3], 0 offset:308
	;; [unrolled: 1-line block ×48, first 2 shown]
	v_mov_b32_e32 v1, 0
	ds_read2_b64 v[2:5], v1 offset0:97 offset1:98
	ds_read2_b64 v[6:9], v1 offset0:99 offset1:100
	;; [unrolled: 1-line block ×11, first 2 shown]
	ds_read_b64 v[10:11], v1 offset:952
	s_mov_b32 s4, exec_lo
	s_waitcnt vmcnt(47) lgkmcnt(11)
	v_mul_f32_e32 v217, v2, v12
	v_mul_f32_e32 v12, v3, v12
	s_waitcnt vmcnt(46)
	v_mul_f32_e32 v218, v4, v170
	v_mul_f32_e32 v170, v5, v170
	s_waitcnt vmcnt(45) lgkmcnt(10)
	v_mul_f32_e32 v219, v6, v171
	s_waitcnt vmcnt(44)
	v_mul_f32_e32 v220, v8, v172
	s_waitcnt vmcnt(43) lgkmcnt(9)
	v_mul_f32_e32 v221, v134, v173
	s_waitcnt vmcnt(42)
	;; [unrolled: 4-line block ×10, first 2 shown]
	v_fma_f32 v2, v2, v192, -v12
	v_fmac_f32_e32 v217, v3, v192
	v_mul_f32_e32 v3, v7, v171
	s_waitcnt vmcnt(23)
	v_fma_f32 v4, v4, v193, -v170
	v_fmac_f32_e32 v218, v5, v193
	v_add_f32_e32 v2, 0, v2
	v_add_f32_e32 v5, 0, v217
	v_mul_f32_e32 v12, v9, v172
	s_waitcnt vmcnt(22)
	v_fma_f32 v3, v6, v194, -v3
	v_fmac_f32_e32 v219, v7, v194
	v_add_f32_e32 v2, v2, v4
	v_add_f32_e32 v4, v5, v218
	v_mul_f32_e32 v5, v135, v173
	s_waitcnt vmcnt(21)
	v_fma_f32 v6, v8, v195, -v12
	v_fmac_f32_e32 v220, v9, v195
	v_add_f32_e32 v2, v2, v3
	v_add_f32_e32 v3, v4, v219
	v_mul_f32_e32 v4, v137, v174
	s_waitcnt vmcnt(20)
	v_fma_f32 v5, v134, v196, -v5
	v_fmac_f32_e32 v221, v135, v196
	v_add_f32_e32 v2, v2, v6
	v_add_f32_e32 v3, v3, v220
	v_mul_f32_e32 v6, v139, v175
	s_waitcnt vmcnt(19)
	v_fma_f32 v4, v136, v197, -v4
	v_fmac_f32_e32 v222, v137, v197
	v_add_f32_e32 v2, v2, v5
	v_add_f32_e32 v3, v3, v221
	v_mul_f32_e32 v5, v141, v176
	s_waitcnt vmcnt(18)
	v_fma_f32 v6, v138, v198, -v6
	v_fmac_f32_e32 v223, v139, v198
	v_add_f32_e32 v2, v2, v4
	v_add_f32_e32 v3, v3, v222
	v_mul_f32_e32 v4, v143, v177
	s_waitcnt vmcnt(17)
	v_fma_f32 v5, v140, v199, -v5
	v_fmac_f32_e32 v224, v141, v199
	v_add_f32_e32 v2, v2, v6
	v_add_f32_e32 v3, v3, v223
	v_mul_f32_e32 v6, v145, v178
	s_waitcnt vmcnt(16)
	v_fma_f32 v4, v142, v200, -v4
	v_fmac_f32_e32 v225, v143, v200
	v_add_f32_e32 v2, v2, v5
	v_add_f32_e32 v3, v3, v224
	v_mul_f32_e32 v5, v147, v179
	s_waitcnt vmcnt(15)
	v_fma_f32 v6, v144, v201, -v6
	v_fmac_f32_e32 v226, v145, v201
	v_add_f32_e32 v2, v2, v4
	v_add_f32_e32 v3, v3, v225
	v_mul_f32_e32 v4, v149, v180
	s_waitcnt vmcnt(14)
	v_fma_f32 v5, v146, v202, -v5
	v_fmac_f32_e32 v227, v147, v202
	v_add_f32_e32 v2, v2, v6
	v_add_f32_e32 v3, v3, v226
	v_mul_f32_e32 v6, v151, v181
	s_waitcnt vmcnt(13)
	v_fma_f32 v4, v148, v203, -v4
	v_fmac_f32_e32 v228, v149, v203
	v_add_f32_e32 v2, v2, v5
	v_add_f32_e32 v3, v3, v227
	v_mul_f32_e32 v5, v153, v182
	s_waitcnt vmcnt(12)
	v_fma_f32 v6, v150, v204, -v6
	v_fmac_f32_e32 v229, v151, v204
	v_add_f32_e32 v2, v2, v4
	v_add_f32_e32 v3, v3, v228
	v_mul_f32_e32 v4, v155, v183
	s_waitcnt vmcnt(11)
	v_fma_f32 v5, v152, v205, -v5
	v_fmac_f32_e32 v230, v153, v205
	v_add_f32_e32 v2, v2, v6
	v_add_f32_e32 v3, v3, v229
	v_mul_f32_e32 v6, v157, v184
	s_waitcnt vmcnt(10)
	v_fma_f32 v4, v154, v206, -v4
	v_fmac_f32_e32 v231, v155, v206
	v_add_f32_e32 v2, v2, v5
	v_add_f32_e32 v3, v3, v230
	v_mul_f32_e32 v5, v159, v185
	s_waitcnt vmcnt(9)
	v_fma_f32 v6, v156, v207, -v6
	v_fmac_f32_e32 v232, v157, v207
	v_add_f32_e32 v2, v2, v4
	v_add_f32_e32 v3, v3, v231
	v_mul_f32_e32 v4, v161, v186
	s_waitcnt vmcnt(8)
	v_fma_f32 v5, v158, v208, -v5
	v_fmac_f32_e32 v233, v159, v208
	v_add_f32_e32 v2, v2, v6
	v_add_f32_e32 v3, v3, v232
	v_mul_f32_e32 v6, v163, v187
	s_waitcnt vmcnt(7)
	v_fma_f32 v4, v160, v209, -v4
	v_fmac_f32_e32 v234, v161, v209
	v_add_f32_e32 v2, v2, v5
	v_add_f32_e32 v3, v3, v233
	v_mul_f32_e32 v5, v165, v188
	s_waitcnt vmcnt(6)
	v_fma_f32 v6, v162, v210, -v6
	v_fmac_f32_e32 v235, v163, v210
	v_add_f32_e32 v2, v2, v4
	v_add_f32_e32 v3, v3, v234
	v_mul_f32_e32 v4, v167, v189
	s_waitcnt vmcnt(5)
	v_fma_f32 v5, v164, v211, -v5
	v_fmac_f32_e32 v236, v165, v211
	v_add_f32_e32 v2, v2, v6
	v_add_f32_e32 v3, v3, v235
	v_mul_f32_e32 v6, v169, v190
	s_waitcnt vmcnt(4)
	v_fma_f32 v4, v166, v212, -v4
	v_mul_f32_e32 v238, v168, v190
	v_add_f32_e32 v2, v2, v5
	v_fmac_f32_e32 v237, v167, v212
	v_add_f32_e32 v3, v3, v236
	s_waitcnt lgkmcnt(0)
	v_mul_f32_e32 v5, v11, v191
	s_waitcnt vmcnt(3)
	v_fma_f32 v6, v168, v213, -v6
	v_add_f32_e32 v2, v2, v4
	v_mul_f32_e32 v239, v10, v191
	v_fmac_f32_e32 v238, v169, v213
	v_add_f32_e32 v3, v3, v237
	s_waitcnt vmcnt(2)
	v_fma_f32 v4, v10, v214, -v5
	v_add_f32_e32 v2, v2, v6
	v_fmac_f32_e32 v239, v11, v214
	v_add_f32_e32 v3, v3, v238
	v_add_f32_e32 v2, v2, v4
	;; [unrolled: 1-line block ×3, first 2 shown]
	s_waitcnt vmcnt(1)
	v_sub_f32_e32 v2, v215, v2
	s_waitcnt vmcnt(0)
	v_sub_f32_e32 v3, v216, v3
	buffer_store_dword v2, off, s[0:3], 0 offset:288
	buffer_store_dword v3, off, s[0:3], 0 offset:292
	v_cmpx_lt_u32_e32 35, v0
	s_cbranch_execz .LBB123_303
; %bb.302:
	s_clause 0x1
	buffer_load_dword v2, off, s[0:3], 0 offset:280
	buffer_load_dword v3, off, s[0:3], 0 offset:284
	buffer_store_dword v1, off, s[0:3], 0 offset:280
	buffer_store_dword v1, off, s[0:3], 0 offset:284
	s_waitcnt vmcnt(0)
	ds_write_b64 v133, v[2:3]
.LBB123_303:
	s_or_b32 exec_lo, exec_lo, s4
	s_waitcnt lgkmcnt(0)
	s_waitcnt_vscnt null, 0x0
	s_barrier
	buffer_gl0_inv
	s_clause 0x31
	buffer_load_dword v10, off, s[0:3], 0 offset:292
	buffer_load_dword v11, off, s[0:3], 0 offset:300
	;; [unrolled: 1-line block ×50, first 2 shown]
	ds_read_b128 v[2:5], v1 offset:768
	ds_read_b128 v[6:9], v1 offset:784
	;; [unrolled: 1-line block ×12, first 2 shown]
	s_mov_b32 s4, exec_lo
	s_waitcnt vmcnt(49) lgkmcnt(11)
	v_mul_f32_e32 v1, v2, v10
	v_mul_f32_e32 v10, v3, v10
	s_waitcnt vmcnt(48)
	v_mul_f32_e32 v221, v4, v11
	v_mul_f32_e32 v11, v5, v11
	s_waitcnt vmcnt(47) lgkmcnt(10)
	v_mul_f32_e32 v222, v6, v12
	s_waitcnt vmcnt(46)
	v_mul_f32_e32 v223, v8, v174
	s_waitcnt vmcnt(45) lgkmcnt(9)
	v_mul_f32_e32 v224, v134, v175
	s_waitcnt vmcnt(44)
	;; [unrolled: 4-line block ×10, first 2 shown]
	v_mul_f32_e32 v241, v168, v192
	s_waitcnt vmcnt(25)
	v_fma_f32 v2, v2, v195, -v10
	v_fmac_f32_e32 v1, v3, v195
	v_mul_f32_e32 v3, v7, v12
	s_waitcnt vmcnt(24)
	v_fma_f32 v4, v4, v196, -v11
	v_fmac_f32_e32 v221, v5, v196
	v_add_f32_e32 v2, 0, v2
	v_add_f32_e32 v1, 0, v1
	v_mul_f32_e32 v5, v9, v174
	s_waitcnt vmcnt(23)
	v_fma_f32 v3, v6, v197, -v3
	v_fmac_f32_e32 v222, v7, v197
	v_add_f32_e32 v2, v2, v4
	v_add_f32_e32 v1, v1, v221
	;; [unrolled: 6-line block ×20, first 2 shown]
	s_waitcnt lgkmcnt(0)
	v_mul_f32_e32 v4, v171, v193
	s_waitcnt vmcnt(4)
	v_fma_f32 v5, v168, v216, -v5
	v_mul_f32_e32 v242, v170, v193
	v_add_f32_e32 v2, v2, v3
	v_fmac_f32_e32 v241, v169, v216
	v_add_f32_e32 v1, v1, v240
	v_mul_f32_e32 v3, v173, v194
	s_waitcnt vmcnt(3)
	v_fma_f32 v4, v170, v217, -v4
	v_add_f32_e32 v2, v2, v5
	v_mul_f32_e32 v243, v172, v194
	v_fmac_f32_e32 v242, v171, v217
	v_add_f32_e32 v1, v1, v241
	s_waitcnt vmcnt(2)
	v_fma_f32 v3, v172, v218, -v3
	v_add_f32_e32 v2, v2, v4
	v_fmac_f32_e32 v243, v173, v218
	v_add_f32_e32 v1, v1, v242
	v_add_f32_e32 v2, v2, v3
	;; [unrolled: 1-line block ×3, first 2 shown]
	s_waitcnt vmcnt(1)
	v_sub_f32_e32 v2, v219, v2
	s_waitcnt vmcnt(0)
	v_sub_f32_e32 v1, v220, v1
	buffer_store_dword v2, off, s[0:3], 0 offset:280
	buffer_store_dword v1, off, s[0:3], 0 offset:284
	v_cmpx_lt_u32_e32 34, v0
	s_cbranch_execz .LBB123_305
; %bb.304:
	s_clause 0x1
	buffer_load_dword v1, off, s[0:3], 0 offset:272
	buffer_load_dword v2, off, s[0:3], 0 offset:276
	v_mov_b32_e32 v3, 0
	buffer_store_dword v3, off, s[0:3], 0 offset:272
	buffer_store_dword v3, off, s[0:3], 0 offset:276
	s_waitcnt vmcnt(0)
	ds_write_b64 v133, v[1:2]
.LBB123_305:
	s_or_b32 exec_lo, exec_lo, s4
	s_waitcnt lgkmcnt(0)
	s_waitcnt_vscnt null, 0x0
	s_barrier
	buffer_gl0_inv
	s_clause 0x33
	buffer_load_dword v12, off, s[0:3], 0 offset:284
	buffer_load_dword v174, off, s[0:3], 0 offset:292
	buffer_load_dword v175, off, s[0:3], 0 offset:300
	buffer_load_dword v176, off, s[0:3], 0 offset:308
	buffer_load_dword v177, off, s[0:3], 0 offset:316
	buffer_load_dword v178, off, s[0:3], 0 offset:324
	buffer_load_dword v179, off, s[0:3], 0 offset:332
	buffer_load_dword v180, off, s[0:3], 0 offset:340
	buffer_load_dword v181, off, s[0:3], 0 offset:348
	buffer_load_dword v182, off, s[0:3], 0 offset:356
	buffer_load_dword v183, off, s[0:3], 0 offset:364
	buffer_load_dword v184, off, s[0:3], 0 offset:372
	buffer_load_dword v185, off, s[0:3], 0 offset:380
	buffer_load_dword v186, off, s[0:3], 0 offset:388
	buffer_load_dword v187, off, s[0:3], 0 offset:396
	buffer_load_dword v188, off, s[0:3], 0 offset:404
	buffer_load_dword v189, off, s[0:3], 0 offset:412
	buffer_load_dword v190, off, s[0:3], 0 offset:420
	buffer_load_dword v191, off, s[0:3], 0 offset:428
	buffer_load_dword v192, off, s[0:3], 0 offset:436
	buffer_load_dword v193, off, s[0:3], 0 offset:444
	buffer_load_dword v194, off, s[0:3], 0 offset:452
	buffer_load_dword v195, off, s[0:3], 0 offset:460
	buffer_load_dword v196, off, s[0:3], 0 offset:468
	buffer_load_dword v197, off, s[0:3], 0 offset:476
	buffer_load_dword v198, off, s[0:3], 0 offset:280
	buffer_load_dword v199, off, s[0:3], 0 offset:288
	buffer_load_dword v200, off, s[0:3], 0 offset:296
	buffer_load_dword v201, off, s[0:3], 0 offset:304
	buffer_load_dword v202, off, s[0:3], 0 offset:312
	buffer_load_dword v203, off, s[0:3], 0 offset:320
	buffer_load_dword v204, off, s[0:3], 0 offset:328
	buffer_load_dword v205, off, s[0:3], 0 offset:336
	buffer_load_dword v206, off, s[0:3], 0 offset:344
	buffer_load_dword v207, off, s[0:3], 0 offset:352
	buffer_load_dword v208, off, s[0:3], 0 offset:360
	buffer_load_dword v209, off, s[0:3], 0 offset:368
	buffer_load_dword v210, off, s[0:3], 0 offset:376
	buffer_load_dword v211, off, s[0:3], 0 offset:384
	buffer_load_dword v212, off, s[0:3], 0 offset:392
	buffer_load_dword v213, off, s[0:3], 0 offset:400
	buffer_load_dword v214, off, s[0:3], 0 offset:408
	buffer_load_dword v215, off, s[0:3], 0 offset:416
	buffer_load_dword v216, off, s[0:3], 0 offset:424
	buffer_load_dword v217, off, s[0:3], 0 offset:432
	buffer_load_dword v218, off, s[0:3], 0 offset:440
	buffer_load_dword v219, off, s[0:3], 0 offset:448
	buffer_load_dword v220, off, s[0:3], 0 offset:456
	buffer_load_dword v221, off, s[0:3], 0 offset:464
	buffer_load_dword v222, off, s[0:3], 0 offset:472
	buffer_load_dword v223, off, s[0:3], 0 offset:272
	buffer_load_dword v224, off, s[0:3], 0 offset:276
	v_mov_b32_e32 v1, 0
	ds_read2_b64 v[2:5], v1 offset0:95 offset1:96
	ds_read2_b64 v[6:9], v1 offset0:97 offset1:98
	;; [unrolled: 1-line block ×12, first 2 shown]
	ds_read_b64 v[10:11], v1 offset:952
	s_mov_b32 s4, exec_lo
	s_waitcnt vmcnt(51) lgkmcnt(12)
	v_mul_f32_e32 v225, v2, v12
	v_mul_f32_e32 v12, v3, v12
	s_waitcnt vmcnt(50)
	v_mul_f32_e32 v226, v4, v174
	v_mul_f32_e32 v174, v5, v174
	s_waitcnt vmcnt(49) lgkmcnt(11)
	v_mul_f32_e32 v227, v6, v175
	s_waitcnt vmcnt(48)
	v_mul_f32_e32 v228, v8, v176
	s_waitcnt vmcnt(47) lgkmcnt(10)
	v_mul_f32_e32 v229, v134, v177
	s_waitcnt vmcnt(46)
	;; [unrolled: 4-line block ×11, first 2 shown]
	v_fma_f32 v2, v2, v198, -v12
	v_fmac_f32_e32 v225, v3, v198
	v_mul_f32_e32 v3, v7, v175
	s_waitcnt vmcnt(25)
	v_fma_f32 v4, v4, v199, -v174
	v_fmac_f32_e32 v226, v5, v199
	v_add_f32_e32 v2, 0, v2
	v_add_f32_e32 v5, 0, v225
	v_mul_f32_e32 v12, v9, v176
	s_waitcnt vmcnt(24)
	v_fma_f32 v3, v6, v200, -v3
	v_fmac_f32_e32 v227, v7, v200
	v_add_f32_e32 v2, v2, v4
	v_add_f32_e32 v4, v5, v226
	;; [unrolled: 6-line block ×21, first 2 shown]
	v_mul_f32_e32 v4, v173, v196
	s_waitcnt vmcnt(4)
	v_fma_f32 v5, v170, v220, -v5
	v_mul_f32_e32 v248, v172, v196
	v_add_f32_e32 v2, v2, v6
	v_fmac_f32_e32 v247, v171, v220
	v_add_f32_e32 v3, v3, v246
	s_waitcnt lgkmcnt(0)
	v_mul_f32_e32 v6, v11, v197
	s_waitcnt vmcnt(3)
	v_fma_f32 v4, v172, v221, -v4
	v_add_f32_e32 v2, v2, v5
	v_mul_f32_e32 v249, v10, v197
	v_fmac_f32_e32 v248, v173, v221
	v_add_f32_e32 v3, v3, v247
	s_waitcnt vmcnt(2)
	v_fma_f32 v5, v10, v222, -v6
	v_add_f32_e32 v2, v2, v4
	v_fmac_f32_e32 v249, v11, v222
	v_add_f32_e32 v3, v3, v248
	v_add_f32_e32 v2, v2, v5
	;; [unrolled: 1-line block ×3, first 2 shown]
	s_waitcnt vmcnt(1)
	v_sub_f32_e32 v2, v223, v2
	s_waitcnt vmcnt(0)
	v_sub_f32_e32 v3, v224, v3
	buffer_store_dword v2, off, s[0:3], 0 offset:272
	buffer_store_dword v3, off, s[0:3], 0 offset:276
	v_cmpx_lt_u32_e32 33, v0
	s_cbranch_execz .LBB123_307
; %bb.306:
	s_clause 0x1
	buffer_load_dword v2, off, s[0:3], 0 offset:264
	buffer_load_dword v3, off, s[0:3], 0 offset:268
	buffer_store_dword v1, off, s[0:3], 0 offset:264
	buffer_store_dword v1, off, s[0:3], 0 offset:268
	s_waitcnt vmcnt(0)
	ds_write_b64 v133, v[2:3]
.LBB123_307:
	s_or_b32 exec_lo, exec_lo, s4
	s_waitcnt lgkmcnt(0)
	s_waitcnt_vscnt null, 0x0
	s_barrier
	buffer_gl0_inv
	s_clause 0x35
	buffer_load_dword v10, off, s[0:3], 0 offset:276
	buffer_load_dword v11, off, s[0:3], 0 offset:284
	;; [unrolled: 1-line block ×54, first 2 shown]
	ds_read_b128 v[2:5], v1 offset:752
	ds_read_b128 v[6:9], v1 offset:768
	;; [unrolled: 1-line block ×13, first 2 shown]
	s_mov_b32 s4, exec_lo
	s_waitcnt vmcnt(53) lgkmcnt(12)
	v_mul_f32_e32 v1, v2, v10
	v_mul_f32_e32 v10, v3, v10
	s_waitcnt vmcnt(52)
	v_mul_f32_e32 v229, v4, v11
	v_mul_f32_e32 v11, v5, v11
	s_waitcnt vmcnt(51) lgkmcnt(11)
	v_mul_f32_e32 v230, v6, v12
	s_waitcnt vmcnt(50)
	v_mul_f32_e32 v231, v8, v178
	s_waitcnt vmcnt(49) lgkmcnt(10)
	v_mul_f32_e32 v232, v134, v179
	s_waitcnt vmcnt(48)
	;; [unrolled: 4-line block ×11, first 2 shown]
	v_mul_f32_e32 v251, v172, v198
	s_waitcnt vmcnt(27)
	v_fma_f32 v2, v2, v201, -v10
	v_fmac_f32_e32 v1, v3, v201
	v_mul_f32_e32 v3, v7, v12
	s_waitcnt vmcnt(26)
	v_fma_f32 v4, v4, v202, -v11
	v_fmac_f32_e32 v229, v5, v202
	v_add_f32_e32 v2, 0, v2
	v_add_f32_e32 v1, 0, v1
	v_mul_f32_e32 v5, v9, v178
	s_waitcnt vmcnt(25)
	v_fma_f32 v3, v6, v203, -v3
	v_fmac_f32_e32 v230, v7, v203
	v_add_f32_e32 v2, v2, v4
	v_add_f32_e32 v1, v1, v229
	;; [unrolled: 6-line block ×22, first 2 shown]
	s_waitcnt lgkmcnt(0)
	v_mul_f32_e32 v5, v175, v199
	s_waitcnt vmcnt(4)
	v_fma_f32 v3, v172, v224, -v3
	v_mul_f32_e32 v252, v174, v199
	v_add_f32_e32 v2, v2, v4
	v_fmac_f32_e32 v251, v173, v224
	v_add_f32_e32 v1, v1, v250
	v_mul_f32_e32 v4, v177, v200
	s_waitcnt vmcnt(3)
	v_fma_f32 v5, v174, v225, -v5
	v_add_f32_e32 v2, v2, v3
	v_mul_f32_e32 v253, v176, v200
	v_fmac_f32_e32 v252, v175, v225
	v_add_f32_e32 v1, v1, v251
	s_waitcnt vmcnt(2)
	v_fma_f32 v3, v176, v226, -v4
	v_add_f32_e32 v2, v2, v5
	v_fmac_f32_e32 v253, v177, v226
	v_add_f32_e32 v1, v1, v252
	v_add_f32_e32 v2, v2, v3
	;; [unrolled: 1-line block ×3, first 2 shown]
	s_waitcnt vmcnt(1)
	v_sub_f32_e32 v2, v227, v2
	s_waitcnt vmcnt(0)
	v_sub_f32_e32 v1, v228, v1
	buffer_store_dword v2, off, s[0:3], 0 offset:264
	buffer_store_dword v1, off, s[0:3], 0 offset:268
	v_cmpx_lt_u32_e32 32, v0
	s_cbranch_execz .LBB123_309
; %bb.308:
	s_clause 0x1
	buffer_load_dword v1, off, s[0:3], 0 offset:256
	buffer_load_dword v2, off, s[0:3], 0 offset:260
	v_mov_b32_e32 v3, 0
	buffer_store_dword v3, off, s[0:3], 0 offset:256
	buffer_store_dword v3, off, s[0:3], 0 offset:260
	s_waitcnt vmcnt(0)
	ds_write_b64 v133, v[1:2]
.LBB123_309:
	s_or_b32 exec_lo, exec_lo, s4
	s_waitcnt lgkmcnt(0)
	s_waitcnt_vscnt null, 0x0
	s_barrier
	buffer_gl0_inv
	s_clause 0x37
	buffer_load_dword v147, off, s[0:3], 0 offset:268
	buffer_load_dword v151, off, s[0:3], 0 offset:276
	;; [unrolled: 1-line block ×56, first 2 shown]
	v_mov_b32_e32 v1, 0
	ds_read2_b64 v[135:138], v1 offset0:93 offset1:94
	ds_read2_b64 v[139:142], v1 offset0:95 offset1:96
	;; [unrolled: 1-line block ×3, first 2 shown]
	s_mov_b32 s4, exec_lo
	s_waitcnt vmcnt(55) lgkmcnt(2)
	v_mul_f32_e32 v194, v135, v147
	v_mul_f32_e32 v195, v136, v147
	ds_read2_b64 v[147:150], v1 offset0:99 offset1:100
	s_waitcnt vmcnt(54)
	v_mul_f32_e32 v196, v137, v151
	v_mul_f32_e32 v151, v138, v151
	s_waitcnt vmcnt(51)
	v_fmac_f32_e32 v194, v136, v154
	v_fma_f32 v154, v135, v154, -v195
	s_waitcnt vmcnt(50) lgkmcnt(2)
	v_mul_f32_e32 v195, v139, v155
	v_fmac_f32_e32 v196, v138, v153
	v_fma_f32 v151, v137, v153, -v151
	s_waitcnt vmcnt(49)
	v_mul_f32_e32 v197, v141, v156
	v_mul_f32_e32 v153, v140, v155
	;; [unrolled: 1-line block ×3, first 2 shown]
	ds_read2_b64 v[135:138], v1 offset0:101 offset1:102
	v_fmac_f32_e32 v195, v140, v152
	s_waitcnt vmcnt(45)
	v_fmac_f32_e32 v197, v142, v160
	v_fma_f32 v152, v139, v152, -v153
	v_fma_f32 v155, v141, v160, -v155
	s_waitcnt vmcnt(44) lgkmcnt(2)
	v_mul_f32_e32 v160, v143, v161
	v_mul_f32_e32 v153, v144, v161
	ds_read2_b64 v[139:142], v1 offset0:103 offset1:104
	s_waitcnt vmcnt(43)
	v_mul_f32_e32 v161, v145, v162
	v_mul_f32_e32 v156, v146, v162
	v_add_f32_e32 v162, 0, v194
	v_fmac_f32_e32 v160, v144, v159
	v_fma_f32 v159, v143, v159, -v153
	v_add_f32_e32 v143, 0, v154
	s_waitcnt vmcnt(42) lgkmcnt(2)
	v_mul_f32_e32 v194, v147, v163
	v_add_f32_e32 v144, v162, v196
	v_mul_f32_e32 v153, v148, v163
	s_waitcnt vmcnt(41)
	v_mul_f32_e32 v196, v149, v164
	v_add_f32_e32 v143, v143, v151
	v_mul_f32_e32 v162, v150, v164
	s_waitcnt vmcnt(40) lgkmcnt(1)
	v_mul_f32_e32 v198, v135, v165
	v_fma_f32 v163, v145, v158, -v156
	v_fmac_f32_e32 v194, v148, v157
	v_fma_f32 v164, v147, v157, -v153
	v_add_f32_e32 v147, v144, v195
	v_add_f32_e32 v148, v143, v152
	v_mul_f32_e32 v156, v136, v165
	s_waitcnt vmcnt(37)
	v_fmac_f32_e32 v198, v136, v168
	s_waitcnt vmcnt(36)
	v_fmac_f32_e32 v196, v150, v169
	v_add_f32_e32 v136, v147, v197
	v_fma_f32 v165, v149, v169, -v162
	v_fma_f32 v168, v135, v168, -v156
	v_add_f32_e32 v135, v148, v155
	s_waitcnt vmcnt(35)
	v_mul_f32_e32 v169, v137, v170
	v_add_f32_e32 v136, v136, v160
	v_mul_f32_e32 v160, v138, v170
	s_waitcnt vmcnt(34) lgkmcnt(0)
	v_mul_f32_e32 v170, v139, v171
	v_add_f32_e32 v135, v135, v159
	v_mul_f32_e32 v159, v140, v171
	v_fmac_f32_e32 v161, v146, v158
	s_waitcnt vmcnt(33)
	v_mul_f32_e32 v195, v141, v172
	v_mul_f32_e32 v171, v142, v172
	v_fmac_f32_e32 v170, v140, v166
	v_fma_f32 v166, v139, v166, -v159
	v_add_f32_e32 v139, v135, v163
	v_add_f32_e32 v136, v136, v161
	s_waitcnt vmcnt(29)
	v_fmac_f32_e32 v195, v142, v176
	v_fma_f32 v171, v141, v176, -v171
	ds_read2_b64 v[143:146], v1 offset0:105 offset1:106
	ds_read2_b64 v[151:154], v1 offset0:107 offset1:108
	v_add_f32_e32 v176, v139, v164
	v_add_f32_e32 v172, v136, v194
	v_fmac_f32_e32 v169, v138, v167
	v_fma_f32 v167, v137, v167, -v160
	ds_read2_b64 v[147:150], v1 offset0:109 offset1:110
	ds_read2_b64 v[155:158], v1 offset0:111 offset1:112
	v_add_f32_e32 v165, v176, v165
	v_add_f32_e32 v172, v172, v196
	ds_read2_b64 v[135:138], v1 offset0:113 offset1:114
	ds_read2_b64 v[159:162], v1 offset0:115 offset1:116
	;; [unrolled: 1-line block ×3, first 2 shown]
	ds_read_b64 v[163:164], v1 offset:952
	v_add_f32_e32 v165, v165, v168
	v_add_f32_e32 v172, v172, v198
	;; [unrolled: 1-line block ×4, first 2 shown]
	s_waitcnt vmcnt(28) lgkmcnt(7)
	v_mul_f32_e32 v194, v143, v177
	v_mul_f32_e32 v177, v144, v177
	v_add_f32_e32 v165, v165, v166
	v_add_f32_e32 v166, v169, v170
	s_waitcnt vmcnt(27)
	v_mul_f32_e32 v176, v145, v178
	v_mul_f32_e32 v178, v146, v178
	v_fma_f32 v143, v143, v175, -v177
	v_add_f32_e32 v165, v165, v171
	v_fmac_f32_e32 v194, v144, v175
	v_add_f32_e32 v166, v166, v195
	s_waitcnt vmcnt(26) lgkmcnt(6)
	v_mul_f32_e32 v175, v152, v179
	v_fma_f32 v145, v145, v174, -v178
	v_add_f32_e32 v143, v165, v143
	v_mul_f32_e32 v196, v151, v179
	v_fmac_f32_e32 v176, v146, v174
	v_add_f32_e32 v165, v166, v194
	s_waitcnt vmcnt(25)
	v_mul_f32_e32 v171, v154, v180
	v_fma_f32 v151, v151, v173, -v175
	v_add_f32_e32 v143, v143, v145
	v_mul_f32_e32 v168, v153, v180
	v_fmac_f32_e32 v196, v152, v173
	v_add_f32_e32 v145, v165, v176
	s_waitcnt vmcnt(24) lgkmcnt(5)
	v_mul_f32_e32 v152, v148, v181
	s_waitcnt vmcnt(10)
	v_fma_f32 v153, v153, v187, -v171
	v_add_f32_e32 v143, v143, v151
	v_mul_f32_e32 v144, v147, v181
	v_fmac_f32_e32 v168, v154, v187
	v_add_f32_e32 v145, v145, v196
	v_mul_f32_e32 v151, v150, v182
	v_fma_f32 v147, v147, v186, -v152
	v_add_f32_e32 v143, v143, v153
	v_mul_f32_e32 v172, v149, v182
	v_fmac_f32_e32 v144, v148, v186
	v_add_f32_e32 v145, v145, v168
	s_waitcnt lgkmcnt(4)
	v_mul_f32_e32 v148, v156, v183
	v_fma_f32 v149, v149, v185, -v151
	v_add_f32_e32 v143, v143, v147
	v_mul_f32_e32 v167, v155, v183
	v_fmac_f32_e32 v172, v150, v185
	v_add_f32_e32 v144, v145, v144
	v_mul_f32_e32 v146, v157, v134
	v_mul_f32_e32 v134, v158, v134
	v_fma_f32 v145, v155, v184, -v148
	v_add_f32_e32 v143, v143, v149
	v_fmac_f32_e32 v167, v156, v184
	v_add_f32_e32 v144, v144, v172
	s_waitcnt lgkmcnt(3)
	v_mul_f32_e32 v174, v135, v11
	v_mul_f32_e32 v11, v136, v11
	s_waitcnt vmcnt(6)
	v_fma_f32 v134, v157, v191, -v134
	v_add_f32_e32 v143, v143, v145
	v_fmac_f32_e32 v146, v158, v191
	v_add_f32_e32 v144, v144, v167
	v_mul_f32_e32 v169, v137, v10
	v_mul_f32_e32 v10, v138, v10
	v_fma_f32 v11, v135, v190, -v11
	v_add_f32_e32 v134, v143, v134
	v_fmac_f32_e32 v174, v136, v190
	v_add_f32_e32 v135, v144, v146
	s_waitcnt lgkmcnt(2)
	v_mul_f32_e32 v170, v159, v9
	v_mul_f32_e32 v9, v160, v9
	v_fma_f32 v10, v137, v189, -v10
	v_add_f32_e32 v11, v134, v11
	v_fmac_f32_e32 v169, v138, v189
	v_add_f32_e32 v134, v135, v174
	v_mul_f32_e32 v177, v161, v7
	v_mul_f32_e32 v7, v162, v7
	v_fma_f32 v9, v159, v188, -v9
	v_add_f32_e32 v10, v11, v10
	v_fmac_f32_e32 v170, v160, v188
	v_add_f32_e32 v11, v134, v169
	s_waitcnt lgkmcnt(1)
	v_mul_f32_e32 v178, v139, v6
	v_mul_f32_e32 v6, v140, v6
	s_waitcnt vmcnt(2)
	v_fma_f32 v7, v161, v193, -v7
	v_add_f32_e32 v9, v10, v9
	v_fmac_f32_e32 v177, v162, v193
	v_add_f32_e32 v10, v11, v170
	v_mul_f32_e32 v179, v141, v2
	v_mul_f32_e32 v2, v142, v2
	v_fma_f32 v6, v139, v192, -v6
	v_add_f32_e32 v7, v9, v7
	v_fmac_f32_e32 v178, v140, v192
	v_add_f32_e32 v9, v10, v177
	s_waitcnt lgkmcnt(0)
	v_mul_f32_e32 v166, v163, v3
	v_mul_f32_e32 v3, v164, v3
	v_fma_f32 v2, v141, v12, -v2
	v_add_f32_e32 v6, v7, v6
	v_fmac_f32_e32 v179, v142, v12
	v_add_f32_e32 v7, v9, v178
	v_fma_f32 v3, v163, v8, -v3
	v_fmac_f32_e32 v166, v164, v8
	v_add_f32_e32 v2, v6, v2
	v_add_f32_e32 v6, v7, v179
	;; [unrolled: 1-line block ×4, first 2 shown]
	s_waitcnt vmcnt(1)
	v_sub_f32_e32 v2, v4, v2
	s_waitcnt vmcnt(0)
	v_sub_f32_e32 v3, v5, v3
	buffer_store_dword v2, off, s[0:3], 0 offset:256
	buffer_store_dword v3, off, s[0:3], 0 offset:260
	v_cmpx_lt_u32_e32 31, v0
	s_cbranch_execz .LBB123_311
; %bb.310:
	s_clause 0x1
	buffer_load_dword v2, off, s[0:3], 0 offset:248
	buffer_load_dword v3, off, s[0:3], 0 offset:252
	buffer_store_dword v1, off, s[0:3], 0 offset:248
	buffer_store_dword v1, off, s[0:3], 0 offset:252
	s_waitcnt vmcnt(0)
	ds_write_b64 v133, v[2:3]
.LBB123_311:
	s_or_b32 exec_lo, exec_lo, s4
	s_waitcnt lgkmcnt(0)
	s_waitcnt_vscnt null, 0x0
	s_barrier
	buffer_gl0_inv
	s_clause 0x39
	buffer_load_dword v153, off, s[0:3], 0 offset:260
	buffer_load_dword v154, off, s[0:3], 0 offset:268
	;; [unrolled: 1-line block ×58, first 2 shown]
	ds_read_b128 v[141:144], v1 offset:736
	ds_read_b128 v[145:148], v1 offset:752
	;; [unrolled: 1-line block ×3, first 2 shown]
	s_mov_b32 s4, exec_lo
	s_waitcnt vmcnt(57) lgkmcnt(2)
	v_mul_f32_e32 v193, v141, v153
	v_mul_f32_e32 v153, v142, v153
	s_waitcnt vmcnt(56)
	v_mul_f32_e32 v194, v143, v154
	v_mul_f32_e32 v154, v144, v154
	s_waitcnt vmcnt(53)
	v_fmac_f32_e32 v193, v142, v157
	v_fma_f32 v153, v141, v157, -v153
	v_fmac_f32_e32 v194, v144, v156
	v_fma_f32 v157, v143, v156, -v154
	ds_read_b128 v[141:144], v1 offset:784
	s_waitcnt vmcnt(52) lgkmcnt(2)
	v_mul_f32_e32 v195, v145, v158
	v_mul_f32_e32 v154, v146, v158
	s_waitcnt vmcnt(51)
	v_mul_f32_e32 v158, v147, v159
	v_mul_f32_e32 v156, v148, v159
	s_waitcnt vmcnt(50) lgkmcnt(1)
	v_mul_f32_e32 v196, v149, v160
	v_mul_f32_e32 v159, v150, v160
	s_waitcnt vmcnt(49)
	v_mul_f32_e32 v197, v151, v161
	v_mul_f32_e32 v160, v152, v161
	v_fmac_f32_e32 v195, v146, v155
	v_fma_f32 v161, v145, v155, -v154
	s_waitcnt vmcnt(45)
	v_fmac_f32_e32 v158, v148, v165
	v_fma_f32 v165, v147, v165, -v156
	ds_read_b128 v[145:148], v1 offset:800
	v_fmac_f32_e32 v196, v150, v164
	v_fma_f32 v164, v149, v164, -v159
	v_fmac_f32_e32 v197, v152, v163
	v_fma_f32 v198, v151, v163, -v160
	ds_read_b128 v[149:152], v1 offset:816
	v_add_f32_e32 v159, 0, v153
	s_waitcnt vmcnt(44) lgkmcnt(2)
	v_mul_f32_e32 v199, v141, v166
	v_mul_f32_e32 v154, v142, v166
	s_waitcnt vmcnt(43)
	v_mul_f32_e32 v166, v143, v167
	v_mul_f32_e32 v155, v144, v167
	v_add_f32_e32 v160, 0, v193
	v_add_f32_e32 v157, v159, v157
	v_fmac_f32_e32 v199, v142, v162
	v_fma_f32 v167, v141, v162, -v154
	s_waitcnt vmcnt(39)
	v_fmac_f32_e32 v166, v144, v171
	v_fma_f32 v171, v143, v171, -v155
	ds_read_b128 v[141:144], v1 offset:832
	ds_read_b128 v[153:156], v1 offset:848
	v_add_f32_e32 v160, v160, v194
	v_add_f32_e32 v157, v157, v161
	s_waitcnt vmcnt(38) lgkmcnt(3)
	v_mul_f32_e32 v193, v145, v172
	v_mul_f32_e32 v159, v146, v172
	s_waitcnt vmcnt(37)
	v_mul_f32_e32 v172, v147, v173
	v_mul_f32_e32 v162, v148, v173
	v_add_f32_e32 v160, v160, v195
	s_waitcnt vmcnt(36) lgkmcnt(2)
	v_mul_f32_e32 v173, v149, v174
	v_mul_f32_e32 v161, v150, v174
	v_fmac_f32_e32 v172, v148, v169
	v_fma_f32 v169, v147, v169, -v162
	v_add_f32_e32 v162, v157, v165
	v_add_f32_e32 v163, v160, v158
	s_waitcnt vmcnt(35)
	v_mul_f32_e32 v165, v152, v175
	v_mul_f32_e32 v194, v151, v175
	v_fmac_f32_e32 v173, v150, v168
	v_fma_f32 v174, v149, v168, -v161
	v_add_f32_e32 v168, v162, v164
	s_waitcnt vmcnt(31)
	v_fma_f32 v175, v151, v178, -v165
	v_add_f32_e32 v165, v163, v196
	v_fmac_f32_e32 v194, v152, v178
	s_waitcnt vmcnt(30) lgkmcnt(1)
	v_mul_f32_e32 v178, v141, v179
	v_add_f32_e32 v168, v168, v198
	v_mul_f32_e32 v179, v142, v179
	v_add_f32_e32 v165, v165, v197
	v_fmac_f32_e32 v193, v146, v170
	v_fmac_f32_e32 v178, v142, v177
	v_add_f32_e32 v142, v168, v167
	v_fma_f32 v170, v145, v170, -v159
	v_add_f32_e32 v165, v165, v199
	v_fma_f32 v177, v141, v177, -v179
	ds_read_b128 v[145:148], v1 offset:864
	ds_read_b128 v[157:160], v1 offset:880
	v_add_f32_e32 v171, v142, v171
	s_waitcnt vmcnt(29)
	v_mul_f32_e32 v195, v143, v180
	v_add_f32_e32 v179, v165, v166
	v_mul_f32_e32 v180, v144, v180
	ds_read_b128 v[149:152], v1 offset:896
	ds_read_b128 v[161:164], v1 offset:912
	v_add_f32_e32 v170, v171, v170
	v_fmac_f32_e32 v195, v144, v176
	v_add_f32_e32 v179, v179, v193
	v_fma_f32 v176, v143, v176, -v180
	ds_read_b128 v[141:144], v1 offset:928
	ds_read_b128 v[165:168], v1 offset:944
	v_add_f32_e32 v169, v170, v169
	s_waitcnt vmcnt(28) lgkmcnt(6)
	v_mul_f32_e32 v1, v153, v181
	v_add_f32_e32 v172, v179, v172
	v_mul_f32_e32 v171, v154, v181
	s_waitcnt vmcnt(27)
	v_mul_f32_e32 v181, v156, v182
	v_add_f32_e32 v169, v169, v174
	v_fmac_f32_e32 v1, v154, v12
	v_add_f32_e32 v172, v172, v173
	v_fma_f32 v12, v153, v12, -v171
	v_mul_f32_e32 v180, v155, v182
	v_add_f32_e32 v169, v169, v175
	s_waitcnt vmcnt(26) lgkmcnt(5)
	v_mul_f32_e32 v170, v145, v139
	v_add_f32_e32 v172, v172, v194
	v_mul_f32_e32 v139, v146, v139
	s_waitcnt vmcnt(11)
	v_fma_f32 v155, v155, v186, -v181
	v_add_f32_e32 v169, v169, v177
	v_fmac_f32_e32 v180, v156, v186
	v_add_f32_e32 v172, v172, v178
	v_mul_f32_e32 v179, v147, v138
	v_mul_f32_e32 v138, v148, v138
	v_add_f32_e32 v154, v169, v176
	v_fma_f32 v139, v145, v185, -v139
	v_add_f32_e32 v169, v172, v195
	v_fmac_f32_e32 v170, v146, v185
	s_waitcnt lgkmcnt(4)
	v_mul_f32_e32 v182, v157, v137
	v_add_f32_e32 v12, v154, v12
	v_mul_f32_e32 v137, v158, v137
	v_add_f32_e32 v1, v169, v1
	v_fma_f32 v138, v147, v184, -v138
	v_fmac_f32_e32 v179, v148, v184
	v_add_f32_e32 v12, v12, v155
	v_mul_f32_e32 v174, v159, v136
	v_add_f32_e32 v1, v1, v180
	v_mul_f32_e32 v136, v160, v136
	v_fma_f32 v137, v157, v183, -v137
	v_add_f32_e32 v12, v12, v139
	v_fmac_f32_e32 v182, v158, v183
	v_add_f32_e32 v1, v1, v170
	s_waitcnt lgkmcnt(3)
	v_mul_f32_e32 v173, v149, v134
	v_mul_f32_e32 v134, v150, v134
	v_add_f32_e32 v12, v12, v138
	s_waitcnt vmcnt(7)
	v_fma_f32 v136, v159, v190, -v136
	v_add_f32_e32 v1, v1, v179
	v_fmac_f32_e32 v174, v160, v190
	v_mul_f32_e32 v193, v151, v11
	v_add_f32_e32 v12, v12, v137
	v_mul_f32_e32 v11, v152, v11
	v_add_f32_e32 v1, v1, v182
	v_fma_f32 v134, v149, v189, -v134
	v_fmac_f32_e32 v173, v150, v189
	v_add_f32_e32 v12, v12, v136
	s_waitcnt lgkmcnt(2)
	v_mul_f32_e32 v175, v161, v10
	v_add_f32_e32 v1, v1, v174
	v_mul_f32_e32 v10, v162, v10
	v_fma_f32 v11, v151, v188, -v11
	v_add_f32_e32 v12, v12, v134
	v_fmac_f32_e32 v193, v152, v188
	v_add_f32_e32 v1, v1, v173
	v_mul_f32_e32 v194, v163, v8
	v_mul_f32_e32 v8, v164, v8
	v_fma_f32 v10, v161, v187, -v10
	v_add_f32_e32 v11, v12, v11
	v_fmac_f32_e32 v175, v162, v187
	v_add_f32_e32 v1, v1, v193
	s_waitcnt lgkmcnt(1)
	v_mul_f32_e32 v196, v141, v7
	v_mul_f32_e32 v7, v142, v7
	s_waitcnt vmcnt(3)
	v_fma_f32 v8, v163, v192, -v8
	v_add_f32_e32 v10, v11, v10
	v_fmac_f32_e32 v194, v164, v192
	v_add_f32_e32 v1, v1, v175
	v_mul_f32_e32 v177, v143, v6
	v_mul_f32_e32 v6, v144, v6
	v_fma_f32 v7, v141, v191, -v7
	v_add_f32_e32 v8, v10, v8
	v_fmac_f32_e32 v196, v142, v191
	v_add_f32_e32 v1, v1, v194
	s_waitcnt lgkmcnt(0)
	v_mul_f32_e32 v178, v165, v5
	v_mul_f32_e32 v5, v166, v5
	v_fma_f32 v6, v143, v140, -v6
	v_add_f32_e32 v7, v8, v7
	v_fmac_f32_e32 v177, v144, v140
	v_add_f32_e32 v1, v1, v196
	v_mul_f32_e32 v153, v167, v2
	v_mul_f32_e32 v2, v168, v2
	v_fma_f32 v5, v165, v135, -v5
	v_add_f32_e32 v6, v7, v6
	v_fmac_f32_e32 v178, v166, v135
	v_add_f32_e32 v1, v1, v177
	s_waitcnt vmcnt(2)
	v_fma_f32 v2, v167, v9, -v2
	v_fmac_f32_e32 v153, v168, v9
	v_add_f32_e32 v5, v6, v5
	v_add_f32_e32 v1, v1, v178
	v_add_f32_e32 v2, v5, v2
	v_add_f32_e32 v1, v1, v153
	s_waitcnt vmcnt(1)
	v_sub_f32_e32 v2, v3, v2
	s_waitcnt vmcnt(0)
	v_sub_f32_e32 v1, v4, v1
	buffer_store_dword v2, off, s[0:3], 0 offset:248
	buffer_store_dword v1, off, s[0:3], 0 offset:252
	v_cmpx_lt_u32_e32 30, v0
	s_cbranch_execz .LBB123_313
; %bb.312:
	s_clause 0x1
	buffer_load_dword v1, off, s[0:3], 0 offset:240
	buffer_load_dword v2, off, s[0:3], 0 offset:244
	v_mov_b32_e32 v3, 0
	buffer_store_dword v3, off, s[0:3], 0 offset:240
	buffer_store_dword v3, off, s[0:3], 0 offset:244
	s_waitcnt vmcnt(0)
	ds_write_b64 v133, v[1:2]
.LBB123_313:
	s_or_b32 exec_lo, exec_lo, s4
	s_waitcnt lgkmcnt(0)
	s_waitcnt_vscnt null, 0x0
	s_barrier
	buffer_gl0_inv
	s_clause 0x3b
	buffer_load_dword v165, off, s[0:3], 0 offset:252
	buffer_load_dword v166, off, s[0:3], 0 offset:260
	;; [unrolled: 1-line block ×60, first 2 shown]
	v_mov_b32_e32 v1, 0
	ds_read2_b64 v[153:156], v1 offset0:91 offset1:92
	ds_read2_b64 v[157:160], v1 offset0:93 offset1:94
	ds_read2_b64 v[161:164], v1 offset0:95 offset1:96
	s_mov_b32 s4, exec_lo
	s_waitcnt vmcnt(59) lgkmcnt(2)
	v_mul_f32_e32 v195, v153, v165
	s_waitcnt vmcnt(58)
	v_mul_f32_e32 v196, v155, v166
	v_mul_f32_e32 v165, v154, v165
	;; [unrolled: 1-line block ×3, first 2 shown]
	s_waitcnt vmcnt(55)
	v_fmac_f32_e32 v195, v154, v168
	v_fmac_f32_e32 v196, v156, v167
	v_fma_f32 v165, v153, v168, -v165
	v_fma_f32 v166, v155, v167, -v166
	ds_read2_b64 v[153:156], v1 offset0:97 offset1:98
	s_waitcnt vmcnt(54) lgkmcnt(2)
	v_mul_f32_e32 v197, v157, v149
	v_mul_f32_e32 v149, v158, v149
	s_waitcnt vmcnt(53)
	v_mul_f32_e32 v198, v159, v148
	v_mul_f32_e32 v148, v160, v148
	s_waitcnt vmcnt(47) lgkmcnt(1)
	v_mul_f32_e32 v167, v164, v172
	v_fmac_f32_e32 v197, v158, v144
	v_fma_f32 v144, v157, v144, -v149
	v_fmac_f32_e32 v198, v160, v171
	v_fma_f32 v148, v159, v171, -v148
	ds_read2_b64 v[157:160], v1 offset0:99 offset1:100
	v_mul_f32_e32 v199, v163, v172
	v_mul_f32_e32 v149, v161, v146
	;; [unrolled: 1-line block ×3, first 2 shown]
	v_fma_f32 v200, v163, v169, -v167
	v_fmac_f32_e32 v199, v164, v169
	v_add_f32_e32 v169, 0, v195
	v_fmac_f32_e32 v149, v162, v170
	v_fma_f32 v146, v161, v170, -v146
	s_waitcnt vmcnt(46) lgkmcnt(1)
	v_mul_f32_e32 v201, v153, v173
	v_mul_f32_e32 v167, v154, v173
	ds_read2_b64 v[161:164], v1 offset0:101 offset1:102
	v_add_f32_e32 v169, v169, v196
	s_waitcnt vmcnt(45)
	v_mul_f32_e32 v202, v155, v174
	v_fmac_f32_e32 v201, v154, v151
	v_add_f32_e32 v154, 0, v165
	v_mul_f32_e32 v168, v156, v174
	v_add_f32_e32 v169, v169, v197
	s_waitcnt vmcnt(41)
	v_fmac_f32_e32 v202, v156, v177
	v_fma_f32 v151, v153, v151, -v167
	v_add_f32_e32 v170, v154, v166
	v_fma_f32 v177, v155, v177, -v168
	v_add_f32_e32 v169, v169, v198
	ds_read2_b64 v[153:156], v1 offset0:103 offset1:104
	ds_read2_b64 v[165:168], v1 offset0:105 offset1:106
	s_waitcnt vmcnt(40) lgkmcnt(3)
	v_mul_f32_e32 v195, v157, v178
	v_add_f32_e32 v144, v170, v144
	v_mul_f32_e32 v170, v158, v178
	v_add_f32_e32 v149, v169, v149
	s_waitcnt vmcnt(39)
	v_mul_f32_e32 v171, v160, v179
	v_mul_f32_e32 v196, v159, v179
	v_add_f32_e32 v144, v144, v148
	s_waitcnt vmcnt(37) lgkmcnt(2)
	v_mul_f32_e32 v148, v163, v145
	v_mul_f32_e32 v145, v164, v145
	v_fma_f32 v178, v157, v176, -v170
	v_fmac_f32_e32 v195, v158, v176
	v_add_f32_e32 v144, v144, v146
	v_add_f32_e32 v146, v149, v199
	s_waitcnt vmcnt(33)
	v_fma_f32 v149, v163, v183, -v145
	v_mul_f32_e32 v197, v161, v180
	v_mul_f32_e32 v173, v162, v180
	v_add_f32_e32 v144, v144, v200
	v_add_f32_e32 v145, v146, v201
	v_fma_f32 v198, v159, v175, -v171
	s_waitcnt vmcnt(32) lgkmcnt(1)
	v_mul_f32_e32 v146, v153, v184
	v_mul_f32_e32 v179, v154, v184
	v_add_f32_e32 v144, v144, v151
	v_add_f32_e32 v145, v145, v202
	v_fmac_f32_e32 v196, v160, v175
	v_fmac_f32_e32 v148, v164, v183
	;; [unrolled: 1-line block ×3, first 2 shown]
	v_add_f32_e32 v144, v144, v177
	v_add_f32_e32 v183, v145, v195
	v_fma_f32 v141, v161, v141, -v173
	ds_read2_b64 v[157:160], v1 offset0:107 offset1:108
	ds_read2_b64 v[169:172], v1 offset0:109 offset1:110
	s_waitcnt vmcnt(31)
	v_mul_f32_e32 v151, v155, v185
	v_add_f32_e32 v184, v144, v178
	v_add_f32_e32 v183, v183, v196
	v_mul_f32_e32 v180, v156, v185
	v_fmac_f32_e32 v146, v154, v182
	v_fma_f32 v182, v153, v182, -v179
	v_add_f32_e32 v184, v184, v198
	v_add_f32_e32 v183, v183, v197
	v_fmac_f32_e32 v151, v156, v181
	v_fma_f32 v181, v155, v181, -v180
	s_waitcnt vmcnt(30) lgkmcnt(2)
	v_mul_f32_e32 v185, v165, v139
	v_add_f32_e32 v141, v184, v141
	v_add_f32_e32 v148, v183, v148
	v_mul_f32_e32 v139, v166, v139
	s_waitcnt vmcnt(29)
	v_mul_f32_e32 v195, v167, v140
	v_mul_f32_e32 v140, v168, v140
	v_add_f32_e32 v141, v141, v149
	v_add_f32_e32 v146, v148, v146
	v_fmac_f32_e32 v185, v166, v135
	v_fma_f32 v135, v165, v135, -v139
	s_waitcnt vmcnt(28) lgkmcnt(1)
	v_mul_f32_e32 v196, v157, v136
	v_add_f32_e32 v141, v141, v182
	v_add_f32_e32 v146, v146, v151
	v_mul_f32_e32 v136, v158, v136
	s_waitcnt vmcnt(20)
	v_fma_f32 v140, v167, v189, -v140
	ds_read2_b64 v[161:164], v1 offset0:111 offset1:112
	ds_read2_b64 v[173:176], v1 offset0:113 offset1:114
	v_add_f32_e32 v141, v141, v181
	v_fmac_f32_e32 v195, v168, v189
	v_mul_f32_e32 v184, v159, v10
	v_mul_f32_e32 v10, v160, v10
	v_fma_f32 v136, v157, v188, -v136
	v_add_f32_e32 v135, v141, v135
	v_add_f32_e32 v141, v146, v185
	v_fmac_f32_e32 v196, v158, v188
	s_waitcnt lgkmcnt(2)
	v_mul_f32_e32 v139, v169, v8
	v_mul_f32_e32 v8, v170, v8
	v_add_f32_e32 v135, v135, v140
	v_add_f32_e32 v140, v141, v195
	v_fma_f32 v10, v159, v187, -v10
	v_fmac_f32_e32 v184, v160, v187
	v_mul_f32_e32 v165, v171, v6
	v_add_f32_e32 v135, v135, v136
	v_add_f32_e32 v136, v140, v196
	v_mul_f32_e32 v6, v172, v6
	v_fma_f32 v8, v169, v186, -v8
	v_fmac_f32_e32 v139, v170, v186
	v_add_f32_e32 v10, v135, v10
	v_add_f32_e32 v135, v136, v184
	s_waitcnt lgkmcnt(1)
	v_mul_f32_e32 v149, v161, v5
	v_mul_f32_e32 v5, v162, v5
	s_waitcnt vmcnt(8)
	v_fma_f32 v6, v171, v194, -v6
	v_add_f32_e32 v8, v10, v8
	v_fmac_f32_e32 v165, v172, v194
	v_add_f32_e32 v10, v135, v139
	ds_read2_b64 v[153:156], v1 offset0:115 offset1:116
	ds_read2_b64 v[177:180], v1 offset0:117 offset1:118
	ds_read_b64 v[144:145], v1 offset:952
	v_mul_f32_e32 v135, v164, v190
	v_fma_f32 v5, v161, v193, -v5
	v_add_f32_e32 v6, v8, v6
	v_mul_f32_e32 v166, v163, v190
	v_fmac_f32_e32 v149, v162, v193
	v_add_f32_e32 v8, v10, v165
	s_waitcnt lgkmcnt(3)
	v_mul_f32_e32 v10, v174, v191
	v_fma_f32 v135, v163, v192, -v135
	v_add_f32_e32 v5, v6, v5
	v_mul_f32_e32 v167, v173, v191
	v_fmac_f32_e32 v166, v164, v192
	v_add_f32_e32 v6, v8, v149
	v_mul_f32_e32 v8, v176, v147
	v_fma_f32 v10, v173, v152, -v10
	v_add_f32_e32 v5, v5, v135
	v_mul_f32_e32 v148, v175, v147
	v_fmac_f32_e32 v167, v174, v152
	v_add_f32_e32 v6, v6, v166
	s_waitcnt lgkmcnt(2)
	v_mul_f32_e32 v135, v154, v142
	s_waitcnt vmcnt(4)
	v_fma_f32 v8, v175, v150, -v8
	v_add_f32_e32 v5, v5, v10
	v_mul_f32_e32 v168, v153, v142
	v_fmac_f32_e32 v148, v176, v150
	v_add_f32_e32 v6, v6, v167
	v_mul_f32_e32 v10, v156, v138
	v_fma_f32 v135, v153, v143, -v135
	v_add_f32_e32 v5, v5, v8
	v_mul_f32_e32 v182, v155, v138
	v_fmac_f32_e32 v168, v154, v143
	v_add_f32_e32 v6, v6, v148
	s_waitcnt lgkmcnt(1)
	v_mul_f32_e32 v8, v178, v134
	v_fma_f32 v10, v155, v137, -v10
	v_add_f32_e32 v5, v5, v135
	v_mul_f32_e32 v151, v177, v134
	v_fmac_f32_e32 v182, v156, v137
	v_add_f32_e32 v6, v6, v168
	v_mul_f32_e32 v181, v179, v9
	v_mul_f32_e32 v9, v180, v9
	v_fma_f32 v8, v177, v12, -v8
	v_add_f32_e32 v5, v5, v10
	v_fmac_f32_e32 v151, v178, v12
	v_add_f32_e32 v6, v6, v182
	s_waitcnt lgkmcnt(0)
	v_mul_f32_e32 v146, v144, v4
	v_mul_f32_e32 v4, v145, v4
	s_waitcnt vmcnt(2)
	v_fma_f32 v9, v179, v11, -v9
	v_add_f32_e32 v5, v5, v8
	v_fmac_f32_e32 v181, v180, v11
	v_add_f32_e32 v6, v6, v151
	v_fma_f32 v4, v144, v7, -v4
	v_fmac_f32_e32 v146, v145, v7
	v_add_f32_e32 v5, v5, v9
	v_add_f32_e32 v6, v6, v181
	v_add_f32_e32 v4, v5, v4
	v_add_f32_e32 v5, v6, v146
	s_waitcnt vmcnt(1)
	v_sub_f32_e32 v2, v2, v4
	s_waitcnt vmcnt(0)
	v_sub_f32_e32 v3, v3, v5
	buffer_store_dword v2, off, s[0:3], 0 offset:240
	buffer_store_dword v3, off, s[0:3], 0 offset:244
	v_cmpx_lt_u32_e32 29, v0
	s_cbranch_execz .LBB123_315
; %bb.314:
	s_clause 0x1
	buffer_load_dword v2, off, s[0:3], 0 offset:232
	buffer_load_dword v3, off, s[0:3], 0 offset:236
	buffer_store_dword v1, off, s[0:3], 0 offset:232
	buffer_store_dword v1, off, s[0:3], 0 offset:236
	s_waitcnt vmcnt(0)
	ds_write_b64 v133, v[2:3]
.LBB123_315:
	s_or_b32 exec_lo, exec_lo, s4
	s_waitcnt lgkmcnt(0)
	s_waitcnt_vscnt null, 0x0
	s_barrier
	buffer_gl0_inv
	s_clause 0x3d
	buffer_load_dword v163, off, s[0:3], 0 offset:244
	buffer_load_dword v164, off, s[0:3], 0 offset:252
	;; [unrolled: 1-line block ×62, first 2 shown]
	ds_read_b128 v[155:158], v1 offset:720
	ds_read_b128 v[159:162], v1 offset:736
	s_mov_b32 s4, exec_lo
	s_waitcnt vmcnt(61) lgkmcnt(1)
	v_mul_f32_e32 v174, v155, v163
	s_waitcnt vmcnt(60)
	v_mul_f32_e32 v194, v157, v164
	v_mul_f32_e32 v163, v156, v163
	;; [unrolled: 1-line block ×3, first 2 shown]
	s_waitcnt vmcnt(57)
	v_fmac_f32_e32 v174, v156, v166
	v_fmac_f32_e32 v194, v158, v165
	v_fma_f32 v163, v155, v166, -v163
	v_fma_f32 v195, v157, v165, -v164
	ds_read_b128 v[155:158], v1 offset:752
	s_waitcnt vmcnt(56) lgkmcnt(1)
	v_mul_f32_e32 v196, v159, v167
	v_mul_f32_e32 v164, v160, v167
	s_waitcnt vmcnt(55)
	v_mul_f32_e32 v197, v161, v168
	v_mul_f32_e32 v165, v162, v168
	v_fmac_f32_e32 v196, v160, v152
	v_fma_f32 v152, v159, v152, -v164
	s_waitcnt vmcnt(51)
	v_fmac_f32_e32 v197, v162, v169
	v_fma_f32 v198, v161, v169, -v165
	ds_read_b128 v[159:162], v1 offset:768
	s_waitcnt vmcnt(49) lgkmcnt(1)
	v_mul_f32_e32 v200, v157, v147
	v_mul_f32_e32 v147, v158, v147
	;; [unrolled: 1-line block ×4, first 2 shown]
	v_fmac_f32_e32 v200, v158, v142
	v_fma_f32 v142, v157, v142, -v147
	v_fmac_f32_e32 v199, v156, v143
	v_fma_f32 v143, v155, v143, -v148
	ds_read_b128 v[155:158], v1 offset:784
	s_waitcnt vmcnt(48) lgkmcnt(1)
	v_mul_f32_e32 v201, v159, v11
	v_mul_f32_e32 v11, v160, v11
	s_waitcnt vmcnt(47)
	v_mul_f32_e32 v202, v161, v170
	v_mul_f32_e32 v147, v162, v170
	v_add_f32_e32 v148, 0, v174
	v_fmac_f32_e32 v201, v160, v7
	v_fma_f32 v7, v159, v7, -v11
	s_waitcnt vmcnt(43)
	v_fmac_f32_e32 v202, v162, v171
	v_fma_f32 v11, v161, v171, -v147
	ds_read_b128 v[159:162], v1 offset:800
	v_add_f32_e32 v147, 0, v163
	v_add_f32_e32 v148, v148, v194
	ds_read_b128 v[163:166], v1 offset:816
	ds_read_b128 v[167:170], v1 offset:832
	v_add_f32_e32 v147, v147, v195
	v_add_f32_e32 v148, v148, v196
	s_waitcnt vmcnt(42) lgkmcnt(3)
	v_mul_f32_e32 v195, v155, v154
	v_add_f32_e32 v147, v147, v152
	v_add_f32_e32 v148, v148, v197
	v_mul_f32_e32 v154, v156, v154
	s_waitcnt vmcnt(41)
	v_mul_f32_e32 v194, v157, v146
	v_mul_f32_e32 v146, v158, v146
	v_add_f32_e32 v147, v147, v198
	v_fmac_f32_e32 v195, v156, v149
	v_fma_f32 v152, v155, v149, -v154
	v_fmac_f32_e32 v194, v158, v9
	s_waitcnt vmcnt(40) lgkmcnt(2)
	v_mul_f32_e32 v196, v159, v144
	v_mul_f32_e32 v144, v160, v144
	v_add_f32_e32 v143, v147, v143
	v_add_f32_e32 v147, v148, v199
	s_waitcnt vmcnt(39)
	v_mul_f32_e32 v197, v161, v150
	v_fmac_f32_e32 v196, v160, v8
	v_fma_f32 v144, v159, v8, -v144
	v_add_f32_e32 v8, v143, v142
	v_add_f32_e32 v142, v147, v200
	v_mul_f32_e32 v150, v162, v150
	s_waitcnt vmcnt(38) lgkmcnt(1)
	v_mul_f32_e32 v198, v163, v138
	v_mul_f32_e32 v138, v164, v138
	v_add_f32_e32 v7, v8, v7
	v_add_f32_e32 v8, v142, v201
	v_fma_f32 v9, v157, v9, -v146
	s_waitcnt vmcnt(32) lgkmcnt(0)
	v_mul_f32_e32 v142, v167, v136
	v_mul_f32_e32 v136, v168, v136
	v_add_f32_e32 v7, v7, v11
	v_add_f32_e32 v8, v8, v202
	v_mul_f32_e32 v11, v165, v139
	v_fmac_f32_e32 v197, v162, v173
	v_fma_f32 v143, v161, v173, -v150
	v_add_f32_e32 v7, v7, v152
	v_fma_f32 v150, v163, v172, -v138
	s_waitcnt vmcnt(31)
	v_mul_f32_e32 v162, v170, v137
	v_add_f32_e32 v163, v8, v195
	v_mul_f32_e32 v138, v166, v139
	v_fmac_f32_e32 v11, v166, v12
	v_fma_f32 v166, v167, v10, -v136
	v_add_f32_e32 v167, v7, v9
	v_mul_f32_e32 v152, v169, v137
	v_fmac_f32_e32 v142, v168, v10
	s_waitcnt vmcnt(27)
	v_fma_f32 v168, v169, v178, -v162
	v_add_f32_e32 v169, v163, v194
	v_add_f32_e32 v144, v167, v144
	ds_read_b128 v[146:149], v1 offset:848
	ds_read_b128 v[154:157], v1 offset:864
	v_fmac_f32_e32 v198, v164, v172
	v_fma_f32 v12, v165, v12, -v138
	v_add_f32_e32 v169, v169, v196
	v_add_f32_e32 v143, v144, v143
	ds_read_b128 v[158:161], v1 offset:880
	ds_read_b128 v[171:174], v1 offset:896
	;; [unrolled: 1-line block ×4, first 2 shown]
	v_fmac_f32_e32 v152, v170, v178
	v_add_f32_e32 v169, v169, v197
	v_add_f32_e32 v143, v143, v150
	ds_read_b128 v[162:165], v1 offset:944
	v_add_f32_e32 v169, v169, v198
	v_add_f32_e32 v12, v143, v12
	;; [unrolled: 1-line block ×3, first 2 shown]
	s_waitcnt vmcnt(26) lgkmcnt(6)
	v_mul_f32_e32 v167, v147, v179
	v_add_f32_e32 v12, v12, v166
	v_mul_f32_e32 v1, v146, v179
	s_waitcnt vmcnt(25)
	v_mul_f32_e32 v178, v149, v180
	v_add_f32_e32 v11, v11, v142
	v_fma_f32 v146, v146, v177, -v167
	v_add_f32_e32 v12, v12, v168
	v_mul_f32_e32 v170, v148, v180
	v_fmac_f32_e32 v1, v147, v177
	v_add_f32_e32 v11, v11, v152
	s_waitcnt vmcnt(24) lgkmcnt(5)
	v_mul_f32_e32 v152, v155, v181
	v_fma_f32 v148, v148, v176, -v178
	v_add_f32_e32 v12, v12, v146
	v_mul_f32_e32 v144, v154, v181
	v_fmac_f32_e32 v170, v149, v176
	v_add_f32_e32 v1, v11, v1
	s_waitcnt vmcnt(23)
	v_mul_f32_e32 v11, v157, v182
	v_fma_f32 v146, v154, v175, -v152
	v_add_f32_e32 v12, v12, v148
	v_mul_f32_e32 v179, v156, v182
	v_fmac_f32_e32 v144, v155, v175
	v_add_f32_e32 v1, v1, v170
	s_waitcnt vmcnt(22) lgkmcnt(4)
	v_mul_f32_e32 v148, v159, v183
	s_waitcnt vmcnt(9)
	v_fma_f32 v11, v156, v188, -v11
	v_add_f32_e32 v12, v12, v146
	v_mul_f32_e32 v180, v158, v183
	v_fmac_f32_e32 v179, v157, v188
	v_add_f32_e32 v1, v1, v144
	v_mul_f32_e32 v144, v161, v184
	v_fma_f32 v146, v158, v187, -v148
	v_add_f32_e32 v11, v12, v11
	v_mul_f32_e32 v150, v160, v184
	v_fmac_f32_e32 v180, v159, v187
	v_add_f32_e32 v1, v1, v179
	s_waitcnt lgkmcnt(3)
	v_mul_f32_e32 v12, v172, v185
	v_fma_f32 v144, v160, v186, -v144
	v_add_f32_e32 v11, v11, v146
	v_mul_f32_e32 v194, v171, v185
	v_fmac_f32_e32 v150, v161, v186
	v_add_f32_e32 v1, v1, v180
	v_mul_f32_e32 v195, v173, v145
	v_mul_f32_e32 v145, v174, v145
	v_fma_f32 v12, v171, v153, -v12
	v_add_f32_e32 v11, v11, v144
	v_fmac_f32_e32 v194, v172, v153
	v_add_f32_e32 v1, v1, v150
	s_waitcnt lgkmcnt(2)
	v_mul_f32_e32 v143, v7, v140
	v_mul_f32_e32 v140, v8, v140
	s_waitcnt vmcnt(5)
	v_fma_f32 v144, v173, v151, -v145
	v_add_f32_e32 v11, v11, v12
	v_fmac_f32_e32 v195, v174, v151
	v_add_f32_e32 v1, v1, v194
	v_mul_f32_e32 v12, v10, v134
	v_fmac_f32_e32 v143, v8, v141
	v_fma_f32 v7, v7, v141, -v140
	v_add_f32_e32 v8, v11, v144
	v_mul_f32_e32 v169, v9, v134
	v_add_f32_e32 v1, v1, v195
	s_waitcnt lgkmcnt(1)
	v_mul_f32_e32 v196, v136, v6
	v_mul_f32_e32 v6, v137, v6
	v_fma_f32 v9, v9, v135, -v12
	v_add_f32_e32 v7, v8, v7
	v_fmac_f32_e32 v169, v10, v135
	v_add_f32_e32 v1, v1, v143
	v_mul_f32_e32 v166, v138, v4
	v_mul_f32_e32 v4, v139, v4
	v_fmac_f32_e32 v196, v137, v5
	v_fma_f32 v5, v136, v5, -v6
	v_add_f32_e32 v6, v7, v9
	v_add_f32_e32 v1, v1, v169
	s_waitcnt lgkmcnt(0)
	v_mul_f32_e32 v142, v162, v3
	v_mul_f32_e32 v3, v163, v3
	s_waitcnt vmcnt(2)
	v_fma_f32 v4, v138, v191, -v4
	v_add_f32_e32 v5, v6, v5
	v_fmac_f32_e32 v166, v139, v191
	v_add_f32_e32 v1, v1, v196
	v_mul_f32_e32 v147, v164, v2
	v_mul_f32_e32 v2, v165, v2
	v_fma_f32 v3, v162, v190, -v3
	v_add_f32_e32 v4, v5, v4
	v_fmac_f32_e32 v142, v163, v190
	v_add_f32_e32 v1, v1, v166
	v_fma_f32 v2, v164, v189, -v2
	v_fmac_f32_e32 v147, v165, v189
	v_add_f32_e32 v3, v4, v3
	v_add_f32_e32 v1, v1, v142
	;; [unrolled: 1-line block ×4, first 2 shown]
	s_waitcnt vmcnt(1)
	v_sub_f32_e32 v2, v192, v2
	s_waitcnt vmcnt(0)
	v_sub_f32_e32 v1, v193, v1
	buffer_store_dword v2, off, s[0:3], 0 offset:232
	buffer_store_dword v1, off, s[0:3], 0 offset:236
	v_cmpx_lt_u32_e32 28, v0
	s_cbranch_execz .LBB123_317
; %bb.316:
	s_clause 0x1
	buffer_load_dword v1, off, s[0:3], 0 offset:224
	buffer_load_dword v2, off, s[0:3], 0 offset:228
	v_mov_b32_e32 v3, 0
	buffer_store_dword v3, off, s[0:3], 0 offset:224
	buffer_store_dword v3, off, s[0:3], 0 offset:228
	s_waitcnt vmcnt(0)
	ds_write_b64 v133, v[1:2]
.LBB123_317:
	s_or_b32 exec_lo, exec_lo, s4
	s_waitcnt lgkmcnt(0)
	s_waitcnt_vscnt null, 0x0
	s_barrier
	buffer_gl0_inv
	s_clause 0x3e
	buffer_load_dword v7, off, s[0:3], 0 offset:236
	buffer_load_dword v8, off, s[0:3], 0 offset:244
	;; [unrolled: 1-line block ×64, first 2 shown]
	v_mov_b32_e32 v1, 0
	ds_read2_b64 v[173:176], v1 offset0:89 offset1:90
	ds_read2_b64 v[177:180], v1 offset0:91 offset1:92
	s_mov_b32 s4, exec_lo
	ds_read2_b64 v[185:188], v1 offset0:103 offset1:104
	s_waitcnt vmcnt(62) lgkmcnt(2)
	v_mul_f32_e32 v181, v173, v7
	v_mul_f32_e32 v182, v175, v8
	;; [unrolled: 1-line block ×4, first 2 shown]
	s_waitcnt vmcnt(59)
	v_fmac_f32_e32 v181, v174, v137
	v_fmac_f32_e32 v182, v176, v136
	v_fma_f32 v7, v173, v137, -v7
	v_fma_f32 v8, v175, v136, -v8
	ds_read2_b64 v[173:176], v1 offset0:93 offset1:94
	s_waitcnt vmcnt(58) lgkmcnt(2)
	v_mul_f32_e32 v136, v177, v11
	s_waitcnt vmcnt(57)
	v_mul_f32_e32 v137, v179, v12
	v_mul_f32_e32 v11, v178, v11
	;; [unrolled: 1-line block ×3, first 2 shown]
	v_add_f32_e32 v7, 0, v7
	v_fmac_f32_e32 v136, v178, v5
	s_waitcnt vmcnt(53)
	v_fmac_f32_e32 v137, v180, v163
	v_fma_f32 v5, v177, v5, -v11
	v_fma_f32 v11, v179, v163, -v12
	ds_read2_b64 v[177:180], v1 offset0:95 offset1:96
	v_add_f32_e32 v7, v7, v8
	v_add_f32_e32 v5, v7, v5
	s_waitcnt vmcnt(51) lgkmcnt(1)
	v_mul_f32_e32 v163, v175, v161
	v_mul_f32_e32 v161, v176, v161
	;; [unrolled: 1-line block ×4, first 2 shown]
	v_add_f32_e32 v5, v5, v11
	v_fmac_f32_e32 v163, v176, v154
	v_fma_f32 v154, v175, v154, -v161
	v_fmac_f32_e32 v12, v174, v158
	v_fma_f32 v158, v173, v158, -v162
	ds_read2_b64 v[173:176], v1 offset0:97 offset1:98
	s_waitcnt vmcnt(50) lgkmcnt(1)
	v_mul_f32_e32 v161, v177, v157
	v_mul_f32_e32 v157, v178, v157
	s_waitcnt vmcnt(49)
	v_mul_f32_e32 v203, v179, v155
	v_mul_f32_e32 v155, v180, v155
	v_add_f32_e32 v5, v5, v158
	v_fmac_f32_e32 v161, v178, v148
	v_fma_f32 v148, v177, v148, -v157
	v_add_f32_e32 v157, 0, v181
	s_waitcnt vmcnt(45)
	v_fmac_f32_e32 v203, v180, v171
	v_fma_f32 v155, v179, v171, -v155
	ds_read2_b64 v[177:180], v1 offset0:99 offset1:100
	v_add_f32_e32 v5, v5, v154
	v_add_f32_e32 v157, v157, v182
	ds_read2_b64 v[181:184], v1 offset0:101 offset1:102
	v_add_f32_e32 v5, v5, v148
	v_add_f32_e32 v8, v157, v136
	s_waitcnt vmcnt(44) lgkmcnt(2)
	v_mul_f32_e32 v157, v174, v169
	v_mul_f32_e32 v136, v173, v169
	v_add_f32_e32 v5, v5, v155
	v_add_f32_e32 v7, v8, v137
	s_waitcnt vmcnt(43)
	v_mul_f32_e32 v11, v175, v165
	v_fma_f32 v8, v173, v166, -v157
	v_fmac_f32_e32 v136, v174, v166
	v_add_f32_e32 v7, v7, v12
	v_mul_f32_e32 v12, v176, v165
	v_add_f32_e32 v5, v5, v8
	s_waitcnt vmcnt(42) lgkmcnt(1)
	v_mul_f32_e32 v137, v177, v164
	v_mul_f32_e32 v157, v178, v164
	v_add_f32_e32 v7, v7, v163
	v_fma_f32 v12, v175, v146, -v12
	v_fmac_f32_e32 v11, v176, v146
	s_waitcnt vmcnt(41)
	v_mul_f32_e32 v165, v180, v167
	v_fmac_f32_e32 v137, v178, v144
	v_add_f32_e32 v7, v7, v161
	v_fma_f32 v144, v177, v144, -v157
	v_add_f32_e32 v5, v5, v12
	v_mul_f32_e32 v158, v179, v167
	s_waitcnt vmcnt(40) lgkmcnt(0)
	v_mul_f32_e32 v146, v182, v156
	v_add_f32_e32 v7, v7, v203
	s_waitcnt vmcnt(36)
	v_fma_f32 v165, v179, v172, -v165
	v_add_f32_e32 v5, v5, v144
	v_mul_f32_e32 v166, v181, v156
	ds_read2_b64 v[161:164], v1 offset0:105 offset1:106
	ds_read2_b64 v[173:176], v1 offset0:107 offset1:108
	v_add_f32_e32 v7, v7, v136
	v_fmac_f32_e32 v158, v180, v172
	v_fma_f32 v167, v181, v170, -v146
	s_waitcnt vmcnt(35)
	v_mul_f32_e32 v146, v184, v159
	v_add_f32_e32 v5, v5, v165
	v_add_f32_e32 v7, v7, v11
	v_fmac_f32_e32 v166, v182, v170
	v_mul_f32_e32 v136, v183, v159
	s_waitcnt vmcnt(34)
	v_mul_f32_e32 v159, v185, v152
	s_waitcnt vmcnt(33)
	v_mul_f32_e32 v11, v187, v153
	v_add_f32_e32 v12, v7, v137
	v_mul_f32_e32 v8, v186, v152
	v_mul_f32_e32 v152, v188, v153
	v_fma_f32 v153, v183, v149, -v146
	v_add_f32_e32 v5, v5, v167
	v_add_f32_e32 v12, v12, v158
	v_fmac_f32_e32 v136, v184, v149
	v_fma_f32 v185, v185, v147, -v8
	v_fmac_f32_e32 v159, v186, v147
	v_add_f32_e32 v5, v5, v153
	v_add_f32_e32 v12, v12, v166
	s_waitcnt vmcnt(28)
	v_fma_f32 v137, v187, v160, -v152
	s_waitcnt vmcnt(27) lgkmcnt(1)
	v_mul_f32_e32 v144, v161, v150
	v_mul_f32_e32 v150, v162, v150
	v_add_f32_e32 v5, v5, v185
	v_add_f32_e32 v12, v12, v136
	ds_read2_b64 v[154:157], v1 offset0:109 offset1:110
	ds_read2_b64 v[169:172], v1 offset0:111 offset1:112
	v_fmac_f32_e32 v11, v188, v160
	s_waitcnt vmcnt(26)
	v_mul_f32_e32 v152, v163, v151
	v_mul_f32_e32 v151, v164, v151
	v_add_f32_e32 v12, v12, v159
	v_fmac_f32_e32 v144, v162, v145
	v_fma_f32 v145, v161, v145, -v150
	v_add_f32_e32 v5, v5, v137
	s_waitcnt lgkmcnt(2)
	v_mul_f32_e32 v158, v173, v143
	v_add_f32_e32 v11, v12, v11
	v_mul_f32_e32 v143, v174, v143
	v_fmac_f32_e32 v152, v164, v142
	v_fma_f32 v142, v163, v142, -v151
	v_add_f32_e32 v5, v5, v145
	v_add_f32_e32 v11, v11, v144
	s_waitcnt vmcnt(25)
	v_mul_f32_e32 v12, v176, v141
	v_fmac_f32_e32 v158, v174, v2
	v_fma_f32 v2, v173, v2, -v143
	v_add_f32_e32 v5, v5, v142
	v_mul_f32_e32 v160, v175, v141
	v_add_f32_e32 v11, v11, v152
	s_waitcnt vmcnt(24) lgkmcnt(1)
	v_mul_f32_e32 v150, v154, v140
	v_mul_f32_e32 v140, v155, v140
	s_waitcnt vmcnt(13)
	v_fma_f32 v12, v175, v189, -v12
	v_add_f32_e32 v2, v5, v2
	ds_read2_b64 v[146:149], v1 offset0:113 offset1:114
	ds_read2_b64 v[177:180], v1 offset0:115 offset1:116
	v_fmac_f32_e32 v160, v176, v189
	v_add_f32_e32 v5, v11, v158
	v_mul_f32_e32 v136, v156, v138
	v_mul_f32_e32 v11, v157, v138
	s_waitcnt vmcnt(10)
	v_fma_f32 v138, v154, v192, -v140
	v_add_f32_e32 v2, v2, v12
	v_fmac_f32_e32 v150, v155, v192
	v_add_f32_e32 v5, v5, v160
	s_waitcnt lgkmcnt(2)
	v_mul_f32_e32 v12, v170, v139
	v_fma_f32 v11, v156, v191, -v11
	v_add_f32_e32 v2, v2, v138
	v_mul_f32_e32 v153, v169, v139
	v_fmac_f32_e32 v136, v157, v191
	v_add_f32_e32 v5, v5, v150
	v_mul_f32_e32 v151, v171, v135
	v_mul_f32_e32 v135, v172, v135
	v_fma_f32 v12, v169, v190, -v12
	v_add_f32_e32 v2, v2, v11
	v_fmac_f32_e32 v153, v170, v190
	v_add_f32_e32 v5, v5, v136
	s_waitcnt lgkmcnt(1)
	v_mul_f32_e32 v161, v146, v134
	v_mul_f32_e32 v11, v147, v134
	s_waitcnt vmcnt(6)
	v_fma_f32 v134, v171, v196, -v135
	v_add_f32_e32 v2, v2, v12
	ds_read2_b64 v[181:184], v1 offset0:117 offset1:118
	ds_read_b64 v[7:8], v1 offset:952
	v_fmac_f32_e32 v151, v172, v196
	v_add_f32_e32 v5, v5, v153
	v_mul_f32_e32 v159, v148, v10
	v_mul_f32_e32 v10, v149, v10
	v_fma_f32 v11, v146, v195, -v11
	v_add_f32_e32 v2, v2, v134
	v_fmac_f32_e32 v161, v147, v195
	v_add_f32_e32 v5, v5, v151
	s_waitcnt lgkmcnt(2)
	v_mul_f32_e32 v162, v177, v9
	v_mul_f32_e32 v9, v178, v9
	v_fma_f32 v10, v148, v194, -v10
	v_add_f32_e32 v2, v2, v11
	v_fmac_f32_e32 v159, v149, v194
	v_add_f32_e32 v5, v5, v161
	v_mul_f32_e32 v163, v179, v6
	v_mul_f32_e32 v6, v180, v6
	v_fma_f32 v9, v177, v193, -v9
	v_add_f32_e32 v2, v2, v10
	v_fmac_f32_e32 v162, v178, v193
	v_add_f32_e32 v5, v5, v159
	s_waitcnt lgkmcnt(1)
	v_mul_f32_e32 v137, v181, v4
	v_mul_f32_e32 v4, v182, v4
	s_waitcnt vmcnt(2)
	v_fma_f32 v6, v179, v200, -v6
	v_add_f32_e32 v2, v2, v9
	v_fmac_f32_e32 v163, v180, v200
	v_add_f32_e32 v5, v5, v162
	v_mul_f32_e32 v141, v183, v3
	v_mul_f32_e32 v3, v184, v3
	v_fma_f32 v4, v181, v199, -v4
	v_add_f32_e32 v2, v2, v6
	v_fmac_f32_e32 v137, v182, v199
	v_add_f32_e32 v5, v5, v163
	s_waitcnt lgkmcnt(0)
	v_mul_f32_e32 v6, v8, v168
	v_fma_f32 v3, v183, v198, -v3
	v_add_f32_e32 v2, v2, v4
	v_mul_f32_e32 v144, v7, v168
	v_fmac_f32_e32 v141, v184, v198
	v_add_f32_e32 v4, v5, v137
	v_fma_f32 v5, v7, v197, -v6
	v_add_f32_e32 v2, v2, v3
	v_fmac_f32_e32 v144, v8, v197
	v_add_f32_e32 v3, v4, v141
	v_add_f32_e32 v2, v2, v5
	;; [unrolled: 1-line block ×3, first 2 shown]
	s_waitcnt vmcnt(1)
	v_sub_f32_e32 v2, v201, v2
	s_waitcnt vmcnt(0)
	v_sub_f32_e32 v3, v202, v3
	buffer_store_dword v2, off, s[0:3], 0 offset:224
	buffer_store_dword v3, off, s[0:3], 0 offset:228
	v_cmpx_lt_u32_e32 27, v0
	s_cbranch_execz .LBB123_319
; %bb.318:
	s_clause 0x1
	buffer_load_dword v2, off, s[0:3], 0 offset:216
	buffer_load_dword v3, off, s[0:3], 0 offset:220
	buffer_store_dword v1, off, s[0:3], 0 offset:216
	buffer_store_dword v1, off, s[0:3], 0 offset:220
	s_waitcnt vmcnt(0)
	ds_write_b64 v133, v[2:3]
.LBB123_319:
	s_or_b32 exec_lo, exec_lo, s4
	s_waitcnt lgkmcnt(0)
	s_waitcnt_vscnt null, 0x0
	s_barrier
	buffer_gl0_inv
	s_clause 0x31
	buffer_load_dword v135, off, s[0:3], 0 offset:228
	buffer_load_dword v4, off, s[0:3], 0 offset:236
	;; [unrolled: 1-line block ×50, first 2 shown]
	ds_read_b128 v[167:170], v1 offset:704
	s_clause 0x1
	buffer_load_dword v185, off, s[0:3], 0 offset:476
	buffer_load_dword v186, off, s[0:3], 0 offset:376
	ds_read_b128 v[171:174], v1 offset:720
	s_clause 0x2
	buffer_load_dword v187, off, s[0:3], 0 offset:400
	buffer_load_dword v188, off, s[0:3], 0 offset:392
	;; [unrolled: 1-line block ×3, first 2 shown]
	ds_read_b128 v[175:178], v1 offset:736
	s_clause 0x4
	buffer_load_dword v190, off, s[0:3], 0 offset:432
	buffer_load_dword v191, off, s[0:3], 0 offset:424
	;; [unrolled: 1-line block ×5, first 2 shown]
	s_mov_b32 s4, exec_lo
	s_waitcnt vmcnt(59) lgkmcnt(2)
	v_mul_f32_e32 v194, v167, v135
	v_mul_f32_e32 v135, v168, v135
	s_waitcnt vmcnt(58)
	v_mul_f32_e32 v196, v169, v4
	v_mul_f32_e32 v4, v170, v4
	s_waitcnt vmcnt(55)
	v_fmac_f32_e32 v194, v168, v9
	v_fma_f32 v9, v167, v9, -v135
	v_fmac_f32_e32 v196, v170, v6
	v_fma_f32 v197, v169, v6, -v4
	ds_read_b128 v[167:170], v1 offset:752
	s_clause 0x3
	buffer_load_dword v200, off, s[0:3], 0 offset:464
	buffer_load_dword v201, off, s[0:3], 0 offset:456
	;; [unrolled: 1-line block ×4, first 2 shown]
	s_waitcnt vmcnt(57) lgkmcnt(2)
	v_mul_f32_e32 v198, v173, v7
	v_mul_f32_e32 v4, v174, v7
	s_waitcnt vmcnt(51) lgkmcnt(1)
	v_mul_f32_e32 v199, v177, v145
	buffer_load_dword v205, off, s[0:3], 0 offset:216
	v_mul_f32_e32 v135, v171, v8
	v_fmac_f32_e32 v198, v174, v146
	v_fma_f32 v146, v173, v146, -v4
	v_mul_f32_e32 v4, v178, v145
	v_fmac_f32_e32 v199, v178, v140
	buffer_load_dword v178, off, s[0:3], 0 offset:472
	v_mul_f32_e32 v8, v172, v8
	v_fmac_f32_e32 v135, v172, v3
	v_fma_f32 v7, v171, v3, -v8
	v_mul_f32_e32 v3, v176, v5
	v_mul_f32_e32 v8, v175, v5
	v_fma_f32 v145, v175, v143, -v3
	v_fma_f32 v175, v177, v140, -v4
	ds_read_b128 v[3:6], v1 offset:768
	v_fmac_f32_e32 v8, v176, v143
	s_waitcnt vmcnt(52) lgkmcnt(1)
	v_mul_f32_e32 v176, v167, v142
	v_mul_f32_e32 v140, v168, v142
	s_waitcnt vmcnt(51)
	v_mul_f32_e32 v177, v169, v141
	v_mul_f32_e32 v141, v170, v141
	v_fmac_f32_e32 v176, v168, v137
	v_fma_f32 v137, v167, v137, -v140
	s_waitcnt vmcnt(47)
	v_fmac_f32_e32 v177, v170, v163
	v_fma_f32 v163, v169, v163, -v141
	ds_read_b128 v[140:143], v1 offset:784
	ds_read_b128 v[167:170], v1 offset:816
	s_waitcnt vmcnt(46) lgkmcnt(2)
	v_mul_f32_e32 v204, v3, v162
	v_mul_f32_e32 v162, v4, v162
	v_fmac_f32_e32 v204, v4, v160
	v_fma_f32 v160, v3, v160, -v162
	v_add_f32_e32 v3, 0, v9
	v_add_f32_e32 v4, 0, v194
	s_waitcnt vmcnt(45)
	v_mul_f32_e32 v9, v5, v158
	v_mul_f32_e32 v158, v6, v158
	v_add_f32_e32 v3, v3, v197
	v_add_f32_e32 v162, v4, v196
	v_fmac_f32_e32 v9, v6, v156
	v_fma_f32 v194, v5, v156, -v158
	s_waitcnt vmcnt(44) lgkmcnt(1)
	v_mul_f32_e32 v196, v140, v152
	v_add_f32_e32 v7, v3, v7
	v_add_f32_e32 v135, v162, v135
	ds_read_b128 v[3:6], v1 offset:800
	v_fmac_f32_e32 v196, v141, v147
	v_add_f32_e32 v7, v7, v146
	v_add_f32_e32 v135, v135, v198
	v_mul_f32_e32 v146, v141, v152
	s_waitcnt vmcnt(43)
	v_mul_f32_e32 v152, v142, v150
	v_mul_f32_e32 v150, v143, v150
	v_add_f32_e32 v7, v7, v145
	v_add_f32_e32 v8, v135, v8
	v_fma_f32 v197, v140, v147, -v146
	s_waitcnt vmcnt(39)
	v_fmac_f32_e32 v152, v143, v165
	v_fma_f32 v150, v142, v165, -v150
	v_add_f32_e32 v7, v7, v175
	v_add_f32_e32 v8, v8, v199
	ds_read_b128 v[140:143], v1 offset:832
	ds_read_b128 v[171:174], v1 offset:848
	s_waitcnt vmcnt(36) lgkmcnt(3)
	v_mul_f32_e32 v147, v168, v157
	s_waitcnt vmcnt(35)
	v_mul_f32_e32 v175, v169, v144
	v_add_f32_e32 v7, v7, v137
	v_add_f32_e32 v8, v8, v176
	s_waitcnt lgkmcnt(2)
	v_mul_f32_e32 v145, v4, v161
	v_mul_f32_e32 v135, v3, v161
	;; [unrolled: 1-line block ×3, first 2 shown]
	v_add_f32_e32 v7, v7, v163
	v_add_f32_e32 v8, v8, v177
	v_fma_f32 v176, v3, v155, -v145
	v_mul_f32_e32 v165, v5, v159
	v_fmac_f32_e32 v135, v4, v155
	v_add_f32_e32 v7, v7, v160
	v_add_f32_e32 v8, v8, v204
	v_fma_f32 v198, v5, v151, -v146
	v_mul_f32_e32 v137, v167, v157
	v_fmac_f32_e32 v165, v6, v151
	v_add_f32_e32 v7, v7, v194
	v_add_f32_e32 v8, v8, v9
	v_mul_f32_e32 v144, v170, v144
	v_fma_f32 v163, v167, v139, -v147
	v_fmac_f32_e32 v137, v168, v139
	v_add_f32_e32 v7, v7, v197
	v_add_f32_e32 v8, v8, v196
	s_waitcnt vmcnt(30)
	v_fmac_f32_e32 v175, v170, v164
	v_fma_f32 v164, v169, v164, -v144
	s_waitcnt vmcnt(28) lgkmcnt(1)
	v_mul_f32_e32 v9, v142, v154
	v_add_f32_e32 v7, v7, v150
	v_add_f32_e32 v8, v8, v152
	v_mul_f32_e32 v139, v141, v153
	ds_read_b128 v[3:6], v1 offset:864
	ds_read_b128 v[155:158], v1 offset:880
	v_mul_f32_e32 v167, v140, v153
	v_add_f32_e32 v7, v7, v176
	v_add_f32_e32 v8, v8, v135
	v_mul_f32_e32 v151, v143, v154
	v_fmac_f32_e32 v9, v143, v148
	v_fma_f32 v143, v140, v149, -v139
	v_add_f32_e32 v7, v7, v198
	v_add_f32_e32 v8, v8, v165
	v_fmac_f32_e32 v167, v141, v149
	ds_read_b128 v[144:147], v1 offset:896
	ds_read_b128 v[159:162], v1 offset:912
	v_fma_f32 v153, v142, v148, -v151
	v_add_f32_e32 v7, v7, v163
	v_add_f32_e32 v8, v8, v137
	ds_read_b128 v[139:142], v1 offset:928
	ds_read_b128 v[148:151], v1 offset:944
	s_waitcnt lgkmcnt(6)
	v_mul_f32_e32 v1, v171, v136
	v_mul_f32_e32 v136, v172, v136
	v_add_f32_e32 v7, v7, v164
	v_add_f32_e32 v8, v8, v175
	s_waitcnt vmcnt(27)
	v_mul_f32_e32 v135, v173, v138
	v_mul_f32_e32 v138, v174, v138
	v_fmac_f32_e32 v1, v172, v2
	v_add_f32_e32 v7, v7, v143
	v_add_f32_e32 v8, v8, v167
	v_fma_f32 v2, v171, v2, -v136
	s_waitcnt vmcnt(26) lgkmcnt(5)
	v_mul_f32_e32 v152, v3, v134
	s_waitcnt vmcnt(14)
	v_fmac_f32_e32 v135, v174, v186
	v_add_f32_e32 v7, v7, v153
	v_add_f32_e32 v8, v8, v9
	v_mul_f32_e32 v9, v4, v134
	v_fma_f32 v134, v173, v186, -v138
	v_mul_f32_e32 v154, v5, v12
	v_add_f32_e32 v2, v7, v2
	v_add_f32_e32 v1, v8, v1
	v_mul_f32_e32 v7, v6, v12
	s_waitcnt vmcnt(11)
	v_fma_f32 v3, v3, v189, -v9
	v_fmac_f32_e32 v152, v4, v189
	v_add_f32_e32 v2, v2, v134
	v_add_f32_e32 v1, v1, v135
	s_waitcnt lgkmcnt(4)
	v_mul_f32_e32 v4, v156, v11
	v_fma_f32 v5, v5, v188, -v7
	v_mul_f32_e32 v165, v155, v11
	v_add_f32_e32 v2, v2, v3
	v_fmac_f32_e32 v154, v6, v188
	v_add_f32_e32 v1, v1, v152
	v_mul_f32_e32 v3, v158, v10
	v_fma_f32 v4, v155, v187, -v4
	v_add_f32_e32 v2, v2, v5
	v_mul_f32_e32 v163, v157, v10
	v_fmac_f32_e32 v165, v156, v187
	v_add_f32_e32 v1, v1, v154
	s_waitcnt lgkmcnt(3)
	v_mul_f32_e32 v5, v145, v179
	s_waitcnt vmcnt(7)
	v_fma_f32 v3, v157, v193, -v3
	v_add_f32_e32 v2, v2, v4
	v_mul_f32_e32 v137, v144, v179
	v_fmac_f32_e32 v163, v158, v193
	v_add_f32_e32 v1, v1, v165
	v_mul_f32_e32 v4, v147, v180
	v_fma_f32 v5, v144, v192, -v5
	v_add_f32_e32 v2, v2, v3
	v_mul_f32_e32 v168, v146, v180
	v_fmac_f32_e32 v137, v145, v192
	v_add_f32_e32 v1, v1, v163
	s_waitcnt lgkmcnt(2)
	v_mul_f32_e32 v3, v160, v181
	v_fma_f32 v4, v146, v191, -v4
	v_add_f32_e32 v2, v2, v5
	v_mul_f32_e32 v164, v159, v181
	v_fmac_f32_e32 v168, v147, v191
	v_add_f32_e32 v1, v1, v137
	v_mul_f32_e32 v5, v162, v182
	v_fma_f32 v3, v159, v190, -v3
	v_add_f32_e32 v2, v2, v4
	v_mul_f32_e32 v169, v161, v182
	v_fmac_f32_e32 v164, v160, v190
	v_add_f32_e32 v1, v1, v168
	s_waitcnt lgkmcnt(1)
	v_mul_f32_e32 v4, v140, v183
	v_add_f32_e32 v2, v2, v3
	v_mul_f32_e32 v170, v139, v183
	v_mul_f32_e32 v3, v142, v184
	v_add_f32_e32 v1, v1, v164
	v_mul_f32_e32 v143, v141, v184
	s_waitcnt lgkmcnt(0)
	v_mul_f32_e32 v167, v148, v166
	v_mul_f32_e32 v136, v150, v185
	s_waitcnt vmcnt(5)
	v_fmac_f32_e32 v167, v149, v200
	s_waitcnt vmcnt(4)
	v_fma_f32 v3, v141, v201, -v3
	s_waitcnt vmcnt(3)
	v_fma_f32 v4, v139, v202, -v4
	;; [unrolled: 2-line block ×3, first 2 shown]
	v_fmac_f32_e32 v169, v162, v203
	v_fmac_f32_e32 v170, v140, v202
	;; [unrolled: 1-line block ×3, first 2 shown]
	v_add_f32_e32 v2, v2, v5
	v_add_f32_e32 v1, v1, v169
	v_mul_f32_e32 v5, v149, v166
	v_add_f32_e32 v2, v2, v4
	v_add_f32_e32 v1, v1, v170
	v_mul_f32_e32 v4, v151, v185
	v_fma_f32 v5, v148, v200, -v5
	s_waitcnt vmcnt(0)
	v_fmac_f32_e32 v136, v151, v178
	v_add_f32_e32 v2, v2, v3
	v_add_f32_e32 v1, v1, v143
	v_fma_f32 v3, v150, v178, -v4
	v_add_f32_e32 v2, v2, v5
	v_add_f32_e32 v1, v1, v167
	;; [unrolled: 1-line block ×4, first 2 shown]
	v_sub_f32_e32 v2, v205, v2
	v_sub_f32_e32 v1, v195, v1
	buffer_store_dword v2, off, s[0:3], 0 offset:216
	buffer_store_dword v1, off, s[0:3], 0 offset:220
	v_cmpx_lt_u32_e32 26, v0
	s_cbranch_execz .LBB123_321
; %bb.320:
	s_clause 0x1
	buffer_load_dword v1, off, s[0:3], 0 offset:208
	buffer_load_dword v2, off, s[0:3], 0 offset:212
	v_mov_b32_e32 v3, 0
	buffer_store_dword v3, off, s[0:3], 0 offset:208
	buffer_store_dword v3, off, s[0:3], 0 offset:212
	s_waitcnt vmcnt(0)
	ds_write_b64 v133, v[1:2]
.LBB123_321:
	s_or_b32 exec_lo, exec_lo, s4
	s_waitcnt lgkmcnt(0)
	s_waitcnt_vscnt null, 0x0
	s_barrier
	buffer_gl0_inv
	s_clause 0x26
	buffer_load_dword v2, off, s[0:3], 0 offset:220
	buffer_load_dword v3, off, s[0:3], 0 offset:228
	;; [unrolled: 1-line block ×39, first 2 shown]
	v_mov_b32_e32 v1, 0
	s_clause 0x2
	buffer_load_dword v174, off, s[0:3], 0 offset:380
	buffer_load_dword v175, off, s[0:3], 0 offset:388
	;; [unrolled: 1-line block ×3, first 2 shown]
	s_mov_b32 s4, exec_lo
	ds_read2_b64 v[4:7], v1 offset0:87 offset1:88
	s_clause 0x1
	buffer_load_dword v177, off, s[0:3], 0 offset:404
	buffer_load_dword v178, off, s[0:3], 0 offset:412
	ds_read2_b64 v[8:11], v1 offset0:89 offset1:90
	s_clause 0xc
	buffer_load_dword v179, off, s[0:3], 0 offset:392
	buffer_load_dword v180, off, s[0:3], 0 offset:384
	;; [unrolled: 1-line block ×13, first 2 shown]
	ds_read2_b64 v[134:137], v1 offset0:91 offset1:92
	s_waitcnt vmcnt(56) lgkmcnt(2)
	v_mul_f32_e32 v192, v5, v2
	v_mul_f32_e32 v193, v4, v2
	s_waitcnt vmcnt(55)
	v_mul_f32_e32 v194, v6, v3
	v_mul_f32_e32 v2, v7, v3
	s_waitcnt vmcnt(54) lgkmcnt(1)
	v_mul_f32_e32 v195, v8, v12
	s_waitcnt vmcnt(51)
	v_fma_f32 v192, v4, v140, -v192
	v_fmac_f32_e32 v193, v5, v140
	v_fmac_f32_e32 v194, v7, v139
	v_fma_f32 v139, v6, v139, -v2
	ds_read2_b64 v[2:5], v1 offset0:93 offset1:94
	s_clause 0x3
	buffer_load_dword v196, off, s[0:3], 0 offset:424
	buffer_load_dword v197, off, s[0:3], 0 offset:416
	;; [unrolled: 1-line block ×4, first 2 shown]
	s_waitcnt vmcnt(54)
	v_mul_f32_e32 v140, v10, v141
	v_mul_f32_e32 v6, v11, v141
	;; [unrolled: 1-line block ×3, first 2 shown]
	v_fmac_f32_e32 v195, v9, v138
	s_waitcnt vmcnt(48) lgkmcnt(1)
	v_mul_f32_e32 v141, v137, v147
	v_fmac_f32_e32 v140, v11, v145
	v_fma_f32 v10, v10, v145, -v6
	v_mul_f32_e32 v11, v134, v146
	v_mul_f32_e32 v6, v135, v146
	v_fma_f32 v12, v8, v138, -v12
	v_mul_f32_e32 v138, v136, v147
	v_fma_f32 v141, v136, v143, -v141
	v_fmac_f32_e32 v11, v135, v144
	v_fma_f32 v144, v134, v144, -v6
	ds_read2_b64 v[6:9], v1 offset0:95 offset1:96
	s_clause 0x3
	buffer_load_dword v200, off, s[0:3], 0 offset:456
	buffer_load_dword v201, off, s[0:3], 0 offset:448
	;; [unrolled: 1-line block ×4, first 2 shown]
	v_fmac_f32_e32 v138, v137, v143
	v_add_f32_e32 v135, 0, v192
	s_waitcnt vmcnt(51) lgkmcnt(1)
	v_mul_f32_e32 v143, v2, v148
	v_mul_f32_e32 v134, v3, v148
	s_waitcnt vmcnt(50)
	v_mul_f32_e32 v145, v4, v149
	v_fmac_f32_e32 v143, v3, v142
	v_fma_f32 v142, v2, v142, -v134
	v_mul_f32_e32 v2, v5, v149
	s_waitcnt vmcnt(46)
	v_fmac_f32_e32 v145, v5, v153
	v_fma_f32 v146, v4, v153, -v2
	ds_read2_b64 v[2:5], v1 offset0:97 offset1:98
	s_waitcnt vmcnt(45) lgkmcnt(1)
	v_mul_f32_e32 v147, v6, v154
	v_mul_f32_e32 v134, v7, v154
	s_clause 0x1
	buffer_load_dword v154, off, s[0:3], 0 offset:472
	buffer_load_dword v192, off, s[0:3], 0 offset:464
	v_fmac_f32_e32 v147, v7, v152
	v_add_f32_e32 v7, 0, v193
	buffer_load_dword v193, off, s[0:3], 0 offset:208
	v_fma_f32 v148, v6, v152, -v134
	v_add_f32_e32 v6, v135, v139
	s_waitcnt vmcnt(47)
	v_mul_f32_e32 v134, v9, v155
	v_add_f32_e32 v7, v7, v194
	v_add_f32_e32 v6, v6, v12
	v_mul_f32_e32 v12, v8, v155
	v_add_f32_e32 v135, v7, v195
	v_fma_f32 v149, v8, v151, -v134
	s_waitcnt vmcnt(45) lgkmcnt(0)
	v_mul_f32_e32 v152, v4, v157
	v_add_f32_e32 v10, v6, v10
	v_fmac_f32_e32 v12, v9, v151
	v_add_f32_e32 v139, v135, v140
	v_mul_f32_e32 v151, v2, v156
	v_mul_f32_e32 v140, v3, v156
	v_add_f32_e32 v10, v10, v144
	ds_read2_b64 v[6:9], v1 offset0:99 offset1:100
	ds_read2_b64 v[134:137], v1 offset0:101 offset1:102
	v_add_f32_e32 v11, v139, v11
	v_mul_f32_e32 v139, v5, v157
	v_add_f32_e32 v10, v10, v141
	v_fmac_f32_e32 v151, v3, v150
	v_fma_f32 v150, v2, v150, -v140
	v_add_f32_e32 v11, v11, v138
	s_waitcnt vmcnt(41)
	v_fmac_f32_e32 v152, v5, v161
	v_add_f32_e32 v10, v10, v142
	v_fma_f32 v153, v4, v161, -v139
	ds_read2_b64 v[2:5], v1 offset0:103 offset1:104
	ds_read2_b64 v[138:141], v1 offset0:105 offset1:106
	v_add_f32_e32 v11, v11, v143
	v_add_f32_e32 v10, v10, v146
	;; [unrolled: 1-line block ×4, first 2 shown]
	s_waitcnt vmcnt(40) lgkmcnt(3)
	v_mul_f32_e32 v155, v6, v162
	v_mul_f32_e32 v142, v7, v162
	v_add_f32_e32 v11, v11, v147
	s_waitcnt vmcnt(39)
	v_mul_f32_e32 v156, v8, v163
	v_add_f32_e32 v10, v10, v149
	v_mul_f32_e32 v143, v9, v163
	v_fmac_f32_e32 v155, v7, v160
	v_add_f32_e32 v11, v11, v12
	v_fma_f32 v160, v6, v160, -v142
	v_add_f32_e32 v10, v10, v150
	s_waitcnt vmcnt(32) lgkmcnt(1)
	v_mul_f32_e32 v12, v2, v170
	v_mul_f32_e32 v150, v3, v170
	v_add_f32_e32 v11, v11, v151
	v_mul_f32_e32 v157, v134, v164
	v_mul_f32_e32 v146, v135, v164
	v_fmac_f32_e32 v12, v3, v168
	v_add_f32_e32 v3, v10, v153
	v_add_f32_e32 v10, v11, v152
	v_fmac_f32_e32 v156, v9, v159
	v_fma_f32 v159, v8, v159, -v143
	v_mul_f32_e32 v147, v137, v165
	v_add_f32_e32 v160, v3, v160
	v_add_f32_e32 v155, v10, v155
	v_fmac_f32_e32 v157, v135, v158
	v_fma_f32 v158, v134, v158, -v146
	v_mul_f32_e32 v161, v136, v165
	v_add_f32_e32 v159, v160, v159
	v_add_f32_e32 v155, v155, v156
	v_fma_f32 v162, v136, v169, -v147
	ds_read2_b64 v[6:9], v1 offset0:107 offset1:108
	ds_read2_b64 v[142:145], v1 offset0:109 offset1:110
	v_fmac_f32_e32 v161, v137, v169
	v_add_f32_e32 v158, v159, v158
	v_add_f32_e32 v155, v155, v157
	s_waitcnt vmcnt(31)
	v_mul_f32_e32 v163, v4, v171
	v_mul_f32_e32 v151, v5, v171
	v_fma_f32 v164, v2, v168, -v150
	v_add_f32_e32 v158, v158, v162
	v_add_f32_e32 v155, v155, v161
	v_fmac_f32_e32 v163, v5, v167
	v_fma_f32 v165, v4, v167, -v151
	s_waitcnt vmcnt(30) lgkmcnt(2)
	v_mul_f32_e32 v167, v139, v172
	v_add_f32_e32 v158, v158, v164
	v_mul_f32_e32 v160, v138, v172
	v_add_f32_e32 v12, v155, v12
	s_waitcnt vmcnt(29)
	v_mul_f32_e32 v168, v141, v173
	v_fma_f32 v138, v138, v166, -v167
	v_add_f32_e32 v158, v158, v165
	v_mul_f32_e32 v156, v140, v173
	v_fmac_f32_e32 v160, v139, v166
	v_add_f32_e32 v12, v12, v163
	s_waitcnt vmcnt(28) lgkmcnt(1)
	v_mul_f32_e32 v159, v6, v174
	v_mul_f32_e32 v166, v7, v174
	s_waitcnt vmcnt(20)
	v_fma_f32 v140, v140, v182, -v168
	v_add_f32_e32 v138, v158, v138
	ds_read2_b64 v[134:137], v1 offset0:111 offset1:112
	ds_read2_b64 v[146:149], v1 offset0:113 offset1:114
	v_fmac_f32_e32 v156, v141, v182
	v_add_f32_e32 v12, v12, v160
	v_mul_f32_e32 v163, v9, v175
	v_fmac_f32_e32 v159, v7, v181
	v_fma_f32 v6, v6, v181, -v166
	v_add_f32_e32 v7, v138, v140
	v_mul_f32_e32 v157, v8, v175
	v_add_f32_e32 v12, v12, v156
	s_waitcnt lgkmcnt(2)
	v_mul_f32_e32 v138, v143, v176
	v_fma_f32 v8, v8, v180, -v163
	v_add_f32_e32 v6, v7, v6
	v_mul_f32_e32 v139, v142, v176
	v_fmac_f32_e32 v157, v9, v180
	v_add_f32_e32 v7, v12, v159
	v_mul_f32_e32 v9, v145, v177
	v_fma_f32 v12, v142, v179, -v138
	v_add_f32_e32 v6, v6, v8
	v_mul_f32_e32 v162, v144, v177
	v_fmac_f32_e32 v139, v143, v179
	v_add_f32_e32 v7, v7, v157
	s_waitcnt lgkmcnt(1)
	v_mul_f32_e32 v8, v135, v178
	v_add_f32_e32 v6, v6, v12
	v_mul_f32_e32 v161, v134, v178
	ds_read2_b64 v[2:5], v1 offset0:115 offset1:116
	ds_read2_b64 v[150:153], v1 offset0:117 offset1:118
	ds_read_b64 v[10:11], v1 offset:952
	v_add_f32_e32 v7, v7, v139
	s_waitcnt vmcnt(19)
	v_mul_f32_e32 v12, v137, v183
	v_mul_f32_e32 v141, v136, v183
	s_waitcnt vmcnt(18) lgkmcnt(3)
	v_mul_f32_e32 v167, v146, v184
	s_waitcnt vmcnt(17)
	v_mul_f32_e32 v155, v148, v185
	s_waitcnt vmcnt(16) lgkmcnt(2)
	v_mul_f32_e32 v164, v2, v186
	s_waitcnt vmcnt(15)
	;; [unrolled: 4-line block ×4, first 2 shown]
	v_fmac_f32_e32 v167, v147, v196
	s_waitcnt vmcnt(9)
	v_fma_f32 v12, v136, v197, -v12
	s_waitcnt vmcnt(8)
	v_fma_f32 v8, v134, v198, -v8
	;; [unrolled: 2-line block ×3, first 2 shown]
	v_fmac_f32_e32 v162, v145, v199
	v_fmac_f32_e32 v161, v135, v198
	;; [unrolled: 1-line block ×3, first 2 shown]
	v_add_f32_e32 v6, v6, v9
	v_add_f32_e32 v7, v7, v162
	v_mul_f32_e32 v9, v147, v184
	v_add_f32_e32 v6, v6, v8
	v_add_f32_e32 v7, v7, v161
	v_mul_f32_e32 v8, v149, v185
	v_fma_f32 v9, v146, v196, -v9
	s_waitcnt vmcnt(5)
	v_fmac_f32_e32 v168, v5, v201
	v_add_f32_e32 v6, v6, v12
	v_add_f32_e32 v7, v7, v141
	v_mul_f32_e32 v12, v3, v186
	s_waitcnt vmcnt(3)
	v_fma_f32 v8, v148, v203, -v8
	v_fmac_f32_e32 v155, v149, v203
	v_add_f32_e32 v6, v6, v9
	v_add_f32_e32 v7, v7, v167
	v_mul_f32_e32 v9, v5, v187
	v_fmac_f32_e32 v164, v3, v202
	v_fma_f32 v2, v2, v202, -v12
	v_add_f32_e32 v3, v6, v8
	v_add_f32_e32 v6, v7, v155
	v_mul_f32_e32 v7, v151, v188
	v_fma_f32 v4, v4, v201, -v9
	v_mul_f32_e32 v5, v153, v189
	v_add_f32_e32 v2, v3, v2
	v_add_f32_e32 v3, v6, v164
	v_fma_f32 v6, v150, v200, -v7
	v_fmac_f32_e32 v165, v151, v200
	v_add_f32_e32 v2, v2, v4
	v_add_f32_e32 v3, v3, v168
	v_mul_f32_e32 v4, v11, v190
	s_waitcnt vmcnt(1)
	v_fma_f32 v5, v152, v192, -v5
	v_fmac_f32_e32 v169, v153, v192
	v_add_f32_e32 v2, v2, v6
	v_add_f32_e32 v3, v3, v165
	v_fma_f32 v4, v10, v154, -v4
	v_fmac_f32_e32 v158, v11, v154
	v_add_f32_e32 v2, v2, v5
	v_add_f32_e32 v3, v3, v169
	;; [unrolled: 1-line block ×4, first 2 shown]
	s_waitcnt vmcnt(0)
	v_sub_f32_e32 v2, v193, v2
	v_sub_f32_e32 v3, v191, v3
	buffer_store_dword v2, off, s[0:3], 0 offset:208
	buffer_store_dword v3, off, s[0:3], 0 offset:212
	v_cmpx_lt_u32_e32 25, v0
	s_cbranch_execz .LBB123_323
; %bb.322:
	s_clause 0x1
	buffer_load_dword v2, off, s[0:3], 0 offset:200
	buffer_load_dword v3, off, s[0:3], 0 offset:204
	buffer_store_dword v1, off, s[0:3], 0 offset:200
	buffer_store_dword v1, off, s[0:3], 0 offset:204
	s_waitcnt vmcnt(0)
	ds_write_b64 v133, v[2:3]
.LBB123_323:
	s_or_b32 exec_lo, exec_lo, s4
	s_waitcnt lgkmcnt(0)
	s_waitcnt_vscnt null, 0x0
	s_barrier
	buffer_gl0_inv
	s_clause 0x24
	buffer_load_dword v10, off, s[0:3], 0 offset:212
	buffer_load_dword v11, off, s[0:3], 0 offset:220
	;; [unrolled: 1-line block ×37, first 2 shown]
	ds_read_b128 v[2:5], v1 offset:688
	s_clause 0x1
	buffer_load_dword v180, off, s[0:3], 0 offset:356
	buffer_load_dword v181, off, s[0:3], 0 offset:364
	ds_read_b128 v[6:9], v1 offset:704
	s_clause 0xa
	buffer_load_dword v182, off, s[0:3], 0 offset:372
	buffer_load_dword v183, off, s[0:3], 0 offset:380
	;; [unrolled: 1-line block ×11, first 2 shown]
	ds_read_b128 v[134:137], v1 offset:720
	ds_read_b128 v[138:141], v1 offset:736
	;; [unrolled: 1-line block ×3, first 2 shown]
	s_clause 0x7
	buffer_load_dword v195, off, s[0:3], 0 offset:204
	buffer_load_dword v196, off, s[0:3], 0 offset:428
	;; [unrolled: 1-line block ×8, first 2 shown]
	s_mov_b32 s4, exec_lo
	s_waitcnt vmcnt(57) lgkmcnt(4)
	v_mul_f32_e32 v193, v3, v10
	v_mul_f32_e32 v10, v2, v10
	s_waitcnt vmcnt(56)
	v_mul_f32_e32 v194, v4, v11
	v_mul_f32_e32 v11, v5, v11
	s_waitcnt vmcnt(53)
	v_fma_f32 v193, v2, v147, -v193
	v_fmac_f32_e32 v10, v3, v147
	v_fmac_f32_e32 v194, v5, v146
	v_fma_f32 v11, v4, v146, -v11
	s_waitcnt vmcnt(52) lgkmcnt(3)
	v_mul_f32_e32 v146, v6, v148
	v_mul_f32_e32 v2, v7, v148
	s_waitcnt vmcnt(51)
	v_mul_f32_e32 v3, v9, v149
	v_mul_f32_e32 v147, v8, v149
	s_waitcnt vmcnt(46) lgkmcnt(2)
	v_mul_f32_e32 v148, v134, v154
	v_fmac_f32_e32 v146, v7, v12
	v_fma_f32 v6, v6, v12, -v2
	v_fma_f32 v12, v8, v153, -v3
	v_mul_f32_e32 v2, v135, v154
	s_waitcnt vmcnt(45)
	v_mul_f32_e32 v149, v136, v155
	v_mul_f32_e32 v3, v137, v155
	s_clause 0x3
	buffer_load_dword v154, off, s[0:3], 0 offset:416
	buffer_load_dword v155, off, s[0:3], 0 offset:408
	;; [unrolled: 1-line block ×4, first 2 shown]
	v_fmac_f32_e32 v147, v9, v153
	v_fmac_f32_e32 v148, v135, v152
	v_fma_f32 v134, v134, v152, -v2
	v_fmac_f32_e32 v149, v137, v151
	v_fma_f32 v151, v136, v151, -v3
	s_waitcnt vmcnt(48) lgkmcnt(1)
	v_mul_f32_e32 v152, v138, v156
	v_mul_f32_e32 v2, v139, v156
	s_waitcnt vmcnt(47)
	v_mul_f32_e32 v153, v140, v157
	v_mul_f32_e32 v3, v141, v157
	s_waitcnt vmcnt(42) lgkmcnt(0)
	v_mul_f32_e32 v156, v142, v162
	v_mul_f32_e32 v7, v143, v162
	s_waitcnt vmcnt(41)
	v_mul_f32_e32 v157, v144, v163
	v_mul_f32_e32 v8, v145, v163
	v_fmac_f32_e32 v152, v139, v150
	v_fma_f32 v138, v138, v150, -v2
	v_fmac_f32_e32 v153, v141, v161
	v_fma_f32 v150, v140, v161, -v3
	ds_read_b128 v[2:5], v1 offset:768
	v_fmac_f32_e32 v156, v143, v160
	v_fma_f32 v142, v142, v160, -v7
	v_fmac_f32_e32 v157, v145, v159
	v_fma_f32 v143, v144, v159, -v8
	s_clause 0x7
	buffer_load_dword v159, off, s[0:3], 0 offset:448
	buffer_load_dword v160, off, s[0:3], 0 offset:440
	;; [unrolled: 1-line block ×8, first 2 shown]
	v_add_f32_e32 v7, 0, v193
	v_add_f32_e32 v8, 0, v10
	;; [unrolled: 1-line block ×4, first 2 shown]
	s_waitcnt vmcnt(48) lgkmcnt(0)
	v_mul_f32_e32 v10, v2, v164
	v_mul_f32_e32 v9, v3, v164
	v_fmac_f32_e32 v10, v3, v158
	v_fma_f32 v11, v2, v158, -v9
	v_add_f32_e32 v2, v7, v6
	v_add_f32_e32 v3, v8, v146
	ds_read_b128 v[6:9], v1 offset:784
	s_waitcnt vmcnt(47)
	v_mul_f32_e32 v158, v4, v165
	v_add_f32_e32 v12, v2, v12
	v_mul_f32_e32 v2, v5, v165
	v_add_f32_e32 v135, v3, v147
	s_waitcnt vmcnt(43)
	v_fmac_f32_e32 v158, v5, v169
	v_add_f32_e32 v12, v12, v134
	v_fma_f32 v164, v4, v169, -v2
	ds_read_b128 v[2:5], v1 offset:800
	v_add_f32_e32 v139, v135, v148
	ds_read_b128 v[134:137], v1 offset:816
	v_add_f32_e32 v12, v12, v151
	v_add_f32_e32 v139, v139, v149
	;; [unrolled: 1-line block ×3, first 2 shown]
	s_waitcnt vmcnt(42) lgkmcnt(2)
	v_mul_f32_e32 v140, v7, v170
	v_mul_f32_e32 v151, v6, v170
	s_waitcnt vmcnt(41)
	v_mul_f32_e32 v144, v9, v171
	v_fma_f32 v165, v6, v168, -v140
	v_add_f32_e32 v6, v139, v152
	v_fmac_f32_e32 v151, v7, v168
	v_add_f32_e32 v7, v12, v150
	v_mul_f32_e32 v12, v8, v171
	s_waitcnt vmcnt(40) lgkmcnt(1)
	v_mul_f32_e32 v168, v2, v172
	v_add_f32_e32 v6, v6, v153
	v_mul_f32_e32 v145, v3, v172
	v_add_f32_e32 v7, v7, v142
	ds_read_b128 v[138:141], v1 offset:832
	v_fmac_f32_e32 v168, v3, v166
	v_add_f32_e32 v6, v6, v156
	v_fma_f32 v166, v2, v166, -v145
	v_add_f32_e32 v2, v7, v143
	v_fma_f32 v150, v8, v167, -v144
	v_fmac_f32_e32 v12, v9, v167
	v_add_f32_e32 v3, v6, v157
	s_waitcnt vmcnt(39)
	v_mul_f32_e32 v146, v5, v173
	v_add_f32_e32 v11, v2, v11
	v_mul_f32_e32 v169, v4, v173
	s_waitcnt vmcnt(38) lgkmcnt(1)
	v_mul_f32_e32 v147, v135, v174
	v_add_f32_e32 v10, v3, v10
	s_waitcnt vmcnt(34)
	v_fma_f32 v157, v4, v178, -v146
	v_add_f32_e32 v11, v11, v164
	v_mul_f32_e32 v156, v134, v174
	ds_read_b128 v[6:9], v1 offset:848
	ds_read_b128 v[142:145], v1 offset:864
	v_add_f32_e32 v10, v10, v158
	v_fmac_f32_e32 v169, v5, v178
	v_add_f32_e32 v11, v11, v165
	v_fma_f32 v167, v134, v177, -v147
	s_waitcnt vmcnt(33)
	v_mul_f32_e32 v134, v137, v179
	v_add_f32_e32 v10, v10, v151
	v_fmac_f32_e32 v156, v135, v177
	v_add_f32_e32 v11, v11, v150
	v_mul_f32_e32 v164, v136, v179
	s_waitcnt vmcnt(32) lgkmcnt(2)
	v_mul_f32_e32 v135, v139, v180
	v_add_f32_e32 v10, v10, v12
	v_fma_f32 v171, v136, v176, -v134
	v_add_f32_e32 v11, v11, v166
	v_mul_f32_e32 v158, v138, v180
	v_fmac_f32_e32 v164, v137, v176
	v_add_f32_e32 v10, v10, v168
	s_waitcnt vmcnt(31)
	v_mul_f32_e32 v170, v141, v181
	v_add_f32_e32 v11, v11, v157
	v_fma_f32 v172, v138, v175, -v135
	v_mul_f32_e32 v165, v140, v181
	v_add_f32_e32 v10, v10, v169
	v_fmac_f32_e32 v158, v139, v175
	v_add_f32_e32 v11, v11, v167
	s_waitcnt vmcnt(24)
	v_fma_f32 v170, v140, v188, -v170
	s_waitcnt lgkmcnt(1)
	v_mul_f32_e32 v12, v7, v182
	v_add_f32_e32 v10, v10, v156
	ds_read_b128 v[2:5], v1 offset:880
	ds_read_b128 v[146:149], v1 offset:896
	v_add_f32_e32 v11, v11, v171
	ds_read_b128 v[134:137], v1 offset:912
	ds_read_b128 v[150:153], v1 offset:928
	v_fmac_f32_e32 v165, v141, v188
	v_add_f32_e32 v10, v10, v164
	ds_read_b128 v[138:141], v1 offset:944
	v_add_f32_e32 v11, v11, v172
	v_mul_f32_e32 v1, v6, v182
	v_mul_f32_e32 v168, v9, v183
	v_add_f32_e32 v10, v10, v158
	v_fma_f32 v6, v6, v187, -v12
	v_add_f32_e32 v11, v11, v170
	v_mul_f32_e32 v166, v8, v183
	v_fmac_f32_e32 v1, v7, v187
	v_add_f32_e32 v10, v10, v165
	s_waitcnt lgkmcnt(5)
	v_mul_f32_e32 v12, v143, v184
	v_fma_f32 v8, v8, v186, -v168
	v_add_f32_e32 v6, v11, v6
	v_mul_f32_e32 v157, v142, v184
	v_fmac_f32_e32 v166, v9, v186
	v_add_f32_e32 v1, v10, v1
	s_waitcnt vmcnt(23)
	v_mul_f32_e32 v9, v145, v189
	v_fma_f32 v10, v142, v185, -v12
	v_add_f32_e32 v6, v6, v8
	v_mul_f32_e32 v169, v144, v189
	v_fmac_f32_e32 v157, v143, v185
	v_add_f32_e32 v1, v1, v166
	s_waitcnt vmcnt(22) lgkmcnt(4)
	v_mul_f32_e32 v173, v2, v190
	v_mul_f32_e32 v8, v3, v190
	v_add_f32_e32 v6, v6, v10
	s_waitcnt vmcnt(21)
	v_mul_f32_e32 v10, v5, v191
	v_add_f32_e32 v1, v1, v157
	v_mul_f32_e32 v167, v4, v191
	s_waitcnt vmcnt(20) lgkmcnt(3)
	v_mul_f32_e32 v156, v146, v192
	s_waitcnt vmcnt(18)
	v_mul_f32_e32 v174, v148, v196
	s_waitcnt vmcnt(17) lgkmcnt(2)
	v_mul_f32_e32 v171, v134, v197
	s_waitcnt vmcnt(16)
	;; [unrolled: 4-line block ×4, first 2 shown]
	v_mul_f32_e32 v7, v140, v202
	s_waitcnt vmcnt(11)
	v_fmac_f32_e32 v156, v147, v154
	s_waitcnt vmcnt(10)
	v_fma_f32 v4, v4, v155, -v10
	s_waitcnt vmcnt(9)
	v_fmac_f32_e32 v173, v3, v203
	s_waitcnt vmcnt(8)
	v_fma_f32 v9, v144, v204, -v9
	v_fmac_f32_e32 v169, v145, v204
	v_fma_f32 v2, v2, v203, -v8
	v_fmac_f32_e32 v167, v5, v155
	v_add_f32_e32 v3, v6, v9
	v_add_f32_e32 v1, v1, v169
	v_mul_f32_e32 v6, v147, v192
	v_add_f32_e32 v2, v3, v2
	v_add_f32_e32 v1, v1, v173
	v_mul_f32_e32 v3, v149, v196
	v_fma_f32 v5, v146, v154, -v6
	v_add_f32_e32 v2, v2, v4
	v_add_f32_e32 v1, v1, v167
	v_mul_f32_e32 v4, v135, v197
	s_waitcnt vmcnt(5)
	v_fmac_f32_e32 v171, v135, v161
	s_waitcnt vmcnt(4)
	v_fma_f32 v3, v148, v162, -v3
	v_add_f32_e32 v2, v2, v5
	v_fmac_f32_e32 v174, v149, v162
	v_add_f32_e32 v1, v1, v156
	v_mul_f32_e32 v5, v137, v198
	v_fma_f32 v4, v134, v161, -v4
	v_add_f32_e32 v2, v2, v3
	v_mul_f32_e32 v3, v151, v199
	v_add_f32_e32 v1, v1, v174
	v_fma_f32 v5, v136, v160, -v5
	v_fmac_f32_e32 v164, v137, v160
	v_add_f32_e32 v2, v2, v4
	v_mul_f32_e32 v4, v153, v200
	v_add_f32_e32 v1, v1, v171
	v_fma_f32 v3, v150, v159, -v3
	v_fmac_f32_e32 v175, v151, v159
	v_add_f32_e32 v2, v2, v5
	v_mul_f32_e32 v5, v139, v201
	v_add_f32_e32 v1, v1, v164
	s_waitcnt vmcnt(1)
	v_fma_f32 v4, v152, v206, -v4
	v_fmac_f32_e32 v172, v153, v206
	v_add_f32_e32 v2, v2, v3
	v_mul_f32_e32 v3, v141, v202
	v_add_f32_e32 v1, v1, v175
	v_fma_f32 v5, v138, v205, -v5
	v_fmac_f32_e32 v158, v139, v205
	v_add_f32_e32 v2, v2, v4
	v_fma_f32 v3, v140, v163, -v3
	v_add_f32_e32 v1, v1, v172
	v_fmac_f32_e32 v7, v141, v163
	v_add_f32_e32 v2, v2, v5
	v_add_f32_e32 v1, v1, v158
	;; [unrolled: 1-line block ×4, first 2 shown]
	s_waitcnt vmcnt(0)
	v_sub_f32_e32 v2, v207, v2
	v_sub_f32_e32 v1, v195, v1
	buffer_store_dword v2, off, s[0:3], 0 offset:200
	buffer_store_dword v1, off, s[0:3], 0 offset:204
	v_cmpx_lt_u32_e32 24, v0
	s_cbranch_execz .LBB123_325
; %bb.324:
	s_clause 0x1
	buffer_load_dword v1, off, s[0:3], 0 offset:192
	buffer_load_dword v2, off, s[0:3], 0 offset:196
	v_mov_b32_e32 v3, 0
	buffer_store_dword v3, off, s[0:3], 0 offset:192
	buffer_store_dword v3, off, s[0:3], 0 offset:196
	s_waitcnt vmcnt(0)
	ds_write_b64 v133, v[1:2]
.LBB123_325:
	s_or_b32 exec_lo, exec_lo, s4
	s_waitcnt lgkmcnt(0)
	s_waitcnt_vscnt null, 0x0
	s_barrier
	buffer_gl0_inv
	s_clause 0x23
	buffer_load_dword v2, off, s[0:3], 0 offset:204
	buffer_load_dword v3, off, s[0:3], 0 offset:212
	;; [unrolled: 1-line block ×36, first 2 shown]
	v_mov_b32_e32 v1, 0
	s_clause 0x1
	buffer_load_dword v175, off, s[0:3], 0 offset:340
	buffer_load_dword v176, off, s[0:3], 0 offset:348
	s_mov_b32 s4, exec_lo
	ds_read2_b64 v[4:7], v1 offset0:85 offset1:86
	s_clause 0x7
	buffer_load_dword v177, off, s[0:3], 0 offset:356
	buffer_load_dword v178, off, s[0:3], 0 offset:364
	;; [unrolled: 1-line block ×8, first 2 shown]
	ds_read2_b64 v[8:11], v1 offset0:87 offset1:88
	s_clause 0x3
	buffer_load_dword v185, off, s[0:3], 0 offset:388
	buffer_load_dword v186, off, s[0:3], 0 offset:396
	;; [unrolled: 1-line block ×4, first 2 shown]
	ds_read2_b64 v[134:137], v1 offset0:89 offset1:90
	s_clause 0x4
	buffer_load_dword v189, off, s[0:3], 0 offset:420
	buffer_load_dword v190, off, s[0:3], 0 offset:428
	;; [unrolled: 1-line block ×5, first 2 shown]
	ds_read2_b64 v[138:141], v1 offset0:91 offset1:92
	s_waitcnt vmcnt(54) lgkmcnt(3)
	v_mul_f32_e32 v194, v5, v2
	v_mul_f32_e32 v195, v4, v2
	s_waitcnt vmcnt(53)
	v_mul_f32_e32 v196, v6, v3
	v_mul_f32_e32 v2, v7, v3
	s_waitcnt vmcnt(50)
	v_fma_f32 v194, v4, v143, -v194
	v_fmac_f32_e32 v195, v5, v143
	v_fmac_f32_e32 v196, v7, v142
	v_fma_f32 v142, v6, v142, -v2
	ds_read2_b64 v[2:5], v1 offset0:93 offset1:94
	s_waitcnt vmcnt(49) lgkmcnt(3)
	v_mul_f32_e32 v143, v8, v144
	v_mul_f32_e32 v6, v9, v144
	s_clause 0x7
	buffer_load_dword v198, off, s[0:3], 0 offset:452
	buffer_load_dword v199, off, s[0:3], 0 offset:460
	;; [unrolled: 1-line block ×8, first 2 shown]
	s_waitcnt vmcnt(56)
	v_mul_f32_e32 v144, v10, v145
	v_mul_f32_e32 v7, v11, v145
	s_waitcnt vmcnt(55) lgkmcnt(2)
	v_mul_f32_e32 v145, v134, v146
	v_mul_f32_e32 v146, v135, v146
	v_fmac_f32_e32 v143, v9, v12
	v_fma_f32 v12, v8, v12, -v6
	s_waitcnt vmcnt(54)
	v_mul_f32_e32 v6, v137, v147
	v_mul_f32_e32 v197, v136, v147
	s_waitcnt vmcnt(50)
	v_fmac_f32_e32 v144, v11, v151
	v_fma_f32 v11, v134, v150, -v146
	s_waitcnt vmcnt(49) lgkmcnt(1)
	v_mul_f32_e32 v146, v138, v152
	v_fma_f32 v134, v136, v149, -v6
	v_mul_f32_e32 v6, v139, v152
	v_fma_f32 v10, v10, v151, -v7
	v_fmac_f32_e32 v145, v135, v150
	v_fmac_f32_e32 v197, v137, v149
	s_waitcnt vmcnt(48)
	v_mul_f32_e32 v147, v140, v153
	v_mul_f32_e32 v7, v141, v153
	v_fmac_f32_e32 v146, v139, v148
	v_fma_f32 v138, v138, v148, -v6
	s_waitcnt vmcnt(43) lgkmcnt(0)
	v_mul_f32_e32 v148, v2, v158
	v_mul_f32_e32 v135, v3, v158
	s_waitcnt vmcnt(42)
	v_mul_f32_e32 v149, v4, v159
	v_mul_f32_e32 v136, v5, v159
	v_fmac_f32_e32 v147, v141, v157
	v_fma_f32 v139, v140, v157, -v7
	ds_read2_b64 v[6:9], v1 offset0:95 offset1:96
	v_fmac_f32_e32 v148, v3, v156
	v_fma_f32 v150, v2, v156, -v135
	v_fmac_f32_e32 v149, v5, v155
	v_fma_f32 v151, v4, v155, -v136
	s_clause 0x3
	buffer_load_dword v155, off, s[0:3], 0 offset:440
	buffer_load_dword v156, off, s[0:3], 0 offset:432
	;; [unrolled: 1-line block ×4, first 2 shown]
	v_add_f32_e32 v2, 0, v194
	s_clause 0x3
	buffer_load_dword v159, off, s[0:3], 0 offset:472
	buffer_load_dword v194, off, s[0:3], 0 offset:464
	;; [unrolled: 1-line block ×4, first 2 shown]
	v_add_f32_e32 v3, 0, v195
	buffer_load_dword v195, off, s[0:3], 0 offset:192
	v_add_f32_e32 v2, v2, v142
	v_add_f32_e32 v3, v3, v196
	;; [unrolled: 1-line block ×4, first 2 shown]
	s_waitcnt vmcnt(50) lgkmcnt(0)
	v_mul_f32_e32 v12, v6, v160
	v_mul_f32_e32 v4, v7, v160
	v_fmac_f32_e32 v12, v7, v154
	v_fma_f32 v142, v6, v154, -v4
	v_add_f32_e32 v6, v2, v10
	v_add_f32_e32 v7, v3, v144
	ds_read2_b64 v[2:5], v1 offset0:97 offset1:98
	v_add_f32_e32 v10, v6, v11
	s_waitcnt vmcnt(49)
	v_mul_f32_e32 v11, v8, v161
	v_mul_f32_e32 v6, v9, v161
	v_add_f32_e32 v135, v7, v145
	v_add_f32_e32 v10, v10, v134
	s_waitcnt vmcnt(45)
	v_fmac_f32_e32 v11, v9, v165
	v_fma_f32 v152, v8, v165, -v6
	ds_read2_b64 v[6:9], v1 offset0:99 offset1:100
	v_add_f32_e32 v140, v135, v197
	ds_read2_b64 v[134:137], v1 offset0:101 offset1:102
	v_add_f32_e32 v10, v10, v138
	v_add_f32_e32 v140, v140, v146
	;; [unrolled: 1-line block ×3, first 2 shown]
	s_waitcnt vmcnt(44) lgkmcnt(2)
	v_mul_f32_e32 v138, v3, v166
	v_mul_f32_e32 v153, v2, v166
	s_waitcnt vmcnt(43)
	v_mul_f32_e32 v143, v5, v167
	v_fma_f32 v154, v2, v164, -v138
	v_add_f32_e32 v2, v140, v147
	v_fmac_f32_e32 v153, v3, v164
	v_add_f32_e32 v3, v10, v150
	ds_read2_b64 v[138:141], v1 offset0:103 offset1:104
	v_mul_f32_e32 v10, v4, v167
	v_add_f32_e32 v2, v2, v148
	s_waitcnt vmcnt(42) lgkmcnt(2)
	v_mul_f32_e32 v144, v7, v168
	v_add_f32_e32 v3, v3, v151
	v_mul_f32_e32 v160, v6, v168
	s_waitcnt vmcnt(40) lgkmcnt(1)
	v_mul_f32_e32 v164, v134, v170
	v_add_f32_e32 v2, v2, v149
	v_fma_f32 v151, v6, v162, -v144
	v_add_f32_e32 v6, v3, v142
	v_fmac_f32_e32 v160, v7, v162
	s_waitcnt vmcnt(37)
	v_fmac_f32_e32 v164, v135, v173
	v_add_f32_e32 v7, v2, v12
	v_mul_f32_e32 v12, v135, v170
	v_add_f32_e32 v135, v6, v152
	v_fma_f32 v150, v4, v163, -v143
	v_fmac_f32_e32 v10, v5, v163
	v_add_f32_e32 v11, v7, v11
	v_fma_f32 v12, v134, v173, -v12
	v_add_f32_e32 v134, v135, v154
	v_mul_f32_e32 v146, v9, v169
	v_mul_f32_e32 v161, v8, v169
	v_add_f32_e32 v11, v11, v153
	ds_read2_b64 v[2:5], v1 offset0:105 offset1:106
	ds_read2_b64 v[142:145], v1 offset0:107 offset1:108
	v_add_f32_e32 v134, v134, v150
	s_waitcnt vmcnt(36)
	v_fma_f32 v162, v8, v174, -v146
	v_fmac_f32_e32 v161, v9, v174
	v_add_f32_e32 v10, v11, v10
	s_waitcnt vmcnt(35)
	v_mul_f32_e32 v135, v137, v175
	v_add_f32_e32 v169, v134, v151
	v_mul_f32_e32 v154, v136, v175
	s_waitcnt vmcnt(34) lgkmcnt(2)
	v_mul_f32_e32 v150, v139, v176
	v_add_f32_e32 v160, v10, v160
	v_fma_f32 v167, v136, v172, -v135
	v_add_f32_e32 v162, v169, v162
	v_mul_f32_e32 v163, v138, v176
	v_fmac_f32_e32 v154, v137, v172
	v_add_f32_e32 v160, v160, v161
	s_waitcnt vmcnt(33)
	v_mul_f32_e32 v166, v141, v177
	v_add_f32_e32 v12, v162, v12
	v_fma_f32 v168, v138, v171, -v150
	v_mul_f32_e32 v165, v140, v177
	v_add_f32_e32 v160, v160, v164
	v_fmac_f32_e32 v163, v139, v171
	v_add_f32_e32 v12, v12, v167
	s_waitcnt vmcnt(26)
	v_fma_f32 v166, v140, v184, -v166
	s_waitcnt lgkmcnt(1)
	v_mul_f32_e32 v170, v3, v178
	v_add_f32_e32 v154, v160, v154
	ds_read2_b64 v[6:9], v1 offset0:109 offset1:110
	ds_read2_b64 v[146:149], v1 offset0:111 offset1:112
	v_add_f32_e32 v12, v12, v168
	v_fmac_f32_e32 v165, v141, v184
	v_mul_f32_e32 v169, v2, v178
	v_add_f32_e32 v154, v154, v163
	v_mul_f32_e32 v171, v5, v179
	v_fma_f32 v2, v2, v183, -v170
	v_add_f32_e32 v12, v12, v166
	v_mul_f32_e32 v161, v4, v179
	v_fmac_f32_e32 v169, v3, v183
	v_add_f32_e32 v154, v154, v165
	s_waitcnt lgkmcnt(2)
	v_mul_f32_e32 v170, v143, v180
	v_fma_f32 v4, v4, v182, -v171
	v_add_f32_e32 v2, v12, v2
	v_mul_f32_e32 v162, v142, v180
	v_fmac_f32_e32 v161, v5, v182
	v_add_f32_e32 v12, v154, v169
	s_waitcnt vmcnt(25)
	v_mul_f32_e32 v165, v145, v185
	v_fma_f32 v142, v142, v181, -v170
	v_add_f32_e32 v2, v2, v4
	v_mul_f32_e32 v164, v144, v185
	v_fmac_f32_e32 v162, v143, v181
	v_add_f32_e32 v4, v12, v161
	s_waitcnt vmcnt(24) lgkmcnt(1)
	v_mul_f32_e32 v12, v7, v186
	v_add_f32_e32 v2, v2, v142
	ds_read2_b64 v[134:137], v1 offset0:113 offset1:114
	ds_read2_b64 v[150:153], v1 offset0:115 offset1:116
	v_mul_f32_e32 v3, v6, v186
	v_add_f32_e32 v4, v4, v162
	s_waitcnt vmcnt(23)
	v_mul_f32_e32 v142, v9, v187
	v_mul_f32_e32 v167, v8, v187
	s_waitcnt vmcnt(22) lgkmcnt(2)
	v_mul_f32_e32 v160, v146, v188
	s_waitcnt vmcnt(21)
	v_mul_f32_e32 v5, v148, v189
	ds_read2_b64 v[138:141], v1 offset0:117 offset1:118
	ds_read_b64 v[10:11], v1 offset:952
	s_waitcnt vmcnt(20) lgkmcnt(3)
	v_mul_f32_e32 v171, v134, v190
	s_waitcnt vmcnt(19)
	v_mul_f32_e32 v163, v136, v191
	s_waitcnt vmcnt(18) lgkmcnt(2)
	v_mul_f32_e32 v168, v150, v192
	s_waitcnt vmcnt(16)
	v_mul_f32_e32 v172, v152, v198
	s_waitcnt vmcnt(12)
	v_fmac_f32_e32 v160, v147, v202
	s_waitcnt vmcnt(11)
	v_fma_f32 v8, v8, v203, -v142
	s_waitcnt vmcnt(10)
	v_fma_f32 v6, v6, v204, -v12
	;; [unrolled: 2-line block ×3, first 2 shown]
	v_fmac_f32_e32 v164, v145, v205
	v_fmac_f32_e32 v3, v7, v204
	v_mul_f32_e32 v7, v147, v188
	v_fmac_f32_e32 v167, v9, v203
	v_add_f32_e32 v2, v2, v143
	v_add_f32_e32 v4, v4, v164
	s_waitcnt lgkmcnt(1)
	v_mul_f32_e32 v166, v138, v199
	v_mul_f32_e32 v173, v140, v200
	s_waitcnt lgkmcnt(0)
	v_mul_f32_e32 v154, v10, v201
	v_add_f32_e32 v2, v2, v6
	v_add_f32_e32 v3, v4, v3
	v_mul_f32_e32 v4, v149, v189
	v_fma_f32 v6, v146, v202, -v7
	v_mul_f32_e32 v7, v135, v190
	v_add_f32_e32 v2, v2, v8
	v_add_f32_e32 v3, v3, v167
	;; [unrolled: 1-line block ×4, first 2 shown]
	v_mul_f32_e32 v6, v137, v191
	s_waitcnt vmcnt(8)
	v_fmac_f32_e32 v168, v151, v155
	s_waitcnt vmcnt(7)
	v_fmac_f32_e32 v163, v137, v156
	s_waitcnt vmcnt(6)
	v_fma_f32 v7, v134, v157, -v7
	s_waitcnt vmcnt(5)
	v_fma_f32 v4, v148, v158, -v4
	v_fmac_f32_e32 v5, v149, v158
	v_fmac_f32_e32 v171, v135, v157
	s_waitcnt vmcnt(1)
	v_fmac_f32_e32 v172, v153, v207
	v_fmac_f32_e32 v166, v139, v206
	v_add_f32_e32 v2, v2, v4
	v_add_f32_e32 v3, v3, v5
	v_mul_f32_e32 v4, v151, v192
	v_fma_f32 v5, v136, v156, -v6
	v_mul_f32_e32 v6, v153, v198
	v_add_f32_e32 v2, v2, v7
	v_add_f32_e32 v3, v3, v171
	v_fma_f32 v4, v150, v155, -v4
	v_fmac_f32_e32 v173, v141, v194
	v_fma_f32 v6, v152, v207, -v6
	v_add_f32_e32 v2, v2, v5
	v_add_f32_e32 v3, v3, v163
	v_mul_f32_e32 v5, v139, v199
	v_fmac_f32_e32 v154, v11, v159
	v_add_f32_e32 v2, v2, v4
	v_add_f32_e32 v3, v3, v168
	v_mul_f32_e32 v4, v141, v200
	v_fma_f32 v5, v138, v206, -v5
	v_add_f32_e32 v2, v2, v6
	v_add_f32_e32 v3, v3, v172
	v_mul_f32_e32 v6, v11, v201
	v_fma_f32 v4, v140, v194, -v4
	v_add_f32_e32 v2, v2, v5
	v_add_f32_e32 v3, v3, v166
	v_fma_f32 v5, v10, v159, -v6
	v_add_f32_e32 v2, v2, v4
	v_add_f32_e32 v3, v3, v173
	;; [unrolled: 1-line block ×4, first 2 shown]
	s_waitcnt vmcnt(0)
	v_sub_f32_e32 v2, v195, v2
	v_sub_f32_e32 v3, v193, v3
	buffer_store_dword v2, off, s[0:3], 0 offset:192
	buffer_store_dword v3, off, s[0:3], 0 offset:196
	v_cmpx_lt_u32_e32 23, v0
	s_cbranch_execz .LBB123_327
; %bb.326:
	s_clause 0x1
	buffer_load_dword v2, off, s[0:3], 0 offset:184
	buffer_load_dword v3, off, s[0:3], 0 offset:188
	buffer_store_dword v1, off, s[0:3], 0 offset:184
	buffer_store_dword v1, off, s[0:3], 0 offset:188
	s_waitcnt vmcnt(0)
	ds_write_b64 v133, v[2:3]
.LBB123_327:
	s_or_b32 exec_lo, exec_lo, s4
	s_waitcnt lgkmcnt(0)
	s_waitcnt_vscnt null, 0x0
	s_barrier
	buffer_gl0_inv
	s_clause 0x23
	buffer_load_dword v142, off, s[0:3], 0 offset:196
	buffer_load_dword v143, off, s[0:3], 0 offset:204
	;; [unrolled: 1-line block ×36, first 2 shown]
	ds_read_b128 v[5:8], v1 offset:672
	s_clause 0x2
	buffer_load_dword v178, off, s[0:3], 0 offset:332
	buffer_load_dword v179, off, s[0:3], 0 offset:340
	;; [unrolled: 1-line block ×3, first 2 shown]
	ds_read_b128 v[9:12], v1 offset:688
	s_clause 0x3
	buffer_load_dword v181, off, s[0:3], 0 offset:380
	buffer_load_dword v4, off, s[0:3], 0 offset:388
	;; [unrolled: 1-line block ×4, first 2 shown]
	ds_read_b128 v[134:137], v1 offset:704
	s_clause 0x6
	buffer_load_dword v182, off, s[0:3], 0 offset:356
	buffer_load_dword v183, off, s[0:3], 0 offset:364
	;; [unrolled: 1-line block ×7, first 2 shown]
	ds_read_b128 v[138:141], v1 offset:720
	buffer_load_dword v192, off, s[0:3], 0 offset:188
	s_mov_b32 s4, exec_lo
	s_waitcnt vmcnt(50) lgkmcnt(3)
	v_mul_f32_e32 v189, v6, v142
	v_mul_f32_e32 v190, v5, v142
	s_waitcnt vmcnt(49)
	v_mul_f32_e32 v191, v7, v143
	v_mul_f32_e32 v142, v8, v143
	s_waitcnt vmcnt(46)
	v_fma_f32 v189, v5, v145, -v189
	v_fmac_f32_e32 v190, v6, v145
	v_fmac_f32_e32 v191, v8, v144
	v_fma_f32 v193, v7, v144, -v142
	ds_read_b128 v[5:8], v1 offset:736
	ds_read_b128 v[142:145], v1 offset:752
	s_waitcnt vmcnt(45) lgkmcnt(4)
	v_mul_f32_e32 v194, v9, v147
	v_mul_f32_e32 v147, v10, v147
	s_waitcnt vmcnt(43) lgkmcnt(3)
	v_mul_f32_e32 v196, v134, v149
	v_mul_f32_e32 v149, v135, v149
	;; [unrolled: 1-line block ×3, first 2 shown]
	v_fmac_f32_e32 v194, v10, v146
	v_fma_f32 v146, v9, v146, -v147
	s_waitcnt vmcnt(42)
	v_mul_f32_e32 v9, v137, v150
	v_mul_f32_e32 v148, v12, v148
	;; [unrolled: 1-line block ×3, first 2 shown]
	s_waitcnt vmcnt(39)
	v_fmac_f32_e32 v196, v135, v153
	v_fma_f32 v134, v134, v153, -v149
	v_fma_f32 v135, v136, v152, -v9
	s_waitcnt vmcnt(37) lgkmcnt(2)
	v_mul_f32_e32 v136, v138, v155
	v_mul_f32_e32 v9, v139, v155
	s_waitcnt vmcnt(36)
	v_mul_f32_e32 v149, v140, v156
	v_mul_f32_e32 v10, v141, v156
	v_fmac_f32_e32 v195, v12, v154
	v_fma_f32 v148, v11, v154, -v148
	s_clause 0x3
	buffer_load_dword v154, off, s[0:3], 0 offset:412
	buffer_load_dword v197, off, s[0:3], 0 offset:420
	;; [unrolled: 1-line block ×4, first 2 shown]
	v_fmac_f32_e32 v147, v137, v152
	s_clause 0x4
	buffer_load_dword v200, off, s[0:3], 0 offset:444
	buffer_load_dword v201, off, s[0:3], 0 offset:452
	;; [unrolled: 1-line block ×5, first 2 shown]
	v_fmac_f32_e32 v136, v139, v151
	v_fma_f32 v137, v138, v151, -v9
	s_waitcnt vmcnt(44) lgkmcnt(1)
	v_mul_f32_e32 v138, v5, v157
	v_mul_f32_e32 v9, v6, v157
	s_waitcnt vmcnt(40)
	v_fmac_f32_e32 v149, v141, v161
	v_fma_f32 v139, v140, v161, -v10
	s_waitcnt vmcnt(39)
	v_mul_f32_e32 v150, v7, v162
	v_mul_f32_e32 v10, v8, v162
	s_clause 0x3
	buffer_load_dword v156, off, s[0:3], 0 offset:400
	buffer_load_dword v157, off, s[0:3], 0 offset:392
	;; [unrolled: 1-line block ×4, first 2 shown]
	v_fmac_f32_e32 v138, v6, v160
	v_fma_f32 v140, v5, v160, -v9
	v_fmac_f32_e32 v150, v8, v159
	v_fma_f32 v151, v7, v159, -v10
	ds_read_b128 v[5:8], v1 offset:768
	s_waitcnt vmcnt(42) lgkmcnt(1)
	v_mul_f32_e32 v152, v142, v163
	v_mul_f32_e32 v9, v143, v163
	s_waitcnt vmcnt(41)
	v_mul_f32_e32 v153, v144, v164
	v_mul_f32_e32 v10, v145, v164
	v_fmac_f32_e32 v152, v143, v158
	v_fma_f32 v142, v142, v158, -v9
	s_clause 0x3
	buffer_load_dword v158, off, s[0:3], 0 offset:432
	buffer_load_dword v159, off, s[0:3], 0 offset:424
	;; [unrolled: 1-line block ×4, first 2 shown]
	v_add_f32_e32 v9, 0, v189
	s_waitcnt vmcnt(41)
	v_fmac_f32_e32 v153, v145, v168
	v_fma_f32 v143, v144, v168, -v10
	v_add_f32_e32 v10, 0, v190
	v_add_f32_e32 v141, v9, v193
	;; [unrolled: 1-line block ×3, first 2 shown]
	ds_read_b128 v[9:12], v1 offset:784
	v_add_f32_e32 v141, v141, v146
	s_waitcnt vmcnt(40) lgkmcnt(1)
	v_mul_f32_e32 v146, v5, v169
	v_mul_f32_e32 v145, v6, v169
	v_add_f32_e32 v144, v144, v194
	s_waitcnt vmcnt(39)
	v_mul_f32_e32 v193, v7, v170
	v_fmac_f32_e32 v146, v6, v167
	v_fma_f32 v164, v5, v167, -v145
	s_clause 0x5
	buffer_load_dword v167, off, s[0:3], 0 offset:464
	buffer_load_dword v168, off, s[0:3], 0 offset:456
	;; [unrolled: 1-line block ×6, first 2 shown]
	v_add_f32_e32 v5, v141, v148
	v_add_f32_e32 v6, v144, v195
	v_fmac_f32_e32 v193, v8, v166
	v_add_f32_e32 v5, v5, v134
	v_add_f32_e32 v6, v6, v196
	v_mul_f32_e32 v134, v8, v170
	s_waitcnt vmcnt(43) lgkmcnt(0)
	v_mul_f32_e32 v145, v12, v172
	v_mul_f32_e32 v170, v9, v171
	v_add_f32_e32 v5, v5, v135
	v_add_f32_e32 v135, v6, v147
	v_fma_f32 v166, v7, v166, -v134
	v_fmac_f32_e32 v170, v10, v165
	v_add_f32_e32 v141, v5, v137
	ds_read_b128 v[5:8], v1 offset:800
	v_add_f32_e32 v144, v135, v136
	ds_read_b128 v[134:137], v1 offset:816
	v_add_f32_e32 v139, v141, v139
	v_mul_f32_e32 v141, v10, v171
	v_add_f32_e32 v144, v144, v149
	v_mul_f32_e32 v171, v11, v172
	s_waitcnt vmcnt(39)
	v_fma_f32 v172, v11, v176, -v145
	v_add_f32_e32 v147, v139, v140
	v_fma_f32 v165, v9, v165, -v141
	v_add_f32_e32 v144, v144, v138
	v_fmac_f32_e32 v171, v12, v176
	ds_read_b128 v[9:12], v1 offset:832
	ds_read_b128 v[138:141], v1 offset:848
	v_add_f32_e32 v145, v147, v151
	v_add_f32_e32 v144, v144, v150
	;; [unrolled: 1-line block ×3, first 2 shown]
	s_waitcnt vmcnt(38) lgkmcnt(3)
	v_mul_f32_e32 v176, v5, v177
	v_mul_f32_e32 v147, v6, v177
	s_waitcnt vmcnt(37)
	v_mul_f32_e32 v177, v7, v178
	v_mul_f32_e32 v148, v8, v178
	v_add_f32_e32 v144, v144, v152
	v_fmac_f32_e32 v176, v6, v175
	v_fma_f32 v175, v5, v175, -v147
	v_add_f32_e32 v147, v142, v143
	v_fmac_f32_e32 v177, v8, v174
	v_fma_f32 v174, v7, v174, -v148
	v_add_f32_e32 v148, v144, v153
	s_waitcnt vmcnt(35) lgkmcnt(2)
	v_mul_f32_e32 v150, v137, v180
	v_add_f32_e32 v151, v147, v164
	s_waitcnt vmcnt(30) lgkmcnt(1)
	v_mul_f32_e32 v152, v10, v182
	v_mul_f32_e32 v178, v134, v179
	;; [unrolled: 1-line block ×3, first 2 shown]
	s_waitcnt vmcnt(24)
	v_fma_f32 v164, v136, v188, -v150
	v_add_f32_e32 v150, v148, v146
	v_add_f32_e32 v151, v151, v166
	v_mul_f32_e32 v166, v9, v182
	v_fmac_f32_e32 v178, v135, v173
	v_fma_f32 v173, v134, v173, -v149
	v_add_f32_e32 v150, v150, v193
	v_mul_f32_e32 v179, v136, v180
	v_fmac_f32_e32 v166, v10, v187
	v_add_f32_e32 v10, v151, v165
	ds_read_b128 v[5:8], v1 offset:864
	ds_read_b128 v[142:145], v1 offset:880
	v_add_f32_e32 v150, v150, v170
	v_fmac_f32_e32 v179, v137, v188
	v_mul_f32_e32 v153, v12, v183
	v_add_f32_e32 v172, v10, v172
	v_fma_f32 v165, v9, v187, -v152
	v_add_f32_e32 v171, v150, v171
	v_mul_f32_e32 v180, v11, v183
	v_fma_f32 v170, v11, v186, -v153
	v_add_f32_e32 v172, v172, v175
	s_waitcnt lgkmcnt(2)
	v_mul_f32_e32 v175, v139, v184
	v_add_f32_e32 v171, v171, v176
	ds_read_b128 v[134:137], v1 offset:896
	ds_read_b128 v[146:149], v1 offset:912
	v_fmac_f32_e32 v180, v12, v186
	v_add_f32_e32 v172, v172, v174
	ds_read_b128 v[9:12], v1 offset:928
	ds_read_b128 v[150:153], v1 offset:944
	v_add_f32_e32 v171, v171, v177
	v_mul_f32_e32 v1, v138, v184
	v_mul_f32_e32 v176, v140, v181
	v_add_f32_e32 v172, v172, v173
	v_mul_f32_e32 v181, v141, v181
	v_add_f32_e32 v171, v171, v178
	v_fma_f32 v138, v138, v185, -v175
	v_fmac_f32_e32 v1, v139, v185
	v_add_f32_e32 v164, v172, v164
	s_waitcnt lgkmcnt(5)
	v_mul_f32_e32 v174, v5, v4
	v_add_f32_e32 v171, v171, v179
	v_mul_f32_e32 v4, v6, v4
	v_mul_f32_e32 v177, v7, v3
	v_add_f32_e32 v164, v164, v165
	v_mul_f32_e32 v3, v8, v3
	v_add_f32_e32 v166, v171, v166
	s_waitcnt lgkmcnt(4)
	v_mul_f32_e32 v182, v142, v2
	v_mul_f32_e32 v2, v143, v2
	v_add_f32_e32 v164, v164, v170
	v_add_f32_e32 v166, v166, v180
	;; [unrolled: 1-line block ×4, first 2 shown]
	s_waitcnt vmcnt(22)
	v_mul_f32_e32 v173, v144, v154
	s_waitcnt vmcnt(21) lgkmcnt(3)
	v_mul_f32_e32 v178, v134, v197
	s_waitcnt vmcnt(20)
	v_mul_f32_e32 v183, v136, v198
	s_waitcnt vmcnt(19) lgkmcnt(2)
	v_mul_f32_e32 v172, v146, v199
	s_waitcnt vmcnt(18)
	v_mul_f32_e32 v179, v148, v200
	s_waitcnt vmcnt(17) lgkmcnt(1)
	v_mul_f32_e32 v184, v9, v201
	s_waitcnt vmcnt(16)
	v_mul_f32_e32 v165, v11, v202
	s_waitcnt vmcnt(15) lgkmcnt(0)
	v_mul_f32_e32 v171, v150, v203
	s_waitcnt vmcnt(14)
	v_mul_f32_e32 v139, v152, v155
	s_waitcnt vmcnt(13)
	v_fma_f32 v2, v142, v156, -v2
	s_waitcnt vmcnt(12)
	v_fma_f32 v3, v7, v157, -v3
	;; [unrolled: 2-line block ×4, first 2 shown]
	v_fmac_f32_e32 v176, v141, v162
	v_fmac_f32_e32 v174, v6, v161
	;; [unrolled: 1-line block ×4, first 2 shown]
	v_add_f32_e32 v5, v138, v140
	v_add_f32_e32 v1, v1, v176
	;; [unrolled: 1-line block ×4, first 2 shown]
	v_mul_f32_e32 v5, v145, v154
	s_waitcnt vmcnt(6)
	v_fmac_f32_e32 v173, v145, v163
	v_fmac_f32_e32 v178, v135, v160
	v_add_f32_e32 v3, v4, v3
	v_add_f32_e32 v1, v1, v177
	v_mul_f32_e32 v4, v135, v197
	v_fma_f32 v5, v144, v163, -v5
	v_fmac_f32_e32 v183, v137, v159
	v_add_f32_e32 v2, v3, v2
	v_add_f32_e32 v1, v1, v182
	v_mul_f32_e32 v3, v137, v198
	v_fma_f32 v4, v134, v160, -v4
	;; [unrolled: 5-line block ×3, first 2 shown]
	s_waitcnt vmcnt(5)
	v_fmac_f32_e32 v171, v151, v167
	v_add_f32_e32 v2, v2, v4
	v_add_f32_e32 v1, v1, v178
	v_mul_f32_e32 v4, v149, v200
	v_fma_f32 v5, v146, v158, -v5
	s_waitcnt vmcnt(2)
	v_fmac_f32_e32 v179, v149, v189
	v_add_f32_e32 v2, v2, v3
	v_add_f32_e32 v1, v1, v183
	v_mul_f32_e32 v3, v10, v201
	v_fma_f32 v4, v148, v189, -v4
	v_fmac_f32_e32 v184, v10, v169
	v_add_f32_e32 v2, v2, v5
	v_add_f32_e32 v1, v1, v172
	v_mul_f32_e32 v5, v12, v202
	v_fma_f32 v3, v9, v169, -v3
	;; [unrolled: 5-line block ×3, first 2 shown]
	s_waitcnt vmcnt(1)
	v_fmac_f32_e32 v139, v153, v190
	v_add_f32_e32 v2, v2, v3
	v_add_f32_e32 v1, v1, v184
	v_mul_f32_e32 v3, v153, v155
	v_fma_f32 v4, v150, v167, -v4
	v_add_f32_e32 v2, v2, v5
	v_add_f32_e32 v1, v1, v165
	v_fma_f32 v3, v152, v190, -v3
	v_add_f32_e32 v2, v2, v4
	v_add_f32_e32 v1, v1, v171
	;; [unrolled: 1-line block ×4, first 2 shown]
	s_waitcnt vmcnt(0)
	v_sub_f32_e32 v2, v191, v2
	v_sub_f32_e32 v1, v192, v1
	buffer_store_dword v2, off, s[0:3], 0 offset:184
	buffer_store_dword v1, off, s[0:3], 0 offset:188
	v_cmpx_lt_u32_e32 22, v0
	s_cbranch_execz .LBB123_329
; %bb.328:
	s_clause 0x1
	buffer_load_dword v1, off, s[0:3], 0 offset:176
	buffer_load_dword v2, off, s[0:3], 0 offset:180
	v_mov_b32_e32 v3, 0
	buffer_store_dword v3, off, s[0:3], 0 offset:176
	buffer_store_dword v3, off, s[0:3], 0 offset:180
	s_waitcnt vmcnt(0)
	ds_write_b64 v133, v[1:2]
.LBB123_329:
	s_or_b32 exec_lo, exec_lo, s4
	s_waitcnt lgkmcnt(0)
	s_waitcnt_vscnt null, 0x0
	s_barrier
	buffer_gl0_inv
	s_clause 0x25
	buffer_load_dword v2, off, s[0:3], 0 offset:188
	buffer_load_dword v3, off, s[0:3], 0 offset:196
	;; [unrolled: 1-line block ×38, first 2 shown]
	v_mov_b32_e32 v1, 0
	ds_read2_b64 v[4:7], v1 offset0:83 offset1:84
	ds_read2_b64 v[8:11], v1 offset0:85 offset1:86
	s_clause 0x10
	buffer_load_dword v177, off, s[0:3], 0 offset:340
	buffer_load_dword v178, off, s[0:3], 0 offset:348
	;; [unrolled: 1-line block ×17, first 2 shown]
	ds_read2_b64 v[134:137], v1 offset0:87 offset1:88
	ds_read2_b64 v[138:141], v1 offset0:89 offset1:90
	s_mov_b32 s4, exec_lo
	s_waitcnt vmcnt(54) lgkmcnt(3)
	v_mul_f32_e32 v194, v5, v2
	v_mul_f32_e32 v195, v4, v2
	s_waitcnt vmcnt(53)
	v_mul_f32_e32 v196, v6, v3
	v_mul_f32_e32 v2, v7, v3
	s_waitcnt vmcnt(52) lgkmcnt(2)
	v_mul_f32_e32 v197, v8, v12
	v_mul_f32_e32 v3, v9, v12
	s_waitcnt vmcnt(49)
	v_fma_f32 v12, v4, v144, -v194
	s_waitcnt vmcnt(48)
	v_mul_f32_e32 v4, v11, v145
	v_fmac_f32_e32 v195, v5, v144
	v_mul_f32_e32 v144, v10, v145
	v_fmac_f32_e32 v196, v7, v143
	v_fma_f32 v143, v6, v143, -v2
	v_fmac_f32_e32 v197, v9, v142
	v_fma_f32 v142, v8, v142, -v3
	s_waitcnt vmcnt(44)
	v_fma_f32 v10, v10, v149, -v4
	ds_read2_b64 v[2:5], v1 offset0:91 offset1:92
	ds_read2_b64 v[6:9], v1 offset0:93 offset1:94
	v_fmac_f32_e32 v144, v11, v149
	s_waitcnt vmcnt(43) lgkmcnt(3)
	v_mul_f32_e32 v11, v134, v150
	v_mul_f32_e32 v145, v135, v150
	s_waitcnt vmcnt(42)
	v_mul_f32_e32 v149, v136, v151
	v_mul_f32_e32 v150, v137, v151
	s_waitcnt vmcnt(41) lgkmcnt(2)
	v_mul_f32_e32 v151, v138, v152
	v_mul_f32_e32 v152, v139, v152
	v_fmac_f32_e32 v11, v135, v148
	v_fma_f32 v134, v134, v148, -v145
	s_waitcnt vmcnt(40)
	v_mul_f32_e32 v135, v140, v153
	v_mul_f32_e32 v145, v141, v153
	v_fmac_f32_e32 v149, v137, v147
	v_fma_f32 v136, v136, v147, -v150
	v_fmac_f32_e32 v151, v139, v146
	v_fma_f32 v137, v138, v146, -v152
	s_waitcnt vmcnt(36)
	v_fmac_f32_e32 v135, v141, v157
	v_fma_f32 v138, v140, v157, -v145
	s_clause 0x3
	buffer_load_dword v194, off, s[0:3], 0 offset:404
	buffer_load_dword v198, off, s[0:3], 0 offset:412
	;; [unrolled: 1-line block ×4, first 2 shown]
	s_waitcnt vmcnt(39) lgkmcnt(1)
	v_mul_f32_e32 v139, v2, v158
	v_mul_f32_e32 v140, v3, v158
	s_waitcnt vmcnt(38)
	v_mul_f32_e32 v141, v4, v159
	v_mul_f32_e32 v145, v5, v159
	s_waitcnt vmcnt(37) lgkmcnt(0)
	v_mul_f32_e32 v147, v7, v160
	s_clause 0x3
	buffer_load_dword v157, off, s[0:3], 0 offset:436
	buffer_load_dword v201, off, s[0:3], 0 offset:444
	;; [unrolled: 1-line block ×4, first 2 shown]
	v_fmac_f32_e32 v139, v3, v156
	v_fma_f32 v140, v2, v156, -v140
	v_mul_f32_e32 v146, v6, v160
	v_fmac_f32_e32 v141, v5, v155
	v_fma_f32 v145, v4, v155, -v145
	ds_read2_b64 v[2:5], v1 offset0:95 offset1:96
	v_fma_f32 v147, v6, v154, -v147
	s_waitcnt vmcnt(40)
	v_mul_f32_e32 v6, v9, v161
	s_clause 0x1
	buffer_load_dword v158, off, s[0:3], 0 offset:468
	buffer_load_dword v155, off, s[0:3], 0 offset:476
	v_fmac_f32_e32 v146, v7, v154
	v_mul_f32_e32 v148, v8, v161
	s_waitcnt vmcnt(38)
	v_fma_f32 v150, v8, v165, -v6
	v_add_f32_e32 v6, 0, v12
	s_clause 0x3
	buffer_load_dword v12, off, s[0:3], 0 offset:424
	buffer_load_dword v154, off, s[0:3], 0 offset:416
	;; [unrolled: 1-line block ×4, first 2 shown]
	v_add_f32_e32 v7, 0, v195
	v_fmac_f32_e32 v148, v9, v165
	v_add_f32_e32 v6, v6, v143
	v_add_f32_e32 v143, v7, v196
	v_add_f32_e32 v142, v6, v142
	ds_read2_b64 v[6:9], v1 offset0:97 offset1:98
	s_waitcnt vmcnt(41) lgkmcnt(1)
	v_mul_f32_e32 v152, v2, v166
	v_mul_f32_e32 v153, v3, v166
	v_add_f32_e32 v143, v143, v197
	v_add_f32_e32 v10, v142, v10
	v_fmac_f32_e32 v152, v3, v164
	v_fma_f32 v142, v2, v164, -v153
	s_clause 0x6
	buffer_load_dword v160, off, s[0:3], 0 offset:456
	buffer_load_dword v161, off, s[0:3], 0 offset:448
	;; [unrolled: 1-line block ×7, first 2 shown]
	v_add_f32_e32 v2, v143, v144
	v_add_f32_e32 v3, v10, v134
	s_waitcnt vmcnt(47)
	v_mul_f32_e32 v10, v4, v167
	v_add_f32_e32 v2, v2, v11
	v_add_f32_e32 v3, v3, v136
	v_mul_f32_e32 v11, v5, v167
	v_fmac_f32_e32 v10, v5, v163
	s_waitcnt vmcnt(45) lgkmcnt(0)
	v_mul_f32_e32 v153, v8, v169
	v_add_f32_e32 v2, v2, v149
	v_add_f32_e32 v3, v3, v137
	v_fma_f32 v11, v4, v163, -v11
	s_waitcnt vmcnt(41)
	v_fmac_f32_e32 v153, v9, v173
	v_add_f32_e32 v134, v2, v151
	v_add_f32_e32 v138, v3, v138
	ds_read2_b64 v[2:5], v1 offset0:99 offset1:100
	v_mul_f32_e32 v151, v6, v168
	v_add_f32_e32 v143, v134, v135
	v_add_f32_e32 v138, v138, v140
	v_mul_f32_e32 v140, v7, v168
	ds_read2_b64 v[134:137], v1 offset0:101 offset1:102
	v_fmac_f32_e32 v151, v7, v162
	v_add_f32_e32 v139, v143, v139
	v_mul_f32_e32 v143, v9, v169
	v_add_f32_e32 v144, v138, v145
	v_fma_f32 v162, v6, v162, -v140
	v_fma_f32 v163, v8, v173, -v143
	v_add_f32_e32 v143, v139, v141
	v_add_f32_e32 v144, v144, v147
	ds_read2_b64 v[6:9], v1 offset0:103 offset1:104
	ds_read2_b64 v[138:141], v1 offset0:105 offset1:106
	v_add_f32_e32 v143, v143, v146
	s_waitcnt vmcnt(39) lgkmcnt(3)
	v_mul_f32_e32 v168, v4, v175
	v_mul_f32_e32 v146, v5, v175
	v_add_f32_e32 v144, v144, v150
	v_mul_f32_e32 v145, v3, v174
	v_add_f32_e32 v143, v143, v148
	v_fmac_f32_e32 v168, v5, v171
	v_fma_f32 v171, v4, v171, -v146
	v_add_f32_e32 v146, v144, v142
	v_mul_f32_e32 v167, v2, v174
	v_add_f32_e32 v148, v143, v152
	v_fma_f32 v150, v2, v172, -v145
	s_waitcnt vmcnt(38) lgkmcnt(2)
	v_mul_f32_e32 v169, v134, v176
	v_add_f32_e32 v11, v146, v11
	v_fmac_f32_e32 v167, v3, v172
	v_add_f32_e32 v10, v148, v10
	v_mul_f32_e32 v147, v135, v176
	s_waitcnt vmcnt(37)
	v_mul_f32_e32 v149, v137, v177
	v_add_f32_e32 v11, v11, v162
	s_waitcnt vmcnt(36) lgkmcnt(1)
	v_mul_f32_e32 v162, v6, v178
	v_add_f32_e32 v10, v10, v151
	v_mul_f32_e32 v151, v7, v178
	v_fmac_f32_e32 v169, v135, v170
	v_fma_f32 v170, v134, v170, -v147
	s_waitcnt vmcnt(31)
	v_fmac_f32_e32 v162, v7, v183
	v_add_f32_e32 v7, v11, v163
	v_add_f32_e32 v10, v10, v153
	v_mul_f32_e32 v173, v136, v177
	s_waitcnt vmcnt(30)
	v_fma_f32 v172, v136, v184, -v149
	ds_read2_b64 v[2:5], v1 offset0:107 offset1:108
	ds_read2_b64 v[142:145], v1 offset0:109 offset1:110
	v_add_f32_e32 v176, v7, v150
	v_add_f32_e32 v167, v10, v167
	v_fmac_f32_e32 v173, v137, v184
	v_mul_f32_e32 v152, v9, v179
	v_fma_f32 v163, v6, v183, -v151
	v_add_f32_e32 v171, v176, v171
	v_add_f32_e32 v167, v167, v168
	v_mul_f32_e32 v174, v8, v179
	v_fma_f32 v175, v8, v182, -v152
	s_waitcnt lgkmcnt(2)
	v_mul_f32_e32 v177, v139, v180
	v_add_f32_e32 v170, v171, v170
	v_add_f32_e32 v167, v167, v169
	v_fmac_f32_e32 v174, v9, v182
	v_mul_f32_e32 v176, v138, v180
	s_waitcnt vmcnt(29)
	v_mul_f32_e32 v178, v141, v185
	v_add_f32_e32 v170, v170, v172
	v_add_f32_e32 v167, v167, v173
	v_fma_f32 v138, v138, v181, -v177
	v_mul_f32_e32 v168, v140, v185
	v_fmac_f32_e32 v176, v139, v181
	v_add_f32_e32 v163, v170, v163
	v_add_f32_e32 v162, v167, v162
	s_waitcnt vmcnt(28) lgkmcnt(1)
	v_mul_f32_e32 v171, v2, v186
	v_mul_f32_e32 v177, v3, v186
	s_waitcnt vmcnt(22)
	v_fma_f32 v140, v140, v192, -v178
	v_add_f32_e32 v163, v163, v175
	v_add_f32_e32 v162, v162, v174
	ds_read2_b64 v[134:137], v1 offset0:111 offset1:112
	ds_read2_b64 v[146:149], v1 offset0:113 offset1:114
	v_fmac_f32_e32 v168, v141, v192
	v_mul_f32_e32 v174, v5, v187
	v_add_f32_e32 v138, v163, v138
	v_add_f32_e32 v162, v162, v176
	v_fmac_f32_e32 v171, v3, v191
	v_fma_f32 v2, v2, v191, -v177
	v_mul_f32_e32 v169, v4, v187
	v_add_f32_e32 v3, v138, v140
	v_add_f32_e32 v138, v162, v168
	s_waitcnt lgkmcnt(2)
	v_mul_f32_e32 v140, v143, v188
	v_fma_f32 v4, v4, v190, -v174
	v_mul_f32_e32 v139, v142, v188
	v_add_f32_e32 v2, v3, v2
	v_fmac_f32_e32 v169, v5, v190
	v_add_f32_e32 v3, v138, v171
	v_fma_f32 v138, v142, v189, -v140
	v_fmac_f32_e32 v139, v143, v189
	v_add_f32_e32 v2, v2, v4
	ds_read2_b64 v[6:9], v1 offset0:115 offset1:116
	ds_read2_b64 v[150:153], v1 offset0:117 offset1:118
	ds_read_b64 v[10:11], v1 offset:952
	v_add_f32_e32 v3, v3, v169
	v_add_f32_e32 v2, v2, v138
	;; [unrolled: 1-line block ×3, first 2 shown]
	s_waitcnt vmcnt(20)
	v_mul_f32_e32 v5, v145, v194
	v_mul_f32_e32 v172, v144, v194
	s_waitcnt vmcnt(19) lgkmcnt(4)
	v_mul_f32_e32 v4, v135, v198
	v_mul_f32_e32 v173, v134, v198
	s_waitcnt vmcnt(18)
	v_mul_f32_e32 v138, v137, v199
	v_mul_f32_e32 v141, v136, v199
	s_waitcnt vmcnt(17) lgkmcnt(3)
	v_mul_f32_e32 v178, v146, v200
	s_waitcnt vmcnt(16)
	v_mul_f32_e32 v167, v148, v157
	s_waitcnt vmcnt(15) lgkmcnt(2)
	v_mul_f32_e32 v170, v6, v201
	s_waitcnt vmcnt(14)
	v_mul_f32_e32 v179, v8, v202
	s_waitcnt vmcnt(13) lgkmcnt(1)
	v_mul_f32_e32 v175, v150, v203
	s_waitcnt vmcnt(12)
	v_mul_f32_e32 v180, v152, v158
	s_waitcnt vmcnt(11) lgkmcnt(0)
	v_mul_f32_e32 v163, v10, v155
	s_waitcnt vmcnt(10)
	v_fmac_f32_e32 v178, v147, v12
	s_waitcnt vmcnt(9)
	v_fmac_f32_e32 v141, v137, v154
	s_waitcnt vmcnt(8)
	v_fma_f32 v4, v134, v156, -v4
	s_waitcnt vmcnt(7)
	v_fma_f32 v5, v144, v159, -v5
	v_fmac_f32_e32 v172, v145, v159
	v_fmac_f32_e32 v173, v135, v156
	v_fma_f32 v134, v136, v154, -v138
	v_add_f32_e32 v2, v2, v5
	v_add_f32_e32 v3, v3, v172
	v_mul_f32_e32 v5, v147, v200
	v_add_f32_e32 v2, v2, v4
	v_add_f32_e32 v3, v3, v173
	v_mul_f32_e32 v4, v149, v157
	v_fma_f32 v5, v146, v12, -v5
	v_mul_f32_e32 v12, v7, v201
	v_add_f32_e32 v2, v2, v134
	v_add_f32_e32 v3, v3, v141
	s_waitcnt vmcnt(4)
	v_fmac_f32_e32 v170, v7, v164
	s_waitcnt vmcnt(3)
	v_fma_f32 v4, v148, v165, -v4
	v_fmac_f32_e32 v167, v149, v165
	v_add_f32_e32 v2, v2, v5
	v_add_f32_e32 v3, v3, v178
	v_mul_f32_e32 v5, v9, v202
	v_fma_f32 v6, v6, v164, -v12
	v_fmac_f32_e32 v179, v9, v161
	v_add_f32_e32 v2, v2, v4
	v_add_f32_e32 v3, v3, v167
	v_mul_f32_e32 v4, v151, v203
	;; [unrolled: 5-line block ×3, first 2 shown]
	v_fma_f32 v4, v150, v160, -v4
	s_waitcnt vmcnt(1)
	v_fmac_f32_e32 v180, v153, v195
	v_add_f32_e32 v2, v2, v5
	v_add_f32_e32 v3, v3, v179
	v_mul_f32_e32 v5, v11, v155
	v_fma_f32 v6, v152, v195, -v6
	v_fmac_f32_e32 v163, v11, v166
	v_add_f32_e32 v2, v2, v4
	v_add_f32_e32 v3, v3, v175
	v_fma_f32 v4, v10, v166, -v5
	v_add_f32_e32 v2, v2, v6
	v_add_f32_e32 v3, v3, v180
	;; [unrolled: 1-line block ×4, first 2 shown]
	s_waitcnt vmcnt(0)
	v_sub_f32_e32 v2, v196, v2
	v_sub_f32_e32 v3, v193, v3
	buffer_store_dword v2, off, s[0:3], 0 offset:176
	buffer_store_dword v3, off, s[0:3], 0 offset:180
	v_cmpx_lt_u32_e32 21, v0
	s_cbranch_execz .LBB123_331
; %bb.330:
	s_clause 0x1
	buffer_load_dword v2, off, s[0:3], 0 offset:168
	buffer_load_dword v3, off, s[0:3], 0 offset:172
	buffer_store_dword v1, off, s[0:3], 0 offset:168
	buffer_store_dword v1, off, s[0:3], 0 offset:172
	s_waitcnt vmcnt(0)
	ds_write_b64 v133, v[2:3]
.LBB123_331:
	s_or_b32 exec_lo, exec_lo, s4
	s_waitcnt lgkmcnt(0)
	s_waitcnt_vscnt null, 0x0
	s_barrier
	buffer_gl0_inv
	s_clause 0x1e
	buffer_load_dword v2, off, s[0:3], 0 offset:180
	buffer_load_dword v3, off, s[0:3], 0 offset:188
	buffer_load_dword v12, off, s[0:3], 0 offset:196
	buffer_load_dword v150, off, s[0:3], 0 offset:192
	buffer_load_dword v151, off, s[0:3], 0 offset:184
	buffer_load_dword v152, off, s[0:3], 0 offset:176
	buffer_load_dword v153, off, s[0:3], 0 offset:204
	buffer_load_dword v154, off, s[0:3], 0 offset:224
	buffer_load_dword v155, off, s[0:3], 0 offset:216
	buffer_load_dword v156, off, s[0:3], 0 offset:208
	buffer_load_dword v157, off, s[0:3], 0 offset:200
	buffer_load_dword v158, off, s[0:3], 0 offset:212
	buffer_load_dword v159, off, s[0:3], 0 offset:220
	buffer_load_dword v160, off, s[0:3], 0 offset:228
	buffer_load_dword v161, off, s[0:3], 0 offset:236
	buffer_load_dword v162, off, s[0:3], 0 offset:256
	buffer_load_dword v163, off, s[0:3], 0 offset:248
	buffer_load_dword v164, off, s[0:3], 0 offset:240
	buffer_load_dword v165, off, s[0:3], 0 offset:232
	buffer_load_dword v166, off, s[0:3], 0 offset:244
	buffer_load_dword v167, off, s[0:3], 0 offset:252
	buffer_load_dword v168, off, s[0:3], 0 offset:260
	buffer_load_dword v169, off, s[0:3], 0 offset:268
	buffer_load_dword v170, off, s[0:3], 0 offset:288
	buffer_load_dword v171, off, s[0:3], 0 offset:280
	buffer_load_dword v172, off, s[0:3], 0 offset:272
	buffer_load_dword v173, off, s[0:3], 0 offset:264
	buffer_load_dword v174, off, s[0:3], 0 offset:276
	buffer_load_dword v175, off, s[0:3], 0 offset:284
	buffer_load_dword v176, off, s[0:3], 0 offset:292
	buffer_load_dword v177, off, s[0:3], 0 offset:300
	ds_read_b128 v[4:7], v1 offset:656
	s_clause 0x3
	buffer_load_dword v178, off, s[0:3], 0 offset:320
	buffer_load_dword v179, off, s[0:3], 0 offset:312
	;; [unrolled: 1-line block ×4, first 2 shown]
	ds_read_b128 v[8:11], v1 offset:672
	s_clause 0xa
	buffer_load_dword v182, off, s[0:3], 0 offset:308
	buffer_load_dword v183, off, s[0:3], 0 offset:316
	;; [unrolled: 1-line block ×11, first 2 shown]
	ds_read_b128 v[134:137], v1 offset:688
	ds_read_b128 v[138:141], v1 offset:704
	;; [unrolled: 1-line block ×4, first 2 shown]
	buffer_load_dword v193, off, s[0:3], 0 offset:172
	s_mov_b32 s4, exec_lo
	s_waitcnt vmcnt(46) lgkmcnt(5)
	v_mul_f32_e32 v194, v5, v2
	v_mul_f32_e32 v195, v4, v2
	s_waitcnt vmcnt(45)
	v_mul_f32_e32 v196, v6, v3
	v_mul_f32_e32 v2, v7, v3
	s_waitcnt vmcnt(44) lgkmcnt(4)
	v_mul_f32_e32 v197, v8, v12
	v_mul_f32_e32 v3, v9, v12
	s_waitcnt vmcnt(41)
	v_fma_f32 v12, v4, v152, -v194
	v_fmac_f32_e32 v195, v5, v152
	s_waitcnt vmcnt(40)
	v_mul_f32_e32 v152, v10, v153
	v_mul_f32_e32 v4, v11, v153
	v_fmac_f32_e32 v196, v7, v151
	s_waitcnt vmcnt(35) lgkmcnt(3)
	v_mul_f32_e32 v153, v135, v158
	v_fma_f32 v151, v6, v151, -v2
	v_fmac_f32_e32 v152, v11, v157
	v_mul_f32_e32 v11, v134, v158
	v_fma_f32 v10, v10, v157, -v4
	s_waitcnt vmcnt(34)
	v_mul_f32_e32 v157, v136, v159
	v_mul_f32_e32 v158, v137, v159
	s_waitcnt vmcnt(33) lgkmcnt(2)
	v_mul_f32_e32 v159, v138, v160
	v_mul_f32_e32 v160, v139, v160
	v_fmac_f32_e32 v11, v135, v156
	v_fma_f32 v134, v134, v156, -v153
	s_waitcnt vmcnt(32)
	v_mul_f32_e32 v135, v140, v161
	v_mul_f32_e32 v153, v141, v161
	v_fmac_f32_e32 v197, v9, v150
	v_fma_f32 v150, v8, v150, -v3
	ds_read_b128 v[2:5], v1 offset:752
	ds_read_b128 v[6:9], v1 offset:768
	v_fmac_f32_e32 v157, v137, v155
	v_fma_f32 v136, v136, v155, -v158
	v_fmac_f32_e32 v159, v139, v154
	v_fma_f32 v137, v138, v154, -v160
	s_waitcnt vmcnt(28)
	v_fmac_f32_e32 v135, v141, v165
	v_fma_f32 v138, v140, v165, -v153
	s_clause 0x7
	buffer_load_dword v153, off, s[0:3], 0 offset:364
	buffer_load_dword v154, off, s[0:3], 0 offset:372
	;; [unrolled: 1-line block ×8, first 2 shown]
	s_waitcnt vmcnt(35) lgkmcnt(3)
	v_mul_f32_e32 v139, v142, v166
	v_mul_f32_e32 v140, v143, v166
	s_waitcnt vmcnt(34)
	v_mul_f32_e32 v141, v144, v167
	v_mul_f32_e32 v166, v145, v167
	s_waitcnt vmcnt(33) lgkmcnt(2)
	v_mul_f32_e32 v167, v146, v168
	v_mul_f32_e32 v168, v147, v168
	v_fmac_f32_e32 v139, v143, v164
	v_fma_f32 v140, v142, v164, -v140
	s_waitcnt vmcnt(32)
	v_mul_f32_e32 v142, v148, v169
	v_mul_f32_e32 v143, v149, v169
	v_fmac_f32_e32 v141, v145, v163
	v_fmac_f32_e32 v167, v147, v162
	v_fma_f32 v145, v146, v162, -v168
	s_waitcnt vmcnt(28)
	v_fmac_f32_e32 v142, v149, v173
	v_fma_f32 v143, v148, v173, -v143
	s_waitcnt vmcnt(27) lgkmcnt(1)
	v_mul_f32_e32 v146, v2, v174
	v_mul_f32_e32 v147, v3, v174
	s_waitcnt vmcnt(26)
	v_mul_f32_e32 v148, v4, v175
	v_mul_f32_e32 v149, v5, v175
	v_fma_f32 v144, v144, v163, -v166
	s_clause 0x8
	buffer_load_dword v163, off, s[0:3], 0 offset:396
	buffer_load_dword v164, off, s[0:3], 0 offset:404
	;; [unrolled: 1-line block ×9, first 2 shown]
	v_fmac_f32_e32 v146, v3, v172
	v_fma_f32 v147, v2, v172, -v147
	buffer_load_dword v172, off, s[0:3], 0 offset:468
	v_fmac_f32_e32 v148, v5, v171
	v_fma_f32 v149, v4, v171, -v149
	s_clause 0x4
	buffer_load_dword v171, off, s[0:3], 0 offset:476
	buffer_load_dword v175, off, s[0:3], 0 offset:416
	;; [unrolled: 1-line block ×5, first 2 shown]
	v_add_f32_e32 v3, 0, v195
	v_add_f32_e32 v2, 0, v12
	s_waitcnt vmcnt(40) lgkmcnt(0)
	v_mul_f32_e32 v4, v7, v176
	v_add_f32_e32 v3, v3, v196
	v_add_f32_e32 v2, v2, v151
	v_fma_f32 v151, v6, v170, -v4
	v_add_f32_e32 v3, v3, v197
	s_clause 0x3
	buffer_load_dword v12, off, s[0:3], 0 offset:448
	buffer_load_dword v195, off, s[0:3], 0 offset:440
	;; [unrolled: 1-line block ×4, first 2 shown]
	v_add_f32_e32 v2, v2, v150
	v_mul_f32_e32 v150, v6, v176
	v_add_f32_e32 v3, v3, v152
	s_waitcnt vmcnt(43)
	v_mul_f32_e32 v152, v8, v177
	v_add_f32_e32 v2, v2, v10
	s_clause 0x2
	buffer_load_dword v10, off, s[0:3], 0 offset:472
	buffer_load_dword v201, off, s[0:3], 0 offset:464
	;; [unrolled: 1-line block ×3, first 2 shown]
	v_fmac_f32_e32 v150, v7, v170
	v_add_f32_e32 v3, v3, v11
	buffer_load_dword v11, off, s[0:3], 0 offset:168
	v_add_f32_e32 v2, v2, v134
	s_waitcnt vmcnt(43)
	v_fmac_f32_e32 v152, v9, v181
	v_add_f32_e32 v3, v3, v157
	v_add_f32_e32 v2, v2, v136
	;; [unrolled: 1-line block ×4, first 2 shown]
	ds_read_b128 v[2:5], v1 offset:784
	v_add_f32_e32 v135, v7, v135
	v_add_f32_e32 v134, v6, v138
	v_mul_f32_e32 v6, v9, v177
	v_add_f32_e32 v139, v135, v139
	v_add_f32_e32 v138, v134, v140
	v_fma_f32 v157, v8, v181, -v6
	ds_read_b128 v[6:9], v1 offset:800
	ds_read_b128 v[134:137], v1 offset:816
	v_add_f32_e32 v139, v139, v141
	v_add_f32_e32 v138, v138, v144
	;; [unrolled: 1-line block ×3, first 2 shown]
	s_waitcnt vmcnt(42) lgkmcnt(2)
	v_mul_f32_e32 v140, v3, v182
	v_mul_f32_e32 v159, v2, v182
	v_fma_f32 v170, v2, v180, -v140
	v_add_f32_e32 v2, v139, v167
	v_fmac_f32_e32 v159, v3, v180
	v_add_f32_e32 v3, v144, v143
	ds_read_b128 v[138:141], v1 offset:832
	s_waitcnt vmcnt(41)
	v_mul_f32_e32 v167, v4, v183
	v_add_f32_e32 v2, v2, v142
	s_waitcnt vmcnt(40) lgkmcnt(2)
	v_mul_f32_e32 v176, v6, v184
	v_mul_f32_e32 v142, v7, v184
	v_add_f32_e32 v3, v3, v147
	s_waitcnt vmcnt(38) lgkmcnt(1)
	v_mul_f32_e32 v180, v134, v186
	v_add_f32_e32 v2, v2, v146
	v_fmac_f32_e32 v176, v7, v178
	v_fma_f32 v178, v6, v178, -v142
	v_add_f32_e32 v6, v3, v149
	v_mul_f32_e32 v146, v135, v186
	v_add_f32_e32 v7, v2, v148
	s_waitcnt vmcnt(33)
	v_fmac_f32_e32 v180, v135, v191
	v_mul_f32_e32 v143, v5, v183
	v_add_f32_e32 v135, v6, v151
	v_fma_f32 v182, v134, v191, -v146
	v_add_f32_e32 v134, v7, v150
	v_fmac_f32_e32 v167, v5, v179
	v_fma_f32 v179, v4, v179, -v143
	v_add_f32_e32 v135, v135, v157
	s_waitcnt lgkmcnt(0)
	v_mul_f32_e32 v151, v139, v188
	v_add_f32_e32 v134, v134, v152
	v_mul_f32_e32 v183, v138, v188
	v_mul_f32_e32 v147, v9, v185
	v_add_f32_e32 v135, v135, v170
	v_fma_f32 v186, v138, v189, -v151
	v_add_f32_e32 v138, v134, v159
	v_mul_f32_e32 v177, v8, v185
	s_waitcnt vmcnt(32)
	v_fma_f32 v181, v8, v192, -v147
	v_add_f32_e32 v159, v135, v179
	ds_read_b128 v[2:5], v1 offset:848
	ds_read_b128 v[142:145], v1 offset:864
	v_add_f32_e32 v167, v138, v167
	v_fmac_f32_e32 v177, v9, v192
	v_mul_f32_e32 v150, v137, v187
	v_add_f32_e32 v159, v159, v178
	v_mul_f32_e32 v157, v136, v187
	v_add_f32_e32 v167, v167, v176
	v_fmac_f32_e32 v183, v139, v189
	v_fma_f32 v185, v136, v190, -v150
	v_add_f32_e32 v159, v159, v181
	v_fmac_f32_e32 v157, v137, v190
	v_add_f32_e32 v167, v167, v177
	ds_read_b128 v[6:9], v1 offset:880
	ds_read_b128 v[146:149], v1 offset:896
	v_add_f32_e32 v159, v159, v182
	v_add_f32_e32 v167, v167, v180
	;; [unrolled: 1-line block ×6, first 2 shown]
	s_waitcnt vmcnt(30)
	v_mul_f32_e32 v170, v140, v153
	v_mul_f32_e32 v184, v141, v153
	ds_read_b128 v[134:137], v1 offset:912
	ds_read_b128 v[150:153], v1 offset:928
	s_waitcnt vmcnt(28) lgkmcnt(5)
	v_mul_f32_e32 v176, v4, v155
	v_mul_f32_e32 v155, v5, v155
	s_waitcnt vmcnt(27) lgkmcnt(4)
	v_mul_f32_e32 v178, v142, v156
	v_mul_f32_e32 v156, v143, v156
	s_waitcnt vmcnt(23)
	v_fmac_f32_e32 v170, v141, v165
	v_fma_f32 v165, v140, v165, -v184
	ds_read_b128 v[138:141], v1 offset:944
	v_mul_f32_e32 v1, v2, v154
	v_mul_f32_e32 v154, v3, v154
	v_add_f32_e32 v157, v157, v170
	v_fma_f32 v4, v4, v160, -v155
	v_fmac_f32_e32 v176, v5, v160
	v_fmac_f32_e32 v1, v3, v161
	v_fma_f32 v2, v2, v161, -v154
	v_add_f32_e32 v154, v159, v165
	v_fma_f32 v142, v142, v158, -v156
	v_fmac_f32_e32 v178, v143, v158
	v_add_f32_e32 v1, v157, v1
	v_add_f32_e32 v2, v154, v2
	s_waitcnt vmcnt(22)
	v_mul_f32_e32 v5, v145, v163
	v_mul_f32_e32 v177, v144, v163
	v_add_f32_e32 v2, v2, v4
	v_add_f32_e32 v1, v1, v176
	s_waitcnt vmcnt(21) lgkmcnt(4)
	v_mul_f32_e32 v4, v7, v164
	v_mul_f32_e32 v179, v6, v164
	s_waitcnt vmcnt(20)
	v_mul_f32_e32 v181, v8, v166
	v_add_f32_e32 v2, v2, v142
	v_add_f32_e32 v1, v1, v178
	v_mul_f32_e32 v142, v9, v166
	s_waitcnt vmcnt(9)
	v_fma_f32 v4, v6, v199, -v4
	s_waitcnt vmcnt(8)
	v_fma_f32 v5, v144, v200, -v5
	v_fmac_f32_e32 v177, v145, v200
	v_fmac_f32_e32 v179, v7, v199
	v_fma_f32 v6, v8, v198, -v142
	s_waitcnt lgkmcnt(3)
	v_mul_f32_e32 v180, v146, v169
	v_add_f32_e32 v2, v2, v5
	v_add_f32_e32 v1, v1, v177
	v_mul_f32_e32 v5, v147, v169
	v_fmac_f32_e32 v181, v9, v198
	v_mul_f32_e32 v182, v148, v162
	v_add_f32_e32 v2, v2, v4
	v_add_f32_e32 v1, v1, v179
	v_mul_f32_e32 v4, v149, v162
	v_fma_f32 v5, v146, v175, -v5
	v_fmac_f32_e32 v180, v147, v175
	v_add_f32_e32 v2, v2, v6
	v_add_f32_e32 v1, v1, v181
	s_waitcnt lgkmcnt(2)
	v_mul_f32_e32 v6, v135, v168
	s_waitcnt vmcnt(4)
	v_fma_f32 v4, v148, v197, -v4
	v_mul_f32_e32 v184, v134, v168
	v_add_f32_e32 v2, v2, v5
	v_fmac_f32_e32 v182, v149, v197
	v_add_f32_e32 v1, v1, v180
	v_mul_f32_e32 v5, v137, v173
	v_fma_f32 v6, v134, v196, -v6
	v_add_f32_e32 v2, v2, v4
	v_mul_f32_e32 v167, v136, v173
	v_fmac_f32_e32 v184, v135, v196
	v_add_f32_e32 v1, v1, v182
	s_waitcnt lgkmcnt(1)
	v_mul_f32_e32 v4, v151, v194
	v_fma_f32 v5, v136, v195, -v5
	v_add_f32_e32 v2, v2, v6
	v_mul_f32_e32 v185, v150, v194
	v_fmac_f32_e32 v167, v137, v195
	v_add_f32_e32 v1, v1, v184
	v_mul_f32_e32 v6, v153, v174
	v_fma_f32 v4, v150, v12, -v4
	v_add_f32_e32 v2, v2, v5
	v_mul_f32_e32 v186, v152, v174
	v_fmac_f32_e32 v185, v151, v12
	v_add_f32_e32 v1, v1, v167
	s_waitcnt lgkmcnt(0)
	v_mul_f32_e32 v5, v139, v172
	s_waitcnt vmcnt(1)
	v_fma_f32 v6, v152, v202, -v6
	v_add_f32_e32 v2, v2, v4
	v_mul_f32_e32 v183, v138, v172
	v_fmac_f32_e32 v186, v153, v202
	v_add_f32_e32 v1, v1, v185
	v_mul_f32_e32 v4, v141, v171
	v_fma_f32 v5, v138, v201, -v5
	v_add_f32_e32 v2, v2, v6
	v_mul_f32_e32 v3, v140, v171
	v_fmac_f32_e32 v183, v139, v201
	v_add_f32_e32 v1, v1, v186
	v_fma_f32 v4, v140, v10, -v4
	v_add_f32_e32 v2, v2, v5
	v_fmac_f32_e32 v3, v141, v10
	v_add_f32_e32 v1, v1, v183
	v_add_f32_e32 v2, v2, v4
	;; [unrolled: 1-line block ×3, first 2 shown]
	s_waitcnt vmcnt(0)
	v_sub_f32_e32 v2, v11, v2
	v_sub_f32_e32 v1, v193, v1
	buffer_store_dword v2, off, s[0:3], 0 offset:168
	buffer_store_dword v1, off, s[0:3], 0 offset:172
	v_cmpx_lt_u32_e32 20, v0
	s_cbranch_execz .LBB123_333
; %bb.332:
	s_clause 0x1
	buffer_load_dword v1, off, s[0:3], 0 offset:160
	buffer_load_dword v2, off, s[0:3], 0 offset:164
	v_mov_b32_e32 v3, 0
	buffer_store_dword v3, off, s[0:3], 0 offset:160
	buffer_store_dword v3, off, s[0:3], 0 offset:164
	s_waitcnt vmcnt(0)
	ds_write_b64 v133, v[1:2]
.LBB123_333:
	s_or_b32 exec_lo, exec_lo, s4
	s_waitcnt lgkmcnt(0)
	s_waitcnt_vscnt null, 0x0
	s_barrier
	buffer_gl0_inv
	s_clause 0x25
	buffer_load_dword v2, off, s[0:3], 0 offset:172
	buffer_load_dword v3, off, s[0:3], 0 offset:180
	;; [unrolled: 1-line block ×38, first 2 shown]
	v_mov_b32_e32 v1, 0
	ds_read2_b64 v[4:7], v1 offset0:81 offset1:82
	ds_read2_b64 v[8:11], v1 offset0:83 offset1:84
	s_clause 0x10
	buffer_load_dword v177, off, s[0:3], 0 offset:324
	buffer_load_dword v178, off, s[0:3], 0 offset:332
	;; [unrolled: 1-line block ×17, first 2 shown]
	ds_read2_b64 v[134:137], v1 offset0:85 offset1:86
	ds_read2_b64 v[138:141], v1 offset0:87 offset1:88
	s_mov_b32 s4, exec_lo
	s_waitcnt vmcnt(54) lgkmcnt(3)
	v_mul_f32_e32 v194, v5, v2
	v_mul_f32_e32 v195, v4, v2
	s_waitcnt vmcnt(53)
	v_mul_f32_e32 v196, v6, v3
	v_mul_f32_e32 v2, v7, v3
	s_waitcnt vmcnt(52) lgkmcnt(2)
	v_mul_f32_e32 v197, v8, v12
	v_mul_f32_e32 v3, v9, v12
	s_waitcnt vmcnt(49)
	v_fma_f32 v12, v4, v144, -v194
	v_fmac_f32_e32 v195, v5, v144
	s_waitcnt vmcnt(48)
	v_mul_f32_e32 v144, v10, v145
	v_mul_f32_e32 v4, v11, v145
	v_fmac_f32_e32 v196, v7, v143
	s_waitcnt vmcnt(43) lgkmcnt(1)
	v_mul_f32_e32 v145, v135, v150
	v_fma_f32 v143, v6, v143, -v2
	v_fmac_f32_e32 v197, v9, v142
	v_fma_f32 v142, v8, v142, -v3
	v_fmac_f32_e32 v144, v11, v149
	v_fma_f32 v10, v10, v149, -v4
	ds_read2_b64 v[2:5], v1 offset0:89 offset1:90
	ds_read2_b64 v[6:9], v1 offset0:91 offset1:92
	v_mul_f32_e32 v11, v134, v150
	s_waitcnt vmcnt(42)
	v_mul_f32_e32 v149, v136, v151
	v_mul_f32_e32 v150, v137, v151
	s_waitcnt vmcnt(41) lgkmcnt(2)
	v_mul_f32_e32 v151, v138, v152
	v_fma_f32 v145, v134, v148, -v145
	s_waitcnt vmcnt(40)
	v_mul_f32_e32 v134, v141, v153
	v_mul_f32_e32 v152, v139, v152
	v_fmac_f32_e32 v11, v135, v148
	v_fmac_f32_e32 v149, v137, v147
	v_fma_f32 v147, v136, v147, -v150
	s_clause 0x3
	buffer_load_dword v194, off, s[0:3], 0 offset:388
	buffer_load_dword v198, off, s[0:3], 0 offset:396
	;; [unrolled: 1-line block ×4, first 2 shown]
	v_fmac_f32_e32 v151, v139, v146
	s_waitcnt vmcnt(40)
	v_fma_f32 v139, v140, v157, -v134
	ds_read2_b64 v[134:137], v1 offset0:93 offset1:94
	v_mul_f32_e32 v148, v140, v153
	v_fma_f32 v138, v138, v146, -v152
	s_waitcnt vmcnt(39) lgkmcnt(2)
	v_mul_f32_e32 v140, v2, v158
	v_fmac_f32_e32 v148, v141, v157
	v_mul_f32_e32 v141, v3, v158
	s_waitcnt vmcnt(37) lgkmcnt(1)
	v_mul_f32_e32 v153, v7, v160
	v_mul_f32_e32 v146, v4, v159
	;; [unrolled: 1-line block ×4, first 2 shown]
	v_fmac_f32_e32 v140, v3, v156
	v_fma_f32 v141, v2, v156, -v141
	s_waitcnt vmcnt(36)
	v_mul_f32_e32 v156, v8, v161
	v_mul_f32_e32 v2, v9, v161
	v_fma_f32 v153, v6, v154, -v153
	v_fmac_f32_e32 v146, v5, v155
	v_fma_f32 v150, v4, v155, -v150
	s_clause 0x3
	buffer_load_dword v155, off, s[0:3], 0 offset:420
	buffer_load_dword v157, off, s[0:3], 0 offset:428
	;; [unrolled: 1-line block ×4, first 2 shown]
	s_waitcnt vmcnt(35) lgkmcnt(0)
	v_mul_f32_e32 v160, v134, v166
	v_mul_f32_e32 v6, v135, v166
	v_fmac_f32_e32 v152, v7, v154
	v_fmac_f32_e32 v156, v9, v165
	v_fma_f32 v154, v8, v165, -v2
	ds_read2_b64 v[2:5], v1 offset0:95 offset1:96
	s_waitcnt vmcnt(34)
	v_mul_f32_e32 v161, v136, v167
	v_mul_f32_e32 v7, v137, v167
	buffer_load_dword v165, off, s[0:3], 0 offset:452
	v_fmac_f32_e32 v160, v135, v164
	v_fma_f32 v164, v134, v164, -v6
	v_add_f32_e32 v6, 0, v12
	s_clause 0x6
	buffer_load_dword v12, off, s[0:3], 0 offset:460
	buffer_load_dword v166, off, s[0:3], 0 offset:468
	;; [unrolled: 1-line block ×7, first 2 shown]
	v_fmac_f32_e32 v161, v137, v163
	v_fma_f32 v163, v136, v163, -v7
	v_add_f32_e32 v7, 0, v195
	v_add_f32_e32 v6, v6, v143
	;; [unrolled: 1-line block ×4, first 2 shown]
	s_waitcnt vmcnt(41) lgkmcnt(0)
	v_mul_f32_e32 v8, v3, v168
	v_add_f32_e32 v7, v7, v197
	s_clause 0x8
	buffer_load_dword v195, off, s[0:3], 0 offset:440
	buffer_load_dword v196, off, s[0:3], 0 offset:432
	;; [unrolled: 1-line block ×9, first 2 shown]
	v_add_f32_e32 v6, v6, v10
	v_add_f32_e32 v7, v7, v144
	v_mul_f32_e32 v10, v2, v168
	v_add_f32_e32 v6, v6, v145
	v_add_f32_e32 v7, v7, v11
	v_fmac_f32_e32 v10, v3, v162
	v_fma_f32 v11, v2, v162, -v8
	v_add_f32_e32 v6, v6, v147
	v_add_f32_e32 v7, v7, v149
	s_waitcnt vmcnt(49)
	v_mul_f32_e32 v147, v4, v169
	v_add_f32_e32 v6, v6, v138
	v_add_f32_e32 v7, v7, v151
	s_waitcnt vmcnt(45)
	v_fmac_f32_e32 v147, v5, v173
	v_add_f32_e32 v2, v6, v139
	v_add_f32_e32 v3, v7, v148
	ds_read2_b64 v[6:9], v1 offset0:97 offset1:98
	v_add_f32_e32 v134, v2, v141
	v_mul_f32_e32 v2, v5, v169
	v_add_f32_e32 v135, v3, v140
	v_add_f32_e32 v138, v134, v150
	v_fma_f32 v148, v4, v173, -v2
	ds_read2_b64 v[2:5], v1 offset0:99 offset1:100
	v_add_f32_e32 v139, v135, v146
	ds_read2_b64 v[134:137], v1 offset0:101 offset1:102
	v_add_f32_e32 v138, v138, v153
	v_add_f32_e32 v139, v139, v152
	;; [unrolled: 1-line block ×3, first 2 shown]
	s_waitcnt vmcnt(44) lgkmcnt(2)
	v_mul_f32_e32 v140, v7, v174
	v_mul_f32_e32 v150, v6, v174
	s_waitcnt vmcnt(43)
	v_mul_f32_e32 v152, v8, v175
	v_fma_f32 v151, v6, v172, -v140
	v_add_f32_e32 v6, v139, v156
	v_fmac_f32_e32 v150, v7, v172
	v_add_f32_e32 v7, v142, v164
	ds_read2_b64 v[138:141], v1 offset0:103 offset1:104
	s_waitcnt vmcnt(42) lgkmcnt(2)
	v_mul_f32_e32 v143, v3, v176
	v_add_f32_e32 v6, v6, v160
	v_mul_f32_e32 v154, v2, v176
	v_add_f32_e32 v7, v7, v163
	v_mul_f32_e32 v142, v9, v175
	v_fmac_f32_e32 v152, v9, v171
	v_add_f32_e32 v6, v6, v161
	v_fma_f32 v161, v2, v170, -v143
	v_add_f32_e32 v2, v7, v11
	v_fmac_f32_e32 v154, v3, v170
	v_fma_f32 v153, v8, v171, -v142
	v_add_f32_e32 v3, v6, v10
	s_waitcnt vmcnt(40) lgkmcnt(1)
	v_mul_f32_e32 v10, v135, v178
	v_add_f32_e32 v11, v2, v148
	v_mul_f32_e32 v146, v5, v177
	v_mul_f32_e32 v156, v4, v177
	;; [unrolled: 1-line block ×3, first 2 shown]
	s_waitcnt vmcnt(35)
	v_fma_f32 v163, v134, v183, -v10
	v_add_f32_e32 v10, v3, v147
	v_add_f32_e32 v11, v11, v151
	s_waitcnt vmcnt(34)
	v_fma_f32 v162, v4, v184, -v146
	ds_read2_b64 v[6:9], v1 offset0:105 offset1:106
	ds_read2_b64 v[142:145], v1 offset0:107 offset1:108
	v_fmac_f32_e32 v156, v5, v184
	v_add_f32_e32 v10, v10, v150
	v_add_f32_e32 v11, v11, v153
	v_mul_f32_e32 v134, v137, v179
	v_fmac_f32_e32 v160, v135, v183
	v_mul_f32_e32 v164, v136, v179
	v_add_f32_e32 v10, v10, v152
	v_add_f32_e32 v161, v11, v161
	s_waitcnt lgkmcnt(2)
	v_mul_f32_e32 v135, v139, v180
	v_fma_f32 v171, v136, v182, -v134
	v_mul_f32_e32 v168, v138, v180
	v_add_f32_e32 v154, v10, v154
	v_add_f32_e32 v161, v161, v162
	v_fmac_f32_e32 v164, v137, v182
	s_waitcnt vmcnt(33)
	v_mul_f32_e32 v170, v141, v185
	v_fma_f32 v172, v138, v181, -v135
	v_add_f32_e32 v154, v154, v156
	v_add_f32_e32 v161, v161, v163
	v_mul_f32_e32 v169, v140, v185
	v_fmac_f32_e32 v168, v139, v181
	s_waitcnt vmcnt(26)
	v_fma_f32 v170, v140, v192, -v170
	v_add_f32_e32 v154, v154, v160
	v_add_f32_e32 v161, v161, v171
	s_waitcnt lgkmcnt(1)
	v_mul_f32_e32 v173, v7, v186
	ds_read2_b64 v[2:5], v1 offset0:109 offset1:110
	ds_read2_b64 v[146:149], v1 offset0:111 offset1:112
	v_fmac_f32_e32 v169, v141, v192
	v_add_f32_e32 v154, v154, v164
	v_add_f32_e32 v161, v161, v172
	v_mul_f32_e32 v162, v6, v186
	v_mul_f32_e32 v174, v9, v187
	v_fma_f32 v6, v6, v191, -v173
	v_add_f32_e32 v154, v154, v168
	v_add_f32_e32 v161, v161, v170
	v_mul_f32_e32 v156, v8, v187
	v_fmac_f32_e32 v162, v7, v191
	s_waitcnt lgkmcnt(2)
	v_mul_f32_e32 v173, v143, v188
	v_add_f32_e32 v154, v154, v169
	v_fma_f32 v8, v8, v190, -v174
	v_add_f32_e32 v6, v161, v6
	v_mul_f32_e32 v163, v142, v188
	v_fmac_f32_e32 v156, v9, v190
	v_add_f32_e32 v154, v154, v162
	v_fma_f32 v142, v142, v189, -v173
	v_add_f32_e32 v6, v6, v8
	v_fmac_f32_e32 v163, v143, v189
	ds_read2_b64 v[134:137], v1 offset0:113 offset1:114
	ds_read2_b64 v[150:153], v1 offset0:115 offset1:116
	v_add_f32_e32 v8, v154, v156
	ds_read2_b64 v[138:141], v1 offset0:117 offset1:118
	ds_read_b64 v[10:11], v1 offset:952
	v_add_f32_e32 v6, v6, v142
	v_add_f32_e32 v8, v8, v163
	s_waitcnt vmcnt(24)
	v_mul_f32_e32 v169, v145, v194
	v_mul_f32_e32 v160, v144, v194
	s_waitcnt vmcnt(23) lgkmcnt(5)
	v_mul_f32_e32 v7, v2, v198
	v_mul_f32_e32 v143, v3, v198
	s_waitcnt vmcnt(22)
	v_mul_f32_e32 v142, v5, v199
	v_mul_f32_e32 v171, v4, v199
	s_waitcnt vmcnt(21) lgkmcnt(4)
	v_mul_f32_e32 v164, v146, v200
	s_waitcnt vmcnt(20)
	v_mul_f32_e32 v9, v148, v155
	s_waitcnt vmcnt(19) lgkmcnt(3)
	v_mul_f32_e32 v174, v134, v157
	s_waitcnt vmcnt(18)
	;; [unrolled: 4-line block ×3, first 2 shown]
	v_mul_f32_e32 v175, v152, v165
	s_waitcnt vmcnt(12)
	v_fmac_f32_e32 v164, v147, v201
	s_waitcnt vmcnt(11)
	v_fma_f32 v4, v4, v202, -v142
	s_waitcnt vmcnt(10)
	v_fmac_f32_e32 v7, v3, v203
	s_waitcnt vmcnt(9)
	v_fma_f32 v144, v144, v204, -v169
	v_fmac_f32_e32 v160, v145, v204
	v_fma_f32 v2, v2, v203, -v143
	v_fmac_f32_e32 v171, v5, v202
	v_mul_f32_e32 v5, v149, v155
	v_add_f32_e32 v3, v6, v144
	v_add_f32_e32 v6, v8, v160
	v_mul_f32_e32 v8, v147, v200
	s_waitcnt lgkmcnt(1)
	v_mul_f32_e32 v170, v138, v12
	v_mul_f32_e32 v176, v140, v166
	v_add_f32_e32 v2, v3, v2
	v_add_f32_e32 v3, v6, v7
	v_fma_f32 v6, v146, v201, -v8
	s_waitcnt vmcnt(6)
	v_fmac_f32_e32 v174, v135, v197
	s_waitcnt vmcnt(5)
	v_fma_f32 v5, v148, v205, -v5
	v_add_f32_e32 v2, v2, v4
	v_add_f32_e32 v3, v3, v171
	v_mul_f32_e32 v4, v135, v157
	v_fmac_f32_e32 v9, v149, v205
	v_fmac_f32_e32 v168, v137, v196
	v_add_f32_e32 v2, v2, v6
	v_add_f32_e32 v3, v3, v164
	v_mul_f32_e32 v6, v137, v158
	v_fma_f32 v4, v134, v197, -v4
	v_fmac_f32_e32 v172, v151, v195
	v_add_f32_e32 v2, v2, v5
	v_add_f32_e32 v3, v3, v9
	v_mul_f32_e32 v5, v151, v159
	v_fma_f32 v6, v136, v196, -v6
	s_waitcnt vmcnt(1)
	v_fmac_f32_e32 v175, v153, v209
	v_add_f32_e32 v2, v2, v4
	v_add_f32_e32 v3, v3, v174
	v_mul_f32_e32 v4, v153, v165
	v_fma_f32 v5, v150, v195, -v5
	v_fmac_f32_e32 v170, v139, v208
	v_add_f32_e32 v2, v2, v6
	v_add_f32_e32 v3, v3, v168
	v_mul_f32_e32 v6, v139, v12
	v_fma_f32 v4, v152, v209, -v4
	s_waitcnt lgkmcnt(0)
	v_mul_f32_e32 v161, v10, v167
	v_add_f32_e32 v2, v2, v5
	v_add_f32_e32 v3, v3, v172
	v_mul_f32_e32 v5, v141, v166
	v_fma_f32 v6, v138, v208, -v6
	v_fmac_f32_e32 v176, v141, v207
	v_add_f32_e32 v2, v2, v4
	v_add_f32_e32 v3, v3, v175
	v_mul_f32_e32 v4, v11, v167
	v_fma_f32 v5, v140, v207, -v5
	v_fmac_f32_e32 v161, v11, v206
	v_add_f32_e32 v2, v2, v6
	v_add_f32_e32 v3, v3, v170
	v_fma_f32 v4, v10, v206, -v4
	v_add_f32_e32 v2, v2, v5
	v_add_f32_e32 v3, v3, v176
	;; [unrolled: 1-line block ×4, first 2 shown]
	s_waitcnt vmcnt(0)
	v_sub_f32_e32 v2, v210, v2
	v_sub_f32_e32 v3, v193, v3
	buffer_store_dword v2, off, s[0:3], 0 offset:160
	buffer_store_dword v3, off, s[0:3], 0 offset:164
	v_cmpx_lt_u32_e32 19, v0
	s_cbranch_execz .LBB123_335
; %bb.334:
	s_clause 0x1
	buffer_load_dword v2, off, s[0:3], 0 offset:152
	buffer_load_dword v3, off, s[0:3], 0 offset:156
	buffer_store_dword v1, off, s[0:3], 0 offset:152
	buffer_store_dword v1, off, s[0:3], 0 offset:156
	s_waitcnt vmcnt(0)
	ds_write_b64 v133, v[2:3]
.LBB123_335:
	s_or_b32 exec_lo, exec_lo, s4
	s_waitcnt lgkmcnt(0)
	s_waitcnt_vscnt null, 0x0
	s_barrier
	buffer_gl0_inv
	s_clause 0x23
	buffer_load_dword v10, off, s[0:3], 0 offset:164
	buffer_load_dword v11, off, s[0:3], 0 offset:172
	;; [unrolled: 1-line block ×36, first 2 shown]
	ds_read_b128 v[2:5], v1 offset:640
	s_clause 0x1
	buffer_load_dword v183, off, s[0:3], 0 offset:300
	buffer_load_dword v184, off, s[0:3], 0 offset:308
	ds_read_b128 v[6:9], v1 offset:656
	ds_read_b128 v[134:137], v1 offset:672
	s_clause 0x7
	buffer_load_dword v185, off, s[0:3], 0 offset:316
	buffer_load_dword v186, off, s[0:3], 0 offset:324
	buffer_load_dword v187, off, s[0:3], 0 offset:332
	buffer_load_dword v188, off, s[0:3], 0 offset:340
	buffer_load_dword v189, off, s[0:3], 0 offset:336
	buffer_load_dword v190, off, s[0:3], 0 offset:328
	buffer_load_dword v191, off, s[0:3], 0 offset:320
	buffer_load_dword v192, off, s[0:3], 0 offset:312
	ds_read_b128 v[138:141], v1 offset:688
	ds_read_b128 v[142:145], v1 offset:704
	;; [unrolled: 1-line block ×3, first 2 shown]
	buffer_load_dword v195, off, s[0:3], 0 offset:156
	s_mov_b32 s4, exec_lo
	s_waitcnt vmcnt(46) lgkmcnt(5)
	v_mul_f32_e32 v193, v3, v10
	v_mul_f32_e32 v10, v2, v10
	s_waitcnt vmcnt(45)
	v_mul_f32_e32 v194, v4, v11
	v_mul_f32_e32 v11, v5, v11
	s_waitcnt vmcnt(42)
	v_fma_f32 v193, v2, v151, -v193
	v_fmac_f32_e32 v10, v3, v151
	v_fmac_f32_e32 v194, v5, v150
	v_fma_f32 v11, v4, v150, -v11
	s_waitcnt vmcnt(41) lgkmcnt(4)
	v_mul_f32_e32 v150, v6, v152
	v_mul_f32_e32 v151, v7, v152
	s_waitcnt vmcnt(40)
	v_mul_f32_e32 v152, v8, v153
	v_mul_f32_e32 v153, v9, v153
	s_waitcnt vmcnt(39) lgkmcnt(3)
	v_mul_f32_e32 v196, v134, v154
	v_mul_f32_e32 v154, v135, v154
	v_fmac_f32_e32 v150, v7, v12
	v_fma_f32 v12, v6, v12, -v151
	s_waitcnt vmcnt(38)
	v_mul_f32_e32 v151, v136, v155
	v_mul_f32_e32 v6, v137, v155
	ds_read_b128 v[2:5], v1 offset:736
	s_waitcnt vmcnt(34)
	v_fmac_f32_e32 v152, v9, v159
	v_fma_f32 v153, v8, v159, -v153
	v_fmac_f32_e32 v196, v135, v158
	v_fma_f32 v134, v134, v158, -v154
	;; [unrolled: 2-line block ×3, first 2 shown]
	s_clause 0x7
	buffer_load_dword v154, off, s[0:3], 0 offset:348
	buffer_load_dword v155, off, s[0:3], 0 offset:356
	;; [unrolled: 1-line block ×8, first 2 shown]
	s_waitcnt vmcnt(41) lgkmcnt(3)
	v_mul_f32_e32 v6, v139, v160
	s_waitcnt vmcnt(40)
	v_mul_f32_e32 v7, v141, v161
	v_mul_f32_e32 v136, v138, v160
	;; [unrolled: 1-line block ×3, first 2 shown]
	s_waitcnt vmcnt(39) lgkmcnt(2)
	v_mul_f32_e32 v160, v142, v162
	v_fma_f32 v138, v138, v156, -v6
	s_waitcnt vmcnt(34)
	v_fma_f32 v140, v140, v167, -v7
	ds_read_b128 v[6:9], v1 offset:752
	v_mul_f32_e32 v161, v143, v162
	v_fmac_f32_e32 v136, v139, v156
	v_mul_f32_e32 v139, v144, v163
	v_mul_f32_e32 v156, v145, v163
	v_fmac_f32_e32 v137, v141, v167
	v_fmac_f32_e32 v160, v143, v166
	v_fma_f32 v141, v142, v166, -v161
	v_fmac_f32_e32 v139, v145, v165
	v_fma_f32 v142, v144, v165, -v156
	s_waitcnt vmcnt(33) lgkmcnt(2)
	v_mul_f32_e32 v143, v146, v168
	v_mul_f32_e32 v144, v147, v168
	s_waitcnt vmcnt(32)
	v_mul_f32_e32 v145, v148, v169
	s_waitcnt vmcnt(31) lgkmcnt(1)
	v_mul_f32_e32 v166, v2, v170
	v_mul_f32_e32 v167, v3, v170
	;; [unrolled: 1-line block ×3, first 2 shown]
	v_fmac_f32_e32 v143, v147, v164
	v_fma_f32 v144, v146, v164, -v144
	s_waitcnt vmcnt(30)
	v_mul_f32_e32 v146, v4, v171
	v_mul_f32_e32 v147, v5, v171
	s_waitcnt vmcnt(26)
	v_fmac_f32_e32 v145, v149, v175
	v_fmac_f32_e32 v166, v3, v174
	v_fma_f32 v149, v2, v174, -v167
	s_waitcnt vmcnt(25) lgkmcnt(0)
	v_mul_f32_e32 v174, v6, v176
	v_mul_f32_e32 v2, v7, v176
	v_add_f32_e32 v3, 0, v193
	s_clause 0x3
	buffer_load_dword v156, off, s[0:3], 0 offset:380
	buffer_load_dword v161, off, s[0:3], 0 offset:388
	;; [unrolled: 1-line block ×4, first 2 shown]
	v_fma_f32 v148, v148, v175, -v165
	s_clause 0x3
	buffer_load_dword v164, off, s[0:3], 0 offset:412
	buffer_load_dword v165, off, s[0:3], 0 offset:420
	;; [unrolled: 1-line block ×4, first 2 shown]
	v_fmac_f32_e32 v146, v5, v173
	v_fma_f32 v147, v4, v173, -v147
	s_clause 0x3
	buffer_load_dword v167, off, s[0:3], 0 offset:444
	buffer_load_dword v170, off, s[0:3], 0 offset:452
	;; [unrolled: 1-line block ×4, first 2 shown]
	v_add_f32_e32 v4, 0, v10
	buffer_load_dword v10, off, s[0:3], 0 offset:476
	v_fmac_f32_e32 v174, v7, v172
	v_fma_f32 v172, v6, v172, -v2
	v_add_f32_e32 v2, v3, v11
	s_clause 0x3
	buffer_load_dword v11, off, s[0:3], 0 offset:400
	buffer_load_dword v175, off, s[0:3], 0 offset:392
	buffer_load_dword v176, off, s[0:3], 0 offset:384
	buffer_load_dword v193, off, s[0:3], 0 offset:376
	v_add_f32_e32 v6, v4, v194
	v_add_f32_e32 v7, v2, v12
	s_waitcnt vmcnt(41)
	v_mul_f32_e32 v2, v9, v177
	v_mul_f32_e32 v12, v8, v177
	v_add_f32_e32 v6, v6, v150
	v_add_f32_e32 v7, v7, v153
	s_waitcnt vmcnt(37)
	v_fma_f32 v177, v8, v181, -v2
	ds_read_b128 v[2:5], v1 offset:768
	v_fmac_f32_e32 v12, v9, v181
	s_clause 0x3
	buffer_load_dword v181, off, s[0:3], 0 offset:432
	buffer_load_dword v194, off, s[0:3], 0 offset:424
	;; [unrolled: 1-line block ×4, first 2 shown]
	v_add_f32_e32 v7, v7, v134
	v_add_f32_e32 v6, v6, v152
	;; [unrolled: 1-line block ×6, first 2 shown]
	ds_read_b128 v[6:9], v1 offset:784
	v_add_f32_e32 v135, v135, v136
	s_waitcnt vmcnt(40) lgkmcnt(1)
	v_mul_f32_e32 v150, v2, v182
	v_mul_f32_e32 v138, v3, v182
	s_waitcnt vmcnt(39)
	v_mul_f32_e32 v152, v4, v183
	v_fmac_f32_e32 v150, v3, v180
	v_fma_f32 v151, v2, v180, -v138
	s_clause 0x4
	buffer_load_dword v180, off, s[0:3], 0 offset:464
	buffer_load_dword v182, off, s[0:3], 0 offset:456
	;; [unrolled: 1-line block ×5, first 2 shown]
	v_add_f32_e32 v3, v135, v137
	v_add_f32_e32 v2, v134, v140
	v_mul_f32_e32 v134, v5, v183
	v_fmac_f32_e32 v152, v5, v179
	v_add_f32_e32 v3, v3, v160
	buffer_load_dword v160, off, s[0:3], 0 offset:152
	v_add_f32_e32 v2, v2, v141
	v_fma_f32 v153, v4, v179, -v134
	s_waitcnt vmcnt(44) lgkmcnt(0)
	v_mul_f32_e32 v179, v6, v184
	v_add_f32_e32 v135, v3, v139
	v_mul_f32_e32 v140, v7, v184
	v_add_f32_e32 v2, v2, v142
	s_waitcnt vmcnt(43)
	v_mul_f32_e32 v183, v8, v185
	v_mul_f32_e32 v141, v9, v185
	v_add_f32_e32 v139, v135, v143
	ds_read_b128 v[134:137], v1 offset:816
	v_add_f32_e32 v138, v2, v144
	ds_read_b128 v[2:5], v1 offset:800
	v_fmac_f32_e32 v179, v7, v178
	v_add_f32_e32 v139, v139, v145
	v_fma_f32 v178, v6, v178, -v140
	v_add_f32_e32 v138, v138, v148
	s_waitcnt vmcnt(36)
	v_fmac_f32_e32 v183, v9, v192
	v_fma_f32 v184, v8, v192, -v141
	v_add_f32_e32 v143, v139, v166
	v_add_f32_e32 v142, v138, v149
	ds_read_b128 v[6:9], v1 offset:832
	ds_read_b128 v[138:141], v1 offset:848
	v_add_f32_e32 v143, v143, v146
	v_add_f32_e32 v142, v142, v147
	;; [unrolled: 1-line block ×3, first 2 shown]
	s_waitcnt lgkmcnt(3)
	v_mul_f32_e32 v146, v135, v188
	v_add_f32_e32 v142, v142, v172
	v_mul_f32_e32 v172, v134, v188
	s_waitcnt lgkmcnt(2)
	v_mul_f32_e32 v144, v3, v186
	v_add_f32_e32 v12, v143, v12
	v_mul_f32_e32 v166, v2, v186
	v_add_f32_e32 v147, v142, v177
	v_mul_f32_e32 v145, v5, v187
	v_fma_f32 v186, v2, v191, -v144
	v_add_f32_e32 v12, v12, v150
	v_mul_f32_e32 v185, v4, v187
	v_add_f32_e32 v151, v147, v151
	v_fmac_f32_e32 v166, v3, v191
	v_fma_f32 v187, v4, v190, -v145
	v_add_f32_e32 v12, v12, v152
	v_fmac_f32_e32 v185, v5, v190
	v_add_f32_e32 v150, v151, v153
	v_fmac_f32_e32 v172, v135, v189
	ds_read_b128 v[2:5], v1 offset:864
	ds_read_b128 v[142:145], v1 offset:880
	v_add_f32_e32 v12, v12, v179
	v_add_f32_e32 v12, v12, v183
	;; [unrolled: 1-line block ×5, first 2 shown]
	s_waitcnt vmcnt(34)
	v_mul_f32_e32 v174, v136, v154
	s_waitcnt vmcnt(33) lgkmcnt(3)
	v_mul_f32_e32 v188, v6, v155
	v_mul_f32_e32 v151, v7, v155
	;; [unrolled: 1-line block ×3, first 2 shown]
	v_fma_f32 v154, v134, v189, -v146
	s_waitcnt vmcnt(32)
	v_mul_f32_e32 v189, v8, v157
	s_waitcnt vmcnt(28)
	v_fmac_f32_e32 v188, v7, v198
	v_add_f32_e32 v7, v150, v178
	s_waitcnt vmcnt(27)
	v_fma_f32 v177, v136, v199, -v148
	v_fmac_f32_e32 v174, v137, v199
	v_mul_f32_e32 v152, v9, v157
	v_fma_f32 v155, v6, v198, -v151
	v_add_f32_e32 v178, v7, v184
	ds_read_b128 v[134:137], v1 offset:896
	ds_read_b128 v[146:149], v1 offset:912
	v_add_f32_e32 v12, v12, v174
	v_fmac_f32_e32 v189, v9, v197
	v_fma_f32 v157, v8, v197, -v152
	v_add_f32_e32 v178, v178, v186
	ds_read_b128 v[6:9], v1 offset:928
	ds_read_b128 v[150:153], v1 offset:944
	s_waitcnt lgkmcnt(6)
	v_mul_f32_e32 v1, v138, v158
	v_mul_f32_e32 v158, v139, v158
	v_add_f32_e32 v12, v12, v188
	v_add_f32_e32 v178, v178, v187
	v_fmac_f32_e32 v1, v139, v159
	v_fma_f32 v138, v138, v159, -v158
	v_add_f32_e32 v12, v12, v189
	v_add_f32_e32 v154, v178, v154
	;; [unrolled: 1-line block ×5, first 2 shown]
	s_waitcnt vmcnt(26)
	v_mul_f32_e32 v166, v140, v156
	v_mul_f32_e32 v156, v141, v156
	s_waitcnt vmcnt(25) lgkmcnt(5)
	v_mul_f32_e32 v179, v2, v161
	s_waitcnt vmcnt(24)
	v_mul_f32_e32 v12, v5, v162
	v_add_f32_e32 v154, v154, v157
	v_mul_f32_e32 v157, v3, v161
	v_mul_f32_e32 v183, v4, v162
	s_waitcnt vmcnt(23) lgkmcnt(4)
	v_mul_f32_e32 v184, v142, v163
	s_waitcnt vmcnt(22)
	v_mul_f32_e32 v178, v144, v164
	v_add_f32_e32 v138, v154, v138
	s_waitcnt vmcnt(21) lgkmcnt(3)
	v_mul_f32_e32 v172, v134, v165
	s_waitcnt vmcnt(20)
	v_mul_f32_e32 v185, v136, v168
	s_waitcnt vmcnt(12)
	v_fma_f32 v4, v4, v175, -v12
	s_waitcnt vmcnt(11)
	v_fmac_f32_e32 v179, v3, v176
	s_waitcnt vmcnt(10)
	v_fma_f32 v140, v140, v193, -v156
	v_fmac_f32_e32 v166, v141, v193
	v_fma_f32 v2, v2, v176, -v157
	v_fmac_f32_e32 v183, v5, v175
	v_fmac_f32_e32 v184, v143, v11
	v_add_f32_e32 v3, v138, v140
	v_add_f32_e32 v1, v1, v166
	v_mul_f32_e32 v138, v143, v163
	s_waitcnt lgkmcnt(2)
	v_mul_f32_e32 v177, v146, v169
	v_mul_f32_e32 v174, v148, v167
	v_add_f32_e32 v2, v3, v2
	v_add_f32_e32 v1, v1, v179
	v_mul_f32_e32 v3, v145, v164
	v_fma_f32 v5, v142, v11, -v138
	s_waitcnt vmcnt(6)
	v_fmac_f32_e32 v178, v145, v201
	v_add_f32_e32 v2, v2, v4
	v_add_f32_e32 v1, v1, v183
	v_mul_f32_e32 v4, v135, v165
	v_fma_f32 v3, v144, v201, -v3
	v_fmac_f32_e32 v172, v135, v200
	v_add_f32_e32 v2, v2, v5
	v_add_f32_e32 v1, v1, v184
	v_mul_f32_e32 v5, v137, v168
	v_fma_f32 v4, v134, v200, -v4
	;; [unrolled: 5-line block ×4, first 2 shown]
	s_waitcnt lgkmcnt(1)
	v_mul_f32_e32 v186, v6, v170
	v_add_f32_e32 v2, v2, v5
	v_add_f32_e32 v1, v1, v185
	v_mul_f32_e32 v5, v7, v170
	s_waitcnt vmcnt(2)
	v_fma_f32 v4, v148, v202, -v4
	v_fmac_f32_e32 v174, v149, v202
	v_add_f32_e32 v2, v2, v3
	v_add_f32_e32 v1, v1, v177
	v_mul_f32_e32 v3, v9, v171
	v_fma_f32 v5, v6, v196, -v5
	v_mul_f32_e32 v155, v8, v171
	v_add_f32_e32 v2, v2, v4
	v_fmac_f32_e32 v186, v7, v196
	v_add_f32_e32 v1, v1, v174
	s_waitcnt lgkmcnt(0)
	v_mul_f32_e32 v4, v151, v173
	v_fma_f32 v3, v8, v182, -v3
	v_add_f32_e32 v2, v2, v5
	v_mul_f32_e32 v187, v150, v173
	v_fmac_f32_e32 v155, v9, v182
	v_add_f32_e32 v1, v1, v186
	v_mul_f32_e32 v5, v153, v10
	v_fma_f32 v4, v150, v180, -v4
	v_add_f32_e32 v2, v2, v3
	v_mul_f32_e32 v139, v152, v10
	v_fmac_f32_e32 v187, v151, v180
	v_add_f32_e32 v1, v1, v155
	s_waitcnt vmcnt(1)
	v_fma_f32 v3, v152, v203, -v5
	v_add_f32_e32 v2, v2, v4
	v_fmac_f32_e32 v139, v153, v203
	v_add_f32_e32 v1, v1, v187
	v_add_f32_e32 v2, v2, v3
	;; [unrolled: 1-line block ×3, first 2 shown]
	s_waitcnt vmcnt(0)
	v_sub_f32_e32 v2, v160, v2
	v_sub_f32_e32 v1, v195, v1
	buffer_store_dword v2, off, s[0:3], 0 offset:152
	buffer_store_dword v1, off, s[0:3], 0 offset:156
	v_cmpx_lt_u32_e32 18, v0
	s_cbranch_execz .LBB123_337
; %bb.336:
	s_clause 0x1
	buffer_load_dword v1, off, s[0:3], 0 offset:144
	buffer_load_dword v2, off, s[0:3], 0 offset:148
	v_mov_b32_e32 v3, 0
	buffer_store_dword v3, off, s[0:3], 0 offset:144
	buffer_store_dword v3, off, s[0:3], 0 offset:148
	s_waitcnt vmcnt(0)
	ds_write_b64 v133, v[1:2]
.LBB123_337:
	s_or_b32 exec_lo, exec_lo, s4
	s_waitcnt lgkmcnt(0)
	s_waitcnt_vscnt null, 0x0
	s_barrier
	buffer_gl0_inv
	s_clause 0x23
	buffer_load_dword v3, off, s[0:3], 0 offset:156
	buffer_load_dword v2, off, s[0:3], 0 offset:164
	;; [unrolled: 1-line block ×36, first 2 shown]
	v_mov_b32_e32 v1, 0
	s_mov_b32 s4, exec_lo
	ds_read2_b64 v[4:7], v1 offset0:79 offset1:80
	s_clause 0x1
	buffer_load_dword v183, off, s[0:3], 0 offset:292
	buffer_load_dword v184, off, s[0:3], 0 offset:300
	ds_read2_b64 v[8:11], v1 offset0:81 offset1:82
	s_clause 0x8
	buffer_load_dword v185, off, s[0:3], 0 offset:308
	buffer_load_dword v186, off, s[0:3], 0 offset:316
	;; [unrolled: 1-line block ×9, first 2 shown]
	ds_read2_b64 v[134:137], v1 offset0:83 offset1:84
	ds_read2_b64 v[138:141], v1 offset0:85 offset1:86
	buffer_load_dword v194, off, s[0:3], 0 offset:148
	ds_read2_b64 v[142:145], v1 offset0:87 offset1:88
	ds_read2_b64 v[146:149], v1 offset0:89 offset1:90
	s_waitcnt vmcnt(47) lgkmcnt(5)
	v_mul_f32_e32 v195, v5, v3
	v_mul_f32_e32 v196, v4, v3
	s_waitcnt vmcnt(46)
	v_mul_f32_e32 v197, v6, v2
	v_mul_f32_e32 v2, v7, v2
	s_waitcnt vmcnt(43)
	v_fma_f32 v195, v4, v151, -v195
	v_fmac_f32_e32 v196, v5, v151
	s_waitcnt vmcnt(42) lgkmcnt(4)
	v_mul_f32_e32 v151, v8, v152
	v_mul_f32_e32 v152, v9, v152
	v_fmac_f32_e32 v197, v7, v150
	v_fma_f32 v150, v6, v150, -v2
	s_waitcnt vmcnt(41)
	v_mul_f32_e32 v198, v10, v153
	v_mul_f32_e32 v6, v11, v153
	v_fmac_f32_e32 v151, v9, v12
	v_fma_f32 v12, v8, v12, -v152
	s_waitcnt vmcnt(40) lgkmcnt(3)
	v_mul_f32_e32 v152, v134, v154
	v_mul_f32_e32 v7, v135, v154
	s_waitcnt vmcnt(36)
	v_fmac_f32_e32 v198, v11, v158
	v_fma_f32 v10, v10, v158, -v6
	s_waitcnt vmcnt(35)
	v_mul_f32_e32 v11, v136, v159
	v_mul_f32_e32 v6, v137, v159
	ds_read2_b64 v[2:5], v1 offset0:91 offset1:92
	s_waitcnt vmcnt(34) lgkmcnt(3)
	v_mul_f32_e32 v153, v138, v160
	v_mul_f32_e32 v8, v139, v160
	s_waitcnt vmcnt(33)
	v_mul_f32_e32 v154, v140, v161
	v_mul_f32_e32 v9, v141, v161
	v_fmac_f32_e32 v152, v135, v157
	v_fma_f32 v134, v134, v157, -v7
	v_fmac_f32_e32 v11, v137, v156
	v_fma_f32 v135, v136, v156, -v6
	s_clause 0x6
	buffer_load_dword v156, off, s[0:3], 0 offset:348
	buffer_load_dword v157, off, s[0:3], 0 offset:356
	;; [unrolled: 1-line block ×7, first 2 shown]
	v_fma_f32 v136, v138, v155, -v8
	s_waitcnt vmcnt(36)
	v_fma_f32 v137, v140, v165, -v9
	ds_read2_b64 v[6:9], v1 offset0:93 offset1:94
	v_fmac_f32_e32 v153, v139, v155
	v_fmac_f32_e32 v154, v141, v165
	s_waitcnt vmcnt(35) lgkmcnt(3)
	v_mul_f32_e32 v139, v143, v166
	s_waitcnt vmcnt(34)
	v_mul_f32_e32 v140, v144, v167
	v_mul_f32_e32 v141, v145, v167
	;; [unrolled: 1-line block ×3, first 2 shown]
	s_waitcnt vmcnt(33) lgkmcnt(2)
	v_mul_f32_e32 v155, v146, v168
	v_mul_f32_e32 v165, v147, v168
	v_fma_f32 v139, v142, v164, -v139
	s_waitcnt vmcnt(32)
	v_mul_f32_e32 v142, v148, v169
	v_fmac_f32_e32 v140, v145, v163
	v_fma_f32 v141, v144, v163, -v141
	s_waitcnt vmcnt(31) lgkmcnt(1)
	v_mul_f32_e32 v144, v2, v170
	v_mul_f32_e32 v145, v3, v170
	v_fmac_f32_e32 v138, v143, v164
	v_mul_f32_e32 v143, v149, v169
	v_fmac_f32_e32 v155, v147, v162
	v_fma_f32 v146, v146, v162, -v165
	s_waitcnt vmcnt(27)
	v_fmac_f32_e32 v142, v149, v174
	s_clause 0x7
	buffer_load_dword v162, off, s[0:3], 0 offset:372
	buffer_load_dword v163, off, s[0:3], 0 offset:380
	;; [unrolled: 1-line block ×8, first 2 shown]
	v_fmac_f32_e32 v144, v3, v173
	v_fma_f32 v145, v2, v173, -v145
	s_waitcnt vmcnt(33) lgkmcnt(0)
	v_mul_f32_e32 v149, v6, v176
	v_mul_f32_e32 v2, v7, v176
	v_add_f32_e32 v3, 0, v195
	v_fma_f32 v143, v148, v174, -v143
	v_mul_f32_e32 v147, v4, v175
	v_fmac_f32_e32 v149, v7, v171
	v_fma_f32 v171, v6, v171, -v2
	v_add_f32_e32 v2, 0, v196
	v_add_f32_e32 v3, v3, v150
	v_mul_f32_e32 v148, v5, v175
	s_clause 0x1
	buffer_load_dword v170, off, s[0:3], 0 offset:404
	buffer_load_dword v173, off, s[0:3], 0 offset:412
	v_fmac_f32_e32 v147, v5, v172
	v_add_f32_e32 v2, v2, v197
	v_add_f32_e32 v6, v3, v12
	s_waitcnt vmcnt(34)
	v_mul_f32_e32 v3, v9, v177
	v_fma_f32 v148, v4, v172, -v148
	s_clause 0x5
	buffer_load_dword v172, off, s[0:3], 0 offset:420
	buffer_load_dword v174, off, s[0:3], 0 offset:428
	;; [unrolled: 1-line block ×6, first 2 shown]
	v_mul_f32_e32 v12, v8, v177
	v_add_f32_e32 v7, v2, v151
	s_waitcnt vmcnt(36)
	v_fma_f32 v150, v8, v181, -v3
	ds_read2_b64 v[2:5], v1 offset0:95 offset1:96
	s_clause 0x1
	buffer_load_dword v197, off, s[0:3], 0 offset:468
	buffer_load_dword v177, off, s[0:3], 0 offset:476
	v_fmac_f32_e32 v12, v9, v181
	v_add_f32_e32 v7, v7, v198
	s_clause 0x3
	buffer_load_dword v181, off, s[0:3], 0 offset:424
	buffer_load_dword v198, off, s[0:3], 0 offset:416
	;; [unrolled: 1-line block ×4, first 2 shown]
	v_add_f32_e32 v6, v6, v10
	v_add_f32_e32 v7, v7, v152
	;; [unrolled: 1-line block ×6, first 2 shown]
	s_waitcnt vmcnt(41) lgkmcnt(0)
	v_mul_f32_e32 v151, v2, v182
	v_mul_f32_e32 v134, v3, v182
	v_add_f32_e32 v11, v6, v136
	ds_read2_b64 v[6:9], v1 offset0:97 offset1:98
	v_fmac_f32_e32 v151, v3, v180
	v_fma_f32 v152, v2, v180, -v134
	v_add_f32_e32 v2, v10, v154
	s_clause 0x6
	buffer_load_dword v154, off, s[0:3], 0 offset:456
	buffer_load_dword v180, off, s[0:3], 0 offset:448
	;; [unrolled: 1-line block ×7, first 2 shown]
	v_add_f32_e32 v11, v11, v137
	v_add_f32_e32 v2, v2, v138
	s_waitcnt vmcnt(47)
	v_mul_f32_e32 v10, v4, v183
	v_add_f32_e32 v3, v11, v139
	v_add_f32_e32 v2, v2, v140
	v_mul_f32_e32 v11, v5, v183
	v_fmac_f32_e32 v10, v5, v179
	v_add_f32_e32 v3, v3, v141
	v_add_f32_e32 v134, v2, v155
	s_waitcnt vmcnt(46) lgkmcnt(0)
	v_mul_f32_e32 v153, v6, v184
	v_mul_f32_e32 v140, v7, v184
	s_waitcnt vmcnt(45)
	v_mul_f32_e32 v155, v8, v185
	v_add_f32_e32 v3, v3, v146
	v_add_f32_e32 v139, v134, v142
	v_mul_f32_e32 v141, v9, v185
	v_fma_f32 v11, v4, v179, -v11
	ds_read2_b64 v[134:137], v1 offset0:101 offset1:102
	v_add_f32_e32 v138, v3, v143
	v_add_f32_e32 v139, v139, v144
	ds_read2_b64 v[2:5], v1 offset0:99 offset1:100
	v_fmac_f32_e32 v153, v7, v178
	v_fma_f32 v178, v6, v178, -v140
	v_add_f32_e32 v138, v138, v145
	v_add_f32_e32 v143, v139, v147
	s_waitcnt vmcnt(38)
	v_fmac_f32_e32 v155, v9, v192
	v_fma_f32 v179, v8, v192, -v141
	v_add_f32_e32 v142, v138, v148
	ds_read2_b64 v[6:9], v1 offset0:103 offset1:104
	ds_read2_b64 v[138:141], v1 offset0:105 offset1:106
	v_add_f32_e32 v143, v143, v149
	v_add_f32_e32 v142, v142, v171
	;; [unrolled: 1-line block ×3, first 2 shown]
	s_waitcnt lgkmcnt(3)
	v_mul_f32_e32 v146, v135, v188
	v_add_f32_e32 v142, v142, v150
	v_mul_f32_e32 v184, v134, v188
	v_add_f32_e32 v12, v12, v151
	s_waitcnt lgkmcnt(2)
	v_mul_f32_e32 v144, v3, v186
	v_mul_f32_e32 v171, v2, v186
	v_add_f32_e32 v147, v142, v152
	v_mul_f32_e32 v145, v5, v187
	v_add_f32_e32 v10, v12, v10
	v_fma_f32 v150, v2, v191, -v144
	v_mul_f32_e32 v183, v4, v187
	v_add_f32_e32 v11, v147, v11
	v_fmac_f32_e32 v171, v3, v191
	v_add_f32_e32 v10, v10, v153
	v_fma_f32 v186, v4, v190, -v145
	v_fmac_f32_e32 v183, v5, v190
	v_add_f32_e32 v11, v11, v178
	s_waitcnt vmcnt(37)
	v_mul_f32_e32 v148, v137, v193
	v_add_f32_e32 v10, v10, v155
	v_fma_f32 v187, v134, v189, -v146
	v_mul_f32_e32 v185, v136, v193
	v_fmac_f32_e32 v184, v135, v189
	ds_read2_b64 v[2:5], v1 offset0:107 offset1:108
	ds_read2_b64 v[142:145], v1 offset0:109 offset1:110
	s_waitcnt vmcnt(35) lgkmcnt(3)
	v_mul_f32_e32 v12, v6, v156
	v_mul_f32_e32 v151, v7, v156
	s_waitcnt vmcnt(34)
	v_mul_f32_e32 v178, v8, v157
	v_mul_f32_e32 v152, v9, v157
	s_waitcnt vmcnt(30)
	v_fmac_f32_e32 v12, v7, v161
	v_add_f32_e32 v7, v11, v179
	v_fmac_f32_e32 v178, v9, v160
	v_fma_f32 v156, v8, v160, -v152
	v_add_f32_e32 v160, v10, v171
	s_waitcnt vmcnt(29)
	v_fma_f32 v188, v136, v199, -v148
	v_add_f32_e32 v157, v7, v150
	v_fmac_f32_e32 v185, v137, v199
	v_fma_f32 v155, v6, v161, -v151
	v_add_f32_e32 v160, v160, v183
	s_waitcnt lgkmcnt(2)
	v_mul_f32_e32 v161, v138, v158
	v_add_f32_e32 v157, v157, v186
	v_mul_f32_e32 v158, v139, v158
	ds_read2_b64 v[134:137], v1 offset0:111 offset1:112
	ds_read2_b64 v[146:149], v1 offset0:113 offset1:114
	v_add_f32_e32 v160, v160, v184
	v_fmac_f32_e32 v161, v139, v159
	v_add_f32_e32 v157, v157, v187
	v_fma_f32 v138, v138, v159, -v158
	s_waitcnt vmcnt(28)
	v_mul_f32_e32 v171, v140, v162
	v_add_f32_e32 v159, v160, v185
	v_mul_f32_e32 v162, v141, v162
	v_add_f32_e32 v157, v157, v188
	s_waitcnt vmcnt(27) lgkmcnt(3)
	v_mul_f32_e32 v179, v2, v163
	v_mul_f32_e32 v163, v3, v163
	v_add_f32_e32 v12, v159, v12
	s_waitcnt vmcnt(21)
	v_fma_f32 v140, v140, v169, -v162
	v_add_f32_e32 v155, v157, v155
	v_fmac_f32_e32 v171, v141, v169
	v_fmac_f32_e32 v179, v3, v168
	v_add_f32_e32 v12, v12, v178
	v_fma_f32 v2, v2, v168, -v163
	v_add_f32_e32 v155, v155, v156
	v_mul_f32_e32 v156, v5, v164
	v_mul_f32_e32 v183, v4, v164
	v_add_f32_e32 v12, v12, v161
	s_waitcnt lgkmcnt(2)
	v_mul_f32_e32 v139, v142, v165
	v_add_f32_e32 v138, v155, v138
	v_fma_f32 v4, v4, v167, -v156
	v_fmac_f32_e32 v183, v5, v167
	v_add_f32_e32 v12, v12, v171
	s_waitcnt vmcnt(20)
	v_mul_f32_e32 v5, v145, v170
	v_add_f32_e32 v3, v138, v140
	v_mul_f32_e32 v138, v143, v165
	v_mul_f32_e32 v158, v144, v170
	v_fmac_f32_e32 v139, v143, v166
	s_waitcnt vmcnt(19) lgkmcnt(1)
	v_mul_f32_e32 v160, v134, v173
	v_add_f32_e32 v2, v3, v2
	v_add_f32_e32 v3, v12, v179
	v_fma_f32 v12, v142, v166, -v138
	ds_read2_b64 v[6:9], v1 offset0:115 offset1:116
	ds_read2_b64 v[150:153], v1 offset0:117 offset1:118
	ds_read_b64 v[10:11], v1 offset:952
	s_waitcnt vmcnt(18)
	v_mul_f32_e32 v141, v136, v172
	v_add_f32_e32 v2, v2, v4
	v_add_f32_e32 v3, v3, v183
	v_mul_f32_e32 v4, v135, v173
	s_waitcnt vmcnt(7)
	v_fma_f32 v5, v144, v201, -v5
	v_fmac_f32_e32 v158, v145, v201
	v_add_f32_e32 v2, v2, v12
	v_add_f32_e32 v3, v3, v139
	v_mul_f32_e32 v12, v137, v172
	v_fma_f32 v4, v134, v200, -v4
	v_fmac_f32_e32 v160, v135, v200
	v_add_f32_e32 v2, v2, v5
	v_add_f32_e32 v3, v3, v158
	s_waitcnt lgkmcnt(3)
	v_mul_f32_e32 v5, v147, v174
	v_fma_f32 v12, v136, v198, -v12
	v_mul_f32_e32 v162, v146, v174
	v_add_f32_e32 v2, v2, v4
	v_fmac_f32_e32 v141, v137, v198
	v_add_f32_e32 v3, v3, v160
	v_mul_f32_e32 v4, v149, v175
	v_fma_f32 v5, v146, v181, -v5
	v_add_f32_e32 v2, v2, v12
	v_mul_f32_e32 v157, v148, v175
	v_fmac_f32_e32 v162, v147, v181
	v_add_f32_e32 v3, v3, v141
	s_waitcnt lgkmcnt(2)
	v_mul_f32_e32 v12, v7, v176
	s_waitcnt vmcnt(3)
	v_fma_f32 v4, v148, v202, -v4
	v_add_f32_e32 v2, v2, v5
	v_mul_f32_e32 v159, v6, v176
	v_fmac_f32_e32 v157, v149, v202
	v_add_f32_e32 v3, v3, v162
	v_mul_f32_e32 v5, v9, v195
	v_fma_f32 v6, v6, v182, -v12
	v_add_f32_e32 v2, v2, v4
	v_mul_f32_e32 v169, v8, v195
	v_fmac_f32_e32 v159, v7, v182
	v_add_f32_e32 v3, v3, v157
	s_waitcnt lgkmcnt(1)
	v_mul_f32_e32 v4, v151, v196
	v_fma_f32 v5, v8, v180, -v5
	v_add_f32_e32 v2, v2, v6
	v_mul_f32_e32 v164, v150, v196
	v_fmac_f32_e32 v169, v9, v180
	v_add_f32_e32 v3, v3, v159
	v_mul_f32_e32 v6, v153, v197
	v_fma_f32 v4, v150, v154, -v4
	v_add_f32_e32 v2, v2, v5
	v_mul_f32_e32 v178, v152, v197
	v_fmac_f32_e32 v164, v151, v154
	v_add_f32_e32 v3, v3, v169
	s_waitcnt lgkmcnt(0)
	v_mul_f32_e32 v5, v11, v177
	s_waitcnt vmcnt(1)
	v_fma_f32 v6, v152, v204, -v6
	v_add_f32_e32 v2, v2, v4
	v_mul_f32_e32 v155, v10, v177
	v_fmac_f32_e32 v178, v153, v204
	v_add_f32_e32 v3, v3, v164
	v_fma_f32 v4, v10, v203, -v5
	v_add_f32_e32 v2, v2, v6
	v_fmac_f32_e32 v155, v11, v203
	v_add_f32_e32 v3, v3, v178
	v_add_f32_e32 v2, v2, v4
	;; [unrolled: 1-line block ×3, first 2 shown]
	s_waitcnt vmcnt(0)
	v_sub_f32_e32 v2, v205, v2
	v_sub_f32_e32 v3, v194, v3
	buffer_store_dword v2, off, s[0:3], 0 offset:144
	buffer_store_dword v3, off, s[0:3], 0 offset:148
	v_cmpx_lt_u32_e32 17, v0
	s_cbranch_execz .LBB123_339
; %bb.338:
	s_clause 0x1
	buffer_load_dword v2, off, s[0:3], 0 offset:136
	buffer_load_dword v3, off, s[0:3], 0 offset:140
	buffer_store_dword v1, off, s[0:3], 0 offset:136
	buffer_store_dword v1, off, s[0:3], 0 offset:140
	s_waitcnt vmcnt(0)
	ds_write_b64 v133, v[2:3]
.LBB123_339:
	s_or_b32 exec_lo, exec_lo, s4
	s_waitcnt lgkmcnt(0)
	s_waitcnt_vscnt null, 0x0
	s_barrier
	buffer_gl0_inv
	s_clause 0x24
	buffer_load_dword v2, off, s[0:3], 0 offset:148
	buffer_load_dword v3, off, s[0:3], 0 offset:156
	;; [unrolled: 1-line block ×37, first 2 shown]
	ds_read_b128 v[6:9], v1 offset:624
	ds_read_b128 v[134:137], v1 offset:640
	s_clause 0x8
	buffer_load_dword v186, off, s[0:3], 0 offset:292
	buffer_load_dword v187, off, s[0:3], 0 offset:300
	;; [unrolled: 1-line block ×9, first 2 shown]
	ds_read_b128 v[138:141], v1 offset:656
	ds_read_b128 v[142:145], v1 offset:672
	;; [unrolled: 1-line block ×4, first 2 shown]
	buffer_load_dword v193, off, s[0:3], 0 offset:140
	s_mov_b32 s4, exec_lo
	s_waitcnt vmcnt(46) lgkmcnt(5)
	v_mul_f32_e32 v194, v7, v2
	v_mul_f32_e32 v2, v6, v2
	s_waitcnt vmcnt(45)
	v_mul_f32_e32 v195, v8, v3
	v_mul_f32_e32 v3, v9, v3
	s_waitcnt vmcnt(44) lgkmcnt(4)
	v_mul_f32_e32 v196, v134, v10
	v_mul_f32_e32 v10, v135, v10
	s_waitcnt vmcnt(41)
	v_fma_f32 v194, v6, v154, -v194
	v_fmac_f32_e32 v2, v7, v154
	s_waitcnt vmcnt(40)
	v_mul_f32_e32 v154, v136, v155
	v_mul_f32_e32 v6, v137, v155
	v_fmac_f32_e32 v195, v9, v12
	v_fma_f32 v3, v8, v12, -v3
	s_waitcnt vmcnt(35) lgkmcnt(3)
	v_mul_f32_e32 v12, v138, v160
	v_mul_f32_e32 v155, v139, v160
	v_fmac_f32_e32 v196, v135, v11
	v_fma_f32 v10, v134, v11, -v10
	v_fmac_f32_e32 v154, v137, v159
	v_fma_f32 v11, v136, v159, -v6
	s_waitcnt vmcnt(34)
	v_mul_f32_e32 v159, v140, v161
	v_mul_f32_e32 v160, v141, v161
	s_waitcnt vmcnt(33) lgkmcnt(2)
	v_mul_f32_e32 v161, v142, v162
	v_mul_f32_e32 v162, v143, v162
	v_fmac_f32_e32 v12, v139, v158
	v_fma_f32 v155, v138, v158, -v155
	s_waitcnt vmcnt(32)
	v_mul_f32_e32 v158, v144, v163
	v_mul_f32_e32 v138, v145, v163
	ds_read_b128 v[6:9], v1 offset:720
	ds_read_b128 v[134:137], v1 offset:736
	v_fmac_f32_e32 v159, v141, v157
	v_fma_f32 v157, v140, v157, -v160
	s_waitcnt vmcnt(31) lgkmcnt(3)
	v_mul_f32_e32 v160, v146, v164
	v_mul_f32_e32 v139, v147, v164
	s_waitcnt vmcnt(30)
	v_mul_f32_e32 v163, v148, v165
	v_mul_f32_e32 v140, v149, v165
	v_fmac_f32_e32 v161, v143, v156
	v_fma_f32 v142, v142, v156, -v162
	s_waitcnt vmcnt(26)
	v_fmac_f32_e32 v158, v145, v169
	v_fma_f32 v143, v144, v169, -v138
	s_clause 0x7
	buffer_load_dword v156, off, s[0:3], 0 offset:332
	buffer_load_dword v162, off, s[0:3], 0 offset:340
	;; [unrolled: 1-line block ×8, first 2 shown]
	v_fmac_f32_e32 v160, v147, v168
	v_fma_f32 v144, v146, v168, -v139
	v_fmac_f32_e32 v163, v149, v167
	v_fma_f32 v145, v148, v167, -v140
	s_waitcnt vmcnt(33) lgkmcnt(2)
	v_mul_f32_e32 v146, v150, v170
	v_mul_f32_e32 v147, v151, v170
	s_waitcnt vmcnt(32)
	v_mul_f32_e32 v148, v152, v171
	v_mul_f32_e32 v149, v153, v171
	ds_read_b128 v[138:141], v1 offset:752
	buffer_load_dword v167, off, s[0:3], 0 offset:364
	v_fmac_f32_e32 v146, v151, v166
	v_fma_f32 v147, v150, v166, -v147
	s_waitcnt vmcnt(32) lgkmcnt(2)
	v_mul_f32_e32 v150, v6, v172
	v_mul_f32_e32 v151, v7, v172
	s_waitcnt vmcnt(28)
	v_fmac_f32_e32 v148, v153, v176
	v_fma_f32 v149, v152, v176, -v149
	s_waitcnt vmcnt(27)
	v_mul_f32_e32 v152, v8, v177
	v_mul_f32_e32 v153, v9, v177
	v_fmac_f32_e32 v150, v7, v175
	v_fma_f32 v151, v6, v175, -v151
	s_waitcnt vmcnt(26) lgkmcnt(1)
	v_mul_f32_e32 v166, v134, v178
	v_fmac_f32_e32 v152, v9, v174
	v_fma_f32 v153, v8, v174, -v153
	s_clause 0x4
	buffer_load_dword v170, off, s[0:3], 0 offset:372
	buffer_load_dword v171, off, s[0:3], 0 offset:384
	;; [unrolled: 1-line block ×5, first 2 shown]
	v_mul_f32_e32 v168, v135, v178
	s_waitcnt vmcnt(30)
	v_mul_f32_e32 v177, v137, v179
	v_fmac_f32_e32 v166, v135, v173
	v_add_f32_e32 v2, 0, v2
	v_mul_f32_e32 v176, v136, v179
	v_fma_f32 v168, v134, v173, -v168
	s_waitcnt vmcnt(26)
	v_fma_f32 v173, v136, v183, -v177
	s_waitcnt vmcnt(25) lgkmcnt(0)
	v_mul_f32_e32 v177, v138, v184
	v_mul_f32_e32 v134, v139, v184
	v_add_f32_e32 v2, v2, v195
	ds_read_b128 v[6:9], v1 offset:768
	s_clause 0x1
	buffer_load_dword v178, off, s[0:3], 0 offset:380
	buffer_load_dword v179, off, s[0:3], 0 offset:388
	v_fmac_f32_e32 v177, v139, v182
	v_fma_f32 v182, v138, v182, -v134
	v_add_f32_e32 v134, 0, v194
	v_add_f32_e32 v2, v2, v196
	v_fmac_f32_e32 v176, v137, v183
	s_waitcnt vmcnt(26)
	v_mul_f32_e32 v183, v140, v185
	v_mul_f32_e32 v135, v141, v185
	v_add_f32_e32 v3, v134, v3
	v_add_f32_e32 v2, v2, v154
	s_clause 0x4
	buffer_load_dword v184, off, s[0:3], 0 offset:396
	buffer_load_dword v185, off, s[0:3], 0 offset:404
	;; [unrolled: 1-line block ×5, first 2 shown]
	v_add_f32_e32 v3, v3, v10
	s_clause 0x5
	buffer_load_dword v202, off, s[0:3], 0 offset:436
	buffer_load_dword v203, off, s[0:3], 0 offset:444
	;; [unrolled: 1-line block ×6, first 2 shown]
	v_add_f32_e32 v3, v3, v11
	v_add_f32_e32 v2, v2, v12
	s_waitcnt vmcnt(36) lgkmcnt(0)
	v_mul_f32_e32 v208, v6, v186
	v_mul_f32_e32 v134, v7, v186
	v_fmac_f32_e32 v183, v141, v181
	v_add_f32_e32 v3, v3, v155
	s_clause 0x3
	buffer_load_dword v11, off, s[0:3], 0 offset:416
	buffer_load_dword v12, off, s[0:3], 0 offset:408
	;; [unrolled: 1-line block ×4, first 2 shown]
	v_add_f32_e32 v2, v2, v159
	v_fma_f32 v181, v140, v181, -v135
	v_fmac_f32_e32 v208, v7, v180
	v_add_f32_e32 v3, v3, v157
	v_add_f32_e32 v2, v2, v161
	s_clause 0x3
	buffer_load_dword v157, off, s[0:3], 0 offset:448
	buffer_load_dword v159, off, s[0:3], 0 offset:440
	;; [unrolled: 1-line block ×4, first 2 shown]
	v_add_f32_e32 v3, v3, v142
	v_add_f32_e32 v2, v2, v158
	s_clause 0x2
	buffer_load_dword v158, off, s[0:3], 0 offset:472
	buffer_load_dword v206, off, s[0:3], 0 offset:464
	;; [unrolled: 1-line block ×3, first 2 shown]
	ds_read_b128 v[138:141], v1 offset:816
	v_add_f32_e32 v3, v3, v143
	v_add_f32_e32 v2, v2, v160
	buffer_load_dword v160, off, s[0:3], 0 offset:136
	v_add_f32_e32 v3, v3, v144
	v_add_f32_e32 v2, v2, v163
	v_fma_f32 v163, v6, v180, -v134
	ds_read_b128 v[134:137], v1 offset:784
	v_add_f32_e32 v3, v3, v145
	s_waitcnt vmcnt(47)
	v_mul_f32_e32 v180, v8, v187
	v_add_f32_e32 v2, v2, v146
	v_mul_f32_e32 v6, v9, v187
	v_add_f32_e32 v3, v3, v147
	s_waitcnt vmcnt(40)
	v_fmac_f32_e32 v180, v9, v192
	v_add_f32_e32 v2, v2, v148
	v_fma_f32 v186, v8, v192, -v6
	ds_read_b128 v[6:9], v1 offset:800
	v_add_f32_e32 v3, v3, v149
	v_add_f32_e32 v2, v2, v150
	;; [unrolled: 1-line block ×4, first 2 shown]
	s_waitcnt lgkmcnt(1)
	v_mul_f32_e32 v150, v134, v188
	v_add_f32_e32 v3, v3, v153
	v_mul_f32_e32 v142, v135, v188
	v_add_f32_e32 v2, v2, v166
	v_mul_f32_e32 v166, v136, v189
	v_fmac_f32_e32 v150, v135, v191
	v_add_f32_e32 v3, v3, v168
	v_fma_f32 v151, v134, v191, -v142
	ds_read_b128 v[142:145], v1 offset:832
	v_add_f32_e32 v2, v2, v176
	s_waitcnt lgkmcnt(1)
	v_mul_f32_e32 v135, v7, v190
	v_add_f32_e32 v3, v3, v173
	v_mul_f32_e32 v168, v6, v190
	v_mul_f32_e32 v134, v137, v189
	v_add_f32_e32 v2, v2, v177
	v_fma_f32 v176, v6, v4, -v135
	v_add_f32_e32 v3, v3, v182
	v_fmac_f32_e32 v168, v7, v4
	v_fma_f32 v152, v136, v5, -v134
	v_add_f32_e32 v7, v2, v183
	v_fmac_f32_e32 v166, v137, v5
	v_add_f32_e32 v6, v3, v181
	ds_read_b128 v[2:5], v1 offset:848
	ds_read_b128 v[134:137], v1 offset:864
	s_waitcnt vmcnt(38)
	v_mul_f32_e32 v173, v8, v156
	v_mul_f32_e32 v146, v9, v156
	s_waitcnt vmcnt(37)
	v_mul_f32_e32 v156, v138, v162
	v_mul_f32_e32 v147, v139, v162
	;; [unrolled: 3-line block ×3, first 2 shown]
	s_waitcnt vmcnt(35) lgkmcnt(2)
	v_mul_f32_e32 v164, v142, v165
	s_waitcnt vmcnt(32)
	v_fmac_f32_e32 v156, v139, v198
	v_add_f32_e32 v139, v6, v163
	v_fma_f32 v163, v138, v198, -v147
	v_add_f32_e32 v138, v7, v208
	v_fmac_f32_e32 v164, v143, v169
	s_waitcnt vmcnt(31)
	v_fma_f32 v162, v8, v199, -v146
	v_add_f32_e32 v139, v139, v186
	v_fmac_f32_e32 v173, v9, v199
	v_add_f32_e32 v138, v138, v180
	v_fmac_f32_e32 v177, v141, v197
	s_waitcnt vmcnt(30)
	v_mul_f32_e32 v180, v144, v167
	v_add_f32_e32 v139, v139, v151
	v_mul_f32_e32 v151, v143, v165
	v_mul_f32_e32 v165, v145, v167
	v_fma_f32 v167, v140, v197, -v153
	ds_read_b128 v[6:9], v1 offset:880
	ds_read_b128 v[146:149], v1 offset:896
	v_add_f32_e32 v181, v139, v152
	v_fma_f32 v169, v142, v169, -v151
	v_add_f32_e32 v142, v138, v150
	ds_read_b128 v[138:141], v1 offset:912
	ds_read_b128 v[150:153], v1 offset:928
	v_add_f32_e32 v166, v142, v166
	s_waitcnt vmcnt(25)
	v_fmac_f32_e32 v180, v145, v175
	v_fma_f32 v165, v144, v175, -v165
	v_add_f32_e32 v175, v181, v176
	ds_read_b128 v[142:145], v1 offset:944
	v_add_f32_e32 v166, v166, v168
	s_waitcnt lgkmcnt(6)
	v_mul_f32_e32 v1, v2, v170
	v_mul_f32_e32 v170, v3, v170
	v_add_f32_e32 v162, v175, v162
	v_add_f32_e32 v166, v166, v173
	v_fmac_f32_e32 v1, v3, v174
	s_waitcnt vmcnt(24)
	v_mul_f32_e32 v176, v5, v178
	v_add_f32_e32 v162, v162, v163
	v_fma_f32 v2, v2, v174, -v170
	v_add_f32_e32 v156, v166, v156
	v_mul_f32_e32 v168, v4, v178
	v_fma_f32 v4, v4, v172, -v176
	v_add_f32_e32 v162, v162, v167
	s_waitcnt vmcnt(23) lgkmcnt(5)
	v_mul_f32_e32 v175, v134, v179
	v_add_f32_e32 v156, v156, v177
	v_fmac_f32_e32 v168, v5, v172
	s_waitcnt vmcnt(22)
	v_mul_f32_e32 v5, v137, v184
	v_add_f32_e32 v162, v162, v169
	v_mul_f32_e32 v173, v136, v184
	v_add_f32_e32 v156, v156, v164
	v_fmac_f32_e32 v175, v135, v171
	s_waitcnt vmcnt(21) lgkmcnt(4)
	v_mul_f32_e32 v178, v6, v185
	v_add_f32_e32 v162, v162, v165
	v_mul_f32_e32 v165, v135, v179
	v_add_f32_e32 v156, v156, v180
	s_waitcnt vmcnt(20)
	v_mul_f32_e32 v163, v8, v200
	s_waitcnt vmcnt(19) lgkmcnt(3)
	v_mul_f32_e32 v166, v146, v194
	v_add_f32_e32 v2, v162, v2
	v_fma_f32 v134, v134, v171, -v165
	v_add_f32_e32 v1, v156, v1
	s_waitcnt vmcnt(10)
	v_fmac_f32_e32 v163, v9, v12
	s_waitcnt vmcnt(9)
	v_fmac_f32_e32 v178, v7, v154
	v_add_f32_e32 v2, v2, v4
	v_mul_f32_e32 v4, v7, v185
	v_add_f32_e32 v1, v1, v168
	s_waitcnt vmcnt(8)
	v_fma_f32 v5, v136, v155, -v5
	v_fmac_f32_e32 v173, v137, v155
	v_add_f32_e32 v2, v2, v134
	v_mul_f32_e32 v134, v9, v200
	v_add_f32_e32 v1, v1, v175
	v_fma_f32 v4, v6, v154, -v4
	v_mul_f32_e32 v181, v148, v201
	v_add_f32_e32 v2, v2, v5
	v_mul_f32_e32 v5, v147, v194
	v_add_f32_e32 v1, v1, v173
	v_fma_f32 v6, v8, v12, -v134
	v_fmac_f32_e32 v166, v147, v11
	v_add_f32_e32 v2, v2, v4
	v_mul_f32_e32 v4, v149, v201
	v_add_f32_e32 v1, v1, v178
	v_fma_f32 v5, v146, v11, -v5
	s_waitcnt lgkmcnt(2)
	v_mul_f32_e32 v167, v138, v202
	v_add_f32_e32 v2, v2, v6
	v_mul_f32_e32 v6, v139, v202
	v_add_f32_e32 v1, v1, v163
	s_waitcnt vmcnt(4)
	v_fma_f32 v4, v148, v205, -v4
	v_fmac_f32_e32 v181, v149, v205
	v_add_f32_e32 v2, v2, v5
	v_mul_f32_e32 v5, v141, v203
	v_add_f32_e32 v1, v1, v166
	v_fma_f32 v6, v138, v161, -v6
	v_mul_f32_e32 v177, v140, v203
	v_add_f32_e32 v2, v2, v4
	v_fmac_f32_e32 v167, v139, v161
	v_add_f32_e32 v1, v1, v181
	s_waitcnt lgkmcnt(1)
	v_mul_f32_e32 v4, v151, v204
	v_fma_f32 v5, v140, v159, -v5
	v_add_f32_e32 v2, v2, v6
	v_mul_f32_e32 v182, v150, v204
	v_fmac_f32_e32 v177, v141, v159
	v_add_f32_e32 v1, v1, v167
	v_mul_f32_e32 v6, v153, v195
	v_fma_f32 v4, v150, v157, -v4
	v_add_f32_e32 v2, v2, v5
	v_mul_f32_e32 v169, v152, v195
	v_fmac_f32_e32 v182, v151, v157
	v_add_f32_e32 v1, v1, v177
	s_waitcnt lgkmcnt(0)
	v_mul_f32_e32 v5, v143, v10
	s_waitcnt vmcnt(1)
	v_fma_f32 v6, v152, v207, -v6
	v_add_f32_e32 v2, v2, v4
	v_mul_f32_e32 v164, v142, v10
	v_fmac_f32_e32 v169, v153, v207
	v_add_f32_e32 v1, v1, v182
	v_mul_f32_e32 v4, v145, v196
	v_fma_f32 v5, v142, v206, -v5
	v_add_f32_e32 v2, v2, v6
	v_mul_f32_e32 v3, v144, v196
	v_fmac_f32_e32 v164, v143, v206
	v_add_f32_e32 v1, v1, v169
	v_fma_f32 v4, v144, v158, -v4
	v_add_f32_e32 v2, v2, v5
	v_fmac_f32_e32 v3, v145, v158
	v_add_f32_e32 v1, v1, v164
	v_add_f32_e32 v2, v2, v4
	;; [unrolled: 1-line block ×3, first 2 shown]
	s_waitcnt vmcnt(0)
	v_sub_f32_e32 v2, v160, v2
	v_sub_f32_e32 v1, v193, v1
	buffer_store_dword v2, off, s[0:3], 0 offset:136
	buffer_store_dword v1, off, s[0:3], 0 offset:140
	v_cmpx_lt_u32_e32 16, v0
	s_cbranch_execz .LBB123_341
; %bb.340:
	s_clause 0x1
	buffer_load_dword v1, off, s[0:3], 0 offset:128
	buffer_load_dword v2, off, s[0:3], 0 offset:132
	v_mov_b32_e32 v3, 0
	buffer_store_dword v3, off, s[0:3], 0 offset:128
	buffer_store_dword v3, off, s[0:3], 0 offset:132
	s_waitcnt vmcnt(0)
	ds_write_b64 v133, v[1:2]
.LBB123_341:
	s_or_b32 exec_lo, exec_lo, s4
	s_waitcnt lgkmcnt(0)
	s_waitcnt_vscnt null, 0x0
	s_barrier
	buffer_gl0_inv
	s_clause 0x25
	buffer_load_dword v136, off, s[0:3], 0 offset:140
	buffer_load_dword v137, off, s[0:3], 0 offset:148
	;; [unrolled: 1-line block ×38, first 2 shown]
	v_mov_b32_e32 v134, 0
	ds_read2_b64 v[9:12], v134 offset0:77 offset1:78
	ds_read2_b64 v[1:4], v134 offset0:79 offset1:80
	s_clause 0x7
	buffer_load_dword v177, off, s[0:3], 0 offset:292
	buffer_load_dword v174, off, s[0:3], 0 offset:300
	;; [unrolled: 1-line block ×8, first 2 shown]
	ds_read2_b64 v[5:8], v134 offset0:81 offset1:82
	s_clause 0x9
	buffer_load_dword v172, off, s[0:3], 0 offset:324
	buffer_load_dword v159, off, s[0:3], 0 offset:328
	;; [unrolled: 1-line block ×10, first 2 shown]
	ds_read2_b64 v[184:187], v134 offset0:83 offset1:84
	s_mov_b32 s4, exec_lo
	s_waitcnt vmcnt(55) lgkmcnt(3)
	v_mul_f32_e32 v195, v9, v136
	v_mul_f32_e32 v136, v10, v136
	s_waitcnt vmcnt(54)
	v_mul_f32_e32 v196, v11, v137
	v_mul_f32_e32 v137, v12, v137
	s_waitcnt vmcnt(51)
	v_fmac_f32_e32 v195, v10, v142
	v_fma_f32 v142, v9, v142, -v136
	s_waitcnt vmcnt(50) lgkmcnt(2)
	v_mul_f32_e32 v197, v1, v141
	v_mul_f32_e32 v136, v2, v141
	v_fmac_f32_e32 v196, v12, v139
	v_fma_f32 v139, v11, v139, -v137
	ds_read2_b64 v[9:12], v134 offset0:85 offset1:86
	s_waitcnt vmcnt(49)
	v_mul_f32_e32 v141, v3, v140
	v_mul_f32_e32 v137, v4, v140
	v_fmac_f32_e32 v197, v2, v135
	v_fma_f32 v140, v1, v135, -v136
	s_waitcnt vmcnt(48) lgkmcnt(2)
	v_mul_f32_e32 v198, v5, v138
	v_mul_f32_e32 v135, v6, v138
	s_waitcnt vmcnt(44)
	v_fmac_f32_e32 v141, v4, v150
	v_fma_f32 v150, v3, v150, -v137
	ds_read2_b64 v[1:4], v134 offset0:87 offset1:88
	s_waitcnt vmcnt(43)
	v_mul_f32_e32 v199, v7, v148
	v_mul_f32_e32 v136, v8, v148
	v_fmac_f32_e32 v198, v6, v146
	v_fma_f32 v146, v5, v146, -v135
	s_waitcnt vmcnt(42) lgkmcnt(2)
	v_mul_f32_e32 v148, v184, v147
	v_fmac_f32_e32 v199, v8, v144
	v_fma_f32 v144, v7, v144, -v136
	ds_read2_b64 v[5:8], v134 offset0:89 offset1:90
	v_mul_f32_e32 v135, v185, v147
	s_waitcnt vmcnt(41)
	v_mul_f32_e32 v147, v186, v145
	v_mul_f32_e32 v136, v187, v145
	s_waitcnt vmcnt(40) lgkmcnt(2)
	v_mul_f32_e32 v145, v9, v149
	v_mul_f32_e32 v149, v10, v149
	v_fmac_f32_e32 v148, v185, v143
	v_fma_f32 v143, v184, v143, -v135
	s_waitcnt vmcnt(36)
	v_fmac_f32_e32 v147, v187, v158
	v_fma_f32 v158, v186, v158, -v136
	ds_read2_b64 v[135:138], v134 offset0:91 offset1:92
	s_waitcnt vmcnt(35)
	v_mul_f32_e32 v184, v11, v157
	v_mul_f32_e32 v157, v12, v157
	v_fmac_f32_e32 v145, v10, v154
	v_fma_f32 v149, v9, v154, -v149
	s_waitcnt vmcnt(34) lgkmcnt(2)
	v_mul_f32_e32 v154, v1, v155
	v_mul_f32_e32 v155, v2, v155
	v_fmac_f32_e32 v184, v12, v152
	v_fma_f32 v152, v11, v152, -v157
	ds_read2_b64 v[9:12], v134 offset0:93 offset1:94
	v_fmac_f32_e32 v154, v2, v151
	v_fma_f32 v151, v1, v151, -v155
	s_waitcnt vmcnt(32) lgkmcnt(2)
	v_mul_f32_e32 v155, v5, v156
	v_mul_f32_e32 v1, v6, v156
	;; [unrolled: 1-line block ×4, first 2 shown]
	s_waitcnt vmcnt(27)
	v_mul_f32_e32 v2, v8, v168
	v_fmac_f32_e32 v155, v6, v165
	v_add_f32_e32 v6, 0, v195
	v_fmac_f32_e32 v157, v4, v169
	v_fma_f32 v153, v3, v169, -v153
	v_mul_f32_e32 v169, v7, v168
	s_waitcnt vmcnt(26) lgkmcnt(1)
	v_mul_f32_e32 v156, v135, v167
	v_add_f32_e32 v6, v6, v196
	v_mul_f32_e32 v3, v136, v167
	s_waitcnt vmcnt(25)
	v_mul_f32_e32 v167, v137, v166
	v_mul_f32_e32 v4, v138, v166
	s_clause 0x6
	buffer_load_dword v166, off, s[0:3], 0 offset:364
	buffer_load_dword v168, off, s[0:3], 0 offset:376
	;; [unrolled: 1-line block ×7, first 2 shown]
	v_add_f32_e32 v6, v6, v197
	v_fma_f32 v165, v5, v165, -v1
	v_fmac_f32_e32 v156, v136, v162
	v_fma_f32 v135, v135, v162, -v3
	s_waitcnt vmcnt(27) lgkmcnt(0)
	v_mul_f32_e32 v162, v9, v181
	v_mul_f32_e32 v5, v10, v181
	v_add_f32_e32 v6, v6, v141
	v_fmac_f32_e32 v169, v8, v164
	v_fma_f32 v164, v7, v164, -v2
	v_fmac_f32_e32 v167, v138, v182
	v_fma_f32 v136, v137, v182, -v4
	buffer_load_dword v181, off, s[0:3], 0 offset:388
	s_waitcnt vmcnt(27)
	v_mul_f32_e32 v182, v11, v176
	v_fmac_f32_e32 v162, v10, v178
	v_fma_f32 v178, v9, v178, -v5
	v_add_f32_e32 v5, 0, v142
	v_mul_f32_e32 v7, v12, v176
	v_add_f32_e32 v6, v6, v198
	ds_read2_b64 v[1:4], v134 offset0:95 offset1:96
	s_clause 0x1
	buffer_load_dword v195, off, s[0:3], 0 offset:396
	buffer_load_dword v196, off, s[0:3], 0 offset:404
	v_add_f32_e32 v5, v5, v139
	buffer_load_dword v176, off, s[0:3], 0 offset:412
	v_fmac_f32_e32 v182, v12, v173
	v_fma_f32 v139, v11, v173, -v7
	s_clause 0x7
	buffer_load_dword v173, off, s[0:3], 0 offset:420
	buffer_load_dword v197, off, s[0:3], 0 offset:428
	;; [unrolled: 1-line block ×8, first 2 shown]
	v_add_f32_e32 v6, v6, v199
	s_clause 0x3
	buffer_load_dword v199, off, s[0:3], 0 offset:408
	buffer_load_dword v207, off, s[0:3], 0 offset:400
	;; [unrolled: 1-line block ×4, first 2 shown]
	v_add_f32_e32 v5, v5, v140
	s_clause 0x3
	buffer_load_dword v210, off, s[0:3], 0 offset:440
	buffer_load_dword v211, off, s[0:3], 0 offset:432
	;; [unrolled: 1-line block ×4, first 2 shown]
	v_add_f32_e32 v6, v6, v148
	v_add_f32_e32 v5, v5, v150
	;; [unrolled: 1-line block ×3, first 2 shown]
	s_waitcnt vmcnt(45) lgkmcnt(0)
	v_mul_f32_e32 v140, v1, v180
	v_add_f32_e32 v5, v5, v146
	v_mul_f32_e32 v7, v2, v180
	v_add_f32_e32 v6, v6, v145
	v_fmac_f32_e32 v140, v2, v160
	v_add_f32_e32 v5, v5, v144
	v_fma_f32 v141, v1, v160, -v7
	v_add_f32_e32 v6, v6, v184
	v_add_f32_e32 v5, v5, v143
	s_waitcnt vmcnt(44)
	v_mul_f32_e32 v143, v3, v177
	v_add_f32_e32 v6, v6, v154
	v_add_f32_e32 v5, v5, v158
	s_clause 0x4
	buffer_load_dword v158, off, s[0:3], 0 offset:472
	buffer_load_dword v184, off, s[0:3], 0 offset:464
	buffer_load_dword v214, off, s[0:3], 0 offset:456
	buffer_load_dword v215, off, s[0:3], 0 offset:448
	buffer_load_dword v216, off, s[0:3], 0 offset:128
	v_add_f32_e32 v1, v6, v157
	s_waitcnt vmcnt(42)
	v_fmac_f32_e32 v143, v4, v179
	v_add_f32_e32 v5, v5, v149
	v_add_f32_e32 v9, v1, v155
	v_mul_f32_e32 v1, v4, v177
	v_add_f32_e32 v5, v5, v152
	v_add_f32_e32 v137, v9, v169
	v_fma_f32 v144, v3, v179, -v1
	v_add_f32_e32 v5, v5, v151
	v_add_f32_e32 v137, v137, v156
	;; [unrolled: 1-line block ×3, first 2 shown]
	ds_read2_b64 v[5:8], v134 offset0:97 offset1:98
	v_add_f32_e32 v145, v137, v167
	v_add_f32_e32 v10, v2, v165
	ds_read2_b64 v[1:4], v134 offset0:99 offset1:100
	v_add_f32_e32 v138, v10, v164
	ds_read2_b64 v[9:12], v134 offset0:101 offset1:102
	v_add_f32_e32 v135, v138, v135
	s_waitcnt lgkmcnt(2)
	v_mul_f32_e32 v142, v6, v174
	v_mul_f32_e32 v147, v5, v174
	v_mul_f32_e32 v149, v7, v171
	v_fma_f32 v148, v5, v175, -v142
	v_add_f32_e32 v5, v135, v136
	ds_read2_b64 v[135:138], v134 offset0:103 offset1:104
	v_fmac_f32_e32 v147, v6, v175
	v_add_f32_e32 v6, v145, v162
	s_waitcnt lgkmcnt(2)
	v_mul_f32_e32 v150, v1, v170
	v_add_f32_e32 v5, v5, v178
	v_mul_f32_e32 v145, v2, v170
	s_waitcnt vmcnt(39) lgkmcnt(1)
	v_mul_f32_e32 v154, v9, v188
	v_add_f32_e32 v6, v6, v182
	v_fmac_f32_e32 v150, v2, v161
	v_add_f32_e32 v5, v5, v139
	v_fma_f32 v152, v1, v161, -v145
	v_mul_f32_e32 v145, v10, v188
	v_add_f32_e32 v1, v6, v140
	v_mul_f32_e32 v142, v8, v171
	v_add_f32_e32 v2, v5, v141
	v_fmac_f32_e32 v154, v10, v159
	v_fma_f32 v156, v9, v159, -v145
	v_add_f32_e32 v10, v1, v143
	v_fma_f32 v151, v7, v163, -v142
	v_add_f32_e32 v9, v2, v144
	v_fmac_f32_e32 v149, v8, v163
	v_mul_f32_e32 v146, v4, v172
	v_add_f32_e32 v10, v10, v147
	s_waitcnt vmcnt(36) lgkmcnt(0)
	v_mul_f32_e32 v159, v135, v191
	v_add_f32_e32 v9, v9, v148
	v_mul_f32_e32 v148, v136, v191
	v_mul_f32_e32 v153, v3, v172
	v_add_f32_e32 v10, v10, v149
	s_waitcnt vmcnt(34)
	v_fma_f32 v155, v3, v193, -v146
	ds_read2_b64 v[5:8], v134 offset0:105 offset1:106
	ds_read2_b64 v[139:142], v134 offset0:107 offset1:108
	v_fma_f32 v163, v135, v192, -v148
	v_add_f32_e32 v135, v9, v151
	v_fmac_f32_e32 v153, v4, v193
	v_add_f32_e32 v164, v10, v150
	v_mul_f32_e32 v147, v12, v190
	v_mul_f32_e32 v157, v11, v190
	v_add_f32_e32 v165, v135, v152
	s_waitcnt vmcnt(33)
	v_mul_f32_e32 v161, v138, v194
	v_add_f32_e32 v153, v164, v153
	v_fma_f32 v162, v11, v189, -v147
	v_fmac_f32_e32 v157, v12, v189
	v_add_f32_e32 v155, v165, v155
	v_mul_f32_e32 v160, v137, v194
	v_add_f32_e32 v153, v153, v154
	v_fmac_f32_e32 v159, v136, v192
	ds_read2_b64 v[1:4], v134 offset0:109 offset1:110
	ds_read2_b64 v[143:146], v134 offset0:111 offset1:112
	v_add_f32_e32 v155, v155, v156
	ds_read2_b64 v[9:12], v134 offset0:113 offset1:114
	ds_read2_b64 v[147:150], v134 offset0:115 offset1:116
	v_add_f32_e32 v153, v153, v157
	v_add_f32_e32 v155, v155, v162
	;; [unrolled: 1-line block ×4, first 2 shown]
	s_waitcnt vmcnt(31) lgkmcnt(5)
	v_mul_f32_e32 v164, v5, v166
	v_mul_f32_e32 v166, v6, v166
	s_waitcnt vmcnt(27)
	v_fma_f32 v161, v137, v187, -v161
	v_fmac_f32_e32 v160, v138, v187
	s_waitcnt vmcnt(26)
	v_mul_f32_e32 v167, v8, v200
	v_fma_f32 v5, v5, v186, -v166
	v_mul_f32_e32 v165, v7, v200
	v_add_f32_e32 v155, v155, v161
	v_fmac_f32_e32 v164, v6, v186
	v_add_f32_e32 v153, v153, v160
	s_waitcnt vmcnt(25) lgkmcnt(4)
	v_mul_f32_e32 v166, v140, v201
	v_fma_f32 v7, v7, v185, -v167
	v_add_f32_e32 v5, v155, v5
	v_mul_f32_e32 v154, v139, v201
	v_fmac_f32_e32 v165, v8, v185
	v_add_f32_e32 v153, v153, v164
	s_waitcnt vmcnt(24)
	v_mul_f32_e32 v160, v142, v181
	v_fma_f32 v139, v139, v168, -v166
	v_add_f32_e32 v5, v5, v7
	v_mul_f32_e32 v156, v141, v181
	v_fmac_f32_e32 v154, v140, v168
	v_add_f32_e32 v7, v153, v165
	ds_read2_b64 v[135:138], v134 offset0:117 offset1:118
	ds_read_b64 v[151:152], v134 offset:952
	s_waitcnt vmcnt(23) lgkmcnt(5)
	v_mul_f32_e32 v6, v1, v195
	v_mul_f32_e32 v140, v2, v195
	v_add_f32_e32 v5, v5, v139
	v_add_f32_e32 v7, v7, v154
	s_waitcnt vmcnt(22)
	v_mul_f32_e32 v139, v4, v196
	v_mul_f32_e32 v157, v3, v196
	s_waitcnt vmcnt(21) lgkmcnt(4)
	v_mul_f32_e32 v162, v143, v176
	s_waitcnt vmcnt(20)
	v_mul_f32_e32 v8, v145, v173
	s_waitcnt vmcnt(19) lgkmcnt(3)
	v_mul_f32_e32 v167, v9, v197
	s_waitcnt vmcnt(10)
	v_fmac_f32_e32 v6, v2, v208
	s_waitcnt vmcnt(9)
	v_fma_f32 v141, v141, v209, -v160
	v_fmac_f32_e32 v156, v142, v209
	v_fma_f32 v1, v1, v208, -v140
	v_fma_f32 v3, v3, v207, -v139
	v_fmac_f32_e32 v157, v4, v207
	v_add_f32_e32 v2, v5, v141
	v_add_f32_e32 v5, v7, v156
	v_mul_f32_e32 v7, v144, v176
	v_mul_f32_e32 v4, v146, v173
	v_fmac_f32_e32 v162, v144, v199
	v_add_f32_e32 v1, v2, v1
	v_add_f32_e32 v2, v5, v6
	v_fma_f32 v5, v143, v199, -v7
	s_waitcnt vmcnt(5)
	v_fma_f32 v4, v145, v213, -v4
	v_fmac_f32_e32 v8, v146, v213
	v_add_f32_e32 v1, v1, v3
	v_add_f32_e32 v2, v2, v157
	v_mul_f32_e32 v3, v10, v197
	v_mul_f32_e32 v159, v11, v202
	v_fmac_f32_e32 v167, v10, v212
	v_add_f32_e32 v1, v1, v5
	v_add_f32_e32 v2, v2, v162
	v_mul_f32_e32 v5, v12, v202
	v_fma_f32 v3, v9, v212, -v3
	s_waitcnt lgkmcnt(2)
	v_mul_f32_e32 v163, v147, v203
	v_add_f32_e32 v1, v1, v4
	v_add_f32_e32 v2, v2, v8
	v_mul_f32_e32 v4, v148, v203
	v_fma_f32 v5, v11, v211, -v5
	v_fmac_f32_e32 v159, v12, v211
	v_add_f32_e32 v1, v1, v3
	v_add_f32_e32 v2, v2, v167
	v_mul_f32_e32 v3, v150, v204
	v_fma_f32 v4, v147, v210, -v4
	v_mul_f32_e32 v169, v149, v204
	v_add_f32_e32 v1, v1, v5
	v_fmac_f32_e32 v163, v148, v210
	v_add_f32_e32 v2, v2, v159
	s_waitcnt lgkmcnt(1)
	v_mul_f32_e32 v5, v136, v198
	s_waitcnt vmcnt(1)
	v_fma_f32 v3, v149, v215, -v3
	v_add_f32_e32 v1, v1, v4
	v_mul_f32_e32 v161, v135, v198
	v_fmac_f32_e32 v169, v150, v215
	v_add_f32_e32 v2, v2, v163
	v_mul_f32_e32 v4, v138, v205
	v_fma_f32 v5, v135, v214, -v5
	v_add_f32_e32 v1, v1, v3
	v_mul_f32_e32 v170, v137, v205
	v_fmac_f32_e32 v161, v136, v214
	v_add_f32_e32 v2, v2, v169
	s_waitcnt lgkmcnt(0)
	v_mul_f32_e32 v3, v152, v206
	v_fma_f32 v4, v137, v184, -v4
	v_add_f32_e32 v1, v1, v5
	v_mul_f32_e32 v155, v151, v206
	v_fmac_f32_e32 v170, v138, v184
	v_add_f32_e32 v2, v2, v161
	v_fma_f32 v3, v151, v158, -v3
	v_add_f32_e32 v1, v1, v4
	v_fmac_f32_e32 v155, v152, v158
	v_add_f32_e32 v2, v2, v170
	v_add_f32_e32 v1, v1, v3
	;; [unrolled: 1-line block ×3, first 2 shown]
	s_waitcnt vmcnt(0)
	v_sub_f32_e32 v1, v216, v1
	v_sub_f32_e32 v2, v183, v2
	buffer_store_dword v1, off, s[0:3], 0 offset:128
	buffer_store_dword v2, off, s[0:3], 0 offset:132
	v_cmpx_lt_u32_e32 15, v0
	s_cbranch_execz .LBB123_343
; %bb.342:
	s_clause 0x1
	buffer_load_dword v1, off, s[0:3], 0 offset:120
	buffer_load_dword v2, off, s[0:3], 0 offset:124
	buffer_store_dword v134, off, s[0:3], 0 offset:120
	buffer_store_dword v134, off, s[0:3], 0 offset:124
	s_waitcnt vmcnt(0)
	ds_write_b64 v133, v[1:2]
.LBB123_343:
	s_or_b32 exec_lo, exec_lo, s4
	s_waitcnt lgkmcnt(0)
	s_waitcnt_vscnt null, 0x0
	s_barrier
	buffer_gl0_inv
	s_clause 0x2b
	buffer_load_dword v157, off, s[0:3], 0 offset:132
	buffer_load_dword v158, off, s[0:3], 0 offset:140
	;; [unrolled: 1-line block ×44, first 2 shown]
	ds_read_b128 v[9:12], v134 offset:608
	s_clause 0x1
	buffer_load_dword v183, off, s[0:3], 0 offset:300
	buffer_load_dword v177, off, s[0:3], 0 offset:308
	ds_read_b128 v[5:8], v134 offset:624
	ds_read_b128 v[1:4], v134 offset:640
	s_clause 0x7
	buffer_load_dword v178, off, s[0:3], 0 offset:316
	buffer_load_dword v167, off, s[0:3], 0 offset:324
	buffer_load_dword v164, off, s[0:3], 0 offset:332
	buffer_load_dword v188, off, s[0:3], 0 offset:340
	buffer_load_dword v189, off, s[0:3], 0 offset:336
	buffer_load_dword v190, off, s[0:3], 0 offset:328
	buffer_load_dword v191, off, s[0:3], 0 offset:320
	buffer_load_dword v192, off, s[0:3], 0 offset:312
	ds_read_b128 v[184:187], v134 offset:656
	buffer_load_dword v195, off, s[0:3], 0 offset:124
	s_mov_b32 s4, exec_lo
	s_waitcnt vmcnt(54) lgkmcnt(3)
	v_mul_f32_e32 v193, v9, v157
	s_waitcnt vmcnt(53)
	v_mul_f32_e32 v194, v11, v158
	v_mul_f32_e32 v157, v10, v157
	;; [unrolled: 1-line block ×3, first 2 shown]
	s_waitcnt vmcnt(50)
	v_fmac_f32_e32 v193, v10, v141
	v_fmac_f32_e32 v194, v12, v140
	v_fma_f32 v141, v9, v141, -v157
	v_fma_f32 v140, v11, v140, -v158
	ds_read_b128 v[9:12], v134 offset:672
	s_waitcnt vmcnt(49) lgkmcnt(3)
	v_mul_f32_e32 v157, v5, v138
	v_mul_f32_e32 v138, v6, v138
	s_waitcnt vmcnt(48)
	v_mul_f32_e32 v158, v7, v137
	v_mul_f32_e32 v137, v8, v137
	s_waitcnt vmcnt(47) lgkmcnt(2)
	v_mul_f32_e32 v196, v1, v136
	v_fmac_f32_e32 v157, v6, v135
	v_fma_f32 v197, v5, v135, -v138
	s_waitcnt vmcnt(46)
	v_mul_f32_e32 v198, v3, v139
	v_mul_f32_e32 v135, v2, v136
	;; [unrolled: 1-line block ×3, first 2 shown]
	s_waitcnt vmcnt(42)
	v_fmac_f32_e32 v158, v8, v147
	v_fma_f32 v139, v7, v147, -v137
	ds_read_b128 v[5:8], v134 offset:688
	v_fmac_f32_e32 v196, v2, v146
	v_fmac_f32_e32 v198, v4, v144
	v_fma_f32 v146, v1, v146, -v135
	v_fma_f32 v144, v3, v144, -v136
	ds_read_b128 v[1:4], v134 offset:704
	s_waitcnt vmcnt(41) lgkmcnt(3)
	v_mul_f32_e32 v147, v184, v145
	v_mul_f32_e32 v135, v185, v145
	s_waitcnt vmcnt(40)
	v_mul_f32_e32 v145, v186, v143
	v_mul_f32_e32 v136, v187, v143
	s_waitcnt vmcnt(39) lgkmcnt(2)
	v_mul_f32_e32 v143, v9, v148
	v_fmac_f32_e32 v147, v185, v142
	v_fma_f32 v142, v184, v142, -v135
	s_waitcnt vmcnt(34)
	v_fmac_f32_e32 v145, v187, v155
	v_fma_f32 v155, v186, v155, -v136
	ds_read_b128 v[135:138], v134 offset:720
	v_mul_f32_e32 v184, v11, v149
	v_mul_f32_e32 v149, v12, v149
	;; [unrolled: 1-line block ×3, first 2 shown]
	v_fmac_f32_e32 v143, v10, v154
	s_waitcnt vmcnt(32) lgkmcnt(2)
	v_mul_f32_e32 v185, v7, v151
	v_fmac_f32_e32 v184, v12, v152
	v_fma_f32 v149, v11, v152, -v149
	v_mul_f32_e32 v152, v5, v153
	v_mul_f32_e32 v153, v6, v153
	v_mul_f32_e32 v151, v8, v151
	v_fma_f32 v148, v9, v154, -v148
	ds_read_b128 v[9:12], v134 offset:736
	v_fmac_f32_e32 v152, v6, v150
	v_fma_f32 v150, v5, v150, -v153
	s_waitcnt vmcnt(31) lgkmcnt(2)
	v_mul_f32_e32 v153, v1, v156
	v_mul_f32_e32 v5, v2, v156
	buffer_load_dword v154, off, s[0:3], 0 offset:348
	s_waitcnt vmcnt(28)
	v_fmac_f32_e32 v185, v8, v171
	v_fma_f32 v151, v7, v171, -v151
	s_clause 0x3
	buffer_load_dword v156, off, s[0:3], 0 offset:368
	buffer_load_dword v171, off, s[0:3], 0 offset:360
	;; [unrolled: 1-line block ×4, first 2 shown]
	s_waitcnt vmcnt(31)
	v_mul_f32_e32 v199, v3, v170
	v_mul_f32_e32 v6, v4, v170
	v_fmac_f32_e32 v153, v2, v165
	v_fma_f32 v165, v1, v165, -v5
	s_waitcnt vmcnt(30) lgkmcnt(1)
	v_mul_f32_e32 v170, v135, v162
	s_waitcnt vmcnt(29)
	v_mul_f32_e32 v200, v137, v163
	v_mul_f32_e32 v1, v136, v162
	;; [unrolled: 1-line block ×3, first 2 shown]
	s_clause 0x2
	buffer_load_dword v162, off, s[0:3], 0 offset:356
	buffer_load_dword v163, off, s[0:3], 0 offset:364
	;; [unrolled: 1-line block ×3, first 2 shown]
	v_fmac_f32_e32 v199, v4, v161
	v_fma_f32 v161, v3, v161, -v6
	v_fmac_f32_e32 v170, v136, v159
	v_fma_f32 v135, v135, v159, -v1
	s_waitcnt vmcnt(28)
	v_fma_f32 v136, v137, v182, -v2
	ds_read_b128 v[1:4], v134 offset:752
	s_waitcnt vmcnt(27) lgkmcnt(1)
	v_mul_f32_e32 v5, v10, v180
	v_add_f32_e32 v6, 0, v193
	v_fmac_f32_e32 v200, v138, v182
	v_add_f32_e32 v7, 0, v141
	v_mul_f32_e32 v137, v9, v180
	v_fma_f32 v138, v9, v176, -v5
	v_add_f32_e32 v5, v6, v194
	s_waitcnt vmcnt(26)
	v_mul_f32_e32 v159, v11, v179
	v_add_f32_e32 v6, v7, v140
	v_mul_f32_e32 v8, v12, v179
	v_fmac_f32_e32 v137, v10, v176
	v_add_f32_e32 v5, v5, v157
	s_clause 0x3
	buffer_load_dword v176, off, s[0:3], 0 offset:380
	buffer_load_dword v179, off, s[0:3], 0 offset:388
	;; [unrolled: 1-line block ×4, first 2 shown]
	v_add_f32_e32 v6, v6, v197
	v_fmac_f32_e32 v159, v12, v174
	v_fma_f32 v140, v11, v174, -v8
	v_add_f32_e32 v5, v5, v158
	s_clause 0x3
	buffer_load_dword v157, off, s[0:3], 0 offset:412
	buffer_load_dword v174, off, s[0:3], 0 offset:420
	;; [unrolled: 1-line block ×4, first 2 shown]
	v_add_f32_e32 v6, v6, v139
	s_waitcnt vmcnt(33) lgkmcnt(0)
	v_mul_f32_e32 v139, v1, v172
	v_mul_f32_e32 v7, v2, v172
	v_add_f32_e32 v5, v5, v196
	s_clause 0x3
	buffer_load_dword v158, off, s[0:3], 0 offset:444
	buffer_load_dword v197, off, s[0:3], 0 offset:452
	;; [unrolled: 1-line block ×4, first 2 shown]
	v_add_f32_e32 v6, v6, v146
	buffer_load_dword v172, off, s[0:3], 0 offset:476
	v_fmac_f32_e32 v139, v2, v168
	v_fma_f32 v141, v1, v168, -v7
	v_add_f32_e32 v5, v5, v198
	s_clause 0x3
	buffer_load_dword v168, off, s[0:3], 0 offset:400
	buffer_load_dword v196, off, s[0:3], 0 offset:392
	;; [unrolled: 1-line block ×4, first 2 shown]
	v_add_f32_e32 v1, v6, v144
	v_add_f32_e32 v5, v5, v147
	v_add_f32_e32 v6, v1, v142
	s_waitcnt vmcnt(41)
	v_mul_f32_e32 v142, v3, v166
	v_mul_f32_e32 v1, v4, v166
	v_add_f32_e32 v5, v5, v145
	v_add_f32_e32 v6, v6, v155
	s_waitcnt vmcnt(37)
	v_fmac_f32_e32 v142, v4, v181
	v_fma_f32 v144, v3, v181, -v1
	ds_read_b128 v[1:4], v134 offset:768
	s_clause 0x3
	buffer_load_dword v155, off, s[0:3], 0 offset:432
	buffer_load_dword v166, off, s[0:3], 0 offset:424
	;; [unrolled: 1-line block ×4, first 2 shown]
	v_add_f32_e32 v6, v6, v148
	v_add_f32_e32 v5, v5, v143
	;; [unrolled: 1-line block ×4, first 2 shown]
	ds_read_b128 v[5:8], v134 offset:784
	v_add_f32_e32 v9, v9, v150
	v_add_f32_e32 v10, v10, v152
	s_waitcnt vmcnt(40) lgkmcnt(1)
	v_mul_f32_e32 v143, v1, v175
	v_mul_f32_e32 v11, v2, v175
	s_waitcnt vmcnt(39)
	v_mul_f32_e32 v147, v3, v183
	v_fmac_f32_e32 v143, v2, v173
	v_fma_f32 v145, v1, v173, -v11
	v_add_f32_e32 v1, v9, v151
	s_clause 0x3
	buffer_load_dword v151, off, s[0:3], 0 offset:464
	buffer_load_dword v152, off, s[0:3], 0 offset:456
	;; [unrolled: 1-line block ×4, first 2 shown]
	v_add_f32_e32 v2, v10, v185
	v_mul_f32_e32 v9, v4, v183
	v_fmac_f32_e32 v147, v4, v169
	v_add_f32_e32 v1, v1, v165
	buffer_load_dword v165, off, s[0:3], 0 offset:472
	v_add_f32_e32 v2, v2, v153
	buffer_load_dword v153, off, s[0:3], 0 offset:120
	v_fma_f32 v148, v3, v169, -v9
	v_add_f32_e32 v1, v1, v161
	s_waitcnt vmcnt(44) lgkmcnt(0)
	v_mul_f32_e32 v149, v5, v177
	v_add_f32_e32 v10, v2, v199
	s_waitcnt vmcnt(43)
	v_mul_f32_e32 v150, v7, v178
	v_mul_f32_e32 v161, v8, v178
	v_add_f32_e32 v135, v1, v135
	ds_read_b128 v[1:4], v134 offset:800
	v_add_f32_e32 v146, v10, v170
	ds_read_b128 v[9:12], v134 offset:816
	v_fmac_f32_e32 v149, v6, v160
	v_add_f32_e32 v135, v135, v136
	v_mul_f32_e32 v136, v6, v177
	v_add_f32_e32 v146, v146, v200
	s_waitcnt vmcnt(36)
	v_fmac_f32_e32 v150, v8, v192
	v_fma_f32 v161, v7, v192, -v161
	v_add_f32_e32 v169, v135, v138
	v_fma_f32 v160, v5, v160, -v136
	v_add_f32_e32 v146, v146, v137
	ds_read_b128 v[5:8], v134 offset:832
	ds_read_b128 v[135:138], v134 offset:848
	v_add_f32_e32 v140, v169, v140
	v_add_f32_e32 v146, v146, v159
	;; [unrolled: 1-line block ×3, first 2 shown]
	s_waitcnt lgkmcnt(3)
	v_mul_f32_e32 v169, v1, v167
	v_add_f32_e32 v139, v146, v139
	v_mul_f32_e32 v167, v2, v167
	v_mul_f32_e32 v159, v3, v164
	v_add_f32_e32 v144, v140, v144
	v_mul_f32_e32 v164, v4, v164
	v_add_f32_e32 v178, v139, v142
	v_fma_f32 v167, v1, v191, -v167
	v_fmac_f32_e32 v169, v2, v191
	v_add_f32_e32 v184, v144, v145
	s_waitcnt lgkmcnt(2)
	v_mul_f32_e32 v146, v10, v188
	v_add_f32_e32 v178, v178, v143
	v_fma_f32 v164, v3, v190, -v164
	v_mul_f32_e32 v170, v9, v188
	v_add_f32_e32 v148, v184, v148
	v_fmac_f32_e32 v159, v4, v190
	v_add_f32_e32 v147, v178, v147
	v_fma_f32 v183, v9, v189, -v146
	v_fmac_f32_e32 v170, v10, v189
	ds_read_b128 v[1:4], v134 offset:864
	ds_read_b128 v[139:142], v134 offset:880
	v_add_f32_e32 v147, v147, v149
	s_waitcnt vmcnt(34)
	v_mul_f32_e32 v177, v11, v154
	v_mul_f32_e32 v154, v12, v154
	s_waitcnt vmcnt(30)
	v_fmac_f32_e32 v177, v12, v187
	v_fma_f32 v154, v11, v187, -v154
	ds_read_b128 v[9:12], v134 offset:896
	ds_read_b128 v[143:146], v134 offset:912
	s_waitcnt vmcnt(29) lgkmcnt(5)
	v_mul_f32_e32 v184, v5, v162
	v_mul_f32_e32 v162, v6, v162
	s_waitcnt vmcnt(28)
	v_mul_f32_e32 v178, v7, v163
	v_mul_f32_e32 v163, v8, v163
	v_fmac_f32_e32 v184, v6, v186
	v_add_f32_e32 v6, v148, v160
	v_fma_f32 v160, v5, v186, -v162
	v_fma_f32 v162, v7, v171, -v163
	v_add_f32_e32 v163, v147, v150
	v_fmac_f32_e32 v178, v8, v171
	v_add_f32_e32 v161, v6, v161
	ds_read_b128 v[5:8], v134 offset:928
	ds_read_b128 v[147:150], v134 offset:944
	s_waitcnt vmcnt(27) lgkmcnt(6)
	v_mul_f32_e32 v134, v135, v201
	v_add_f32_e32 v163, v163, v169
	v_add_f32_e32 v161, v161, v167
	v_mul_f32_e32 v167, v136, v201
	s_waitcnt vmcnt(26)
	v_mul_f32_e32 v171, v138, v176
	v_add_f32_e32 v159, v163, v159
	v_mul_f32_e32 v169, v137, v176
	v_add_f32_e32 v161, v161, v164
	v_fma_f32 v135, v135, v156, -v167
	v_fmac_f32_e32 v134, v136, v156
	v_add_f32_e32 v159, v159, v170
	s_waitcnt vmcnt(25) lgkmcnt(5)
	v_mul_f32_e32 v164, v1, v179
	v_add_f32_e32 v161, v161, v183
	s_waitcnt vmcnt(24)
	v_mul_f32_e32 v163, v3, v180
	s_waitcnt vmcnt(23) lgkmcnt(4)
	v_mul_f32_e32 v176, v139, v182
	v_add_f32_e32 v159, v159, v177
	s_waitcnt vmcnt(22)
	v_mul_f32_e32 v183, v141, v157
	v_add_f32_e32 v154, v161, v154
	s_waitcnt vmcnt(21) lgkmcnt(3)
	v_mul_f32_e32 v170, v9, v174
	s_waitcnt vmcnt(20)
	v_mul_f32_e32 v185, v11, v193
	v_add_f32_e32 v159, v159, v184
	s_waitcnt vmcnt(12)
	v_fmac_f32_e32 v163, v4, v196
	v_add_f32_e32 v154, v154, v160
	s_waitcnt vmcnt(10)
	v_fma_f32 v137, v137, v204, -v171
	v_fmac_f32_e32 v169, v138, v204
	v_add_f32_e32 v156, v159, v178
	v_mul_f32_e32 v159, v2, v179
	v_add_f32_e32 v154, v154, v162
	v_mul_f32_e32 v138, v4, v180
	v_fmac_f32_e32 v164, v2, v198
	v_add_f32_e32 v134, v156, v134
	v_fma_f32 v1, v1, v198, -v159
	v_add_f32_e32 v135, v154, v135
	v_fma_f32 v3, v3, v196, -v138
	v_mul_f32_e32 v4, v142, v157
	v_add_f32_e32 v134, v134, v169
	v_fmac_f32_e32 v176, v140, v168
	v_add_f32_e32 v2, v135, v137
	v_mul_f32_e32 v135, v140, v182
	s_waitcnt vmcnt(6)
	v_fma_f32 v4, v141, v205, -v4
	v_fmac_f32_e32 v183, v142, v205
	v_fmac_f32_e32 v170, v10, v181
	v_add_f32_e32 v1, v2, v1
	v_add_f32_e32 v2, v134, v164
	v_fma_f32 v134, v139, v168, -v135
	s_waitcnt lgkmcnt(2)
	v_mul_f32_e32 v161, v143, v194
	v_fmac_f32_e32 v185, v12, v166
	v_add_f32_e32 v1, v1, v3
	v_add_f32_e32 v2, v2, v163
	v_mul_f32_e32 v3, v10, v174
	v_mul_f32_e32 v177, v145, v158
	v_fmac_f32_e32 v161, v144, v155
	v_add_f32_e32 v1, v1, v134
	v_add_f32_e32 v2, v2, v176
	v_mul_f32_e32 v134, v12, v193
	v_fma_f32 v3, v9, v181, -v3
	s_waitcnt lgkmcnt(1)
	v_mul_f32_e32 v186, v5, v197
	v_add_f32_e32 v1, v1, v4
	v_add_f32_e32 v2, v2, v183
	v_mul_f32_e32 v4, v144, v194
	v_fma_f32 v9, v11, v166, -v134
	v_mul_f32_e32 v160, v7, v202
	v_add_f32_e32 v1, v1, v3
	v_add_f32_e32 v2, v2, v170
	v_mul_f32_e32 v3, v146, v158
	v_fma_f32 v4, v143, v155, -v4
	s_waitcnt vmcnt(2)
	v_fmac_f32_e32 v177, v146, v175
	v_add_f32_e32 v1, v1, v9
	v_add_f32_e32 v2, v2, v185
	v_mul_f32_e32 v9, v6, v197
	v_fma_f32 v3, v145, v175, -v3
	v_fmac_f32_e32 v186, v6, v173
	v_add_f32_e32 v1, v1, v4
	v_add_f32_e32 v2, v2, v161
	v_mul_f32_e32 v4, v8, v202
	v_fma_f32 v5, v5, v173, -v9
	s_waitcnt lgkmcnt(0)
	v_mul_f32_e32 v184, v147, v203
	v_add_f32_e32 v1, v1, v3
	v_add_f32_e32 v2, v2, v177
	v_mul_f32_e32 v3, v148, v203
	v_fma_f32 v4, v7, v152, -v4
	v_fmac_f32_e32 v160, v8, v152
	v_add_f32_e32 v1, v1, v5
	v_add_f32_e32 v2, v2, v186
	v_mul_f32_e32 v5, v150, v172
	v_fma_f32 v3, v147, v151, -v3
	v_mul_f32_e32 v136, v149, v172
	v_add_f32_e32 v1, v1, v4
	v_fmac_f32_e32 v184, v148, v151
	v_add_f32_e32 v2, v2, v160
	s_waitcnt vmcnt(1)
	v_fma_f32 v4, v149, v165, -v5
	v_fmac_f32_e32 v136, v150, v165
	v_add_f32_e32 v1, v1, v3
	v_add_f32_e32 v2, v2, v184
	;; [unrolled: 1-line block ×4, first 2 shown]
	s_waitcnt vmcnt(0)
	v_sub_f32_e32 v1, v153, v1
	v_sub_f32_e32 v2, v195, v2
	buffer_store_dword v1, off, s[0:3], 0 offset:120
	buffer_store_dword v2, off, s[0:3], 0 offset:124
	v_cmpx_lt_u32_e32 14, v0
	s_cbranch_execz .LBB123_345
; %bb.344:
	s_clause 0x1
	buffer_load_dword v1, off, s[0:3], 0 offset:112
	buffer_load_dword v2, off, s[0:3], 0 offset:116
	v_mov_b32_e32 v3, 0
	buffer_store_dword v3, off, s[0:3], 0 offset:112
	buffer_store_dword v3, off, s[0:3], 0 offset:116
	s_waitcnt vmcnt(0)
	ds_write_b64 v133, v[1:2]
.LBB123_345:
	s_or_b32 exec_lo, exec_lo, s4
	s_waitcnt lgkmcnt(0)
	s_waitcnt_vscnt null, 0x0
	s_barrier
	buffer_gl0_inv
	s_clause 0x2b
	buffer_load_dword v136, off, s[0:3], 0 offset:124
	buffer_load_dword v137, off, s[0:3], 0 offset:132
	;; [unrolled: 1-line block ×44, first 2 shown]
	v_mov_b32_e32 v134, 0
	ds_read2_b64 v[9:12], v134 offset0:75 offset1:76
	ds_read2_b64 v[5:8], v134 offset0:77 offset1:78
	s_clause 0x1
	buffer_load_dword v183, off, s[0:3], 0 offset:292
	buffer_load_dword v178, off, s[0:3], 0 offset:300
	ds_read2_b64 v[1:4], v134 offset0:79 offset1:80
	s_clause 0x9
	buffer_load_dword v177, off, s[0:3], 0 offset:308
	buffer_load_dword v165, off, s[0:3], 0 offset:316
	;; [unrolled: 1-line block ×10, first 2 shown]
	ds_read2_b64 v[185:188], v134 offset0:81 offset1:82
	s_mov_b32 s4, exec_lo
	s_waitcnt vmcnt(55) lgkmcnt(3)
	v_mul_f32_e32 v195, v9, v136
	v_mul_f32_e32 v136, v10, v136
	s_waitcnt vmcnt(54)
	v_mul_f32_e32 v196, v11, v137
	v_mul_f32_e32 v137, v12, v137
	s_waitcnt vmcnt(51)
	v_fmac_f32_e32 v195, v10, v142
	v_fma_f32 v142, v9, v142, -v136
	s_waitcnt vmcnt(50) lgkmcnt(2)
	v_mul_f32_e32 v197, v5, v141
	v_mul_f32_e32 v136, v6, v141
	v_fmac_f32_e32 v196, v12, v138
	v_fma_f32 v141, v11, v138, -v137
	ds_read2_b64 v[9:12], v134 offset0:83 offset1:84
	s_waitcnt vmcnt(49)
	v_mul_f32_e32 v198, v7, v139
	v_mul_f32_e32 v137, v8, v139
	v_fmac_f32_e32 v197, v6, v135
	v_fma_f32 v139, v5, v135, -v136
	s_waitcnt vmcnt(48) lgkmcnt(2)
	v_mul_f32_e32 v199, v1, v140
	v_mul_f32_e32 v135, v2, v140
	s_waitcnt vmcnt(44)
	v_fmac_f32_e32 v198, v8, v149
	v_fma_f32 v140, v7, v149, -v137
	ds_read2_b64 v[5:8], v134 offset0:85 offset1:86
	s_waitcnt vmcnt(43)
	v_mul_f32_e32 v149, v3, v148
	v_mul_f32_e32 v136, v4, v148
	v_fmac_f32_e32 v199, v2, v146
	v_fma_f32 v146, v1, v146, -v135
	s_waitcnt vmcnt(42) lgkmcnt(2)
	v_mul_f32_e32 v148, v185, v147
	v_mul_f32_e32 v135, v186, v147
	v_fmac_f32_e32 v149, v4, v144
	v_fma_f32 v144, v3, v144, -v136
	ds_read2_b64 v[1:4], v134 offset0:87 offset1:88
	s_waitcnt vmcnt(41)
	v_mul_f32_e32 v147, v187, v145
	v_mul_f32_e32 v136, v188, v145
	v_fmac_f32_e32 v148, v186, v143
	v_fma_f32 v143, v185, v143, -v135
	s_waitcnt vmcnt(40) lgkmcnt(2)
	v_mul_f32_e32 v145, v9, v150
	s_waitcnt vmcnt(36)
	v_fmac_f32_e32 v147, v188, v157
	v_fma_f32 v157, v187, v157, -v136
	ds_read2_b64 v[135:138], v134 offset0:89 offset1:90
	v_mul_f32_e32 v150, v10, v150
	s_waitcnt vmcnt(35)
	v_mul_f32_e32 v185, v11, v156
	v_mul_f32_e32 v156, v12, v156
	v_fmac_f32_e32 v145, v10, v154
	v_fma_f32 v150, v9, v154, -v150
	s_waitcnt vmcnt(34) lgkmcnt(2)
	v_mul_f32_e32 v154, v5, v155
	v_mul_f32_e32 v155, v6, v155
	v_fmac_f32_e32 v185, v12, v152
	v_fma_f32 v152, v11, v152, -v156
	s_waitcnt vmcnt(33)
	v_mul_f32_e32 v156, v7, v153
	v_mul_f32_e32 v153, v8, v153
	v_fmac_f32_e32 v154, v6, v151
	v_fma_f32 v151, v5, v151, -v155
	s_waitcnt vmcnt(32) lgkmcnt(1)
	v_mul_f32_e32 v155, v1, v158
	v_mul_f32_e32 v5, v2, v158
	ds_read2_b64 v[9:12], v134 offset0:91 offset1:92
	s_waitcnt vmcnt(28)
	v_fmac_f32_e32 v156, v8, v171
	v_fma_f32 v153, v7, v171, -v153
	s_clause 0x3
	buffer_load_dword v158, off, s[0:3], 0 offset:360
	buffer_load_dword v171, off, s[0:3], 0 offset:352
	buffer_load_dword v186, off, s[0:3], 0 offset:344
	buffer_load_dword v187, off, s[0:3], 0 offset:336
	s_waitcnt vmcnt(31)
	v_mul_f32_e32 v188, v3, v169
	v_mul_f32_e32 v6, v4, v169
	v_fmac_f32_e32 v155, v2, v167
	v_fma_f32 v167, v1, v167, -v5
	s_waitcnt vmcnt(30) lgkmcnt(1)
	v_mul_f32_e32 v169, v135, v163
	s_waitcnt vmcnt(29)
	v_mul_f32_e32 v200, v137, v164
	v_mul_f32_e32 v1, v136, v163
	v_mul_f32_e32 v2, v138, v164
	s_clause 0x2
	buffer_load_dword v163, off, s[0:3], 0 offset:348
	buffer_load_dword v164, off, s[0:3], 0 offset:356
	;; [unrolled: 1-line block ×3, first 2 shown]
	v_fmac_f32_e32 v188, v4, v161
	v_fma_f32 v161, v3, v161, -v6
	v_fmac_f32_e32 v169, v136, v160
	v_fma_f32 v135, v135, v160, -v1
	s_waitcnt vmcnt(28)
	v_fma_f32 v136, v137, v182, -v2
	ds_read2_b64 v[1:4], v134 offset0:93 offset1:94
	v_add_f32_e32 v5, 0, v195
	s_waitcnt vmcnt(27) lgkmcnt(1)
	v_mul_f32_e32 v6, v10, v179
	v_add_f32_e32 v8, 0, v142
	v_fmac_f32_e32 v200, v138, v182
	v_mul_f32_e32 v137, v9, v179
	v_add_f32_e32 v5, v5, v196
	v_fma_f32 v142, v9, v176, -v6
	v_add_f32_e32 v6, v8, v141
	s_waitcnt vmcnt(26)
	v_mul_f32_e32 v138, v11, v180
	v_mul_f32_e32 v7, v12, v180
	v_add_f32_e32 v5, v5, v197
	v_fmac_f32_e32 v137, v10, v176
	v_add_f32_e32 v6, v6, v139
	v_fmac_f32_e32 v138, v12, v175
	v_fma_f32 v160, v11, v175, -v7
	v_add_f32_e32 v5, v5, v198
	s_clause 0x7
	buffer_load_dword v175, off, s[0:3], 0 offset:372
	buffer_load_dword v176, off, s[0:3], 0 offset:380
	;; [unrolled: 1-line block ×8, first 2 shown]
	v_add_f32_e32 v6, v6, v140
	s_clause 0x1
	buffer_load_dword v198, off, s[0:3], 0 offset:404
	buffer_load_dword v202, off, s[0:3], 0 offset:412
	s_waitcnt vmcnt(35) lgkmcnt(0)
	v_mul_f32_e32 v139, v1, v172
	v_mul_f32_e32 v7, v2, v172
	v_add_f32_e32 v5, v5, v199
	s_waitcnt vmcnt(34)
	v_mul_f32_e32 v141, v3, v168
	s_clause 0x1
	buffer_load_dword v172, off, s[0:3], 0 offset:420
	buffer_load_dword v199, off, s[0:3], 0 offset:428
	v_fmac_f32_e32 v139, v2, v170
	v_fma_f32 v140, v1, v170, -v7
	v_add_f32_e32 v1, v6, v146
	v_add_f32_e32 v2, v5, v149
	s_clause 0x3
	buffer_load_dword v170, off, s[0:3], 0 offset:436
	buffer_load_dword v203, off, s[0:3], 0 offset:444
	;; [unrolled: 1-line block ×4, first 2 shown]
	s_waitcnt vmcnt(36)
	v_fmac_f32_e32 v141, v4, v181
	buffer_load_dword v206, off, s[0:3], 0 offset:468
	v_add_f32_e32 v1, v1, v144
	v_add_f32_e32 v5, v2, v148
	v_mul_f32_e32 v2, v4, v168
	buffer_load_dword v168, off, s[0:3], 0 offset:476
	v_add_f32_e32 v6, v1, v143
	v_add_f32_e32 v5, v5, v147
	v_fma_f32 v143, v3, v181, -v2
	ds_read2_b64 v[1:4], v134 offset0:95 offset1:96
	v_add_f32_e32 v6, v6, v157
	v_add_f32_e32 v5, v5, v145
	s_clause 0x3
	buffer_load_dword v157, off, s[0:3], 0 offset:424
	buffer_load_dword v181, off, s[0:3], 0 offset:416
	;; [unrolled: 1-line block ×4, first 2 shown]
	v_add_f32_e32 v6, v6, v150
	v_add_f32_e32 v5, v5, v185
	;; [unrolled: 1-line block ×4, first 2 shown]
	ds_read2_b64 v[5:8], v134 offset0:97 offset1:98
	v_add_f32_e32 v9, v9, v151
	v_add_f32_e32 v10, v10, v156
	s_waitcnt vmcnt(41) lgkmcnt(1)
	v_mul_f32_e32 v144, v1, v174
	v_mul_f32_e32 v11, v2, v174
	s_waitcnt vmcnt(40)
	v_mul_f32_e32 v146, v3, v183
	v_fmac_f32_e32 v144, v2, v173
	v_fma_f32 v145, v1, v173, -v11
	v_add_f32_e32 v1, v9, v153
	v_add_f32_e32 v2, v10, v155
	s_clause 0x3
	buffer_load_dword v153, off, s[0:3], 0 offset:456
	buffer_load_dword v154, off, s[0:3], 0 offset:448
	buffer_load_dword v155, off, s[0:3], 0 offset:440
	buffer_load_dword v156, off, s[0:3], 0 offset:432
	v_mul_f32_e32 v9, v4, v183
	v_fmac_f32_e32 v146, v4, v166
	v_add_f32_e32 v1, v1, v167
	s_clause 0x1
	buffer_load_dword v167, off, s[0:3], 0 offset:472
	buffer_load_dword v173, off, s[0:3], 0 offset:464
	v_add_f32_e32 v2, v2, v188
	s_waitcnt vmcnt(45) lgkmcnt(0)
	v_mul_f32_e32 v148, v5, v178
	s_waitcnt vmcnt(44)
	v_mul_f32_e32 v149, v7, v177
	v_add_f32_e32 v1, v1, v161
	buffer_load_dword v161, off, s[0:3], 0 offset:112
	v_add_f32_e32 v2, v2, v169
	v_fma_f32 v147, v3, v166, -v9
	v_fmac_f32_e32 v148, v6, v159
	v_add_f32_e32 v10, v1, v135
	s_waitcnt vmcnt(38)
	v_fmac_f32_e32 v149, v8, v193
	v_add_f32_e32 v135, v2, v200
	ds_read2_b64 v[1:4], v134 offset0:99 offset1:100
	v_add_f32_e32 v136, v10, v136
	ds_read2_b64 v[9:12], v134 offset0:101 offset1:102
	v_add_f32_e32 v135, v135, v137
	v_mul_f32_e32 v137, v6, v178
	v_add_f32_e32 v136, v136, v142
	v_mul_f32_e32 v142, v8, v177
	v_add_f32_e32 v151, v135, v138
	v_fma_f32 v150, v5, v159, -v137
	v_fma_f32 v152, v7, v193, -v142
	v_add_f32_e32 v142, v136, v160
	v_add_f32_e32 v139, v151, v139
	ds_read2_b64 v[5:8], v134 offset0:103 offset1:104
	ds_read2_b64 v[135:138], v134 offset0:105 offset1:106
	v_add_f32_e32 v140, v142, v140
	v_add_f32_e32 v139, v139, v141
	s_waitcnt lgkmcnt(3)
	v_mul_f32_e32 v159, v2, v165
	v_mul_f32_e32 v151, v1, v165
	;; [unrolled: 1-line block ×3, first 2 shown]
	v_add_f32_e32 v140, v140, v143
	v_add_f32_e32 v144, v139, v144
	v_fma_f32 v159, v1, v192, -v159
	v_mul_f32_e32 v160, v3, v162
	v_fmac_f32_e32 v151, v2, v192
	v_add_f32_e32 v145, v140, v145
	v_add_f32_e32 v177, v144, v146
	s_waitcnt lgkmcnt(2)
	v_mul_f32_e32 v143, v10, v190
	v_fma_f32 v166, v3, v191, -v142
	v_mul_f32_e32 v162, v9, v190
	v_add_f32_e32 v147, v145, v147
	v_add_f32_e32 v148, v177, v148
	v_fmac_f32_e32 v160, v4, v191
	s_waitcnt vmcnt(37)
	v_mul_f32_e32 v169, v12, v194
	v_fma_f32 v174, v9, v189, -v143
	v_add_f32_e32 v147, v147, v150
	v_mul_f32_e32 v165, v11, v194
	v_fmac_f32_e32 v162, v10, v189
	ds_read2_b64 v[1:4], v134 offset0:107 offset1:108
	ds_read2_b64 v[139:142], v134 offset0:109 offset1:110
	v_add_f32_e32 v147, v147, v152
	v_add_f32_e32 v159, v147, v159
	;; [unrolled: 1-line block ×4, first 2 shown]
	s_waitcnt vmcnt(32)
	v_fma_f32 v169, v11, v187, -v169
	v_fmac_f32_e32 v165, v12, v187
	ds_read2_b64 v[9:12], v134 offset0:111 offset1:112
	ds_read2_b64 v[143:146], v134 offset0:113 offset1:114
	v_add_f32_e32 v159, v159, v169
	s_waitcnt vmcnt(31) lgkmcnt(5)
	v_mul_f32_e32 v177, v5, v163
	s_waitcnt vmcnt(30)
	v_mul_f32_e32 v178, v7, v164
	v_mul_f32_e32 v150, v6, v163
	;; [unrolled: 1-line block ×3, first 2 shown]
	s_waitcnt vmcnt(29) lgkmcnt(4)
	v_mul_f32_e32 v183, v136, v201
	v_fmac_f32_e32 v177, v6, v186
	v_add_f32_e32 v6, v148, v149
	v_fmac_f32_e32 v178, v8, v171
	v_fma_f32 v163, v7, v171, -v163
	v_fma_f32 v164, v5, v186, -v150
	v_add_f32_e32 v171, v6, v151
	ds_read2_b64 v[5:8], v134 offset0:115 offset1:116
	ds_read2_b64 v[147:150], v134 offset0:117 offset1:118
	ds_read_b64 v[151:152], v134 offset:952
	v_add_f32_e32 v159, v159, v164
	v_add_f32_e32 v160, v171, v160
	v_mul_f32_e32 v171, v135, v201
	v_fma_f32 v135, v135, v158, -v183
	s_waitcnt vmcnt(28)
	v_mul_f32_e32 v166, v137, v175
	v_mul_f32_e32 v175, v138, v175
	v_add_f32_e32 v160, v160, v162
	v_fmac_f32_e32 v171, v136, v158
	v_add_f32_e32 v159, v159, v163
	s_waitcnt vmcnt(27) lgkmcnt(6)
	v_mul_f32_e32 v162, v1, v176
	v_mul_f32_e32 v169, v2, v176
	v_add_f32_e32 v158, v160, v165
	s_waitcnt vmcnt(21)
	v_fma_f32 v137, v137, v197, -v175
	v_add_f32_e32 v135, v159, v135
	v_fmac_f32_e32 v166, v138, v197
	v_mul_f32_e32 v163, v4, v179
	v_add_f32_e32 v158, v158, v177
	v_fmac_f32_e32 v162, v2, v196
	v_fma_f32 v1, v1, v196, -v169
	v_add_f32_e32 v2, v135, v137
	v_mul_f32_e32 v174, v3, v179
	v_add_f32_e32 v158, v158, v178
	s_waitcnt lgkmcnt(5)
	v_mul_f32_e32 v137, v140, v180
	v_fma_f32 v3, v3, v195, -v163
	v_add_f32_e32 v1, v2, v1
	v_mul_f32_e32 v136, v139, v180
	v_add_f32_e32 v158, v158, v171
	v_fmac_f32_e32 v174, v4, v195
	s_waitcnt vmcnt(20)
	v_mul_f32_e32 v4, v142, v198
	v_add_f32_e32 v1, v1, v3
	v_mul_f32_e32 v160, v141, v198
	v_add_f32_e32 v135, v158, v166
	v_fmac_f32_e32 v136, v140, v182
	s_waitcnt vmcnt(19) lgkmcnt(4)
	v_mul_f32_e32 v3, v10, v202
	v_mul_f32_e32 v165, v9, v202
	s_waitcnt vmcnt(18)
	v_mul_f32_e32 v138, v11, v172
	v_add_f32_e32 v2, v135, v162
	v_fma_f32 v135, v139, v182, -v137
	s_waitcnt vmcnt(7)
	v_fma_f32 v4, v141, v208, -v4
	v_fmac_f32_e32 v160, v142, v208
	v_fma_f32 v3, v9, v207, -v3
	v_add_f32_e32 v2, v2, v174
	v_add_f32_e32 v1, v1, v135
	v_mul_f32_e32 v135, v12, v172
	v_fmac_f32_e32 v165, v10, v207
	s_waitcnt lgkmcnt(3)
	v_mul_f32_e32 v175, v143, v199
	v_add_f32_e32 v2, v2, v136
	v_add_f32_e32 v1, v1, v4
	v_mul_f32_e32 v4, v144, v199
	v_fma_f32 v9, v11, v181, -v135
	v_fmac_f32_e32 v138, v12, v181
	v_add_f32_e32 v2, v2, v160
	v_add_f32_e32 v1, v1, v3
	v_mul_f32_e32 v3, v146, v170
	v_fma_f32 v4, v143, v157, -v4
	v_mul_f32_e32 v164, v145, v170
	v_add_f32_e32 v2, v2, v165
	v_add_f32_e32 v1, v1, v9
	v_fmac_f32_e32 v175, v144, v157
	s_waitcnt lgkmcnt(2)
	v_mul_f32_e32 v9, v6, v203
	v_mul_f32_e32 v176, v5, v203
	v_add_f32_e32 v2, v2, v138
	s_waitcnt vmcnt(3)
	v_fma_f32 v3, v145, v156, -v3
	v_add_f32_e32 v1, v1, v4
	v_fmac_f32_e32 v164, v146, v156
	v_mul_f32_e32 v4, v8, v204
	v_add_f32_e32 v2, v2, v175
	v_fma_f32 v5, v5, v155, -v9
	v_add_f32_e32 v1, v1, v3
	v_mul_f32_e32 v177, v7, v204
	v_fmac_f32_e32 v176, v6, v155
	v_add_f32_e32 v2, v2, v164
	s_waitcnt lgkmcnt(1)
	v_mul_f32_e32 v3, v148, v205
	v_fma_f32 v4, v7, v154, -v4
	v_add_f32_e32 v1, v1, v5
	v_mul_f32_e32 v178, v147, v205
	v_fmac_f32_e32 v177, v8, v154
	v_add_f32_e32 v2, v2, v176
	v_mul_f32_e32 v5, v150, v206
	v_fma_f32 v3, v147, v153, -v3
	v_add_f32_e32 v1, v1, v4
	v_mul_f32_e32 v179, v149, v206
	v_fmac_f32_e32 v178, v148, v153
	v_add_f32_e32 v2, v2, v177
	s_waitcnt lgkmcnt(0)
	v_mul_f32_e32 v4, v152, v168
	s_waitcnt vmcnt(1)
	v_fma_f32 v5, v149, v173, -v5
	v_add_f32_e32 v1, v1, v3
	v_mul_f32_e32 v159, v151, v168
	v_fmac_f32_e32 v179, v150, v173
	v_add_f32_e32 v2, v2, v178
	v_fma_f32 v3, v151, v167, -v4
	v_add_f32_e32 v1, v1, v5
	v_fmac_f32_e32 v159, v152, v167
	v_add_f32_e32 v2, v2, v179
	v_add_f32_e32 v1, v1, v3
	;; [unrolled: 1-line block ×3, first 2 shown]
	s_waitcnt vmcnt(0)
	v_sub_f32_e32 v1, v161, v1
	v_sub_f32_e32 v2, v184, v2
	buffer_store_dword v1, off, s[0:3], 0 offset:112
	buffer_store_dword v2, off, s[0:3], 0 offset:116
	v_cmpx_lt_u32_e32 13, v0
	s_cbranch_execz .LBB123_347
; %bb.346:
	s_clause 0x1
	buffer_load_dword v1, off, s[0:3], 0 offset:104
	buffer_load_dword v2, off, s[0:3], 0 offset:108
	buffer_store_dword v134, off, s[0:3], 0 offset:104
	buffer_store_dword v134, off, s[0:3], 0 offset:108
	s_waitcnt vmcnt(0)
	ds_write_b64 v133, v[1:2]
.LBB123_347:
	s_or_b32 exec_lo, exec_lo, s4
	s_waitcnt lgkmcnt(0)
	s_waitcnt_vscnt null, 0x0
	s_barrier
	buffer_gl0_inv
	s_clause 0x2c
	buffer_load_dword v175, off, s[0:3], 0 offset:116
	buffer_load_dword v176, off, s[0:3], 0 offset:124
	;; [unrolled: 1-line block ×45, first 2 shown]
	ds_read_b128 v[5:8], v134 offset:592
	buffer_load_dword v169, off, s[0:3], 0 offset:292
	ds_read_b128 v[1:4], v134 offset:608
	ds_read_b128 v[185:188], v134 offset:624
	s_clause 0x7
	buffer_load_dword v183, off, s[0:3], 0 offset:300
	buffer_load_dword v181, off, s[0:3], 0 offset:308
	;; [unrolled: 1-line block ×8, first 2 shown]
	ds_read_b128 v[189:192], v134 offset:640
	s_mov_b32 s4, exec_lo
	s_waitcnt vmcnt(53) lgkmcnt(3)
	v_mul_f32_e32 v193, v5, v175
	s_waitcnt vmcnt(52)
	v_mul_f32_e32 v194, v7, v176
	v_mul_f32_e32 v195, v6, v175
	;; [unrolled: 1-line block ×3, first 2 shown]
	buffer_load_dword v175, off, s[0:3], 0 offset:108
	s_waitcnt vmcnt(50)
	v_fmac_f32_e32 v193, v6, v137
	v_fmac_f32_e32 v194, v8, v136
	v_fma_f32 v195, v5, v137, -v195
	v_fma_f32 v176, v7, v136, -v176
	ds_read_b128 v[5:8], v134 offset:656
	s_waitcnt vmcnt(49) lgkmcnt(3)
	v_mul_f32_e32 v196, v1, v12
	v_mul_f32_e32 v12, v2, v12
	s_waitcnt vmcnt(48)
	v_mul_f32_e32 v197, v3, v11
	v_mul_f32_e32 v11, v4, v11
	s_waitcnt vmcnt(47) lgkmcnt(2)
	v_mul_f32_e32 v198, v185, v10
	v_fmac_f32_e32 v196, v2, v9
	v_fma_f32 v199, v1, v9, -v12
	s_waitcnt vmcnt(46)
	v_mul_f32_e32 v200, v187, v135
	v_mul_f32_e32 v9, v186, v10
	;; [unrolled: 1-line block ×3, first 2 shown]
	s_waitcnt vmcnt(42)
	v_fmac_f32_e32 v197, v4, v143
	v_fma_f32 v143, v3, v143, -v11
	ds_read_b128 v[1:4], v134 offset:672
	v_fmac_f32_e32 v198, v186, v142
	v_fmac_f32_e32 v200, v188, v140
	v_fma_f32 v142, v185, v142, -v9
	v_fma_f32 v140, v187, v140, -v10
	ds_read_b128 v[9:12], v134 offset:688
	s_waitcnt vmcnt(41) lgkmcnt(3)
	v_mul_f32_e32 v185, v189, v141
	v_mul_f32_e32 v135, v190, v141
	s_waitcnt vmcnt(40)
	v_mul_f32_e32 v141, v191, v139
	v_mul_f32_e32 v136, v192, v139
	s_waitcnt vmcnt(39) lgkmcnt(2)
	v_mul_f32_e32 v139, v5, v144
	v_fmac_f32_e32 v185, v190, v138
	v_fma_f32 v186, v189, v138, -v135
	s_waitcnt vmcnt(34)
	v_fmac_f32_e32 v141, v192, v151
	v_fma_f32 v151, v191, v151, -v136
	ds_read_b128 v[135:138], v134 offset:704
	v_mul_f32_e32 v187, v7, v145
	v_mul_f32_e32 v144, v6, v144
	;; [unrolled: 1-line block ×3, first 2 shown]
	v_fmac_f32_e32 v139, v6, v150
	v_fmac_f32_e32 v187, v8, v148
	v_fma_f32 v144, v5, v150, -v144
	v_fma_f32 v145, v7, v148, -v145
	ds_read_b128 v[5:8], v134 offset:720
	s_waitcnt vmcnt(33) lgkmcnt(3)
	v_mul_f32_e32 v148, v1, v149
	v_mul_f32_e32 v149, v2, v149
	s_waitcnt vmcnt(32)
	v_mul_f32_e32 v150, v3, v147
	v_mul_f32_e32 v147, v4, v147
	s_waitcnt vmcnt(31) lgkmcnt(2)
	v_mul_f32_e32 v188, v9, v152
	v_fmac_f32_e32 v148, v2, v146
	v_fma_f32 v146, v1, v146, -v149
	s_waitcnt vmcnt(30)
	v_mul_f32_e32 v149, v11, v153
	v_mul_f32_e32 v153, v12, v153
	s_waitcnt vmcnt(26)
	v_fmac_f32_e32 v150, v4, v160
	v_fma_f32 v147, v3, v160, -v147
	ds_read_b128 v[1:4], v134 offset:736
	v_mul_f32_e32 v152, v10, v152
	v_fmac_f32_e32 v149, v12, v157
	v_fma_f32 v153, v11, v157, -v153
	s_waitcnt vmcnt(25) lgkmcnt(2)
	v_mul_f32_e32 v157, v135, v155
	v_mul_f32_e32 v155, v136, v155
	v_fmac_f32_e32 v188, v10, v159
	v_fma_f32 v152, v9, v159, -v152
	ds_read_b128 v[9:12], v134 offset:752
	v_fmac_f32_e32 v157, v136, v154
	v_fma_f32 v135, v135, v154, -v155
	s_clause 0x1
	buffer_load_dword v154, off, s[0:3], 0 offset:332
	buffer_load_dword v155, off, s[0:3], 0 offset:340
	s_waitcnt vmcnt(26)
	v_mul_f32_e32 v159, v137, v156
	v_mul_f32_e32 v156, v138, v156
	s_waitcnt vmcnt(25) lgkmcnt(2)
	v_mul_f32_e32 v160, v5, v161
	v_mul_f32_e32 v161, v6, v161
	s_waitcnt vmcnt(21)
	v_fmac_f32_e32 v159, v138, v168
	v_fma_f32 v136, v137, v168, -v156
	s_waitcnt vmcnt(20)
	v_mul_f32_e32 v137, v7, v167
	v_mul_f32_e32 v138, v8, v167
	v_fmac_f32_e32 v160, v6, v166
	v_fma_f32 v156, v5, v166, -v161
	s_clause 0x3
	buffer_load_dword v161, off, s[0:3], 0 offset:352
	buffer_load_dword v166, off, s[0:3], 0 offset:344
	buffer_load_dword v167, off, s[0:3], 0 offset:336
	buffer_load_dword v168, off, s[0:3], 0 offset:328
	v_fmac_f32_e32 v137, v8, v163
	v_fma_f32 v138, v7, v163, -v138
	s_waitcnt vmcnt(23) lgkmcnt(1)
	v_mul_f32_e32 v163, v1, v164
	s_waitcnt vmcnt(22)
	v_mul_f32_e32 v189, v3, v165
	v_mul_f32_e32 v5, v2, v164
	v_mul_f32_e32 v6, v4, v165
	s_clause 0x1
	buffer_load_dword v164, off, s[0:3], 0 offset:348
	buffer_load_dword v165, off, s[0:3], 0 offset:356
	s_waitcnt vmcnt(18) lgkmcnt(0)
	v_mul_f32_e32 v192, v11, v173
	v_fmac_f32_e32 v189, v4, v174
	v_fmac_f32_e32 v163, v2, v162
	v_fma_f32 v174, v3, v174, -v6
	v_mul_f32_e32 v6, v12, v173
	v_fma_f32 v162, v1, v162, -v5
	v_mul_f32_e32 v191, v9, v172
	v_mul_f32_e32 v5, v10, v172
	v_fmac_f32_e32 v192, v12, v170
	v_fma_f32 v170, v11, v170, -v6
	v_add_f32_e32 v6, 0, v195
	v_fmac_f32_e32 v191, v10, v171
	v_fma_f32 v171, v9, v171, -v5
	v_add_f32_e32 v5, 0, v193
	buffer_load_dword v190, off, s[0:3], 0 offset:364
	v_add_f32_e32 v6, v6, v176
	ds_read_b128 v[1:4], v134 offset:768
	s_clause 0x3
	buffer_load_dword v172, off, s[0:3], 0 offset:384
	buffer_load_dword v173, off, s[0:3], 0 offset:376
	buffer_load_dword v193, off, s[0:3], 0 offset:368
	buffer_load_dword v201, off, s[0:3], 0 offset:360
	v_add_f32_e32 v5, v5, v194
	s_clause 0x2
	buffer_load_dword v194, off, s[0:3], 0 offset:372
	buffer_load_dword v176, off, s[0:3], 0 offset:380
	;; [unrolled: 1-line block ×3, first 2 shown]
	v_add_f32_e32 v6, v6, v199
	v_add_f32_e32 v5, v5, v196
	v_add_f32_e32 v6, v6, v143
	v_add_f32_e32 v5, v5, v197
	s_clause 0x2
	buffer_load_dword v196, off, s[0:3], 0 offset:396
	buffer_load_dword v197, off, s[0:3], 0 offset:404
	;; [unrolled: 1-line block ×3, first 2 shown]
	v_add_f32_e32 v6, v6, v142
	v_add_f32_e32 v5, v5, v198
	s_clause 0x2
	buffer_load_dword v198, off, s[0:3], 0 offset:420
	buffer_load_dword v202, off, s[0:3], 0 offset:428
	;; [unrolled: 1-line block ×3, first 2 shown]
	s_waitcnt vmcnt(31) lgkmcnt(0)
	v_mul_f32_e32 v143, v1, v169
	v_add_f32_e32 v6, v6, v140
	v_add_f32_e32 v5, v5, v200
	s_clause 0x2
	buffer_load_dword v200, off, s[0:3], 0 offset:444
	buffer_load_dword v204, off, s[0:3], 0 offset:452
	;; [unrolled: 1-line block ×3, first 2 shown]
	v_mul_f32_e32 v7, v2, v169
	v_add_f32_e32 v6, v6, v186
	v_add_f32_e32 v5, v5, v185
	s_clause 0x1
	buffer_load_dword v185, off, s[0:3], 0 offset:468
	buffer_load_dword v186, off, s[0:3], 0 offset:476
	v_fmac_f32_e32 v143, v2, v158
	v_add_f32_e32 v6, v6, v151
	s_clause 0x3
	buffer_load_dword v151, off, s[0:3], 0 offset:416
	buffer_load_dword v206, off, s[0:3], 0 offset:408
	;; [unrolled: 1-line block ×4, first 2 shown]
	v_add_f32_e32 v5, v5, v141
	v_add_f32_e32 v6, v6, v144
	v_fma_f32 v144, v1, v158, -v7
	v_add_f32_e32 v5, v5, v139
	v_add_f32_e32 v6, v6, v145
	;; [unrolled: 1-line block ×3, first 2 shown]
	s_clause 0x3
	buffer_load_dword v187, off, s[0:3], 0 offset:448
	buffer_load_dword v209, off, s[0:3], 0 offset:440
	;; [unrolled: 1-line block ×4, first 2 shown]
	v_add_f32_e32 v6, v6, v146
	v_add_f32_e32 v5, v5, v148
	v_add_f32_e32 v6, v6, v147
	s_waitcnt vmcnt(43)
	v_mul_f32_e32 v147, v3, v183
	v_add_f32_e32 v5, v5, v150
	v_add_f32_e32 v6, v6, v152
	s_waitcnt vmcnt(36)
	v_fmac_f32_e32 v147, v4, v184
	v_add_f32_e32 v5, v5, v188
	s_clause 0x3
	buffer_load_dword v188, off, s[0:3], 0 offset:472
	buffer_load_dword v212, off, s[0:3], 0 offset:464
	;; [unrolled: 1-line block ×4, first 2 shown]
	v_add_f32_e32 v6, v6, v153
	v_add_f32_e32 v5, v5, v149
	;; [unrolled: 1-line block ×4, first 2 shown]
	ds_read_b128 v[5:8], v134 offset:784
	v_add_f32_e32 v9, v1, v136
	v_mul_f32_e32 v1, v4, v183
	v_add_f32_e32 v10, v2, v159
	v_add_f32_e32 v135, v9, v156
	v_fma_f32 v148, v3, v184, -v1
	ds_read_b128 v[1:4], v134 offset:800
	v_add_f32_e32 v136, v10, v160
	ds_read_b128 v[9:12], v134 offset:816
	v_add_f32_e32 v135, v135, v138
	v_add_f32_e32 v136, v136, v137
	v_add_f32_e32 v139, v135, v162
	s_waitcnt lgkmcnt(2)
	v_mul_f32_e32 v138, v6, v181
	v_mul_f32_e32 v149, v5, v181
	v_mul_f32_e32 v153, v7, v180
	v_fma_f32 v150, v5, v182, -v138
	v_add_f32_e32 v5, v136, v163
	v_fmac_f32_e32 v149, v6, v182
	v_add_f32_e32 v6, v139, v174
	ds_read_b128 v[135:138], v134 offset:832
	s_waitcnt lgkmcnt(2)
	v_mul_f32_e32 v140, v2, v179
	v_add_f32_e32 v5, v5, v189
	v_mul_f32_e32 v156, v1, v179
	v_add_f32_e32 v6, v6, v171
	v_mul_f32_e32 v139, v8, v180
	v_fma_f32 v159, v1, v177, -v140
	v_add_f32_e32 v5, v5, v191
	v_fmac_f32_e32 v156, v2, v177
	v_add_f32_e32 v1, v6, v170
	v_fma_f32 v158, v7, v178, -v139
	v_fmac_f32_e32 v153, v8, v178
	v_add_f32_e32 v2, v5, v192
	ds_read_b128 v[5:8], v134 offset:848
	ds_read_b128 v[139:142], v134 offset:864
	s_waitcnt vmcnt(38)
	v_mul_f32_e32 v157, v3, v154
	v_mul_f32_e32 v145, v4, v154
	s_waitcnt vmcnt(37) lgkmcnt(3)
	v_mul_f32_e32 v154, v9, v155
	v_mul_f32_e32 v146, v10, v155
	s_waitcnt vmcnt(34)
	v_fmac_f32_e32 v154, v10, v167
	v_add_f32_e32 v10, v1, v144
	v_fma_f32 v160, v9, v167, -v146
	v_add_f32_e32 v9, v2, v143
	s_waitcnt vmcnt(33)
	v_fma_f32 v155, v3, v168, -v145
	v_fmac_f32_e32 v157, v4, v168
	v_add_f32_e32 v10, v10, v148
	s_waitcnt vmcnt(32)
	v_mul_f32_e32 v162, v11, v164
	v_add_f32_e32 v9, v9, v147
	s_waitcnt vmcnt(31) lgkmcnt(2)
	v_mul_f32_e32 v163, v135, v165
	v_mul_f32_e32 v147, v136, v165
	v_add_f32_e32 v10, v10, v150
	v_mul_f32_e32 v148, v12, v164
	v_fmac_f32_e32 v162, v12, v166
	v_fmac_f32_e32 v163, v136, v161
	v_fma_f32 v161, v135, v161, -v147
	v_add_f32_e32 v135, v9, v149
	v_add_f32_e32 v158, v10, v158
	v_fma_f32 v166, v11, v166, -v148
	ds_read_b128 v[1:4], v134 offset:880
	ds_read_b128 v[143:146], v134 offset:896
	ds_read_b128 v[9:12], v134 offset:912
	ds_read_b128 v[147:150], v134 offset:928
	v_add_f32_e32 v153, v135, v153
	v_add_f32_e32 v158, v158, v159
	s_waitcnt vmcnt(30)
	v_mul_f32_e32 v164, v137, v190
	v_mul_f32_e32 v165, v138, v190
	v_add_f32_e32 v153, v153, v156
	v_add_f32_e32 v155, v158, v155
	s_waitcnt vmcnt(26)
	v_fmac_f32_e32 v164, v138, v201
	v_fma_f32 v138, v137, v201, -v165
	s_waitcnt vmcnt(25) lgkmcnt(5)
	v_mul_f32_e32 v159, v6, v194
	v_add_f32_e32 v153, v153, v157
	v_add_f32_e32 v155, v155, v160
	v_mul_f32_e32 v165, v5, v194
	s_waitcnt vmcnt(24)
	v_mul_f32_e32 v167, v8, v176
	v_fma_f32 v5, v5, v193, -v159
	v_add_f32_e32 v153, v153, v154
	v_add_f32_e32 v155, v155, v166
	v_mul_f32_e32 v156, v7, v176
	v_fmac_f32_e32 v165, v6, v193
	v_fma_f32 v7, v7, v173, -v167
	v_add_f32_e32 v153, v153, v162
	v_add_f32_e32 v155, v155, v161
	s_waitcnt vmcnt(23) lgkmcnt(4)
	v_mul_f32_e32 v158, v139, v195
	v_fmac_f32_e32 v156, v8, v173
	s_waitcnt vmcnt(22)
	v_mul_f32_e32 v157, v141, v196
	v_add_f32_e32 v153, v153, v163
	v_add_f32_e32 v138, v155, v138
	v_mul_f32_e32 v155, v140, v195
	v_fmac_f32_e32 v158, v140, v172
	s_waitcnt vmcnt(21) lgkmcnt(3)
	v_mul_f32_e32 v168, v1, v197
	v_add_f32_e32 v153, v153, v164
	v_add_f32_e32 v5, v138, v5
	v_mul_f32_e32 v138, v142, v196
	v_fma_f32 v139, v139, v172, -v155
	s_waitcnt vmcnt(20)
	v_mul_f32_e32 v160, v3, v199
	v_add_f32_e32 v8, v153, v165
	v_add_f32_e32 v5, v5, v7
	s_waitcnt vmcnt(8)
	v_fma_f32 v138, v141, v208, -v138
	v_fmac_f32_e32 v157, v142, v208
	v_fmac_f32_e32 v168, v2, v207
	v_add_f32_e32 v7, v8, v156
	v_mul_f32_e32 v8, v2, v197
	v_add_f32_e32 v5, v5, v139
	v_mul_f32_e32 v139, v4, v199
	s_waitcnt lgkmcnt(2)
	v_mul_f32_e32 v154, v143, v198
	v_add_f32_e32 v7, v7, v158
	v_fma_f32 v1, v1, v207, -v8
	v_add_f32_e32 v2, v5, v138
	v_fma_f32 v3, v3, v206, -v139
	v_fmac_f32_e32 v160, v4, v206
	v_add_f32_e32 v5, v7, v157
	v_mul_f32_e32 v7, v144, v198
	v_add_f32_e32 v1, v2, v1
	v_mul_f32_e32 v4, v146, v202
	v_mul_f32_e32 v169, v145, v202
	v_add_f32_e32 v2, v5, v168
	v_fma_f32 v5, v143, v151, -v7
	v_add_f32_e32 v1, v1, v3
	v_fmac_f32_e32 v154, v144, v151
	ds_read_b128 v[134:137], v134 offset:944
	v_add_f32_e32 v2, v2, v160
	s_waitcnt lgkmcnt(2)
	v_mul_f32_e32 v3, v10, v203
	s_waitcnt vmcnt(4)
	v_fma_f32 v4, v145, v211, -v4
	v_add_f32_e32 v1, v1, v5
	v_mul_f32_e32 v166, v9, v203
	v_fmac_f32_e32 v169, v146, v211
	v_add_f32_e32 v2, v2, v154
	v_mul_f32_e32 v5, v12, v200
	v_fma_f32 v3, v9, v210, -v3
	v_add_f32_e32 v1, v1, v4
	v_mul_f32_e32 v162, v11, v200
	v_fmac_f32_e32 v166, v10, v210
	v_add_f32_e32 v2, v2, v169
	s_waitcnt lgkmcnt(1)
	v_mul_f32_e32 v4, v148, v204
	v_fma_f32 v5, v11, v209, -v5
	v_add_f32_e32 v1, v1, v3
	v_mul_f32_e32 v170, v147, v204
	v_fmac_f32_e32 v162, v12, v209
	v_add_f32_e32 v2, v2, v166
	v_mul_f32_e32 v3, v150, v205
	v_fma_f32 v4, v147, v187, -v4
	v_add_f32_e32 v1, v1, v5
	v_mul_f32_e32 v161, v149, v205
	v_fmac_f32_e32 v170, v148, v187
	v_add_f32_e32 v2, v2, v162
	s_waitcnt lgkmcnt(0)
	v_mul_f32_e32 v5, v135, v185
	s_waitcnt vmcnt(1)
	v_fma_f32 v3, v149, v213, -v3
	v_add_f32_e32 v1, v1, v4
	v_mul_f32_e32 v163, v134, v185
	v_fmac_f32_e32 v161, v150, v213
	v_add_f32_e32 v2, v2, v170
	v_mul_f32_e32 v4, v137, v186
	v_fma_f32 v5, v134, v212, -v5
	v_add_f32_e32 v1, v1, v3
	v_mul_f32_e32 v6, v136, v186
	v_fmac_f32_e32 v163, v135, v212
	v_add_f32_e32 v2, v2, v161
	v_fma_f32 v3, v136, v188, -v4
	v_add_f32_e32 v1, v1, v5
	v_fmac_f32_e32 v6, v137, v188
	v_add_f32_e32 v2, v2, v163
	v_add_f32_e32 v1, v1, v3
	;; [unrolled: 1-line block ×3, first 2 shown]
	s_waitcnt vmcnt(0)
	v_sub_f32_e32 v1, v152, v1
	v_sub_f32_e32 v2, v175, v2
	buffer_store_dword v1, off, s[0:3], 0 offset:104
	buffer_store_dword v2, off, s[0:3], 0 offset:108
	v_cmpx_lt_u32_e32 12, v0
	s_cbranch_execz .LBB123_349
; %bb.348:
	s_clause 0x1
	buffer_load_dword v1, off, s[0:3], 0 offset:96
	buffer_load_dword v2, off, s[0:3], 0 offset:100
	v_mov_b32_e32 v3, 0
	buffer_store_dword v3, off, s[0:3], 0 offset:96
	buffer_store_dword v3, off, s[0:3], 0 offset:100
	s_waitcnt vmcnt(0)
	ds_write_b64 v133, v[1:2]
.LBB123_349:
	s_or_b32 exec_lo, exec_lo, s4
	s_waitcnt lgkmcnt(0)
	s_waitcnt_vscnt null, 0x0
	s_barrier
	buffer_gl0_inv
	s_clause 0x2c
	buffer_load_dword v11, off, s[0:3], 0 offset:108
	buffer_load_dword v12, off, s[0:3], 0 offset:116
	;; [unrolled: 1-line block ×45, first 2 shown]
	v_mov_b32_e32 v9, 0
	ds_read2_b64 v[5:8], v9 offset0:73 offset1:74
	ds_read2_b64 v[1:4], v9 offset0:75 offset1:76
	s_clause 0x9
	buffer_load_dword v182, off, s[0:3], 0 offset:284
	buffer_load_dword v179, off, s[0:3], 0 offset:292
	;; [unrolled: 1-line block ×10, first 2 shown]
	ds_read2_b64 v[186:189], v9 offset0:77 offset1:78
	ds_read2_b64 v[190:193], v9 offset0:79 offset1:80
	s_mov_b32 s4, exec_lo
	s_waitcnt vmcnt(54) lgkmcnt(3)
	v_mul_f32_e32 v194, v5, v11
	v_mul_f32_e32 v11, v6, v11
	s_waitcnt vmcnt(53)
	v_mul_f32_e32 v195, v7, v12
	v_mul_f32_e32 v12, v8, v12
	s_waitcnt vmcnt(52) lgkmcnt(2)
	v_mul_f32_e32 v196, v1, v134
	s_waitcnt vmcnt(49)
	v_fmac_f32_e32 v194, v6, v137
	v_fma_f32 v11, v5, v137, -v11
	s_waitcnt vmcnt(48)
	v_mul_f32_e32 v197, v3, v136
	v_mul_f32_e32 v5, v2, v134
	;; [unrolled: 1-line block ×3, first 2 shown]
	v_fmac_f32_e32 v195, v8, v135
	s_waitcnt vmcnt(43) lgkmcnt(1)
	v_mul_f32_e32 v198, v186, v144
	v_mul_f32_e32 v134, v187, v144
	v_fma_f32 v12, v7, v135, -v12
	v_fmac_f32_e32 v196, v2, v10
	v_fmac_f32_e32 v197, v4, v145
	v_fma_f32 v10, v1, v10, -v5
	v_fma_f32 v145, v3, v145, -v6
	ds_read2_b64 v[1:4], v9 offset0:81 offset1:82
	ds_read2_b64 v[5:8], v9 offset0:83 offset1:84
	s_waitcnt vmcnt(42)
	v_mul_f32_e32 v144, v188, v143
	v_mul_f32_e32 v135, v189, v143
	s_waitcnt vmcnt(41) lgkmcnt(2)
	v_mul_f32_e32 v143, v190, v141
	v_fmac_f32_e32 v198, v187, v140
	v_fma_f32 v186, v186, v140, -v134
	s_waitcnt vmcnt(40)
	v_mul_f32_e32 v187, v192, v142
	v_mul_f32_e32 v134, v191, v141
	;; [unrolled: 1-line block ×3, first 2 shown]
	v_fmac_f32_e32 v144, v189, v139
	v_fma_f32 v142, v188, v139, -v135
	v_fmac_f32_e32 v143, v191, v138
	s_waitcnt vmcnt(36)
	v_fmac_f32_e32 v187, v193, v153
	v_fma_f32 v188, v190, v138, -v134
	v_fma_f32 v153, v192, v153, -v136
	ds_read2_b64 v[134:137], v9 offset0:85 offset1:86
	ds_read2_b64 v[138:141], v9 offset0:87 offset1:88
	s_waitcnt vmcnt(35) lgkmcnt(3)
	v_mul_f32_e32 v189, v1, v151
	s_waitcnt vmcnt(34)
	v_mul_f32_e32 v190, v3, v152
	v_mul_f32_e32 v151, v2, v151
	;; [unrolled: 1-line block ×3, first 2 shown]
	s_waitcnt vmcnt(33) lgkmcnt(2)
	v_mul_f32_e32 v191, v5, v150
	v_mul_f32_e32 v150, v6, v150
	v_fmac_f32_e32 v189, v2, v148
	v_fmac_f32_e32 v190, v4, v147
	v_fma_f32 v148, v1, v148, -v151
	v_fma_f32 v147, v3, v147, -v152
	s_clause 0x1
	buffer_load_dword v151, off, s[0:3], 0 offset:324
	buffer_load_dword v152, off, s[0:3], 0 offset:332
	s_waitcnt vmcnt(34)
	v_mul_f32_e32 v192, v7, v149
	v_mul_f32_e32 v149, v8, v149
	v_fmac_f32_e32 v191, v6, v146
	v_fma_f32 v146, v5, v146, -v150
	ds_read2_b64 v[1:4], v9 offset0:89 offset1:90
	s_waitcnt vmcnt(29) lgkmcnt(2)
	v_mul_f32_e32 v150, v134, v161
	v_mul_f32_e32 v5, v135, v161
	s_waitcnt vmcnt(28)
	v_mul_f32_e32 v6, v137, v162
	v_fmac_f32_e32 v192, v8, v164
	v_fma_f32 v149, v7, v164, -v149
	v_fmac_f32_e32 v150, v135, v156
	v_fma_f32 v134, v134, v156, -v5
	v_fma_f32 v135, v136, v155, -v6
	ds_read2_b64 v[5:8], v9 offset0:91 offset1:92
	v_mul_f32_e32 v164, v136, v162
	s_waitcnt vmcnt(27) lgkmcnt(2)
	v_mul_f32_e32 v161, v138, v158
	s_waitcnt vmcnt(26)
	v_mul_f32_e32 v162, v140, v159
	v_mul_f32_e32 v158, v139, v158
	;; [unrolled: 1-line block ×3, first 2 shown]
	v_fmac_f32_e32 v164, v137, v155
	v_fmac_f32_e32 v161, v139, v154
	s_waitcnt vmcnt(22)
	v_fmac_f32_e32 v162, v141, v177
	v_fma_f32 v136, v138, v154, -v158
	v_fma_f32 v137, v140, v177, -v159
	s_clause 0x5
	buffer_load_dword v154, off, s[0:3], 0 offset:340
	buffer_load_dword v155, off, s[0:3], 0 offset:348
	;; [unrolled: 1-line block ×6, first 2 shown]
	s_waitcnt vmcnt(27) lgkmcnt(1)
	v_mul_f32_e32 v138, v1, v172
	s_waitcnt vmcnt(26)
	v_mul_f32_e32 v139, v3, v173
	v_mul_f32_e32 v140, v2, v172
	;; [unrolled: 1-line block ×3, first 2 shown]
	v_add_f32_e32 v173, 0, v194
	v_fmac_f32_e32 v138, v2, v170
	v_fmac_f32_e32 v139, v4, v166
	v_fma_f32 v140, v1, v170, -v140
	v_fma_f32 v141, v3, v166, -v141
	ds_read2_b64 v[1:4], v9 offset0:93 offset1:94
	s_waitcnt vmcnt(25) lgkmcnt(1)
	v_mul_f32_e32 v166, v5, v167
	v_mul_f32_e32 v167, v6, v167
	buffer_load_dword v172, off, s[0:3], 0 offset:356
	s_waitcnt vmcnt(25)
	v_mul_f32_e32 v170, v7, v168
	v_mul_f32_e32 v168, v8, v168
	v_fmac_f32_e32 v166, v6, v165
	v_add_f32_e32 v6, 0, v11
	v_add_f32_e32 v11, v173, v195
	v_fma_f32 v165, v5, v165, -v167
	s_waitcnt vmcnt(21)
	v_fmac_f32_e32 v170, v8, v184
	v_fma_f32 v167, v7, v184, -v168
	v_add_f32_e32 v5, v6, v12
	v_add_f32_e32 v11, v11, v196
	s_clause 0x4
	buffer_load_dword v12, off, s[0:3], 0 offset:376
	buffer_load_dword v168, off, s[0:3], 0 offset:368
	;; [unrolled: 1-line block ×5, first 2 shown]
	v_add_f32_e32 v10, v5, v10
	v_add_f32_e32 v11, v11, v197
	ds_read2_b64 v[5:8], v9 offset0:95 offset1:96
	s_waitcnt vmcnt(25) lgkmcnt(1)
	v_mul_f32_e32 v194, v1, v183
	v_mul_f32_e32 v183, v2, v183
	v_add_f32_e32 v10, v10, v145
	v_add_f32_e32 v11, v11, v198
	s_clause 0x1
	buffer_load_dword v195, off, s[0:3], 0 offset:372
	buffer_load_dword v196, off, s[0:3], 0 offset:380
	v_fmac_f32_e32 v194, v2, v180
	v_fma_f32 v145, v1, v180, -v183
	v_add_f32_e32 v1, v10, v186
	v_add_f32_e32 v2, v11, v144
	buffer_load_dword v197, off, s[0:3], 0 offset:388
	s_waitcnt vmcnt(27)
	v_mul_f32_e32 v180, v3, v178
	v_mul_f32_e32 v10, v4, v178
	v_add_f32_e32 v1, v1, v142
	v_add_f32_e32 v2, v2, v143
	s_clause 0x2
	buffer_load_dword v183, off, s[0:3], 0 offset:396
	buffer_load_dword v186, off, s[0:3], 0 offset:404
	;; [unrolled: 1-line block ×3, first 2 shown]
	v_fmac_f32_e32 v180, v4, v174
	v_fma_f32 v10, v3, v174, -v10
	v_add_f32_e32 v2, v2, v187
	s_clause 0x1
	buffer_load_dword v174, off, s[0:3], 0 offset:420
	buffer_load_dword v198, off, s[0:3], 0 offset:428
	v_add_f32_e32 v1, v1, v188
	s_clause 0x2
	buffer_load_dword v187, off, s[0:3], 0 offset:436
	buffer_load_dword v188, off, s[0:3], 0 offset:444
	;; [unrolled: 1-line block ×3, first 2 shown]
	s_waitcnt vmcnt(34) lgkmcnt(0)
	v_mul_f32_e32 v11, v5, v182
	v_add_f32_e32 v2, v2, v189
	s_clause 0x2
	buffer_load_dword v189, off, s[0:3], 0 offset:460
	buffer_load_dword v200, off, s[0:3], 0 offset:468
	;; [unrolled: 1-line block ×3, first 2 shown]
	v_add_f32_e32 v1, v1, v153
	v_mul_f32_e32 v3, v6, v182
	v_fmac_f32_e32 v11, v6, v157
	v_add_f32_e32 v2, v2, v190
	s_clause 0x3
	buffer_load_dword v190, off, s[0:3], 0 offset:408
	buffer_load_dword v202, off, s[0:3], 0 offset:400
	buffer_load_dword v203, off, s[0:3], 0 offset:392
	buffer_load_dword v204, off, s[0:3], 0 offset:384
	v_add_f32_e32 v1, v1, v148
	v_fma_f32 v142, v5, v157, -v3
	v_add_f32_e32 v2, v2, v191
	v_add_f32_e32 v1, v1, v147
	;; [unrolled: 1-line block ×3, first 2 shown]
	s_clause 0x3
	buffer_load_dword v191, off, s[0:3], 0 offset:440
	buffer_load_dword v192, off, s[0:3], 0 offset:432
	;; [unrolled: 1-line block ×4, first 2 shown]
	v_add_f32_e32 v1, v1, v146
	s_waitcnt vmcnt(44)
	v_mul_f32_e32 v146, v7, v179
	v_add_f32_e32 v2, v2, v150
	v_add_f32_e32 v1, v1, v149
	s_waitcnt vmcnt(37)
	v_fmac_f32_e32 v146, v8, v181
	v_add_f32_e32 v2, v2, v164
	s_clause 0x4
	buffer_load_dword v164, off, s[0:3], 0 offset:472
	buffer_load_dword v207, off, s[0:3], 0 offset:464
	;; [unrolled: 1-line block ×5, first 2 shown]
	v_add_f32_e32 v1, v1, v134
	v_add_f32_e32 v2, v2, v161
	v_add_f32_e32 v1, v1, v135
	v_add_f32_e32 v5, v2, v162
	v_add_f32_e32 v1, v1, v136
	v_add_f32_e32 v134, v5, v138
	v_mul_f32_e32 v5, v8, v179
	v_add_f32_e32 v6, v1, v137
	ds_read2_b64 v[1:4], v9 offset0:97 offset1:98
	v_add_f32_e32 v138, v134, v139
	v_fma_f32 v147, v7, v181, -v5
	v_add_f32_e32 v135, v6, v140
	ds_read2_b64 v[5:8], v9 offset0:99 offset1:100
	v_add_f32_e32 v138, v138, v166
	v_add_f32_e32 v139, v135, v141
	ds_read2_b64 v[134:137], v9 offset0:101 offset1:102
	v_add_f32_e32 v143, v138, v170
	v_add_f32_e32 v139, v139, v165
	s_waitcnt lgkmcnt(2)
	v_mul_f32_e32 v140, v2, v175
	v_mul_f32_e32 v150, v1, v175
	;; [unrolled: 1-line block ×3, first 2 shown]
	v_fma_f32 v153, v1, v176, -v140
	v_add_f32_e32 v1, v139, v167
	v_fmac_f32_e32 v150, v2, v176
	v_add_f32_e32 v2, v143, v194
	s_waitcnt lgkmcnt(1)
	v_mul_f32_e32 v161, v5, v169
	v_mul_f32_e32 v144, v6, v169
	v_add_f32_e32 v1, v1, v145
	ds_read2_b64 v[138:141], v9 offset0:103 offset1:104
	v_add_f32_e32 v2, v2, v180
	v_fmac_f32_e32 v161, v6, v160
	v_fma_f32 v160, v5, v160, -v144
	v_add_f32_e32 v1, v1, v10
	v_mul_f32_e32 v143, v4, v171
	v_add_f32_e32 v5, v2, v11
	v_fmac_f32_e32 v157, v4, v163
	v_add_f32_e32 v6, v1, v142
	v_fma_f32 v10, v3, v163, -v143
	ds_read2_b64 v[1:4], v9 offset0:105 offset1:106
	ds_read2_b64 v[142:145], v9 offset0:107 offset1:108
	s_waitcnt vmcnt(40)
	v_mul_f32_e32 v148, v8, v151
	s_waitcnt vmcnt(39) lgkmcnt(3)
	v_mul_f32_e32 v165, v134, v152
	v_mul_f32_e32 v11, v135, v152
	;; [unrolled: 1-line block ×3, first 2 shown]
	s_waitcnt vmcnt(38)
	v_mul_f32_e32 v166, v136, v154
	s_waitcnt vmcnt(34)
	v_fmac_f32_e32 v165, v135, v159
	v_fma_f32 v159, v134, v159, -v11
	v_add_f32_e32 v11, v6, v147
	v_add_f32_e32 v135, v5, v146
	s_waitcnt vmcnt(33)
	v_fma_f32 v163, v7, v177, -v148
	v_fmac_f32_e32 v162, v8, v177
	v_fmac_f32_e32 v166, v137, v158
	v_add_f32_e32 v11, v11, v153
	v_add_f32_e32 v134, v135, v150
	v_mul_f32_e32 v135, v137, v154
	s_waitcnt lgkmcnt(2)
	v_mul_f32_e32 v154, v138, v155
	v_mul_f32_e32 v150, v139, v155
	v_add_f32_e32 v10, v11, v10
	v_add_f32_e32 v134, v134, v157
	v_fma_f32 v158, v136, v158, -v135
	s_waitcnt vmcnt(32)
	v_mul_f32_e32 v155, v141, v172
	v_fmac_f32_e32 v154, v139, v156
	v_add_f32_e32 v160, v10, v160
	v_add_f32_e32 v161, v134, v161
	v_fma_f32 v156, v138, v156, -v150
	v_mul_f32_e32 v157, v140, v172
	ds_read2_b64 v[5:8], v9 offset0:109 offset1:110
	ds_read2_b64 v[146:149], v9 offset0:111 offset1:112
	v_add_f32_e32 v160, v160, v163
	v_add_f32_e32 v161, v161, v162
	s_waitcnt vmcnt(28)
	v_fma_f32 v155, v140, v184, -v155
	s_waitcnt vmcnt(27) lgkmcnt(3)
	v_mul_f32_e32 v167, v2, v193
	v_fmac_f32_e32 v157, v141, v184
	v_add_f32_e32 v159, v160, v159
	v_add_f32_e32 v161, v161, v165
	v_mul_f32_e32 v162, v1, v193
	v_fma_f32 v1, v1, v173, -v167
	ds_read2_b64 v[134:137], v9 offset0:113 offset1:114
	ds_read2_b64 v[150:153], v9 offset0:115 offset1:116
	v_add_f32_e32 v158, v159, v158
	v_add_f32_e32 v161, v161, v166
	s_waitcnt vmcnt(26)
	v_mul_f32_e32 v169, v4, v195
	v_mul_f32_e32 v163, v3, v195
	v_fmac_f32_e32 v162, v2, v173
	v_add_f32_e32 v156, v158, v156
	v_add_f32_e32 v154, v161, v154
	s_waitcnt vmcnt(25) lgkmcnt(4)
	v_mul_f32_e32 v165, v142, v196
	v_mul_f32_e32 v167, v143, v196
	v_fma_f32 v3, v3, v168, -v169
	v_add_f32_e32 v155, v156, v155
	v_add_f32_e32 v154, v154, v157
	v_fmac_f32_e32 v163, v4, v168
	s_waitcnt vmcnt(24)
	v_mul_f32_e32 v156, v145, v197
	v_fmac_f32_e32 v165, v143, v12
	v_add_f32_e32 v1, v155, v1
	v_add_f32_e32 v154, v154, v162
	v_fma_f32 v12, v142, v12, -v167
	v_mul_f32_e32 v160, v144, v197
	s_waitcnt vmcnt(23) lgkmcnt(3)
	v_mul_f32_e32 v142, v6, v183
	v_add_f32_e32 v1, v1, v3
	v_add_f32_e32 v3, v154, v163
	v_mul_f32_e32 v2, v5, v183
	s_waitcnt vmcnt(22)
	v_mul_f32_e32 v166, v7, v186
	s_waitcnt vmcnt(21) lgkmcnt(2)
	v_mul_f32_e32 v159, v146, v178
	v_add_f32_e32 v1, v1, v12
	v_add_f32_e32 v3, v3, v165
	v_mul_f32_e32 v12, v8, v186
	s_waitcnt vmcnt(9)
	v_fma_f32 v143, v144, v204, -v156
	v_fmac_f32_e32 v160, v145, v204
	v_fma_f32 v5, v5, v203, -v142
	v_fmac_f32_e32 v2, v6, v203
	v_mul_f32_e32 v6, v147, v178
	v_add_f32_e32 v1, v1, v143
	v_add_f32_e32 v3, v3, v160
	v_fma_f32 v7, v7, v202, -v12
	v_fmac_f32_e32 v166, v8, v202
	v_mul_f32_e32 v4, v148, v174
	v_add_f32_e32 v1, v1, v5
	v_add_f32_e32 v2, v3, v2
	v_mul_f32_e32 v3, v149, v174
	v_fma_f32 v5, v146, v190, -v6
	v_fmac_f32_e32 v159, v147, v190
	v_add_f32_e32 v1, v1, v7
	v_add_f32_e32 v2, v2, v166
	s_waitcnt lgkmcnt(1)
	v_mul_f32_e32 v6, v135, v198
	s_waitcnt vmcnt(5)
	v_fma_f32 v3, v148, v206, -v3
	ds_read2_b64 v[138:141], v9 offset0:117 offset1:118
	ds_read_b64 v[10:11], v9 offset:952
	v_add_f32_e32 v1, v1, v5
	v_mul_f32_e32 v168, v134, v198
	v_fmac_f32_e32 v4, v149, v206
	v_add_f32_e32 v2, v2, v159
	v_mul_f32_e32 v5, v137, v187
	v_fma_f32 v6, v134, v205, -v6
	v_add_f32_e32 v1, v1, v3
	v_mul_f32_e32 v158, v136, v187
	v_fmac_f32_e32 v168, v135, v205
	v_add_f32_e32 v2, v2, v4
	s_waitcnt lgkmcnt(2)
	v_mul_f32_e32 v3, v151, v188
	v_fma_f32 v4, v136, v192, -v5
	v_add_f32_e32 v1, v1, v6
	v_mul_f32_e32 v161, v150, v188
	v_fmac_f32_e32 v158, v137, v192
	v_add_f32_e32 v2, v2, v168
	v_mul_f32_e32 v5, v153, v199
	v_fma_f32 v3, v150, v191, -v3
	v_add_f32_e32 v1, v1, v4
	v_mul_f32_e32 v169, v152, v199
	v_fmac_f32_e32 v161, v151, v191
	v_add_f32_e32 v2, v2, v158
	s_waitcnt lgkmcnt(1)
	v_mul_f32_e32 v4, v139, v189
	s_waitcnt vmcnt(1)
	v_fma_f32 v5, v152, v209, -v5
	v_add_f32_e32 v1, v1, v3
	v_mul_f32_e32 v157, v138, v189
	v_fmac_f32_e32 v169, v153, v209
	v_add_f32_e32 v2, v2, v161
	v_mul_f32_e32 v3, v141, v200
	v_fma_f32 v4, v138, v208, -v4
	v_add_f32_e32 v1, v1, v5
	v_mul_f32_e32 v170, v140, v200
	v_fmac_f32_e32 v157, v139, v208
	v_add_f32_e32 v2, v2, v169
	s_waitcnt lgkmcnt(0)
	v_mul_f32_e32 v5, v11, v201
	v_fma_f32 v3, v140, v207, -v3
	v_add_f32_e32 v1, v1, v4
	v_mul_f32_e32 v155, v10, v201
	v_fmac_f32_e32 v170, v141, v207
	v_add_f32_e32 v2, v2, v157
	v_fma_f32 v4, v10, v164, -v5
	v_add_f32_e32 v1, v1, v3
	v_fmac_f32_e32 v155, v11, v164
	v_add_f32_e32 v2, v2, v170
	v_add_f32_e32 v1, v1, v4
	;; [unrolled: 1-line block ×3, first 2 shown]
	s_waitcnt vmcnt(0)
	v_sub_f32_e32 v1, v210, v1
	v_sub_f32_e32 v2, v185, v2
	buffer_store_dword v1, off, s[0:3], 0 offset:96
	buffer_store_dword v2, off, s[0:3], 0 offset:100
	v_cmpx_lt_u32_e32 11, v0
	s_cbranch_execz .LBB123_351
; %bb.350:
	s_clause 0x1
	buffer_load_dword v1, off, s[0:3], 0 offset:88
	buffer_load_dword v2, off, s[0:3], 0 offset:92
	buffer_store_dword v9, off, s[0:3], 0 offset:88
	buffer_store_dword v9, off, s[0:3], 0 offset:92
	s_waitcnt vmcnt(0)
	ds_write_b64 v133, v[1:2]
.LBB123_351:
	s_or_b32 exec_lo, exec_lo, s4
	s_waitcnt lgkmcnt(0)
	s_waitcnt_vscnt null, 0x0
	s_barrier
	buffer_gl0_inv
	s_clause 0x33
	buffer_load_dword v168, off, s[0:3], 0 offset:100
	buffer_load_dword v169, off, s[0:3], 0 offset:108
	;; [unrolled: 1-line block ×52, first 2 shown]
	ds_read_b128 v[177:180], v9 offset:576
	ds_read_b128 v[181:184], v9 offset:592
	ds_read_b128 v[185:188], v9 offset:608
	s_clause 0x1
	buffer_load_dword v174, off, s[0:3], 0 offset:292
	buffer_load_dword v175, off, s[0:3], 0 offset:300
	ds_read_b128 v[189:192], v9 offset:624
	s_mov_b32 s4, exec_lo
	s_waitcnt vmcnt(53) lgkmcnt(3)
	v_mul_f32_e32 v193, v177, v168
	v_mul_f32_e32 v194, v178, v168
	s_waitcnt vmcnt(52)
	v_mul_f32_e32 v195, v179, v169
	v_mul_f32_e32 v169, v180, v169
	buffer_load_dword v168, off, s[0:3], 0 offset:92
	s_waitcnt vmcnt(50)
	v_fmac_f32_e32 v193, v178, v7
	v_fma_f32 v194, v177, v7, -v194
	v_fmac_f32_e32 v195, v180, v5
	v_fma_f32 v169, v179, v5, -v169
	ds_read_b128 v[177:180], v9 offset:640
	s_waitcnt vmcnt(49) lgkmcnt(3)
	v_mul_f32_e32 v196, v181, v2
	s_waitcnt vmcnt(48)
	v_mul_f32_e32 v197, v183, v3
	v_mul_f32_e32 v2, v182, v2
	v_mul_f32_e32 v3, v184, v3
	s_waitcnt vmcnt(47) lgkmcnt(2)
	v_mul_f32_e32 v198, v185, v6
	v_mul_f32_e32 v5, v186, v6
	v_fmac_f32_e32 v196, v182, v1
	v_fma_f32 v199, v181, v1, -v2
	s_waitcnt vmcnt(46)
	v_mul_f32_e32 v200, v187, v4
	v_mul_f32_e32 v6, v188, v4
	s_waitcnt vmcnt(42)
	v_fma_f32 v201, v183, v135, -v3
	ds_read_b128 v[1:4], v9 offset:656
	v_fmac_f32_e32 v197, v184, v135
	v_fmac_f32_e32 v198, v186, v134
	v_fma_f32 v185, v185, v134, -v5
	v_fmac_f32_e32 v200, v188, v11
	v_fma_f32 v11, v187, v11, -v6
	ds_read_b128 v[181:184], v9 offset:672
	s_waitcnt vmcnt(41) lgkmcnt(3)
	v_mul_f32_e32 v186, v189, v12
	v_mul_f32_e32 v5, v190, v12
	s_waitcnt vmcnt(40)
	v_mul_f32_e32 v12, v191, v10
	v_mul_f32_e32 v6, v192, v10
	s_waitcnt vmcnt(39) lgkmcnt(2)
	v_mul_f32_e32 v10, v177, v136
	v_fmac_f32_e32 v186, v190, v8
	v_fma_f32 v187, v189, v8, -v5
	v_mul_f32_e32 v134, v178, v136
	s_waitcnt vmcnt(38)
	v_mul_f32_e32 v135, v180, v137
	s_waitcnt vmcnt(34)
	v_fmac_f32_e32 v12, v192, v143
	v_fma_f32 v143, v191, v143, -v6
	ds_read_b128 v[5:8], v9 offset:688
	v_mul_f32_e32 v188, v179, v137
	v_fmac_f32_e32 v10, v178, v142
	v_fma_f32 v142, v177, v142, -v134
	v_fma_f32 v177, v179, v140, -v135
	ds_read_b128 v[134:137], v9 offset:704
	v_fmac_f32_e32 v188, v180, v140
	s_waitcnt vmcnt(33) lgkmcnt(3)
	v_mul_f32_e32 v178, v1, v141
	v_mul_f32_e32 v140, v2, v141
	s_waitcnt vmcnt(32)
	v_mul_f32_e32 v179, v3, v139
	v_mul_f32_e32 v139, v4, v139
	s_waitcnt vmcnt(31) lgkmcnt(2)
	v_mul_f32_e32 v180, v181, v144
	v_fmac_f32_e32 v178, v2, v138
	v_fma_f32 v189, v1, v138, -v140
	v_mul_f32_e32 v138, v182, v144
	s_waitcnt vmcnt(30)
	v_mul_f32_e32 v190, v183, v145
	v_mul_f32_e32 v140, v184, v145
	s_waitcnt vmcnt(26)
	v_fmac_f32_e32 v179, v4, v151
	v_fma_f32 v144, v3, v151, -v139
	ds_read_b128 v[1:4], v9 offset:720
	v_fmac_f32_e32 v180, v182, v150
	v_fma_f32 v145, v181, v150, -v138
	s_waitcnt vmcnt(25) lgkmcnt(2)
	v_mul_f32_e32 v150, v5, v149
	v_fmac_f32_e32 v190, v184, v148
	v_fma_f32 v148, v183, v148, -v140
	ds_read_b128 v[138:141], v9 offset:736
	v_mul_f32_e32 v149, v6, v149
	s_waitcnt vmcnt(24)
	v_mul_f32_e32 v151, v7, v147
	v_mul_f32_e32 v147, v8, v147
	s_waitcnt vmcnt(23) lgkmcnt(2)
	v_mul_f32_e32 v181, v134, v152
	v_fmac_f32_e32 v150, v6, v146
	v_mul_f32_e32 v6, v135, v152
	v_fma_f32 v5, v5, v146, -v149
	s_waitcnt vmcnt(22)
	v_mul_f32_e32 v146, v136, v153
	v_mul_f32_e32 v149, v137, v153
	s_waitcnt vmcnt(18)
	v_fmac_f32_e32 v151, v8, v160
	v_fma_f32 v7, v7, v160, -v147
	v_fmac_f32_e32 v181, v135, v159
	v_fma_f32 v6, v134, v159, -v6
	s_clause 0x5
	buffer_load_dword v147, off, s[0:3], 0 offset:316
	buffer_load_dword v152, off, s[0:3], 0 offset:320
	;; [unrolled: 1-line block ×6, first 2 shown]
	v_fma_f32 v134, v136, v155, -v149
	s_waitcnt vmcnt(23) lgkmcnt(1)
	v_mul_f32_e32 v135, v1, v156
	s_waitcnt vmcnt(22)
	v_mul_f32_e32 v149, v3, v157
	v_mul_f32_e32 v8, v2, v156
	;; [unrolled: 1-line block ×3, first 2 shown]
	v_fmac_f32_e32 v146, v137, v155
	v_fmac_f32_e32 v135, v2, v154
	s_waitcnt vmcnt(18)
	v_fmac_f32_e32 v149, v4, v167
	v_fma_f32 v137, v1, v154, -v8
	v_fma_f32 v154, v3, v167, -v136
	s_waitcnt vmcnt(17) lgkmcnt(0)
	v_mul_f32_e32 v167, v138, v165
	v_mul_f32_e32 v8, v139, v165
	s_clause 0x1
	buffer_load_dword v155, off, s[0:3], 0 offset:332
	buffer_load_dword v156, off, s[0:3], 0 offset:340
	ds_read_b128 v[1:4], v9 offset:752
	buffer_load_dword v157, off, s[0:3], 0 offset:348
	s_waitcnt vmcnt(19)
	v_mul_f32_e32 v183, v140, v166
	v_mul_f32_e32 v136, v141, v166
	v_fmac_f32_e32 v167, v139, v164
	v_fma_f32 v138, v138, v164, -v8
	s_clause 0x5
	buffer_load_dword v164, off, s[0:3], 0 offset:368
	buffer_load_dword v165, off, s[0:3], 0 offset:360
	;; [unrolled: 1-line block ×6, first 2 shown]
	v_fmac_f32_e32 v183, v141, v163
	v_fma_f32 v163, v140, v163, -v136
	v_add_f32_e32 v8, 0, v193
	v_add_f32_e32 v136, 0, v194
	;; [unrolled: 1-line block ×4, first 2 shown]
	buffer_load_dword v169, off, s[0:3], 0 offset:372
	s_waitcnt vmcnt(25) lgkmcnt(0)
	v_mul_f32_e32 v139, v2, v162
	v_add_f32_e32 v8, v8, v196
	v_add_f32_e32 v136, v136, v199
	s_waitcnt vmcnt(24)
	v_mul_f32_e32 v140, v4, v161
	s_clause 0x3
	buffer_load_dword v193, off, s[0:3], 0 offset:380
	buffer_load_dword v194, off, s[0:3], 0 offset:388
	;; [unrolled: 1-line block ×4, first 2 shown]
	v_add_f32_e32 v8, v8, v197
	v_add_f32_e32 v136, v136, v201
	v_mul_f32_e32 v197, v1, v162
	v_mul_f32_e32 v162, v3, v161
	v_add_f32_e32 v8, v8, v198
	v_add_f32_e32 v136, v136, v185
	v_fmac_f32_e32 v197, v2, v158
	v_fma_f32 v158, v1, v158, -v139
	s_clause 0x3
	buffer_load_dword v161, off, s[0:3], 0 offset:412
	buffer_load_dword v185, off, s[0:3], 0 offset:420
	;; [unrolled: 1-line block ×4, first 2 shown]
	v_add_f32_e32 v1, v8, v200
	v_add_f32_e32 v2, v136, v11
	s_waitcnt vmcnt(27)
	v_fmac_f32_e32 v162, v4, v176
	v_fma_f32 v11, v3, v176, -v140
	s_clause 0x1
	buffer_load_dword v176, off, s[0:3], 0 offset:444
	buffer_load_dword v200, off, s[0:3], 0 offset:452
	v_add_f32_e32 v1, v1, v186
	v_add_f32_e32 v2, v2, v187
	s_clause 0x6
	buffer_load_dword v186, off, s[0:3], 0 offset:460
	buffer_load_dword v187, off, s[0:3], 0 offset:468
	;; [unrolled: 1-line block ×7, first 2 shown]
	v_add_f32_e32 v1, v1, v12
	v_add_f32_e32 v2, v2, v143
	;; [unrolled: 1-line block ×6, first 2 shown]
	s_clause 0x3
	buffer_load_dword v177, off, s[0:3], 0 offset:432
	buffer_load_dword v188, off, s[0:3], 0 offset:424
	;; [unrolled: 1-line block ×4, first 2 shown]
	v_add_f32_e32 v1, v1, v178
	v_add_f32_e32 v2, v2, v189
	;; [unrolled: 1-line block ×3, first 2 shown]
	s_clause 0x4
	buffer_load_dword v178, off, s[0:3], 0 offset:464
	buffer_load_dword v179, off, s[0:3], 0 offset:456
	buffer_load_dword v189, off, s[0:3], 0 offset:448
	buffer_load_dword v208, off, s[0:3], 0 offset:440
	buffer_load_dword v209, off, s[0:3], 0 offset:88
	v_add_f32_e32 v2, v2, v144
	v_add_f32_e32 v1, v1, v180
	buffer_load_dword v180, off, s[0:3], 0 offset:472
	v_add_f32_e32 v2, v2, v145
	v_add_f32_e32 v1, v1, v190
	;; [unrolled: 1-line block ×5, first 2 shown]
	ds_read_b128 v[1:4], v9 offset:768
	v_add_f32_e32 v5, v5, v7
	v_add_f32_e32 v7, v8, v151
	;; [unrolled: 1-line block ×4, first 2 shown]
	ds_read_b128 v[5:8], v9 offset:784
	v_add_f32_e32 v10, v10, v134
	v_add_f32_e32 v12, v12, v146
	;; [unrolled: 1-line block ×4, first 2 shown]
	s_waitcnt vmcnt(44) lgkmcnt(1)
	v_mul_f32_e32 v150, v3, v175
	v_mul_f32_e32 v136, v4, v175
	;; [unrolled: 1-line block ×3, first 2 shown]
	v_add_f32_e32 v10, v10, v154
	v_add_f32_e32 v12, v12, v149
	v_mul_f32_e32 v134, v2, v174
	v_fmac_f32_e32 v150, v4, v172
	v_fma_f32 v151, v3, v172, -v136
	v_add_f32_e32 v10, v10, v138
	v_add_f32_e32 v12, v12, v167
	s_waitcnt lgkmcnt(0)
	v_mul_f32_e32 v154, v5, v171
	v_mul_f32_e32 v139, v6, v171
	v_fmac_f32_e32 v148, v2, v173
	v_fma_f32 v146, v1, v173, -v134
	ds_read_b128 v[1:4], v9 offset:800
	ds_read_b128 v[134:137], v9 offset:816
	v_add_f32_e32 v10, v10, v163
	v_fmac_f32_e32 v154, v6, v170
	v_fma_f32 v170, v5, v170, -v139
	v_add_f32_e32 v12, v12, v183
	v_add_f32_e32 v10, v10, v158
	;; [unrolled: 1-line block ×9, first 2 shown]
	s_waitcnt vmcnt(42)
	v_mul_f32_e32 v172, v7, v147
	v_mul_f32_e32 v140, v8, v147
	s_waitcnt vmcnt(40) lgkmcnt(1)
	v_mul_f32_e32 v163, v1, v153
	v_mul_f32_e32 v142, v2, v153
	s_waitcnt vmcnt(37)
	v_fmac_f32_e32 v172, v8, v182
	v_fma_f32 v171, v7, v182, -v140
	ds_read_b128 v[5:8], v9 offset:832
	ds_read_b128 v[138:141], v9 offset:848
	v_fmac_f32_e32 v163, v2, v152
	v_fma_f32 v152, v1, v152, -v142
	s_waitcnt vmcnt(36)
	v_mul_f32_e32 v153, v3, v155
	v_mul_f32_e32 v143, v4, v155
	s_waitcnt vmcnt(35) lgkmcnt(2)
	v_mul_f32_e32 v155, v134, v156
	v_mul_f32_e32 v147, v135, v156
	s_waitcnt vmcnt(34)
	v_mul_f32_e32 v12, v137, v157
	v_mul_f32_e32 v158, v136, v157
	v_fmac_f32_e32 v153, v4, v160
	v_fmac_f32_e32 v155, v135, v159
	v_fma_f32 v157, v134, v159, -v147
	s_waitcnt vmcnt(29) lgkmcnt(1)
	v_mul_f32_e32 v151, v5, v191
	v_fma_f32 v159, v136, v184, -v12
	v_mul_f32_e32 v12, v6, v191
	v_fma_f32 v156, v3, v160, -v143
	s_waitcnt vmcnt(28)
	v_mul_f32_e32 v150, v7, v192
	v_fmac_f32_e32 v151, v6, v166
	v_add_f32_e32 v6, v10, v170
	v_mul_f32_e32 v160, v8, v192
	v_add_f32_e32 v10, v11, v154
	v_fmac_f32_e32 v150, v8, v165
	ds_read_b128 v[1:4], v9 offset:864
	ds_read_b128 v[142:145], v9 offset:880
	v_add_f32_e32 v162, v6, v171
	v_fma_f32 v160, v7, v165, -v160
	v_add_f32_e32 v165, v10, v172
	v_fmac_f32_e32 v158, v137, v184
	v_fma_f32 v154, v5, v166, -v12
	v_add_f32_e32 v152, v162, v152
	s_waitcnt vmcnt(27) lgkmcnt(2)
	v_mul_f32_e32 v162, v139, v169
	v_add_f32_e32 v163, v165, v163
	v_mul_f32_e32 v166, v138, v169
	s_waitcnt vmcnt(26)
	v_mul_f32_e32 v167, v141, v193
	v_add_f32_e32 v152, v152, v156
	v_fma_f32 v138, v138, v164, -v162
	v_add_f32_e32 v153, v163, v153
	v_mul_f32_e32 v165, v140, v193
	v_fmac_f32_e32 v166, v139, v164
	v_add_f32_e32 v152, v152, v157
	ds_read_b128 v[134:137], v9 offset:896
	ds_read_b128 v[146:149], v9 offset:912
	v_add_f32_e32 v153, v153, v155
	s_waitcnt vmcnt(25) lgkmcnt(3)
	v_mul_f32_e32 v156, v1, v194
	s_waitcnt vmcnt(24)
	v_mul_f32_e32 v163, v3, v195
	v_add_f32_e32 v152, v152, v159
	s_waitcnt vmcnt(23) lgkmcnt(2)
	v_mul_f32_e32 v169, v142, v196
	v_add_f32_e32 v153, v153, v158
	s_waitcnt vmcnt(22)
	v_mul_f32_e32 v157, v144, v161
	s_waitcnt vmcnt(12)
	v_fmac_f32_e32 v163, v4, v203
	v_add_f32_e32 v152, v152, v154
	s_waitcnt vmcnt(10)
	v_fma_f32 v140, v140, v205, -v167
	v_add_f32_e32 v151, v153, v151
	v_fmac_f32_e32 v165, v141, v205
	v_fmac_f32_e32 v156, v2, v204
	v_add_f32_e32 v152, v152, v160
	v_fmac_f32_e32 v169, v143, v202
	v_add_f32_e32 v150, v151, v150
	v_mul_f32_e32 v151, v2, v194
	ds_read_b128 v[5:8], v9 offset:928
	ds_read_b128 v[9:12], v9 offset:944
	v_add_f32_e32 v138, v152, v138
	s_waitcnt lgkmcnt(3)
	v_mul_f32_e32 v155, v134, v185
	v_add_f32_e32 v141, v150, v166
	v_mul_f32_e32 v150, v4, v195
	v_fma_f32 v1, v1, v204, -v151
	v_add_f32_e32 v2, v138, v140
	v_mul_f32_e32 v140, v143, v196
	v_add_f32_e32 v138, v141, v165
	v_fma_f32 v3, v3, v203, -v150
	v_mul_f32_e32 v4, v145, v161
	v_add_f32_e32 v1, v2, v1
	s_waitcnt vmcnt(6)
	v_fmac_f32_e32 v157, v145, v207
	v_add_f32_e32 v2, v138, v156
	v_fma_f32 v138, v142, v202, -v140
	v_fma_f32 v4, v144, v207, -v4
	v_add_f32_e32 v1, v1, v3
	v_mul_f32_e32 v3, v135, v185
	v_add_f32_e32 v2, v2, v163
	v_mul_f32_e32 v170, v136, v198
	v_fmac_f32_e32 v155, v135, v206
	v_add_f32_e32 v1, v1, v138
	v_mul_f32_e32 v138, v137, v198
	v_add_f32_e32 v2, v2, v169
	v_fma_f32 v3, v134, v206, -v3
	s_waitcnt lgkmcnt(2)
	v_mul_f32_e32 v159, v146, v199
	v_add_f32_e32 v1, v1, v4
	v_mul_f32_e32 v4, v147, v199
	v_add_f32_e32 v2, v2, v157
	v_fma_f32 v134, v136, v188, -v138
	v_fmac_f32_e32 v170, v137, v188
	v_add_f32_e32 v1, v1, v3
	v_mul_f32_e32 v3, v149, v176
	v_add_f32_e32 v2, v2, v155
	v_fma_f32 v4, v146, v177, -v4
	v_mul_f32_e32 v158, v148, v176
	v_add_f32_e32 v1, v1, v134
	v_fmac_f32_e32 v159, v147, v177
	v_add_f32_e32 v2, v2, v170
	s_waitcnt lgkmcnt(1)
	v_mul_f32_e32 v134, v6, v200
	s_waitcnt vmcnt(2)
	v_fma_f32 v3, v148, v208, -v3
	v_add_f32_e32 v1, v1, v4
	v_mul_f32_e32 v171, v5, v200
	v_fmac_f32_e32 v158, v149, v208
	v_add_f32_e32 v2, v2, v159
	v_mul_f32_e32 v4, v8, v186
	v_fma_f32 v5, v5, v189, -v134
	v_add_f32_e32 v1, v1, v3
	v_mul_f32_e32 v154, v7, v186
	v_fmac_f32_e32 v171, v6, v189
	v_add_f32_e32 v2, v2, v158
	s_waitcnt lgkmcnt(0)
	v_mul_f32_e32 v3, v10, v187
	v_fma_f32 v4, v7, v179, -v4
	v_add_f32_e32 v1, v1, v5
	v_mul_f32_e32 v153, v9, v187
	v_fmac_f32_e32 v154, v8, v179
	v_add_f32_e32 v2, v2, v171
	v_mul_f32_e32 v5, v12, v201
	v_fma_f32 v3, v9, v178, -v3
	v_add_f32_e32 v1, v1, v4
	v_mul_f32_e32 v139, v11, v201
	v_fmac_f32_e32 v153, v10, v178
	v_add_f32_e32 v2, v2, v154
	s_waitcnt vmcnt(0)
	v_fma_f32 v4, v11, v180, -v5
	v_add_f32_e32 v1, v1, v3
	v_fmac_f32_e32 v139, v12, v180
	v_add_f32_e32 v2, v2, v153
	v_add_f32_e32 v1, v1, v4
	;; [unrolled: 1-line block ×3, first 2 shown]
	v_sub_f32_e32 v1, v209, v1
	v_sub_f32_e32 v2, v168, v2
	buffer_store_dword v1, off, s[0:3], 0 offset:88
	buffer_store_dword v2, off, s[0:3], 0 offset:92
	v_cmpx_lt_u32_e32 10, v0
	s_cbranch_execz .LBB123_353
; %bb.352:
	s_clause 0x1
	buffer_load_dword v1, off, s[0:3], 0 offset:80
	buffer_load_dword v2, off, s[0:3], 0 offset:84
	v_mov_b32_e32 v3, 0
	buffer_store_dword v3, off, s[0:3], 0 offset:80
	buffer_store_dword v3, off, s[0:3], 0 offset:84
	s_waitcnt vmcnt(0)
	ds_write_b64 v133, v[1:2]
.LBB123_353:
	s_or_b32 exec_lo, exec_lo, s4
	s_waitcnt lgkmcnt(0)
	s_waitcnt_vscnt null, 0x0
	s_barrier
	buffer_gl0_inv
	s_clause 0x33
	buffer_load_dword v11, off, s[0:3], 0 offset:92
	buffer_load_dword v12, off, s[0:3], 0 offset:100
	;; [unrolled: 1-line block ×52, first 2 shown]
	v_mov_b32_e32 v9, 0
	ds_read2_b64 v[5:8], v9 offset0:71 offset1:72
	ds_read2_b64 v[1:4], v9 offset0:73 offset1:74
	;; [unrolled: 1-line block ×3, first 2 shown]
	s_clause 0x2
	buffer_load_dword v183, off, s[0:3], 0 offset:284
	buffer_load_dword v184, off, s[0:3], 0 offset:292
	;; [unrolled: 1-line block ×3, first 2 shown]
	ds_read2_b64 v[190:193], v9 offset0:77 offset1:78
	s_mov_b32 s4, exec_lo
	s_waitcnt vmcnt(54) lgkmcnt(3)
	v_mul_f32_e32 v194, v5, v11
	s_waitcnt vmcnt(53)
	v_mul_f32_e32 v195, v7, v12
	v_mul_f32_e32 v11, v6, v11
	;; [unrolled: 1-line block ×3, first 2 shown]
	s_waitcnt vmcnt(50)
	v_fmac_f32_e32 v194, v6, v139
	v_fmac_f32_e32 v195, v8, v137
	v_fma_f32 v11, v5, v139, -v11
	v_fma_f32 v12, v7, v137, -v12
	ds_read2_b64 v[5:8], v9 offset0:79 offset1:80
	s_waitcnt vmcnt(49) lgkmcnt(3)
	v_mul_f32_e32 v196, v1, v134
	s_waitcnt vmcnt(48)
	v_mul_f32_e32 v197, v3, v135
	v_mul_f32_e32 v134, v2, v134
	;; [unrolled: 1-line block ×3, first 2 shown]
	s_waitcnt vmcnt(47) lgkmcnt(2)
	v_mul_f32_e32 v198, v186, v138
	v_mul_f32_e32 v137, v187, v138
	v_fmac_f32_e32 v196, v2, v10
	v_fma_f32 v10, v1, v10, -v134
	s_waitcnt vmcnt(46)
	v_mul_f32_e32 v199, v188, v136
	v_mul_f32_e32 v134, v189, v136
	s_waitcnt vmcnt(42)
	v_fmac_f32_e32 v197, v4, v145
	v_fma_f32 v145, v3, v145, -v135
	ds_read2_b64 v[1:4], v9 offset0:81 offset1:82
	v_fmac_f32_e32 v198, v187, v144
	v_fma_f32 v144, v186, v144, -v137
	v_fmac_f32_e32 v199, v189, v142
	v_fma_f32 v142, v188, v142, -v134
	ds_read2_b64 v[134:137], v9 offset0:83 offset1:84
	s_waitcnt vmcnt(41) lgkmcnt(3)
	v_mul_f32_e32 v186, v190, v143
	v_mul_f32_e32 v138, v191, v143
	s_waitcnt vmcnt(40)
	v_mul_f32_e32 v143, v192, v141
	v_mul_f32_e32 v139, v193, v141
	s_waitcnt vmcnt(39) lgkmcnt(2)
	v_mul_f32_e32 v187, v5, v146
	v_fmac_f32_e32 v186, v191, v140
	v_fma_f32 v188, v190, v140, -v138
	s_waitcnt vmcnt(38)
	v_mul_f32_e32 v189, v7, v147
	v_mul_f32_e32 v146, v6, v146
	;; [unrolled: 1-line block ×3, first 2 shown]
	s_waitcnt vmcnt(34)
	v_fmac_f32_e32 v143, v193, v153
	v_fma_f32 v153, v192, v153, -v139
	ds_read2_b64 v[138:141], v9 offset0:85 offset1:86
	v_fmac_f32_e32 v187, v6, v152
	v_fmac_f32_e32 v189, v8, v150
	v_fma_f32 v146, v5, v152, -v146
	v_fma_f32 v147, v7, v150, -v147
	ds_read2_b64 v[5:8], v9 offset0:87 offset1:88
	s_waitcnt vmcnt(33) lgkmcnt(3)
	v_mul_f32_e32 v150, v1, v151
	v_mul_f32_e32 v151, v2, v151
	s_waitcnt vmcnt(32)
	v_mul_f32_e32 v152, v3, v149
	v_mul_f32_e32 v149, v4, v149
	s_waitcnt vmcnt(31) lgkmcnt(2)
	v_mul_f32_e32 v190, v134, v154
	v_fmac_f32_e32 v150, v2, v148
	v_fma_f32 v148, v1, v148, -v151
	s_waitcnt vmcnt(30)
	v_mul_f32_e32 v151, v136, v155
	v_mul_f32_e32 v155, v137, v155
	;; [unrolled: 1-line block ×3, first 2 shown]
	s_waitcnt vmcnt(26)
	v_fmac_f32_e32 v152, v4, v162
	v_fma_f32 v149, v3, v162, -v149
	v_fmac_f32_e32 v151, v137, v159
	v_fma_f32 v155, v136, v159, -v155
	s_waitcnt vmcnt(25) lgkmcnt(1)
	v_mul_f32_e32 v159, v138, v160
	v_mul_f32_e32 v160, v139, v160
	ds_read2_b64 v[1:4], v9 offset0:89 offset1:90
	v_fmac_f32_e32 v190, v135, v161
	v_fma_f32 v154, v134, v161, -v154
	s_waitcnt vmcnt(24)
	v_mul_f32_e32 v161, v140, v158
	v_mul_f32_e32 v158, v141, v158
	s_waitcnt vmcnt(23) lgkmcnt(1)
	v_mul_f32_e32 v162, v5, v163
	v_fmac_f32_e32 v159, v139, v156
	v_fma_f32 v138, v138, v156, -v160
	v_mul_f32_e32 v156, v6, v163
	ds_read2_b64 v[134:137], v9 offset0:91 offset1:92
	s_waitcnt vmcnt(22)
	v_mul_f32_e32 v139, v7, v165
	v_mul_f32_e32 v160, v8, v165
	s_waitcnt vmcnt(18)
	v_fmac_f32_e32 v161, v141, v173
	v_fma_f32 v140, v140, v173, -v158
	v_fmac_f32_e32 v162, v6, v172
	v_fma_f32 v5, v5, v172, -v156
	s_clause 0x5
	buffer_load_dword v141, off, s[0:3], 0 offset:308
	buffer_load_dword v156, off, s[0:3], 0 offset:312
	;; [unrolled: 1-line block ×6, first 2 shown]
	v_fmac_f32_e32 v139, v8, v171
	v_fma_f32 v6, v7, v171, -v160
	s_clause 0x1
	buffer_load_dword v160, off, s[0:3], 0 offset:324
	buffer_load_dword v171, off, s[0:3], 0 offset:332
	s_waitcnt vmcnt(25) lgkmcnt(1)
	v_mul_f32_e32 v173, v1, v169
	s_waitcnt vmcnt(24)
	v_mul_f32_e32 v191, v3, v170
	v_mul_f32_e32 v7, v2, v169
	;; [unrolled: 1-line block ×3, first 2 shown]
	buffer_load_dword v169, off, s[0:3], 0 offset:340
	v_fmac_f32_e32 v173, v2, v167
	s_waitcnt vmcnt(21)
	v_fmac_f32_e32 v191, v4, v181
	v_fma_f32 v167, v1, v167, -v7
	v_fma_f32 v170, v3, v181, -v8
	ds_read2_b64 v[1:4], v9 offset0:93 offset1:94
	s_waitcnt vmcnt(20) lgkmcnt(1)
	v_mul_f32_e32 v181, v134, v179
	s_waitcnt vmcnt(19)
	v_mul_f32_e32 v192, v136, v180
	v_mul_f32_e32 v7, v135, v179
	;; [unrolled: 1-line block ×3, first 2 shown]
	s_clause 0x4
	buffer_load_dword v179, off, s[0:3], 0 offset:360
	buffer_load_dword v180, off, s[0:3], 0 offset:352
	;; [unrolled: 1-line block ×5, first 2 shown]
	v_fmac_f32_e32 v181, v135, v178
	v_fmac_f32_e32 v192, v137, v177
	v_fma_f32 v178, v134, v178, -v7
	v_add_f32_e32 v7, 0, v194
	v_fma_f32 v177, v136, v177, -v8
	buffer_load_dword v194, off, s[0:3], 0 offset:356
	v_add_f32_e32 v8, 0, v11
	v_add_f32_e32 v7, v7, v195
	buffer_load_dword v195, off, s[0:3], 0 offset:364
	v_add_f32_e32 v8, v8, v12
	v_add_f32_e32 v7, v7, v196
	s_waitcnt vmcnt(25) lgkmcnt(0)
	v_mul_f32_e32 v11, v1, v176
	v_mul_f32_e32 v12, v2, v176
	s_waitcnt vmcnt(24)
	v_mul_f32_e32 v176, v3, v175
	v_mul_f32_e32 v134, v4, v175
	v_fmac_f32_e32 v11, v2, v174
	v_add_f32_e32 v2, v7, v197
	v_fma_f32 v12, v1, v174, -v12
	s_clause 0x2
	buffer_load_dword v174, off, s[0:3], 0 offset:372
	buffer_load_dword v175, off, s[0:3], 0 offset:380
	;; [unrolled: 1-line block ×3, first 2 shown]
	v_add_f32_e32 v1, v8, v10
	buffer_load_dword v197, off, s[0:3], 0 offset:404
	v_add_f32_e32 v2, v2, v198
	s_waitcnt vmcnt(23)
	v_fmac_f32_e32 v176, v4, v182
	v_fma_f32 v10, v3, v182, -v134
	s_clause 0x5
	buffer_load_dword v182, off, s[0:3], 0 offset:396
	buffer_load_dword v198, off, s[0:3], 0 offset:392
	;; [unrolled: 1-line block ×6, first 2 shown]
	v_add_f32_e32 v1, v1, v145
	v_add_f32_e32 v2, v2, v199
	s_clause 0x1
	buffer_load_dword v199, off, s[0:3], 0 offset:420
	buffer_load_dword v206, off, s[0:3], 0 offset:428
	v_add_f32_e32 v1, v1, v144
	v_add_f32_e32 v2, v2, v186
	;; [unrolled: 1-line block ×6, first 2 shown]
	s_clause 0x5
	buffer_load_dword v186, off, s[0:3], 0 offset:436
	buffer_load_dword v188, off, s[0:3], 0 offset:444
	;; [unrolled: 1-line block ×6, first 2 shown]
	v_add_f32_e32 v2, v2, v189
	s_clause 0x3
	buffer_load_dword v189, off, s[0:3], 0 offset:424
	buffer_load_dword v210, off, s[0:3], 0 offset:416
	;; [unrolled: 1-line block ×4, first 2 shown]
	v_add_f32_e32 v1, v1, v153
	v_add_f32_e32 v2, v2, v150
	;; [unrolled: 1-line block ×6, first 2 shown]
	s_clause 0x3
	buffer_load_dword v190, off, s[0:3], 0 offset:456
	buffer_load_dword v213, off, s[0:3], 0 offset:448
	;; [unrolled: 1-line block ×4, first 2 shown]
	v_add_f32_e32 v1, v1, v148
	v_add_f32_e32 v2, v2, v151
	v_add_f32_e32 v1, v1, v149
	v_add_f32_e32 v2, v2, v159
	v_add_f32_e32 v1, v1, v154
	s_clause 0x1
	buffer_load_dword v154, off, s[0:3], 0 offset:472
	buffer_load_dword v216, off, s[0:3], 0 offset:464
	v_add_f32_e32 v7, v2, v161
	v_add_f32_e32 v1, v1, v155
	buffer_load_dword v155, off, s[0:3], 0 offset:80
	v_add_f32_e32 v7, v7, v162
	v_add_f32_e32 v1, v1, v138
	;; [unrolled: 1-line block ×4, first 2 shown]
	ds_read2_b64 v[1:4], v9 offset0:95 offset1:96
	v_add_f32_e32 v134, v134, v173
	v_add_f32_e32 v5, v8, v5
	;; [unrolled: 1-line block ×4, first 2 shown]
	ds_read2_b64 v[5:8], v9 offset0:97 offset1:98
	v_add_f32_e32 v138, v138, v181
	v_add_f32_e32 v135, v135, v167
	;; [unrolled: 1-line block ×4, first 2 shown]
	s_waitcnt vmcnt(47) lgkmcnt(1)
	v_mul_f32_e32 v142, v1, v183
	s_waitcnt vmcnt(46)
	v_mul_f32_e32 v146, v3, v184
	v_mul_f32_e32 v136, v2, v183
	;; [unrolled: 1-line block ×3, first 2 shown]
	v_add_f32_e32 v139, v139, v178
	v_fmac_f32_e32 v142, v2, v168
	v_fmac_f32_e32 v146, v4, v166
	v_fma_f32 v143, v1, v168, -v136
	v_fma_f32 v147, v3, v166, -v137
	v_add_f32_e32 v145, v139, v177
	ds_read2_b64 v[1:4], v9 offset0:99 offset1:100
	ds_read2_b64 v[134:137], v9 offset0:101 offset1:102
	s_waitcnt lgkmcnt(2)
	v_mul_f32_e32 v150, v5, v164
	v_mul_f32_e32 v140, v6, v164
	v_add_f32_e32 v12, v145, v12
	v_add_f32_e32 v11, v144, v11
	v_fmac_f32_e32 v150, v6, v157
	v_fma_f32 v152, v5, v157, -v140
	v_add_f32_e32 v10, v12, v10
	v_add_f32_e32 v11, v11, v176
	;; [unrolled: 1-line block ×8, first 2 shown]
	s_waitcnt vmcnt(44)
	v_mul_f32_e32 v151, v7, v141
	v_mul_f32_e32 v141, v8, v141
	s_waitcnt vmcnt(42) lgkmcnt(1)
	v_mul_f32_e32 v157, v1, v158
	v_mul_f32_e32 v144, v2, v158
	s_waitcnt vmcnt(39)
	v_fmac_f32_e32 v151, v8, v172
	v_fma_f32 v153, v7, v172, -v141
	ds_read2_b64 v[5:8], v9 offset0:103 offset1:104
	ds_read2_b64 v[138:141], v9 offset0:105 offset1:106
	s_waitcnt vmcnt(37) lgkmcnt(2)
	v_mul_f32_e32 v159, v134, v171
	v_mul_f32_e32 v148, v135, v171
	;; [unrolled: 1-line block ×3, first 2 shown]
	v_fmac_f32_e32 v157, v2, v156
	v_fma_f32 v156, v1, v156, -v144
	v_fmac_f32_e32 v159, v135, v163
	v_fma_f32 v161, v134, v163, -v148
	v_add_f32_e32 v10, v10, v153
	v_mul_f32_e32 v158, v3, v160
	v_fma_f32 v160, v3, v165, -v145
	s_waitcnt vmcnt(36)
	v_mul_f32_e32 v149, v137, v169
	v_mul_f32_e32 v12, v136, v169
	v_add_f32_e32 v156, v10, v156
	v_fmac_f32_e32 v158, v4, v165
	ds_read2_b64 v[1:4], v9 offset0:107 offset1:108
	ds_read2_b64 v[142:145], v9 offset0:109 offset1:110
	s_waitcnt vmcnt(32)
	v_fma_f32 v162, v136, v200, -v149
	v_fmac_f32_e32 v12, v137, v200
	v_add_f32_e32 v156, v156, v160
	s_waitcnt vmcnt(31) lgkmcnt(3)
	v_mul_f32_e32 v163, v5, v201
	v_mul_f32_e32 v150, v6, v201
	ds_read2_b64 v[134:137], v9 offset0:111 offset1:112
	ds_read2_b64 v[146:149], v9 offset0:113 offset1:114
	s_waitcnt vmcnt(30)
	v_mul_f32_e32 v152, v8, v194
	v_add_f32_e32 v156, v156, v161
	v_fmac_f32_e32 v163, v6, v193
	v_add_f32_e32 v6, v11, v151
	v_fma_f32 v165, v5, v193, -v150
	v_mul_f32_e32 v164, v7, v194
	v_add_f32_e32 v156, v156, v162
	v_fma_f32 v166, v7, v180, -v152
	v_add_f32_e32 v157, v6, v157
	s_waitcnt vmcnt(29) lgkmcnt(4)
	v_mul_f32_e32 v167, v139, v195
	v_fmac_f32_e32 v164, v8, v180
	v_add_f32_e32 v156, v156, v165
	ds_read2_b64 v[5:8], v9 offset0:115 offset1:116
	ds_read2_b64 v[150:153], v9 offset0:117 offset1:118
	ds_read_b64 v[10:11], v9 offset:952
	v_add_f32_e32 v157, v157, v158
	v_mul_f32_e32 v158, v138, v195
	s_waitcnt vmcnt(28)
	v_mul_f32_e32 v168, v141, v174
	v_fma_f32 v138, v138, v179, -v167
	v_add_f32_e32 v156, v156, v166
	v_add_f32_e32 v157, v157, v159
	v_mul_f32_e32 v160, v140, v174
	v_fmac_f32_e32 v158, v139, v179
	s_waitcnt vmcnt(27) lgkmcnt(6)
	v_mul_f32_e32 v159, v1, v175
	v_mul_f32_e32 v167, v2, v175
	v_add_f32_e32 v12, v157, v12
	s_waitcnt vmcnt(20)
	v_fma_f32 v140, v140, v204, -v168
	v_add_f32_e32 v138, v156, v138
	v_fmac_f32_e32 v160, v141, v204
	v_fmac_f32_e32 v159, v2, v203
	v_add_f32_e32 v12, v12, v163
	v_fma_f32 v1, v1, v203, -v167
	v_add_f32_e32 v2, v138, v140
	v_mul_f32_e32 v161, v3, v196
	s_waitcnt lgkmcnt(5)
	v_mul_f32_e32 v138, v143, v182
	v_add_f32_e32 v12, v12, v164
	v_mul_f32_e32 v164, v4, v196
	v_add_f32_e32 v1, v2, v1
	v_mul_f32_e32 v139, v142, v182
	v_fmac_f32_e32 v161, v4, v202
	v_add_f32_e32 v12, v12, v158
	v_fma_f32 v3, v3, v202, -v164
	v_mul_f32_e32 v4, v145, v197
	v_mul_f32_e32 v157, v144, v197
	v_fmac_f32_e32 v139, v143, v198
	v_add_f32_e32 v12, v12, v160
	v_add_f32_e32 v1, v1, v3
	s_waitcnt vmcnt(19) lgkmcnt(4)
	v_mul_f32_e32 v3, v135, v205
	s_waitcnt vmcnt(7)
	v_fma_f32 v4, v144, v212, -v4
	v_mul_f32_e32 v162, v134, v205
	v_add_f32_e32 v2, v12, v159
	v_fma_f32 v12, v142, v198, -v138
	v_fmac_f32_e32 v157, v145, v212
	v_fma_f32 v3, v134, v211, -v3
	v_mul_f32_e32 v141, v136, v199
	v_add_f32_e32 v2, v2, v161
	v_add_f32_e32 v1, v1, v12
	v_mul_f32_e32 v12, v137, v199
	v_fmac_f32_e32 v162, v135, v211
	s_waitcnt lgkmcnt(3)
	v_mul_f32_e32 v168, v146, v206
	v_add_f32_e32 v2, v2, v139
	v_add_f32_e32 v1, v1, v4
	v_mul_f32_e32 v4, v147, v206
	v_fma_f32 v12, v136, v210, -v12
	v_fmac_f32_e32 v141, v137, v210
	v_add_f32_e32 v2, v2, v157
	v_add_f32_e32 v1, v1, v3
	v_mul_f32_e32 v3, v149, v186
	v_fma_f32 v4, v146, v189, -v4
	v_mul_f32_e32 v163, v148, v186
	v_add_f32_e32 v2, v2, v162
	v_add_f32_e32 v1, v1, v12
	v_fmac_f32_e32 v168, v147, v189
	s_waitcnt lgkmcnt(2)
	v_mul_f32_e32 v12, v6, v188
	s_waitcnt vmcnt(3)
	v_fma_f32 v3, v148, v215, -v3
	v_add_f32_e32 v2, v2, v141
	v_add_f32_e32 v1, v1, v4
	v_mul_f32_e32 v165, v5, v188
	v_fmac_f32_e32 v163, v149, v215
	v_mul_f32_e32 v4, v8, v207
	v_add_f32_e32 v2, v2, v168
	v_fma_f32 v5, v5, v214, -v12
	v_add_f32_e32 v1, v1, v3
	v_mul_f32_e32 v169, v7, v207
	v_fmac_f32_e32 v165, v6, v214
	v_add_f32_e32 v2, v2, v163
	s_waitcnt lgkmcnt(1)
	v_mul_f32_e32 v3, v151, v208
	v_fma_f32 v4, v7, v213, -v4
	v_add_f32_e32 v1, v1, v5
	v_mul_f32_e32 v166, v150, v208
	v_fmac_f32_e32 v169, v8, v213
	v_add_f32_e32 v2, v2, v165
	v_mul_f32_e32 v5, v153, v209
	v_fma_f32 v3, v150, v190, -v3
	v_add_f32_e32 v1, v1, v4
	v_mul_f32_e32 v170, v152, v209
	v_fmac_f32_e32 v166, v151, v190
	v_add_f32_e32 v2, v2, v169
	s_waitcnt lgkmcnt(0)
	v_mul_f32_e32 v4, v11, v187
	s_waitcnt vmcnt(1)
	v_fma_f32 v5, v152, v216, -v5
	v_add_f32_e32 v1, v1, v3
	v_mul_f32_e32 v156, v10, v187
	v_fmac_f32_e32 v170, v153, v216
	v_add_f32_e32 v2, v2, v166
	v_fma_f32 v3, v10, v154, -v4
	v_add_f32_e32 v1, v1, v5
	v_fmac_f32_e32 v156, v11, v154
	v_add_f32_e32 v2, v2, v170
	v_add_f32_e32 v1, v1, v3
	;; [unrolled: 1-line block ×3, first 2 shown]
	s_waitcnt vmcnt(0)
	v_sub_f32_e32 v1, v155, v1
	v_sub_f32_e32 v2, v185, v2
	buffer_store_dword v1, off, s[0:3], 0 offset:80
	buffer_store_dword v2, off, s[0:3], 0 offset:84
	v_cmpx_lt_u32_e32 9, v0
	s_cbranch_execz .LBB123_355
; %bb.354:
	s_clause 0x1
	buffer_load_dword v1, off, s[0:3], 0 offset:72
	buffer_load_dword v2, off, s[0:3], 0 offset:76
	buffer_store_dword v9, off, s[0:3], 0 offset:72
	buffer_store_dword v9, off, s[0:3], 0 offset:76
	s_waitcnt vmcnt(0)
	ds_write_b64 v133, v[1:2]
.LBB123_355:
	s_or_b32 exec_lo, exec_lo, s4
	s_waitcnt lgkmcnt(0)
	s_waitcnt_vscnt null, 0x0
	s_barrier
	buffer_gl0_inv
	s_clause 0x35
	buffer_load_dword v1, off, s[0:3], 0 offset:84
	buffer_load_dword v3, off, s[0:3], 0 offset:92
	;; [unrolled: 1-line block ×54, first 2 shown]
	ds_read_b128 v[178:181], v9 offset:560
	ds_read_b128 v[182:185], v9 offset:576
	;; [unrolled: 1-line block ×4, first 2 shown]
	buffer_load_dword v172, off, s[0:3], 0 offset:76
	s_mov_b32 s4, exec_lo
	s_waitcnt vmcnt(54) lgkmcnt(3)
	v_mul_f32_e32 v194, v178, v1
	v_mul_f32_e32 v1, v179, v1
	s_waitcnt vmcnt(53)
	v_mul_f32_e32 v195, v180, v3
	v_mul_f32_e32 v3, v181, v3
	s_waitcnt vmcnt(52) lgkmcnt(2)
	v_mul_f32_e32 v196, v182, v5
	v_mul_f32_e32 v5, v183, v5
	s_waitcnt vmcnt(49)
	v_fma_f32 v197, v178, v7, -v1
	s_waitcnt vmcnt(48)
	v_mul_f32_e32 v1, v185, v6
	v_fmac_f32_e32 v194, v179, v7
	v_fmac_f32_e32 v195, v181, v4
	v_fma_f32 v199, v180, v4, -v3
	v_fmac_f32_e32 v196, v183, v2
	v_fma_f32 v182, v182, v2, -v5
	s_waitcnt vmcnt(44)
	v_fma_f32 v183, v184, v137, -v1
	ds_read_b128 v[1:4], v9 offset:624
	ds_read_b128 v[178:181], v9 offset:640
	v_mul_f32_e32 v198, v184, v6
	s_waitcnt vmcnt(43) lgkmcnt(3)
	v_mul_f32_e32 v184, v186, v136
	v_mul_f32_e32 v5, v187, v136
	s_waitcnt vmcnt(42)
	v_mul_f32_e32 v6, v189, v135
	s_waitcnt vmcnt(41) lgkmcnt(2)
	v_mul_f32_e32 v200, v190, v12
	v_fmac_f32_e32 v198, v185, v137
	v_mul_f32_e32 v185, v188, v135
	v_fmac_f32_e32 v184, v187, v11
	v_fma_f32 v11, v186, v11, -v5
	s_waitcnt vmcnt(40)
	v_mul_f32_e32 v186, v192, v134
	v_mul_f32_e32 v5, v191, v12
	;; [unrolled: 1-line block ×3, first 2 shown]
	v_fmac_f32_e32 v185, v189, v10
	v_fma_f32 v10, v188, v10, -v6
	v_fmac_f32_e32 v200, v191, v8
	s_waitcnt vmcnt(36)
	v_fmac_f32_e32 v186, v193, v145
	v_fma_f32 v12, v190, v8, -v5
	v_fma_f32 v145, v192, v145, -v7
	ds_read_b128 v[5:8], v9 offset:656
	ds_read_b128 v[134:137], v9 offset:672
	s_waitcnt vmcnt(35) lgkmcnt(3)
	v_mul_f32_e32 v187, v1, v144
	v_mul_f32_e32 v144, v2, v144
	s_waitcnt vmcnt(34)
	v_mul_f32_e32 v188, v3, v143
	v_mul_f32_e32 v143, v4, v143
	s_waitcnt vmcnt(33) lgkmcnt(2)
	v_mul_f32_e32 v189, v178, v141
	v_fmac_f32_e32 v187, v2, v140
	v_fma_f32 v144, v1, v140, -v144
	s_waitcnt vmcnt(32)
	v_mul_f32_e32 v190, v180, v142
	v_mul_f32_e32 v1, v179, v141
	;; [unrolled: 1-line block ×3, first 2 shown]
	v_fmac_f32_e32 v188, v4, v139
	v_fma_f32 v142, v3, v139, -v143
	v_fmac_f32_e32 v189, v179, v138
	s_waitcnt vmcnt(28)
	v_fmac_f32_e32 v190, v181, v152
	v_fma_f32 v143, v178, v138, -v1
	v_fma_f32 v152, v180, v152, -v2
	ds_read_b128 v[1:4], v9 offset:688
	ds_read_b128 v[138:141], v9 offset:704
	s_waitcnt vmcnt(27) lgkmcnt(3)
	v_mul_f32_e32 v178, v5, v151
	v_mul_f32_e32 v151, v6, v151
	s_waitcnt vmcnt(26)
	v_mul_f32_e32 v179, v7, v150
	v_mul_f32_e32 v150, v8, v150
	s_waitcnt vmcnt(25) lgkmcnt(2)
	v_mul_f32_e32 v180, v134, v149
	v_mul_f32_e32 v149, v135, v149
	v_fmac_f32_e32 v178, v6, v148
	v_fma_f32 v148, v5, v148, -v151
	s_waitcnt vmcnt(24)
	v_mul_f32_e32 v151, v136, v153
	v_mul_f32_e32 v5, v137, v153
	v_fmac_f32_e32 v179, v8, v147
	v_fma_f32 v147, v7, v147, -v150
	v_fmac_f32_e32 v180, v135, v146
	v_fma_f32 v146, v134, v146, -v149
	s_waitcnt vmcnt(20)
	v_fmac_f32_e32 v151, v137, v160
	v_fma_f32 v149, v136, v160, -v5
	ds_read_b128 v[5:8], v9 offset:720
	ds_read_b128 v[134:137], v9 offset:736
	s_waitcnt vmcnt(19) lgkmcnt(3)
	v_mul_f32_e32 v153, v2, v159
	v_mul_f32_e32 v150, v1, v159
	s_waitcnt vmcnt(18)
	v_mul_f32_e32 v159, v3, v158
	v_mul_f32_e32 v158, v4, v158
	s_waitcnt vmcnt(17) lgkmcnt(2)
	v_mul_f32_e32 v160, v138, v157
	v_fma_f32 v153, v1, v156, -v153
	s_waitcnt vmcnt(16)
	v_mul_f32_e32 v1, v141, v161
	v_mul_f32_e32 v157, v139, v157
	v_fmac_f32_e32 v150, v2, v156
	v_mul_f32_e32 v156, v140, v161
	v_fmac_f32_e32 v159, v4, v155
	v_fma_f32 v155, v3, v155, -v158
	s_clause 0x4
	buffer_load_dword v158, off, s[0:3], 0 offset:300
	buffer_load_dword v161, off, s[0:3], 0 offset:320
	;; [unrolled: 1-line block ×5, first 2 shown]
	v_fmac_f32_e32 v160, v139, v154
	s_waitcnt vmcnt(17)
	v_fma_f32 v139, v140, v169, -v1
	ds_read_b128 v[1:4], v9 offset:752
	v_fmac_f32_e32 v156, v141, v169
	v_fma_f32 v138, v138, v154, -v157
	s_waitcnt vmcnt(16) lgkmcnt(2)
	v_mul_f32_e32 v140, v5, v167
	v_mul_f32_e32 v141, v6, v167
	s_waitcnt vmcnt(15)
	v_mul_f32_e32 v154, v7, v166
	v_mul_f32_e32 v157, v8, v166
	buffer_load_dword v166, off, s[0:3], 0 offset:316
	v_fmac_f32_e32 v140, v6, v165
	v_fma_f32 v141, v5, v165, -v141
	buffer_load_dword v165, off, s[0:3], 0 offset:308
	v_fmac_f32_e32 v154, v8, v163
	v_fma_f32 v157, v7, v163, -v157
	s_waitcnt vmcnt(16) lgkmcnt(1)
	v_mul_f32_e32 v163, v134, v164
	v_mul_f32_e32 v5, v135, v164
	s_waitcnt vmcnt(15)
	v_mul_f32_e32 v6, v137, v168
	v_mul_f32_e32 v164, v136, v168
	v_fmac_f32_e32 v163, v135, v162
	v_fma_f32 v162, v134, v162, -v5
	s_waitcnt vmcnt(10)
	v_fma_f32 v167, v136, v177, -v6
	ds_read_b128 v[5:8], v9 offset:768
	s_waitcnt vmcnt(9) lgkmcnt(1)
	v_mul_f32_e32 v168, v1, v176
	v_mul_f32_e32 v134, v2, v176
	s_waitcnt vmcnt(8)
	v_mul_f32_e32 v193, v3, v175
	v_fmac_f32_e32 v164, v137, v177
	s_clause 0x2
	buffer_load_dword v169, off, s[0:3], 0 offset:324
	buffer_load_dword v176, off, s[0:3], 0 offset:332
	;; [unrolled: 1-line block ×3, first 2 shown]
	v_fmac_f32_e32 v168, v2, v174
	v_fma_f32 v174, v1, v174, -v134
	v_mul_f32_e32 v1, v4, v175
	v_fmac_f32_e32 v193, v4, v173
	v_add_f32_e32 v2, 0, v197
	s_clause 0x3
	buffer_load_dword v175, off, s[0:3], 0 offset:352
	buffer_load_dword v201, off, s[0:3], 0 offset:344
	;; [unrolled: 1-line block ×4, first 2 shown]
	v_fma_f32 v173, v3, v173, -v1
	v_add_f32_e32 v1, 0, v194
	v_add_f32_e32 v2, v2, v199
	buffer_load_dword v194, off, s[0:3], 0 offset:348
	v_add_f32_e32 v1, v1, v195
	v_add_f32_e32 v2, v2, v182
	s_waitcnt lgkmcnt(0)
	v_mul_f32_e32 v3, v6, v171
	v_add_f32_e32 v1, v1, v196
	s_clause 0x1
	buffer_load_dword v195, off, s[0:3], 0 offset:356
	buffer_load_dword v196, off, s[0:3], 0 offset:364
	v_add_f32_e32 v2, v2, v183
	v_add_f32_e32 v1, v1, v198
	;; [unrolled: 1-line block ×3, first 2 shown]
	v_fma_f32 v11, v5, v170, -v3
	v_add_f32_e32 v1, v1, v184
	s_clause 0x5
	buffer_load_dword v182, off, s[0:3], 0 offset:384
	buffer_load_dword v183, off, s[0:3], 0 offset:376
	;; [unrolled: 1-line block ×6, first 2 shown]
	v_add_f32_e32 v2, v2, v10
	v_add_f32_e32 v1, v1, v185
	buffer_load_dword v185, off, s[0:3], 0 offset:372
	v_mul_f32_e32 v10, v5, v171
	v_add_f32_e32 v2, v2, v12
	v_add_f32_e32 v1, v1, v200
	v_fmac_f32_e32 v10, v6, v170
	v_add_f32_e32 v2, v2, v145
	v_add_f32_e32 v1, v1, v186
	s_clause 0x2
	buffer_load_dword v186, off, s[0:3], 0 offset:396
	buffer_load_dword v200, off, s[0:3], 0 offset:404
	buffer_load_dword v204, off, s[0:3], 0 offset:412
	v_add_f32_e32 v2, v2, v144
	v_add_f32_e32 v1, v1, v187
	s_clause 0x2
	buffer_load_dword v187, off, s[0:3], 0 offset:420
	buffer_load_dword v205, off, s[0:3], 0 offset:428
	buffer_load_dword v206, off, s[0:3], 0 offset:436
	;; [unrolled: 6-line block ×3, first 2 shown]
	buffer_load_dword v209, off, s[0:3], 0 offset:476
	v_add_f32_e32 v2, v2, v143
	v_add_f32_e32 v1, v1, v189
	buffer_load_dword v189, off, s[0:3], 0 offset:468
	v_add_f32_e32 v2, v2, v152
	v_add_f32_e32 v1, v1, v190
	;; [unrolled: 1-line block ×4, first 2 shown]
	s_clause 0x3
	buffer_load_dword v178, off, s[0:3], 0 offset:416
	buffer_load_dword v190, off, s[0:3], 0 offset:408
	;; [unrolled: 1-line block ×4, first 2 shown]
	v_add_f32_e32 v2, v2, v147
	v_add_f32_e32 v1, v1, v179
	;; [unrolled: 1-line block ×4, first 2 shown]
	s_clause 0x7
	buffer_load_dword v179, off, s[0:3], 0 offset:448
	buffer_load_dword v180, off, s[0:3], 0 offset:440
	;; [unrolled: 1-line block ×8, first 2 shown]
	v_add_f32_e32 v2, v2, v149
	v_add_f32_e32 v1, v1, v151
	v_add_f32_e32 v2, v2, v153
	v_add_f32_e32 v1, v1, v150
	v_add_f32_e32 v2, v2, v155
	v_add_f32_e32 v1, v1, v159
	v_add_f32_e32 v5, v2, v138
	v_add_f32_e32 v6, v1, v160
	ds_read_b128 v[1:4], v9 offset:784
	v_add_f32_e32 v12, v5, v139
	v_add_f32_e32 v134, v6, v156
	;; [unrolled: 1-line block ×4, first 2 shown]
	ds_read_b128 v[134:137], v9 offset:816
	v_add_f32_e32 v12, v12, v157
	v_add_f32_e32 v138, v138, v154
	;; [unrolled: 1-line block ×3, first 2 shown]
	s_waitcnt vmcnt(46)
	v_mul_f32_e32 v150, v7, v158
	v_mul_f32_e32 v5, v8, v158
	s_waitcnt vmcnt(42)
	v_fmac_f32_e32 v150, v8, v192
	v_fma_f32 v151, v7, v192, -v5
	ds_read_b128 v[5:8], v9 offset:800
	s_waitcnt vmcnt(41) lgkmcnt(2)
	v_mul_f32_e32 v142, v4, v166
	s_waitcnt vmcnt(40)
	v_mul_f32_e32 v139, v2, v165
	v_mul_f32_e32 v152, v1, v165
	v_fma_f32 v157, v3, v181, -v142
	v_fma_f32 v153, v1, v191, -v139
	v_add_f32_e32 v1, v138, v163
	v_fmac_f32_e32 v152, v2, v191
	v_add_f32_e32 v2, v12, v167
	ds_read_b128 v[138:141], v9 offset:832
	v_mul_f32_e32 v12, v3, v166
	v_add_f32_e32 v1, v1, v164
	v_add_f32_e32 v2, v2, v174
	s_waitcnt vmcnt(39) lgkmcnt(1)
	v_mul_f32_e32 v143, v6, v169
	v_mul_f32_e32 v154, v5, v169
	v_add_f32_e32 v1, v1, v168
	s_waitcnt vmcnt(37)
	v_mul_f32_e32 v156, v134, v177
	v_fmac_f32_e32 v12, v4, v181
	v_fma_f32 v158, v5, v161, -v143
	v_add_f32_e32 v5, v2, v173
	v_fmac_f32_e32 v154, v6, v161
	v_add_f32_e32 v6, v1, v193
	v_mul_f32_e32 v146, v8, v176
	v_mul_f32_e32 v147, v135, v177
	v_add_f32_e32 v11, v5, v11
	s_waitcnt vmcnt(34)
	v_fmac_f32_e32 v156, v135, v202
	v_add_f32_e32 v10, v6, v10
	v_mul_f32_e32 v155, v7, v176
	s_waitcnt vmcnt(33)
	v_fma_f32 v159, v7, v203, -v146
	v_add_f32_e32 v11, v11, v151
	ds_read_b128 v[1:4], v9 offset:848
	ds_read_b128 v[142:145], v9 offset:864
	v_add_f32_e32 v10, v10, v150
	v_fmac_f32_e32 v155, v8, v203
	v_fma_f32 v160, v134, v202, -v147
	s_waitcnt vmcnt(31) lgkmcnt(2)
	v_mul_f32_e32 v162, v138, v195
	v_add_f32_e32 v11, v11, v153
	s_waitcnt vmcnt(30)
	v_mul_f32_e32 v163, v140, v196
	v_add_f32_e32 v10, v10, v152
	v_mul_f32_e32 v135, v139, v195
	v_fmac_f32_e32 v162, v139, v175
	v_add_f32_e32 v139, v11, v157
	v_mul_f32_e32 v164, v141, v196
	v_mul_f32_e32 v134, v137, v194
	;; [unrolled: 1-line block ×3, first 2 shown]
	v_fma_f32 v138, v138, v175, -v135
	s_waitcnt vmcnt(26)
	v_fmac_f32_e32 v163, v141, v197
	v_add_f32_e32 v141, v10, v12
	v_add_f32_e32 v139, v139, v158
	v_fma_f32 v165, v136, v201, -v134
	v_fmac_f32_e32 v161, v137, v201
	v_fma_f32 v140, v140, v197, -v164
	v_add_f32_e32 v141, v141, v154
	v_add_f32_e32 v139, v139, v159
	s_waitcnt vmcnt(23) lgkmcnt(1)
	v_mul_f32_e32 v158, v2, v185
	ds_read_b128 v[5:8], v9 offset:880
	ds_read_b128 v[146:149], v9 offset:896
	v_mul_f32_e32 v157, v1, v185
	v_add_f32_e32 v141, v141, v155
	v_add_f32_e32 v139, v139, v160
	v_mul_f32_e32 v164, v4, v198
	v_fma_f32 v1, v1, v184, -v158
	v_mul_f32_e32 v154, v3, v198
	v_add_f32_e32 v141, v141, v156
	v_add_f32_e32 v139, v139, v165
	v_fmac_f32_e32 v157, v2, v184
	v_fma_f32 v3, v3, v183, -v164
	s_waitcnt lgkmcnt(2)
	v_mul_f32_e32 v159, v142, v199
	v_add_f32_e32 v141, v141, v161
	v_add_f32_e32 v138, v139, v138
	v_fmac_f32_e32 v154, v4, v183
	s_waitcnt vmcnt(22)
	v_mul_f32_e32 v155, v144, v186
	v_fmac_f32_e32 v159, v143, v182
	v_add_f32_e32 v141, v141, v162
	v_add_f32_e32 v138, v138, v140
	ds_read_b128 v[134:137], v9 offset:912
	ds_read_b128 v[150:153], v9 offset:928
	s_waitcnt vmcnt(21) lgkmcnt(3)
	v_mul_f32_e32 v166, v5, v200
	s_waitcnt vmcnt(20)
	v_mul_f32_e32 v160, v7, v204
	v_add_f32_e32 v140, v141, v163
	v_mul_f32_e32 v141, v143, v199
	v_add_f32_e32 v1, v138, v1
	v_mul_f32_e32 v138, v145, v186
	s_waitcnt vmcnt(19) lgkmcnt(2)
	v_mul_f32_e32 v156, v146, v187
	v_add_f32_e32 v4, v140, v157
	v_fma_f32 v140, v142, v182, -v141
	v_add_f32_e32 v1, v1, v3
	s_waitcnt vmcnt(9)
	v_fmac_f32_e32 v166, v6, v210
	s_waitcnt vmcnt(8)
	v_fma_f32 v138, v144, v211, -v138
	v_add_f32_e32 v3, v4, v154
	v_mul_f32_e32 v4, v6, v200
	v_add_f32_e32 v1, v1, v140
	v_fmac_f32_e32 v155, v145, v211
	v_mul_f32_e32 v140, v8, v204
	v_add_f32_e32 v3, v3, v159
	v_fma_f32 v4, v5, v210, -v4
	v_add_f32_e32 v1, v1, v138
	v_mul_f32_e32 v5, v147, v187
	v_fma_f32 v6, v7, v190, -v140
	v_add_f32_e32 v3, v3, v155
	v_fmac_f32_e32 v160, v8, v190
	v_add_f32_e32 v1, v1, v4
	v_mul_f32_e32 v4, v149, v205
	v_fma_f32 v5, v146, v178, -v5
	v_add_f32_e32 v3, v3, v166
	v_mul_f32_e32 v167, v148, v205
	v_add_f32_e32 v1, v1, v6
	v_fmac_f32_e32 v156, v147, v178
	ds_read_b128 v[9:12], v9 offset:944
	v_add_f32_e32 v3, v3, v160
	s_waitcnt lgkmcnt(2)
	v_mul_f32_e32 v6, v135, v206
	s_waitcnt vmcnt(4)
	v_fma_f32 v4, v148, v213, -v4
	v_add_f32_e32 v1, v1, v5
	v_mul_f32_e32 v165, v134, v206
	v_fmac_f32_e32 v167, v149, v213
	v_add_f32_e32 v3, v3, v156
	v_mul_f32_e32 v5, v137, v188
	v_fma_f32 v6, v134, v212, -v6
	v_add_f32_e32 v1, v1, v4
	v_mul_f32_e32 v161, v136, v188
	v_fmac_f32_e32 v165, v135, v212
	v_add_f32_e32 v3, v3, v167
	s_waitcnt lgkmcnt(1)
	v_mul_f32_e32 v4, v151, v207
	v_fma_f32 v5, v136, v180, -v5
	v_add_f32_e32 v1, v1, v6
	v_mul_f32_e32 v168, v150, v207
	v_fmac_f32_e32 v161, v137, v180
	v_add_f32_e32 v3, v3, v165
	v_mul_f32_e32 v6, v153, v208
	v_fma_f32 v4, v150, v179, -v4
	v_add_f32_e32 v1, v1, v5
	v_mul_f32_e32 v139, v152, v208
	v_fmac_f32_e32 v168, v151, v179
	v_add_f32_e32 v3, v3, v161
	s_waitcnt lgkmcnt(0)
	v_mul_f32_e32 v5, v10, v189
	s_waitcnt vmcnt(1)
	v_fma_f32 v6, v152, v216, -v6
	v_add_f32_e32 v1, v1, v4
	v_mul_f32_e32 v162, v9, v189
	v_fmac_f32_e32 v139, v153, v216
	v_add_f32_e32 v3, v3, v168
	v_mul_f32_e32 v4, v12, v209
	v_fma_f32 v5, v9, v215, -v5
	v_add_f32_e32 v1, v1, v6
	v_mul_f32_e32 v2, v11, v209
	v_fmac_f32_e32 v162, v10, v215
	v_add_f32_e32 v3, v3, v139
	v_fma_f32 v4, v11, v214, -v4
	v_add_f32_e32 v1, v1, v5
	v_fmac_f32_e32 v2, v12, v214
	v_add_f32_e32 v3, v3, v162
	v_add_f32_e32 v1, v1, v4
	;; [unrolled: 1-line block ×3, first 2 shown]
	s_waitcnt vmcnt(0)
	v_sub_f32_e32 v1, v217, v1
	v_sub_f32_e32 v2, v172, v2
	buffer_store_dword v1, off, s[0:3], 0 offset:72
	buffer_store_dword v2, off, s[0:3], 0 offset:76
	v_cmpx_lt_u32_e32 8, v0
	s_cbranch_execz .LBB123_357
; %bb.356:
	s_clause 0x1
	buffer_load_dword v1, off, s[0:3], 0 offset:64
	buffer_load_dword v2, off, s[0:3], 0 offset:68
	v_mov_b32_e32 v3, 0
	buffer_store_dword v3, off, s[0:3], 0 offset:64
	buffer_store_dword v3, off, s[0:3], 0 offset:68
	s_waitcnt vmcnt(0)
	ds_write_b64 v133, v[1:2]
.LBB123_357:
	s_or_b32 exec_lo, exec_lo, s4
	s_waitcnt lgkmcnt(0)
	s_waitcnt_vscnt null, 0x0
	s_barrier
	buffer_gl0_inv
	s_clause 0x35
	buffer_load_dword v2, off, s[0:3], 0 offset:76
	buffer_load_dword v4, off, s[0:3], 0 offset:84
	;; [unrolled: 1-line block ×54, first 2 shown]
	v_mov_b32_e32 v1, 0
	ds_read2_b64 v[178:181], v1 offset0:69 offset1:70
	ds_read2_b64 v[182:185], v1 offset0:71 offset1:72
	buffer_load_dword v175, off, s[0:3], 0 offset:68
	ds_read2_b64 v[186:189], v1 offset0:73 offset1:74
	ds_read2_b64 v[190:193], v1 offset0:75 offset1:76
	s_mov_b32 s4, exec_lo
	s_waitcnt vmcnt(54) lgkmcnt(3)
	v_mul_f32_e32 v194, v178, v2
	v_mul_f32_e32 v2, v179, v2
	s_waitcnt vmcnt(53)
	v_mul_f32_e32 v195, v180, v4
	v_mul_f32_e32 v4, v181, v4
	s_waitcnt vmcnt(52) lgkmcnt(2)
	v_mul_f32_e32 v196, v182, v6
	v_mul_f32_e32 v6, v183, v6
	s_waitcnt vmcnt(49)
	v_fma_f32 v197, v178, v8, -v2
	s_waitcnt vmcnt(48)
	v_mul_f32_e32 v2, v185, v7
	v_fmac_f32_e32 v194, v179, v8
	v_fmac_f32_e32 v195, v181, v5
	v_fma_f32 v199, v180, v5, -v4
	v_fmac_f32_e32 v196, v183, v3
	v_fma_f32 v182, v182, v3, -v6
	s_waitcnt vmcnt(44)
	v_fma_f32 v183, v184, v137, -v2
	ds_read2_b64 v[2:5], v1 offset0:77 offset1:78
	ds_read2_b64 v[178:181], v1 offset0:79 offset1:80
	v_mul_f32_e32 v198, v184, v7
	s_waitcnt vmcnt(43) lgkmcnt(3)
	v_mul_f32_e32 v184, v186, v135
	v_mul_f32_e32 v6, v187, v135
	s_waitcnt vmcnt(42)
	v_mul_f32_e32 v7, v189, v136
	s_waitcnt vmcnt(41) lgkmcnt(2)
	v_mul_f32_e32 v200, v190, v134
	v_fmac_f32_e32 v198, v185, v137
	v_mul_f32_e32 v185, v188, v136
	v_mul_f32_e32 v8, v191, v134
	v_fmac_f32_e32 v184, v187, v11
	v_fma_f32 v11, v186, v11, -v6
	s_waitcnt vmcnt(40)
	v_mul_f32_e32 v186, v192, v12
	v_mul_f32_e32 v6, v193, v12
	v_fmac_f32_e32 v185, v189, v10
	v_fma_f32 v10, v188, v10, -v7
	v_fmac_f32_e32 v200, v191, v9
	v_fma_f32 v12, v190, v9, -v8
	s_waitcnt vmcnt(36)
	v_fmac_f32_e32 v186, v193, v145
	v_fma_f32 v145, v192, v145, -v6
	ds_read2_b64 v[6:9], v1 offset0:81 offset1:82
	ds_read2_b64 v[134:137], v1 offset0:83 offset1:84
	s_waitcnt vmcnt(35) lgkmcnt(3)
	v_mul_f32_e32 v187, v2, v144
	v_mul_f32_e32 v144, v3, v144
	s_waitcnt vmcnt(34)
	v_mul_f32_e32 v188, v4, v143
	v_mul_f32_e32 v143, v5, v143
	s_waitcnt vmcnt(33) lgkmcnt(2)
	v_mul_f32_e32 v189, v178, v141
	v_fmac_f32_e32 v187, v3, v140
	v_fma_f32 v144, v2, v140, -v144
	s_waitcnt vmcnt(32)
	v_mul_f32_e32 v190, v180, v142
	v_mul_f32_e32 v2, v179, v141
	;; [unrolled: 1-line block ×3, first 2 shown]
	v_fmac_f32_e32 v188, v5, v139
	v_fma_f32 v142, v4, v139, -v143
	v_fmac_f32_e32 v189, v179, v138
	s_waitcnt vmcnt(28)
	v_fmac_f32_e32 v190, v181, v153
	v_fma_f32 v143, v178, v138, -v2
	v_fma_f32 v153, v180, v153, -v3
	ds_read2_b64 v[2:5], v1 offset0:85 offset1:86
	ds_read2_b64 v[138:141], v1 offset0:87 offset1:88
	s_waitcnt vmcnt(27) lgkmcnt(3)
	v_mul_f32_e32 v178, v6, v152
	v_mul_f32_e32 v152, v7, v152
	s_waitcnt vmcnt(26)
	v_mul_f32_e32 v179, v8, v151
	v_mul_f32_e32 v151, v9, v151
	s_waitcnt vmcnt(25) lgkmcnt(2)
	v_mul_f32_e32 v180, v134, v150
	v_fmac_f32_e32 v178, v7, v148
	v_fma_f32 v148, v6, v148, -v152
	v_fmac_f32_e32 v179, v9, v147
	v_fma_f32 v147, v8, v147, -v151
	s_clause 0x4
	buffer_load_dword v151, off, s[0:3], 0 offset:292
	buffer_load_dword v152, off, s[0:3], 0 offset:312
	;; [unrolled: 1-line block ×5, first 2 shown]
	v_mul_f32_e32 v150, v135, v150
	s_waitcnt vmcnt(29)
	v_mul_f32_e32 v6, v137, v149
	v_mul_f32_e32 v193, v136, v149
	v_fmac_f32_e32 v180, v135, v146
	v_fma_f32 v134, v134, v146, -v150
	s_waitcnt vmcnt(24)
	v_fma_f32 v136, v136, v162, -v6
	ds_read2_b64 v[6:9], v1 offset0:89 offset1:90
	buffer_load_dword v150, off, s[0:3], 0 offset:300
	s_waitcnt lgkmcnt(2)
	v_mul_f32_e32 v135, v2, v154
	v_mul_f32_e32 v146, v3, v154
	v_fmac_f32_e32 v193, v137, v162
	s_waitcnt vmcnt(24)
	v_mul_f32_e32 v137, v4, v160
	v_mul_f32_e32 v149, v5, v160
	v_fmac_f32_e32 v135, v3, v158
	v_fma_f32 v146, v2, v158, -v146
	s_waitcnt vmcnt(23) lgkmcnt(1)
	v_mul_f32_e32 v154, v138, v157
	v_mul_f32_e32 v2, v139, v157
	s_waitcnt vmcnt(22)
	v_mul_f32_e32 v3, v141, v161
	v_fmac_f32_e32 v137, v5, v156
	v_fma_f32 v149, v4, v156, -v149
	s_clause 0x1
	buffer_load_dword v156, off, s[0:3], 0 offset:308
	buffer_load_dword v157, off, s[0:3], 0 offset:316
	v_mul_f32_e32 v158, v140, v161
	v_fmac_f32_e32 v154, v139, v155
	v_fma_f32 v138, v138, v155, -v2
	s_clause 0x1
	buffer_load_dword v155, off, s[0:3], 0 offset:324
	buffer_load_dword v160, off, s[0:3], 0 offset:332
	v_add_f32_e32 v139, 0, v194
	s_waitcnt vmcnt(22)
	v_fma_f32 v140, v140, v169, -v3
	ds_read2_b64 v[2:5], v1 offset0:91 offset1:92
	v_fmac_f32_e32 v158, v141, v169
	s_waitcnt vmcnt(21) lgkmcnt(1)
	v_mul_f32_e32 v141, v6, v168
	v_mul_f32_e32 v161, v7, v168
	v_add_f32_e32 v139, v139, v195
	v_add_f32_e32 v168, 0, v197
	s_waitcnt vmcnt(20)
	v_mul_f32_e32 v162, v8, v167
	v_mul_f32_e32 v167, v9, v167
	v_fmac_f32_e32 v141, v7, v166
	v_fma_f32 v161, v6, v166, -v161
	v_add_f32_e32 v6, v168, v199
	v_add_f32_e32 v7, v139, v196
	v_fmac_f32_e32 v162, v9, v165
	v_fma_f32 v165, v8, v165, -v167
	s_clause 0x3
	buffer_load_dword v166, off, s[0:3], 0 offset:344
	buffer_load_dword v167, off, s[0:3], 0 offset:336
	;; [unrolled: 1-line block ×4, first 2 shown]
	v_add_f32_e32 v6, v6, v182
	v_add_f32_e32 v139, v7, v198
	s_clause 0x2
	buffer_load_dword v182, off, s[0:3], 0 offset:340
	buffer_load_dword v194, off, s[0:3], 0 offset:348
	;; [unrolled: 1-line block ×3, first 2 shown]
	v_add_f32_e32 v183, v6, v183
	ds_read2_b64 v[6:9], v1 offset0:93 offset1:94
	v_add_f32_e32 v139, v139, v184
	s_waitcnt vmcnt(26) lgkmcnt(1)
	v_mul_f32_e32 v184, v2, v163
	v_mul_f32_e32 v163, v3, v163
	v_add_f32_e32 v11, v183, v11
	s_waitcnt vmcnt(25)
	v_mul_f32_e32 v183, v4, v164
	v_mul_f32_e32 v164, v5, v164
	v_fmac_f32_e32 v184, v3, v159
	v_add_f32_e32 v3, v139, v185
	v_fma_f32 v139, v2, v159, -v163
	v_add_f32_e32 v2, v11, v10
	s_waitcnt vmcnt(20)
	v_fmac_f32_e32 v183, v5, v177
	v_fma_f32 v159, v4, v177, -v164
	v_add_f32_e32 v10, v3, v200
	s_clause 0x4
	buffer_load_dword v163, off, s[0:3], 0 offset:376
	buffer_load_dword v164, off, s[0:3], 0 offset:368
	;; [unrolled: 1-line block ×5, first 2 shown]
	v_add_f32_e32 v12, v2, v12
	ds_read2_b64 v[2:5], v1 offset0:95 offset1:96
	v_add_f32_e32 v10, v10, v186
	s_clause 0x1
	buffer_load_dword v186, off, s[0:3], 0 offset:372
	buffer_load_dword v197, off, s[0:3], 0 offset:380
	s_waitcnt vmcnt(26) lgkmcnt(1)
	v_mul_f32_e32 v196, v6, v176
	v_mul_f32_e32 v176, v7, v176
	v_add_f32_e32 v12, v12, v145
	v_add_f32_e32 v10, v10, v187
	buffer_load_dword v187, off, s[0:3], 0 offset:388
	v_fmac_f32_e32 v196, v7, v174
	v_fma_f32 v145, v6, v174, -v176
	s_waitcnt vmcnt(26)
	v_mul_f32_e32 v174, v8, v173
	v_add_f32_e32 v7, v10, v188
	v_mul_f32_e32 v10, v9, v173
	v_add_f32_e32 v6, v12, v144
	s_clause 0x2
	buffer_load_dword v12, off, s[0:3], 0 offset:396
	buffer_load_dword v176, off, s[0:3], 0 offset:404
	;; [unrolled: 1-line block ×3, first 2 shown]
	v_add_f32_e32 v7, v7, v189
	v_fmac_f32_e32 v174, v9, v172
	v_fma_f32 v10, v8, v172, -v10
	s_clause 0x1
	buffer_load_dword v172, off, s[0:3], 0 offset:420
	buffer_load_dword v188, off, s[0:3], 0 offset:428
	v_add_f32_e32 v6, v6, v142
	v_add_f32_e32 v7, v7, v190
	s_clause 0x2
	buffer_load_dword v189, off, s[0:3], 0 offset:436
	buffer_load_dword v190, off, s[0:3], 0 offset:444
	;; [unrolled: 1-line block ×3, first 2 shown]
	s_waitcnt lgkmcnt(0)
	v_mul_f32_e32 v142, v2, v171
	v_mul_f32_e32 v8, v3, v171
	v_add_f32_e32 v6, v6, v143
	v_add_f32_e32 v7, v7, v178
	s_clause 0x2
	buffer_load_dword v178, off, s[0:3], 0 offset:460
	buffer_load_dword v199, off, s[0:3], 0 offset:468
	;; [unrolled: 1-line block ×3, first 2 shown]
	v_fmac_f32_e32 v142, v3, v170
	v_fma_f32 v143, v2, v170, -v8
	v_add_f32_e32 v6, v6, v153
	v_add_f32_e32 v7, v7, v179
	s_clause 0x3
	buffer_load_dword v179, off, s[0:3], 0 offset:408
	buffer_load_dword v201, off, s[0:3], 0 offset:400
	;; [unrolled: 1-line block ×4, first 2 shown]
	v_add_f32_e32 v6, v6, v148
	v_add_f32_e32 v7, v7, v180
	;; [unrolled: 1-line block ×4, first 2 shown]
	s_clause 0x8
	buffer_load_dword v180, off, s[0:3], 0 offset:440
	buffer_load_dword v193, off, s[0:3], 0 offset:432
	buffer_load_dword v204, off, s[0:3], 0 offset:424
	buffer_load_dword v205, off, s[0:3], 0 offset:416
	buffer_load_dword v206, off, s[0:3], 0 offset:472
	buffer_load_dword v207, off, s[0:3], 0 offset:464
	buffer_load_dword v208, off, s[0:3], 0 offset:456
	buffer_load_dword v209, off, s[0:3], 0 offset:448
	buffer_load_dword v210, off, s[0:3], 0 offset:64
	v_add_f32_e32 v6, v6, v134
	v_add_f32_e32 v7, v7, v135
	;; [unrolled: 1-line block ×11, first 2 shown]
	ds_read2_b64 v[6:9], v1 offset0:97 offset1:98
	v_add_f32_e32 v138, v134, v162
	v_add_f32_e32 v135, v3, v161
	;; [unrolled: 1-line block ×4, first 2 shown]
	ds_read2_b64 v[134:137], v1 offset0:101 offset1:102
	v_add_f32_e32 v144, v138, v183
	v_add_f32_e32 v139, v140, v139
	s_waitcnt vmcnt(48)
	v_mul_f32_e32 v146, v4, v151
	v_mul_f32_e32 v2, v5, v151
	s_waitcnt vmcnt(44)
	v_fmac_f32_e32 v146, v5, v192
	v_fma_f32 v147, v4, v192, -v2
	ds_read2_b64 v[2:5], v1 offset0:99 offset1:100
	s_waitcnt vmcnt(43) lgkmcnt(2)
	v_mul_f32_e32 v141, v7, v150
	v_mul_f32_e32 v151, v6, v150
	v_fma_f32 v150, v6, v191, -v141
	v_add_f32_e32 v6, v139, v159
	v_fmac_f32_e32 v151, v7, v191
	v_add_f32_e32 v7, v144, v196
	ds_read2_b64 v[138:141], v1 offset0:103 offset1:104
	v_add_f32_e32 v6, v6, v145
	s_waitcnt vmcnt(42)
	v_mul_f32_e32 v153, v8, v156
	v_add_f32_e32 v7, v7, v174
	s_waitcnt vmcnt(41) lgkmcnt(1)
	v_mul_f32_e32 v154, v2, v157
	v_mul_f32_e32 v145, v3, v157
	v_add_f32_e32 v6, v6, v10
	s_waitcnt vmcnt(39)
	v_mul_f32_e32 v149, v135, v160
	v_mul_f32_e32 v144, v9, v156
	v_fmac_f32_e32 v154, v3, v152
	v_mul_f32_e32 v156, v4, v155
	v_add_f32_e32 v3, v6, v143
	v_mul_f32_e32 v148, v5, v155
	v_mul_f32_e32 v155, v134, v160
	v_fma_f32 v157, v2, v152, -v145
	v_add_f32_e32 v2, v7, v142
	v_fma_f32 v10, v8, v181, -v144
	v_fmac_f32_e32 v153, v9, v181
	ds_read2_b64 v[6:9], v1 offset0:105 offset1:106
	ds_read2_b64 v[142:145], v1 offset0:107 offset1:108
	s_waitcnt vmcnt(36)
	v_fma_f32 v159, v134, v168, -v149
	v_add_f32_e32 v134, v3, v147
	v_fmac_f32_e32 v155, v135, v168
	v_add_f32_e32 v135, v2, v146
	s_waitcnt vmcnt(35)
	v_fma_f32 v158, v4, v169, -v148
	v_fmac_f32_e32 v156, v5, v169
	v_add_f32_e32 v134, v134, v150
	s_waitcnt vmcnt(34)
	v_mul_f32_e32 v160, v136, v182
	v_add_f32_e32 v135, v135, v151
	v_mul_f32_e32 v151, v137, v182
	s_waitcnt vmcnt(33) lgkmcnt(2)
	v_mul_f32_e32 v161, v138, v194
	v_add_f32_e32 v10, v134, v10
	v_mul_f32_e32 v150, v139, v194
	v_add_f32_e32 v135, v135, v153
	v_fmac_f32_e32 v160, v137, v167
	v_fma_f32 v167, v136, v167, -v151
	v_add_f32_e32 v157, v10, v157
	s_waitcnt vmcnt(32)
	v_mul_f32_e32 v165, v141, v195
	v_add_f32_e32 v154, v135, v154
	v_fmac_f32_e32 v161, v139, v166
	v_fma_f32 v166, v138, v166, -v150
	v_add_f32_e32 v157, v157, v158
	v_mul_f32_e32 v162, v140, v195
	v_add_f32_e32 v154, v154, v156
	s_waitcnt vmcnt(28)
	v_fma_f32 v165, v140, v11, -v165
	s_waitcnt vmcnt(27) lgkmcnt(1)
	v_mul_f32_e32 v168, v7, v185
	v_add_f32_e32 v157, v157, v159
	ds_read2_b64 v[2:5], v1 offset0:109 offset1:110
	ds_read2_b64 v[146:149], v1 offset0:111 offset1:112
	v_add_f32_e32 v154, v154, v155
	v_fmac_f32_e32 v162, v141, v11
	v_mul_f32_e32 v156, v6, v185
	v_add_f32_e32 v157, v157, v167
	s_waitcnt vmcnt(26)
	v_mul_f32_e32 v169, v9, v186
	v_add_f32_e32 v154, v154, v160
	v_fma_f32 v6, v6, v177, -v168
	v_mul_f32_e32 v158, v8, v186
	v_add_f32_e32 v157, v157, v166
	v_fmac_f32_e32 v156, v7, v177
	v_add_f32_e32 v154, v154, v161
	s_waitcnt vmcnt(25) lgkmcnt(2)
	v_mul_f32_e32 v168, v143, v197
	v_fma_f32 v8, v8, v164, -v169
	v_add_f32_e32 v157, v157, v165
	v_mul_f32_e32 v155, v142, v197
	v_add_f32_e32 v154, v154, v162
	v_fmac_f32_e32 v158, v9, v164
	s_waitcnt vmcnt(24)
	v_mul_f32_e32 v162, v145, v187
	v_add_f32_e32 v6, v157, v6
	v_fma_f32 v142, v142, v163, -v168
	v_add_f32_e32 v154, v154, v156
	v_mul_f32_e32 v159, v144, v187
	v_fmac_f32_e32 v155, v143, v163
	v_add_f32_e32 v6, v6, v8
	s_waitcnt vmcnt(23) lgkmcnt(1)
	v_mul_f32_e32 v7, v2, v12
	v_add_f32_e32 v8, v154, v158
	v_mul_f32_e32 v12, v3, v12
	ds_read2_b64 v[134:137], v1 offset0:113 offset1:114
	ds_read2_b64 v[150:153], v1 offset0:115 offset1:116
	v_add_f32_e32 v6, v6, v142
	s_waitcnt vmcnt(9)
	v_fma_f32 v143, v144, v203, -v162
	v_fmac_f32_e32 v159, v145, v203
	v_add_f32_e32 v8, v8, v155
	v_mul_f32_e32 v142, v5, v176
	v_fmac_f32_e32 v7, v3, v202
	v_fma_f32 v2, v2, v202, -v12
	v_add_f32_e32 v3, v6, v143
	v_mul_f32_e32 v160, v4, v176
	v_add_f32_e32 v6, v8, v159
	s_waitcnt lgkmcnt(2)
	v_mul_f32_e32 v8, v147, v173
	v_fma_f32 v4, v4, v201, -v142
	v_add_f32_e32 v2, v3, v2
	v_mul_f32_e32 v167, v146, v173
	v_fmac_f32_e32 v160, v5, v201
	v_add_f32_e32 v3, v6, v7
	v_mul_f32_e32 v5, v149, v172
	v_fma_f32 v6, v146, v179, -v8
	v_add_f32_e32 v2, v2, v4
	v_mul_f32_e32 v9, v148, v172
	v_fmac_f32_e32 v167, v147, v179
	v_add_f32_e32 v3, v3, v160
	s_waitcnt lgkmcnt(1)
	v_mul_f32_e32 v4, v135, v188
	s_waitcnt vmcnt(5)
	v_fma_f32 v5, v148, v205, -v5
	v_add_f32_e32 v2, v2, v6
	ds_read2_b64 v[138:141], v1 offset0:117 offset1:118
	ds_read_b64 v[10:11], v1 offset:952
	v_mul_f32_e32 v164, v134, v188
	v_fmac_f32_e32 v9, v149, v205
	v_add_f32_e32 v3, v3, v167
	v_mul_f32_e32 v6, v137, v189
	v_fma_f32 v4, v134, v204, -v4
	v_add_f32_e32 v2, v2, v5
	v_mul_f32_e32 v161, v136, v189
	v_fmac_f32_e32 v164, v135, v204
	v_add_f32_e32 v3, v3, v9
	s_waitcnt lgkmcnt(2)
	v_mul_f32_e32 v5, v151, v190
	v_fma_f32 v6, v136, v193, -v6
	v_add_f32_e32 v2, v2, v4
	v_mul_f32_e32 v166, v150, v190
	v_fmac_f32_e32 v161, v137, v193
	v_add_f32_e32 v3, v3, v164
	v_mul_f32_e32 v4, v153, v198
	v_fma_f32 v5, v150, v180, -v5
	v_add_f32_e32 v2, v2, v6
	v_mul_f32_e32 v169, v152, v198
	v_fmac_f32_e32 v166, v151, v180
	v_add_f32_e32 v3, v3, v161
	s_waitcnt lgkmcnt(1)
	v_mul_f32_e32 v6, v139, v178
	s_waitcnt vmcnt(1)
	v_fma_f32 v4, v152, v209, -v4
	v_add_f32_e32 v2, v2, v5
	v_mul_f32_e32 v165, v138, v178
	v_fmac_f32_e32 v169, v153, v209
	v_add_f32_e32 v3, v3, v166
	v_mul_f32_e32 v5, v141, v199
	v_fma_f32 v6, v138, v208, -v6
	v_add_f32_e32 v2, v2, v4
	v_mul_f32_e32 v170, v140, v199
	v_fmac_f32_e32 v165, v139, v208
	v_add_f32_e32 v3, v3, v169
	s_waitcnt lgkmcnt(0)
	v_mul_f32_e32 v4, v11, v200
	v_fma_f32 v5, v140, v207, -v5
	v_add_f32_e32 v2, v2, v6
	v_mul_f32_e32 v156, v10, v200
	v_fmac_f32_e32 v170, v141, v207
	v_add_f32_e32 v3, v3, v165
	v_fma_f32 v4, v10, v206, -v4
	v_add_f32_e32 v2, v2, v5
	v_fmac_f32_e32 v156, v11, v206
	v_add_f32_e32 v3, v3, v170
	v_add_f32_e32 v2, v2, v4
	;; [unrolled: 1-line block ×3, first 2 shown]
	s_waitcnt vmcnt(0)
	v_sub_f32_e32 v2, v210, v2
	v_sub_f32_e32 v3, v175, v3
	buffer_store_dword v2, off, s[0:3], 0 offset:64
	buffer_store_dword v3, off, s[0:3], 0 offset:68
	v_cmpx_lt_u32_e32 7, v0
	s_cbranch_execz .LBB123_359
; %bb.358:
	s_clause 0x1
	buffer_load_dword v2, off, s[0:3], 0 offset:56
	buffer_load_dword v3, off, s[0:3], 0 offset:60
	buffer_store_dword v1, off, s[0:3], 0 offset:56
	buffer_store_dword v1, off, s[0:3], 0 offset:60
	s_waitcnt vmcnt(0)
	ds_write_b64 v133, v[2:3]
.LBB123_359:
	s_or_b32 exec_lo, exec_lo, s4
	s_waitcnt lgkmcnt(0)
	s_waitcnt_vscnt null, 0x0
	s_barrier
	buffer_gl0_inv
	s_clause 0x3b
	buffer_load_dword v169, off, s[0:3], 0 offset:68
	buffer_load_dword v2, off, s[0:3], 0 offset:80
	buffer_load_dword v4, off, s[0:3], 0 offset:72
	buffer_load_dword v7, off, s[0:3], 0 offset:64
	buffer_load_dword v6, off, s[0:3], 0 offset:76
	buffer_load_dword v5, off, s[0:3], 0 offset:84
	buffer_load_dword v3, off, s[0:3], 0 offset:92
	buffer_load_dword v8, off, s[0:3], 0 offset:112
	buffer_load_dword v10, off, s[0:3], 0 offset:104
	buffer_load_dword v12, off, s[0:3], 0 offset:96
	buffer_load_dword v136, off, s[0:3], 0 offset:88
	buffer_load_dword v135, off, s[0:3], 0 offset:100
	buffer_load_dword v134, off, s[0:3], 0 offset:108
	buffer_load_dword v11, off, s[0:3], 0 offset:116
	buffer_load_dword v9, off, s[0:3], 0 offset:124
	buffer_load_dword v137, off, s[0:3], 0 offset:144
	buffer_load_dword v139, off, s[0:3], 0 offset:136
	buffer_load_dword v141, off, s[0:3], 0 offset:128
	buffer_load_dword v144, off, s[0:3], 0 offset:120
	buffer_load_dword v143, off, s[0:3], 0 offset:132
	buffer_load_dword v142, off, s[0:3], 0 offset:140
	buffer_load_dword v140, off, s[0:3], 0 offset:148
	buffer_load_dword v138, off, s[0:3], 0 offset:156
	buffer_load_dword v145, off, s[0:3], 0 offset:176
	buffer_load_dword v146, off, s[0:3], 0 offset:168
	buffer_load_dword v148, off, s[0:3], 0 offset:160
	buffer_load_dword v151, off, s[0:3], 0 offset:152
	buffer_load_dword v150, off, s[0:3], 0 offset:164
	buffer_load_dword v149, off, s[0:3], 0 offset:172
	buffer_load_dword v147, off, s[0:3], 0 offset:180
	buffer_load_dword v152, off, s[0:3], 0 offset:188
	buffer_load_dword v153, off, s[0:3], 0 offset:208
	buffer_load_dword v154, off, s[0:3], 0 offset:200
	buffer_load_dword v156, off, s[0:3], 0 offset:192
	buffer_load_dword v160, off, s[0:3], 0 offset:184
	buffer_load_dword v158, off, s[0:3], 0 offset:196
	buffer_load_dword v157, off, s[0:3], 0 offset:204
	buffer_load_dword v155, off, s[0:3], 0 offset:212
	buffer_load_dword v159, off, s[0:3], 0 offset:220
	buffer_load_dword v161, off, s[0:3], 0 offset:240
	buffer_load_dword v164, off, s[0:3], 0 offset:232
	buffer_load_dword v165, off, s[0:3], 0 offset:224
	buffer_load_dword v168, off, s[0:3], 0 offset:216
	buffer_load_dword v167, off, s[0:3], 0 offset:228
	buffer_load_dword v166, off, s[0:3], 0 offset:236
	buffer_load_dword v162, off, s[0:3], 0 offset:244
	buffer_load_dword v163, off, s[0:3], 0 offset:252
	buffer_load_dword v170, off, s[0:3], 0 offset:272
	buffer_load_dword v171, off, s[0:3], 0 offset:276
	buffer_load_dword v172, off, s[0:3], 0 offset:264
	buffer_load_dword v174, off, s[0:3], 0 offset:256
	buffer_load_dword v177, off, s[0:3], 0 offset:248
	buffer_load_dword v176, off, s[0:3], 0 offset:260
	buffer_load_dword v175, off, s[0:3], 0 offset:268
	buffer_load_dword v173, off, s[0:3], 0 offset:284
	buffer_load_dword v178, off, s[0:3], 0 offset:304
	buffer_load_dword v179, off, s[0:3], 0 offset:296
	buffer_load_dword v180, off, s[0:3], 0 offset:288
	buffer_load_dword v182, off, s[0:3], 0 offset:280
	buffer_load_dword v181, off, s[0:3], 0 offset:292
	ds_read_b128 v[183:186], v1 offset:544
	ds_read_b128 v[187:190], v1 offset:560
	;; [unrolled: 1-line block ×3, first 2 shown]
	s_mov_b32 s4, exec_lo
	s_waitcnt vmcnt(59) lgkmcnt(2)
	v_mul_f32_e32 v195, v183, v169
	v_mul_f32_e32 v196, v184, v169
	buffer_load_dword v169, off, s[0:3], 0 offset:60
	s_waitcnt vmcnt(56)
	v_mul_f32_e32 v197, v185, v6
	v_mul_f32_e32 v6, v186, v6
	v_fmac_f32_e32 v195, v184, v7
	v_fma_f32 v196, v183, v7, -v196
	s_waitcnt vmcnt(55) lgkmcnt(1)
	v_mul_f32_e32 v199, v187, v5
	v_fmac_f32_e32 v197, v186, v4
	v_fma_f32 v198, v185, v4, -v6
	v_mul_f32_e32 v183, v188, v5
	ds_read_b128 v[4:7], v1 offset:592
	v_fmac_f32_e32 v199, v188, v2
	s_waitcnt vmcnt(49) lgkmcnt(1)
	v_mul_f32_e32 v203, v191, v135
	v_mul_f32_e32 v201, v189, v3
	v_fma_f32 v200, v187, v2, -v183
	v_mul_f32_e32 v2, v190, v3
	ds_read_b128 v[183:186], v1 offset:608
	v_fmac_f32_e32 v203, v192, v12
	v_fmac_f32_e32 v201, v190, v136
	v_fma_f32 v202, v189, v136, -v2
	v_mul_f32_e32 v2, v192, v135
	ds_read_b128 v[187:190], v1 offset:624
	v_fma_f32 v12, v191, v12, -v2
	s_waitcnt vmcnt(48)
	v_mul_f32_e32 v191, v193, v134
	v_mul_f32_e32 v2, v194, v134
	s_waitcnt vmcnt(47) lgkmcnt(2)
	v_mul_f32_e32 v192, v4, v11
	v_fmac_f32_e32 v191, v194, v10
	v_fma_f32 v10, v193, v10, -v2
	v_mul_f32_e32 v2, v5, v11
	s_waitcnt vmcnt(46)
	v_mul_f32_e32 v193, v6, v9
	v_fmac_f32_e32 v192, v5, v8
	s_waitcnt vmcnt(41) lgkmcnt(1)
	v_mul_f32_e32 v194, v183, v143
	v_fma_f32 v11, v4, v8, -v2
	v_mul_f32_e32 v2, v7, v9
	v_fmac_f32_e32 v193, v7, v144
	v_fmac_f32_e32 v194, v184, v141
	s_waitcnt vmcnt(39) lgkmcnt(0)
	v_mul_f32_e32 v134, v188, v140
	v_fma_f32 v144, v6, v144, -v2
	v_mul_f32_e32 v6, v184, v143
	ds_read_b128 v[2:5], v1 offset:640
	v_mul_f32_e32 v143, v185, v142
	v_fma_f32 v141, v183, v141, -v6
	v_mul_f32_e32 v6, v186, v142
	v_fmac_f32_e32 v143, v186, v139
	v_mul_f32_e32 v142, v187, v140
	v_fma_f32 v140, v187, v137, -v134
	s_waitcnt vmcnt(38)
	v_mul_f32_e32 v183, v189, v138
	v_fma_f32 v139, v185, v139, -v6
	ds_read_b128 v[6:9], v1 offset:656
	v_mul_f32_e32 v134, v190, v138
	v_fmac_f32_e32 v142, v188, v137
	s_waitcnt vmcnt(34)
	v_fmac_f32_e32 v183, v190, v151
	v_fma_f32 v138, v189, v151, -v134
	ds_read_b128 v[134:137], v1 offset:672
	s_waitcnt vmcnt(33) lgkmcnt(2)
	v_mul_f32_e32 v151, v2, v150
	v_mul_f32_e32 v150, v3, v150
	v_fmac_f32_e32 v151, v3, v148
	v_fma_f32 v148, v2, v148, -v150
	s_waitcnt vmcnt(32)
	v_mul_f32_e32 v150, v4, v149
	v_mul_f32_e32 v2, v5, v149
	s_waitcnt vmcnt(31) lgkmcnt(1)
	v_mul_f32_e32 v149, v6, v147
	v_fmac_f32_e32 v150, v5, v146
	v_fma_f32 v146, v4, v146, -v2
	v_mul_f32_e32 v2, v7, v147
	s_waitcnt vmcnt(30)
	v_mul_f32_e32 v147, v8, v152
	v_mul_f32_e32 v152, v9, v152
	v_fmac_f32_e32 v149, v7, v145
	v_fma_f32 v145, v6, v145, -v2
	ds_read_b128 v[2:5], v1 offset:688
	s_waitcnt vmcnt(26)
	v_fmac_f32_e32 v147, v9, v160
	v_fma_f32 v152, v8, v160, -v152
	ds_read_b128 v[6:9], v1 offset:704
	s_waitcnt vmcnt(25) lgkmcnt(2)
	v_mul_f32_e32 v160, v134, v158
	v_mul_f32_e32 v158, v135, v158
	v_fmac_f32_e32 v160, v135, v156
	s_waitcnt vmcnt(24)
	v_mul_f32_e32 v135, v136, v157
	v_fma_f32 v134, v134, v156, -v158
	v_mul_f32_e32 v156, v137, v157
	buffer_load_dword v158, off, s[0:3], 0 offset:308
	v_fmac_f32_e32 v135, v137, v154
	buffer_load_dword v137, off, s[0:3], 0 offset:300
	v_fma_f32 v136, v136, v154, -v156
	s_waitcnt vmcnt(25) lgkmcnt(1)
	v_mul_f32_e32 v154, v2, v155
	v_mul_f32_e32 v155, v3, v155
	s_waitcnt vmcnt(24)
	v_mul_f32_e32 v156, v4, v159
	v_mul_f32_e32 v157, v5, v159
	v_fmac_f32_e32 v154, v3, v153
	v_fma_f32 v153, v2, v153, -v155
	s_waitcnt vmcnt(20)
	v_fmac_f32_e32 v156, v5, v168
	v_fma_f32 v155, v4, v168, -v157
	ds_read_b128 v[2:5], v1 offset:720
	s_waitcnt vmcnt(19) lgkmcnt(1)
	v_mul_f32_e32 v157, v6, v167
	v_mul_f32_e32 v159, v7, v167
	s_waitcnt vmcnt(18)
	v_mul_f32_e32 v167, v8, v166
	v_mul_f32_e32 v166, v9, v166
	buffer_load_dword v168, off, s[0:3], 0 offset:316
	v_fmac_f32_e32 v157, v7, v165
	v_fma_f32 v159, v6, v165, -v159
	v_add_f32_e32 v6, 0, v195
	v_add_f32_e32 v7, 0, v196
	v_fmac_f32_e32 v167, v9, v164
	v_fma_f32 v164, v8, v164, -v166
	s_clause 0x3
	buffer_load_dword v165, off, s[0:3], 0 offset:336
	buffer_load_dword v166, off, s[0:3], 0 offset:328
	;; [unrolled: 1-line block ×4, first 2 shown]
	v_add_f32_e32 v6, v6, v197
	v_add_f32_e32 v7, v7, v198
	s_clause 0x3
	buffer_load_dword v186, off, s[0:3], 0 offset:324
	buffer_load_dword v187, off, s[0:3], 0 offset:332
	;; [unrolled: 1-line block ×4, first 2 shown]
	v_add_f32_e32 v6, v6, v199
	v_add_f32_e32 v7, v7, v200
	s_waitcnt vmcnt(26) lgkmcnt(0)
	v_mul_f32_e32 v190, v2, v162
	v_mul_f32_e32 v8, v3, v162
	s_waitcnt vmcnt(25)
	v_mul_f32_e32 v162, v4, v163
	v_add_f32_e32 v6, v6, v201
	v_add_f32_e32 v7, v7, v202
	v_mul_f32_e32 v9, v5, v163
	v_fmac_f32_e32 v190, v3, v161
	v_fma_f32 v161, v2, v161, -v8
	v_add_f32_e32 v6, v6, v203
	v_add_f32_e32 v7, v7, v12
	s_waitcnt vmcnt(20)
	v_fmac_f32_e32 v162, v5, v177
	v_fma_f32 v163, v4, v177, -v9
	ds_read_b128 v[2:5], v1 offset:736
	v_add_f32_e32 v6, v6, v191
	v_add_f32_e32 v7, v7, v10
	s_clause 0x3
	buffer_load_dword v12, off, s[0:3], 0 offset:368
	buffer_load_dword v177, off, s[0:3], 0 offset:360
	;; [unrolled: 1-line block ×4, first 2 shown]
	v_add_f32_e32 v6, v6, v192
	v_add_f32_e32 v10, v7, v11
	s_clause 0x2
	buffer_load_dword v11, off, s[0:3], 0 offset:356
	buffer_load_dword v191, off, s[0:3], 0 offset:364
	;; [unrolled: 1-line block ×3, first 2 shown]
	v_add_f32_e32 v193, v6, v193
	ds_read_b128 v[6:9], v1 offset:752
	v_add_f32_e32 v10, v10, v144
	v_add_f32_e32 v193, v193, v194
	;; [unrolled: 1-line block ×3, first 2 shown]
	s_waitcnt vmcnt(26) lgkmcnt(1)
	v_mul_f32_e32 v144, v2, v176
	v_mul_f32_e32 v176, v3, v176
	s_waitcnt vmcnt(25)
	v_mul_f32_e32 v141, v5, v175
	v_mul_f32_e32 v194, v4, v175
	v_fmac_f32_e32 v144, v3, v174
	v_fma_f32 v174, v2, v174, -v176
	v_add_f32_e32 v2, v193, v143
	v_add_f32_e32 v3, v10, v139
	v_fma_f32 v143, v4, v172, -v141
	s_clause 0x3
	buffer_load_dword v10, off, s[0:3], 0 offset:380
	buffer_load_dword v175, off, s[0:3], 0 offset:388
	;; [unrolled: 1-line block ×4, first 2 shown]
	v_fmac_f32_e32 v194, v5, v172
	v_add_f32_e32 v2, v2, v142
	v_add_f32_e32 v3, v3, v140
	s_waitcnt lgkmcnt(0)
	v_mul_f32_e32 v142, v6, v171
	v_mul_f32_e32 v4, v7, v171
	s_clause 0x3
	buffer_load_dword v172, off, s[0:3], 0 offset:412
	buffer_load_dword v197, off, s[0:3], 0 offset:420
	;; [unrolled: 1-line block ×4, first 2 shown]
	v_add_f32_e32 v2, v2, v183
	v_add_f32_e32 v3, v3, v138
	s_clause 0x4
	buffer_load_dword v183, off, s[0:3], 0 offset:444
	buffer_load_dword v200, off, s[0:3], 0 offset:452
	;; [unrolled: 1-line block ×5, first 2 shown]
	v_fmac_f32_e32 v142, v7, v170
	v_add_f32_e32 v2, v2, v151
	v_add_f32_e32 v3, v3, v148
	v_fma_f32 v148, v6, v170, -v4
	s_clause 0x3
	buffer_load_dword v170, off, s[0:3], 0 offset:400
	buffer_load_dword v203, off, s[0:3], 0 offset:392
	;; [unrolled: 1-line block ×4, first 2 shown]
	v_add_f32_e32 v6, v2, v150
	v_add_f32_e32 v2, v3, v146
	;; [unrolled: 1-line block ×4, first 2 shown]
	s_waitcnt vmcnt(41)
	v_mul_f32_e32 v2, v9, v173
	v_mul_f32_e32 v145, v8, v173
	v_add_f32_e32 v6, v6, v147
	v_add_f32_e32 v7, v7, v152
	s_waitcnt vmcnt(37)
	v_fma_f32 v146, v8, v182, -v2
	ds_read_b128 v[2:5], v1 offset:768
	v_fmac_f32_e32 v145, v9, v182
	s_clause 0x3
	buffer_load_dword v173, off, s[0:3], 0 offset:432
	buffer_load_dword v182, off, s[0:3], 0 offset:424
	;; [unrolled: 1-line block ×4, first 2 shown]
	v_add_f32_e32 v7, v7, v134
	v_add_f32_e32 v6, v6, v160
	v_add_f32_e32 v134, v7, v136
	v_add_f32_e32 v135, v6, v135
	ds_read_b128 v[6:9], v1 offset:784
	v_add_f32_e32 v134, v134, v153
	v_add_f32_e32 v135, v135, v154
	s_waitcnt vmcnt(40) lgkmcnt(1)
	v_mul_f32_e32 v147, v2, v181
	v_mul_f32_e32 v136, v3, v181
	v_fmac_f32_e32 v147, v3, v180
	v_fma_f32 v149, v2, v180, -v136
	v_add_f32_e32 v2, v134, v155
	v_add_f32_e32 v3, v135, v156
	s_clause 0x3
	buffer_load_dword v154, off, s[0:3], 0 offset:464
	buffer_load_dword v155, off, s[0:3], 0 offset:456
	;; [unrolled: 1-line block ×4, first 2 shown]
	v_add_f32_e32 v2, v2, v159
	buffer_load_dword v159, off, s[0:3], 0 offset:472
	v_add_f32_e32 v3, v3, v157
	buffer_load_dword v157, off, s[0:3], 0 offset:56
	v_add_f32_e32 v2, v2, v164
	v_add_f32_e32 v135, v3, v167
	v_add_f32_e32 v138, v2, v161
	v_add_f32_e32 v139, v135, v190
	v_add_f32_e32 v138, v138, v163
	v_add_f32_e32 v139, v139, v162
	v_add_f32_e32 v161, v138, v174
	v_add_f32_e32 v144, v139, v144
	v_add_f32_e32 v143, v161, v143
	v_add_f32_e32 v144, v144, v194
	v_add_f32_e32 v143, v143, v148
	v_add_f32_e32 v142, v144, v142
	v_add_f32_e32 v146, v143, v146
	s_waitcnt vmcnt(44) lgkmcnt(0)
	v_mul_f32_e32 v152, v6, v158
	v_mul_f32_e32 v140, v7, v158
	s_waitcnt vmcnt(43)
	v_mul_f32_e32 v150, v4, v137
	v_mul_f32_e32 v134, v5, v137
	v_fmac_f32_e32 v152, v7, v178
	v_fma_f32 v158, v6, v178, -v140
	v_fmac_f32_e32 v150, v5, v179
	v_fma_f32 v151, v4, v179, -v134
	ds_read_b128 v[2:5], v1 offset:800
	ds_read_b128 v[134:137], v1 offset:816
	v_add_f32_e32 v179, v146, v149
	v_add_f32_e32 v151, v179, v151
	s_waitcnt vmcnt(42)
	v_mul_f32_e32 v153, v8, v168
	v_mul_f32_e32 v141, v9, v168
	s_waitcnt vmcnt(38)
	v_fmac_f32_e32 v153, v9, v185
	v_fma_f32 v162, v8, v185, -v141
	ds_read_b128 v[6:9], v1 offset:832
	ds_read_b128 v[138:141], v1 offset:848
	s_waitcnt vmcnt(36) lgkmcnt(3)
	v_mul_f32_e32 v164, v4, v187
	v_mul_f32_e32 v167, v5, v187
	;; [unrolled: 1-line block ×4, first 2 shown]
	s_waitcnt vmcnt(35) lgkmcnt(2)
	v_mul_f32_e32 v168, v134, v188
	v_fmac_f32_e32 v164, v5, v166
	v_fma_f32 v166, v4, v166, -v167
	v_add_f32_e32 v167, v142, v145
	v_fma_f32 v163, v2, v184, -v163
	v_fmac_f32_e32 v161, v3, v184
	v_mul_f32_e32 v148, v135, v188
	s_waitcnt vmcnt(34)
	v_mul_f32_e32 v178, v137, v189
	v_add_f32_e32 v167, v167, v147
	v_fmac_f32_e32 v168, v135, v165
	v_mul_f32_e32 v174, v136, v189
	v_fma_f32 v165, v134, v165, -v148
	ds_read_b128 v[2:5], v1 offset:864
	ds_read_b128 v[142:145], v1 offset:880
	v_add_f32_e32 v150, v167, v150
	s_waitcnt vmcnt(30)
	v_fma_f32 v178, v136, v196, -v178
	v_fmac_f32_e32 v174, v137, v196
	v_add_f32_e32 v150, v150, v152
	s_waitcnt vmcnt(29) lgkmcnt(3)
	v_mul_f32_e32 v179, v6, v11
	v_mul_f32_e32 v11, v7, v11
	s_waitcnt vmcnt(28)
	v_mul_f32_e32 v167, v8, v191
	v_mul_f32_e32 v180, v9, v191
	ds_read_b128 v[134:137], v1 offset:896
	ds_read_b128 v[146:149], v1 offset:912
	v_fmac_f32_e32 v179, v7, v195
	v_add_f32_e32 v7, v151, v158
	v_fmac_f32_e32 v167, v9, v177
	v_fma_f32 v158, v8, v177, -v180
	v_add_f32_e32 v177, v150, v153
	v_fma_f32 v11, v6, v195, -v11
	v_add_f32_e32 v162, v7, v162
	ds_read_b128 v[6:9], v1 offset:928
	ds_read_b128 v[150:153], v1 offset:944
	s_waitcnt vmcnt(27) lgkmcnt(6)
	v_mul_f32_e32 v1, v138, v192
	v_add_f32_e32 v161, v177, v161
	v_add_f32_e32 v162, v162, v163
	v_mul_f32_e32 v163, v139, v192
	v_fmac_f32_e32 v1, v139, v12
	v_add_f32_e32 v161, v161, v164
	v_add_f32_e32 v162, v162, v166
	s_waitcnt vmcnt(26)
	v_mul_f32_e32 v177, v140, v10
	v_mul_f32_e32 v10, v141, v10
	v_add_f32_e32 v161, v161, v168
	v_fma_f32 v12, v138, v12, -v163
	v_add_f32_e32 v162, v162, v165
	s_waitcnt vmcnt(25) lgkmcnt(5)
	v_mul_f32_e32 v166, v2, v175
	s_waitcnt vmcnt(24)
	v_mul_f32_e32 v164, v4, v176
	v_add_f32_e32 v161, v161, v174
	s_waitcnt vmcnt(23) lgkmcnt(4)
	v_mul_f32_e32 v180, v142, v193
	v_add_f32_e32 v162, v162, v178
	s_waitcnt vmcnt(22)
	v_mul_f32_e32 v165, v144, v172
	s_waitcnt vmcnt(21) lgkmcnt(3)
	v_mul_f32_e32 v168, v134, v197
	v_add_f32_e32 v161, v161, v179
	s_waitcnt vmcnt(20)
	v_mul_f32_e32 v181, v136, v198
	v_add_f32_e32 v11, v162, v11
	s_waitcnt vmcnt(12)
	v_fmac_f32_e32 v164, v5, v203
	s_waitcnt vmcnt(11)
	v_fmac_f32_e32 v166, v3, v204
	v_add_f32_e32 v139, v161, v167
	s_waitcnt vmcnt(10)
	v_fma_f32 v10, v140, v205, -v10
	v_add_f32_e32 v11, v11, v158
	v_mul_f32_e32 v158, v3, v175
	v_fmac_f32_e32 v177, v141, v205
	v_add_f32_e32 v1, v139, v1
	v_fmac_f32_e32 v180, v143, v170
	v_add_f32_e32 v11, v11, v12
	v_mul_f32_e32 v12, v5, v176
	v_fma_f32 v2, v2, v204, -v158
	v_add_f32_e32 v1, v1, v177
	s_waitcnt lgkmcnt(2)
	v_mul_f32_e32 v178, v146, v199
	v_add_f32_e32 v3, v11, v10
	v_mul_f32_e32 v10, v143, v193
	v_fma_f32 v4, v4, v203, -v12
	v_add_f32_e32 v1, v1, v166
	s_waitcnt vmcnt(7)
	v_fmac_f32_e32 v168, v135, v206
	v_add_f32_e32 v2, v3, v2
	v_mul_f32_e32 v3, v145, v172
	v_fma_f32 v5, v142, v170, -v10
	v_add_f32_e32 v1, v1, v164
	s_waitcnt vmcnt(6)
	v_fmac_f32_e32 v165, v145, v207
	v_add_f32_e32 v2, v2, v4
	v_mul_f32_e32 v4, v135, v197
	v_fma_f32 v3, v144, v207, -v3
	v_add_f32_e32 v1, v1, v180
	v_fmac_f32_e32 v181, v137, v182
	v_add_f32_e32 v2, v2, v5
	v_mul_f32_e32 v5, v137, v198
	v_fma_f32 v4, v134, v206, -v4
	v_add_f32_e32 v1, v1, v165
	v_mul_f32_e32 v174, v148, v183
	v_add_f32_e32 v2, v2, v3
	v_mul_f32_e32 v3, v147, v199
	v_fma_f32 v5, v136, v182, -v5
	v_add_f32_e32 v1, v1, v168
	v_fmac_f32_e32 v178, v147, v173
	v_add_f32_e32 v2, v2, v4
	v_mul_f32_e32 v4, v149, v183
	v_fma_f32 v3, v146, v173, -v3
	v_add_f32_e32 v1, v1, v181
	s_waitcnt lgkmcnt(1)
	v_mul_f32_e32 v184, v6, v200
	v_add_f32_e32 v2, v2, v5
	v_mul_f32_e32 v5, v7, v200
	s_waitcnt vmcnt(2)
	v_fma_f32 v4, v148, v160, -v4
	v_fmac_f32_e32 v174, v149, v160
	v_add_f32_e32 v1, v1, v178
	v_add_f32_e32 v2, v2, v3
	v_mul_f32_e32 v3, v9, v201
	v_fma_f32 v5, v6, v156, -v5
	v_mul_f32_e32 v162, v8, v201
	v_fmac_f32_e32 v184, v7, v156
	v_add_f32_e32 v2, v2, v4
	v_add_f32_e32 v1, v1, v174
	s_waitcnt lgkmcnt(0)
	v_mul_f32_e32 v4, v151, v202
	v_fma_f32 v3, v8, v155, -v3
	v_mul_f32_e32 v179, v150, v202
	v_add_f32_e32 v2, v2, v5
	v_fmac_f32_e32 v162, v9, v155
	v_add_f32_e32 v1, v1, v184
	v_mul_f32_e32 v5, v153, v171
	v_fma_f32 v4, v150, v154, -v4
	v_add_f32_e32 v2, v2, v3
	v_mul_f32_e32 v138, v152, v171
	v_fmac_f32_e32 v179, v151, v154
	v_add_f32_e32 v1, v1, v162
	s_waitcnt vmcnt(1)
	v_fma_f32 v3, v152, v159, -v5
	v_add_f32_e32 v2, v2, v4
	v_fmac_f32_e32 v138, v153, v159
	v_add_f32_e32 v1, v1, v179
	v_add_f32_e32 v2, v2, v3
	;; [unrolled: 1-line block ×3, first 2 shown]
	s_waitcnt vmcnt(0)
	v_sub_f32_e32 v2, v157, v2
	v_sub_f32_e32 v1, v169, v1
	buffer_store_dword v2, off, s[0:3], 0 offset:56
	buffer_store_dword v1, off, s[0:3], 0 offset:60
	v_cmpx_lt_u32_e32 6, v0
	s_cbranch_execz .LBB123_361
; %bb.360:
	s_clause 0x1
	buffer_load_dword v1, off, s[0:3], 0 offset:48
	buffer_load_dword v2, off, s[0:3], 0 offset:52
	v_mov_b32_e32 v3, 0
	buffer_store_dword v3, off, s[0:3], 0 offset:48
	buffer_store_dword v3, off, s[0:3], 0 offset:52
	s_waitcnt vmcnt(0)
	ds_write_b64 v133, v[1:2]
.LBB123_361:
	s_or_b32 exec_lo, exec_lo, s4
	s_waitcnt lgkmcnt(0)
	s_waitcnt_vscnt null, 0x0
	s_barrier
	buffer_gl0_inv
	s_clause 0x3b
	buffer_load_dword v9, off, s[0:3], 0 offset:60
	buffer_load_dword v2, off, s[0:3], 0 offset:72
	;; [unrolled: 1-line block ×60, first 2 shown]
	v_mov_b32_e32 v1, 0
	ds_read2_b64 v[179:182], v1 offset0:67 offset1:68
	ds_read2_b64 v[183:186], v1 offset0:69 offset1:70
	;; [unrolled: 1-line block ×3, first 2 shown]
	buffer_load_dword v196, off, s[0:3], 0 offset:52
	s_mov_b32 s4, exec_lo
	s_waitcnt vmcnt(60) lgkmcnt(2)
	v_mul_f32_e32 v195, v179, v9
	v_mul_f32_e32 v9, v180, v9
	s_waitcnt vmcnt(56)
	v_mul_f32_e32 v197, v181, v6
	v_mul_f32_e32 v6, v182, v6
	v_fmac_f32_e32 v195, v180, v7
	v_fma_f32 v9, v179, v7, -v9
	s_waitcnt vmcnt(55) lgkmcnt(1)
	v_mul_f32_e32 v199, v183, v5
	v_fmac_f32_e32 v197, v182, v4
	v_fma_f32 v198, v181, v4, -v6
	v_mul_f32_e32 v179, v184, v5
	ds_read2_b64 v[4:7], v1 offset0:73 offset1:74
	v_fmac_f32_e32 v199, v184, v2
	s_waitcnt vmcnt(54)
	v_mul_f32_e32 v201, v185, v3
	s_waitcnt vmcnt(49) lgkmcnt(1)
	v_mul_f32_e32 v202, v187, v168
	v_fma_f32 v200, v183, v2, -v179
	v_mul_f32_e32 v2, v186, v3
	ds_read2_b64 v[179:182], v1 offset0:75 offset1:76
	v_fmac_f32_e32 v201, v186, v169
	v_fmac_f32_e32 v202, v188, v164
	v_add_f32_e32 v9, 0, v9
	v_fma_f32 v169, v185, v169, -v2
	v_mul_f32_e32 v2, v188, v168
	ds_read2_b64 v[183:186], v1 offset0:77 offset1:78
	v_add_f32_e32 v9, v9, v198
	v_fma_f32 v168, v187, v164, -v2
	s_waitcnt vmcnt(48)
	v_mul_f32_e32 v187, v189, v165
	v_mul_f32_e32 v2, v190, v165
	v_add_f32_e32 v9, v9, v200
	s_waitcnt vmcnt(47) lgkmcnt(2)
	v_mul_f32_e32 v188, v4, v160
	v_fmac_f32_e32 v187, v190, v156
	v_fma_f32 v156, v189, v156, -v2
	v_mul_f32_e32 v2, v5, v160
	v_fmac_f32_e32 v188, v5, v144
	s_waitcnt vmcnt(46)
	v_mul_f32_e32 v189, v6, v153
	v_fma_f32 v144, v4, v144, -v2
	v_mul_f32_e32 v2, v7, v153
	s_waitcnt vmcnt(42)
	v_fmac_f32_e32 v189, v7, v167
	s_waitcnt vmcnt(41) lgkmcnt(1)
	v_mul_f32_e32 v153, v179, v166
	v_mul_f32_e32 v7, v180, v166
	v_fma_f32 v6, v6, v167, -v2
	ds_read2_b64 v[2:5], v1 offset0:79 offset1:80
	ds_read2_b64 v[164:167], v1 offset0:81 offset1:82
	v_fmac_f32_e32 v153, v180, v159
	v_fma_f32 v179, v179, v159, -v7
	s_waitcnt vmcnt(40)
	v_mul_f32_e32 v180, v181, v161
	v_mul_f32_e32 v7, v182, v161
	v_fmac_f32_e32 v180, v182, v151
	v_fma_f32 v181, v181, v151, -v7
	s_waitcnt vmcnt(39) lgkmcnt(2)
	v_mul_f32_e32 v182, v183, v157
	v_mul_f32_e32 v7, v184, v157
	s_waitcnt vmcnt(38)
	v_mul_f32_e32 v157, v185, v149
	v_fmac_f32_e32 v182, v184, v139
	v_fma_f32 v139, v183, v139, -v7
	v_mul_f32_e32 v7, v186, v149
	s_waitcnt vmcnt(34)
	v_fmac_f32_e32 v157, v186, v163
	s_waitcnt vmcnt(33) lgkmcnt(1)
	v_mul_f32_e32 v183, v2, v162
	s_waitcnt vmcnt(30) lgkmcnt(0)
	v_mul_f32_e32 v186, v166, v146
	v_fma_f32 v163, v185, v163, -v7
	v_mul_f32_e32 v7, v3, v162
	ds_read2_b64 v[159:162], v1 offset0:83 offset1:84
	v_mul_f32_e32 v185, v4, v154
	v_fmac_f32_e32 v183, v3, v152
	s_waitcnt vmcnt(26)
	v_fmac_f32_e32 v186, v167, v158
	v_fma_f32 v184, v2, v152, -v7
	v_mul_f32_e32 v2, v5, v154
	v_fmac_f32_e32 v185, v5, v142
	v_mul_f32_e32 v154, v164, v150
	v_mul_f32_e32 v7, v167, v146
	v_fma_f32 v142, v4, v142, -v2
	v_mul_f32_e32 v2, v165, v150
	v_fmac_f32_e32 v154, v165, v135
	v_fma_f32 v146, v166, v158, -v7
	ds_read2_b64 v[149:152], v1 offset0:87 offset1:88
	v_fma_f32 v135, v164, v135, -v2
	ds_read2_b64 v[2:5], v1 offset0:85 offset1:86
	s_waitcnt vmcnt(25) lgkmcnt(2)
	v_mul_f32_e32 v158, v159, v155
	v_mul_f32_e32 v7, v160, v155
	s_waitcnt vmcnt(24)
	v_mul_f32_e32 v155, v161, v147
	v_fmac_f32_e32 v158, v160, v145
	v_fma_f32 v145, v159, v145, -v7
	v_mul_f32_e32 v7, v162, v147
	v_fmac_f32_e32 v155, v162, v137
	s_clause 0x1
	buffer_load_dword v147, off, s[0:3], 0 offset:292
	buffer_load_dword v160, off, s[0:3], 0 offset:300
	v_fma_f32 v137, v161, v137, -v7
	buffer_load_dword v161, off, s[0:3], 0 offset:308
	s_waitcnt vmcnt(26) lgkmcnt(0)
	v_mul_f32_e32 v159, v2, v140
	v_mul_f32_e32 v7, v3, v140
	s_waitcnt vmcnt(25)
	v_mul_f32_e32 v140, v4, v138
	v_mul_f32_e32 v138, v5, v138
	v_fmac_f32_e32 v159, v3, v12
	v_fma_f32 v12, v2, v12, -v7
	s_waitcnt vmcnt(21)
	v_fmac_f32_e32 v140, v5, v148
	v_fma_f32 v138, v4, v148, -v138
	ds_read2_b64 v[2:5], v1 offset0:89 offset1:90
	s_waitcnt vmcnt(20)
	v_mul_f32_e32 v148, v149, v143
	v_mul_f32_e32 v7, v150, v143
	s_waitcnt vmcnt(19)
	v_mul_f32_e32 v143, v151, v141
	v_mul_f32_e32 v141, v152, v141
	v_fmac_f32_e32 v148, v150, v136
	v_fma_f32 v136, v149, v136, -v7
	v_add_f32_e32 v7, 0, v195
	v_fmac_f32_e32 v143, v152, v134
	v_fma_f32 v134, v151, v134, -v141
	s_clause 0x6
	buffer_load_dword v149, off, s[0:3], 0 offset:328
	buffer_load_dword v150, off, s[0:3], 0 offset:320
	;; [unrolled: 1-line block ×7, first 2 shown]
	v_add_f32_e32 v7, v7, v197
	buffer_load_dword v165, off, s[0:3], 0 offset:340
	v_add_f32_e32 v7, v7, v199
	s_waitcnt vmcnt(26) lgkmcnt(0)
	v_mul_f32_e32 v166, v2, v11
	v_mul_f32_e32 v11, v3, v11
	s_waitcnt vmcnt(25)
	v_mul_f32_e32 v167, v4, v10
	v_add_f32_e32 v7, v7, v201
	v_mul_f32_e32 v10, v5, v10
	v_fmac_f32_e32 v166, v3, v8
	v_fma_f32 v11, v2, v8, -v11
	v_add_f32_e32 v8, v9, v169
	v_add_f32_e32 v7, v7, v202
	s_waitcnt vmcnt(21)
	v_fmac_f32_e32 v167, v5, v191
	v_fma_f32 v10, v4, v191, -v10
	ds_read2_b64 v[2:5], v1 offset0:91 offset1:92
	v_add_f32_e32 v8, v8, v168
	v_add_f32_e32 v7, v7, v187
	s_clause 0x3
	buffer_load_dword v168, off, s[0:3], 0 offset:360
	buffer_load_dword v169, off, s[0:3], 0 offset:352
	;; [unrolled: 1-line block ×4, first 2 shown]
	v_add_f32_e32 v8, v8, v156
	v_add_f32_e32 v8, v8, v144
	v_add_f32_e32 v144, v7, v188
	s_clause 0x2
	buffer_load_dword v156, off, s[0:3], 0 offset:348
	buffer_load_dword v187, off, s[0:3], 0 offset:356
	;; [unrolled: 1-line block ×3, first 2 shown]
	v_add_f32_e32 v195, v8, v6
	v_add_f32_e32 v144, v144, v189
	ds_read2_b64 v[6:9], v1 offset0:93 offset1:94
	s_waitcnt vmcnt(27) lgkmcnt(1)
	v_mul_f32_e32 v189, v2, v178
	v_mul_f32_e32 v178, v3, v178
	v_add_f32_e32 v179, v195, v179
	s_waitcnt vmcnt(26)
	v_mul_f32_e32 v195, v4, v177
	v_mul_f32_e32 v177, v5, v177
	v_fmac_f32_e32 v189, v3, v176
	v_add_f32_e32 v3, v144, v153
	v_add_f32_e32 v144, v179, v181
	v_fma_f32 v153, v2, v176, -v178
	v_fmac_f32_e32 v195, v5, v174
	v_fma_f32 v174, v4, v174, -v177
	v_add_f32_e32 v2, v3, v180
	v_add_f32_e32 v3, v144, v139
	s_clause 0x7
	buffer_load_dword v176, off, s[0:3], 0 offset:372
	buffer_load_dword v177, off, s[0:3], 0 offset:380
	;; [unrolled: 1-line block ×8, first 2 shown]
	v_add_f32_e32 v2, v2, v182
	v_add_f32_e32 v3, v3, v163
	s_waitcnt vmcnt(33) lgkmcnt(0)
	v_mul_f32_e32 v144, v6, v173
	v_mul_f32_e32 v4, v7, v173
	s_clause 0x1
	buffer_load_dword v163, off, s[0:3], 0 offset:404
	buffer_load_dword v182, off, s[0:3], 0 offset:412
	v_add_f32_e32 v2, v2, v157
	v_add_f32_e32 v3, v3, v184
	v_fmac_f32_e32 v144, v7, v171
	v_fma_f32 v171, v6, v171, -v4
	s_clause 0x1
	buffer_load_dword v157, off, s[0:3], 0 offset:420
	buffer_load_dword v173, off, s[0:3], 0 offset:428
	v_add_f32_e32 v2, v2, v183
	v_add_f32_e32 v3, v3, v142
	s_clause 0x3
	buffer_load_dword v183, off, s[0:3], 0 offset:436
	buffer_load_dword v184, off, s[0:3], 0 offset:444
	;; [unrolled: 1-line block ×4, first 2 shown]
	s_waitcnt vmcnt(40)
	v_mul_f32_e32 v142, v8, v170
	v_add_f32_e32 v2, v2, v185
	v_add_f32_e32 v6, v3, v135
	v_mul_f32_e32 v3, v9, v170
	buffer_load_dword v185, off, s[0:3], 0 offset:468
	s_waitcnt vmcnt(37)
	v_fmac_f32_e32 v142, v9, v193
	v_add_f32_e32 v7, v2, v154
	v_add_f32_e32 v6, v6, v146
	v_fma_f32 v170, v8, v193, -v3
	ds_read2_b64 v[2:5], v1 offset0:95 offset1:96
	buffer_load_dword v154, off, s[0:3], 0 offset:476
	v_add_f32_e32 v7, v7, v186
	v_add_f32_e32 v6, v6, v145
	;; [unrolled: 1-line block ×3, first 2 shown]
	s_clause 0x3
	buffer_load_dword v158, off, s[0:3], 0 offset:424
	buffer_load_dword v186, off, s[0:3], 0 offset:416
	;; [unrolled: 1-line block ×4, first 2 shown]
	v_add_f32_e32 v6, v6, v137
	v_add_f32_e32 v135, v7, v155
	;; [unrolled: 1-line block ×3, first 2 shown]
	ds_read2_b64 v[6:9], v1 offset0:97 offset1:98
	v_add_f32_e32 v135, v135, v159
	v_add_f32_e32 v12, v12, v138
	s_waitcnt vmcnt(41) lgkmcnt(1)
	v_mul_f32_e32 v145, v2, v194
	v_mul_f32_e32 v137, v3, v194
	v_fmac_f32_e32 v145, v3, v192
	v_fma_f32 v146, v2, v192, -v137
	v_add_f32_e32 v3, v12, v136
	s_clause 0x6
	buffer_load_dword v12, off, s[0:3], 0 offset:456
	buffer_load_dword v155, off, s[0:3], 0 offset:448
	;; [unrolled: 1-line block ×7, first 2 shown]
	v_add_f32_e32 v2, v135, v140
	v_add_f32_e32 v3, v3, v134
	;; [unrolled: 1-line block ×18, first 2 shown]
	s_waitcnt vmcnt(46)
	v_mul_f32_e32 v11, v4, v147
	v_mul_f32_e32 v134, v5, v147
	s_waitcnt vmcnt(45) lgkmcnt(0)
	v_mul_f32_e32 v153, v6, v160
	v_mul_f32_e32 v139, v7, v160
	s_waitcnt vmcnt(44)
	v_mul_f32_e32 v160, v8, v161
	v_mul_f32_e32 v140, v9, v161
	v_fmac_f32_e32 v11, v5, v175
	v_fma_f32 v147, v4, v175, -v134
	ds_read2_b64 v[2:5], v1 offset0:99 offset1:100
	ds_read2_b64 v[134:137], v1 offset0:101 offset1:102
	v_fmac_f32_e32 v153, v7, v172
	v_fma_f32 v161, v6, v172, -v139
	v_add_f32_e32 v10, v10, v147
	v_add_f32_e32 v11, v146, v11
	v_add_f32_e32 v10, v10, v161
	v_add_f32_e32 v11, v11, v153
	s_waitcnt vmcnt(40)
	v_fmac_f32_e32 v160, v9, v141
	v_fma_f32 v166, v8, v141, -v140
	ds_read2_b64 v[6:9], v1 offset0:103 offset1:104
	ds_read2_b64 v[138:141], v1 offset0:105 offset1:106
	s_waitcnt vmcnt(39) lgkmcnt(3)
	v_mul_f32_e32 v167, v2, v152
	v_mul_f32_e32 v148, v3, v152
	s_waitcnt vmcnt(38)
	v_mul_f32_e32 v171, v4, v162
	v_mul_f32_e32 v144, v5, v162
	s_waitcnt vmcnt(37) lgkmcnt(2)
	v_mul_f32_e32 v162, v134, v164
	v_mul_f32_e32 v152, v135, v164
	v_fmac_f32_e32 v167, v3, v151
	v_fma_f32 v151, v2, v151, -v148
	v_fmac_f32_e32 v171, v5, v150
	v_fma_f32 v164, v4, v150, -v144
	s_waitcnt vmcnt(36)
	v_mul_f32_e32 v170, v136, v165
	v_mul_f32_e32 v148, v137, v165
	v_fma_f32 v165, v134, v149, -v152
	v_fmac_f32_e32 v162, v135, v149
	ds_read2_b64 v[2:5], v1 offset0:107 offset1:108
	ds_read2_b64 v[142:145], v1 offset0:109 offset1:110
	s_waitcnt vmcnt(32)
	v_fma_f32 v172, v136, v191, -v148
	v_fmac_f32_e32 v170, v137, v191
	ds_read2_b64 v[134:137], v1 offset0:111 offset1:112
	ds_read2_b64 v[146:149], v1 offset0:113 offset1:114
	s_waitcnt vmcnt(31) lgkmcnt(5)
	v_mul_f32_e32 v161, v6, v156
	v_mul_f32_e32 v150, v7, v156
	s_waitcnt vmcnt(30)
	v_mul_f32_e32 v152, v9, v187
	v_mul_f32_e32 v174, v8, v187
	v_fmac_f32_e32 v161, v7, v190
	v_add_f32_e32 v7, v10, v166
	v_add_f32_e32 v10, v11, v160
	v_fma_f32 v156, v6, v190, -v150
	v_fma_f32 v160, v8, v169, -v152
	v_fmac_f32_e32 v174, v9, v169
	v_add_f32_e32 v166, v7, v151
	v_add_f32_e32 v167, v10, v167
	ds_read2_b64 v[6:9], v1 offset0:115 offset1:116
	ds_read2_b64 v[150:153], v1 offset0:117 offset1:118
	ds_read_b64 v[10:11], v1 offset:952
	s_waitcnt vmcnt(28) lgkmcnt(7)
	v_mul_f32_e32 v175, v141, v176
	v_add_f32_e32 v164, v166, v164
	v_add_f32_e32 v167, v167, v171
	v_mul_f32_e32 v171, v139, v188
	v_mul_f32_e32 v166, v138, v188
	;; [unrolled: 1-line block ×3, first 2 shown]
	v_add_f32_e32 v164, v164, v165
	v_add_f32_e32 v162, v167, v162
	v_fma_f32 v138, v138, v168, -v171
	v_fmac_f32_e32 v166, v139, v168
	s_waitcnt vmcnt(27) lgkmcnt(6)
	v_mul_f32_e32 v165, v2, v177
	v_add_f32_e32 v164, v164, v172
	v_add_f32_e32 v162, v162, v170
	v_mul_f32_e32 v171, v3, v177
	s_waitcnt vmcnt(21)
	v_fma_f32 v140, v140, v198, -v175
	v_fmac_f32_e32 v169, v141, v198
	v_add_f32_e32 v156, v164, v156
	v_add_f32_e32 v161, v162, v161
	v_fmac_f32_e32 v165, v3, v197
	v_fma_f32 v2, v2, v197, -v171
	v_mul_f32_e32 v167, v4, v178
	v_add_f32_e32 v156, v156, v160
	v_add_f32_e32 v160, v161, v174
	v_mul_f32_e32 v161, v5, v178
	s_waitcnt lgkmcnt(5)
	v_mul_f32_e32 v139, v142, v179
	v_fmac_f32_e32 v167, v5, v181
	v_add_f32_e32 v138, v156, v138
	v_add_f32_e32 v156, v160, v166
	v_fma_f32 v4, v4, v181, -v161
	s_waitcnt vmcnt(20)
	v_mul_f32_e32 v5, v145, v163
	v_mul_f32_e32 v168, v144, v163
	v_add_f32_e32 v3, v138, v140
	v_add_f32_e32 v138, v156, v169
	v_mul_f32_e32 v140, v143, v179
	v_fmac_f32_e32 v139, v143, v180
	s_waitcnt vmcnt(19) lgkmcnt(4)
	v_mul_f32_e32 v170, v134, v182
	v_add_f32_e32 v2, v3, v2
	v_add_f32_e32 v3, v138, v165
	v_fma_f32 v138, v142, v180, -v140
	s_waitcnt vmcnt(18)
	v_mul_f32_e32 v141, v136, v157
	s_waitcnt vmcnt(8)
	v_fmac_f32_e32 v170, v135, v193
	v_add_f32_e32 v2, v2, v4
	v_add_f32_e32 v3, v3, v167
	v_mul_f32_e32 v4, v135, v182
	s_waitcnt vmcnt(7)
	v_fma_f32 v5, v144, v201, -v5
	v_fmac_f32_e32 v168, v145, v201
	v_add_f32_e32 v2, v2, v138
	v_add_f32_e32 v3, v3, v139
	v_mul_f32_e32 v138, v137, v157
	v_fma_f32 v4, v134, v193, -v4
	s_waitcnt lgkmcnt(3)
	v_mul_f32_e32 v172, v146, v173
	v_add_f32_e32 v2, v2, v5
	v_add_f32_e32 v3, v3, v168
	v_mul_f32_e32 v5, v147, v173
	v_fma_f32 v134, v136, v186, -v138
	v_fmac_f32_e32 v141, v137, v186
	v_add_f32_e32 v2, v2, v4
	v_add_f32_e32 v3, v3, v170
	v_mul_f32_e32 v4, v149, v183
	v_fma_f32 v5, v146, v158, -v5
	v_mul_f32_e32 v162, v148, v183
	v_add_f32_e32 v2, v2, v134
	v_fmac_f32_e32 v172, v147, v158
	v_add_f32_e32 v3, v3, v141
	s_waitcnt lgkmcnt(2)
	v_mul_f32_e32 v134, v7, v184
	s_waitcnt vmcnt(3)
	v_fma_f32 v4, v148, v192, -v4
	v_add_f32_e32 v2, v2, v5
	v_mul_f32_e32 v164, v6, v184
	v_fmac_f32_e32 v162, v149, v192
	v_add_f32_e32 v3, v3, v172
	v_mul_f32_e32 v5, v9, v199
	v_fma_f32 v6, v6, v159, -v134
	v_add_f32_e32 v2, v2, v4
	v_mul_f32_e32 v175, v8, v199
	v_fmac_f32_e32 v164, v7, v159
	v_add_f32_e32 v3, v3, v162
	s_waitcnt lgkmcnt(1)
	v_mul_f32_e32 v4, v151, v200
	v_fma_f32 v5, v8, v155, -v5
	v_add_f32_e32 v2, v2, v6
	v_mul_f32_e32 v174, v150, v200
	v_fmac_f32_e32 v175, v9, v155
	v_add_f32_e32 v3, v3, v164
	v_mul_f32_e32 v6, v153, v185
	v_fma_f32 v4, v150, v12, -v4
	v_add_f32_e32 v2, v2, v5
	v_mul_f32_e32 v176, v152, v185
	v_fmac_f32_e32 v174, v151, v12
	v_add_f32_e32 v3, v3, v175
	s_waitcnt lgkmcnt(0)
	v_mul_f32_e32 v5, v11, v154
	s_waitcnt vmcnt(1)
	v_fma_f32 v6, v152, v202, -v6
	v_add_f32_e32 v2, v2, v4
	v_mul_f32_e32 v160, v10, v154
	v_fmac_f32_e32 v176, v153, v202
	v_add_f32_e32 v3, v3, v174
	v_fma_f32 v4, v10, v194, -v5
	v_add_f32_e32 v2, v2, v6
	v_fmac_f32_e32 v160, v11, v194
	v_add_f32_e32 v3, v3, v176
	v_add_f32_e32 v2, v2, v4
	;; [unrolled: 1-line block ×3, first 2 shown]
	s_waitcnt vmcnt(0)
	v_sub_f32_e32 v2, v203, v2
	v_sub_f32_e32 v3, v196, v3
	buffer_store_dword v2, off, s[0:3], 0 offset:48
	buffer_store_dword v3, off, s[0:3], 0 offset:52
	v_cmpx_lt_u32_e32 5, v0
	s_cbranch_execz .LBB123_363
; %bb.362:
	s_clause 0x1
	buffer_load_dword v2, off, s[0:3], 0 offset:40
	buffer_load_dword v3, off, s[0:3], 0 offset:44
	buffer_store_dword v1, off, s[0:3], 0 offset:40
	buffer_store_dword v1, off, s[0:3], 0 offset:44
	s_waitcnt vmcnt(0)
	ds_write_b64 v133, v[2:3]
.LBB123_363:
	s_or_b32 exec_lo, exec_lo, s4
	s_waitcnt lgkmcnt(0)
	s_waitcnt_vscnt null, 0x0
	s_barrier
	buffer_gl0_inv
	s_clause 0x3c
	buffer_load_dword v9, off, s[0:3], 0 offset:52
	buffer_load_dword v10, off, s[0:3], 0 offset:60
	;; [unrolled: 1-line block ×61, first 2 shown]
	ds_read_b128 v[179:182], v1 offset:528
	ds_read_b128 v[183:186], v1 offset:544
	buffer_load_dword v194, off, s[0:3], 0 offset:44
	s_mov_b32 s4, exec_lo
	s_waitcnt vmcnt(61) lgkmcnt(1)
	v_mul_f32_e32 v192, v179, v9
	v_mul_f32_e32 v9, v180, v9
	s_waitcnt vmcnt(60)
	v_mul_f32_e32 v193, v181, v10
	v_mul_f32_e32 v10, v182, v10
	s_waitcnt vmcnt(57)
	v_fmac_f32_e32 v192, v180, v6
	v_fma_f32 v195, v179, v6, -v9
	v_fmac_f32_e32 v193, v182, v5
	v_fma_f32 v196, v181, v5, -v10
	ds_read_b128 v[179:182], v1 offset:560
	s_waitcnt vmcnt(56) lgkmcnt(1)
	v_mul_f32_e32 v197, v183, v4
	v_mul_f32_e32 v4, v184, v4
	s_waitcnt vmcnt(55)
	v_mul_f32_e32 v198, v185, v3
	v_mul_f32_e32 v3, v186, v3
	v_fmac_f32_e32 v197, v184, v2
	v_fma_f32 v183, v183, v2, -v4
	s_waitcnt vmcnt(51)
	v_fmac_f32_e32 v198, v186, v169
	v_fma_f32 v169, v185, v169, -v3
	ds_read_b128 v[2:5], v1 offset:576
	s_waitcnt vmcnt(50) lgkmcnt(1)
	v_mul_f32_e32 v184, v179, v168
	v_mul_f32_e32 v6, v180, v168
	s_waitcnt vmcnt(49)
	v_mul_f32_e32 v168, v181, v166
	v_mul_f32_e32 v9, v182, v166
	v_fmac_f32_e32 v184, v180, v162
	v_fma_f32 v162, v179, v162, -v6
	v_fmac_f32_e32 v168, v182, v155
	v_fma_f32 v155, v181, v155, -v9
	ds_read_b128 v[179:182], v1 offset:592
	s_waitcnt vmcnt(48) lgkmcnt(1)
	v_mul_f32_e32 v185, v2, v160
	v_mul_f32_e32 v6, v3, v160
	s_waitcnt vmcnt(47)
	v_mul_f32_e32 v186, v4, v158
	v_mul_f32_e32 v9, v5, v158
	v_fmac_f32_e32 v185, v3, v141
	v_fma_f32 v141, v2, v141, -v6
	s_waitcnt vmcnt(43)
	v_fmac_f32_e32 v186, v5, v167
	v_fma_f32 v199, v4, v167, -v9
	ds_read_b128 v[2:5], v1 offset:608
	s_waitcnt vmcnt(42) lgkmcnt(1)
	v_mul_f32_e32 v200, v179, v165
	v_mul_f32_e32 v6, v180, v165
	s_waitcnt vmcnt(41)
	v_mul_f32_e32 v201, v181, v164
	v_mul_f32_e32 v9, v182, v164
	ds_read_b128 v[164:167], v1 offset:624
	v_fmac_f32_e32 v200, v180, v156
	v_fma_f32 v156, v179, v156, -v6
	v_fmac_f32_e32 v201, v182, v150
	v_fma_f32 v179, v181, v150, -v9
	s_waitcnt vmcnt(40) lgkmcnt(1)
	v_mul_f32_e32 v180, v2, v154
	v_mul_f32_e32 v6, v3, v154
	s_waitcnt vmcnt(39)
	v_mul_f32_e32 v154, v4, v152
	v_mul_f32_e32 v9, v5, v152
	v_fmac_f32_e32 v180, v3, v137
	v_fma_f32 v137, v2, v137, -v6
	s_waitcnt vmcnt(35)
	v_fmac_f32_e32 v154, v5, v163
	v_fma_f32 v163, v4, v163, -v9
	ds_read_b128 v[2:5], v1 offset:640
	s_waitcnt vmcnt(34) lgkmcnt(1)
	v_mul_f32_e32 v181, v164, v161
	v_mul_f32_e32 v6, v165, v161
	s_waitcnt vmcnt(33)
	v_mul_f32_e32 v182, v166, v159
	v_mul_f32_e32 v9, v167, v159
	ds_read_b128 v[158:161], v1 offset:656
	v_fmac_f32_e32 v181, v165, v148
	v_fma_f32 v148, v164, v148, -v6
	v_fmac_f32_e32 v182, v167, v143
	v_fma_f32 v143, v166, v143, -v9
	;; [unrolled: 23-line block ×3, first 2 shown]
	s_waitcnt vmcnt(24) lgkmcnt(1)
	v_mul_f32_e32 v158, v2, v140
	v_mul_f32_e32 v6, v3, v140
	s_waitcnt vmcnt(23)
	v_mul_f32_e32 v140, v4, v139
	v_mul_f32_e32 v9, v5, v139
	v_fmac_f32_e32 v158, v3, v8
	v_fma_f32 v139, v2, v8, -v6
	s_waitcnt vmcnt(19)
	v_fmac_f32_e32 v140, v5, v149
	v_fma_f32 v149, v4, v149, -v9
	ds_read_b128 v[2:5], v1 offset:704
	s_waitcnt vmcnt(18) lgkmcnt(1)
	v_mul_f32_e32 v159, v150, v146
	v_mul_f32_e32 v6, v151, v146
	s_waitcnt vmcnt(17)
	v_mul_f32_e32 v146, v152, v144
	v_mul_f32_e32 v8, v153, v144
	v_fmac_f32_e32 v159, v151, v136
	v_fma_f32 v136, v150, v136, -v6
	v_fmac_f32_e32 v146, v153, v12
	v_fma_f32 v12, v152, v12, -v8
	ds_read_b128 v[8:11], v1 offset:720
	s_waitcnt vmcnt(16) lgkmcnt(1)
	v_mul_f32_e32 v144, v2, v135
	v_mul_f32_e32 v6, v3, v135
	s_waitcnt vmcnt(15)
	v_mul_f32_e32 v135, v4, v134
	v_mul_f32_e32 v134, v5, v134
	v_fmac_f32_e32 v144, v3, v7
	v_fma_f32 v150, v2, v7, -v6
	s_waitcnt vmcnt(11)
	v_fmac_f32_e32 v135, v5, v178
	v_fma_f32 v134, v4, v178, -v134
	ds_read_b128 v[2:5], v1 offset:736
	s_waitcnt vmcnt(10) lgkmcnt(1)
	v_mul_f32_e32 v151, v8, v177
	v_mul_f32_e32 v6, v9, v177
	s_waitcnt vmcnt(9)
	v_mul_f32_e32 v7, v11, v176
	v_mul_f32_e32 v152, v10, v176
	buffer_load_dword v176, off, s[0:3], 0 offset:300
	v_fmac_f32_e32 v151, v9, v175
	v_fma_f32 v153, v8, v175, -v6
	v_fma_f32 v10, v10, v172, -v7
	ds_read_b128 v[6:9], v1 offset:752
	v_fmac_f32_e32 v152, v11, v172
	buffer_load_dword v11, off, s[0:3], 0 offset:292
	s_waitcnt vmcnt(10) lgkmcnt(1)
	v_mul_f32_e32 v160, v2, v174
	v_mul_f32_e32 v161, v3, v174
	s_waitcnt vmcnt(9)
	v_mul_f32_e32 v167, v4, v173
	v_mul_f32_e32 v172, v5, v173
	v_fmac_f32_e32 v160, v3, v171
	v_fma_f32 v161, v2, v171, -v161
	s_waitcnt vmcnt(5)
	v_fmac_f32_e32 v167, v5, v189
	v_fma_f32 v171, v4, v189, -v172
	ds_read_b128 v[2:5], v1 offset:768
	s_waitcnt vmcnt(4) lgkmcnt(1)
	v_mul_f32_e32 v172, v6, v190
	v_mul_f32_e32 v173, v7, v190
	s_waitcnt vmcnt(3)
	v_mul_f32_e32 v174, v8, v191
	v_mul_f32_e32 v175, v9, v191
	v_fmac_f32_e32 v172, v7, v188
	v_fma_f32 v173, v6, v188, -v173
	v_fmac_f32_e32 v174, v9, v187
	v_fma_f32 v175, v8, v187, -v175
	s_clause 0x4
	buffer_load_dword v177, off, s[0:3], 0 offset:320
	buffer_load_dword v178, off, s[0:3], 0 offset:312
	;; [unrolled: 1-line block ×5, first 2 shown]
	v_add_f32_e32 v7, 0, v192
	v_add_f32_e32 v6, 0, v195
	s_clause 0x1
	buffer_load_dword v190, off, s[0:3], 0 offset:316
	buffer_load_dword v191, off, s[0:3], 0 offset:324
	v_add_f32_e32 v7, v7, v193
	v_add_f32_e32 v6, v6, v196
	v_add_f32_e32 v7, v7, v197
	v_add_f32_e32 v6, v6, v183
	s_clause 0x1
	buffer_load_dword v183, off, s[0:3], 0 offset:332
	buffer_load_dword v192, off, s[0:3], 0 offset:340
	v_add_f32_e32 v7, v7, v198
	v_add_f32_e32 v6, v6, v169
	;; [unrolled: 1-line block ×4, first 2 shown]
	s_clause 0x3
	buffer_load_dword v162, off, s[0:3], 0 offset:352
	buffer_load_dword v169, off, s[0:3], 0 offset:344
	;; [unrolled: 1-line block ×4, first 2 shown]
	v_add_f32_e32 v7, v7, v168
	v_add_f32_e32 v6, v6, v155
	s_clause 0x2
	buffer_load_dword v155, off, s[0:3], 0 offset:348
	buffer_load_dword v168, off, s[0:3], 0 offset:356
	;; [unrolled: 1-line block ×3, first 2 shown]
	v_add_f32_e32 v7, v7, v185
	v_add_f32_e32 v6, v6, v141
	;; [unrolled: 1-line block ×6, first 2 shown]
	s_clause 0x4
	buffer_load_dword v156, off, s[0:3], 0 offset:384
	buffer_load_dword v185, off, s[0:3], 0 offset:376
	;; [unrolled: 1-line block ×5, first 2 shown]
	v_add_f32_e32 v7, v7, v201
	v_add_f32_e32 v6, v6, v179
	buffer_load_dword v179, off, s[0:3], 0 offset:372
	v_add_f32_e32 v7, v7, v180
	v_add_f32_e32 v6, v6, v137
	buffer_load_dword v180, off, s[0:3], 0 offset:388
	v_add_f32_e32 v7, v7, v154
	v_add_f32_e32 v6, v6, v163
	s_clause 0x4
	buffer_load_dword v163, off, s[0:3], 0 offset:396
	buffer_load_dword v198, off, s[0:3], 0 offset:404
	;; [unrolled: 1-line block ×5, first 2 shown]
	v_add_f32_e32 v7, v7, v181
	v_add_f32_e32 v6, v6, v148
	s_clause 0x3
	buffer_load_dword v181, off, s[0:3], 0 offset:436
	buffer_load_dword v201, off, s[0:3], 0 offset:444
	;; [unrolled: 1-line block ×4, first 2 shown]
	v_add_f32_e32 v7, v7, v182
	v_add_f32_e32 v6, v6, v143
	buffer_load_dword v182, off, s[0:3], 0 offset:460
	v_add_f32_e32 v7, v7, v164
	v_add_f32_e32 v6, v6, v145
	buffer_load_dword v164, off, s[0:3], 0 offset:476
	v_add_f32_e32 v7, v7, v147
	v_add_f32_e32 v6, v6, v157
	;; [unrolled: 1-line block ×3, first 2 shown]
	s_clause 0x3
	buffer_load_dword v157, off, s[0:3], 0 offset:416
	buffer_load_dword v165, off, s[0:3], 0 offset:408
	;; [unrolled: 1-line block ×4, first 2 shown]
	v_add_f32_e32 v6, v6, v142
	v_add_f32_e32 v7, v7, v166
	;; [unrolled: 1-line block ×4, first 2 shown]
	s_clause 0x6
	buffer_load_dword v158, off, s[0:3], 0 offset:448
	buffer_load_dword v166, off, s[0:3], 0 offset:440
	buffer_load_dword v206, off, s[0:3], 0 offset:432
	buffer_load_dword v207, off, s[0:3], 0 offset:424
	buffer_load_dword v208, off, s[0:3], 0 offset:472
	buffer_load_dword v209, off, s[0:3], 0 offset:464
	buffer_load_dword v210, off, s[0:3], 0 offset:456
	v_add_f32_e32 v6, v6, v139
	v_add_f32_e32 v7, v7, v140
	;; [unrolled: 1-line block ×4, first 2 shown]
	buffer_load_dword v159, off, s[0:3], 0 offset:40
	v_add_f32_e32 v6, v6, v136
	v_add_f32_e32 v7, v7, v146
	;; [unrolled: 1-line block ×3, first 2 shown]
	s_waitcnt vmcnt(46) lgkmcnt(0)
	v_mul_f32_e32 v12, v2, v11
	v_mul_f32_e32 v8, v3, v11
	v_fmac_f32_e32 v12, v3, v170
	v_fma_f32 v11, v2, v170, -v8
	v_add_f32_e32 v2, v6, v150
	v_add_f32_e32 v3, v7, v144
	ds_read_b128 v[6:9], v1 offset:784
	v_mul_f32_e32 v150, v4, v176
	v_add_f32_e32 v134, v2, v134
	v_mul_f32_e32 v2, v5, v176
	v_add_f32_e32 v135, v3, v135
	v_add_f32_e32 v138, v134, v153
	;; [unrolled: 1-line block ×3, first 2 shown]
	ds_read_b128 v[134:137], v1 offset:816
	v_add_f32_e32 v10, v138, v10
	v_add_f32_e32 v139, v139, v152
	s_waitcnt vmcnt(42)
	v_fmac_f32_e32 v150, v5, v188
	v_fma_f32 v170, v4, v188, -v2
	ds_read_b128 v[2:5], v1 offset:800
	s_waitcnt vmcnt(41) lgkmcnt(2)
	v_mul_f32_e32 v138, v7, v189
	v_mul_f32_e32 v151, v6, v189
	v_add_f32_e32 v10, v10, v161
	s_waitcnt vmcnt(40)
	v_mul_f32_e32 v142, v9, v190
	v_fma_f32 v152, v6, v187, -v138
	v_add_f32_e32 v6, v139, v160
	v_fmac_f32_e32 v151, v7, v187
	v_add_f32_e32 v7, v10, v171
	v_mul_f32_e32 v10, v8, v190
	ds_read_b128 v[138:141], v1 offset:832
	v_add_f32_e32 v6, v6, v167
	v_fma_f32 v153, v8, v178, -v142
	v_add_f32_e32 v7, v7, v173
	v_fmac_f32_e32 v10, v9, v178
	s_waitcnt vmcnt(37) lgkmcnt(2)
	v_mul_f32_e32 v147, v135, v192
	v_add_f32_e32 v6, v6, v172
	v_mul_f32_e32 v167, v134, v192
	s_waitcnt lgkmcnt(1)
	v_mul_f32_e32 v143, v3, v191
	v_mul_f32_e32 v160, v2, v191
	v_mul_f32_e32 v146, v5, v183
	v_mul_f32_e32 v161, v4, v183
	s_waitcnt vmcnt(34)
	v_fma_f32 v173, v134, v193, -v147
	v_fma_f32 v171, v2, v177, -v143
	v_add_f32_e32 v2, v7, v175
	v_fmac_f32_e32 v160, v3, v177
	v_add_f32_e32 v3, v6, v174
	s_waitcnt vmcnt(33)
	v_fma_f32 v172, v4, v195, -v146
	ds_read_b128 v[6:9], v1 offset:848
	ds_read_b128 v[142:145], v1 offset:864
	v_add_f32_e32 v11, v2, v11
	v_fmac_f32_e32 v161, v5, v195
	v_add_f32_e32 v12, v3, v12
	s_waitcnt vmcnt(32)
	v_mul_f32_e32 v134, v137, v155
	v_fmac_f32_e32 v167, v135, v193
	v_add_f32_e32 v11, v11, v170
	v_mul_f32_e32 v170, v136, v155
	v_add_f32_e32 v12, v12, v150
	s_waitcnt vmcnt(31) lgkmcnt(2)
	v_mul_f32_e32 v155, v138, v168
	v_mul_f32_e32 v135, v139, v168
	v_add_f32_e32 v11, v11, v152
	v_fmac_f32_e32 v170, v137, v169
	v_add_f32_e32 v12, v12, v151
	v_fma_f32 v169, v136, v169, -v134
	s_waitcnt vmcnt(30)
	v_mul_f32_e32 v168, v141, v184
	v_add_f32_e32 v11, v11, v153
	v_fmac_f32_e32 v155, v139, v162
	v_add_f32_e32 v10, v12, v10
	v_fma_f32 v162, v138, v162, -v135
	v_mul_f32_e32 v174, v140, v184
	v_add_f32_e32 v11, v11, v171
	s_waitcnt vmcnt(26)
	v_fma_f32 v168, v140, v196, -v168
	v_add_f32_e32 v10, v10, v160
	s_waitcnt vmcnt(24) lgkmcnt(1)
	v_mul_f32_e32 v12, v7, v179
	ds_read_b128 v[2:5], v1 offset:880
	ds_read_b128 v[146:149], v1 offset:896
	v_add_f32_e32 v11, v11, v172
	ds_read_b128 v[134:137], v1 offset:912
	ds_read_b128 v[150:153], v1 offset:928
	v_add_f32_e32 v10, v10, v161
	v_fmac_f32_e32 v174, v141, v196
	ds_read_b128 v[138:141], v1 offset:944
	v_add_f32_e32 v11, v11, v173
	v_mul_f32_e32 v1, v6, v179
	v_add_f32_e32 v10, v10, v167
	v_mul_f32_e32 v171, v9, v197
	v_fma_f32 v6, v6, v186, -v12
	v_add_f32_e32 v11, v11, v169
	v_mul_f32_e32 v160, v8, v197
	v_add_f32_e32 v10, v10, v170
	v_fmac_f32_e32 v1, v7, v186
	s_waitcnt vmcnt(23) lgkmcnt(5)
	v_mul_f32_e32 v12, v143, v180
	v_add_f32_e32 v11, v11, v162
	v_fma_f32 v8, v8, v185, -v171
	v_add_f32_e32 v10, v10, v155
	v_mul_f32_e32 v172, v142, v180
	v_fmac_f32_e32 v160, v9, v185
	v_add_f32_e32 v11, v11, v168
	s_waitcnt vmcnt(22)
	v_mul_f32_e32 v9, v145, v163
	v_add_f32_e32 v10, v10, v174
	v_mul_f32_e32 v161, v144, v163
	v_fmac_f32_e32 v172, v143, v156
	v_add_f32_e32 v6, v11, v6
	s_waitcnt vmcnt(21) lgkmcnt(4)
	v_mul_f32_e32 v175, v2, v198
	v_add_f32_e32 v1, v10, v1
	v_fma_f32 v10, v142, v156, -v12
	s_waitcnt vmcnt(8)
	v_fma_f32 v9, v144, v205, -v9
	v_add_f32_e32 v6, v6, v8
	v_mul_f32_e32 v8, v3, v198
	v_add_f32_e32 v1, v1, v160
	v_fmac_f32_e32 v161, v145, v205
	v_fmac_f32_e32 v175, v3, v204
	v_add_f32_e32 v6, v6, v10
	v_mul_f32_e32 v10, v5, v154
	v_add_f32_e32 v1, v1, v172
	v_fma_f32 v2, v2, v204, -v8
	v_mul_f32_e32 v173, v4, v154
	v_add_f32_e32 v3, v6, v9
	s_waitcnt lgkmcnt(3)
	v_mul_f32_e32 v6, v147, v199
	v_add_f32_e32 v1, v1, v161
	v_fma_f32 v4, v4, v165, -v10
	v_mul_f32_e32 v167, v146, v199
	v_add_f32_e32 v2, v3, v2
	v_fmac_f32_e32 v173, v5, v165
	v_add_f32_e32 v1, v1, v175
	v_mul_f32_e32 v3, v149, v200
	v_fma_f32 v5, v146, v157, -v6
	v_add_f32_e32 v2, v2, v4
	v_mul_f32_e32 v176, v148, v200
	v_fmac_f32_e32 v167, v147, v157
	v_add_f32_e32 v1, v1, v173
	s_waitcnt lgkmcnt(2)
	v_mul_f32_e32 v4, v135, v181
	s_waitcnt vmcnt(4)
	v_fma_f32 v3, v148, v207, -v3
	v_add_f32_e32 v2, v2, v5
	v_mul_f32_e32 v169, v134, v181
	v_fmac_f32_e32 v176, v149, v207
	v_add_f32_e32 v1, v1, v167
	v_mul_f32_e32 v5, v137, v201
	v_fma_f32 v4, v134, v206, -v4
	v_add_f32_e32 v2, v2, v3
	v_mul_f32_e32 v170, v136, v201
	v_fmac_f32_e32 v169, v135, v206
	v_add_f32_e32 v1, v1, v176
	s_waitcnt lgkmcnt(1)
	v_mul_f32_e32 v3, v151, v202
	v_fma_f32 v5, v136, v166, -v5
	v_add_f32_e32 v2, v2, v4
	v_mul_f32_e32 v177, v150, v202
	v_fmac_f32_e32 v170, v137, v166
	v_add_f32_e32 v1, v1, v169
	v_mul_f32_e32 v4, v153, v182
	v_fma_f32 v3, v150, v158, -v3
	v_add_f32_e32 v2, v2, v5
	v_mul_f32_e32 v162, v152, v182
	v_fmac_f32_e32 v177, v151, v158
	v_add_f32_e32 v1, v1, v170
	s_waitcnt lgkmcnt(0)
	v_mul_f32_e32 v5, v139, v203
	s_waitcnt vmcnt(1)
	v_fma_f32 v4, v152, v210, -v4
	v_add_f32_e32 v2, v2, v3
	v_mul_f32_e32 v155, v138, v203
	v_fmac_f32_e32 v162, v153, v210
	v_add_f32_e32 v1, v1, v177
	v_mul_f32_e32 v3, v141, v164
	v_fma_f32 v5, v138, v209, -v5
	v_add_f32_e32 v2, v2, v4
	v_mul_f32_e32 v7, v140, v164
	v_fmac_f32_e32 v155, v139, v209
	v_add_f32_e32 v1, v1, v162
	v_fma_f32 v3, v140, v208, -v3
	v_add_f32_e32 v2, v2, v5
	v_fmac_f32_e32 v7, v141, v208
	v_add_f32_e32 v1, v1, v155
	v_add_f32_e32 v2, v2, v3
	;; [unrolled: 1-line block ×3, first 2 shown]
	s_waitcnt vmcnt(0)
	v_sub_f32_e32 v2, v159, v2
	v_sub_f32_e32 v1, v194, v1
	buffer_store_dword v2, off, s[0:3], 0 offset:40
	buffer_store_dword v1, off, s[0:3], 0 offset:44
	v_cmpx_lt_u32_e32 4, v0
	s_cbranch_execz .LBB123_365
; %bb.364:
	s_clause 0x1
	buffer_load_dword v1, off, s[0:3], 0 offset:32
	buffer_load_dword v2, off, s[0:3], 0 offset:36
	v_mov_b32_e32 v3, 0
	buffer_store_dword v3, off, s[0:3], 0 offset:32
	buffer_store_dword v3, off, s[0:3], 0 offset:36
	s_waitcnt vmcnt(0)
	ds_write_b64 v133, v[1:2]
.LBB123_365:
	s_or_b32 exec_lo, exec_lo, s4
	s_waitcnt lgkmcnt(0)
	s_waitcnt_vscnt null, 0x0
	s_barrier
	buffer_gl0_inv
	s_clause 0x3c
	buffer_load_dword v2, off, s[0:3], 0 offset:44
	buffer_load_dword v3, off, s[0:3], 0 offset:52
	;; [unrolled: 1-line block ×61, first 2 shown]
	v_mov_b32_e32 v1, 0
	ds_read2_b64 v[182:185], v1 offset0:65 offset1:66
	ds_read2_b64 v[186:189], v1 offset0:67 offset1:68
	buffer_load_dword v180, off, s[0:3], 0 offset:36
	s_mov_b32 s4, exec_lo
	s_waitcnt vmcnt(61) lgkmcnt(1)
	v_mul_f32_e32 v193, v182, v2
	v_mul_f32_e32 v2, v183, v2
	s_waitcnt vmcnt(60)
	v_mul_f32_e32 v194, v184, v3
	v_mul_f32_e32 v3, v185, v3
	s_waitcnt vmcnt(59) lgkmcnt(0)
	v_mul_f32_e32 v195, v186, v4
	v_mul_f32_e32 v196, v187, v4
	s_waitcnt vmcnt(58)
	v_mul_f32_e32 v197, v188, v5
	v_mul_f32_e32 v198, v189, v5
	s_waitcnt vmcnt(55)
	v_fmac_f32_e32 v193, v183, v8
	v_fma_f32 v8, v182, v8, -v2
	v_fmac_f32_e32 v194, v185, v7
	v_fma_f32 v7, v184, v7, -v3
	ds_read2_b64 v[2:5], v1 offset0:69 offset1:70
	ds_read2_b64 v[182:185], v1 offset0:71 offset1:72
	v_fmac_f32_e32 v195, v187, v6
	v_fma_f32 v6, v186, v6, -v196
	s_waitcnt vmcnt(51)
	v_fma_f32 v186, v188, v164, -v198
	v_fmac_f32_e32 v197, v189, v164
	v_add_f32_e32 v8, 0, v8
	v_add_f32_e32 v7, v8, v7
	;; [unrolled: 1-line block ×3, first 2 shown]
	s_waitcnt vmcnt(50) lgkmcnt(1)
	v_mul_f32_e32 v187, v2, v161
	v_mul_f32_e32 v161, v3, v161
	s_waitcnt vmcnt(49)
	v_mul_f32_e32 v188, v4, v159
	v_mul_f32_e32 v159, v5, v159
	s_waitcnt vmcnt(48) lgkmcnt(0)
	v_mul_f32_e32 v189, v182, v156
	v_fmac_f32_e32 v187, v3, v143
	v_fma_f32 v143, v2, v143, -v161
	v_fmac_f32_e32 v188, v5, v139
	v_fma_f32 v159, v4, v139, -v159
	ds_read2_b64 v[2:5], v1 offset0:73 offset1:74
	v_mul_f32_e32 v156, v183, v156
	s_waitcnt vmcnt(47)
	v_mul_f32_e32 v196, v184, v154
	v_mul_f32_e32 v154, v185, v154
	v_fmac_f32_e32 v189, v183, v134
	v_fma_f32 v134, v182, v134, -v156
	s_waitcnt vmcnt(43)
	v_fmac_f32_e32 v196, v185, v169
	v_fma_f32 v161, v184, v169, -v154
	ds_read2_b64 v[182:185], v1 offset0:75 offset1:76
	s_waitcnt vmcnt(42) lgkmcnt(1)
	v_mul_f32_e32 v169, v2, v168
	v_mul_f32_e32 v139, v3, v168
	s_waitcnt vmcnt(41)
	v_mul_f32_e32 v168, v4, v167
	v_mul_f32_e32 v154, v5, v167
	v_fmac_f32_e32 v169, v3, v149
	v_fma_f32 v149, v2, v149, -v139
	v_fmac_f32_e32 v168, v5, v146
	v_fma_f32 v146, v4, v146, -v154
	ds_read2_b64 v[2:5], v1 offset0:77 offset1:78
	s_waitcnt vmcnt(40) lgkmcnt(1)
	v_mul_f32_e32 v167, v182, v165
	s_waitcnt vmcnt(39)
	v_mul_f32_e32 v198, v184, v163
	v_mul_f32_e32 v163, v185, v163
	;; [unrolled: 1-line block ×3, first 2 shown]
	v_fmac_f32_e32 v167, v183, v140
	s_waitcnt vmcnt(35)
	v_fmac_f32_e32 v198, v185, v166
	v_fma_f32 v183, v184, v166, -v163
	ds_read2_b64 v[163:166], v1 offset0:79 offset1:80
	v_fma_f32 v182, v182, v140, -v156
	s_waitcnt vmcnt(34) lgkmcnt(1)
	v_mul_f32_e32 v184, v2, v162
	v_mul_f32_e32 v139, v3, v162
	s_waitcnt vmcnt(33)
	v_mul_f32_e32 v162, v4, v160
	v_mul_f32_e32 v140, v5, v160
	v_fmac_f32_e32 v184, v3, v144
	v_fma_f32 v144, v2, v144, -v139
	v_fmac_f32_e32 v162, v5, v141
	v_fma_f32 v199, v4, v141, -v140
	ds_read2_b64 v[2:5], v1 offset0:81 offset1:82
	s_waitcnt vmcnt(32) lgkmcnt(1)
	v_mul_f32_e32 v160, v163, v157
	v_mul_f32_e32 v154, v164, v157
	s_waitcnt vmcnt(31)
	v_mul_f32_e32 v185, v165, v155
	v_mul_f32_e32 v155, v166, v155
	v_fmac_f32_e32 v160, v164, v135
	v_fma_f32 v135, v163, v135, -v154
	s_waitcnt vmcnt(27)
	v_fmac_f32_e32 v185, v166, v158
	v_fma_f32 v158, v165, v158, -v155
	ds_read2_b64 v[154:157], v1 offset0:83 offset1:84
	s_waitcnt vmcnt(26) lgkmcnt(1)
	v_mul_f32_e32 v163, v2, v153
	v_mul_f32_e32 v139, v3, v153
	s_waitcnt vmcnt(25)
	v_mul_f32_e32 v153, v4, v152
	v_mul_f32_e32 v140, v5, v152
	v_fmac_f32_e32 v163, v3, v138
	v_fma_f32 v164, v2, v138, -v139
	v_fmac_f32_e32 v153, v5, v136
	v_fma_f32 v136, v4, v136, -v140
	ds_read2_b64 v[2:5], v1 offset0:85 offset1:86
	s_waitcnt vmcnt(24) lgkmcnt(1)
	v_mul_f32_e32 v152, v154, v150
	v_mul_f32_e32 v141, v155, v150
	s_waitcnt vmcnt(23)
	v_mul_f32_e32 v150, v156, v148
	v_mul_f32_e32 v148, v157, v148
	v_fmac_f32_e32 v152, v155, v10
	v_fma_f32 v10, v154, v10, -v141
	ds_read2_b64 v[138:141], v1 offset0:87 offset1:88
	s_waitcnt vmcnt(19)
	v_fmac_f32_e32 v150, v157, v151
	v_fma_f32 v148, v156, v151, -v148
	buffer_load_dword v151, off, s[0:3], 0 offset:284
	s_waitcnt vmcnt(18) lgkmcnt(1)
	v_mul_f32_e32 v155, v4, v145
	v_mul_f32_e32 v145, v5, v145
	;; [unrolled: 1-line block ×4, first 2 shown]
	v_fmac_f32_e32 v155, v5, v11
	v_fma_f32 v11, v4, v11, -v145
	s_clause 0x4
	buffer_load_dword v145, off, s[0:3], 0 offset:292
	buffer_load_dword v157, off, s[0:3], 0 offset:312
	;; [unrolled: 1-line block ×5, first 2 shown]
	s_waitcnt vmcnt(22) lgkmcnt(0)
	v_mul_f32_e32 v156, v138, v142
	v_mul_f32_e32 v142, v139, v142
	v_fmac_f32_e32 v154, v3, v137
	v_fma_f32 v137, v2, v137, -v147
	s_waitcnt vmcnt(21)
	v_mul_f32_e32 v2, v141, v12
	v_mul_f32_e32 v147, v140, v12
	v_fmac_f32_e32 v156, v139, v9
	v_fma_f32 v12, v138, v9, -v142
	v_add_f32_e32 v9, 0, v193
	s_waitcnt vmcnt(17)
	v_fma_f32 v138, v140, v178, -v2
	ds_read2_b64 v[2:5], v1 offset0:89 offset1:90
	buffer_load_dword v139, off, s[0:3], 0 offset:300
	v_add_f32_e32 v140, v6, v186
	v_add_f32_e32 v8, v9, v194
	v_fmac_f32_e32 v147, v141, v178
	s_clause 0x2
	buffer_load_dword v142, off, s[0:3], 0 offset:308
	buffer_load_dword v178, off, s[0:3], 0 offset:316
	;; [unrolled: 1-line block ×3, first 2 shown]
	v_add_f32_e32 v140, v140, v143
	v_add_f32_e32 v7, v8, v195
	;; [unrolled: 1-line block ×4, first 2 shown]
	ds_read2_b64 v[6:9], v1 offset0:91 offset1:92
	buffer_load_dword v159, off, s[0:3], 0 offset:332
	v_add_f32_e32 v141, v141, v187
	s_waitcnt vmcnt(21) lgkmcnt(1)
	v_mul_f32_e32 v143, v2, v177
	v_mul_f32_e32 v177, v3, v177
	s_waitcnt vmcnt(20)
	v_mul_f32_e32 v187, v4, v176
	v_mul_f32_e32 v176, v5, v176
	v_fmac_f32_e32 v143, v3, v175
	v_fma_f32 v175, v2, v175, -v177
	v_add_f32_e32 v2, v141, v188
	v_fmac_f32_e32 v187, v5, v174
	v_fma_f32 v174, v4, v174, -v176
	s_clause 0x3
	buffer_load_dword v176, off, s[0:3], 0 offset:344
	buffer_load_dword v177, off, s[0:3], 0 offset:336
	;; [unrolled: 1-line block ×4, first 2 shown]
	v_add_f32_e32 v3, v140, v134
	v_add_f32_e32 v2, v2, v189
	s_waitcnt vmcnt(23) lgkmcnt(0)
	v_mul_f32_e32 v141, v6, v172
	v_add_f32_e32 v134, v3, v161
	s_clause 0x2
	buffer_load_dword v161, off, s[0:3], 0 offset:340
	buffer_load_dword v189, off, s[0:3], 0 offset:348
	;; [unrolled: 1-line block ×3, first 2 shown]
	v_add_f32_e32 v140, v2, v196
	ds_read2_b64 v[2:5], v1 offset0:93 offset1:94
	v_fmac_f32_e32 v141, v7, v170
	v_add_f32_e32 v134, v134, v149
	v_mul_f32_e32 v149, v7, v172
	v_add_f32_e32 v140, v140, v169
	s_waitcnt vmcnt(25)
	v_mul_f32_e32 v169, v8, v171
	v_mul_f32_e32 v171, v9, v171
	v_add_f32_e32 v7, v134, v146
	v_fma_f32 v146, v6, v170, -v149
	v_add_f32_e32 v6, v140, v168
	s_waitcnt vmcnt(21)
	v_fmac_f32_e32 v169, v9, v191
	v_fma_f32 v149, v8, v191, -v171
	v_add_f32_e32 v134, v7, v182
	s_clause 0x4
	buffer_load_dword v168, off, s[0:3], 0 offset:376
	buffer_load_dword v170, off, s[0:3], 0 offset:368
	;; [unrolled: 1-line block ×5, first 2 shown]
	v_add_f32_e32 v140, v6, v167
	ds_read2_b64 v[6:9], v1 offset0:95 offset1:96
	v_add_f32_e32 v134, v134, v183
	v_add_f32_e32 v140, v140, v198
	s_waitcnt vmcnt(25) lgkmcnt(1)
	v_mul_f32_e32 v183, v3, v192
	v_mul_f32_e32 v167, v2, v192
	v_add_f32_e32 v134, v134, v144
	s_clause 0x2
	buffer_load_dword v191, off, s[0:3], 0 offset:372
	buffer_load_dword v192, off, s[0:3], 0 offset:380
	;; [unrolled: 1-line block ×3, first 2 shown]
	v_fma_f32 v144, v2, v190, -v183
	v_add_f32_e32 v2, v140, v184
	v_fmac_f32_e32 v167, v3, v190
	v_add_f32_e32 v3, v134, v199
	s_waitcnt vmcnt(27)
	v_mul_f32_e32 v183, v4, v181
	s_clause 0x1
	buffer_load_dword v184, off, s[0:3], 0 offset:396
	buffer_load_dword v190, off, s[0:3], 0 offset:404
	v_add_f32_e32 v2, v2, v162
	v_mul_f32_e32 v134, v5, v181
	v_add_f32_e32 v3, v3, v135
	s_clause 0x2
	buffer_load_dword v162, off, s[0:3], 0 offset:412
	buffer_load_dword v181, off, s[0:3], 0 offset:420
	;; [unrolled: 1-line block ×3, first 2 shown]
	v_add_f32_e32 v2, v2, v160
	v_fmac_f32_e32 v183, v5, v179
	v_add_f32_e32 v3, v3, v158
	s_clause 0x2
	buffer_load_dword v158, off, s[0:3], 0 offset:436
	buffer_load_dword v160, off, s[0:3], 0 offset:444
	;; [unrolled: 1-line block ×3, first 2 shown]
	v_fma_f32 v179, v4, v179, -v134
	v_add_f32_e32 v2, v2, v185
	v_add_f32_e32 v3, v3, v164
	s_clause 0x2
	buffer_load_dword v164, off, s[0:3], 0 offset:460
	buffer_load_dword v185, off, s[0:3], 0 offset:468
	;; [unrolled: 1-line block ×3, first 2 shown]
	v_add_f32_e32 v2, v2, v163
	s_clause 0x7
	buffer_load_dword v163, off, s[0:3], 0 offset:408
	buffer_load_dword v199, off, s[0:3], 0 offset:400
	;; [unrolled: 1-line block ×8, first 2 shown]
	v_add_f32_e32 v3, v3, v136
	v_add_f32_e32 v2, v2, v153
	;; [unrolled: 1-line block ×8, first 2 shown]
	s_clause 0x3
	buffer_load_dword v154, off, s[0:3], 0 offset:472
	buffer_load_dword v207, off, s[0:3], 0 offset:464
	;; [unrolled: 1-line block ×4, first 2 shown]
	v_add_f32_e32 v3, v3, v11
	v_add_f32_e32 v2, v2, v155
	buffer_load_dword v155, off, s[0:3], 0 offset:32
	v_add_f32_e32 v3, v3, v12
	v_add_f32_e32 v2, v2, v156
	s_waitcnt vmcnt(49) lgkmcnt(0)
	v_mul_f32_e32 v10, v6, v151
	v_mul_f32_e32 v4, v7, v151
	v_fmac_f32_e32 v10, v7, v173
	v_fma_f32 v11, v6, v173, -v4
	v_add_f32_e32 v6, v3, v138
	v_add_f32_e32 v7, v2, v147
	ds_read2_b64 v[2:5], v1 offset0:97 offset1:98
	v_add_f32_e32 v12, v6, v175
	s_waitcnt vmcnt(48)
	v_mul_f32_e32 v147, v8, v145
	v_mul_f32_e32 v6, v9, v145
	v_add_f32_e32 v134, v7, v143
	v_add_f32_e32 v12, v12, v174
	s_waitcnt vmcnt(44)
	v_fmac_f32_e32 v147, v9, v200
	v_fma_f32 v148, v8, v200, -v6
	ds_read2_b64 v[6:9], v1 offset0:99 offset1:100
	v_add_f32_e32 v138, v134, v187
	v_add_f32_e32 v12, v12, v146
	ds_read2_b64 v[134:137], v1 offset0:101 offset1:102
	v_add_f32_e32 v138, v138, v141
	v_add_f32_e32 v12, v12, v149
	s_waitcnt vmcnt(43) lgkmcnt(2)
	v_mul_f32_e32 v150, v2, v139
	v_mul_f32_e32 v139, v3, v139
	v_fmac_f32_e32 v150, v3, v166
	v_fma_f32 v151, v2, v166, -v139
	v_add_f32_e32 v2, v138, v169
	v_add_f32_e32 v3, v12, v144
	ds_read2_b64 v[138:141], v1 offset0:103 offset1:104
	s_waitcnt vmcnt(42)
	v_mul_f32_e32 v12, v4, v142
	s_waitcnt vmcnt(41) lgkmcnt(2)
	v_mul_f32_e32 v143, v7, v178
	v_add_f32_e32 v2, v2, v167
	v_add_f32_e32 v3, v3, v179
	v_mul_f32_e32 v156, v6, v178
	v_mul_f32_e32 v142, v5, v142
	v_fma_f32 v153, v6, v157, -v143
	v_add_f32_e32 v2, v2, v183
	v_add_f32_e32 v6, v3, v11
	v_fmac_f32_e32 v156, v7, v157
	s_waitcnt vmcnt(39) lgkmcnt(1)
	v_mul_f32_e32 v167, v134, v159
	v_fma_f32 v152, v4, v165, -v142
	v_add_f32_e32 v7, v2, v10
	v_mul_f32_e32 v10, v135, v159
	v_add_f32_e32 v11, v6, v148
	v_fmac_f32_e32 v12, v5, v165
	v_mul_f32_e32 v146, v9, v186
	v_mul_f32_e32 v166, v8, v186
	s_waitcnt vmcnt(36)
	v_fma_f32 v159, v134, v188, -v10
	v_add_f32_e32 v10, v7, v147
	v_add_f32_e32 v11, v11, v151
	s_waitcnt vmcnt(35)
	v_fma_f32 v157, v8, v193, -v146
	ds_read2_b64 v[2:5], v1 offset0:105 offset1:106
	ds_read2_b64 v[142:145], v1 offset0:107 offset1:108
	v_fmac_f32_e32 v166, v9, v193
	v_add_f32_e32 v10, v10, v150
	v_add_f32_e32 v11, v11, v152
	s_waitcnt vmcnt(34)
	v_mul_f32_e32 v134, v137, v161
	v_fmac_f32_e32 v167, v135, v188
	v_mul_f32_e32 v165, v136, v161
	v_add_f32_e32 v10, v10, v12
	v_add_f32_e32 v12, v11, v153
	s_waitcnt vmcnt(33) lgkmcnt(2)
	v_mul_f32_e32 v135, v139, v189
	v_fma_f32 v174, v136, v177, -v134
	v_mul_f32_e32 v161, v138, v189
	v_add_f32_e32 v156, v10, v156
	v_add_f32_e32 v12, v12, v157
	v_fmac_f32_e32 v165, v137, v177
	s_waitcnt vmcnt(32)
	v_mul_f32_e32 v169, v140, v194
	v_mul_f32_e32 v173, v141, v194
	v_add_f32_e32 v156, v156, v166
	v_add_f32_e32 v12, v12, v159
	v_fma_f32 v175, v138, v176, -v135
	v_fmac_f32_e32 v161, v139, v176
	s_waitcnt vmcnt(28)
	v_fmac_f32_e32 v169, v141, v172
	v_add_f32_e32 v156, v156, v167
	v_add_f32_e32 v12, v12, v174
	v_fma_f32 v172, v140, v172, -v173
	s_waitcnt vmcnt(27) lgkmcnt(1)
	v_mul_f32_e32 v173, v3, v182
	ds_read2_b64 v[6:9], v1 offset0:109 offset1:110
	ds_read2_b64 v[146:149], v1 offset0:111 offset1:112
	v_add_f32_e32 v156, v156, v165
	v_add_f32_e32 v12, v12, v175
	v_mul_f32_e32 v157, v2, v182
	s_waitcnt vmcnt(26)
	v_mul_f32_e32 v176, v5, v191
	v_fma_f32 v2, v2, v171, -v173
	v_add_f32_e32 v156, v156, v161
	v_add_f32_e32 v12, v12, v172
	v_mul_f32_e32 v166, v4, v191
	v_fmac_f32_e32 v157, v3, v171
	s_waitcnt vmcnt(25) lgkmcnt(2)
	v_mul_f32_e32 v173, v143, v192
	v_add_f32_e32 v156, v156, v169
	v_fma_f32 v4, v4, v170, -v176
	v_add_f32_e32 v2, v12, v2
	v_mul_f32_e32 v159, v142, v192
	v_fmac_f32_e32 v166, v5, v170
	v_add_f32_e32 v12, v156, v157
	s_waitcnt vmcnt(24)
	v_mul_f32_e32 v169, v145, v195
	v_fma_f32 v142, v142, v168, -v173
	v_add_f32_e32 v2, v2, v4
	v_mul_f32_e32 v167, v144, v195
	v_fmac_f32_e32 v159, v143, v168
	v_add_f32_e32 v4, v12, v166
	s_waitcnt vmcnt(23) lgkmcnt(1)
	v_mul_f32_e32 v12, v7, v184
	v_add_f32_e32 v2, v2, v142
	ds_read2_b64 v[134:137], v1 offset0:113 offset1:114
	ds_read2_b64 v[150:153], v1 offset0:115 offset1:116
	s_waitcnt vmcnt(9)
	v_fma_f32 v143, v144, v202, -v169
	v_mul_f32_e32 v3, v6, v184
	v_fmac_f32_e32 v167, v145, v202
	v_add_f32_e32 v4, v4, v159
	v_mul_f32_e32 v142, v9, v190
	v_fma_f32 v6, v6, v201, -v12
	v_add_f32_e32 v2, v2, v143
	v_mul_f32_e32 v171, v8, v190
	v_fmac_f32_e32 v3, v7, v201
	v_add_f32_e32 v4, v4, v167
	s_waitcnt lgkmcnt(2)
	v_mul_f32_e32 v7, v147, v162
	v_fma_f32 v8, v8, v199, -v142
	v_add_f32_e32 v2, v2, v6
	v_mul_f32_e32 v165, v146, v162
	v_fmac_f32_e32 v171, v9, v199
	v_add_f32_e32 v3, v4, v3
	v_mul_f32_e32 v4, v149, v181
	v_fma_f32 v6, v146, v163, -v7
	v_add_f32_e32 v2, v2, v8
	v_mul_f32_e32 v5, v148, v181
	v_fmac_f32_e32 v165, v147, v163
	v_add_f32_e32 v3, v3, v171
	s_waitcnt lgkmcnt(1)
	v_mul_f32_e32 v7, v135, v196
	s_waitcnt vmcnt(5)
	v_fma_f32 v4, v148, v206, -v4
	v_add_f32_e32 v2, v2, v6
	ds_read2_b64 v[138:141], v1 offset0:117 offset1:118
	ds_read_b64 v[10:11], v1 offset:952
	v_mul_f32_e32 v170, v134, v196
	v_fmac_f32_e32 v5, v149, v206
	v_add_f32_e32 v3, v3, v165
	v_mul_f32_e32 v6, v137, v158
	v_fma_f32 v7, v134, v205, -v7
	v_add_f32_e32 v2, v2, v4
	v_mul_f32_e32 v161, v136, v158
	v_fmac_f32_e32 v170, v135, v205
	v_add_f32_e32 v3, v3, v5
	s_waitcnt lgkmcnt(2)
	v_mul_f32_e32 v4, v151, v160
	v_fma_f32 v5, v136, v204, -v6
	v_add_f32_e32 v2, v2, v7
	v_mul_f32_e32 v174, v150, v160
	v_fmac_f32_e32 v161, v137, v204
	v_add_f32_e32 v3, v3, v170
	v_mul_f32_e32 v6, v153, v197
	v_fma_f32 v4, v150, v203, -v4
	v_add_f32_e32 v2, v2, v5
	v_mul_f32_e32 v175, v152, v197
	v_fmac_f32_e32 v174, v151, v203
	v_add_f32_e32 v3, v3, v161
	s_waitcnt lgkmcnt(1)
	v_mul_f32_e32 v5, v139, v164
	s_waitcnt vmcnt(1)
	v_fma_f32 v6, v152, v209, -v6
	v_add_f32_e32 v2, v2, v4
	v_mul_f32_e32 v172, v138, v164
	v_fmac_f32_e32 v175, v153, v209
	v_add_f32_e32 v3, v3, v174
	v_mul_f32_e32 v4, v141, v185
	v_fma_f32 v5, v138, v208, -v5
	v_add_f32_e32 v2, v2, v6
	v_mul_f32_e32 v176, v140, v185
	v_fmac_f32_e32 v172, v139, v208
	v_add_f32_e32 v3, v3, v175
	s_waitcnt lgkmcnt(0)
	v_mul_f32_e32 v6, v11, v198
	v_fma_f32 v4, v140, v207, -v4
	v_add_f32_e32 v2, v2, v5
	v_mul_f32_e32 v156, v10, v198
	v_fmac_f32_e32 v176, v141, v207
	v_add_f32_e32 v3, v3, v172
	v_fma_f32 v5, v10, v154, -v6
	v_add_f32_e32 v2, v2, v4
	v_fmac_f32_e32 v156, v11, v154
	v_add_f32_e32 v3, v3, v176
	v_add_f32_e32 v2, v2, v5
	;; [unrolled: 1-line block ×3, first 2 shown]
	s_waitcnt vmcnt(0)
	v_sub_f32_e32 v2, v155, v2
	v_sub_f32_e32 v3, v180, v3
	buffer_store_dword v2, off, s[0:3], 0 offset:32
	buffer_store_dword v3, off, s[0:3], 0 offset:36
	v_cmpx_lt_u32_e32 3, v0
	s_cbranch_execz .LBB123_367
; %bb.366:
	s_clause 0x1
	buffer_load_dword v2, off, s[0:3], 0 offset:24
	buffer_load_dword v3, off, s[0:3], 0 offset:28
	buffer_store_dword v1, off, s[0:3], 0 offset:24
	buffer_store_dword v1, off, s[0:3], 0 offset:28
	s_waitcnt vmcnt(0)
	ds_write_b64 v133, v[2:3]
.LBB123_367:
	s_or_b32 exec_lo, exec_lo, s4
	s_waitcnt lgkmcnt(0)
	s_waitcnt_vscnt null, 0x0
	s_barrier
	buffer_gl0_inv
	s_clause 0x34
	buffer_load_dword v169, off, s[0:3], 0 offset:36
	buffer_load_dword v170, off, s[0:3], 0 offset:44
	;; [unrolled: 1-line block ×53, first 2 shown]
	ds_read_b128 v[177:180], v1 offset:512
	ds_read_b128 v[181:184], v1 offset:528
	;; [unrolled: 1-line block ×4, first 2 shown]
	s_mov_b32 s4, exec_lo
	s_waitcnt vmcnt(52) lgkmcnt(3)
	v_mul_f32_e32 v172, v177, v169
	v_mul_f32_e32 v193, v178, v169
	s_waitcnt vmcnt(51)
	v_mul_f32_e32 v169, v179, v170
	v_mul_f32_e32 v194, v180, v170
	buffer_load_dword v170, off, s[0:3], 0 offset:28
	s_waitcnt vmcnt(49)
	v_fmac_f32_e32 v172, v178, v6
	v_fma_f32 v193, v177, v6, -v193
	v_fmac_f32_e32 v169, v180, v5
	v_fma_f32 v194, v179, v5, -v194
	ds_read_b128 v[177:180], v1 offset:576
	s_waitcnt vmcnt(48) lgkmcnt(3)
	v_mul_f32_e32 v195, v181, v4
	v_mul_f32_e32 v4, v182, v4
	s_waitcnt vmcnt(47)
	v_mul_f32_e32 v196, v183, v3
	v_mul_f32_e32 v3, v184, v3
	s_waitcnt vmcnt(46) lgkmcnt(2)
	v_mul_f32_e32 v197, v185, v8
	v_fmac_f32_e32 v195, v182, v2
	v_fma_f32 v199, v181, v2, -v4
	s_waitcnt vmcnt(41)
	v_fmac_f32_e32 v196, v184, v135
	v_fma_f32 v135, v183, v135, -v3
	ds_read_b128 v[2:5], v1 offset:592
	ds_read_b128 v[181:184], v1 offset:608
	v_mul_f32_e32 v6, v186, v8
	v_mul_f32_e32 v198, v187, v7
	v_mul_f32_e32 v7, v188, v7
	v_fmac_f32_e32 v197, v186, v134
	v_fma_f32 v134, v185, v134, -v6
	v_fmac_f32_e32 v198, v188, v11
	v_fma_f32 v11, v187, v11, -v7
	s_waitcnt vmcnt(40) lgkmcnt(3)
	v_mul_f32_e32 v185, v189, v12
	v_mul_f32_e32 v6, v190, v12
	s_waitcnt vmcnt(39)
	v_mul_f32_e32 v12, v191, v10
	v_mul_f32_e32 v7, v192, v10
	s_waitcnt vmcnt(34) lgkmcnt(2)
	v_mul_f32_e32 v187, v177, v166
	v_fmac_f32_e32 v185, v190, v9
	v_fma_f32 v186, v189, v9, -v6
	v_fmac_f32_e32 v12, v192, v167
	v_fma_f32 v167, v191, v167, -v7
	ds_read_b128 v[6:9], v1 offset:624
	v_mul_f32_e32 v166, v178, v166
	s_waitcnt vmcnt(33)
	v_mul_f32_e32 v188, v179, v165
	v_mul_f32_e32 v165, v180, v165
	s_waitcnt vmcnt(32) lgkmcnt(2)
	v_mul_f32_e32 v189, v2, v164
	v_mul_f32_e32 v164, v3, v164
	v_fmac_f32_e32 v187, v178, v159
	v_fma_f32 v166, v177, v159, -v166
	s_waitcnt vmcnt(31)
	v_mul_f32_e32 v177, v4, v163
	v_mul_f32_e32 v159, v5, v163
	v_fmac_f32_e32 v188, v180, v155
	v_fma_f32 v155, v179, v155, -v165
	s_waitcnt vmcnt(30) lgkmcnt(1)
	v_mul_f32_e32 v163, v181, v160
	v_mul_f32_e32 v165, v182, v160
	s_waitcnt vmcnt(29)
	v_mul_f32_e32 v178, v183, v161
	v_mul_f32_e32 v179, v184, v161
	buffer_load_dword v10, off, s[0:3], 0 offset:244
	v_fmac_f32_e32 v189, v3, v145
	v_fma_f32 v145, v2, v145, -v164
	s_waitcnt vmcnt(26)
	v_fmac_f32_e32 v177, v5, v162
	v_fma_f32 v164, v4, v162, -v159
	ds_read_b128 v[2:5], v1 offset:640
	ds_read_b128 v[159:162], v1 offset:656
	v_fmac_f32_e32 v163, v182, v158
	v_fma_f32 v158, v181, v158, -v165
	v_fmac_f32_e32 v178, v184, v156
	v_fma_f32 v156, v183, v156, -v179
	s_clause 0x4
	buffer_load_dword v165, off, s[0:3], 0 offset:252
	buffer_load_dword v179, off, s[0:3], 0 offset:272
	;; [unrolled: 1-line block ×5, first 2 shown]
	s_waitcnt vmcnt(30) lgkmcnt(2)
	v_mul_f32_e32 v183, v6, v151
	v_mul_f32_e32 v151, v7, v151
	s_waitcnt vmcnt(29)
	v_mul_f32_e32 v184, v8, v149
	v_mul_f32_e32 v149, v9, v149
	v_fmac_f32_e32 v183, v7, v141
	v_fma_f32 v141, v6, v141, -v151
	s_waitcnt vmcnt(25)
	v_fmac_f32_e32 v184, v9, v157
	v_fma_f32 v149, v8, v157, -v149
	ds_read_b128 v[6:9], v1 offset:672
	s_waitcnt vmcnt(24) lgkmcnt(2)
	v_mul_f32_e32 v151, v2, v154
	v_mul_f32_e32 v154, v3, v154
	s_waitcnt vmcnt(23)
	v_mul_f32_e32 v157, v4, v153
	v_mul_f32_e32 v153, v5, v153
	v_fmac_f32_e32 v151, v3, v146
	v_fma_f32 v146, v2, v146, -v154
	s_waitcnt vmcnt(22) lgkmcnt(1)
	v_mul_f32_e32 v154, v159, v150
	v_mul_f32_e32 v2, v160, v150
	v_fmac_f32_e32 v157, v5, v142
	v_fma_f32 v142, v4, v142, -v153
	s_waitcnt vmcnt(21)
	v_mul_f32_e32 v150, v161, v144
	v_mul_f32_e32 v3, v162, v144
	s_clause 0x1
	buffer_load_dword v144, off, s[0:3], 0 offset:260
	buffer_load_dword v153, off, s[0:3], 0 offset:268
	v_fmac_f32_e32 v154, v160, v137
	v_fma_f32 v137, v159, v137, -v2
	s_waitcnt vmcnt(19)
	v_fmac_f32_e32 v150, v162, v152
	v_fma_f32 v152, v161, v152, -v3
	ds_read_b128 v[2:5], v1 offset:688
	s_waitcnt vmcnt(18) lgkmcnt(1)
	v_mul_f32_e32 v159, v6, v148
	v_mul_f32_e32 v148, v7, v148
	s_waitcnt vmcnt(17)
	v_mul_f32_e32 v160, v8, v147
	v_mul_f32_e32 v147, v9, v147
	v_fmac_f32_e32 v159, v7, v143
	v_fma_f32 v143, v6, v143, -v148
	v_fmac_f32_e32 v160, v9, v138
	v_fma_f32 v138, v8, v138, -v147
	ds_read_b128 v[6:9], v1 offset:704
	buffer_load_dword v147, off, s[0:3], 0 offset:276
	s_waitcnt vmcnt(16) lgkmcnt(1)
	v_mul_f32_e32 v161, v4, v139
	v_mul_f32_e32 v139, v5, v139
	;; [unrolled: 1-line block ×4, first 2 shown]
	s_waitcnt vmcnt(12)
	v_fmac_f32_e32 v161, v5, v176
	v_fma_f32 v139, v4, v176, -v139
	buffer_load_dword v176, off, s[0:3], 0 offset:284
	v_fmac_f32_e32 v148, v3, v136
	v_fma_f32 v136, v2, v136, -v140
	s_waitcnt vmcnt(12) lgkmcnt(0)
	v_mul_f32_e32 v140, v6, v175
	v_mul_f32_e32 v162, v7, v175
	s_waitcnt vmcnt(11)
	v_mul_f32_e32 v175, v8, v174
	v_mul_f32_e32 v174, v9, v174
	ds_read_b128 v[2:5], v1 offset:720
	v_fmac_f32_e32 v140, v7, v173
	v_fma_f32 v162, v6, v173, -v162
	v_fmac_f32_e32 v175, v9, v171
	v_fma_f32 v171, v8, v171, -v174
	s_clause 0x4
	buffer_load_dword v173, off, s[0:3], 0 offset:304
	buffer_load_dword v174, off, s[0:3], 0 offset:296
	;; [unrolled: 1-line block ×5, first 2 shown]
	v_add_f32_e32 v6, 0, v193
	v_add_f32_e32 v7, 0, v172
	buffer_load_dword v193, off, s[0:3], 0 offset:300
	v_add_f32_e32 v6, v6, v194
	v_add_f32_e32 v7, v7, v169
	s_clause 0x1
	buffer_load_dword v169, off, s[0:3], 0 offset:308
	buffer_load_dword v172, off, s[0:3], 0 offset:316
	v_add_f32_e32 v6, v6, v199
	v_add_f32_e32 v7, v7, v195
	;; [unrolled: 1-line block ×4, first 2 shown]
	s_clause 0x3
	buffer_load_dword v194, off, s[0:3], 0 offset:336
	buffer_load_dword v195, off, s[0:3], 0 offset:328
	;; [unrolled: 1-line block ×4, first 2 shown]
	v_add_f32_e32 v6, v6, v134
	v_add_f32_e32 v7, v7, v197
	;; [unrolled: 1-line block ×4, first 2 shown]
	s_clause 0x3
	buffer_load_dword v11, off, s[0:3], 0 offset:324
	buffer_load_dword v197, off, s[0:3], 0 offset:332
	;; [unrolled: 1-line block ×4, first 2 shown]
	v_add_f32_e32 v6, v6, v186
	v_add_f32_e32 v7, v7, v185
	;; [unrolled: 1-line block ×14, first 2 shown]
	s_waitcnt vmcnt(25) lgkmcnt(0)
	v_mul_f32_e32 v134, v2, v10
	v_mul_f32_e32 v8, v3, v10
	v_fmac_f32_e32 v134, v3, v168
	s_waitcnt vmcnt(24)
	v_mul_f32_e32 v10, v4, v165
	v_mul_f32_e32 v9, v5, v165
	v_fma_f32 v135, v2, v168, -v8
	s_waitcnt vmcnt(20)
	v_fmac_f32_e32 v10, v5, v182
	v_fma_f32 v12, v4, v182, -v9
	ds_read_b128 v[2:5], v1 offset:736
	s_clause 0x6
	buffer_load_dword v165, off, s[0:3], 0 offset:368
	buffer_load_dword v166, off, s[0:3], 0 offset:360
	;; [unrolled: 1-line block ×7, first 2 shown]
	ds_read_b128 v[6:9], v1 offset:752
	s_waitcnt vmcnt(26) lgkmcnt(1)
	v_mul_f32_e32 v177, v2, v144
	v_mul_f32_e32 v144, v3, v144
	s_waitcnt vmcnt(25)
	v_mul_f32_e32 v164, v4, v153
	v_mul_f32_e32 v153, v5, v153
	v_fmac_f32_e32 v177, v3, v181
	v_add_f32_e32 v3, v145, v178
	v_fma_f32 v144, v2, v181, -v144
	v_add_f32_e32 v2, v158, v156
	v_fma_f32 v145, v4, v180, -v153
	s_clause 0x3
	buffer_load_dword v156, off, s[0:3], 0 offset:380
	buffer_load_dword v158, off, s[0:3], 0 offset:388
	;; [unrolled: 1-line block ×4, first 2 shown]
	v_add_f32_e32 v3, v3, v183
	v_fmac_f32_e32 v164, v5, v180
	v_add_f32_e32 v2, v2, v141
	s_clause 0x3
	buffer_load_dword v180, off, s[0:3], 0 offset:412
	buffer_load_dword v181, off, s[0:3], 0 offset:420
	;; [unrolled: 1-line block ×4, first 2 shown]
	v_add_f32_e32 v3, v3, v184
	s_waitcnt vmcnt(32) lgkmcnt(0)
	v_mul_f32_e32 v4, v7, v147
	v_add_f32_e32 v2, v2, v149
	v_mul_f32_e32 v149, v6, v147
	s_clause 0x3
	buffer_load_dword v184, off, s[0:3], 0 offset:444
	buffer_load_dword v187, off, s[0:3], 0 offset:452
	;; [unrolled: 1-line block ×4, first 2 shown]
	v_add_f32_e32 v3, v3, v151
	buffer_load_dword v201, off, s[0:3], 0 offset:476
	v_add_f32_e32 v2, v2, v146
	v_fmac_f32_e32 v149, v7, v179
	v_fma_f32 v146, v6, v179, -v4
	v_add_f32_e32 v6, v3, v157
	s_clause 0x3
	buffer_load_dword v157, off, s[0:3], 0 offset:400
	buffer_load_dword v179, off, s[0:3], 0 offset:392
	;; [unrolled: 1-line block ×4, first 2 shown]
	v_add_f32_e32 v2, v2, v142
	v_add_f32_e32 v6, v6, v154
	;; [unrolled: 1-line block ×3, first 2 shown]
	s_waitcnt vmcnt(40)
	v_mul_f32_e32 v2, v9, v176
	v_mul_f32_e32 v142, v8, v176
	v_add_f32_e32 v6, v6, v150
	v_add_f32_e32 v7, v7, v152
	;; [unrolled: 1-line block ×4, first 2 shown]
	s_waitcnt vmcnt(36)
	v_fma_f32 v147, v8, v191, -v2
	ds_read_b128 v[2:5], v1 offset:768
	v_fmac_f32_e32 v142, v9, v191
	s_clause 0x3
	buffer_load_dword v154, off, s[0:3], 0 offset:432
	buffer_load_dword v176, off, s[0:3], 0 offset:424
	;; [unrolled: 1-line block ×4, first 2 shown]
	v_add_f32_e32 v137, v7, v138
	v_add_f32_e32 v138, v6, v160
	ds_read_b128 v[6:9], v1 offset:784
	v_add_f32_e32 v136, v137, v136
	v_add_f32_e32 v138, v138, v148
	s_waitcnt vmcnt(39) lgkmcnt(1)
	v_mul_f32_e32 v150, v2, v192
	v_mul_f32_e32 v137, v3, v192
	s_waitcnt vmcnt(38)
	v_mul_f32_e32 v151, v4, v193
	v_fmac_f32_e32 v150, v3, v190
	v_fma_f32 v148, v2, v190, -v137
	v_add_f32_e32 v3, v138, v161
	s_clause 0x3
	buffer_load_dword v159, off, s[0:3], 0 offset:464
	buffer_load_dword v160, off, s[0:3], 0 offset:456
	;; [unrolled: 1-line block ×4, first 2 shown]
	v_add_f32_e32 v2, v136, v139
	buffer_load_dword v192, off, s[0:3], 0 offset:24
	v_mul_f32_e32 v136, v5, v193
	v_add_f32_e32 v3, v3, v140
	v_fmac_f32_e32 v151, v5, v174
	v_add_f32_e32 v2, v2, v162
	buffer_load_dword v162, off, s[0:3], 0 offset:472
	v_fma_f32 v152, v4, v174, -v136
	v_add_f32_e32 v137, v3, v175
	s_waitcnt vmcnt(43) lgkmcnt(0)
	v_mul_f32_e32 v153, v6, v169
	v_add_f32_e32 v2, v2, v171
	v_add_f32_e32 v139, v137, v134
	v_fmac_f32_e32 v153, v7, v173
	v_add_f32_e32 v138, v2, v135
	ds_read_b128 v[2:5], v1 offset:800
	ds_read_b128 v[134:137], v1 offset:816
	v_add_f32_e32 v10, v139, v10
	s_waitcnt vmcnt(42)
	v_mul_f32_e32 v139, v9, v172
	v_add_f32_e32 v12, v138, v12
	v_mul_f32_e32 v138, v7, v169
	v_mul_f32_e32 v169, v8, v172
	v_add_f32_e32 v10, v10, v177
	s_waitcnt vmcnt(38)
	v_fma_f32 v172, v8, v199, -v139
	v_add_f32_e32 v12, v12, v144
	v_fma_f32 v171, v6, v173, -v138
	v_fmac_f32_e32 v169, v9, v199
	ds_read_b128 v[6:9], v1 offset:832
	ds_read_b128 v[138:141], v1 offset:848
	v_add_f32_e32 v10, v10, v164
	v_add_f32_e32 v12, v12, v145
	;; [unrolled: 1-line block ×4, first 2 shown]
	s_waitcnt vmcnt(36) lgkmcnt(3)
	v_mul_f32_e32 v164, v4, v197
	s_waitcnt vmcnt(35) lgkmcnt(2)
	v_mul_f32_e32 v174, v134, v200
	v_mul_f32_e32 v146, v135, v200
	v_add_f32_e32 v10, v10, v142
	v_add_f32_e32 v12, v12, v147
	v_mul_f32_e32 v143, v5, v197
	v_fmac_f32_e32 v174, v135, v194
	v_fma_f32 v193, v134, v194, -v146
	v_add_f32_e32 v10, v10, v150
	v_add_f32_e32 v12, v12, v148
	v_mul_f32_e32 v173, v2, v11
	v_mul_f32_e32 v11, v3, v11
	v_fmac_f32_e32 v164, v5, v195
	v_add_f32_e32 v10, v10, v151
	v_add_f32_e32 v12, v12, v152
	v_fma_f32 v177, v4, v195, -v143
	v_fma_f32 v11, v2, v196, -v11
	v_fmac_f32_e32 v173, v3, v196
	v_add_f32_e32 v10, v10, v153
	s_waitcnt vmcnt(34)
	v_mul_f32_e32 v175, v136, v198
	v_mul_f32_e32 v147, v137, v198
	ds_read_b128 v[2:5], v1 offset:864
	ds_read_b128 v[142:145], v1 offset:880
	v_add_f32_e32 v10, v10, v169
	v_add_f32_e32 v10, v10, v173
	;; [unrolled: 1-line block ×4, first 2 shown]
	s_waitcnt vmcnt(29) lgkmcnt(3)
	v_mul_f32_e32 v194, v6, v155
	s_waitcnt vmcnt(28)
	v_mul_f32_e32 v195, v8, v182
	v_mul_f32_e32 v150, v7, v155
	;; [unrolled: 1-line block ×3, first 2 shown]
	v_fmac_f32_e32 v175, v137, v168
	v_fmac_f32_e32 v194, v7, v167
	v_add_f32_e32 v7, v12, v171
	v_fmac_f32_e32 v195, v9, v166
	v_fma_f32 v155, v8, v166, -v151
	v_fma_f32 v168, v136, v168, -v147
	v_fma_f32 v12, v6, v167, -v150
	v_add_f32_e32 v166, v7, v172
	v_add_f32_e32 v10, v10, v175
	ds_read_b128 v[134:137], v1 offset:896
	ds_read_b128 v[146:149], v1 offset:912
	;; [unrolled: 1-line block ×4, first 2 shown]
	s_waitcnt vmcnt(27) lgkmcnt(6)
	v_mul_f32_e32 v1, v138, v185
	v_add_f32_e32 v11, v166, v11
	v_mul_f32_e32 v166, v139, v185
	v_add_f32_e32 v10, v10, v194
	v_fmac_f32_e32 v1, v139, v165
	v_add_f32_e32 v11, v11, v177
	v_fma_f32 v138, v138, v165, -v166
	v_add_f32_e32 v10, v10, v195
	v_add_f32_e32 v11, v11, v193
	;; [unrolled: 1-line block ×3, first 2 shown]
	s_waitcnt vmcnt(26)
	v_mul_f32_e32 v167, v140, v156
	v_add_f32_e32 v11, v11, v168
	v_mul_f32_e32 v156, v141, v156
	s_waitcnt vmcnt(25) lgkmcnt(5)
	v_mul_f32_e32 v169, v2, v158
	s_waitcnt vmcnt(24)
	v_mul_f32_e32 v10, v5, v163
	v_mul_f32_e32 v164, v4, v163
	v_add_f32_e32 v11, v11, v12
	s_waitcnt vmcnt(23) lgkmcnt(4)
	v_mul_f32_e32 v171, v142, v178
	s_waitcnt vmcnt(22)
	v_mul_f32_e32 v172, v144, v180
	s_waitcnt vmcnt(21) lgkmcnt(3)
	v_mul_f32_e32 v173, v134, v181
	s_waitcnt vmcnt(20)
	v_mul_f32_e32 v174, v136, v183
	v_add_f32_e32 v11, v11, v155
	v_mul_f32_e32 v155, v3, v158
	s_waitcnt vmcnt(19) lgkmcnt(2)
	v_mul_f32_e32 v168, v146, v186
	s_waitcnt vmcnt(18)
	v_mul_f32_e32 v175, v148, v184
	s_waitcnt vmcnt(17) lgkmcnt(1)
	v_mul_f32_e32 v177, v6, v187
	v_add_f32_e32 v11, v11, v138
	s_waitcnt vmcnt(13)
	v_fmac_f32_e32 v171, v143, v157
	s_waitcnt vmcnt(12)
	v_fma_f32 v4, v4, v179, -v10
	s_waitcnt vmcnt(11)
	v_fmac_f32_e32 v169, v3, v202
	s_waitcnt vmcnt(10)
	v_fma_f32 v140, v140, v203, -v156
	v_fmac_f32_e32 v167, v141, v203
	v_fma_f32 v2, v2, v202, -v155
	v_fmac_f32_e32 v164, v5, v179
	v_mul_f32_e32 v12, v8, v188
	v_add_f32_e32 v3, v11, v140
	v_add_f32_e32 v1, v1, v167
	v_mul_f32_e32 v11, v143, v178
	s_waitcnt lgkmcnt(0)
	v_mul_f32_e32 v182, v150, v189
	v_mul_f32_e32 v139, v152, v201
	v_add_f32_e32 v2, v3, v2
	v_add_f32_e32 v1, v1, v169
	v_mul_f32_e32 v3, v145, v180
	v_fma_f32 v5, v142, v157, -v11
	v_add_f32_e32 v2, v2, v4
	v_add_f32_e32 v1, v1, v164
	v_mul_f32_e32 v4, v135, v181
	s_waitcnt vmcnt(8)
	v_fmac_f32_e32 v174, v137, v176
	s_waitcnt vmcnt(7)
	v_fmac_f32_e32 v173, v135, v191
	s_waitcnt vmcnt(6)
	v_fma_f32 v3, v144, v204, -v3
	v_add_f32_e32 v2, v2, v5
	v_fmac_f32_e32 v172, v145, v204
	v_add_f32_e32 v1, v1, v171
	v_mul_f32_e32 v5, v137, v183
	v_fma_f32 v4, v134, v191, -v4
	v_add_f32_e32 v2, v2, v3
	v_mul_f32_e32 v3, v147, v186
	v_add_f32_e32 v1, v1, v172
	v_fma_f32 v5, v136, v176, -v5
	v_fmac_f32_e32 v168, v147, v154
	v_add_f32_e32 v2, v2, v4
	v_mul_f32_e32 v4, v149, v184
	v_add_f32_e32 v1, v1, v173
	v_fma_f32 v3, v146, v154, -v3
	v_add_f32_e32 v2, v2, v5
	v_mul_f32_e32 v5, v7, v187
	v_add_f32_e32 v1, v1, v174
	v_add_f32_e32 v2, v2, v3
	v_mul_f32_e32 v3, v9, v188
	v_add_f32_e32 v1, v1, v168
	s_waitcnt vmcnt(4)
	v_fmac_f32_e32 v12, v9, v160
	s_waitcnt vmcnt(3)
	v_fma_f32 v5, v6, v161, -v5
	s_waitcnt vmcnt(2)
	v_fma_f32 v4, v148, v190, -v4
	v_fmac_f32_e32 v175, v149, v190
	v_fmac_f32_e32 v177, v7, v161
	v_fma_f32 v3, v8, v160, -v3
	v_fmac_f32_e32 v182, v151, v159
	v_add_f32_e32 v2, v2, v4
	v_add_f32_e32 v1, v1, v175
	v_mul_f32_e32 v4, v151, v189
	s_waitcnt vmcnt(0)
	v_fmac_f32_e32 v139, v153, v162
	v_add_f32_e32 v2, v2, v5
	v_add_f32_e32 v1, v1, v177
	v_mul_f32_e32 v5, v153, v201
	v_fma_f32 v4, v150, v159, -v4
	v_add_f32_e32 v2, v2, v3
	v_add_f32_e32 v1, v1, v12
	v_fma_f32 v3, v152, v162, -v5
	v_add_f32_e32 v2, v2, v4
	v_add_f32_e32 v1, v1, v182
	v_add_f32_e32 v2, v2, v3
	v_add_f32_e32 v1, v1, v139
	v_sub_f32_e32 v2, v192, v2
	v_sub_f32_e32 v1, v170, v1
	buffer_store_dword v2, off, s[0:3], 0 offset:24
	buffer_store_dword v1, off, s[0:3], 0 offset:28
	v_cmpx_lt_u32_e32 2, v0
	s_cbranch_execz .LBB123_369
; %bb.368:
	s_clause 0x1
	buffer_load_dword v1, off, s[0:3], 0 offset:16
	buffer_load_dword v2, off, s[0:3], 0 offset:20
	v_mov_b32_e32 v3, 0
	buffer_store_dword v3, off, s[0:3], 0 offset:16
	buffer_store_dword v3, off, s[0:3], 0 offset:20
	s_waitcnt vmcnt(0)
	ds_write_b64 v133, v[1:2]
.LBB123_369:
	s_or_b32 exec_lo, exec_lo, s4
	s_waitcnt lgkmcnt(0)
	s_waitcnt_vscnt null, 0x0
	s_barrier
	buffer_gl0_inv
	s_clause 0x34
	buffer_load_dword v2, off, s[0:3], 0 offset:28
	buffer_load_dword v3, off, s[0:3], 0 offset:36
	;; [unrolled: 1-line block ×53, first 2 shown]
	v_mov_b32_e32 v1, 0
	ds_read2_b64 v[177:180], v1 offset0:63 offset1:64
	ds_read2_b64 v[181:184], v1 offset0:65 offset1:66
	;; [unrolled: 1-line block ×4, first 2 shown]
	buffer_load_dword v176, off, s[0:3], 0 offset:20
	s_mov_b32 s4, exec_lo
	s_waitcnt vmcnt(53) lgkmcnt(3)
	v_mul_f32_e32 v193, v177, v2
	v_mul_f32_e32 v2, v178, v2
	s_waitcnt vmcnt(52)
	v_mul_f32_e32 v194, v179, v3
	v_mul_f32_e32 v3, v180, v3
	s_waitcnt vmcnt(49)
	v_fmac_f32_e32 v193, v178, v8
	v_fma_f32 v195, v177, v8, -v2
	v_fmac_f32_e32 v194, v180, v7
	v_fma_f32 v196, v179, v7, -v3
	ds_read2_b64 v[177:180], v1 offset0:71 offset1:72
	s_waitcnt vmcnt(48) lgkmcnt(3)
	v_mul_f32_e32 v197, v181, v6
	v_mul_f32_e32 v2, v182, v6
	s_waitcnt vmcnt(47)
	v_mul_f32_e32 v3, v184, v5
	v_mul_f32_e32 v198, v183, v5
	s_waitcnt vmcnt(46) lgkmcnt(2)
	v_mul_f32_e32 v6, v186, v10
	s_waitcnt vmcnt(45)
	v_mul_f32_e32 v7, v188, v9
	v_fmac_f32_e32 v197, v182, v4
	v_fma_f32 v181, v181, v4, -v2
	s_waitcnt vmcnt(41)
	v_fma_f32 v182, v183, v137, -v3
	ds_read2_b64 v[2:5], v1 offset0:73 offset1:74
	v_mul_f32_e32 v199, v185, v10
	v_mul_f32_e32 v10, v187, v9
	v_fmac_f32_e32 v198, v184, v137
	v_fma_f32 v183, v185, v136, -v6
	v_fma_f32 v184, v187, v134, -v7
	ds_read2_b64 v[6:9], v1 offset0:75 offset1:76
	v_fmac_f32_e32 v10, v188, v134
	s_waitcnt vmcnt(40) lgkmcnt(3)
	v_mul_f32_e32 v185, v189, v135
	v_mul_f32_e32 v134, v190, v135
	v_fmac_f32_e32 v199, v186, v136
	s_waitcnt vmcnt(39)
	v_mul_f32_e32 v186, v191, v12
	v_mul_f32_e32 v12, v192, v12
	v_fmac_f32_e32 v185, v190, v11
	v_fma_f32 v11, v189, v11, -v134
	ds_read2_b64 v[134:137], v1 offset0:77 offset1:78
	s_waitcnt vmcnt(35)
	v_fmac_f32_e32 v186, v192, v169
	v_fma_f32 v12, v191, v169, -v12
	s_waitcnt vmcnt(34) lgkmcnt(3)
	v_mul_f32_e32 v169, v177, v168
	v_mul_f32_e32 v168, v178, v168
	s_waitcnt vmcnt(33)
	v_mul_f32_e32 v188, v179, v167
	v_mul_f32_e32 v167, v180, v167
	s_waitcnt vmcnt(32) lgkmcnt(2)
	v_mul_f32_e32 v189, v2, v166
	v_mul_f32_e32 v166, v3, v166
	v_fmac_f32_e32 v169, v178, v161
	v_fma_f32 v168, v177, v161, -v168
	s_waitcnt vmcnt(31)
	v_mul_f32_e32 v177, v4, v165
	v_mul_f32_e32 v161, v5, v165
	v_fmac_f32_e32 v188, v180, v157
	v_fma_f32 v157, v179, v157, -v167
	s_waitcnt vmcnt(30) lgkmcnt(1)
	v_mul_f32_e32 v165, v6, v162
	v_mul_f32_e32 v167, v7, v162
	s_waitcnt vmcnt(29)
	v_mul_f32_e32 v178, v8, v163
	v_mul_f32_e32 v179, v9, v163
	buffer_load_dword v187, off, s[0:3], 0 offset:236
	v_fmac_f32_e32 v189, v3, v147
	v_fma_f32 v147, v2, v147, -v166
	s_waitcnt vmcnt(26)
	v_fmac_f32_e32 v177, v5, v164
	v_fma_f32 v166, v4, v164, -v161
	ds_read2_b64 v[2:5], v1 offset0:79 offset1:80
	ds_read2_b64 v[161:164], v1 offset0:81 offset1:82
	v_fmac_f32_e32 v165, v7, v160
	v_fma_f32 v160, v6, v160, -v167
	v_fmac_f32_e32 v178, v9, v158
	v_fma_f32 v158, v8, v158, -v179
	s_clause 0x4
	buffer_load_dword v167, off, s[0:3], 0 offset:244
	buffer_load_dword v179, off, s[0:3], 0 offset:264
	;; [unrolled: 1-line block ×5, first 2 shown]
	s_waitcnt vmcnt(30) lgkmcnt(2)
	v_mul_f32_e32 v192, v134, v153
	v_mul_f32_e32 v6, v135, v153
	s_waitcnt vmcnt(29)
	v_mul_f32_e32 v7, v137, v151
	v_mul_f32_e32 v153, v136, v151
	v_fmac_f32_e32 v192, v135, v143
	v_fma_f32 v134, v134, v143, -v6
	s_waitcnt vmcnt(25)
	v_fma_f32 v135, v136, v159, -v7
	ds_read2_b64 v[6:9], v1 offset0:83 offset1:84
	v_fmac_f32_e32 v153, v137, v159
	s_waitcnt vmcnt(24) lgkmcnt(2)
	v_mul_f32_e32 v136, v2, v156
	v_mul_f32_e32 v137, v3, v156
	s_waitcnt vmcnt(23)
	v_mul_f32_e32 v143, v4, v155
	v_mul_f32_e32 v151, v5, v155
	v_fmac_f32_e32 v136, v3, v148
	v_fma_f32 v137, v2, v148, -v137
	s_waitcnt vmcnt(22) lgkmcnt(1)
	v_mul_f32_e32 v148, v161, v152
	v_mul_f32_e32 v2, v162, v152
	v_fmac_f32_e32 v143, v5, v144
	v_fma_f32 v144, v4, v144, -v151
	s_waitcnt vmcnt(21)
	v_mul_f32_e32 v151, v163, v146
	v_mul_f32_e32 v3, v164, v146
	s_clause 0x1
	buffer_load_dword v146, off, s[0:3], 0 offset:252
	buffer_load_dword v152, off, s[0:3], 0 offset:260
	v_fmac_f32_e32 v148, v162, v139
	v_fma_f32 v139, v161, v139, -v2
	s_waitcnt vmcnt(19)
	v_fmac_f32_e32 v151, v164, v154
	v_fma_f32 v154, v163, v154, -v3
	ds_read2_b64 v[2:5], v1 offset0:85 offset1:86
	s_waitcnt vmcnt(18) lgkmcnt(1)
	v_mul_f32_e32 v155, v6, v150
	v_mul_f32_e32 v150, v7, v150
	s_waitcnt vmcnt(17)
	v_mul_f32_e32 v156, v8, v149
	v_mul_f32_e32 v149, v9, v149
	buffer_load_dword v164, off, s[0:3], 0 offset:276
	v_fmac_f32_e32 v155, v7, v145
	v_fma_f32 v145, v6, v145, -v150
	v_fmac_f32_e32 v156, v9, v140
	v_fma_f32 v140, v8, v140, -v149
	ds_read2_b64 v[6:9], v1 offset0:87 offset1:88
	buffer_load_dword v149, off, s[0:3], 0 offset:268
	s_waitcnt vmcnt(18) lgkmcnt(1)
	v_mul_f32_e32 v150, v2, v142
	v_mul_f32_e32 v142, v3, v142
	s_waitcnt vmcnt(17)
	v_mul_f32_e32 v159, v4, v141
	v_mul_f32_e32 v141, v5, v141
	v_fmac_f32_e32 v150, v3, v138
	v_fma_f32 v138, v2, v138, -v142
	s_waitcnt vmcnt(13)
	v_fmac_f32_e32 v159, v5, v175
	v_fma_f32 v141, v4, v175, -v141
	ds_read2_b64 v[2:5], v1 offset0:89 offset1:90
	s_waitcnt vmcnt(12) lgkmcnt(1)
	v_mul_f32_e32 v142, v6, v174
	v_mul_f32_e32 v161, v7, v174
	s_waitcnt vmcnt(11)
	v_mul_f32_e32 v162, v8, v173
	v_mul_f32_e32 v163, v9, v173
	v_fmac_f32_e32 v142, v7, v172
	v_fma_f32 v161, v6, v172, -v161
	v_fmac_f32_e32 v162, v9, v171
	v_fma_f32 v163, v8, v171, -v163
	s_clause 0x4
	buffer_load_dword v171, off, s[0:3], 0 offset:296
	buffer_load_dword v172, off, s[0:3], 0 offset:288
	;; [unrolled: 1-line block ×5, first 2 shown]
	v_add_f32_e32 v6, 0, v193
	v_add_f32_e32 v7, 0, v195
	buffer_load_dword v193, off, s[0:3], 0 offset:292
	v_add_f32_e32 v6, v6, v194
	v_add_f32_e32 v7, v7, v196
	;; [unrolled: 1-line block ×4, first 2 shown]
	s_clause 0x1
	buffer_load_dword v181, off, s[0:3], 0 offset:300
	buffer_load_dword v194, off, s[0:3], 0 offset:308
	v_add_f32_e32 v6, v6, v198
	v_add_f32_e32 v7, v7, v182
	s_clause 0x3
	buffer_load_dword v182, off, s[0:3], 0 offset:328
	buffer_load_dword v195, off, s[0:3], 0 offset:320
	;; [unrolled: 1-line block ×4, first 2 shown]
	v_add_f32_e32 v6, v6, v199
	v_add_f32_e32 v7, v7, v183
	;; [unrolled: 1-line block ×4, first 2 shown]
	s_clause 0x3
	buffer_load_dword v10, off, s[0:3], 0 offset:316
	buffer_load_dword v183, off, s[0:3], 0 offset:324
	;; [unrolled: 1-line block ×4, first 2 shown]
	v_add_f32_e32 v6, v6, v185
	v_add_f32_e32 v7, v7, v11
	;; [unrolled: 1-line block ×13, first 2 shown]
	s_waitcnt vmcnt(25) lgkmcnt(0)
	v_mul_f32_e32 v185, v2, v187
	v_mul_f32_e32 v8, v3, v187
	v_fmac_f32_e32 v185, v3, v170
	s_waitcnt vmcnt(24)
	v_mul_f32_e32 v11, v4, v167
	v_mul_f32_e32 v9, v5, v167
	v_fma_f32 v167, v2, v170, -v8
	s_waitcnt vmcnt(20)
	v_fmac_f32_e32 v11, v5, v191
	v_fma_f32 v12, v4, v191, -v9
	ds_read2_b64 v[2:5], v1 offset0:91 offset1:92
	s_clause 0x6
	buffer_load_dword v168, off, s[0:3], 0 offset:360
	buffer_load_dword v169, off, s[0:3], 0 offset:352
	;; [unrolled: 1-line block ×7, first 2 shown]
	ds_read2_b64 v[6:9], v1 offset0:93 offset1:94
	s_waitcnt vmcnt(26) lgkmcnt(1)
	v_mul_f32_e32 v177, v2, v146
	v_mul_f32_e32 v146, v3, v146
	s_waitcnt vmcnt(25)
	v_mul_f32_e32 v166, v4, v152
	v_mul_f32_e32 v152, v5, v152
	v_fmac_f32_e32 v177, v3, v190
	v_add_f32_e32 v3, v147, v165
	v_add_f32_e32 v147, v160, v158
	v_fma_f32 v146, v2, v190, -v146
	v_fmac_f32_e32 v166, v5, v180
	v_fma_f32 v152, v4, v180, -v152
	v_add_f32_e32 v2, v3, v178
	v_add_f32_e32 v3, v147, v134
	s_clause 0x7
	buffer_load_dword v158, off, s[0:3], 0 offset:372
	buffer_load_dword v160, off, s[0:3], 0 offset:380
	;; [unrolled: 1-line block ×8, first 2 shown]
	v_add_f32_e32 v2, v2, v192
	v_add_f32_e32 v3, v3, v135
	s_waitcnt vmcnt(31) lgkmcnt(0)
	v_mul_f32_e32 v147, v6, v149
	v_mul_f32_e32 v4, v7, v149
	s_clause 0x1
	buffer_load_dword v192, off, s[0:3], 0 offset:404
	buffer_load_dword v199, off, s[0:3], 0 offset:412
	v_add_f32_e32 v2, v2, v153
	v_add_f32_e32 v3, v3, v137
	v_fmac_f32_e32 v147, v7, v179
	v_fma_f32 v149, v6, v179, -v4
	s_clause 0x1
	buffer_load_dword v200, off, s[0:3], 0 offset:420
	buffer_load_dword v201, off, s[0:3], 0 offset:428
	v_add_f32_e32 v2, v2, v136
	v_add_f32_e32 v3, v3, v144
	s_clause 0x4
	buffer_load_dword v179, off, s[0:3], 0 offset:436
	buffer_load_dword v202, off, s[0:3], 0 offset:444
	;; [unrolled: 1-line block ×5, first 2 shown]
	v_add_f32_e32 v2, v2, v143
	v_add_f32_e32 v6, v3, v139
	v_mul_f32_e32 v3, v9, v164
	v_mul_f32_e32 v143, v8, v164
	buffer_load_dword v164, off, s[0:3], 0 offset:476
	v_add_f32_e32 v7, v2, v148
	v_add_f32_e32 v6, v6, v154
	;; [unrolled: 1-line block ×4, first 2 shown]
	s_waitcnt vmcnt(37)
	v_fma_f32 v144, v8, v174, -v3
	ds_read2_b64 v[2:5], v1 offset0:95 offset1:96
	v_fmac_f32_e32 v143, v9, v174
	v_add_f32_e32 v7, v7, v155
	s_clause 0x3
	buffer_load_dword v154, off, s[0:3], 0 offset:424
	buffer_load_dword v155, off, s[0:3], 0 offset:416
	;; [unrolled: 1-line block ×4, first 2 shown]
	v_add_f32_e32 v6, v6, v140
	v_add_f32_e32 v134, v7, v156
	;; [unrolled: 1-line block ×3, first 2 shown]
	ds_read2_b64 v[6:9], v1 offset0:97 offset1:98
	v_add_f32_e32 v134, v134, v150
	v_add_f32_e32 v135, v135, v141
	s_waitcnt vmcnt(40) lgkmcnt(1)
	v_mul_f32_e32 v145, v2, v175
	v_mul_f32_e32 v136, v3, v175
	s_waitcnt vmcnt(39)
	v_mul_f32_e32 v150, v4, v193
	v_fmac_f32_e32 v145, v3, v173
	v_fma_f32 v148, v2, v173, -v136
	v_add_f32_e32 v2, v134, v159
	v_add_f32_e32 v3, v135, v161
	s_clause 0x3
	buffer_load_dword v156, off, s[0:3], 0 offset:456
	buffer_load_dword v159, off, s[0:3], 0 offset:448
	;; [unrolled: 1-line block ×4, first 2 shown]
	v_mul_f32_e32 v134, v5, v193
	s_waitcnt vmcnt(42) lgkmcnt(0)
	v_mul_f32_e32 v153, v6, v181
	v_add_f32_e32 v2, v2, v142
	v_add_f32_e32 v3, v3, v163
	s_clause 0x1
	buffer_load_dword v163, off, s[0:3], 0 offset:472
	buffer_load_dword v175, off, s[0:3], 0 offset:464
	v_mul_f32_e32 v138, v7, v181
	s_waitcnt vmcnt(43)
	v_mul_f32_e32 v139, v9, v194
	v_add_f32_e32 v2, v2, v162
	buffer_load_dword v162, off, s[0:3], 0 offset:16
	v_add_f32_e32 v3, v3, v167
	v_mul_f32_e32 v167, v8, v194
	v_fmac_f32_e32 v150, v5, v172
	v_add_f32_e32 v135, v2, v185
	v_fma_f32 v151, v4, v172, -v134
	v_add_f32_e32 v12, v3, v12
	ds_read2_b64 v[2:5], v1 offset0:99 offset1:100
	v_fmac_f32_e32 v153, v7, v171
	v_add_f32_e32 v11, v135, v11
	ds_read2_b64 v[134:137], v1 offset0:101 offset1:102
	v_add_f32_e32 v12, v12, v146
	v_fma_f32 v171, v6, v171, -v138
	s_waitcnt vmcnt(40)
	v_fmac_f32_e32 v167, v9, v197
	v_add_f32_e32 v11, v11, v177
	v_add_f32_e32 v12, v12, v152
	v_fma_f32 v152, v8, v197, -v139
	ds_read2_b64 v[6:9], v1 offset0:103 offset1:104
	ds_read2_b64 v[138:141], v1 offset0:105 offset1:106
	v_add_f32_e32 v11, v11, v166
	v_add_f32_e32 v12, v12, v149
	;; [unrolled: 1-line block ×4, first 2 shown]
	s_waitcnt vmcnt(39) lgkmcnt(3)
	v_mul_f32_e32 v166, v2, v10
	v_mul_f32_e32 v10, v3, v10
	v_add_f32_e32 v11, v11, v143
	s_waitcnt vmcnt(38)
	v_mul_f32_e32 v142, v5, v183
	v_add_f32_e32 v12, v12, v148
	v_mul_f32_e32 v172, v4, v183
	v_fma_f32 v10, v2, v196, -v10
	v_add_f32_e32 v11, v11, v145
	v_fmac_f32_e32 v166, v3, v196
	v_add_f32_e32 v12, v12, v151
	s_waitcnt vmcnt(37) lgkmcnt(2)
	v_mul_f32_e32 v177, v134, v198
	v_mul_f32_e32 v146, v135, v198
	v_add_f32_e32 v11, v11, v150
	v_fma_f32 v183, v4, v195, -v142
	v_add_f32_e32 v12, v12, v171
	v_fmac_f32_e32 v172, v5, v195
	s_waitcnt vmcnt(36)
	v_mul_f32_e32 v147, v137, v184
	v_add_f32_e32 v11, v11, v153
	v_fmac_f32_e32 v177, v135, v182
	v_fma_f32 v182, v134, v182, -v146
	v_mul_f32_e32 v181, v136, v184
	ds_read2_b64 v[2:5], v1 offset0:107 offset1:108
	ds_read2_b64 v[142:145], v1 offset0:109 offset1:110
	v_add_f32_e32 v11, v11, v167
	v_add_f32_e32 v166, v11, v166
	;; [unrolled: 1-line block ×4, first 2 shown]
	s_waitcnt vmcnt(31) lgkmcnt(3)
	v_mul_f32_e32 v171, v6, v157
	v_mul_f32_e32 v150, v7, v157
	v_fma_f32 v184, v136, v186, -v147
	v_fmac_f32_e32 v181, v137, v186
	s_waitcnt vmcnt(30)
	v_mul_f32_e32 v151, v9, v187
	v_fmac_f32_e32 v171, v7, v170
	v_add_f32_e32 v7, v12, v152
	v_fma_f32 v12, v6, v170, -v150
	v_mul_f32_e32 v185, v8, v187
	v_add_f32_e32 v166, v166, v181
	v_fma_f32 v157, v8, v169, -v151
	v_add_f32_e32 v167, v7, v10
	s_waitcnt vmcnt(29) lgkmcnt(2)
	v_mul_f32_e32 v172, v139, v188
	v_fmac_f32_e32 v185, v9, v169
	v_mul_f32_e32 v169, v138, v188
	v_add_f32_e32 v166, v166, v171
	v_add_f32_e32 v167, v167, v183
	v_fma_f32 v138, v138, v168, -v172
	ds_read2_b64 v[134:137], v1 offset0:111 offset1:112
	ds_read2_b64 v[146:149], v1 offset0:113 offset1:114
	v_fmac_f32_e32 v169, v139, v168
	ds_read2_b64 v[6:9], v1 offset0:115 offset1:116
	ds_read2_b64 v[150:153], v1 offset0:117 offset1:118
	ds_read_b64 v[10:11], v1 offset:952
	v_add_f32_e32 v167, v167, v182
	v_add_f32_e32 v167, v167, v184
	s_waitcnt vmcnt(28)
	v_mul_f32_e32 v170, v140, v158
	v_mul_f32_e32 v158, v141, v158
	v_add_f32_e32 v12, v167, v12
	s_waitcnt vmcnt(27) lgkmcnt(6)
	v_mul_f32_e32 v182, v2, v160
	v_mul_f32_e32 v160, v3, v160
	s_waitcnt vmcnt(26)
	v_mul_f32_e32 v177, v4, v165
	v_mul_f32_e32 v165, v5, v165
	v_add_f32_e32 v12, v12, v157
	v_add_f32_e32 v157, v166, v185
	s_waitcnt vmcnt(21)
	v_fma_f32 v140, v140, v191, -v158
	v_fmac_f32_e32 v170, v141, v191
	v_fmac_f32_e32 v182, v3, v190
	v_add_f32_e32 v12, v12, v138
	v_add_f32_e32 v138, v157, v169
	v_fma_f32 v2, v2, v190, -v160
	v_fma_f32 v4, v4, v189, -v165
	s_waitcnt lgkmcnt(5)
	v_mul_f32_e32 v139, v142, v178
	v_add_f32_e32 v3, v12, v140
	v_add_f32_e32 v12, v138, v170
	v_mul_f32_e32 v138, v143, v178
	v_fmac_f32_e32 v177, v5, v189
	s_waitcnt vmcnt(20)
	v_mul_f32_e32 v5, v145, v192
	v_add_f32_e32 v2, v3, v2
	v_add_f32_e32 v3, v12, v182
	v_fma_f32 v12, v142, v180, -v138
	v_mul_f32_e32 v168, v144, v192
	v_fmac_f32_e32 v139, v143, v180
	v_add_f32_e32 v2, v2, v4
	v_add_f32_e32 v3, v3, v177
	s_waitcnt vmcnt(19) lgkmcnt(4)
	v_mul_f32_e32 v4, v135, v199
	v_mul_f32_e32 v172, v134, v199
	s_waitcnt vmcnt(18)
	v_mul_f32_e32 v141, v136, v200
	v_add_f32_e32 v2, v2, v12
	v_add_f32_e32 v3, v3, v139
	v_mul_f32_e32 v12, v137, v200
	s_waitcnt vmcnt(17) lgkmcnt(3)
	v_mul_f32_e32 v158, v146, v201
	s_waitcnt vmcnt(16)
	v_mul_f32_e32 v167, v148, v179
	s_waitcnt vmcnt(15) lgkmcnt(2)
	v_mul_f32_e32 v171, v6, v202
	s_waitcnt vmcnt(14)
	;; [unrolled: 4-line block ×3, first 2 shown]
	v_fma_f32 v12, v136, v155, -v12
	s_waitcnt vmcnt(8)
	v_fma_f32 v4, v134, v174, -v4
	s_waitcnt vmcnt(7)
	v_fma_f32 v5, v144, v206, -v5
	v_fmac_f32_e32 v168, v145, v206
	v_fmac_f32_e32 v172, v135, v174
	;; [unrolled: 1-line block ×4, first 2 shown]
	v_add_f32_e32 v2, v2, v5
	v_add_f32_e32 v3, v3, v168
	v_mul_f32_e32 v5, v147, v201
	v_mul_f32_e32 v183, v152, v205
	s_waitcnt lgkmcnt(0)
	v_mul_f32_e32 v157, v10, v164
	v_add_f32_e32 v2, v2, v4
	v_add_f32_e32 v3, v3, v172
	v_mul_f32_e32 v4, v149, v179
	v_fma_f32 v5, v146, v154, -v5
	v_add_f32_e32 v2, v2, v12
	v_add_f32_e32 v3, v3, v141
	v_mul_f32_e32 v12, v7, v202
	v_add_f32_e32 v2, v2, v5
	v_add_f32_e32 v3, v3, v158
	v_mul_f32_e32 v5, v9, v203
	s_waitcnt vmcnt(6)
	v_fmac_f32_e32 v166, v151, v156
	s_waitcnt vmcnt(5)
	v_fmac_f32_e32 v181, v9, v159
	s_waitcnt vmcnt(4)
	v_fma_f32 v6, v6, v161, -v12
	s_waitcnt vmcnt(3)
	v_fma_f32 v4, v148, v173, -v4
	v_fmac_f32_e32 v167, v149, v173
	v_fmac_f32_e32 v171, v7, v161
	v_fma_f32 v5, v8, v159, -v5
	s_waitcnt vmcnt(2)
	v_fmac_f32_e32 v157, v11, v163
	v_add_f32_e32 v2, v2, v4
	v_add_f32_e32 v3, v3, v167
	v_mul_f32_e32 v4, v151, v204
	s_waitcnt vmcnt(1)
	v_fmac_f32_e32 v183, v153, v175
	v_add_f32_e32 v2, v2, v6
	v_add_f32_e32 v3, v3, v171
	v_mul_f32_e32 v6, v153, v205
	v_fma_f32 v4, v150, v156, -v4
	v_add_f32_e32 v2, v2, v5
	v_add_f32_e32 v3, v3, v181
	v_mul_f32_e32 v5, v11, v164
	v_fma_f32 v6, v152, v175, -v6
	v_add_f32_e32 v2, v2, v4
	v_add_f32_e32 v3, v3, v166
	v_fma_f32 v4, v10, v163, -v5
	v_add_f32_e32 v2, v2, v6
	v_add_f32_e32 v3, v3, v183
	;; [unrolled: 1-line block ×4, first 2 shown]
	s_waitcnt vmcnt(0)
	v_sub_f32_e32 v2, v162, v2
	v_sub_f32_e32 v3, v176, v3
	buffer_store_dword v2, off, s[0:3], 0 offset:16
	buffer_store_dword v3, off, s[0:3], 0 offset:20
	v_cmpx_lt_u32_e32 1, v0
	s_cbranch_execz .LBB123_371
; %bb.370:
	s_clause 0x1
	buffer_load_dword v2, off, s[0:3], 0 offset:8
	buffer_load_dword v3, off, s[0:3], 0 offset:12
	buffer_store_dword v1, off, s[0:3], 0 offset:8
	buffer_store_dword v1, off, s[0:3], 0 offset:12
	s_waitcnt vmcnt(0)
	ds_write_b64 v133, v[2:3]
.LBB123_371:
	s_or_b32 exec_lo, exec_lo, s4
	s_waitcnt lgkmcnt(0)
	s_waitcnt_vscnt null, 0x0
	s_barrier
	buffer_gl0_inv
	s_clause 0x3c
	buffer_load_dword v168, off, s[0:3], 0 offset:20
	buffer_load_dword v169, off, s[0:3], 0 offset:28
	;; [unrolled: 1-line block ×61, first 2 shown]
	ds_read_b128 v[182:185], v1 offset:496
	ds_read_b128 v[186:189], v1 offset:512
	s_mov_b32 s4, exec_lo
	s_waitcnt vmcnt(60) lgkmcnt(1)
	v_mul_f32_e32 v178, v182, v168
	v_mul_f32_e32 v193, v183, v168
	s_waitcnt vmcnt(59)
	v_mul_f32_e32 v168, v184, v169
	v_mul_f32_e32 v194, v185, v169
	buffer_load_dword v169, off, s[0:3], 0 offset:12
	s_waitcnt vmcnt(57)
	v_fmac_f32_e32 v178, v183, v6
	v_fma_f32 v193, v182, v6, -v193
	v_fmac_f32_e32 v168, v185, v5
	v_fma_f32 v194, v184, v5, -v194
	ds_read_b128 v[182:185], v1 offset:528
	s_waitcnt vmcnt(56) lgkmcnt(1)
	v_mul_f32_e32 v195, v186, v4
	v_mul_f32_e32 v4, v187, v4
	s_waitcnt vmcnt(55)
	v_mul_f32_e32 v196, v188, v3
	v_mul_f32_e32 v3, v189, v3
	v_fmac_f32_e32 v195, v187, v2
	v_fma_f32 v186, v186, v2, -v4
	s_waitcnt vmcnt(51)
	v_fmac_f32_e32 v196, v189, v135
	v_fma_f32 v135, v188, v135, -v3
	ds_read_b128 v[2:5], v1 offset:544
	s_waitcnt vmcnt(50) lgkmcnt(1)
	v_mul_f32_e32 v187, v182, v134
	v_mul_f32_e32 v6, v183, v134
	s_waitcnt vmcnt(49)
	v_mul_f32_e32 v134, v184, v12
	v_mul_f32_e32 v12, v185, v12
	v_fmac_f32_e32 v187, v183, v11
	v_fma_f32 v11, v182, v11, -v6
	v_fmac_f32_e32 v134, v185, v8
	v_fma_f32 v12, v184, v8, -v12
	ds_read_b128 v[182:185], v1 offset:560
	s_waitcnt vmcnt(48) lgkmcnt(1)
	v_mul_f32_e32 v188, v2, v10
	v_mul_f32_e32 v6, v3, v10
	s_waitcnt vmcnt(47)
	v_mul_f32_e32 v10, v4, v9
	v_mul_f32_e32 v8, v5, v9
	v_fmac_f32_e32 v188, v3, v7
	v_fma_f32 v189, v2, v7, -v6
	s_waitcnt vmcnt(43)
	v_fmac_f32_e32 v10, v5, v167
	v_fma_f32 v167, v4, v167, -v8
	ds_read_b128 v[2:5], v1 offset:576
	s_waitcnt vmcnt(42) lgkmcnt(1)
	v_mul_f32_e32 v197, v182, v166
	v_mul_f32_e32 v6, v183, v166
	s_waitcnt vmcnt(41)
	v_mul_f32_e32 v166, v184, v165
	v_mul_f32_e32 v7, v185, v165
	v_fmac_f32_e32 v197, v183, v160
	v_fma_f32 v160, v182, v160, -v6
	v_fmac_f32_e32 v166, v185, v155
	v_fma_f32 v155, v184, v155, -v7
	ds_read_b128 v[6:9], v1 offset:592
	s_waitcnt vmcnt(40) lgkmcnt(1)
	v_mul_f32_e32 v165, v2, v159
	v_mul_f32_e32 v159, v3, v159
	s_waitcnt vmcnt(39)
	v_mul_f32_e32 v182, v4, v157
	v_mul_f32_e32 v157, v5, v157
	buffer_load_dword v183, off, s[0:3], 0 offset:260
	v_fmac_f32_e32 v165, v3, v143
	v_fma_f32 v143, v2, v143, -v159
	s_waitcnt vmcnt(36)
	v_fmac_f32_e32 v182, v5, v164
	v_fma_f32 v157, v4, v164, -v157
	ds_read_b128 v[2:5], v1 offset:608
	s_waitcnt vmcnt(35) lgkmcnt(1)
	v_mul_f32_e32 v159, v6, v163
	v_mul_f32_e32 v163, v7, v163
	s_waitcnt vmcnt(34)
	v_mul_f32_e32 v164, v8, v162
	v_mul_f32_e32 v162, v9, v162
	v_fmac_f32_e32 v159, v7, v153
	v_fma_f32 v153, v6, v153, -v163
	v_fmac_f32_e32 v164, v9, v148
	v_fma_f32 v148, v8, v148, -v162
	ds_read_b128 v[6:9], v1 offset:624
	s_waitcnt vmcnt(33) lgkmcnt(1)
	v_mul_f32_e32 v162, v2, v152
	v_mul_f32_e32 v152, v3, v152
	s_waitcnt vmcnt(32)
	v_mul_f32_e32 v163, v4, v150
	v_mul_f32_e32 v150, v5, v150
	v_fmac_f32_e32 v162, v3, v138
	v_fma_f32 v138, v2, v138, -v152
	s_waitcnt vmcnt(28)
	v_fmac_f32_e32 v163, v5, v161
	v_fma_f32 v150, v4, v161, -v150
	ds_read_b128 v[2:5], v1 offset:640
	s_waitcnt vmcnt(27) lgkmcnt(1)
	v_mul_f32_e32 v152, v6, v158
	v_mul_f32_e32 v158, v7, v158
	s_waitcnt vmcnt(26)
	v_mul_f32_e32 v161, v8, v156
	v_mul_f32_e32 v156, v9, v156
	v_fmac_f32_e32 v152, v7, v147
	v_fma_f32 v147, v6, v147, -v158
	v_fmac_f32_e32 v161, v9, v144
	v_fma_f32 v144, v8, v144, -v156
	ds_read_b128 v[6:9], v1 offset:656
	s_waitcnt vmcnt(25) lgkmcnt(1)
	v_mul_f32_e32 v156, v2, v146
	v_mul_f32_e32 v146, v3, v146
	s_waitcnt vmcnt(24)
	v_mul_f32_e32 v158, v4, v145
	v_mul_f32_e32 v145, v5, v145
	v_fmac_f32_e32 v156, v3, v137
	v_fma_f32 v137, v2, v137, -v146
	s_waitcnt vmcnt(20)
	v_fmac_f32_e32 v158, v5, v154
	v_fma_f32 v145, v4, v154, -v145
	ds_read_b128 v[2:5], v1 offset:672
	s_waitcnt vmcnt(19) lgkmcnt(1)
	v_mul_f32_e32 v146, v6, v151
	v_mul_f32_e32 v151, v7, v151
	s_waitcnt vmcnt(18)
	v_mul_f32_e32 v154, v8, v149
	v_mul_f32_e32 v149, v9, v149
	v_fmac_f32_e32 v146, v7, v142
	v_fma_f32 v142, v6, v142, -v151
	v_fmac_f32_e32 v154, v9, v139
	v_fma_f32 v139, v8, v139, -v149
	ds_read_b128 v[6:9], v1 offset:688
	s_waitcnt vmcnt(17) lgkmcnt(1)
	v_mul_f32_e32 v149, v2, v141
	v_mul_f32_e32 v141, v3, v141
	s_waitcnt vmcnt(16)
	v_mul_f32_e32 v151, v4, v140
	v_mul_f32_e32 v140, v5, v140
	v_fmac_f32_e32 v149, v3, v136
	v_fma_f32 v136, v2, v136, -v141
	s_waitcnt vmcnt(12)
	v_fmac_f32_e32 v151, v5, v177
	v_fma_f32 v140, v4, v177, -v140
	ds_read_b128 v[2:5], v1 offset:704
	s_waitcnt vmcnt(11) lgkmcnt(1)
	v_mul_f32_e32 v141, v6, v176
	v_mul_f32_e32 v176, v7, v176
	s_waitcnt vmcnt(10)
	v_mul_f32_e32 v177, v8, v175
	v_mul_f32_e32 v175, v9, v175
	v_fmac_f32_e32 v141, v7, v174
	v_fma_f32 v174, v6, v174, -v176
	v_fmac_f32_e32 v177, v9, v171
	v_fma_f32 v171, v8, v171, -v175
	ds_read_b128 v[6:9], v1 offset:720
	s_waitcnt vmcnt(9) lgkmcnt(1)
	v_mul_f32_e32 v175, v2, v173
	v_mul_f32_e32 v173, v3, v173
	s_waitcnt vmcnt(8)
	v_mul_f32_e32 v176, v4, v172
	v_mul_f32_e32 v172, v5, v172
	v_fmac_f32_e32 v175, v3, v170
	v_fma_f32 v170, v2, v170, -v173
	s_waitcnt vmcnt(4)
	v_fmac_f32_e32 v176, v5, v190
	v_fma_f32 v172, v4, v190, -v172
	ds_read_b128 v[2:5], v1 offset:736
	s_waitcnt vmcnt(3) lgkmcnt(1)
	v_mul_f32_e32 v173, v6, v191
	v_mul_f32_e32 v184, v7, v191
	buffer_load_dword v191, off, s[0:3], 0 offset:268
	s_waitcnt vmcnt(3)
	v_mul_f32_e32 v185, v8, v192
	v_mul_f32_e32 v190, v9, v192
	v_fmac_f32_e32 v173, v7, v181
	v_fma_f32 v181, v6, v181, -v184
	v_fmac_f32_e32 v185, v9, v180
	v_fma_f32 v180, v8, v180, -v190
	s_clause 0x4
	buffer_load_dword v184, off, s[0:3], 0 offset:288
	buffer_load_dword v190, off, s[0:3], 0 offset:280
	;; [unrolled: 1-line block ×5, first 2 shown]
	s_waitcnt vmcnt(6) lgkmcnt(0)
	v_mul_f32_e32 v199, v2, v183
	v_mul_f32_e32 v7, v3, v183
	v_fmac_f32_e32 v199, v3, v179
	v_fma_f32 v179, v2, v179, -v7
	s_waitcnt vmcnt(5)
	v_mul_f32_e32 v183, v4, v191
	v_mul_f32_e32 v2, v5, v191
	s_waitcnt vmcnt(1)
	v_fmac_f32_e32 v183, v5, v6
	v_fma_f32 v191, v4, v6, -v2
	ds_read_b128 v[2:5], v1 offset:752
	ds_read_b128 v[6:9], v1 offset:768
	s_waitcnt vmcnt(0) lgkmcnt(1)
	v_mul_f32_e32 v200, v2, v198
	v_mul_f32_e32 v198, v3, v198
	v_fmac_f32_e32 v200, v3, v192
	v_fma_f32 v192, v2, v192, -v198
	s_clause 0x1
	buffer_load_dword v2, off, s[0:3], 0 offset:284
	buffer_load_dword v3, off, s[0:3], 0 offset:292
	s_waitcnt vmcnt(1)
	v_mul_f32_e32 v198, v4, v2
	v_mul_f32_e32 v2, v5, v2
	v_fmac_f32_e32 v198, v5, v190
	v_fma_f32 v190, v4, v190, -v2
	v_add_f32_e32 v2, 0, v193
	v_add_f32_e32 v4, 0, v178
	;; [unrolled: 1-line block ×4, first 2 shown]
	buffer_load_dword v168, off, s[0:3], 0 offset:300
	v_add_f32_e32 v2, v2, v186
	v_add_f32_e32 v4, v4, v195
	;; [unrolled: 1-line block ×3, first 2 shown]
	s_clause 0x3
	buffer_load_dword v178, off, s[0:3], 0 offset:320
	buffer_load_dword v186, off, s[0:3], 0 offset:312
	;; [unrolled: 1-line block ×4, first 2 shown]
	v_add_f32_e32 v4, v4, v196
	v_add_f32_e32 v2, v2, v11
	buffer_load_dword v11, off, s[0:3], 0 offset:308
	v_add_f32_e32 v4, v4, v187
	v_add_f32_e32 v2, v2, v12
	s_clause 0x1
	buffer_load_dword v12, off, s[0:3], 0 offset:316
	buffer_load_dword v187, off, s[0:3], 0 offset:324
	v_add_f32_e32 v4, v4, v134
	v_add_f32_e32 v2, v2, v189
	s_clause 0x1
	buffer_load_dword v189, off, s[0:3], 0 offset:332
	buffer_load_dword v194, off, s[0:3], 0 offset:340
	v_add_f32_e32 v4, v4, v188
	v_add_f32_e32 v2, v2, v167
	;; [unrolled: 1-line block ×4, first 2 shown]
	s_clause 0x3
	buffer_load_dword v10, off, s[0:3], 0 offset:352
	buffer_load_dword v160, off, s[0:3], 0 offset:344
	;; [unrolled: 1-line block ×4, first 2 shown]
	v_add_f32_e32 v4, v4, v197
	v_add_f32_e32 v2, v2, v155
	buffer_load_dword v155, off, s[0:3], 0 offset:348
	v_add_f32_e32 v4, v4, v166
	s_clause 0x1
	buffer_load_dword v166, off, s[0:3], 0 offset:356
	buffer_load_dword v195, off, s[0:3], 0 offset:364
	v_add_f32_e32 v2, v2, v143
	v_add_f32_e32 v4, v4, v165
	;; [unrolled: 1-line block ×4, first 2 shown]
	s_clause 0x3
	buffer_load_dword v157, off, s[0:3], 0 offset:384
	buffer_load_dword v165, off, s[0:3], 0 offset:376
	;; [unrolled: 1-line block ×4, first 2 shown]
	v_add_f32_e32 v2, v2, v153
	v_add_f32_e32 v4, v4, v159
	buffer_load_dword v159, off, s[0:3], 0 offset:372
	v_add_f32_e32 v2, v2, v148
	v_add_f32_e32 v4, v4, v164
	buffer_load_dword v164, off, s[0:3], 0 offset:380
	v_add_f32_e32 v2, v2, v138
	v_add_f32_e32 v4, v4, v162
	s_clause 0x2
	buffer_load_dword v162, off, s[0:3], 0 offset:388
	buffer_load_dword v197, off, s[0:3], 0 offset:396
	;; [unrolled: 1-line block ×3, first 2 shown]
	v_add_f32_e32 v2, v2, v150
	v_add_f32_e32 v4, v4, v163
	s_clause 0x2
	buffer_load_dword v163, off, s[0:3], 0 offset:412
	buffer_load_dword v202, off, s[0:3], 0 offset:420
	;; [unrolled: 1-line block ×3, first 2 shown]
	v_add_f32_e32 v2, v2, v147
	buffer_load_dword v204, off, s[0:3], 0 offset:436
	v_add_f32_e32 v4, v4, v152
	s_clause 0x2
	buffer_load_dword v205, off, s[0:3], 0 offset:444
	buffer_load_dword v206, off, s[0:3], 0 offset:452
	;; [unrolled: 1-line block ×3, first 2 shown]
	v_add_f32_e32 v2, v2, v144
	v_add_f32_e32 v4, v4, v161
	buffer_load_dword v161, off, s[0:3], 0 offset:460
	v_add_f32_e32 v2, v2, v137
	v_add_f32_e32 v4, v4, v156
	buffer_load_dword v156, off, s[0:3], 0 offset:476
	v_add_f32_e32 v2, v2, v145
	v_add_f32_e32 v4, v4, v158
	s_clause 0x3
	buffer_load_dword v158, off, s[0:3], 0 offset:416
	buffer_load_dword v208, off, s[0:3], 0 offset:408
	;; [unrolled: 1-line block ×4, first 2 shown]
	v_add_f32_e32 v2, v2, v142
	v_add_f32_e32 v4, v4, v146
	s_waitcnt vmcnt(39) lgkmcnt(0)
	v_mul_f32_e32 v146, v6, v3
	v_mul_f32_e32 v3, v7, v3
	v_add_f32_e32 v2, v2, v139
	v_add_f32_e32 v4, v4, v154
	s_clause 0x3
	buffer_load_dword v154, off, s[0:3], 0 offset:448
	buffer_load_dword v211, off, s[0:3], 0 offset:440
	;; [unrolled: 1-line block ×4, first 2 shown]
	v_fmac_f32_e32 v146, v7, v184
	v_add_f32_e32 v2, v2, v136
	v_fma_f32 v147, v6, v184, -v3
	v_add_f32_e32 v4, v4, v149
	v_add_f32_e32 v2, v2, v140
	;; [unrolled: 1-line block ×4, first 2 shown]
	s_clause 0x3
	buffer_load_dword v174, off, s[0:3], 0 offset:472
	buffer_load_dword v214, off, s[0:3], 0 offset:464
	;; [unrolled: 1-line block ×4, first 2 shown]
	v_add_f32_e32 v4, v4, v141
	v_add_f32_e32 v2, v2, v171
	;; [unrolled: 1-line block ×5, first 2 shown]
	ds_read_b128 v[2:5], v1 offset:784
	v_add_f32_e32 v134, v6, v172
	v_add_f32_e32 v138, v134, v181
	;; [unrolled: 1-line block ×4, first 2 shown]
	s_waitcnt vmcnt(46)
	v_mul_f32_e32 v150, v8, v168
	v_mul_f32_e32 v6, v9, v168
	s_waitcnt vmcnt(42)
	v_fmac_f32_e32 v150, v9, v135
	v_fma_f32 v151, v8, v135, -v6
	v_add_f32_e32 v135, v7, v176
	ds_read_b128 v[6:9], v1 offset:800
	s_waitcnt vmcnt(41) lgkmcnt(1)
	v_mul_f32_e32 v152, v2, v11
	v_mul_f32_e32 v11, v3, v11
	v_add_f32_e32 v139, v135, v173
	ds_read_b128 v[134:137], v1 offset:816
	s_waitcnt vmcnt(40)
	v_mul_f32_e32 v168, v4, v12
	v_fmac_f32_e32 v152, v3, v193
	v_fma_f32 v11, v2, v193, -v11
	v_add_f32_e32 v139, v139, v185
	v_add_f32_e32 v3, v142, v191
	v_mul_f32_e32 v12, v5, v12
	v_fmac_f32_e32 v168, v5, v186
	v_add_f32_e32 v2, v139, v199
	ds_read_b128 v[138:141], v1 offset:832
	v_add_f32_e32 v3, v3, v192
	v_fma_f32 v12, v4, v186, -v12
	v_add_f32_e32 v2, v2, v183
	s_waitcnt vmcnt(39) lgkmcnt(2)
	v_mul_f32_e32 v142, v7, v187
	v_mul_f32_e32 v170, v6, v187
	s_waitcnt vmcnt(38)
	v_mul_f32_e32 v148, v9, v189
	v_mul_f32_e32 v171, v8, v189
	v_add_f32_e32 v2, v2, v200
	s_waitcnt vmcnt(37) lgkmcnt(1)
	v_mul_f32_e32 v172, v134, v194
	v_fma_f32 v173, v6, v178, -v142
	v_add_f32_e32 v6, v3, v190
	v_fmac_f32_e32 v170, v7, v178
	v_add_f32_e32 v7, v2, v198
	v_mul_f32_e32 v149, v135, v194
	s_waitcnt vmcnt(34)
	v_fmac_f32_e32 v172, v135, v167
	v_add_f32_e32 v135, v6, v147
	s_waitcnt vmcnt(32)
	v_mul_f32_e32 v176, v136, v155
	v_fma_f32 v175, v8, v188, -v148
	v_fma_f32 v167, v134, v167, -v149
	v_add_f32_e32 v134, v7, v146
	v_add_f32_e32 v135, v135, v151
	v_mul_f32_e32 v151, v137, v155
	s_waitcnt vmcnt(31) lgkmcnt(0)
	v_mul_f32_e32 v155, v138, v166
	ds_read_b128 v[2:5], v1 offset:848
	ds_read_b128 v[142:145], v1 offset:864
	v_add_f32_e32 v134, v134, v150
	v_add_f32_e32 v11, v135, v11
	v_mul_f32_e32 v135, v139, v166
	s_waitcnt vmcnt(30)
	v_mul_f32_e32 v166, v141, v195
	v_fmac_f32_e32 v155, v139, v10
	v_fmac_f32_e32 v171, v9, v188
	v_add_f32_e32 v11, v11, v12
	v_fma_f32 v10, v138, v10, -v135
	v_add_f32_e32 v138, v134, v152
	s_waitcnt vmcnt(26)
	v_fma_f32 v12, v140, v196, -v166
	v_fmac_f32_e32 v176, v137, v160
	v_add_f32_e32 v11, v11, v173
	v_fma_f32 v160, v136, v160, -v151
	v_add_f32_e32 v166, v138, v168
	v_mul_f32_e32 v177, v140, v195
	ds_read_b128 v[6:9], v1 offset:880
	ds_read_b128 v[146:149], v1 offset:896
	v_add_f32_e32 v11, v11, v175
	ds_read_b128 v[134:137], v1 offset:912
	ds_read_b128 v[150:153], v1 offset:928
	v_add_f32_e32 v166, v166, v170
	v_fmac_f32_e32 v177, v141, v196
	ds_read_b128 v[138:141], v1 offset:944
	v_add_f32_e32 v11, v11, v167
	s_waitcnt vmcnt(25) lgkmcnt(6)
	v_mul_f32_e32 v1, v2, v159
	v_add_f32_e32 v166, v166, v171
	v_mul_f32_e32 v159, v3, v159
	s_waitcnt vmcnt(24)
	v_mul_f32_e32 v168, v4, v164
	v_add_f32_e32 v11, v11, v160
	v_mul_f32_e32 v164, v5, v164
	v_add_f32_e32 v166, v166, v172
	v_fma_f32 v2, v2, v182, -v159
	v_fmac_f32_e32 v1, v3, v182
	v_add_f32_e32 v10, v11, v10
	v_fma_f32 v4, v4, v165, -v164
	v_add_f32_e32 v166, v166, v176
	s_waitcnt vmcnt(23) lgkmcnt(5)
	v_mul_f32_e32 v170, v142, v162
	v_fmac_f32_e32 v168, v5, v165
	v_add_f32_e32 v10, v10, v12
	s_waitcnt vmcnt(22)
	v_mul_f32_e32 v5, v145, v197
	v_add_f32_e32 v155, v166, v155
	v_mul_f32_e32 v171, v144, v197
	v_fmac_f32_e32 v170, v143, v157
	v_add_f32_e32 v2, v10, v2
	s_waitcnt vmcnt(8)
	v_fma_f32 v5, v144, v210, -v5
	v_add_f32_e32 v12, v155, v177
	v_mul_f32_e32 v155, v143, v162
	s_waitcnt lgkmcnt(4)
	v_mul_f32_e32 v173, v6, v201
	v_add_f32_e32 v2, v2, v4
	v_mul_f32_e32 v4, v7, v201
	v_add_f32_e32 v1, v12, v1
	v_fma_f32 v10, v142, v157, -v155
	v_fmac_f32_e32 v171, v145, v210
	v_mul_f32_e32 v167, v8, v163
	v_fma_f32 v4, v6, v209, -v4
	v_add_f32_e32 v1, v1, v168
	v_add_f32_e32 v2, v2, v10
	v_mul_f32_e32 v10, v9, v163
	v_fmac_f32_e32 v173, v7, v209
	s_waitcnt lgkmcnt(3)
	v_mul_f32_e32 v172, v146, v202
	v_add_f32_e32 v1, v1, v170
	v_add_f32_e32 v2, v2, v5
	v_mul_f32_e32 v5, v147, v202
	v_fma_f32 v6, v8, v208, -v10
	v_fmac_f32_e32 v167, v9, v208
	v_add_f32_e32 v1, v1, v171
	v_add_f32_e32 v2, v2, v4
	v_mul_f32_e32 v4, v149, v203
	v_fma_f32 v5, v146, v158, -v5
	v_mul_f32_e32 v175, v148, v203
	v_add_f32_e32 v1, v1, v173
	v_add_f32_e32 v2, v2, v6
	v_fmac_f32_e32 v172, v147, v158
	s_waitcnt lgkmcnt(2)
	v_mul_f32_e32 v6, v135, v204
	s_waitcnt vmcnt(4)
	v_fma_f32 v4, v148, v213, -v4
	v_add_f32_e32 v1, v1, v167
	v_add_f32_e32 v2, v2, v5
	v_mul_f32_e32 v160, v134, v204
	v_fmac_f32_e32 v175, v149, v213
	v_mul_f32_e32 v5, v137, v205
	v_add_f32_e32 v1, v1, v172
	v_fma_f32 v6, v134, v212, -v6
	v_add_f32_e32 v2, v2, v4
	v_mul_f32_e32 v176, v136, v205
	v_fmac_f32_e32 v160, v135, v212
	v_add_f32_e32 v1, v1, v175
	s_waitcnt lgkmcnt(1)
	v_mul_f32_e32 v4, v151, v206
	v_fma_f32 v5, v136, v211, -v5
	v_add_f32_e32 v2, v2, v6
	v_mul_f32_e32 v178, v150, v206
	v_fmac_f32_e32 v176, v137, v211
	v_add_f32_e32 v1, v1, v160
	v_mul_f32_e32 v6, v153, v161
	v_fma_f32 v4, v150, v154, -v4
	v_add_f32_e32 v2, v2, v5
	v_mul_f32_e32 v11, v152, v161
	v_fmac_f32_e32 v178, v151, v154
	v_add_f32_e32 v1, v1, v176
	s_waitcnt lgkmcnt(0)
	v_mul_f32_e32 v5, v139, v207
	s_waitcnt vmcnt(1)
	v_fma_f32 v6, v152, v215, -v6
	v_add_f32_e32 v2, v2, v4
	v_mul_f32_e32 v166, v138, v207
	v_fmac_f32_e32 v11, v153, v215
	v_add_f32_e32 v1, v1, v178
	v_mul_f32_e32 v4, v141, v156
	v_fma_f32 v5, v138, v214, -v5
	v_add_f32_e32 v2, v2, v6
	v_mul_f32_e32 v3, v140, v156
	v_fmac_f32_e32 v166, v139, v214
	v_add_f32_e32 v1, v1, v11
	v_fma_f32 v4, v140, v174, -v4
	v_add_f32_e32 v2, v2, v5
	v_fmac_f32_e32 v3, v141, v174
	v_add_f32_e32 v1, v1, v166
	v_add_f32_e32 v2, v2, v4
	;; [unrolled: 1-line block ×3, first 2 shown]
	s_waitcnt vmcnt(0)
	v_sub_f32_e32 v2, v216, v2
	v_sub_f32_e32 v1, v169, v1
	buffer_store_dword v2, off, s[0:3], 0 offset:8
	buffer_store_dword v1, off, s[0:3], 0 offset:12
	v_cmpx_ne_u32_e32 0, v0
	s_cbranch_execz .LBB123_373
; %bb.372:
	s_clause 0x1
	buffer_load_dword v0, off, s[0:3], 0
	buffer_load_dword v1, off, s[0:3], 0 offset:4
	v_mov_b32_e32 v2, 0
	buffer_store_dword v2, off, s[0:3], 0
	buffer_store_dword v2, off, s[0:3], 0 offset:4
	s_waitcnt vmcnt(0)
	ds_write_b64 v133, v[0:1]
.LBB123_373:
	s_or_b32 exec_lo, exec_lo, s4
	s_waitcnt lgkmcnt(0)
	s_waitcnt_vscnt null, 0x0
	s_barrier
	buffer_gl0_inv
	s_clause 0x3c
	buffer_load_dword v165, off, s[0:3], 0 offset:12
	buffer_load_dword v0, off, s[0:3], 0 offset:24
	;; [unrolled: 1-line block ×61, first 2 shown]
	v_mov_b32_e32 v6, 0
	ds_read2_b64 v[180:183], v6 offset0:61 offset1:62
	ds_read2_b64 v[184:187], v6 offset0:63 offset1:64
	;; [unrolled: 1-line block ×3, first 2 shown]
	s_and_b32 vcc_lo, exec_lo, s16
	s_waitcnt vmcnt(60) lgkmcnt(2)
	v_mul_f32_e32 v177, v180, v165
	v_mul_f32_e32 v195, v181, v165
	buffer_load_dword v165, off, s[0:3], 0 offset:4
	s_waitcnt vmcnt(57)
	v_mul_f32_e32 v196, v182, v4
	v_mul_f32_e32 v4, v183, v4
	v_fmac_f32_e32 v177, v181, v5
	v_fma_f32 v195, v180, v5, -v195
	s_waitcnt vmcnt(56) lgkmcnt(1)
	v_mul_f32_e32 v198, v184, v3
	v_fmac_f32_e32 v196, v183, v2
	v_fma_f32 v197, v182, v2, -v4
	v_mul_f32_e32 v180, v185, v3
	ds_read2_b64 v[2:5], v6 offset0:67 offset1:68
	v_fmac_f32_e32 v198, v185, v0
	s_waitcnt vmcnt(55)
	v_mul_f32_e32 v185, v186, v1
	v_fma_f32 v184, v184, v0, -v180
	v_mul_f32_e32 v0, v187, v1
	ds_read2_b64 v[180:183], v6 offset0:69 offset1:70
	s_waitcnt vmcnt(51)
	v_fmac_f32_e32 v185, v187, v134
	s_waitcnt vmcnt(49) lgkmcnt(2)
	v_mul_f32_e32 v187, v190, v12
	v_fma_f32 v134, v186, v134, -v0
	v_mul_f32_e32 v0, v189, v133
	v_mul_f32_e32 v186, v188, v133
	v_fmac_f32_e32 v187, v191, v9
	v_fma_f32 v133, v188, v11, -v0
	v_mul_f32_e32 v0, v191, v12
	v_fmac_f32_e32 v186, v189, v11
	s_waitcnt vmcnt(48) lgkmcnt(1)
	v_mul_f32_e32 v189, v2, v10
	s_waitcnt vmcnt(47)
	v_mul_f32_e32 v191, v4, v8
	v_fma_f32 v188, v190, v9, -v0
	v_mul_f32_e32 v0, v3, v10
	ds_read2_b64 v[9:12], v6 offset0:71 offset1:72
	v_fmac_f32_e32 v189, v3, v7
	s_waitcnt vmcnt(43)
	v_fmac_f32_e32 v191, v5, v167
	v_fma_f32 v190, v2, v7, -v0
	v_mul_f32_e32 v0, v5, v8
	s_waitcnt vmcnt(42) lgkmcnt(1)
	v_mul_f32_e32 v5, v180, v166
	v_mul_f32_e32 v7, v181, v166
	s_waitcnt vmcnt(41)
	v_mul_f32_e32 v166, v182, v162
	v_fma_f32 v4, v4, v167, -v0
	ds_read2_b64 v[0:3], v6 offset0:73 offset1:74
	v_fmac_f32_e32 v5, v181, v161
	v_fma_f32 v161, v180, v161, -v7
	v_mul_f32_e32 v7, v183, v162
	v_fmac_f32_e32 v166, v183, v155
	v_fma_f32 v162, v182, v155, -v7
	s_waitcnt vmcnt(40) lgkmcnt(1)
	v_mul_f32_e32 v167, v9, v159
	v_mul_f32_e32 v7, v10, v159
	ds_read2_b64 v[180:183], v6 offset0:75 offset1:76
	s_waitcnt vmcnt(39)
	v_mul_f32_e32 v159, v11, v152
	v_fmac_f32_e32 v167, v10, v144
	v_fma_f32 v144, v9, v144, -v7
	v_mul_f32_e32 v7, v12, v152
	s_waitcnt vmcnt(35)
	v_fmac_f32_e32 v159, v12, v164
	s_waitcnt vmcnt(34) lgkmcnt(1)
	v_mul_f32_e32 v152, v1, v163
	v_fma_f32 v11, v11, v164, -v7
	ds_read2_b64 v[7:10], v6 offset0:77 offset1:78
	v_mul_f32_e32 v12, v0, v163
	s_waitcnt vmcnt(33)
	v_mul_f32_e32 v163, v2, v157
	v_fma_f32 v152, v0, v156, -v152
	v_mul_f32_e32 v0, v3, v157
	v_fmac_f32_e32 v12, v1, v156
	v_fmac_f32_e32 v163, v3, v148
	s_waitcnt vmcnt(32) lgkmcnt(1)
	v_mul_f32_e32 v164, v180, v153
	v_mul_f32_e32 v153, v181, v153
	v_fma_f32 v148, v2, v148, -v0
	ds_read2_b64 v[0:3], v6 offset0:79 offset1:80
	v_fmac_f32_e32 v164, v181, v139
	v_fma_f32 v153, v180, v139, -v153
	s_waitcnt vmcnt(31)
	v_mul_f32_e32 v180, v182, v146
	v_mul_f32_e32 v139, v183, v146
	s_waitcnt vmcnt(25) lgkmcnt(1)
	v_mul_f32_e32 v181, v9, v150
	v_fmac_f32_e32 v180, v183, v160
	v_fma_f32 v146, v182, v160, -v139
	v_mul_f32_e32 v160, v7, v158
	v_mul_f32_e32 v139, v8, v158
	ds_read2_b64 v[155:158], v6 offset0:81 offset1:82
	v_fmac_f32_e32 v181, v10, v142
	v_fmac_f32_e32 v160, v8, v149
	v_fma_f32 v149, v7, v149, -v139
	v_mul_f32_e32 v7, v10, v150
	s_waitcnt vmcnt(24) lgkmcnt(1)
	v_mul_f32_e32 v150, v0, v147
	v_mul_f32_e32 v139, v1, v147
	s_waitcnt vmcnt(23)
	v_mul_f32_e32 v147, v2, v140
	v_fma_f32 v142, v9, v142, -v7
	ds_read2_b64 v[7:10], v6 offset0:83 offset1:84
	v_fmac_f32_e32 v150, v1, v136
	v_fma_f32 v136, v0, v136, -v139
	v_mul_f32_e32 v0, v3, v140
	s_waitcnt vmcnt(19)
	v_fmac_f32_e32 v147, v3, v154
	v_fma_f32 v154, v2, v154, -v0
	s_waitcnt vmcnt(18) lgkmcnt(1)
	v_mul_f32_e32 v182, v155, v151
	v_mul_f32_e32 v139, v156, v151
	ds_read2_b64 v[0:3], v6 offset0:85 offset1:86
	s_waitcnt vmcnt(17)
	v_mul_f32_e32 v151, v157, v145
	v_fmac_f32_e32 v182, v156, v143
	v_fma_f32 v143, v155, v143, -v139
	v_mul_f32_e32 v139, v158, v145
	v_fmac_f32_e32 v151, v158, v138
	s_waitcnt vmcnt(16) lgkmcnt(1)
	v_mul_f32_e32 v155, v7, v141
	v_mul_f32_e32 v156, v8, v141
	v_fma_f32 v145, v157, v138, -v139
	ds_read2_b64 v[138:141], v6 offset0:87 offset1:88
	v_fmac_f32_e32 v155, v8, v135
	v_fma_f32 v135, v7, v135, -v156
	s_waitcnt vmcnt(15)
	v_mul_f32_e32 v156, v9, v137
	v_mul_f32_e32 v7, v10, v137
	s_waitcnt vmcnt(10) lgkmcnt(1)
	v_mul_f32_e32 v157, v0, v174
	v_fmac_f32_e32 v156, v10, v175
	v_fma_f32 v137, v9, v175, -v7
	ds_read2_b64 v[7:10], v6 offset0:89 offset1:90
	v_mul_f32_e32 v158, v1, v174
	v_fmac_f32_e32 v157, v1, v172
	buffer_load_dword v175, off, s[0:3], 0 offset:260
	v_fma_f32 v158, v0, v172, -v158
	s_waitcnt vmcnt(10)
	v_mul_f32_e32 v172, v2, v173
	v_mul_f32_e32 v0, v3, v173
	s_waitcnt vmcnt(9) lgkmcnt(1)
	v_mul_f32_e32 v173, v138, v171
	s_waitcnt vmcnt(8)
	v_mul_f32_e32 v1, v141, v170
	v_fmac_f32_e32 v172, v3, v169
	v_fma_f32 v169, v2, v169, -v0
	v_mul_f32_e32 v0, v139, v171
	v_mul_f32_e32 v171, v140, v170
	buffer_load_dword v170, off, s[0:3], 0 offset:252
	v_fmac_f32_e32 v173, v139, v168
	s_waitcnt vmcnt(5)
	v_fma_f32 v139, v140, v192, -v1
	v_fma_f32 v138, v138, v168, -v0
	v_fmac_f32_e32 v171, v141, v192
	ds_read2_b64 v[0:3], v6 offset0:91 offset1:92
	s_waitcnt vmcnt(4) lgkmcnt(1)
	v_mul_f32_e32 v140, v7, v193
	v_mul_f32_e32 v141, v8, v193
	s_waitcnt vmcnt(3)
	v_mul_f32_e32 v168, v9, v194
	v_mul_f32_e32 v174, v10, v194
	v_fmac_f32_e32 v140, v8, v179
	v_fma_f32 v141, v7, v179, -v141
	v_fmac_f32_e32 v168, v10, v178
	v_fma_f32 v174, v9, v178, -v174
	s_clause 0x6
	buffer_load_dword v178, off, s[0:3], 0 offset:280
	buffer_load_dword v179, off, s[0:3], 0 offset:272
	;; [unrolled: 1-line block ×7, first 2 shown]
	v_add_f32_e32 v8, 0, v177
	v_add_f32_e32 v9, 0, v195
	buffer_load_dword v177, off, s[0:3], 0 offset:292
	v_add_f32_e32 v8, v8, v196
	v_add_f32_e32 v9, v9, v197
	;; [unrolled: 1-line block ×5, first 2 shown]
	s_clause 0x3
	buffer_load_dword v184, off, s[0:3], 0 offset:312
	buffer_load_dword v185, off, s[0:3], 0 offset:304
	;; [unrolled: 1-line block ×4, first 2 shown]
	v_add_f32_e32 v9, v9, v134
	buffer_load_dword v197, off, s[0:3], 0 offset:300
	v_add_f32_e32 v8, v8, v186
	s_clause 0x1
	buffer_load_dword v186, off, s[0:3], 0 offset:308
	buffer_load_dword v198, off, s[0:3], 0 offset:316
	v_add_f32_e32 v9, v9, v133
	v_add_f32_e32 v8, v8, v187
	;; [unrolled: 1-line block ×11, first 2 shown]
	s_waitcnt vmcnt(16) lgkmcnt(0)
	v_mul_f32_e32 v133, v3, v175
	s_waitcnt vmcnt(15)
	v_mul_f32_e32 v187, v0, v170
	v_mul_f32_e32 v10, v1, v170
	;; [unrolled: 1-line block ×3, first 2 shown]
	s_clause 0x1
	buffer_load_dword v175, off, s[0:3], 0 offset:324
	buffer_load_dword v188, off, s[0:3], 0 offset:332
	v_fmac_f32_e32 v187, v1, v176
	v_fma_f32 v176, v0, v176, -v10
	s_waitcnt vmcnt(13)
	v_fmac_f32_e32 v170, v3, v7
	v_fma_f32 v189, v2, v7, -v133
	v_add_f32_e32 v7, v8, v191
	ds_read2_b64 v[0:3], v6 offset0:93 offset1:94
	s_clause 0x3
	buffer_load_dword v161, off, s[0:3], 0 offset:344
	buffer_load_dword v190, off, s[0:3], 0 offset:336
	;; [unrolled: 1-line block ×4, first 2 shown]
	v_add_f32_e32 v5, v7, v5
	v_add_f32_e32 v5, v5, v166
	s_clause 0x1
	buffer_load_dword v162, off, s[0:3], 0 offset:340
	buffer_load_dword v166, off, s[0:3], 0 offset:348
	ds_read2_b64 v[7:10], v6 offset0:95 offset1:96
	v_add_f32_e32 v5, v5, v167
	v_add_f32_e32 v5, v5, v159
	s_waitcnt vmcnt(18) lgkmcnt(1)
	v_mul_f32_e32 v133, v1, v192
	v_mul_f32_e32 v11, v0, v192
	buffer_load_dword v159, off, s[0:3], 0 offset:356
	v_fma_f32 v144, v0, v183, -v133
	v_add_f32_e32 v0, v5, v12
	v_fmac_f32_e32 v11, v1, v183
	v_add_f32_e32 v1, v4, v148
	s_clause 0x3
	buffer_load_dword v12, off, s[0:3], 0 offset:376
	buffer_load_dword v167, off, s[0:3], 0 offset:368
	;; [unrolled: 1-line block ×4, first 2 shown]
	s_waitcnt vmcnt(22)
	v_mul_f32_e32 v5, v2, v193
	v_add_f32_e32 v0, v0, v163
	buffer_load_dword v163, off, s[0:3], 0 offset:364
	v_add_f32_e32 v1, v1, v153
	buffer_load_dword v153, off, s[0:3], 0 offset:372
	v_mul_f32_e32 v133, v3, v193
	v_add_f32_e32 v0, v0, v164
	v_fmac_f32_e32 v5, v3, v179
	v_add_f32_e32 v1, v1, v146
	v_fma_f32 v148, v2, v179, -v133
	v_add_f32_e32 v0, v0, v180
	s_clause 0x1
	buffer_load_dword v164, off, s[0:3], 0 offset:380
	buffer_load_dword v179, off, s[0:3], 0 offset:388
	v_add_f32_e32 v1, v1, v149
	s_clause 0x2
	buffer_load_dword v180, off, s[0:3], 0 offset:396
	buffer_load_dword v192, off, s[0:3], 0 offset:404
	;; [unrolled: 1-line block ×3, first 2 shown]
	s_waitcnt vmcnt(28) lgkmcnt(0)
	v_mul_f32_e32 v2, v8, v194
	v_add_f32_e32 v0, v0, v160
	s_clause 0x1
	buffer_load_dword v160, off, s[0:3], 0 offset:420
	buffer_load_dword v200, off, s[0:3], 0 offset:428
	v_add_f32_e32 v1, v1, v142
	s_waitcnt vmcnt(29)
	v_mul_f32_e32 v149, v9, v177
	v_fma_f32 v142, v7, v178, -v2
	v_add_f32_e32 v0, v0, v181
	s_clause 0x1
	buffer_load_dword v181, off, s[0:3], 0 offset:436
	buffer_load_dword v201, off, s[0:3], 0 offset:444
	v_add_f32_e32 v1, v1, v136
	s_clause 0x2
	buffer_load_dword v202, off, s[0:3], 0 offset:452
	buffer_load_dword v203, off, s[0:3], 0 offset:460
	;; [unrolled: 1-line block ×3, first 2 shown]
	s_waitcnt vmcnt(30)
	v_fmac_f32_e32 v149, v10, v196
	v_add_f32_e32 v0, v0, v150
	v_add_f32_e32 v1, v1, v154
	buffer_load_dword v154, off, s[0:3], 0 offset:476
	v_add_f32_e32 v0, v0, v147
	v_add_f32_e32 v1, v1, v143
	v_add_f32_e32 v0, v0, v182
	s_clause 0x3
	buffer_load_dword v182, off, s[0:3], 0 offset:408
	buffer_load_dword v205, off, s[0:3], 0 offset:400
	;; [unrolled: 1-line block ×4, first 2 shown]
	v_add_f32_e32 v1, v1, v145
	v_mul_f32_e32 v145, v7, v194
	v_add_f32_e32 v0, v0, v151
	v_add_f32_e32 v1, v1, v135
	v_fmac_f32_e32 v145, v8, v178
	v_add_f32_e32 v0, v0, v155
	s_clause 0x3
	buffer_load_dword v155, off, s[0:3], 0 offset:440
	buffer_load_dword v208, off, s[0:3], 0 offset:432
	;; [unrolled: 1-line block ×4, first 2 shown]
	v_add_f32_e32 v1, v1, v137
	v_add_f32_e32 v0, v0, v156
	;; [unrolled: 1-line block ×4, first 2 shown]
	s_clause 0x3
	buffer_load_dword v156, off, s[0:3], 0 offset:472
	buffer_load_dword v157, off, s[0:3], 0 offset:464
	;; [unrolled: 1-line block ×4, first 2 shown]
	v_add_f32_e32 v1, v1, v169
	buffer_load_dword v169, off, s[0:3], 0
	v_add_f32_e32 v0, v0, v172
	v_add_f32_e32 v1, v1, v138
	;; [unrolled: 1-line block ×4, first 2 shown]
	ds_read2_b64 v[0:3], v6 offset0:97 offset1:98
	v_add_f32_e32 v133, v7, v171
	v_mul_f32_e32 v7, v10, v177
	v_add_f32_e32 v134, v8, v141
	v_add_f32_e32 v137, v133, v140
	v_fma_f32 v146, v9, v196, -v7
	ds_read2_b64 v[7:10], v6 offset0:99 offset1:100
	v_add_f32_e32 v138, v134, v174
	ds_read2_b64 v[133:136], v6 offset0:101 offset1:102
	v_add_f32_e32 v137, v137, v168
	v_add_f32_e32 v138, v138, v176
	;; [unrolled: 1-line block ×3, first 2 shown]
	s_waitcnt vmcnt(43) lgkmcnt(2)
	v_mul_f32_e32 v139, v1, v197
	v_mul_f32_e32 v150, v0, v197
	s_waitcnt vmcnt(42)
	v_mul_f32_e32 v152, v2, v186
	v_fma_f32 v151, v0, v195, -v139
	v_add_f32_e32 v0, v138, v189
	v_fmac_f32_e32 v150, v1, v195
	v_add_f32_e32 v1, v141, v170
	ds_read2_b64 v[137:140], v6 offset0:103 offset1:104
	s_waitcnt vmcnt(41) lgkmcnt(2)
	v_mul_f32_e32 v168, v7, v198
	v_add_f32_e32 v0, v0, v144
	v_mul_f32_e32 v143, v8, v198
	v_add_f32_e32 v1, v1, v11
	v_mul_f32_e32 v141, v3, v186
	v_fmac_f32_e32 v168, v8, v184
	v_add_f32_e32 v0, v0, v148
	v_fma_f32 v172, v7, v184, -v143
	v_add_f32_e32 v5, v1, v5
	v_fma_f32 v171, v2, v185, -v141
	v_fmac_f32_e32 v152, v3, v185
	v_add_f32_e32 v7, v0, v142
	ds_read2_b64 v[0:3], v6 offset0:105 offset1:106
	ds_read2_b64 v[141:144], v6 offset0:107 offset1:108
	v_add_f32_e32 v5, v5, v145
	v_add_f32_e32 v5, v5, v149
	;; [unrolled: 1-line block ×3, first 2 shown]
	s_waitcnt vmcnt(40)
	v_mul_f32_e32 v11, v9, v175
	s_waitcnt vmcnt(39) lgkmcnt(3)
	v_mul_f32_e32 v8, v134, v188
	v_mul_f32_e32 v170, v133, v188
	;; [unrolled: 1-line block ×3, first 2 shown]
	s_waitcnt vmcnt(36)
	v_fma_f32 v174, v133, v191, -v8
	v_add_f32_e32 v133, v7, v146
	v_fmac_f32_e32 v170, v134, v191
	s_waitcnt vmcnt(35)
	v_fma_f32 v173, v9, v199, -v147
	v_fmac_f32_e32 v11, v10, v199
	ds_read2_b64 v[7:10], v6 offset0:109 offset1:110
	ds_read2_b64 v[145:148], v6 offset0:111 offset1:112
	v_add_f32_e32 v133, v133, v151
	s_waitcnt vmcnt(34)
	v_mul_f32_e32 v175, v135, v162
	v_mul_f32_e32 v134, v136, v162
	s_waitcnt vmcnt(33) lgkmcnt(4)
	v_mul_f32_e32 v162, v137, v166
	v_mul_f32_e32 v149, v138, v166
	v_fmac_f32_e32 v175, v136, v190
	v_fma_f32 v176, v135, v190, -v134
	v_fmac_f32_e32 v162, v138, v161
	v_fma_f32 v161, v137, v161, -v149
	v_add_f32_e32 v137, v133, v171
	v_add_f32_e32 v171, v5, v152
	ds_read2_b64 v[133:136], v6 offset0:113 offset1:114
	ds_read2_b64 v[149:152], v6 offset0:115 offset1:116
	s_waitcnt vmcnt(32)
	v_mul_f32_e32 v166, v139, v159
	v_add_f32_e32 v172, v137, v172
	v_add_f32_e32 v168, v171, v168
	v_mul_f32_e32 v159, v140, v159
	v_add_f32_e32 v172, v172, v173
	v_add_f32_e32 v11, v168, v11
	s_waitcnt vmcnt(28)
	v_fma_f32 v159, v139, v4, -v159
	v_fmac_f32_e32 v166, v140, v4
	s_waitcnt vmcnt(27) lgkmcnt(5)
	v_mul_f32_e32 v171, v0, v163
	v_add_f32_e32 v168, v172, v174
	v_add_f32_e32 v11, v11, v170
	v_mul_f32_e32 v163, v1, v163
	s_waitcnt vmcnt(26)
	v_mul_f32_e32 v173, v2, v153
	v_mul_f32_e32 v153, v3, v153
	v_add_f32_e32 v168, v168, v176
	v_add_f32_e32 v11, v11, v175
	v_fma_f32 v0, v0, v183, -v163
	v_fmac_f32_e32 v171, v1, v183
	s_waitcnt vmcnt(25) lgkmcnt(4)
	v_mul_f32_e32 v172, v141, v164
	v_add_f32_e32 v161, v168, v161
	v_add_f32_e32 v11, v11, v162
	v_mul_f32_e32 v164, v142, v164
	v_fma_f32 v2, v2, v167, -v153
	v_fmac_f32_e32 v173, v3, v167
	v_add_f32_e32 v159, v161, v159
	v_add_f32_e32 v11, v11, v166
	s_waitcnt vmcnt(24)
	v_mul_f32_e32 v167, v144, v179
	v_fmac_f32_e32 v172, v142, v12
	v_fma_f32 v12, v141, v12, -v164
	v_add_f32_e32 v0, v159, v0
	v_add_f32_e32 v11, v11, v171
	v_mul_f32_e32 v174, v143, v179
	s_waitcnt vmcnt(23) lgkmcnt(3)
	v_mul_f32_e32 v170, v7, v180
	s_waitcnt vmcnt(22)
	v_mul_f32_e32 v176, v9, v192
	v_add_f32_e32 v0, v0, v2
	v_add_f32_e32 v2, v11, v173
	v_mul_f32_e32 v11, v8, v180
	s_waitcnt vmcnt(21) lgkmcnt(2)
	v_mul_f32_e32 v1, v145, v193
	s_waitcnt vmcnt(20)
	v_mul_f32_e32 v163, v147, v160
	v_add_f32_e32 v0, v0, v12
	v_add_f32_e32 v2, v2, v172
	v_mul_f32_e32 v12, v10, v192
	s_waitcnt vmcnt(10)
	v_fma_f32 v7, v7, v206, -v11
	s_waitcnt vmcnt(9)
	v_fma_f32 v141, v143, v207, -v167
	v_fmac_f32_e32 v174, v144, v207
	v_fmac_f32_e32 v170, v8, v206
	v_mul_f32_e32 v8, v146, v193
	v_fma_f32 v9, v9, v205, -v12
	v_add_f32_e32 v0, v0, v141
	v_add_f32_e32 v2, v2, v174
	v_fmac_f32_e32 v176, v10, v205
	v_fma_f32 v8, v145, v182, -v8
	v_fmac_f32_e32 v1, v146, v182
	v_add_f32_e32 v0, v0, v7
	v_add_f32_e32 v2, v2, v170
	v_mul_f32_e32 v7, v148, v160
	ds_read2_b64 v[137:140], v6 offset0:117 offset1:118
	ds_read_b64 v[4:5], v6 offset:952
	s_waitcnt lgkmcnt(3)
	v_mul_f32_e32 v168, v133, v200
	v_add_f32_e32 v0, v0, v9
	v_add_f32_e32 v2, v2, v176
	v_mul_f32_e32 v9, v134, v200
	s_waitcnt vmcnt(5)
	v_fma_f32 v7, v147, v210, -v7
	v_fmac_f32_e32 v163, v148, v210
	v_add_f32_e32 v0, v0, v8
	v_add_f32_e32 v1, v2, v1
	v_mul_f32_e32 v2, v136, v181
	v_fma_f32 v8, v133, v209, -v9
	v_mul_f32_e32 v162, v135, v181
	v_add_f32_e32 v0, v0, v7
	v_fmac_f32_e32 v168, v134, v209
	v_add_f32_e32 v1, v1, v163
	s_waitcnt lgkmcnt(2)
	v_mul_f32_e32 v7, v150, v201
	v_fma_f32 v2, v135, v208, -v2
	v_add_f32_e32 v0, v0, v8
	v_mul_f32_e32 v3, v149, v201
	v_fmac_f32_e32 v162, v136, v208
	v_add_f32_e32 v1, v1, v168
	v_mul_f32_e32 v8, v152, v202
	v_fma_f32 v7, v149, v155, -v7
	v_add_f32_e32 v0, v0, v2
	v_mul_f32_e32 v153, v151, v202
	v_fmac_f32_e32 v3, v150, v155
	v_add_f32_e32 v1, v1, v162
	s_waitcnt lgkmcnt(1)
	v_mul_f32_e32 v2, v138, v203
	s_waitcnt vmcnt(1)
	v_fma_f32 v8, v151, v211, -v8
	v_add_f32_e32 v0, v0, v7
	v_mul_f32_e32 v161, v137, v203
	v_fmac_f32_e32 v153, v152, v211
	v_add_f32_e32 v1, v1, v3
	v_mul_f32_e32 v3, v140, v204
	v_fma_f32 v2, v137, v158, -v2
	v_add_f32_e32 v0, v0, v8
	v_mul_f32_e32 v166, v139, v204
	v_fmac_f32_e32 v161, v138, v158
	v_add_f32_e32 v1, v1, v153
	s_waitcnt lgkmcnt(0)
	v_mul_f32_e32 v7, v5, v154
	v_fma_f32 v3, v139, v157, -v3
	v_add_f32_e32 v0, v0, v2
	v_mul_f32_e32 v159, v4, v154
	v_fmac_f32_e32 v166, v140, v157
	v_add_f32_e32 v1, v1, v161
	v_fma_f32 v2, v4, v156, -v7
	v_add_f32_e32 v0, v0, v3
	v_fmac_f32_e32 v159, v5, v156
	v_add_f32_e32 v1, v1, v166
	v_add_f32_e32 v0, v0, v2
	;; [unrolled: 1-line block ×3, first 2 shown]
	s_waitcnt vmcnt(0)
	v_sub_f32_e32 v0, v169, v0
	v_sub_f32_e32 v1, v165, v1
	buffer_store_dword v0, off, s[0:3], 0
	buffer_store_dword v1, off, s[0:3], 0 offset:4
	s_cbranch_vccz .LBB123_492
; %bb.374:
	global_load_dword v0, v6, s[12:13] offset:232
	s_waitcnt vmcnt(0)
	v_add_nc_u32_e32 v0, -1, v0
	v_cmp_ne_u32_e32 vcc_lo, 58, v0
	s_cbranch_vccz .LBB123_376
; %bb.375:
	v_lshlrev_b32_e32 v0, 3, v0
	s_clause 0x3
	buffer_load_dword v1, v0, s[0:3], 0 offen
	buffer_load_dword v2, v0, s[0:3], 0 offen offset:4
	buffer_load_dword v3, off, s[0:3], 0 offset:468
	buffer_load_dword v4, off, s[0:3], 0 offset:464
	s_waitcnt vmcnt(3)
	buffer_store_dword v1, off, s[0:3], 0 offset:464
	s_waitcnt vmcnt(2)
	buffer_store_dword v2, off, s[0:3], 0 offset:468
	s_waitcnt vmcnt(1)
	buffer_store_dword v3, v0, s[0:3], 0 offen offset:4
	s_waitcnt vmcnt(0)
	buffer_store_dword v4, v0, s[0:3], 0 offen
.LBB123_376:
	v_mov_b32_e32 v0, 0
	global_load_dword v1, v0, s[12:13] offset:228
	s_waitcnt vmcnt(0)
	v_add_nc_u32_e32 v1, -1, v1
	v_cmp_eq_u32_e32 vcc_lo, 57, v1
	s_cbranch_vccnz .LBB123_378
; %bb.377:
	v_lshlrev_b32_e32 v1, 3, v1
	s_clause 0x3
	buffer_load_dword v2, v1, s[0:3], 0 offen
	buffer_load_dword v3, v1, s[0:3], 0 offen offset:4
	buffer_load_dword v4, off, s[0:3], 0 offset:456
	buffer_load_dword v5, off, s[0:3], 0 offset:460
	s_waitcnt vmcnt(3)
	buffer_store_dword v2, off, s[0:3], 0 offset:456
	s_waitcnt vmcnt(2)
	buffer_store_dword v3, off, s[0:3], 0 offset:460
	s_waitcnt vmcnt(1)
	buffer_store_dword v4, v1, s[0:3], 0 offen
	s_waitcnt vmcnt(0)
	buffer_store_dword v5, v1, s[0:3], 0 offen offset:4
.LBB123_378:
	global_load_dword v0, v0, s[12:13] offset:224
	s_waitcnt vmcnt(0)
	v_add_nc_u32_e32 v0, -1, v0
	v_cmp_eq_u32_e32 vcc_lo, 56, v0
	s_cbranch_vccnz .LBB123_380
; %bb.379:
	v_lshlrev_b32_e32 v0, 3, v0
	s_clause 0x3
	buffer_load_dword v1, v0, s[0:3], 0 offen
	buffer_load_dword v2, v0, s[0:3], 0 offen offset:4
	buffer_load_dword v3, off, s[0:3], 0 offset:452
	buffer_load_dword v4, off, s[0:3], 0 offset:448
	s_waitcnt vmcnt(3)
	buffer_store_dword v1, off, s[0:3], 0 offset:448
	s_waitcnt vmcnt(2)
	buffer_store_dword v2, off, s[0:3], 0 offset:452
	s_waitcnt vmcnt(1)
	buffer_store_dword v3, v0, s[0:3], 0 offen offset:4
	s_waitcnt vmcnt(0)
	buffer_store_dword v4, v0, s[0:3], 0 offen
.LBB123_380:
	v_mov_b32_e32 v0, 0
	global_load_dword v1, v0, s[12:13] offset:220
	s_waitcnt vmcnt(0)
	v_add_nc_u32_e32 v1, -1, v1
	v_cmp_eq_u32_e32 vcc_lo, 55, v1
	s_cbranch_vccnz .LBB123_382
; %bb.381:
	v_lshlrev_b32_e32 v1, 3, v1
	s_clause 0x3
	buffer_load_dword v2, v1, s[0:3], 0 offen
	buffer_load_dword v3, v1, s[0:3], 0 offen offset:4
	buffer_load_dword v4, off, s[0:3], 0 offset:440
	buffer_load_dword v5, off, s[0:3], 0 offset:444
	s_waitcnt vmcnt(3)
	buffer_store_dword v2, off, s[0:3], 0 offset:440
	s_waitcnt vmcnt(2)
	buffer_store_dword v3, off, s[0:3], 0 offset:444
	s_waitcnt vmcnt(1)
	buffer_store_dword v4, v1, s[0:3], 0 offen
	s_waitcnt vmcnt(0)
	buffer_store_dword v5, v1, s[0:3], 0 offen offset:4
.LBB123_382:
	global_load_dword v0, v0, s[12:13] offset:216
	s_waitcnt vmcnt(0)
	v_add_nc_u32_e32 v0, -1, v0
	v_cmp_eq_u32_e32 vcc_lo, 54, v0
	s_cbranch_vccnz .LBB123_384
; %bb.383:
	v_lshlrev_b32_e32 v0, 3, v0
	s_clause 0x3
	buffer_load_dword v1, v0, s[0:3], 0 offen
	buffer_load_dword v2, v0, s[0:3], 0 offen offset:4
	buffer_load_dword v3, off, s[0:3], 0 offset:436
	buffer_load_dword v4, off, s[0:3], 0 offset:432
	s_waitcnt vmcnt(3)
	buffer_store_dword v1, off, s[0:3], 0 offset:432
	s_waitcnt vmcnt(2)
	buffer_store_dword v2, off, s[0:3], 0 offset:436
	s_waitcnt vmcnt(1)
	buffer_store_dword v3, v0, s[0:3], 0 offen offset:4
	s_waitcnt vmcnt(0)
	buffer_store_dword v4, v0, s[0:3], 0 offen
.LBB123_384:
	;; [unrolled: 43-line block ×28, first 2 shown]
	v_mov_b32_e32 v0, 0
	global_load_dword v1, v0, s[12:13] offset:4
	s_waitcnt vmcnt(0)
	v_add_nc_u32_e32 v1, -1, v1
	v_cmp_eq_u32_e32 vcc_lo, 1, v1
	s_cbranch_vccnz .LBB123_490
; %bb.489:
	v_lshlrev_b32_e32 v1, 3, v1
	s_clause 0x3
	buffer_load_dword v2, v1, s[0:3], 0 offen
	buffer_load_dword v3, v1, s[0:3], 0 offen offset:4
	buffer_load_dword v4, off, s[0:3], 0 offset:8
	buffer_load_dword v5, off, s[0:3], 0 offset:12
	s_waitcnt vmcnt(3)
	buffer_store_dword v2, off, s[0:3], 0 offset:8
	s_waitcnt vmcnt(2)
	buffer_store_dword v3, off, s[0:3], 0 offset:12
	s_waitcnt vmcnt(1)
	buffer_store_dword v4, v1, s[0:3], 0 offen
	s_waitcnt vmcnt(0)
	buffer_store_dword v5, v1, s[0:3], 0 offen offset:4
.LBB123_490:
	global_load_dword v0, v0, s[12:13]
	s_waitcnt vmcnt(0)
	v_add_nc_u32_e32 v0, -1, v0
	v_cmp_eq_u32_e32 vcc_lo, 0, v0
	s_cbranch_vccnz .LBB123_492
; %bb.491:
	v_lshlrev_b32_e32 v0, 3, v0
	s_clause 0x3
	buffer_load_dword v1, v0, s[0:3], 0 offen
	buffer_load_dword v2, v0, s[0:3], 0 offen offset:4
	buffer_load_dword v3, off, s[0:3], 0 offset:4
	buffer_load_dword v4, off, s[0:3], 0
	s_waitcnt vmcnt(3)
	buffer_store_dword v1, off, s[0:3], 0
	s_waitcnt vmcnt(2)
	buffer_store_dword v2, off, s[0:3], 0 offset:4
	s_waitcnt vmcnt(1)
	buffer_store_dword v3, v0, s[0:3], 0 offen offset:4
	s_waitcnt vmcnt(0)
	buffer_store_dword v4, v0, s[0:3], 0 offen
.LBB123_492:
	s_clause 0x1
	buffer_load_dword v0, off, s[0:3], 0
	buffer_load_dword v1, off, s[0:3], 0 offset:4
	s_waitcnt vmcnt(0)
	flat_store_dwordx2 v[13:14], v[0:1]
	s_clause 0x1
	buffer_load_dword v0, off, s[0:3], 0 offset:8
	buffer_load_dword v1, off, s[0:3], 0 offset:12
	s_waitcnt vmcnt(0)
	flat_store_dwordx2 v[15:16], v[0:1]
	s_clause 0x1
	buffer_load_dword v0, off, s[0:3], 0 offset:16
	;; [unrolled: 5-line block ×59, first 2 shown]
	buffer_load_dword v1, off, s[0:3], 0 offset:476
	s_waitcnt vmcnt(0)
	flat_store_dwordx2 v[131:132], v[0:1]
	s_endpgm
	.section	.rodata,"a",@progbits
	.p2align	6, 0x0
	.amdhsa_kernel _ZN9rocsolver6v33100L18getri_kernel_smallILi60E19rocblas_complex_numIfEPKPS3_EEvT1_iilPiilS8_bb
		.amdhsa_group_segment_fixed_size 964
		.amdhsa_private_segment_fixed_size 496
		.amdhsa_kernarg_size 60
		.amdhsa_user_sgpr_count 6
		.amdhsa_user_sgpr_private_segment_buffer 1
		.amdhsa_user_sgpr_dispatch_ptr 0
		.amdhsa_user_sgpr_queue_ptr 0
		.amdhsa_user_sgpr_kernarg_segment_ptr 1
		.amdhsa_user_sgpr_dispatch_id 0
		.amdhsa_user_sgpr_flat_scratch_init 0
		.amdhsa_user_sgpr_private_segment_size 0
		.amdhsa_wavefront_size32 1
		.amdhsa_uses_dynamic_stack 0
		.amdhsa_system_sgpr_private_segment_wavefront_offset 1
		.amdhsa_system_sgpr_workgroup_id_x 1
		.amdhsa_system_sgpr_workgroup_id_y 0
		.amdhsa_system_sgpr_workgroup_id_z 0
		.amdhsa_system_sgpr_workgroup_info 0
		.amdhsa_system_vgpr_workitem_id 0
		.amdhsa_next_free_vgpr 254
		.amdhsa_next_free_sgpr 20
		.amdhsa_reserve_vcc 1
		.amdhsa_reserve_flat_scratch 0
		.amdhsa_float_round_mode_32 0
		.amdhsa_float_round_mode_16_64 0
		.amdhsa_float_denorm_mode_32 3
		.amdhsa_float_denorm_mode_16_64 3
		.amdhsa_dx10_clamp 1
		.amdhsa_ieee_mode 1
		.amdhsa_fp16_overflow 0
		.amdhsa_workgroup_processor_mode 1
		.amdhsa_memory_ordered 1
		.amdhsa_forward_progress 1
		.amdhsa_shared_vgpr_count 0
		.amdhsa_exception_fp_ieee_invalid_op 0
		.amdhsa_exception_fp_denorm_src 0
		.amdhsa_exception_fp_ieee_div_zero 0
		.amdhsa_exception_fp_ieee_overflow 0
		.amdhsa_exception_fp_ieee_underflow 0
		.amdhsa_exception_fp_ieee_inexact 0
		.amdhsa_exception_int_div_zero 0
	.end_amdhsa_kernel
	.section	.text._ZN9rocsolver6v33100L18getri_kernel_smallILi60E19rocblas_complex_numIfEPKPS3_EEvT1_iilPiilS8_bb,"axG",@progbits,_ZN9rocsolver6v33100L18getri_kernel_smallILi60E19rocblas_complex_numIfEPKPS3_EEvT1_iilPiilS8_bb,comdat
.Lfunc_end123:
	.size	_ZN9rocsolver6v33100L18getri_kernel_smallILi60E19rocblas_complex_numIfEPKPS3_EEvT1_iilPiilS8_bb, .Lfunc_end123-_ZN9rocsolver6v33100L18getri_kernel_smallILi60E19rocblas_complex_numIfEPKPS3_EEvT1_iilPiilS8_bb
                                        ; -- End function
	.set _ZN9rocsolver6v33100L18getri_kernel_smallILi60E19rocblas_complex_numIfEPKPS3_EEvT1_iilPiilS8_bb.num_vgpr, 254
	.set _ZN9rocsolver6v33100L18getri_kernel_smallILi60E19rocblas_complex_numIfEPKPS3_EEvT1_iilPiilS8_bb.num_agpr, 0
	.set _ZN9rocsolver6v33100L18getri_kernel_smallILi60E19rocblas_complex_numIfEPKPS3_EEvT1_iilPiilS8_bb.numbered_sgpr, 20
	.set _ZN9rocsolver6v33100L18getri_kernel_smallILi60E19rocblas_complex_numIfEPKPS3_EEvT1_iilPiilS8_bb.num_named_barrier, 0
	.set _ZN9rocsolver6v33100L18getri_kernel_smallILi60E19rocblas_complex_numIfEPKPS3_EEvT1_iilPiilS8_bb.private_seg_size, 496
	.set _ZN9rocsolver6v33100L18getri_kernel_smallILi60E19rocblas_complex_numIfEPKPS3_EEvT1_iilPiilS8_bb.uses_vcc, 1
	.set _ZN9rocsolver6v33100L18getri_kernel_smallILi60E19rocblas_complex_numIfEPKPS3_EEvT1_iilPiilS8_bb.uses_flat_scratch, 0
	.set _ZN9rocsolver6v33100L18getri_kernel_smallILi60E19rocblas_complex_numIfEPKPS3_EEvT1_iilPiilS8_bb.has_dyn_sized_stack, 0
	.set _ZN9rocsolver6v33100L18getri_kernel_smallILi60E19rocblas_complex_numIfEPKPS3_EEvT1_iilPiilS8_bb.has_recursion, 0
	.set _ZN9rocsolver6v33100L18getri_kernel_smallILi60E19rocblas_complex_numIfEPKPS3_EEvT1_iilPiilS8_bb.has_indirect_call, 0
	.section	.AMDGPU.csdata,"",@progbits
; Kernel info:
; codeLenInByte = 131952
; TotalNumSgprs: 22
; NumVgprs: 254
; ScratchSize: 496
; MemoryBound: 0
; FloatMode: 240
; IeeeMode: 1
; LDSByteSize: 964 bytes/workgroup (compile time only)
; SGPRBlocks: 0
; VGPRBlocks: 31
; NumSGPRsForWavesPerEU: 22
; NumVGPRsForWavesPerEU: 254
; Occupancy: 4
; WaveLimiterHint : 1
; COMPUTE_PGM_RSRC2:SCRATCH_EN: 1
; COMPUTE_PGM_RSRC2:USER_SGPR: 6
; COMPUTE_PGM_RSRC2:TRAP_HANDLER: 0
; COMPUTE_PGM_RSRC2:TGID_X_EN: 1
; COMPUTE_PGM_RSRC2:TGID_Y_EN: 0
; COMPUTE_PGM_RSRC2:TGID_Z_EN: 0
; COMPUTE_PGM_RSRC2:TIDIG_COMP_CNT: 0
	.section	.text._ZN9rocsolver6v33100L18getri_kernel_smallILi61E19rocblas_complex_numIfEPKPS3_EEvT1_iilPiilS8_bb,"axG",@progbits,_ZN9rocsolver6v33100L18getri_kernel_smallILi61E19rocblas_complex_numIfEPKPS3_EEvT1_iilPiilS8_bb,comdat
	.globl	_ZN9rocsolver6v33100L18getri_kernel_smallILi61E19rocblas_complex_numIfEPKPS3_EEvT1_iilPiilS8_bb ; -- Begin function _ZN9rocsolver6v33100L18getri_kernel_smallILi61E19rocblas_complex_numIfEPKPS3_EEvT1_iilPiilS8_bb
	.p2align	8
	.type	_ZN9rocsolver6v33100L18getri_kernel_smallILi61E19rocblas_complex_numIfEPKPS3_EEvT1_iilPiilS8_bb,@function
_ZN9rocsolver6v33100L18getri_kernel_smallILi61E19rocblas_complex_numIfEPKPS3_EEvT1_iilPiilS8_bb: ; @_ZN9rocsolver6v33100L18getri_kernel_smallILi61E19rocblas_complex_numIfEPKPS3_EEvT1_iilPiilS8_bb
; %bb.0:
	s_add_u32 s0, s0, s7
	s_addc_u32 s1, s1, 0
	s_mov_b32 s7, exec_lo
	v_cmpx_gt_u32_e32 61, v0
	s_cbranch_execz .LBB124_258
; %bb.1:
	s_clause 0x2
	s_load_dword s17, s[4:5], 0x38
	s_load_dwordx2 s[12:13], s[4:5], 0x0
	s_load_dwordx4 s[8:11], s[4:5], 0x28
	s_waitcnt lgkmcnt(0)
	s_bitcmp1_b32 s17, 8
	s_cselect_b32 s16, -1, 0
	s_ashr_i32 s7, s6, 31
	s_lshl_b64 s[14:15], s[6:7], 3
	s_add_u32 s12, s12, s14
	s_addc_u32 s13, s13, s15
	s_load_dwordx2 s[14:15], s[12:13], 0x0
	s_bfe_u32 s12, s17, 0x10008
	s_cmp_eq_u32 s12, 0
                                        ; implicit-def: $sgpr12_sgpr13
	s_cbranch_scc1 .LBB124_3
; %bb.2:
	s_clause 0x1
	s_load_dword s12, s[4:5], 0x20
	s_load_dwordx2 s[18:19], s[4:5], 0x18
	s_mul_i32 s13, s8, s7
	s_mul_hi_u32 s17, s8, s6
	s_mul_i32 s9, s9, s6
	s_add_i32 s13, s17, s13
	s_mul_i32 s8, s8, s6
	s_add_i32 s9, s13, s9
	s_lshl_b64 s[8:9], s[8:9], 2
	s_waitcnt lgkmcnt(0)
	s_ashr_i32 s13, s12, 31
	s_add_u32 s17, s18, s8
	s_addc_u32 s18, s19, s9
	s_lshl_b64 s[8:9], s[12:13], 2
	s_add_u32 s12, s17, s8
	s_addc_u32 s13, s18, s9
.LBB124_3:
	s_clause 0x1
	s_load_dwordx2 s[8:9], s[4:5], 0x8
	s_load_dword s17, s[4:5], 0x38
	v_lshlrev_b32_e32 v3, 3, v0
	s_waitcnt lgkmcnt(0)
	s_ashr_i32 s5, s8, 31
	s_mov_b32 s4, s8
	v_add3_u32 v4, s9, s9, v0
	s_lshl_b64 s[4:5], s[4:5], 3
	s_add_u32 s4, s14, s4
	s_addc_u32 s5, s15, s5
	v_add_co_u32 v13, s8, s4, v3
	v_add_co_ci_u32_e64 v14, null, s5, 0, s8
	s_mov_b32 s14, s9
	s_ashr_i32 s15, s9, 31
	v_ashrrev_i32_e32 v5, 31, v4
	flat_load_dwordx2 v[1:2], v[13:14]
	s_lshl_b64 s[14:15], s[14:15], 3
	s_bitcmp0_b32 s17, 0
	v_add_co_u32 v15, vcc_lo, v13, s14
	v_add_co_ci_u32_e64 v16, null, s15, v14, vcc_lo
	v_lshlrev_b64 v[5:6], 3, v[4:5]
	v_add_nc_u32_e32 v4, s9, v4
	s_waitcnt vmcnt(0) lgkmcnt(0)
	buffer_store_dword v2, off, s[0:3], 0 offset:4
	buffer_store_dword v1, off, s[0:3], 0
	flat_load_dwordx2 v[1:2], v[15:16]
	v_add_co_u32 v17, vcc_lo, s4, v5
	v_add_co_ci_u32_e64 v18, null, s5, v6, vcc_lo
	v_ashrrev_i32_e32 v5, 31, v4
	s_waitcnt vmcnt(0) lgkmcnt(0)
	buffer_store_dword v2, off, s[0:3], 0 offset:12
	buffer_store_dword v1, off, s[0:3], 0 offset:8
	flat_load_dwordx2 v[1:2], v[17:18]
	v_lshlrev_b64 v[5:6], 3, v[4:5]
	v_add_nc_u32_e32 v4, s9, v4
	s_waitcnt vmcnt(0) lgkmcnt(0)
	buffer_store_dword v2, off, s[0:3], 0 offset:20
	buffer_store_dword v1, off, s[0:3], 0 offset:16
	v_add_co_u32 v19, vcc_lo, s4, v5
	v_add_co_ci_u32_e64 v20, null, s5, v6, vcc_lo
	v_ashrrev_i32_e32 v5, 31, v4
	flat_load_dwordx2 v[1:2], v[19:20]
	s_waitcnt vmcnt(0) lgkmcnt(0)
	buffer_store_dword v2, off, s[0:3], 0 offset:28
	buffer_store_dword v1, off, s[0:3], 0 offset:24
	v_lshlrev_b64 v[5:6], 3, v[4:5]
	v_add_nc_u32_e32 v4, s9, v4
	v_add_co_u32 v21, vcc_lo, s4, v5
	v_add_co_ci_u32_e64 v22, null, s5, v6, vcc_lo
	v_ashrrev_i32_e32 v5, 31, v4
	flat_load_dwordx2 v[1:2], v[21:22]
	s_waitcnt vmcnt(0) lgkmcnt(0)
	buffer_store_dword v2, off, s[0:3], 0 offset:36
	buffer_store_dword v1, off, s[0:3], 0 offset:32
	v_lshlrev_b64 v[5:6], 3, v[4:5]
	v_add_nc_u32_e32 v4, s9, v4
	;; [unrolled: 9-line block ×56, first 2 shown]
	v_add_co_u32 v131, vcc_lo, s4, v5
	v_add_co_ci_u32_e64 v132, null, s5, v6, vcc_lo
	v_ashrrev_i32_e32 v5, 31, v4
	flat_load_dwordx2 v[1:2], v[131:132]
	s_waitcnt vmcnt(0) lgkmcnt(0)
	buffer_store_dword v2, off, s[0:3], 0 offset:476
	buffer_store_dword v1, off, s[0:3], 0 offset:472
	v_lshlrev_b64 v[4:5], 3, v[4:5]
	v_add_co_u32 v133, vcc_lo, s4, v4
	v_add_co_ci_u32_e64 v134, null, s5, v5, vcc_lo
	s_mov_b32 s5, -1
	flat_load_dwordx2 v[1:2], v[133:134]
	s_waitcnt vmcnt(0) lgkmcnt(0)
	buffer_store_dword v2, off, s[0:3], 0 offset:484
	buffer_store_dword v1, off, s[0:3], 0 offset:480
	s_cbranch_scc1 .LBB124_256
; %bb.4:
	v_cmp_eq_u32_e64 s4, 0, v0
	s_and_saveexec_b32 s5, s4
; %bb.5:
	v_mov_b32_e32 v1, 0
	ds_write_b32 v1, v1 offset:488
; %bb.6:
	s_or_b32 exec_lo, exec_lo, s5
	v_lshl_add_u32 v5, v0, 3, 0
	s_waitcnt lgkmcnt(0)
	s_waitcnt_vscnt null, 0x0
	s_barrier
	buffer_gl0_inv
	s_clause 0x1
	buffer_load_dword v1, v5, s[0:3], 0 offen
	buffer_load_dword v2, v5, s[0:3], 0 offen offset:4
	s_waitcnt vmcnt(1)
	v_cmp_eq_f32_e32 vcc_lo, 0, v1
	s_waitcnt vmcnt(0)
	v_cmp_eq_f32_e64 s5, 0, v2
	s_and_b32 s5, vcc_lo, s5
	s_and_saveexec_b32 s8, s5
	s_cbranch_execz .LBB124_10
; %bb.7:
	v_mov_b32_e32 v1, 0
	s_mov_b32 s9, 0
	ds_read_b32 v2, v1 offset:488
	s_waitcnt lgkmcnt(0)
	v_readfirstlane_b32 s5, v2
	v_add_nc_u32_e32 v2, 1, v0
	s_cmp_eq_u32 s5, 0
	v_cmp_gt_i32_e32 vcc_lo, s5, v2
	s_cselect_b32 s14, -1, 0
	s_or_b32 s14, s14, vcc_lo
	s_and_b32 exec_lo, exec_lo, s14
	s_cbranch_execz .LBB124_10
; %bb.8:
	v_mov_b32_e32 v4, s5
.LBB124_9:                              ; =>This Inner Loop Header: Depth=1
	ds_cmpst_rtn_b32 v4, v1, v4, v2 offset:488
	s_waitcnt lgkmcnt(0)
	v_cmp_ne_u32_e32 vcc_lo, 0, v4
	v_cmp_le_i32_e64 s5, v4, v2
	s_and_b32 s5, vcc_lo, s5
	s_and_b32 s5, exec_lo, s5
	s_or_b32 s9, s5, s9
	s_andn2_b32 exec_lo, exec_lo, s9
	s_cbranch_execnz .LBB124_9
.LBB124_10:
	s_or_b32 exec_lo, exec_lo, s8
	v_mov_b32_e32 v1, 0
	s_barrier
	buffer_gl0_inv
	ds_read_b32 v2, v1 offset:488
	s_and_saveexec_b32 s5, s4
	s_cbranch_execz .LBB124_12
; %bb.11:
	s_lshl_b64 s[8:9], s[6:7], 2
	s_add_u32 s8, s10, s8
	s_addc_u32 s9, s11, s9
	s_waitcnt lgkmcnt(0)
	global_store_dword v1, v2, s[8:9]
.LBB124_12:
	s_or_b32 exec_lo, exec_lo, s5
	s_waitcnt lgkmcnt(0)
	v_cmp_ne_u32_e32 vcc_lo, 0, v2
	s_mov_b32 s5, 0
	s_cbranch_vccnz .LBB124_256
; %bb.13:
	s_clause 0x1
	buffer_load_dword v2, v5, s[0:3], 0 offen
	buffer_load_dword v4, v5, s[0:3], 0 offen offset:4
                                        ; implicit-def: $vgpr7
                                        ; implicit-def: $vgpr6
                                        ; implicit-def: $vgpr1
	s_waitcnt vmcnt(0)
	v_cmp_ngt_f32_e64 s5, |v2|, |v4|
	s_and_saveexec_b32 s8, s5
	s_xor_b32 s5, exec_lo, s8
	s_cbranch_execz .LBB124_15
; %bb.14:
	v_div_scale_f32 v1, null, v4, v4, v2
	v_div_scale_f32 v8, vcc_lo, v2, v4, v2
	v_rcp_f32_e32 v6, v1
	v_fma_f32 v7, -v1, v6, 1.0
	v_fmac_f32_e32 v6, v7, v6
	v_mul_f32_e32 v7, v8, v6
	v_fma_f32 v9, -v1, v7, v8
	v_fmac_f32_e32 v7, v9, v6
	v_fma_f32 v1, -v1, v7, v8
	v_div_fmas_f32 v1, v1, v6, v7
	v_div_fixup_f32 v1, v1, v4, v2
	v_fmac_f32_e32 v4, v2, v1
	v_div_scale_f32 v2, null, v4, v4, 1.0
	v_rcp_f32_e32 v6, v2
	v_fma_f32 v7, -v2, v6, 1.0
	v_fmac_f32_e32 v6, v7, v6
	v_div_scale_f32 v7, vcc_lo, 1.0, v4, 1.0
	v_mul_f32_e32 v8, v7, v6
	v_fma_f32 v9, -v2, v8, v7
	v_fmac_f32_e32 v8, v9, v6
	v_fma_f32 v2, -v2, v8, v7
	v_div_fmas_f32 v2, v2, v6, v8
	v_div_fixup_f32 v2, v2, v4, 1.0
                                        ; implicit-def: $vgpr4
	v_mul_f32_e32 v7, v1, v2
	v_xor_b32_e32 v6, 0x80000000, v2
                                        ; implicit-def: $vgpr2
	v_xor_b32_e32 v1, 0x80000000, v7
.LBB124_15:
	s_andn2_saveexec_b32 s5, s5
	s_cbranch_execz .LBB124_17
; %bb.16:
	v_div_scale_f32 v1, null, v2, v2, v4
	v_div_scale_f32 v8, vcc_lo, v4, v2, v4
	v_rcp_f32_e32 v6, v1
	v_fma_f32 v7, -v1, v6, 1.0
	v_fmac_f32_e32 v6, v7, v6
	v_mul_f32_e32 v7, v8, v6
	v_fma_f32 v9, -v1, v7, v8
	v_fmac_f32_e32 v7, v9, v6
	v_fma_f32 v1, -v1, v7, v8
	v_div_fmas_f32 v1, v1, v6, v7
	v_div_fixup_f32 v6, v1, v2, v4
	v_fmac_f32_e32 v2, v4, v6
	v_div_scale_f32 v1, null, v2, v2, 1.0
	v_div_scale_f32 v8, vcc_lo, 1.0, v2, 1.0
	v_rcp_f32_e32 v4, v1
	v_fma_f32 v7, -v1, v4, 1.0
	v_fmac_f32_e32 v4, v7, v4
	v_mul_f32_e32 v7, v8, v4
	v_fma_f32 v9, -v1, v7, v8
	v_fmac_f32_e32 v7, v9, v4
	v_fma_f32 v1, -v1, v7, v8
	v_div_fmas_f32 v1, v1, v4, v7
	v_div_fixup_f32 v7, v1, v2, 1.0
	v_xor_b32_e32 v1, 0x80000000, v7
	v_mul_f32_e64 v6, v6, -v7
.LBB124_17:
	s_or_b32 exec_lo, exec_lo, s5
	buffer_store_dword v7, v5, s[0:3], 0 offen
	buffer_store_dword v6, v5, s[0:3], 0 offen offset:4
	s_clause 0x1
	buffer_load_dword v8, off, s[0:3], 0 offset:12
	buffer_load_dword v7, off, s[0:3], 0 offset:8
	v_xor_b32_e32 v2, 0x80000000, v6
	v_add_nc_u32_e32 v4, 0x1f0, v3
	s_waitcnt vmcnt(0)
	ds_write2_b64 v3, v[1:2], v[7:8] offset1:62
	s_waitcnt lgkmcnt(0)
	s_waitcnt_vscnt null, 0x0
	s_barrier
	buffer_gl0_inv
	s_and_saveexec_b32 s5, s4
	s_cbranch_execz .LBB124_19
; %bb.18:
	s_clause 0x1
	buffer_load_dword v8, v5, s[0:3], 0 offen offset:4
	buffer_load_dword v9, v5, s[0:3], 0 offen
	ds_read_b64 v[1:2], v4
	v_mov_b32_e32 v6, 0
	ds_read_b64 v[6:7], v6 offset:8
	s_waitcnt vmcnt(1) lgkmcnt(1)
	v_mul_f32_e32 v10, v1, v8
	v_mul_f32_e32 v8, v2, v8
	s_waitcnt vmcnt(0)
	v_fmac_f32_e32 v10, v2, v9
	v_fma_f32 v1, v1, v9, -v8
	v_add_f32_e32 v2, 0, v10
	v_add_f32_e32 v1, 0, v1
	s_waitcnt lgkmcnt(0)
	v_mul_f32_e32 v8, v2, v7
	v_mul_f32_e32 v7, v1, v7
	v_fma_f32 v1, v1, v6, -v8
	v_fmac_f32_e32 v7, v2, v6
	buffer_store_dword v1, off, s[0:3], 0 offset:8
	buffer_store_dword v7, off, s[0:3], 0 offset:12
.LBB124_19:
	s_or_b32 exec_lo, exec_lo, s5
	s_waitcnt_vscnt null, 0x0
	s_barrier
	buffer_gl0_inv
	s_clause 0x1
	buffer_load_dword v1, off, s[0:3], 0 offset:16
	buffer_load_dword v2, off, s[0:3], 0 offset:20
	s_mov_b32 s5, exec_lo
	s_waitcnt vmcnt(0)
	ds_write_b64 v4, v[1:2]
	s_waitcnt lgkmcnt(0)
	s_barrier
	buffer_gl0_inv
	v_cmpx_gt_u32_e32 2, v0
	s_cbranch_execz .LBB124_23
; %bb.20:
	s_clause 0x1
	buffer_load_dword v6, v5, s[0:3], 0 offen offset:4
	buffer_load_dword v5, v5, s[0:3], 0 offen
	ds_read_b64 v[1:2], v4
	s_waitcnt vmcnt(1) lgkmcnt(0)
	v_mul_f32_e32 v7, v2, v6
	v_mul_f32_e32 v6, v1, v6
	s_waitcnt vmcnt(0)
	v_fma_f32 v1, v1, v5, -v7
	v_fmac_f32_e32 v6, v2, v5
	v_add_f32_e32 v2, 0, v1
	v_add_f32_e32 v1, 0, v6
	s_and_saveexec_b32 s8, s4
	s_cbranch_execz .LBB124_22
; %bb.21:
	s_clause 0x1
	buffer_load_dword v7, off, s[0:3], 0 offset:12
	buffer_load_dword v8, off, s[0:3], 0 offset:8
	v_mov_b32_e32 v5, 0
	ds_read_b64 v[5:6], v5 offset:504
	s_waitcnt vmcnt(1) lgkmcnt(0)
	v_mul_f32_e32 v9, v5, v7
	v_mul_f32_e32 v7, v6, v7
	s_waitcnt vmcnt(0)
	v_fmac_f32_e32 v9, v6, v8
	v_fma_f32 v5, v5, v8, -v7
	v_add_f32_e32 v1, v1, v9
	v_add_f32_e32 v2, v2, v5
.LBB124_22:
	s_or_b32 exec_lo, exec_lo, s8
	v_mov_b32_e32 v5, 0
	ds_read_b64 v[5:6], v5 offset:16
	s_waitcnt lgkmcnt(0)
	v_mul_f32_e32 v7, v1, v6
	v_mul_f32_e32 v6, v2, v6
	v_fma_f32 v2, v2, v5, -v7
	v_fmac_f32_e32 v6, v1, v5
	buffer_store_dword v2, off, s[0:3], 0 offset:16
	buffer_store_dword v6, off, s[0:3], 0 offset:20
.LBB124_23:
	s_or_b32 exec_lo, exec_lo, s5
	s_waitcnt_vscnt null, 0x0
	s_barrier
	buffer_gl0_inv
	s_clause 0x1
	buffer_load_dword v5, off, s[0:3], 0 offset:24
	buffer_load_dword v6, off, s[0:3], 0 offset:28
	v_add_nc_u32_e32 v1, -1, v0
	s_mov_b32 s4, exec_lo
	s_waitcnt vmcnt(0)
	ds_write_b64 v4, v[5:6]
	s_waitcnt lgkmcnt(0)
	s_barrier
	buffer_gl0_inv
	v_cmpx_gt_u32_e32 3, v0
	s_cbranch_execz .LBB124_27
; %bb.24:
	v_add_nc_u32_e32 v5, -1, v0
	v_add_nc_u32_e32 v6, 0x1f0, v3
	v_mov_b32_e32 v7, v3
	v_mov_b32_e32 v2, 0
	;; [unrolled: 1-line block ×3, first 2 shown]
	s_mov_b32 s5, 0
	.p2align	6
.LBB124_25:                             ; =>This Inner Loop Header: Depth=1
	s_clause 0x1
	buffer_load_dword v11, v7, s[0:3], 0 offen offset:4
	buffer_load_dword v12, v7, s[0:3], 0 offen
	ds_read_b64 v[9:10], v6
	v_add_nc_u32_e32 v5, 1, v5
	v_add_nc_u32_e32 v6, 8, v6
	v_add_nc_u32_e32 v7, 8, v7
	v_cmp_lt_u32_e32 vcc_lo, 1, v5
	s_or_b32 s5, vcc_lo, s5
	s_waitcnt vmcnt(1) lgkmcnt(0)
	v_mul_f32_e32 v135, v10, v11
	v_mul_f32_e32 v11, v9, v11
	s_waitcnt vmcnt(0)
	v_fma_f32 v9, v9, v12, -v135
	v_fmac_f32_e32 v11, v10, v12
	v_add_f32_e32 v8, v8, v9
	v_add_f32_e32 v2, v2, v11
	s_andn2_b32 exec_lo, exec_lo, s5
	s_cbranch_execnz .LBB124_25
; %bb.26:
	s_or_b32 exec_lo, exec_lo, s5
	v_mov_b32_e32 v5, 0
	ds_read_b64 v[5:6], v5 offset:24
	s_waitcnt lgkmcnt(0)
	v_mul_f32_e32 v7, v2, v6
	v_mul_f32_e32 v6, v8, v6
	v_fma_f32 v7, v8, v5, -v7
	v_fmac_f32_e32 v6, v2, v5
	buffer_store_dword v7, off, s[0:3], 0 offset:24
	buffer_store_dword v6, off, s[0:3], 0 offset:28
.LBB124_27:
	s_or_b32 exec_lo, exec_lo, s4
	s_waitcnt_vscnt null, 0x0
	s_barrier
	buffer_gl0_inv
	s_clause 0x1
	buffer_load_dword v5, off, s[0:3], 0 offset:32
	buffer_load_dword v6, off, s[0:3], 0 offset:36
	s_mov_b32 s4, exec_lo
	s_waitcnt vmcnt(0)
	ds_write_b64 v4, v[5:6]
	s_waitcnt lgkmcnt(0)
	s_barrier
	buffer_gl0_inv
	v_cmpx_gt_u32_e32 4, v0
	s_cbranch_execz .LBB124_31
; %bb.28:
	v_add_nc_u32_e32 v5, -1, v0
	v_add_nc_u32_e32 v6, 0x1f0, v3
	v_mov_b32_e32 v7, v3
	v_mov_b32_e32 v2, 0
	;; [unrolled: 1-line block ×3, first 2 shown]
	s_mov_b32 s5, 0
	.p2align	6
.LBB124_29:                             ; =>This Inner Loop Header: Depth=1
	s_clause 0x1
	buffer_load_dword v11, v7, s[0:3], 0 offen offset:4
	buffer_load_dword v12, v7, s[0:3], 0 offen
	ds_read_b64 v[9:10], v6
	v_add_nc_u32_e32 v5, 1, v5
	v_add_nc_u32_e32 v6, 8, v6
	;; [unrolled: 1-line block ×3, first 2 shown]
	v_cmp_lt_u32_e32 vcc_lo, 2, v5
	s_or_b32 s5, vcc_lo, s5
	s_waitcnt vmcnt(1) lgkmcnt(0)
	v_mul_f32_e32 v135, v10, v11
	v_mul_f32_e32 v11, v9, v11
	s_waitcnt vmcnt(0)
	v_fma_f32 v9, v9, v12, -v135
	v_fmac_f32_e32 v11, v10, v12
	v_add_f32_e32 v8, v8, v9
	v_add_f32_e32 v2, v2, v11
	s_andn2_b32 exec_lo, exec_lo, s5
	s_cbranch_execnz .LBB124_29
; %bb.30:
	s_or_b32 exec_lo, exec_lo, s5
	v_mov_b32_e32 v5, 0
	ds_read_b64 v[5:6], v5 offset:32
	s_waitcnt lgkmcnt(0)
	v_mul_f32_e32 v7, v2, v6
	v_mul_f32_e32 v6, v8, v6
	v_fma_f32 v7, v8, v5, -v7
	v_fmac_f32_e32 v6, v2, v5
	buffer_store_dword v7, off, s[0:3], 0 offset:32
	buffer_store_dword v6, off, s[0:3], 0 offset:36
.LBB124_31:
	s_or_b32 exec_lo, exec_lo, s4
	s_waitcnt_vscnt null, 0x0
	s_barrier
	buffer_gl0_inv
	s_clause 0x1
	buffer_load_dword v5, off, s[0:3], 0 offset:40
	buffer_load_dword v6, off, s[0:3], 0 offset:44
	s_mov_b32 s4, exec_lo
	s_waitcnt vmcnt(0)
	ds_write_b64 v4, v[5:6]
	s_waitcnt lgkmcnt(0)
	s_barrier
	buffer_gl0_inv
	v_cmpx_gt_u32_e32 5, v0
	s_cbranch_execz .LBB124_35
; %bb.32:
	v_add_nc_u32_e32 v5, -1, v0
	v_add_nc_u32_e32 v6, 0x1f0, v3
	v_mov_b32_e32 v7, v3
	v_mov_b32_e32 v2, 0
	;; [unrolled: 1-line block ×3, first 2 shown]
	s_mov_b32 s5, 0
	.p2align	6
.LBB124_33:                             ; =>This Inner Loop Header: Depth=1
	s_clause 0x1
	buffer_load_dword v11, v7, s[0:3], 0 offen offset:4
	buffer_load_dword v12, v7, s[0:3], 0 offen
	ds_read_b64 v[9:10], v6
	v_add_nc_u32_e32 v5, 1, v5
	v_add_nc_u32_e32 v6, 8, v6
	;; [unrolled: 1-line block ×3, first 2 shown]
	v_cmp_lt_u32_e32 vcc_lo, 3, v5
	s_or_b32 s5, vcc_lo, s5
	s_waitcnt vmcnt(1) lgkmcnt(0)
	v_mul_f32_e32 v135, v10, v11
	v_mul_f32_e32 v11, v9, v11
	s_waitcnt vmcnt(0)
	v_fma_f32 v9, v9, v12, -v135
	v_fmac_f32_e32 v11, v10, v12
	v_add_f32_e32 v8, v8, v9
	v_add_f32_e32 v2, v2, v11
	s_andn2_b32 exec_lo, exec_lo, s5
	s_cbranch_execnz .LBB124_33
; %bb.34:
	s_or_b32 exec_lo, exec_lo, s5
	v_mov_b32_e32 v5, 0
	ds_read_b64 v[5:6], v5 offset:40
	s_waitcnt lgkmcnt(0)
	v_mul_f32_e32 v7, v2, v6
	v_mul_f32_e32 v6, v8, v6
	v_fma_f32 v7, v8, v5, -v7
	v_fmac_f32_e32 v6, v2, v5
	buffer_store_dword v7, off, s[0:3], 0 offset:40
	buffer_store_dword v6, off, s[0:3], 0 offset:44
.LBB124_35:
	s_or_b32 exec_lo, exec_lo, s4
	s_waitcnt_vscnt null, 0x0
	s_barrier
	buffer_gl0_inv
	s_clause 0x1
	buffer_load_dword v5, off, s[0:3], 0 offset:48
	buffer_load_dword v6, off, s[0:3], 0 offset:52
	s_mov_b32 s4, exec_lo
	s_waitcnt vmcnt(0)
	ds_write_b64 v4, v[5:6]
	s_waitcnt lgkmcnt(0)
	s_barrier
	buffer_gl0_inv
	v_cmpx_gt_u32_e32 6, v0
	s_cbranch_execz .LBB124_39
; %bb.36:
	v_add_nc_u32_e32 v5, -1, v0
	v_add_nc_u32_e32 v6, 0x1f0, v3
	v_mov_b32_e32 v7, v3
	v_mov_b32_e32 v2, 0
	;; [unrolled: 1-line block ×3, first 2 shown]
	s_mov_b32 s5, 0
	.p2align	6
.LBB124_37:                             ; =>This Inner Loop Header: Depth=1
	s_clause 0x1
	buffer_load_dword v11, v7, s[0:3], 0 offen offset:4
	buffer_load_dword v12, v7, s[0:3], 0 offen
	ds_read_b64 v[9:10], v6
	v_add_nc_u32_e32 v5, 1, v5
	v_add_nc_u32_e32 v6, 8, v6
	;; [unrolled: 1-line block ×3, first 2 shown]
	v_cmp_lt_u32_e32 vcc_lo, 4, v5
	s_or_b32 s5, vcc_lo, s5
	s_waitcnt vmcnt(1) lgkmcnt(0)
	v_mul_f32_e32 v135, v10, v11
	v_mul_f32_e32 v11, v9, v11
	s_waitcnt vmcnt(0)
	v_fma_f32 v9, v9, v12, -v135
	v_fmac_f32_e32 v11, v10, v12
	v_add_f32_e32 v8, v8, v9
	v_add_f32_e32 v2, v2, v11
	s_andn2_b32 exec_lo, exec_lo, s5
	s_cbranch_execnz .LBB124_37
; %bb.38:
	s_or_b32 exec_lo, exec_lo, s5
	v_mov_b32_e32 v5, 0
	ds_read_b64 v[5:6], v5 offset:48
	s_waitcnt lgkmcnt(0)
	v_mul_f32_e32 v7, v2, v6
	v_mul_f32_e32 v6, v8, v6
	v_fma_f32 v7, v8, v5, -v7
	v_fmac_f32_e32 v6, v2, v5
	buffer_store_dword v7, off, s[0:3], 0 offset:48
	buffer_store_dword v6, off, s[0:3], 0 offset:52
.LBB124_39:
	s_or_b32 exec_lo, exec_lo, s4
	s_waitcnt_vscnt null, 0x0
	s_barrier
	buffer_gl0_inv
	s_clause 0x1
	buffer_load_dword v5, off, s[0:3], 0 offset:56
	buffer_load_dword v6, off, s[0:3], 0 offset:60
	s_mov_b32 s4, exec_lo
	s_waitcnt vmcnt(0)
	ds_write_b64 v4, v[5:6]
	s_waitcnt lgkmcnt(0)
	s_barrier
	buffer_gl0_inv
	v_cmpx_gt_u32_e32 7, v0
	s_cbranch_execz .LBB124_43
; %bb.40:
	v_add_nc_u32_e32 v5, -1, v0
	v_add_nc_u32_e32 v6, 0x1f0, v3
	v_mov_b32_e32 v7, v3
	v_mov_b32_e32 v2, 0
	;; [unrolled: 1-line block ×3, first 2 shown]
	s_mov_b32 s5, 0
	.p2align	6
.LBB124_41:                             ; =>This Inner Loop Header: Depth=1
	s_clause 0x1
	buffer_load_dword v11, v7, s[0:3], 0 offen offset:4
	buffer_load_dword v12, v7, s[0:3], 0 offen
	ds_read_b64 v[9:10], v6
	v_add_nc_u32_e32 v5, 1, v5
	v_add_nc_u32_e32 v6, 8, v6
	;; [unrolled: 1-line block ×3, first 2 shown]
	v_cmp_lt_u32_e32 vcc_lo, 5, v5
	s_or_b32 s5, vcc_lo, s5
	s_waitcnt vmcnt(1) lgkmcnt(0)
	v_mul_f32_e32 v135, v10, v11
	v_mul_f32_e32 v11, v9, v11
	s_waitcnt vmcnt(0)
	v_fma_f32 v9, v9, v12, -v135
	v_fmac_f32_e32 v11, v10, v12
	v_add_f32_e32 v8, v8, v9
	v_add_f32_e32 v2, v2, v11
	s_andn2_b32 exec_lo, exec_lo, s5
	s_cbranch_execnz .LBB124_41
; %bb.42:
	s_or_b32 exec_lo, exec_lo, s5
	v_mov_b32_e32 v5, 0
	ds_read_b64 v[5:6], v5 offset:56
	s_waitcnt lgkmcnt(0)
	v_mul_f32_e32 v7, v2, v6
	v_mul_f32_e32 v6, v8, v6
	v_fma_f32 v7, v8, v5, -v7
	v_fmac_f32_e32 v6, v2, v5
	buffer_store_dword v7, off, s[0:3], 0 offset:56
	buffer_store_dword v6, off, s[0:3], 0 offset:60
.LBB124_43:
	s_or_b32 exec_lo, exec_lo, s4
	s_waitcnt_vscnt null, 0x0
	s_barrier
	buffer_gl0_inv
	s_clause 0x1
	buffer_load_dword v5, off, s[0:3], 0 offset:64
	buffer_load_dword v6, off, s[0:3], 0 offset:68
	s_mov_b32 s4, exec_lo
	s_waitcnt vmcnt(0)
	ds_write_b64 v4, v[5:6]
	s_waitcnt lgkmcnt(0)
	s_barrier
	buffer_gl0_inv
	v_cmpx_gt_u32_e32 8, v0
	s_cbranch_execz .LBB124_47
; %bb.44:
	v_add_nc_u32_e32 v5, -1, v0
	v_add_nc_u32_e32 v6, 0x1f0, v3
	v_mov_b32_e32 v7, v3
	v_mov_b32_e32 v2, 0
	;; [unrolled: 1-line block ×3, first 2 shown]
	s_mov_b32 s5, 0
	.p2align	6
.LBB124_45:                             ; =>This Inner Loop Header: Depth=1
	s_clause 0x1
	buffer_load_dword v11, v7, s[0:3], 0 offen offset:4
	buffer_load_dword v12, v7, s[0:3], 0 offen
	ds_read_b64 v[9:10], v6
	v_add_nc_u32_e32 v5, 1, v5
	v_add_nc_u32_e32 v6, 8, v6
	;; [unrolled: 1-line block ×3, first 2 shown]
	v_cmp_lt_u32_e32 vcc_lo, 6, v5
	s_or_b32 s5, vcc_lo, s5
	s_waitcnt vmcnt(1) lgkmcnt(0)
	v_mul_f32_e32 v135, v10, v11
	v_mul_f32_e32 v11, v9, v11
	s_waitcnt vmcnt(0)
	v_fma_f32 v9, v9, v12, -v135
	v_fmac_f32_e32 v11, v10, v12
	v_add_f32_e32 v8, v8, v9
	v_add_f32_e32 v2, v2, v11
	s_andn2_b32 exec_lo, exec_lo, s5
	s_cbranch_execnz .LBB124_45
; %bb.46:
	s_or_b32 exec_lo, exec_lo, s5
	v_mov_b32_e32 v5, 0
	ds_read_b64 v[5:6], v5 offset:64
	s_waitcnt lgkmcnt(0)
	v_mul_f32_e32 v7, v2, v6
	v_mul_f32_e32 v6, v8, v6
	v_fma_f32 v7, v8, v5, -v7
	v_fmac_f32_e32 v6, v2, v5
	buffer_store_dword v7, off, s[0:3], 0 offset:64
	buffer_store_dword v6, off, s[0:3], 0 offset:68
.LBB124_47:
	s_or_b32 exec_lo, exec_lo, s4
	s_waitcnt_vscnt null, 0x0
	s_barrier
	buffer_gl0_inv
	s_clause 0x1
	buffer_load_dword v5, off, s[0:3], 0 offset:72
	buffer_load_dword v6, off, s[0:3], 0 offset:76
	s_mov_b32 s4, exec_lo
	s_waitcnt vmcnt(0)
	ds_write_b64 v4, v[5:6]
	s_waitcnt lgkmcnt(0)
	s_barrier
	buffer_gl0_inv
	v_cmpx_gt_u32_e32 9, v0
	s_cbranch_execz .LBB124_51
; %bb.48:
	v_add_nc_u32_e32 v5, -1, v0
	v_add_nc_u32_e32 v6, 0x1f0, v3
	v_mov_b32_e32 v7, v3
	v_mov_b32_e32 v2, 0
	;; [unrolled: 1-line block ×3, first 2 shown]
	s_mov_b32 s5, 0
	.p2align	6
.LBB124_49:                             ; =>This Inner Loop Header: Depth=1
	s_clause 0x1
	buffer_load_dword v11, v7, s[0:3], 0 offen offset:4
	buffer_load_dword v12, v7, s[0:3], 0 offen
	ds_read_b64 v[9:10], v6
	v_add_nc_u32_e32 v5, 1, v5
	v_add_nc_u32_e32 v6, 8, v6
	;; [unrolled: 1-line block ×3, first 2 shown]
	v_cmp_lt_u32_e32 vcc_lo, 7, v5
	s_or_b32 s5, vcc_lo, s5
	s_waitcnt vmcnt(1) lgkmcnt(0)
	v_mul_f32_e32 v135, v10, v11
	v_mul_f32_e32 v11, v9, v11
	s_waitcnt vmcnt(0)
	v_fma_f32 v9, v9, v12, -v135
	v_fmac_f32_e32 v11, v10, v12
	v_add_f32_e32 v8, v8, v9
	v_add_f32_e32 v2, v2, v11
	s_andn2_b32 exec_lo, exec_lo, s5
	s_cbranch_execnz .LBB124_49
; %bb.50:
	s_or_b32 exec_lo, exec_lo, s5
	v_mov_b32_e32 v5, 0
	ds_read_b64 v[5:6], v5 offset:72
	s_waitcnt lgkmcnt(0)
	v_mul_f32_e32 v7, v2, v6
	v_mul_f32_e32 v6, v8, v6
	v_fma_f32 v7, v8, v5, -v7
	v_fmac_f32_e32 v6, v2, v5
	buffer_store_dword v7, off, s[0:3], 0 offset:72
	buffer_store_dword v6, off, s[0:3], 0 offset:76
.LBB124_51:
	s_or_b32 exec_lo, exec_lo, s4
	s_waitcnt_vscnt null, 0x0
	s_barrier
	buffer_gl0_inv
	s_clause 0x1
	buffer_load_dword v5, off, s[0:3], 0 offset:80
	buffer_load_dword v6, off, s[0:3], 0 offset:84
	s_mov_b32 s4, exec_lo
	s_waitcnt vmcnt(0)
	ds_write_b64 v4, v[5:6]
	s_waitcnt lgkmcnt(0)
	s_barrier
	buffer_gl0_inv
	v_cmpx_gt_u32_e32 10, v0
	s_cbranch_execz .LBB124_55
; %bb.52:
	v_add_nc_u32_e32 v5, -1, v0
	v_add_nc_u32_e32 v6, 0x1f0, v3
	v_mov_b32_e32 v7, v3
	v_mov_b32_e32 v2, 0
	;; [unrolled: 1-line block ×3, first 2 shown]
	s_mov_b32 s5, 0
	.p2align	6
.LBB124_53:                             ; =>This Inner Loop Header: Depth=1
	s_clause 0x1
	buffer_load_dword v11, v7, s[0:3], 0 offen offset:4
	buffer_load_dword v12, v7, s[0:3], 0 offen
	ds_read_b64 v[9:10], v6
	v_add_nc_u32_e32 v5, 1, v5
	v_add_nc_u32_e32 v6, 8, v6
	;; [unrolled: 1-line block ×3, first 2 shown]
	v_cmp_lt_u32_e32 vcc_lo, 8, v5
	s_or_b32 s5, vcc_lo, s5
	s_waitcnt vmcnt(1) lgkmcnt(0)
	v_mul_f32_e32 v135, v10, v11
	v_mul_f32_e32 v11, v9, v11
	s_waitcnt vmcnt(0)
	v_fma_f32 v9, v9, v12, -v135
	v_fmac_f32_e32 v11, v10, v12
	v_add_f32_e32 v8, v8, v9
	v_add_f32_e32 v2, v2, v11
	s_andn2_b32 exec_lo, exec_lo, s5
	s_cbranch_execnz .LBB124_53
; %bb.54:
	s_or_b32 exec_lo, exec_lo, s5
	v_mov_b32_e32 v5, 0
	ds_read_b64 v[5:6], v5 offset:80
	s_waitcnt lgkmcnt(0)
	v_mul_f32_e32 v7, v2, v6
	v_mul_f32_e32 v6, v8, v6
	v_fma_f32 v7, v8, v5, -v7
	v_fmac_f32_e32 v6, v2, v5
	buffer_store_dword v7, off, s[0:3], 0 offset:80
	buffer_store_dword v6, off, s[0:3], 0 offset:84
.LBB124_55:
	s_or_b32 exec_lo, exec_lo, s4
	s_waitcnt_vscnt null, 0x0
	s_barrier
	buffer_gl0_inv
	s_clause 0x1
	buffer_load_dword v5, off, s[0:3], 0 offset:88
	buffer_load_dword v6, off, s[0:3], 0 offset:92
	s_mov_b32 s4, exec_lo
	s_waitcnt vmcnt(0)
	ds_write_b64 v4, v[5:6]
	s_waitcnt lgkmcnt(0)
	s_barrier
	buffer_gl0_inv
	v_cmpx_gt_u32_e32 11, v0
	s_cbranch_execz .LBB124_59
; %bb.56:
	v_add_nc_u32_e32 v5, -1, v0
	v_add_nc_u32_e32 v6, 0x1f0, v3
	v_mov_b32_e32 v7, v3
	v_mov_b32_e32 v2, 0
	;; [unrolled: 1-line block ×3, first 2 shown]
	s_mov_b32 s5, 0
	.p2align	6
.LBB124_57:                             ; =>This Inner Loop Header: Depth=1
	s_clause 0x1
	buffer_load_dword v11, v7, s[0:3], 0 offen offset:4
	buffer_load_dword v12, v7, s[0:3], 0 offen
	ds_read_b64 v[9:10], v6
	v_add_nc_u32_e32 v5, 1, v5
	v_add_nc_u32_e32 v6, 8, v6
	;; [unrolled: 1-line block ×3, first 2 shown]
	v_cmp_lt_u32_e32 vcc_lo, 9, v5
	s_or_b32 s5, vcc_lo, s5
	s_waitcnt vmcnt(1) lgkmcnt(0)
	v_mul_f32_e32 v135, v10, v11
	v_mul_f32_e32 v11, v9, v11
	s_waitcnt vmcnt(0)
	v_fma_f32 v9, v9, v12, -v135
	v_fmac_f32_e32 v11, v10, v12
	v_add_f32_e32 v8, v8, v9
	v_add_f32_e32 v2, v2, v11
	s_andn2_b32 exec_lo, exec_lo, s5
	s_cbranch_execnz .LBB124_57
; %bb.58:
	s_or_b32 exec_lo, exec_lo, s5
	v_mov_b32_e32 v5, 0
	ds_read_b64 v[5:6], v5 offset:88
	s_waitcnt lgkmcnt(0)
	v_mul_f32_e32 v7, v2, v6
	v_mul_f32_e32 v6, v8, v6
	v_fma_f32 v7, v8, v5, -v7
	v_fmac_f32_e32 v6, v2, v5
	buffer_store_dword v7, off, s[0:3], 0 offset:88
	buffer_store_dword v6, off, s[0:3], 0 offset:92
.LBB124_59:
	s_or_b32 exec_lo, exec_lo, s4
	s_waitcnt_vscnt null, 0x0
	s_barrier
	buffer_gl0_inv
	s_clause 0x1
	buffer_load_dword v5, off, s[0:3], 0 offset:96
	buffer_load_dword v6, off, s[0:3], 0 offset:100
	s_mov_b32 s4, exec_lo
	s_waitcnt vmcnt(0)
	ds_write_b64 v4, v[5:6]
	s_waitcnt lgkmcnt(0)
	s_barrier
	buffer_gl0_inv
	v_cmpx_gt_u32_e32 12, v0
	s_cbranch_execz .LBB124_63
; %bb.60:
	v_add_nc_u32_e32 v5, -1, v0
	v_add_nc_u32_e32 v6, 0x1f0, v3
	v_mov_b32_e32 v7, v3
	v_mov_b32_e32 v2, 0
	;; [unrolled: 1-line block ×3, first 2 shown]
	s_mov_b32 s5, 0
	.p2align	6
.LBB124_61:                             ; =>This Inner Loop Header: Depth=1
	s_clause 0x1
	buffer_load_dword v11, v7, s[0:3], 0 offen offset:4
	buffer_load_dword v12, v7, s[0:3], 0 offen
	ds_read_b64 v[9:10], v6
	v_add_nc_u32_e32 v5, 1, v5
	v_add_nc_u32_e32 v6, 8, v6
	;; [unrolled: 1-line block ×3, first 2 shown]
	v_cmp_lt_u32_e32 vcc_lo, 10, v5
	s_or_b32 s5, vcc_lo, s5
	s_waitcnt vmcnt(1) lgkmcnt(0)
	v_mul_f32_e32 v135, v10, v11
	v_mul_f32_e32 v11, v9, v11
	s_waitcnt vmcnt(0)
	v_fma_f32 v9, v9, v12, -v135
	v_fmac_f32_e32 v11, v10, v12
	v_add_f32_e32 v8, v8, v9
	v_add_f32_e32 v2, v2, v11
	s_andn2_b32 exec_lo, exec_lo, s5
	s_cbranch_execnz .LBB124_61
; %bb.62:
	s_or_b32 exec_lo, exec_lo, s5
	v_mov_b32_e32 v5, 0
	ds_read_b64 v[5:6], v5 offset:96
	s_waitcnt lgkmcnt(0)
	v_mul_f32_e32 v7, v2, v6
	v_mul_f32_e32 v6, v8, v6
	v_fma_f32 v7, v8, v5, -v7
	v_fmac_f32_e32 v6, v2, v5
	buffer_store_dword v7, off, s[0:3], 0 offset:96
	buffer_store_dword v6, off, s[0:3], 0 offset:100
.LBB124_63:
	s_or_b32 exec_lo, exec_lo, s4
	s_waitcnt_vscnt null, 0x0
	s_barrier
	buffer_gl0_inv
	s_clause 0x1
	buffer_load_dword v5, off, s[0:3], 0 offset:104
	buffer_load_dword v6, off, s[0:3], 0 offset:108
	s_mov_b32 s4, exec_lo
	s_waitcnt vmcnt(0)
	ds_write_b64 v4, v[5:6]
	s_waitcnt lgkmcnt(0)
	s_barrier
	buffer_gl0_inv
	v_cmpx_gt_u32_e32 13, v0
	s_cbranch_execz .LBB124_67
; %bb.64:
	v_add_nc_u32_e32 v5, -1, v0
	v_add_nc_u32_e32 v6, 0x1f0, v3
	v_mov_b32_e32 v7, v3
	v_mov_b32_e32 v2, 0
	;; [unrolled: 1-line block ×3, first 2 shown]
	s_mov_b32 s5, 0
	.p2align	6
.LBB124_65:                             ; =>This Inner Loop Header: Depth=1
	s_clause 0x1
	buffer_load_dword v11, v7, s[0:3], 0 offen offset:4
	buffer_load_dword v12, v7, s[0:3], 0 offen
	ds_read_b64 v[9:10], v6
	v_add_nc_u32_e32 v5, 1, v5
	v_add_nc_u32_e32 v6, 8, v6
	;; [unrolled: 1-line block ×3, first 2 shown]
	v_cmp_lt_u32_e32 vcc_lo, 11, v5
	s_or_b32 s5, vcc_lo, s5
	s_waitcnt vmcnt(1) lgkmcnt(0)
	v_mul_f32_e32 v135, v10, v11
	v_mul_f32_e32 v11, v9, v11
	s_waitcnt vmcnt(0)
	v_fma_f32 v9, v9, v12, -v135
	v_fmac_f32_e32 v11, v10, v12
	v_add_f32_e32 v8, v8, v9
	v_add_f32_e32 v2, v2, v11
	s_andn2_b32 exec_lo, exec_lo, s5
	s_cbranch_execnz .LBB124_65
; %bb.66:
	s_or_b32 exec_lo, exec_lo, s5
	v_mov_b32_e32 v5, 0
	ds_read_b64 v[5:6], v5 offset:104
	s_waitcnt lgkmcnt(0)
	v_mul_f32_e32 v7, v2, v6
	v_mul_f32_e32 v6, v8, v6
	v_fma_f32 v7, v8, v5, -v7
	v_fmac_f32_e32 v6, v2, v5
	buffer_store_dword v7, off, s[0:3], 0 offset:104
	buffer_store_dword v6, off, s[0:3], 0 offset:108
.LBB124_67:
	s_or_b32 exec_lo, exec_lo, s4
	s_waitcnt_vscnt null, 0x0
	s_barrier
	buffer_gl0_inv
	s_clause 0x1
	buffer_load_dword v5, off, s[0:3], 0 offset:112
	buffer_load_dword v6, off, s[0:3], 0 offset:116
	s_mov_b32 s4, exec_lo
	s_waitcnt vmcnt(0)
	ds_write_b64 v4, v[5:6]
	s_waitcnt lgkmcnt(0)
	s_barrier
	buffer_gl0_inv
	v_cmpx_gt_u32_e32 14, v0
	s_cbranch_execz .LBB124_71
; %bb.68:
	v_add_nc_u32_e32 v5, -1, v0
	v_add_nc_u32_e32 v6, 0x1f0, v3
	v_mov_b32_e32 v7, v3
	v_mov_b32_e32 v2, 0
	;; [unrolled: 1-line block ×3, first 2 shown]
	s_mov_b32 s5, 0
	.p2align	6
.LBB124_69:                             ; =>This Inner Loop Header: Depth=1
	s_clause 0x1
	buffer_load_dword v11, v7, s[0:3], 0 offen offset:4
	buffer_load_dword v12, v7, s[0:3], 0 offen
	ds_read_b64 v[9:10], v6
	v_add_nc_u32_e32 v5, 1, v5
	v_add_nc_u32_e32 v6, 8, v6
	;; [unrolled: 1-line block ×3, first 2 shown]
	v_cmp_lt_u32_e32 vcc_lo, 12, v5
	s_or_b32 s5, vcc_lo, s5
	s_waitcnt vmcnt(1) lgkmcnt(0)
	v_mul_f32_e32 v135, v10, v11
	v_mul_f32_e32 v11, v9, v11
	s_waitcnt vmcnt(0)
	v_fma_f32 v9, v9, v12, -v135
	v_fmac_f32_e32 v11, v10, v12
	v_add_f32_e32 v8, v8, v9
	v_add_f32_e32 v2, v2, v11
	s_andn2_b32 exec_lo, exec_lo, s5
	s_cbranch_execnz .LBB124_69
; %bb.70:
	s_or_b32 exec_lo, exec_lo, s5
	v_mov_b32_e32 v5, 0
	ds_read_b64 v[5:6], v5 offset:112
	s_waitcnt lgkmcnt(0)
	v_mul_f32_e32 v7, v2, v6
	v_mul_f32_e32 v6, v8, v6
	v_fma_f32 v7, v8, v5, -v7
	v_fmac_f32_e32 v6, v2, v5
	buffer_store_dword v7, off, s[0:3], 0 offset:112
	buffer_store_dword v6, off, s[0:3], 0 offset:116
.LBB124_71:
	s_or_b32 exec_lo, exec_lo, s4
	s_waitcnt_vscnt null, 0x0
	s_barrier
	buffer_gl0_inv
	s_clause 0x1
	buffer_load_dword v5, off, s[0:3], 0 offset:120
	buffer_load_dword v6, off, s[0:3], 0 offset:124
	s_mov_b32 s4, exec_lo
	s_waitcnt vmcnt(0)
	ds_write_b64 v4, v[5:6]
	s_waitcnt lgkmcnt(0)
	s_barrier
	buffer_gl0_inv
	v_cmpx_gt_u32_e32 15, v0
	s_cbranch_execz .LBB124_75
; %bb.72:
	v_add_nc_u32_e32 v5, -1, v0
	v_add_nc_u32_e32 v6, 0x1f0, v3
	v_mov_b32_e32 v7, v3
	v_mov_b32_e32 v2, 0
	;; [unrolled: 1-line block ×3, first 2 shown]
	s_mov_b32 s5, 0
	.p2align	6
.LBB124_73:                             ; =>This Inner Loop Header: Depth=1
	s_clause 0x1
	buffer_load_dword v11, v7, s[0:3], 0 offen offset:4
	buffer_load_dword v12, v7, s[0:3], 0 offen
	ds_read_b64 v[9:10], v6
	v_add_nc_u32_e32 v5, 1, v5
	v_add_nc_u32_e32 v6, 8, v6
	;; [unrolled: 1-line block ×3, first 2 shown]
	v_cmp_lt_u32_e32 vcc_lo, 13, v5
	s_or_b32 s5, vcc_lo, s5
	s_waitcnt vmcnt(1) lgkmcnt(0)
	v_mul_f32_e32 v135, v10, v11
	v_mul_f32_e32 v11, v9, v11
	s_waitcnt vmcnt(0)
	v_fma_f32 v9, v9, v12, -v135
	v_fmac_f32_e32 v11, v10, v12
	v_add_f32_e32 v8, v8, v9
	v_add_f32_e32 v2, v2, v11
	s_andn2_b32 exec_lo, exec_lo, s5
	s_cbranch_execnz .LBB124_73
; %bb.74:
	s_or_b32 exec_lo, exec_lo, s5
	v_mov_b32_e32 v5, 0
	ds_read_b64 v[5:6], v5 offset:120
	s_waitcnt lgkmcnt(0)
	v_mul_f32_e32 v7, v2, v6
	v_mul_f32_e32 v6, v8, v6
	v_fma_f32 v7, v8, v5, -v7
	v_fmac_f32_e32 v6, v2, v5
	buffer_store_dword v7, off, s[0:3], 0 offset:120
	buffer_store_dword v6, off, s[0:3], 0 offset:124
.LBB124_75:
	s_or_b32 exec_lo, exec_lo, s4
	s_waitcnt_vscnt null, 0x0
	s_barrier
	buffer_gl0_inv
	s_clause 0x1
	buffer_load_dword v5, off, s[0:3], 0 offset:128
	buffer_load_dword v6, off, s[0:3], 0 offset:132
	s_mov_b32 s4, exec_lo
	s_waitcnt vmcnt(0)
	ds_write_b64 v4, v[5:6]
	s_waitcnt lgkmcnt(0)
	s_barrier
	buffer_gl0_inv
	v_cmpx_gt_u32_e32 16, v0
	s_cbranch_execz .LBB124_79
; %bb.76:
	v_add_nc_u32_e32 v5, -1, v0
	v_add_nc_u32_e32 v6, 0x1f0, v3
	v_mov_b32_e32 v7, v3
	v_mov_b32_e32 v2, 0
	;; [unrolled: 1-line block ×3, first 2 shown]
	s_mov_b32 s5, 0
	.p2align	6
.LBB124_77:                             ; =>This Inner Loop Header: Depth=1
	s_clause 0x1
	buffer_load_dword v11, v7, s[0:3], 0 offen offset:4
	buffer_load_dword v12, v7, s[0:3], 0 offen
	ds_read_b64 v[9:10], v6
	v_add_nc_u32_e32 v5, 1, v5
	v_add_nc_u32_e32 v6, 8, v6
	;; [unrolled: 1-line block ×3, first 2 shown]
	v_cmp_lt_u32_e32 vcc_lo, 14, v5
	s_or_b32 s5, vcc_lo, s5
	s_waitcnt vmcnt(1) lgkmcnt(0)
	v_mul_f32_e32 v135, v10, v11
	v_mul_f32_e32 v11, v9, v11
	s_waitcnt vmcnt(0)
	v_fma_f32 v9, v9, v12, -v135
	v_fmac_f32_e32 v11, v10, v12
	v_add_f32_e32 v8, v8, v9
	v_add_f32_e32 v2, v2, v11
	s_andn2_b32 exec_lo, exec_lo, s5
	s_cbranch_execnz .LBB124_77
; %bb.78:
	s_or_b32 exec_lo, exec_lo, s5
	v_mov_b32_e32 v5, 0
	ds_read_b64 v[5:6], v5 offset:128
	s_waitcnt lgkmcnt(0)
	v_mul_f32_e32 v7, v2, v6
	v_mul_f32_e32 v6, v8, v6
	v_fma_f32 v7, v8, v5, -v7
	v_fmac_f32_e32 v6, v2, v5
	buffer_store_dword v7, off, s[0:3], 0 offset:128
	buffer_store_dword v6, off, s[0:3], 0 offset:132
.LBB124_79:
	s_or_b32 exec_lo, exec_lo, s4
	s_waitcnt_vscnt null, 0x0
	s_barrier
	buffer_gl0_inv
	s_clause 0x1
	buffer_load_dword v5, off, s[0:3], 0 offset:136
	buffer_load_dword v6, off, s[0:3], 0 offset:140
	s_mov_b32 s4, exec_lo
	s_waitcnt vmcnt(0)
	ds_write_b64 v4, v[5:6]
	s_waitcnt lgkmcnt(0)
	s_barrier
	buffer_gl0_inv
	v_cmpx_gt_u32_e32 17, v0
	s_cbranch_execz .LBB124_83
; %bb.80:
	v_add_nc_u32_e32 v5, -1, v0
	v_add_nc_u32_e32 v6, 0x1f0, v3
	v_mov_b32_e32 v7, v3
	v_mov_b32_e32 v2, 0
	;; [unrolled: 1-line block ×3, first 2 shown]
	s_mov_b32 s5, 0
	.p2align	6
.LBB124_81:                             ; =>This Inner Loop Header: Depth=1
	s_clause 0x1
	buffer_load_dword v11, v7, s[0:3], 0 offen offset:4
	buffer_load_dword v12, v7, s[0:3], 0 offen
	ds_read_b64 v[9:10], v6
	v_add_nc_u32_e32 v5, 1, v5
	v_add_nc_u32_e32 v6, 8, v6
	;; [unrolled: 1-line block ×3, first 2 shown]
	v_cmp_lt_u32_e32 vcc_lo, 15, v5
	s_or_b32 s5, vcc_lo, s5
	s_waitcnt vmcnt(1) lgkmcnt(0)
	v_mul_f32_e32 v135, v10, v11
	v_mul_f32_e32 v11, v9, v11
	s_waitcnt vmcnt(0)
	v_fma_f32 v9, v9, v12, -v135
	v_fmac_f32_e32 v11, v10, v12
	v_add_f32_e32 v8, v8, v9
	v_add_f32_e32 v2, v2, v11
	s_andn2_b32 exec_lo, exec_lo, s5
	s_cbranch_execnz .LBB124_81
; %bb.82:
	s_or_b32 exec_lo, exec_lo, s5
	v_mov_b32_e32 v5, 0
	ds_read_b64 v[5:6], v5 offset:136
	s_waitcnt lgkmcnt(0)
	v_mul_f32_e32 v7, v2, v6
	v_mul_f32_e32 v6, v8, v6
	v_fma_f32 v7, v8, v5, -v7
	v_fmac_f32_e32 v6, v2, v5
	buffer_store_dword v7, off, s[0:3], 0 offset:136
	buffer_store_dword v6, off, s[0:3], 0 offset:140
.LBB124_83:
	s_or_b32 exec_lo, exec_lo, s4
	s_waitcnt_vscnt null, 0x0
	s_barrier
	buffer_gl0_inv
	s_clause 0x1
	buffer_load_dword v5, off, s[0:3], 0 offset:144
	buffer_load_dword v6, off, s[0:3], 0 offset:148
	s_mov_b32 s4, exec_lo
	s_waitcnt vmcnt(0)
	ds_write_b64 v4, v[5:6]
	s_waitcnt lgkmcnt(0)
	s_barrier
	buffer_gl0_inv
	v_cmpx_gt_u32_e32 18, v0
	s_cbranch_execz .LBB124_87
; %bb.84:
	v_add_nc_u32_e32 v5, -1, v0
	v_add_nc_u32_e32 v6, 0x1f0, v3
	v_mov_b32_e32 v7, v3
	v_mov_b32_e32 v2, 0
	v_mov_b32_e32 v8, 0
	s_mov_b32 s5, 0
	.p2align	6
.LBB124_85:                             ; =>This Inner Loop Header: Depth=1
	s_clause 0x1
	buffer_load_dword v11, v7, s[0:3], 0 offen offset:4
	buffer_load_dword v12, v7, s[0:3], 0 offen
	ds_read_b64 v[9:10], v6
	v_add_nc_u32_e32 v5, 1, v5
	v_add_nc_u32_e32 v6, 8, v6
	;; [unrolled: 1-line block ×3, first 2 shown]
	v_cmp_lt_u32_e32 vcc_lo, 16, v5
	s_or_b32 s5, vcc_lo, s5
	s_waitcnt vmcnt(1) lgkmcnt(0)
	v_mul_f32_e32 v135, v10, v11
	v_mul_f32_e32 v11, v9, v11
	s_waitcnt vmcnt(0)
	v_fma_f32 v9, v9, v12, -v135
	v_fmac_f32_e32 v11, v10, v12
	v_add_f32_e32 v8, v8, v9
	v_add_f32_e32 v2, v2, v11
	s_andn2_b32 exec_lo, exec_lo, s5
	s_cbranch_execnz .LBB124_85
; %bb.86:
	s_or_b32 exec_lo, exec_lo, s5
	v_mov_b32_e32 v5, 0
	ds_read_b64 v[5:6], v5 offset:144
	s_waitcnt lgkmcnt(0)
	v_mul_f32_e32 v7, v2, v6
	v_mul_f32_e32 v6, v8, v6
	v_fma_f32 v7, v8, v5, -v7
	v_fmac_f32_e32 v6, v2, v5
	buffer_store_dword v7, off, s[0:3], 0 offset:144
	buffer_store_dword v6, off, s[0:3], 0 offset:148
.LBB124_87:
	s_or_b32 exec_lo, exec_lo, s4
	s_waitcnt_vscnt null, 0x0
	s_barrier
	buffer_gl0_inv
	s_clause 0x1
	buffer_load_dword v5, off, s[0:3], 0 offset:152
	buffer_load_dword v6, off, s[0:3], 0 offset:156
	s_mov_b32 s4, exec_lo
	s_waitcnt vmcnt(0)
	ds_write_b64 v4, v[5:6]
	s_waitcnt lgkmcnt(0)
	s_barrier
	buffer_gl0_inv
	v_cmpx_gt_u32_e32 19, v0
	s_cbranch_execz .LBB124_91
; %bb.88:
	v_add_nc_u32_e32 v5, -1, v0
	v_add_nc_u32_e32 v6, 0x1f0, v3
	v_mov_b32_e32 v7, v3
	v_mov_b32_e32 v2, 0
	;; [unrolled: 1-line block ×3, first 2 shown]
	s_mov_b32 s5, 0
	.p2align	6
.LBB124_89:                             ; =>This Inner Loop Header: Depth=1
	s_clause 0x1
	buffer_load_dword v11, v7, s[0:3], 0 offen offset:4
	buffer_load_dword v12, v7, s[0:3], 0 offen
	ds_read_b64 v[9:10], v6
	v_add_nc_u32_e32 v5, 1, v5
	v_add_nc_u32_e32 v6, 8, v6
	;; [unrolled: 1-line block ×3, first 2 shown]
	v_cmp_lt_u32_e32 vcc_lo, 17, v5
	s_or_b32 s5, vcc_lo, s5
	s_waitcnt vmcnt(1) lgkmcnt(0)
	v_mul_f32_e32 v135, v10, v11
	v_mul_f32_e32 v11, v9, v11
	s_waitcnt vmcnt(0)
	v_fma_f32 v9, v9, v12, -v135
	v_fmac_f32_e32 v11, v10, v12
	v_add_f32_e32 v8, v8, v9
	v_add_f32_e32 v2, v2, v11
	s_andn2_b32 exec_lo, exec_lo, s5
	s_cbranch_execnz .LBB124_89
; %bb.90:
	s_or_b32 exec_lo, exec_lo, s5
	v_mov_b32_e32 v5, 0
	ds_read_b64 v[5:6], v5 offset:152
	s_waitcnt lgkmcnt(0)
	v_mul_f32_e32 v7, v2, v6
	v_mul_f32_e32 v6, v8, v6
	v_fma_f32 v7, v8, v5, -v7
	v_fmac_f32_e32 v6, v2, v5
	buffer_store_dword v7, off, s[0:3], 0 offset:152
	buffer_store_dword v6, off, s[0:3], 0 offset:156
.LBB124_91:
	s_or_b32 exec_lo, exec_lo, s4
	s_waitcnt_vscnt null, 0x0
	s_barrier
	buffer_gl0_inv
	s_clause 0x1
	buffer_load_dword v5, off, s[0:3], 0 offset:160
	buffer_load_dword v6, off, s[0:3], 0 offset:164
	s_mov_b32 s4, exec_lo
	s_waitcnt vmcnt(0)
	ds_write_b64 v4, v[5:6]
	s_waitcnt lgkmcnt(0)
	s_barrier
	buffer_gl0_inv
	v_cmpx_gt_u32_e32 20, v0
	s_cbranch_execz .LBB124_95
; %bb.92:
	v_add_nc_u32_e32 v5, -1, v0
	v_add_nc_u32_e32 v6, 0x1f0, v3
	v_mov_b32_e32 v7, v3
	v_mov_b32_e32 v2, 0
	;; [unrolled: 1-line block ×3, first 2 shown]
	s_mov_b32 s5, 0
	.p2align	6
.LBB124_93:                             ; =>This Inner Loop Header: Depth=1
	s_clause 0x1
	buffer_load_dword v11, v7, s[0:3], 0 offen offset:4
	buffer_load_dword v12, v7, s[0:3], 0 offen
	ds_read_b64 v[9:10], v6
	v_add_nc_u32_e32 v5, 1, v5
	v_add_nc_u32_e32 v6, 8, v6
	v_add_nc_u32_e32 v7, 8, v7
	v_cmp_lt_u32_e32 vcc_lo, 18, v5
	s_or_b32 s5, vcc_lo, s5
	s_waitcnt vmcnt(1) lgkmcnt(0)
	v_mul_f32_e32 v135, v10, v11
	v_mul_f32_e32 v11, v9, v11
	s_waitcnt vmcnt(0)
	v_fma_f32 v9, v9, v12, -v135
	v_fmac_f32_e32 v11, v10, v12
	v_add_f32_e32 v8, v8, v9
	v_add_f32_e32 v2, v2, v11
	s_andn2_b32 exec_lo, exec_lo, s5
	s_cbranch_execnz .LBB124_93
; %bb.94:
	s_or_b32 exec_lo, exec_lo, s5
	v_mov_b32_e32 v5, 0
	ds_read_b64 v[5:6], v5 offset:160
	s_waitcnt lgkmcnt(0)
	v_mul_f32_e32 v7, v2, v6
	v_mul_f32_e32 v6, v8, v6
	v_fma_f32 v7, v8, v5, -v7
	v_fmac_f32_e32 v6, v2, v5
	buffer_store_dword v7, off, s[0:3], 0 offset:160
	buffer_store_dword v6, off, s[0:3], 0 offset:164
.LBB124_95:
	s_or_b32 exec_lo, exec_lo, s4
	s_waitcnt_vscnt null, 0x0
	s_barrier
	buffer_gl0_inv
	s_clause 0x1
	buffer_load_dword v5, off, s[0:3], 0 offset:168
	buffer_load_dword v6, off, s[0:3], 0 offset:172
	s_mov_b32 s4, exec_lo
	s_waitcnt vmcnt(0)
	ds_write_b64 v4, v[5:6]
	s_waitcnt lgkmcnt(0)
	s_barrier
	buffer_gl0_inv
	v_cmpx_gt_u32_e32 21, v0
	s_cbranch_execz .LBB124_99
; %bb.96:
	v_add_nc_u32_e32 v5, -1, v0
	v_add_nc_u32_e32 v6, 0x1f0, v3
	v_mov_b32_e32 v7, v3
	v_mov_b32_e32 v2, 0
	;; [unrolled: 1-line block ×3, first 2 shown]
	s_mov_b32 s5, 0
	.p2align	6
.LBB124_97:                             ; =>This Inner Loop Header: Depth=1
	s_clause 0x1
	buffer_load_dword v11, v7, s[0:3], 0 offen offset:4
	buffer_load_dword v12, v7, s[0:3], 0 offen
	ds_read_b64 v[9:10], v6
	v_add_nc_u32_e32 v5, 1, v5
	v_add_nc_u32_e32 v6, 8, v6
	;; [unrolled: 1-line block ×3, first 2 shown]
	v_cmp_lt_u32_e32 vcc_lo, 19, v5
	s_or_b32 s5, vcc_lo, s5
	s_waitcnt vmcnt(1) lgkmcnt(0)
	v_mul_f32_e32 v135, v10, v11
	v_mul_f32_e32 v11, v9, v11
	s_waitcnt vmcnt(0)
	v_fma_f32 v9, v9, v12, -v135
	v_fmac_f32_e32 v11, v10, v12
	v_add_f32_e32 v8, v8, v9
	v_add_f32_e32 v2, v2, v11
	s_andn2_b32 exec_lo, exec_lo, s5
	s_cbranch_execnz .LBB124_97
; %bb.98:
	s_or_b32 exec_lo, exec_lo, s5
	v_mov_b32_e32 v5, 0
	ds_read_b64 v[5:6], v5 offset:168
	s_waitcnt lgkmcnt(0)
	v_mul_f32_e32 v7, v2, v6
	v_mul_f32_e32 v6, v8, v6
	v_fma_f32 v7, v8, v5, -v7
	v_fmac_f32_e32 v6, v2, v5
	buffer_store_dword v7, off, s[0:3], 0 offset:168
	buffer_store_dword v6, off, s[0:3], 0 offset:172
.LBB124_99:
	s_or_b32 exec_lo, exec_lo, s4
	s_waitcnt_vscnt null, 0x0
	s_barrier
	buffer_gl0_inv
	s_clause 0x1
	buffer_load_dword v5, off, s[0:3], 0 offset:176
	buffer_load_dword v6, off, s[0:3], 0 offset:180
	s_mov_b32 s4, exec_lo
	s_waitcnt vmcnt(0)
	ds_write_b64 v4, v[5:6]
	s_waitcnt lgkmcnt(0)
	s_barrier
	buffer_gl0_inv
	v_cmpx_gt_u32_e32 22, v0
	s_cbranch_execz .LBB124_103
; %bb.100:
	v_add_nc_u32_e32 v5, -1, v0
	v_add_nc_u32_e32 v6, 0x1f0, v3
	v_mov_b32_e32 v7, v3
	v_mov_b32_e32 v2, 0
	;; [unrolled: 1-line block ×3, first 2 shown]
	s_mov_b32 s5, 0
	.p2align	6
.LBB124_101:                            ; =>This Inner Loop Header: Depth=1
	s_clause 0x1
	buffer_load_dword v11, v7, s[0:3], 0 offen offset:4
	buffer_load_dword v12, v7, s[0:3], 0 offen
	ds_read_b64 v[9:10], v6
	v_add_nc_u32_e32 v5, 1, v5
	v_add_nc_u32_e32 v6, 8, v6
	v_add_nc_u32_e32 v7, 8, v7
	v_cmp_lt_u32_e32 vcc_lo, 20, v5
	s_or_b32 s5, vcc_lo, s5
	s_waitcnt vmcnt(1) lgkmcnt(0)
	v_mul_f32_e32 v135, v10, v11
	v_mul_f32_e32 v11, v9, v11
	s_waitcnt vmcnt(0)
	v_fma_f32 v9, v9, v12, -v135
	v_fmac_f32_e32 v11, v10, v12
	v_add_f32_e32 v8, v8, v9
	v_add_f32_e32 v2, v2, v11
	s_andn2_b32 exec_lo, exec_lo, s5
	s_cbranch_execnz .LBB124_101
; %bb.102:
	s_or_b32 exec_lo, exec_lo, s5
	v_mov_b32_e32 v5, 0
	ds_read_b64 v[5:6], v5 offset:176
	s_waitcnt lgkmcnt(0)
	v_mul_f32_e32 v7, v2, v6
	v_mul_f32_e32 v6, v8, v6
	v_fma_f32 v7, v8, v5, -v7
	v_fmac_f32_e32 v6, v2, v5
	buffer_store_dword v7, off, s[0:3], 0 offset:176
	buffer_store_dword v6, off, s[0:3], 0 offset:180
.LBB124_103:
	s_or_b32 exec_lo, exec_lo, s4
	s_waitcnt_vscnt null, 0x0
	s_barrier
	buffer_gl0_inv
	s_clause 0x1
	buffer_load_dword v5, off, s[0:3], 0 offset:184
	buffer_load_dword v6, off, s[0:3], 0 offset:188
	s_mov_b32 s4, exec_lo
	s_waitcnt vmcnt(0)
	ds_write_b64 v4, v[5:6]
	s_waitcnt lgkmcnt(0)
	s_barrier
	buffer_gl0_inv
	v_cmpx_gt_u32_e32 23, v0
	s_cbranch_execz .LBB124_107
; %bb.104:
	v_add_nc_u32_e32 v5, -1, v0
	v_add_nc_u32_e32 v6, 0x1f0, v3
	v_mov_b32_e32 v7, v3
	v_mov_b32_e32 v2, 0
	;; [unrolled: 1-line block ×3, first 2 shown]
	s_mov_b32 s5, 0
	.p2align	6
.LBB124_105:                            ; =>This Inner Loop Header: Depth=1
	s_clause 0x1
	buffer_load_dword v11, v7, s[0:3], 0 offen offset:4
	buffer_load_dword v12, v7, s[0:3], 0 offen
	ds_read_b64 v[9:10], v6
	v_add_nc_u32_e32 v5, 1, v5
	v_add_nc_u32_e32 v6, 8, v6
	v_add_nc_u32_e32 v7, 8, v7
	v_cmp_lt_u32_e32 vcc_lo, 21, v5
	s_or_b32 s5, vcc_lo, s5
	s_waitcnt vmcnt(1) lgkmcnt(0)
	v_mul_f32_e32 v135, v10, v11
	v_mul_f32_e32 v11, v9, v11
	s_waitcnt vmcnt(0)
	v_fma_f32 v9, v9, v12, -v135
	v_fmac_f32_e32 v11, v10, v12
	v_add_f32_e32 v8, v8, v9
	v_add_f32_e32 v2, v2, v11
	s_andn2_b32 exec_lo, exec_lo, s5
	s_cbranch_execnz .LBB124_105
; %bb.106:
	s_or_b32 exec_lo, exec_lo, s5
	v_mov_b32_e32 v5, 0
	ds_read_b64 v[5:6], v5 offset:184
	s_waitcnt lgkmcnt(0)
	v_mul_f32_e32 v7, v2, v6
	v_mul_f32_e32 v6, v8, v6
	v_fma_f32 v7, v8, v5, -v7
	v_fmac_f32_e32 v6, v2, v5
	buffer_store_dword v7, off, s[0:3], 0 offset:184
	buffer_store_dword v6, off, s[0:3], 0 offset:188
.LBB124_107:
	s_or_b32 exec_lo, exec_lo, s4
	s_waitcnt_vscnt null, 0x0
	s_barrier
	buffer_gl0_inv
	s_clause 0x1
	buffer_load_dword v5, off, s[0:3], 0 offset:192
	buffer_load_dword v6, off, s[0:3], 0 offset:196
	s_mov_b32 s4, exec_lo
	s_waitcnt vmcnt(0)
	ds_write_b64 v4, v[5:6]
	s_waitcnt lgkmcnt(0)
	s_barrier
	buffer_gl0_inv
	v_cmpx_gt_u32_e32 24, v0
	s_cbranch_execz .LBB124_111
; %bb.108:
	v_add_nc_u32_e32 v5, -1, v0
	v_add_nc_u32_e32 v6, 0x1f0, v3
	v_mov_b32_e32 v7, v3
	v_mov_b32_e32 v2, 0
	;; [unrolled: 1-line block ×3, first 2 shown]
	s_mov_b32 s5, 0
	.p2align	6
.LBB124_109:                            ; =>This Inner Loop Header: Depth=1
	s_clause 0x1
	buffer_load_dword v11, v7, s[0:3], 0 offen offset:4
	buffer_load_dword v12, v7, s[0:3], 0 offen
	ds_read_b64 v[9:10], v6
	v_add_nc_u32_e32 v5, 1, v5
	v_add_nc_u32_e32 v6, 8, v6
	;; [unrolled: 1-line block ×3, first 2 shown]
	v_cmp_lt_u32_e32 vcc_lo, 22, v5
	s_or_b32 s5, vcc_lo, s5
	s_waitcnt vmcnt(1) lgkmcnt(0)
	v_mul_f32_e32 v135, v10, v11
	v_mul_f32_e32 v11, v9, v11
	s_waitcnt vmcnt(0)
	v_fma_f32 v9, v9, v12, -v135
	v_fmac_f32_e32 v11, v10, v12
	v_add_f32_e32 v8, v8, v9
	v_add_f32_e32 v2, v2, v11
	s_andn2_b32 exec_lo, exec_lo, s5
	s_cbranch_execnz .LBB124_109
; %bb.110:
	s_or_b32 exec_lo, exec_lo, s5
	v_mov_b32_e32 v5, 0
	ds_read_b64 v[5:6], v5 offset:192
	s_waitcnt lgkmcnt(0)
	v_mul_f32_e32 v7, v2, v6
	v_mul_f32_e32 v6, v8, v6
	v_fma_f32 v7, v8, v5, -v7
	v_fmac_f32_e32 v6, v2, v5
	buffer_store_dword v7, off, s[0:3], 0 offset:192
	buffer_store_dword v6, off, s[0:3], 0 offset:196
.LBB124_111:
	s_or_b32 exec_lo, exec_lo, s4
	s_waitcnt_vscnt null, 0x0
	s_barrier
	buffer_gl0_inv
	s_clause 0x1
	buffer_load_dword v5, off, s[0:3], 0 offset:200
	buffer_load_dword v6, off, s[0:3], 0 offset:204
	s_mov_b32 s4, exec_lo
	s_waitcnt vmcnt(0)
	ds_write_b64 v4, v[5:6]
	s_waitcnt lgkmcnt(0)
	s_barrier
	buffer_gl0_inv
	v_cmpx_gt_u32_e32 25, v0
	s_cbranch_execz .LBB124_115
; %bb.112:
	v_add_nc_u32_e32 v5, -1, v0
	v_add_nc_u32_e32 v6, 0x1f0, v3
	v_mov_b32_e32 v7, v3
	v_mov_b32_e32 v2, 0
	;; [unrolled: 1-line block ×3, first 2 shown]
	s_mov_b32 s5, 0
	.p2align	6
.LBB124_113:                            ; =>This Inner Loop Header: Depth=1
	s_clause 0x1
	buffer_load_dword v11, v7, s[0:3], 0 offen offset:4
	buffer_load_dword v12, v7, s[0:3], 0 offen
	ds_read_b64 v[9:10], v6
	v_add_nc_u32_e32 v5, 1, v5
	v_add_nc_u32_e32 v6, 8, v6
	;; [unrolled: 1-line block ×3, first 2 shown]
	v_cmp_lt_u32_e32 vcc_lo, 23, v5
	s_or_b32 s5, vcc_lo, s5
	s_waitcnt vmcnt(1) lgkmcnt(0)
	v_mul_f32_e32 v135, v10, v11
	v_mul_f32_e32 v11, v9, v11
	s_waitcnt vmcnt(0)
	v_fma_f32 v9, v9, v12, -v135
	v_fmac_f32_e32 v11, v10, v12
	v_add_f32_e32 v8, v8, v9
	v_add_f32_e32 v2, v2, v11
	s_andn2_b32 exec_lo, exec_lo, s5
	s_cbranch_execnz .LBB124_113
; %bb.114:
	s_or_b32 exec_lo, exec_lo, s5
	v_mov_b32_e32 v5, 0
	ds_read_b64 v[5:6], v5 offset:200
	s_waitcnt lgkmcnt(0)
	v_mul_f32_e32 v7, v2, v6
	v_mul_f32_e32 v6, v8, v6
	v_fma_f32 v7, v8, v5, -v7
	v_fmac_f32_e32 v6, v2, v5
	buffer_store_dword v7, off, s[0:3], 0 offset:200
	buffer_store_dword v6, off, s[0:3], 0 offset:204
.LBB124_115:
	s_or_b32 exec_lo, exec_lo, s4
	s_waitcnt_vscnt null, 0x0
	s_barrier
	buffer_gl0_inv
	s_clause 0x1
	buffer_load_dword v5, off, s[0:3], 0 offset:208
	buffer_load_dword v6, off, s[0:3], 0 offset:212
	s_mov_b32 s4, exec_lo
	s_waitcnt vmcnt(0)
	ds_write_b64 v4, v[5:6]
	s_waitcnt lgkmcnt(0)
	s_barrier
	buffer_gl0_inv
	v_cmpx_gt_u32_e32 26, v0
	s_cbranch_execz .LBB124_119
; %bb.116:
	v_add_nc_u32_e32 v5, -1, v0
	v_add_nc_u32_e32 v6, 0x1f0, v3
	v_mov_b32_e32 v7, v3
	v_mov_b32_e32 v2, 0
	v_mov_b32_e32 v8, 0
	s_mov_b32 s5, 0
	.p2align	6
.LBB124_117:                            ; =>This Inner Loop Header: Depth=1
	s_clause 0x1
	buffer_load_dword v11, v7, s[0:3], 0 offen offset:4
	buffer_load_dword v12, v7, s[0:3], 0 offen
	ds_read_b64 v[9:10], v6
	v_add_nc_u32_e32 v5, 1, v5
	v_add_nc_u32_e32 v6, 8, v6
	;; [unrolled: 1-line block ×3, first 2 shown]
	v_cmp_lt_u32_e32 vcc_lo, 24, v5
	s_or_b32 s5, vcc_lo, s5
	s_waitcnt vmcnt(1) lgkmcnt(0)
	v_mul_f32_e32 v135, v10, v11
	v_mul_f32_e32 v11, v9, v11
	s_waitcnt vmcnt(0)
	v_fma_f32 v9, v9, v12, -v135
	v_fmac_f32_e32 v11, v10, v12
	v_add_f32_e32 v8, v8, v9
	v_add_f32_e32 v2, v2, v11
	s_andn2_b32 exec_lo, exec_lo, s5
	s_cbranch_execnz .LBB124_117
; %bb.118:
	s_or_b32 exec_lo, exec_lo, s5
	v_mov_b32_e32 v5, 0
	ds_read_b64 v[5:6], v5 offset:208
	s_waitcnt lgkmcnt(0)
	v_mul_f32_e32 v7, v2, v6
	v_mul_f32_e32 v6, v8, v6
	v_fma_f32 v7, v8, v5, -v7
	v_fmac_f32_e32 v6, v2, v5
	buffer_store_dword v7, off, s[0:3], 0 offset:208
	buffer_store_dword v6, off, s[0:3], 0 offset:212
.LBB124_119:
	s_or_b32 exec_lo, exec_lo, s4
	s_waitcnt_vscnt null, 0x0
	s_barrier
	buffer_gl0_inv
	s_clause 0x1
	buffer_load_dword v5, off, s[0:3], 0 offset:216
	buffer_load_dword v6, off, s[0:3], 0 offset:220
	s_mov_b32 s4, exec_lo
	s_waitcnt vmcnt(0)
	ds_write_b64 v4, v[5:6]
	s_waitcnt lgkmcnt(0)
	s_barrier
	buffer_gl0_inv
	v_cmpx_gt_u32_e32 27, v0
	s_cbranch_execz .LBB124_123
; %bb.120:
	v_add_nc_u32_e32 v5, -1, v0
	v_add_nc_u32_e32 v6, 0x1f0, v3
	v_mov_b32_e32 v7, v3
	v_mov_b32_e32 v2, 0
	;; [unrolled: 1-line block ×3, first 2 shown]
	s_mov_b32 s5, 0
	.p2align	6
.LBB124_121:                            ; =>This Inner Loop Header: Depth=1
	s_clause 0x1
	buffer_load_dword v11, v7, s[0:3], 0 offen offset:4
	buffer_load_dword v12, v7, s[0:3], 0 offen
	ds_read_b64 v[9:10], v6
	v_add_nc_u32_e32 v5, 1, v5
	v_add_nc_u32_e32 v6, 8, v6
	;; [unrolled: 1-line block ×3, first 2 shown]
	v_cmp_lt_u32_e32 vcc_lo, 25, v5
	s_or_b32 s5, vcc_lo, s5
	s_waitcnt vmcnt(1) lgkmcnt(0)
	v_mul_f32_e32 v135, v10, v11
	v_mul_f32_e32 v11, v9, v11
	s_waitcnt vmcnt(0)
	v_fma_f32 v9, v9, v12, -v135
	v_fmac_f32_e32 v11, v10, v12
	v_add_f32_e32 v8, v8, v9
	v_add_f32_e32 v2, v2, v11
	s_andn2_b32 exec_lo, exec_lo, s5
	s_cbranch_execnz .LBB124_121
; %bb.122:
	s_or_b32 exec_lo, exec_lo, s5
	v_mov_b32_e32 v5, 0
	ds_read_b64 v[5:6], v5 offset:216
	s_waitcnt lgkmcnt(0)
	v_mul_f32_e32 v7, v2, v6
	v_mul_f32_e32 v6, v8, v6
	v_fma_f32 v7, v8, v5, -v7
	v_fmac_f32_e32 v6, v2, v5
	buffer_store_dword v7, off, s[0:3], 0 offset:216
	buffer_store_dword v6, off, s[0:3], 0 offset:220
.LBB124_123:
	s_or_b32 exec_lo, exec_lo, s4
	s_waitcnt_vscnt null, 0x0
	s_barrier
	buffer_gl0_inv
	s_clause 0x1
	buffer_load_dword v5, off, s[0:3], 0 offset:224
	buffer_load_dword v6, off, s[0:3], 0 offset:228
	s_mov_b32 s4, exec_lo
	s_waitcnt vmcnt(0)
	ds_write_b64 v4, v[5:6]
	s_waitcnt lgkmcnt(0)
	s_barrier
	buffer_gl0_inv
	v_cmpx_gt_u32_e32 28, v0
	s_cbranch_execz .LBB124_127
; %bb.124:
	v_add_nc_u32_e32 v5, -1, v0
	v_add_nc_u32_e32 v6, 0x1f0, v3
	v_mov_b32_e32 v7, v3
	v_mov_b32_e32 v2, 0
	;; [unrolled: 1-line block ×3, first 2 shown]
	s_mov_b32 s5, 0
	.p2align	6
.LBB124_125:                            ; =>This Inner Loop Header: Depth=1
	s_clause 0x1
	buffer_load_dword v11, v7, s[0:3], 0 offen offset:4
	buffer_load_dword v12, v7, s[0:3], 0 offen
	ds_read_b64 v[9:10], v6
	v_add_nc_u32_e32 v5, 1, v5
	v_add_nc_u32_e32 v6, 8, v6
	;; [unrolled: 1-line block ×3, first 2 shown]
	v_cmp_lt_u32_e32 vcc_lo, 26, v5
	s_or_b32 s5, vcc_lo, s5
	s_waitcnt vmcnt(1) lgkmcnt(0)
	v_mul_f32_e32 v135, v10, v11
	v_mul_f32_e32 v11, v9, v11
	s_waitcnt vmcnt(0)
	v_fma_f32 v9, v9, v12, -v135
	v_fmac_f32_e32 v11, v10, v12
	v_add_f32_e32 v8, v8, v9
	v_add_f32_e32 v2, v2, v11
	s_andn2_b32 exec_lo, exec_lo, s5
	s_cbranch_execnz .LBB124_125
; %bb.126:
	s_or_b32 exec_lo, exec_lo, s5
	v_mov_b32_e32 v5, 0
	ds_read_b64 v[5:6], v5 offset:224
	s_waitcnt lgkmcnt(0)
	v_mul_f32_e32 v7, v2, v6
	v_mul_f32_e32 v6, v8, v6
	v_fma_f32 v7, v8, v5, -v7
	v_fmac_f32_e32 v6, v2, v5
	buffer_store_dword v7, off, s[0:3], 0 offset:224
	buffer_store_dword v6, off, s[0:3], 0 offset:228
.LBB124_127:
	s_or_b32 exec_lo, exec_lo, s4
	s_waitcnt_vscnt null, 0x0
	s_barrier
	buffer_gl0_inv
	s_clause 0x1
	buffer_load_dword v5, off, s[0:3], 0 offset:232
	buffer_load_dword v6, off, s[0:3], 0 offset:236
	s_mov_b32 s4, exec_lo
	s_waitcnt vmcnt(0)
	ds_write_b64 v4, v[5:6]
	s_waitcnt lgkmcnt(0)
	s_barrier
	buffer_gl0_inv
	v_cmpx_gt_u32_e32 29, v0
	s_cbranch_execz .LBB124_131
; %bb.128:
	v_add_nc_u32_e32 v5, -1, v0
	v_add_nc_u32_e32 v6, 0x1f0, v3
	v_mov_b32_e32 v7, v3
	v_mov_b32_e32 v2, 0
	;; [unrolled: 1-line block ×3, first 2 shown]
	s_mov_b32 s5, 0
	.p2align	6
.LBB124_129:                            ; =>This Inner Loop Header: Depth=1
	s_clause 0x1
	buffer_load_dword v11, v7, s[0:3], 0 offen offset:4
	buffer_load_dword v12, v7, s[0:3], 0 offen
	ds_read_b64 v[9:10], v6
	v_add_nc_u32_e32 v5, 1, v5
	v_add_nc_u32_e32 v6, 8, v6
	;; [unrolled: 1-line block ×3, first 2 shown]
	v_cmp_lt_u32_e32 vcc_lo, 27, v5
	s_or_b32 s5, vcc_lo, s5
	s_waitcnt vmcnt(1) lgkmcnt(0)
	v_mul_f32_e32 v135, v10, v11
	v_mul_f32_e32 v11, v9, v11
	s_waitcnt vmcnt(0)
	v_fma_f32 v9, v9, v12, -v135
	v_fmac_f32_e32 v11, v10, v12
	v_add_f32_e32 v8, v8, v9
	v_add_f32_e32 v2, v2, v11
	s_andn2_b32 exec_lo, exec_lo, s5
	s_cbranch_execnz .LBB124_129
; %bb.130:
	s_or_b32 exec_lo, exec_lo, s5
	v_mov_b32_e32 v5, 0
	ds_read_b64 v[5:6], v5 offset:232
	s_waitcnt lgkmcnt(0)
	v_mul_f32_e32 v7, v2, v6
	v_mul_f32_e32 v6, v8, v6
	v_fma_f32 v7, v8, v5, -v7
	v_fmac_f32_e32 v6, v2, v5
	buffer_store_dword v7, off, s[0:3], 0 offset:232
	buffer_store_dword v6, off, s[0:3], 0 offset:236
.LBB124_131:
	s_or_b32 exec_lo, exec_lo, s4
	s_waitcnt_vscnt null, 0x0
	s_barrier
	buffer_gl0_inv
	s_clause 0x1
	buffer_load_dword v5, off, s[0:3], 0 offset:240
	buffer_load_dword v6, off, s[0:3], 0 offset:244
	s_mov_b32 s4, exec_lo
	s_waitcnt vmcnt(0)
	ds_write_b64 v4, v[5:6]
	s_waitcnt lgkmcnt(0)
	s_barrier
	buffer_gl0_inv
	v_cmpx_gt_u32_e32 30, v0
	s_cbranch_execz .LBB124_135
; %bb.132:
	v_add_nc_u32_e32 v5, -1, v0
	v_add_nc_u32_e32 v6, 0x1f0, v3
	v_mov_b32_e32 v7, v3
	v_mov_b32_e32 v2, 0
	;; [unrolled: 1-line block ×3, first 2 shown]
	s_mov_b32 s5, 0
	.p2align	6
.LBB124_133:                            ; =>This Inner Loop Header: Depth=1
	s_clause 0x1
	buffer_load_dword v11, v7, s[0:3], 0 offen offset:4
	buffer_load_dword v12, v7, s[0:3], 0 offen
	ds_read_b64 v[9:10], v6
	v_add_nc_u32_e32 v5, 1, v5
	v_add_nc_u32_e32 v6, 8, v6
	;; [unrolled: 1-line block ×3, first 2 shown]
	v_cmp_lt_u32_e32 vcc_lo, 28, v5
	s_or_b32 s5, vcc_lo, s5
	s_waitcnt vmcnt(1) lgkmcnt(0)
	v_mul_f32_e32 v135, v10, v11
	v_mul_f32_e32 v11, v9, v11
	s_waitcnt vmcnt(0)
	v_fma_f32 v9, v9, v12, -v135
	v_fmac_f32_e32 v11, v10, v12
	v_add_f32_e32 v8, v8, v9
	v_add_f32_e32 v2, v2, v11
	s_andn2_b32 exec_lo, exec_lo, s5
	s_cbranch_execnz .LBB124_133
; %bb.134:
	s_or_b32 exec_lo, exec_lo, s5
	v_mov_b32_e32 v5, 0
	ds_read_b64 v[5:6], v5 offset:240
	s_waitcnt lgkmcnt(0)
	v_mul_f32_e32 v7, v2, v6
	v_mul_f32_e32 v6, v8, v6
	v_fma_f32 v7, v8, v5, -v7
	v_fmac_f32_e32 v6, v2, v5
	buffer_store_dword v7, off, s[0:3], 0 offset:240
	buffer_store_dword v6, off, s[0:3], 0 offset:244
.LBB124_135:
	s_or_b32 exec_lo, exec_lo, s4
	s_waitcnt_vscnt null, 0x0
	s_barrier
	buffer_gl0_inv
	s_clause 0x1
	buffer_load_dword v5, off, s[0:3], 0 offset:248
	buffer_load_dword v6, off, s[0:3], 0 offset:252
	s_mov_b32 s4, exec_lo
	s_waitcnt vmcnt(0)
	ds_write_b64 v4, v[5:6]
	s_waitcnt lgkmcnt(0)
	s_barrier
	buffer_gl0_inv
	v_cmpx_gt_u32_e32 31, v0
	s_cbranch_execz .LBB124_139
; %bb.136:
	v_add_nc_u32_e32 v5, -1, v0
	v_add_nc_u32_e32 v6, 0x1f0, v3
	v_mov_b32_e32 v7, v3
	v_mov_b32_e32 v2, 0
	;; [unrolled: 1-line block ×3, first 2 shown]
	s_mov_b32 s5, 0
	.p2align	6
.LBB124_137:                            ; =>This Inner Loop Header: Depth=1
	s_clause 0x1
	buffer_load_dword v11, v7, s[0:3], 0 offen offset:4
	buffer_load_dword v12, v7, s[0:3], 0 offen
	ds_read_b64 v[9:10], v6
	v_add_nc_u32_e32 v5, 1, v5
	v_add_nc_u32_e32 v6, 8, v6
	;; [unrolled: 1-line block ×3, first 2 shown]
	v_cmp_lt_u32_e32 vcc_lo, 29, v5
	s_or_b32 s5, vcc_lo, s5
	s_waitcnt vmcnt(1) lgkmcnt(0)
	v_mul_f32_e32 v135, v10, v11
	v_mul_f32_e32 v11, v9, v11
	s_waitcnt vmcnt(0)
	v_fma_f32 v9, v9, v12, -v135
	v_fmac_f32_e32 v11, v10, v12
	v_add_f32_e32 v8, v8, v9
	v_add_f32_e32 v2, v2, v11
	s_andn2_b32 exec_lo, exec_lo, s5
	s_cbranch_execnz .LBB124_137
; %bb.138:
	s_or_b32 exec_lo, exec_lo, s5
	v_mov_b32_e32 v5, 0
	ds_read_b64 v[5:6], v5 offset:248
	s_waitcnt lgkmcnt(0)
	v_mul_f32_e32 v7, v2, v6
	v_mul_f32_e32 v6, v8, v6
	v_fma_f32 v7, v8, v5, -v7
	v_fmac_f32_e32 v6, v2, v5
	buffer_store_dword v7, off, s[0:3], 0 offset:248
	buffer_store_dword v6, off, s[0:3], 0 offset:252
.LBB124_139:
	s_or_b32 exec_lo, exec_lo, s4
	s_waitcnt_vscnt null, 0x0
	s_barrier
	buffer_gl0_inv
	s_clause 0x1
	buffer_load_dword v5, off, s[0:3], 0 offset:256
	buffer_load_dword v6, off, s[0:3], 0 offset:260
	s_mov_b32 s4, exec_lo
	s_waitcnt vmcnt(0)
	ds_write_b64 v4, v[5:6]
	s_waitcnt lgkmcnt(0)
	s_barrier
	buffer_gl0_inv
	v_cmpx_gt_u32_e32 32, v0
	s_cbranch_execz .LBB124_143
; %bb.140:
	v_add_nc_u32_e32 v5, -1, v0
	v_add_nc_u32_e32 v6, 0x1f0, v3
	v_mov_b32_e32 v7, v3
	v_mov_b32_e32 v2, 0
	;; [unrolled: 1-line block ×3, first 2 shown]
	s_mov_b32 s5, 0
	.p2align	6
.LBB124_141:                            ; =>This Inner Loop Header: Depth=1
	s_clause 0x1
	buffer_load_dword v11, v7, s[0:3], 0 offen offset:4
	buffer_load_dword v12, v7, s[0:3], 0 offen
	ds_read_b64 v[9:10], v6
	v_add_nc_u32_e32 v5, 1, v5
	v_add_nc_u32_e32 v6, 8, v6
	;; [unrolled: 1-line block ×3, first 2 shown]
	v_cmp_lt_u32_e32 vcc_lo, 30, v5
	s_or_b32 s5, vcc_lo, s5
	s_waitcnt vmcnt(1) lgkmcnt(0)
	v_mul_f32_e32 v135, v10, v11
	v_mul_f32_e32 v11, v9, v11
	s_waitcnt vmcnt(0)
	v_fma_f32 v9, v9, v12, -v135
	v_fmac_f32_e32 v11, v10, v12
	v_add_f32_e32 v8, v8, v9
	v_add_f32_e32 v2, v2, v11
	s_andn2_b32 exec_lo, exec_lo, s5
	s_cbranch_execnz .LBB124_141
; %bb.142:
	s_or_b32 exec_lo, exec_lo, s5
	v_mov_b32_e32 v5, 0
	ds_read_b64 v[5:6], v5 offset:256
	s_waitcnt lgkmcnt(0)
	v_mul_f32_e32 v7, v2, v6
	v_mul_f32_e32 v6, v8, v6
	v_fma_f32 v7, v8, v5, -v7
	v_fmac_f32_e32 v6, v2, v5
	buffer_store_dword v7, off, s[0:3], 0 offset:256
	buffer_store_dword v6, off, s[0:3], 0 offset:260
.LBB124_143:
	s_or_b32 exec_lo, exec_lo, s4
	s_waitcnt_vscnt null, 0x0
	s_barrier
	buffer_gl0_inv
	s_clause 0x1
	buffer_load_dword v5, off, s[0:3], 0 offset:264
	buffer_load_dword v6, off, s[0:3], 0 offset:268
	s_mov_b32 s4, exec_lo
	s_waitcnt vmcnt(0)
	ds_write_b64 v4, v[5:6]
	s_waitcnt lgkmcnt(0)
	s_barrier
	buffer_gl0_inv
	v_cmpx_gt_u32_e32 33, v0
	s_cbranch_execz .LBB124_147
; %bb.144:
	v_add_nc_u32_e32 v5, -1, v0
	v_add_nc_u32_e32 v6, 0x1f0, v3
	v_mov_b32_e32 v7, v3
	v_mov_b32_e32 v2, 0
	;; [unrolled: 1-line block ×3, first 2 shown]
	s_mov_b32 s5, 0
	.p2align	6
.LBB124_145:                            ; =>This Inner Loop Header: Depth=1
	s_clause 0x1
	buffer_load_dword v11, v7, s[0:3], 0 offen offset:4
	buffer_load_dword v12, v7, s[0:3], 0 offen
	ds_read_b64 v[9:10], v6
	v_add_nc_u32_e32 v5, 1, v5
	v_add_nc_u32_e32 v6, 8, v6
	;; [unrolled: 1-line block ×3, first 2 shown]
	v_cmp_lt_u32_e32 vcc_lo, 31, v5
	s_or_b32 s5, vcc_lo, s5
	s_waitcnt vmcnt(1) lgkmcnt(0)
	v_mul_f32_e32 v135, v10, v11
	v_mul_f32_e32 v11, v9, v11
	s_waitcnt vmcnt(0)
	v_fma_f32 v9, v9, v12, -v135
	v_fmac_f32_e32 v11, v10, v12
	v_add_f32_e32 v8, v8, v9
	v_add_f32_e32 v2, v2, v11
	s_andn2_b32 exec_lo, exec_lo, s5
	s_cbranch_execnz .LBB124_145
; %bb.146:
	s_or_b32 exec_lo, exec_lo, s5
	v_mov_b32_e32 v5, 0
	ds_read_b64 v[5:6], v5 offset:264
	s_waitcnt lgkmcnt(0)
	v_mul_f32_e32 v7, v2, v6
	v_mul_f32_e32 v6, v8, v6
	v_fma_f32 v7, v8, v5, -v7
	v_fmac_f32_e32 v6, v2, v5
	buffer_store_dword v7, off, s[0:3], 0 offset:264
	buffer_store_dword v6, off, s[0:3], 0 offset:268
.LBB124_147:
	s_or_b32 exec_lo, exec_lo, s4
	s_waitcnt_vscnt null, 0x0
	s_barrier
	buffer_gl0_inv
	s_clause 0x1
	buffer_load_dword v5, off, s[0:3], 0 offset:272
	buffer_load_dword v6, off, s[0:3], 0 offset:276
	s_mov_b32 s4, exec_lo
	s_waitcnt vmcnt(0)
	ds_write_b64 v4, v[5:6]
	s_waitcnt lgkmcnt(0)
	s_barrier
	buffer_gl0_inv
	v_cmpx_gt_u32_e32 34, v0
	s_cbranch_execz .LBB124_151
; %bb.148:
	v_add_nc_u32_e32 v5, -1, v0
	v_add_nc_u32_e32 v6, 0x1f0, v3
	v_mov_b32_e32 v7, v3
	v_mov_b32_e32 v2, 0
	;; [unrolled: 1-line block ×3, first 2 shown]
	s_mov_b32 s5, 0
	.p2align	6
.LBB124_149:                            ; =>This Inner Loop Header: Depth=1
	s_clause 0x1
	buffer_load_dword v11, v7, s[0:3], 0 offen offset:4
	buffer_load_dword v12, v7, s[0:3], 0 offen
	ds_read_b64 v[9:10], v6
	v_add_nc_u32_e32 v5, 1, v5
	v_add_nc_u32_e32 v6, 8, v6
	;; [unrolled: 1-line block ×3, first 2 shown]
	v_cmp_lt_u32_e32 vcc_lo, 32, v5
	s_or_b32 s5, vcc_lo, s5
	s_waitcnt vmcnt(1) lgkmcnt(0)
	v_mul_f32_e32 v135, v10, v11
	v_mul_f32_e32 v11, v9, v11
	s_waitcnt vmcnt(0)
	v_fma_f32 v9, v9, v12, -v135
	v_fmac_f32_e32 v11, v10, v12
	v_add_f32_e32 v8, v8, v9
	v_add_f32_e32 v2, v2, v11
	s_andn2_b32 exec_lo, exec_lo, s5
	s_cbranch_execnz .LBB124_149
; %bb.150:
	s_or_b32 exec_lo, exec_lo, s5
	v_mov_b32_e32 v5, 0
	ds_read_b64 v[5:6], v5 offset:272
	s_waitcnt lgkmcnt(0)
	v_mul_f32_e32 v7, v2, v6
	v_mul_f32_e32 v6, v8, v6
	v_fma_f32 v7, v8, v5, -v7
	v_fmac_f32_e32 v6, v2, v5
	buffer_store_dword v7, off, s[0:3], 0 offset:272
	buffer_store_dword v6, off, s[0:3], 0 offset:276
.LBB124_151:
	s_or_b32 exec_lo, exec_lo, s4
	s_waitcnt_vscnt null, 0x0
	s_barrier
	buffer_gl0_inv
	s_clause 0x1
	buffer_load_dword v5, off, s[0:3], 0 offset:280
	buffer_load_dword v6, off, s[0:3], 0 offset:284
	s_mov_b32 s4, exec_lo
	s_waitcnt vmcnt(0)
	ds_write_b64 v4, v[5:6]
	s_waitcnt lgkmcnt(0)
	s_barrier
	buffer_gl0_inv
	v_cmpx_gt_u32_e32 35, v0
	s_cbranch_execz .LBB124_155
; %bb.152:
	v_add_nc_u32_e32 v5, -1, v0
	v_add_nc_u32_e32 v6, 0x1f0, v3
	v_mov_b32_e32 v7, v3
	v_mov_b32_e32 v2, 0
	;; [unrolled: 1-line block ×3, first 2 shown]
	s_mov_b32 s5, 0
	.p2align	6
.LBB124_153:                            ; =>This Inner Loop Header: Depth=1
	s_clause 0x1
	buffer_load_dword v11, v7, s[0:3], 0 offen offset:4
	buffer_load_dword v12, v7, s[0:3], 0 offen
	ds_read_b64 v[9:10], v6
	v_add_nc_u32_e32 v5, 1, v5
	v_add_nc_u32_e32 v6, 8, v6
	;; [unrolled: 1-line block ×3, first 2 shown]
	v_cmp_lt_u32_e32 vcc_lo, 33, v5
	s_or_b32 s5, vcc_lo, s5
	s_waitcnt vmcnt(1) lgkmcnt(0)
	v_mul_f32_e32 v135, v10, v11
	v_mul_f32_e32 v11, v9, v11
	s_waitcnt vmcnt(0)
	v_fma_f32 v9, v9, v12, -v135
	v_fmac_f32_e32 v11, v10, v12
	v_add_f32_e32 v8, v8, v9
	v_add_f32_e32 v2, v2, v11
	s_andn2_b32 exec_lo, exec_lo, s5
	s_cbranch_execnz .LBB124_153
; %bb.154:
	s_or_b32 exec_lo, exec_lo, s5
	v_mov_b32_e32 v5, 0
	ds_read_b64 v[5:6], v5 offset:280
	s_waitcnt lgkmcnt(0)
	v_mul_f32_e32 v7, v2, v6
	v_mul_f32_e32 v6, v8, v6
	v_fma_f32 v7, v8, v5, -v7
	v_fmac_f32_e32 v6, v2, v5
	buffer_store_dword v7, off, s[0:3], 0 offset:280
	buffer_store_dword v6, off, s[0:3], 0 offset:284
.LBB124_155:
	s_or_b32 exec_lo, exec_lo, s4
	s_waitcnt_vscnt null, 0x0
	s_barrier
	buffer_gl0_inv
	s_clause 0x1
	buffer_load_dword v5, off, s[0:3], 0 offset:288
	buffer_load_dword v6, off, s[0:3], 0 offset:292
	s_mov_b32 s4, exec_lo
	s_waitcnt vmcnt(0)
	ds_write_b64 v4, v[5:6]
	s_waitcnt lgkmcnt(0)
	s_barrier
	buffer_gl0_inv
	v_cmpx_gt_u32_e32 36, v0
	s_cbranch_execz .LBB124_159
; %bb.156:
	v_add_nc_u32_e32 v5, -1, v0
	v_add_nc_u32_e32 v6, 0x1f0, v3
	v_mov_b32_e32 v7, v3
	v_mov_b32_e32 v2, 0
	;; [unrolled: 1-line block ×3, first 2 shown]
	s_mov_b32 s5, 0
	.p2align	6
.LBB124_157:                            ; =>This Inner Loop Header: Depth=1
	s_clause 0x1
	buffer_load_dword v11, v7, s[0:3], 0 offen offset:4
	buffer_load_dword v12, v7, s[0:3], 0 offen
	ds_read_b64 v[9:10], v6
	v_add_nc_u32_e32 v5, 1, v5
	v_add_nc_u32_e32 v6, 8, v6
	v_add_nc_u32_e32 v7, 8, v7
	v_cmp_lt_u32_e32 vcc_lo, 34, v5
	s_or_b32 s5, vcc_lo, s5
	s_waitcnt vmcnt(1) lgkmcnt(0)
	v_mul_f32_e32 v135, v10, v11
	v_mul_f32_e32 v11, v9, v11
	s_waitcnt vmcnt(0)
	v_fma_f32 v9, v9, v12, -v135
	v_fmac_f32_e32 v11, v10, v12
	v_add_f32_e32 v8, v8, v9
	v_add_f32_e32 v2, v2, v11
	s_andn2_b32 exec_lo, exec_lo, s5
	s_cbranch_execnz .LBB124_157
; %bb.158:
	s_or_b32 exec_lo, exec_lo, s5
	v_mov_b32_e32 v5, 0
	ds_read_b64 v[5:6], v5 offset:288
	s_waitcnt lgkmcnt(0)
	v_mul_f32_e32 v7, v2, v6
	v_mul_f32_e32 v6, v8, v6
	v_fma_f32 v7, v8, v5, -v7
	v_fmac_f32_e32 v6, v2, v5
	buffer_store_dword v7, off, s[0:3], 0 offset:288
	buffer_store_dword v6, off, s[0:3], 0 offset:292
.LBB124_159:
	s_or_b32 exec_lo, exec_lo, s4
	s_waitcnt_vscnt null, 0x0
	s_barrier
	buffer_gl0_inv
	s_clause 0x1
	buffer_load_dword v5, off, s[0:3], 0 offset:296
	buffer_load_dword v6, off, s[0:3], 0 offset:300
	s_mov_b32 s4, exec_lo
	s_waitcnt vmcnt(0)
	ds_write_b64 v4, v[5:6]
	s_waitcnt lgkmcnt(0)
	s_barrier
	buffer_gl0_inv
	v_cmpx_gt_u32_e32 37, v0
	s_cbranch_execz .LBB124_163
; %bb.160:
	v_add_nc_u32_e32 v5, -1, v0
	v_add_nc_u32_e32 v6, 0x1f0, v3
	v_mov_b32_e32 v7, v3
	v_mov_b32_e32 v2, 0
	;; [unrolled: 1-line block ×3, first 2 shown]
	s_mov_b32 s5, 0
	.p2align	6
.LBB124_161:                            ; =>This Inner Loop Header: Depth=1
	s_clause 0x1
	buffer_load_dword v11, v7, s[0:3], 0 offen offset:4
	buffer_load_dword v12, v7, s[0:3], 0 offen
	ds_read_b64 v[9:10], v6
	v_add_nc_u32_e32 v5, 1, v5
	v_add_nc_u32_e32 v6, 8, v6
	;; [unrolled: 1-line block ×3, first 2 shown]
	v_cmp_lt_u32_e32 vcc_lo, 35, v5
	s_or_b32 s5, vcc_lo, s5
	s_waitcnt vmcnt(1) lgkmcnt(0)
	v_mul_f32_e32 v135, v10, v11
	v_mul_f32_e32 v11, v9, v11
	s_waitcnt vmcnt(0)
	v_fma_f32 v9, v9, v12, -v135
	v_fmac_f32_e32 v11, v10, v12
	v_add_f32_e32 v8, v8, v9
	v_add_f32_e32 v2, v2, v11
	s_andn2_b32 exec_lo, exec_lo, s5
	s_cbranch_execnz .LBB124_161
; %bb.162:
	s_or_b32 exec_lo, exec_lo, s5
	v_mov_b32_e32 v5, 0
	ds_read_b64 v[5:6], v5 offset:296
	s_waitcnt lgkmcnt(0)
	v_mul_f32_e32 v7, v2, v6
	v_mul_f32_e32 v6, v8, v6
	v_fma_f32 v7, v8, v5, -v7
	v_fmac_f32_e32 v6, v2, v5
	buffer_store_dword v7, off, s[0:3], 0 offset:296
	buffer_store_dword v6, off, s[0:3], 0 offset:300
.LBB124_163:
	s_or_b32 exec_lo, exec_lo, s4
	s_waitcnt_vscnt null, 0x0
	s_barrier
	buffer_gl0_inv
	s_clause 0x1
	buffer_load_dword v5, off, s[0:3], 0 offset:304
	buffer_load_dword v6, off, s[0:3], 0 offset:308
	s_mov_b32 s4, exec_lo
	s_waitcnt vmcnt(0)
	ds_write_b64 v4, v[5:6]
	s_waitcnt lgkmcnt(0)
	s_barrier
	buffer_gl0_inv
	v_cmpx_gt_u32_e32 38, v0
	s_cbranch_execz .LBB124_167
; %bb.164:
	v_add_nc_u32_e32 v5, -1, v0
	v_add_nc_u32_e32 v6, 0x1f0, v3
	v_mov_b32_e32 v7, v3
	v_mov_b32_e32 v2, 0
	;; [unrolled: 1-line block ×3, first 2 shown]
	s_mov_b32 s5, 0
	.p2align	6
.LBB124_165:                            ; =>This Inner Loop Header: Depth=1
	s_clause 0x1
	buffer_load_dword v11, v7, s[0:3], 0 offen offset:4
	buffer_load_dword v12, v7, s[0:3], 0 offen
	ds_read_b64 v[9:10], v6
	v_add_nc_u32_e32 v5, 1, v5
	v_add_nc_u32_e32 v6, 8, v6
	;; [unrolled: 1-line block ×3, first 2 shown]
	v_cmp_lt_u32_e32 vcc_lo, 36, v5
	s_or_b32 s5, vcc_lo, s5
	s_waitcnt vmcnt(1) lgkmcnt(0)
	v_mul_f32_e32 v135, v10, v11
	v_mul_f32_e32 v11, v9, v11
	s_waitcnt vmcnt(0)
	v_fma_f32 v9, v9, v12, -v135
	v_fmac_f32_e32 v11, v10, v12
	v_add_f32_e32 v8, v8, v9
	v_add_f32_e32 v2, v2, v11
	s_andn2_b32 exec_lo, exec_lo, s5
	s_cbranch_execnz .LBB124_165
; %bb.166:
	s_or_b32 exec_lo, exec_lo, s5
	v_mov_b32_e32 v5, 0
	ds_read_b64 v[5:6], v5 offset:304
	s_waitcnt lgkmcnt(0)
	v_mul_f32_e32 v7, v2, v6
	v_mul_f32_e32 v6, v8, v6
	v_fma_f32 v7, v8, v5, -v7
	v_fmac_f32_e32 v6, v2, v5
	buffer_store_dword v7, off, s[0:3], 0 offset:304
	buffer_store_dword v6, off, s[0:3], 0 offset:308
.LBB124_167:
	s_or_b32 exec_lo, exec_lo, s4
	s_waitcnt_vscnt null, 0x0
	s_barrier
	buffer_gl0_inv
	s_clause 0x1
	buffer_load_dword v5, off, s[0:3], 0 offset:312
	buffer_load_dword v6, off, s[0:3], 0 offset:316
	s_mov_b32 s4, exec_lo
	s_waitcnt vmcnt(0)
	ds_write_b64 v4, v[5:6]
	s_waitcnt lgkmcnt(0)
	s_barrier
	buffer_gl0_inv
	v_cmpx_gt_u32_e32 39, v0
	s_cbranch_execz .LBB124_171
; %bb.168:
	v_add_nc_u32_e32 v5, -1, v0
	v_add_nc_u32_e32 v6, 0x1f0, v3
	v_mov_b32_e32 v7, v3
	v_mov_b32_e32 v2, 0
	;; [unrolled: 1-line block ×3, first 2 shown]
	s_mov_b32 s5, 0
	.p2align	6
.LBB124_169:                            ; =>This Inner Loop Header: Depth=1
	s_clause 0x1
	buffer_load_dword v11, v7, s[0:3], 0 offen offset:4
	buffer_load_dword v12, v7, s[0:3], 0 offen
	ds_read_b64 v[9:10], v6
	v_add_nc_u32_e32 v5, 1, v5
	v_add_nc_u32_e32 v6, 8, v6
	;; [unrolled: 1-line block ×3, first 2 shown]
	v_cmp_lt_u32_e32 vcc_lo, 37, v5
	s_or_b32 s5, vcc_lo, s5
	s_waitcnt vmcnt(1) lgkmcnt(0)
	v_mul_f32_e32 v135, v10, v11
	v_mul_f32_e32 v11, v9, v11
	s_waitcnt vmcnt(0)
	v_fma_f32 v9, v9, v12, -v135
	v_fmac_f32_e32 v11, v10, v12
	v_add_f32_e32 v8, v8, v9
	v_add_f32_e32 v2, v2, v11
	s_andn2_b32 exec_lo, exec_lo, s5
	s_cbranch_execnz .LBB124_169
; %bb.170:
	s_or_b32 exec_lo, exec_lo, s5
	v_mov_b32_e32 v5, 0
	ds_read_b64 v[5:6], v5 offset:312
	s_waitcnt lgkmcnt(0)
	v_mul_f32_e32 v7, v2, v6
	v_mul_f32_e32 v6, v8, v6
	v_fma_f32 v7, v8, v5, -v7
	v_fmac_f32_e32 v6, v2, v5
	buffer_store_dword v7, off, s[0:3], 0 offset:312
	buffer_store_dword v6, off, s[0:3], 0 offset:316
.LBB124_171:
	s_or_b32 exec_lo, exec_lo, s4
	s_waitcnt_vscnt null, 0x0
	s_barrier
	buffer_gl0_inv
	s_clause 0x1
	buffer_load_dword v5, off, s[0:3], 0 offset:320
	buffer_load_dword v6, off, s[0:3], 0 offset:324
	s_mov_b32 s4, exec_lo
	s_waitcnt vmcnt(0)
	ds_write_b64 v4, v[5:6]
	s_waitcnt lgkmcnt(0)
	s_barrier
	buffer_gl0_inv
	v_cmpx_gt_u32_e32 40, v0
	s_cbranch_execz .LBB124_175
; %bb.172:
	v_add_nc_u32_e32 v5, -1, v0
	v_add_nc_u32_e32 v6, 0x1f0, v3
	v_mov_b32_e32 v7, v3
	v_mov_b32_e32 v2, 0
	;; [unrolled: 1-line block ×3, first 2 shown]
	s_mov_b32 s5, 0
	.p2align	6
.LBB124_173:                            ; =>This Inner Loop Header: Depth=1
	s_clause 0x1
	buffer_load_dword v11, v7, s[0:3], 0 offen offset:4
	buffer_load_dword v12, v7, s[0:3], 0 offen
	ds_read_b64 v[9:10], v6
	v_add_nc_u32_e32 v5, 1, v5
	v_add_nc_u32_e32 v6, 8, v6
	;; [unrolled: 1-line block ×3, first 2 shown]
	v_cmp_lt_u32_e32 vcc_lo, 38, v5
	s_or_b32 s5, vcc_lo, s5
	s_waitcnt vmcnt(1) lgkmcnt(0)
	v_mul_f32_e32 v135, v10, v11
	v_mul_f32_e32 v11, v9, v11
	s_waitcnt vmcnt(0)
	v_fma_f32 v9, v9, v12, -v135
	v_fmac_f32_e32 v11, v10, v12
	v_add_f32_e32 v8, v8, v9
	v_add_f32_e32 v2, v2, v11
	s_andn2_b32 exec_lo, exec_lo, s5
	s_cbranch_execnz .LBB124_173
; %bb.174:
	s_or_b32 exec_lo, exec_lo, s5
	v_mov_b32_e32 v5, 0
	ds_read_b64 v[5:6], v5 offset:320
	s_waitcnt lgkmcnt(0)
	v_mul_f32_e32 v7, v2, v6
	v_mul_f32_e32 v6, v8, v6
	v_fma_f32 v7, v8, v5, -v7
	v_fmac_f32_e32 v6, v2, v5
	buffer_store_dword v7, off, s[0:3], 0 offset:320
	buffer_store_dword v6, off, s[0:3], 0 offset:324
.LBB124_175:
	s_or_b32 exec_lo, exec_lo, s4
	s_waitcnt_vscnt null, 0x0
	s_barrier
	buffer_gl0_inv
	s_clause 0x1
	buffer_load_dword v5, off, s[0:3], 0 offset:328
	buffer_load_dword v6, off, s[0:3], 0 offset:332
	s_mov_b32 s4, exec_lo
	s_waitcnt vmcnt(0)
	ds_write_b64 v4, v[5:6]
	s_waitcnt lgkmcnt(0)
	s_barrier
	buffer_gl0_inv
	v_cmpx_gt_u32_e32 41, v0
	s_cbranch_execz .LBB124_179
; %bb.176:
	v_add_nc_u32_e32 v5, -1, v0
	v_add_nc_u32_e32 v6, 0x1f0, v3
	v_mov_b32_e32 v7, v3
	v_mov_b32_e32 v2, 0
	;; [unrolled: 1-line block ×3, first 2 shown]
	s_mov_b32 s5, 0
	.p2align	6
.LBB124_177:                            ; =>This Inner Loop Header: Depth=1
	s_clause 0x1
	buffer_load_dword v11, v7, s[0:3], 0 offen offset:4
	buffer_load_dword v12, v7, s[0:3], 0 offen
	ds_read_b64 v[9:10], v6
	v_add_nc_u32_e32 v5, 1, v5
	v_add_nc_u32_e32 v6, 8, v6
	;; [unrolled: 1-line block ×3, first 2 shown]
	v_cmp_lt_u32_e32 vcc_lo, 39, v5
	s_or_b32 s5, vcc_lo, s5
	s_waitcnt vmcnt(1) lgkmcnt(0)
	v_mul_f32_e32 v135, v10, v11
	v_mul_f32_e32 v11, v9, v11
	s_waitcnt vmcnt(0)
	v_fma_f32 v9, v9, v12, -v135
	v_fmac_f32_e32 v11, v10, v12
	v_add_f32_e32 v8, v8, v9
	v_add_f32_e32 v2, v2, v11
	s_andn2_b32 exec_lo, exec_lo, s5
	s_cbranch_execnz .LBB124_177
; %bb.178:
	s_or_b32 exec_lo, exec_lo, s5
	v_mov_b32_e32 v5, 0
	ds_read_b64 v[5:6], v5 offset:328
	s_waitcnt lgkmcnt(0)
	v_mul_f32_e32 v7, v2, v6
	v_mul_f32_e32 v6, v8, v6
	v_fma_f32 v7, v8, v5, -v7
	v_fmac_f32_e32 v6, v2, v5
	buffer_store_dword v7, off, s[0:3], 0 offset:328
	buffer_store_dword v6, off, s[0:3], 0 offset:332
.LBB124_179:
	s_or_b32 exec_lo, exec_lo, s4
	s_waitcnt_vscnt null, 0x0
	s_barrier
	buffer_gl0_inv
	s_clause 0x1
	buffer_load_dword v5, off, s[0:3], 0 offset:336
	buffer_load_dword v6, off, s[0:3], 0 offset:340
	s_mov_b32 s4, exec_lo
	s_waitcnt vmcnt(0)
	ds_write_b64 v4, v[5:6]
	s_waitcnt lgkmcnt(0)
	s_barrier
	buffer_gl0_inv
	v_cmpx_gt_u32_e32 42, v0
	s_cbranch_execz .LBB124_183
; %bb.180:
	v_add_nc_u32_e32 v5, -1, v0
	v_add_nc_u32_e32 v6, 0x1f0, v3
	v_mov_b32_e32 v7, v3
	v_mov_b32_e32 v2, 0
	;; [unrolled: 1-line block ×3, first 2 shown]
	s_mov_b32 s5, 0
	.p2align	6
.LBB124_181:                            ; =>This Inner Loop Header: Depth=1
	s_clause 0x1
	buffer_load_dword v11, v7, s[0:3], 0 offen offset:4
	buffer_load_dword v12, v7, s[0:3], 0 offen
	ds_read_b64 v[9:10], v6
	v_add_nc_u32_e32 v5, 1, v5
	v_add_nc_u32_e32 v6, 8, v6
	;; [unrolled: 1-line block ×3, first 2 shown]
	v_cmp_lt_u32_e32 vcc_lo, 40, v5
	s_or_b32 s5, vcc_lo, s5
	s_waitcnt vmcnt(1) lgkmcnt(0)
	v_mul_f32_e32 v135, v10, v11
	v_mul_f32_e32 v11, v9, v11
	s_waitcnt vmcnt(0)
	v_fma_f32 v9, v9, v12, -v135
	v_fmac_f32_e32 v11, v10, v12
	v_add_f32_e32 v8, v8, v9
	v_add_f32_e32 v2, v2, v11
	s_andn2_b32 exec_lo, exec_lo, s5
	s_cbranch_execnz .LBB124_181
; %bb.182:
	s_or_b32 exec_lo, exec_lo, s5
	v_mov_b32_e32 v5, 0
	ds_read_b64 v[5:6], v5 offset:336
	s_waitcnt lgkmcnt(0)
	v_mul_f32_e32 v7, v2, v6
	v_mul_f32_e32 v6, v8, v6
	v_fma_f32 v7, v8, v5, -v7
	v_fmac_f32_e32 v6, v2, v5
	buffer_store_dword v7, off, s[0:3], 0 offset:336
	buffer_store_dword v6, off, s[0:3], 0 offset:340
.LBB124_183:
	s_or_b32 exec_lo, exec_lo, s4
	s_waitcnt_vscnt null, 0x0
	s_barrier
	buffer_gl0_inv
	s_clause 0x1
	buffer_load_dword v5, off, s[0:3], 0 offset:344
	buffer_load_dword v6, off, s[0:3], 0 offset:348
	s_mov_b32 s4, exec_lo
	s_waitcnt vmcnt(0)
	ds_write_b64 v4, v[5:6]
	s_waitcnt lgkmcnt(0)
	s_barrier
	buffer_gl0_inv
	v_cmpx_gt_u32_e32 43, v0
	s_cbranch_execz .LBB124_187
; %bb.184:
	v_add_nc_u32_e32 v5, -1, v0
	v_add_nc_u32_e32 v6, 0x1f0, v3
	v_mov_b32_e32 v7, v3
	v_mov_b32_e32 v2, 0
	;; [unrolled: 1-line block ×3, first 2 shown]
	s_mov_b32 s5, 0
	.p2align	6
.LBB124_185:                            ; =>This Inner Loop Header: Depth=1
	s_clause 0x1
	buffer_load_dword v11, v7, s[0:3], 0 offen offset:4
	buffer_load_dword v12, v7, s[0:3], 0 offen
	ds_read_b64 v[9:10], v6
	v_add_nc_u32_e32 v5, 1, v5
	v_add_nc_u32_e32 v6, 8, v6
	;; [unrolled: 1-line block ×3, first 2 shown]
	v_cmp_lt_u32_e32 vcc_lo, 41, v5
	s_or_b32 s5, vcc_lo, s5
	s_waitcnt vmcnt(1) lgkmcnt(0)
	v_mul_f32_e32 v135, v10, v11
	v_mul_f32_e32 v11, v9, v11
	s_waitcnt vmcnt(0)
	v_fma_f32 v9, v9, v12, -v135
	v_fmac_f32_e32 v11, v10, v12
	v_add_f32_e32 v8, v8, v9
	v_add_f32_e32 v2, v2, v11
	s_andn2_b32 exec_lo, exec_lo, s5
	s_cbranch_execnz .LBB124_185
; %bb.186:
	s_or_b32 exec_lo, exec_lo, s5
	v_mov_b32_e32 v5, 0
	ds_read_b64 v[5:6], v5 offset:344
	s_waitcnt lgkmcnt(0)
	v_mul_f32_e32 v7, v2, v6
	v_mul_f32_e32 v6, v8, v6
	v_fma_f32 v7, v8, v5, -v7
	v_fmac_f32_e32 v6, v2, v5
	buffer_store_dword v7, off, s[0:3], 0 offset:344
	buffer_store_dword v6, off, s[0:3], 0 offset:348
.LBB124_187:
	s_or_b32 exec_lo, exec_lo, s4
	s_waitcnt_vscnt null, 0x0
	s_barrier
	buffer_gl0_inv
	s_clause 0x1
	buffer_load_dword v5, off, s[0:3], 0 offset:352
	buffer_load_dword v6, off, s[0:3], 0 offset:356
	s_mov_b32 s4, exec_lo
	s_waitcnt vmcnt(0)
	ds_write_b64 v4, v[5:6]
	s_waitcnt lgkmcnt(0)
	s_barrier
	buffer_gl0_inv
	v_cmpx_gt_u32_e32 44, v0
	s_cbranch_execz .LBB124_191
; %bb.188:
	v_add_nc_u32_e32 v5, -1, v0
	v_add_nc_u32_e32 v6, 0x1f0, v3
	v_mov_b32_e32 v7, v3
	v_mov_b32_e32 v2, 0
	;; [unrolled: 1-line block ×3, first 2 shown]
	s_mov_b32 s5, 0
	.p2align	6
.LBB124_189:                            ; =>This Inner Loop Header: Depth=1
	s_clause 0x1
	buffer_load_dword v11, v7, s[0:3], 0 offen offset:4
	buffer_load_dword v12, v7, s[0:3], 0 offen
	ds_read_b64 v[9:10], v6
	v_add_nc_u32_e32 v5, 1, v5
	v_add_nc_u32_e32 v6, 8, v6
	v_add_nc_u32_e32 v7, 8, v7
	v_cmp_lt_u32_e32 vcc_lo, 42, v5
	s_or_b32 s5, vcc_lo, s5
	s_waitcnt vmcnt(1) lgkmcnt(0)
	v_mul_f32_e32 v135, v10, v11
	v_mul_f32_e32 v11, v9, v11
	s_waitcnt vmcnt(0)
	v_fma_f32 v9, v9, v12, -v135
	v_fmac_f32_e32 v11, v10, v12
	v_add_f32_e32 v8, v8, v9
	v_add_f32_e32 v2, v2, v11
	s_andn2_b32 exec_lo, exec_lo, s5
	s_cbranch_execnz .LBB124_189
; %bb.190:
	s_or_b32 exec_lo, exec_lo, s5
	v_mov_b32_e32 v5, 0
	ds_read_b64 v[5:6], v5 offset:352
	s_waitcnt lgkmcnt(0)
	v_mul_f32_e32 v7, v2, v6
	v_mul_f32_e32 v6, v8, v6
	v_fma_f32 v7, v8, v5, -v7
	v_fmac_f32_e32 v6, v2, v5
	buffer_store_dword v7, off, s[0:3], 0 offset:352
	buffer_store_dword v6, off, s[0:3], 0 offset:356
.LBB124_191:
	s_or_b32 exec_lo, exec_lo, s4
	s_waitcnt_vscnt null, 0x0
	s_barrier
	buffer_gl0_inv
	s_clause 0x1
	buffer_load_dword v5, off, s[0:3], 0 offset:360
	buffer_load_dword v6, off, s[0:3], 0 offset:364
	s_mov_b32 s4, exec_lo
	s_waitcnt vmcnt(0)
	ds_write_b64 v4, v[5:6]
	s_waitcnt lgkmcnt(0)
	s_barrier
	buffer_gl0_inv
	v_cmpx_gt_u32_e32 45, v0
	s_cbranch_execz .LBB124_195
; %bb.192:
	v_add_nc_u32_e32 v5, -1, v0
	v_add_nc_u32_e32 v6, 0x1f0, v3
	v_mov_b32_e32 v7, v3
	v_mov_b32_e32 v2, 0
	;; [unrolled: 1-line block ×3, first 2 shown]
	s_mov_b32 s5, 0
	.p2align	6
.LBB124_193:                            ; =>This Inner Loop Header: Depth=1
	s_clause 0x1
	buffer_load_dword v11, v7, s[0:3], 0 offen offset:4
	buffer_load_dword v12, v7, s[0:3], 0 offen
	ds_read_b64 v[9:10], v6
	v_add_nc_u32_e32 v5, 1, v5
	v_add_nc_u32_e32 v6, 8, v6
	;; [unrolled: 1-line block ×3, first 2 shown]
	v_cmp_lt_u32_e32 vcc_lo, 43, v5
	s_or_b32 s5, vcc_lo, s5
	s_waitcnt vmcnt(1) lgkmcnt(0)
	v_mul_f32_e32 v135, v10, v11
	v_mul_f32_e32 v11, v9, v11
	s_waitcnt vmcnt(0)
	v_fma_f32 v9, v9, v12, -v135
	v_fmac_f32_e32 v11, v10, v12
	v_add_f32_e32 v8, v8, v9
	v_add_f32_e32 v2, v2, v11
	s_andn2_b32 exec_lo, exec_lo, s5
	s_cbranch_execnz .LBB124_193
; %bb.194:
	s_or_b32 exec_lo, exec_lo, s5
	v_mov_b32_e32 v5, 0
	ds_read_b64 v[5:6], v5 offset:360
	s_waitcnt lgkmcnt(0)
	v_mul_f32_e32 v7, v2, v6
	v_mul_f32_e32 v6, v8, v6
	v_fma_f32 v7, v8, v5, -v7
	v_fmac_f32_e32 v6, v2, v5
	buffer_store_dword v7, off, s[0:3], 0 offset:360
	buffer_store_dword v6, off, s[0:3], 0 offset:364
.LBB124_195:
	s_or_b32 exec_lo, exec_lo, s4
	s_waitcnt_vscnt null, 0x0
	s_barrier
	buffer_gl0_inv
	s_clause 0x1
	buffer_load_dword v5, off, s[0:3], 0 offset:368
	buffer_load_dword v6, off, s[0:3], 0 offset:372
	s_mov_b32 s4, exec_lo
	s_waitcnt vmcnt(0)
	ds_write_b64 v4, v[5:6]
	s_waitcnt lgkmcnt(0)
	s_barrier
	buffer_gl0_inv
	v_cmpx_gt_u32_e32 46, v0
	s_cbranch_execz .LBB124_199
; %bb.196:
	v_add_nc_u32_e32 v5, -1, v0
	v_add_nc_u32_e32 v6, 0x1f0, v3
	v_mov_b32_e32 v7, v3
	v_mov_b32_e32 v2, 0
	;; [unrolled: 1-line block ×3, first 2 shown]
	s_mov_b32 s5, 0
	.p2align	6
.LBB124_197:                            ; =>This Inner Loop Header: Depth=1
	s_clause 0x1
	buffer_load_dword v11, v7, s[0:3], 0 offen offset:4
	buffer_load_dword v12, v7, s[0:3], 0 offen
	ds_read_b64 v[9:10], v6
	v_add_nc_u32_e32 v5, 1, v5
	v_add_nc_u32_e32 v6, 8, v6
	;; [unrolled: 1-line block ×3, first 2 shown]
	v_cmp_lt_u32_e32 vcc_lo, 44, v5
	s_or_b32 s5, vcc_lo, s5
	s_waitcnt vmcnt(1) lgkmcnt(0)
	v_mul_f32_e32 v135, v10, v11
	v_mul_f32_e32 v11, v9, v11
	s_waitcnt vmcnt(0)
	v_fma_f32 v9, v9, v12, -v135
	v_fmac_f32_e32 v11, v10, v12
	v_add_f32_e32 v8, v8, v9
	v_add_f32_e32 v2, v2, v11
	s_andn2_b32 exec_lo, exec_lo, s5
	s_cbranch_execnz .LBB124_197
; %bb.198:
	s_or_b32 exec_lo, exec_lo, s5
	v_mov_b32_e32 v5, 0
	ds_read_b64 v[5:6], v5 offset:368
	s_waitcnt lgkmcnt(0)
	v_mul_f32_e32 v7, v2, v6
	v_mul_f32_e32 v6, v8, v6
	v_fma_f32 v7, v8, v5, -v7
	v_fmac_f32_e32 v6, v2, v5
	buffer_store_dword v7, off, s[0:3], 0 offset:368
	buffer_store_dword v6, off, s[0:3], 0 offset:372
.LBB124_199:
	s_or_b32 exec_lo, exec_lo, s4
	s_waitcnt_vscnt null, 0x0
	s_barrier
	buffer_gl0_inv
	s_clause 0x1
	buffer_load_dword v5, off, s[0:3], 0 offset:376
	buffer_load_dword v6, off, s[0:3], 0 offset:380
	s_mov_b32 s4, exec_lo
	s_waitcnt vmcnt(0)
	ds_write_b64 v4, v[5:6]
	s_waitcnt lgkmcnt(0)
	s_barrier
	buffer_gl0_inv
	v_cmpx_gt_u32_e32 47, v0
	s_cbranch_execz .LBB124_203
; %bb.200:
	v_add_nc_u32_e32 v5, -1, v0
	v_add_nc_u32_e32 v6, 0x1f0, v3
	v_mov_b32_e32 v7, v3
	v_mov_b32_e32 v2, 0
	;; [unrolled: 1-line block ×3, first 2 shown]
	s_mov_b32 s5, 0
	.p2align	6
.LBB124_201:                            ; =>This Inner Loop Header: Depth=1
	s_clause 0x1
	buffer_load_dword v11, v7, s[0:3], 0 offen offset:4
	buffer_load_dword v12, v7, s[0:3], 0 offen
	ds_read_b64 v[9:10], v6
	v_add_nc_u32_e32 v5, 1, v5
	v_add_nc_u32_e32 v6, 8, v6
	;; [unrolled: 1-line block ×3, first 2 shown]
	v_cmp_lt_u32_e32 vcc_lo, 45, v5
	s_or_b32 s5, vcc_lo, s5
	s_waitcnt vmcnt(1) lgkmcnt(0)
	v_mul_f32_e32 v135, v10, v11
	v_mul_f32_e32 v11, v9, v11
	s_waitcnt vmcnt(0)
	v_fma_f32 v9, v9, v12, -v135
	v_fmac_f32_e32 v11, v10, v12
	v_add_f32_e32 v8, v8, v9
	v_add_f32_e32 v2, v2, v11
	s_andn2_b32 exec_lo, exec_lo, s5
	s_cbranch_execnz .LBB124_201
; %bb.202:
	s_or_b32 exec_lo, exec_lo, s5
	v_mov_b32_e32 v5, 0
	ds_read_b64 v[5:6], v5 offset:376
	s_waitcnt lgkmcnt(0)
	v_mul_f32_e32 v7, v2, v6
	v_mul_f32_e32 v6, v8, v6
	v_fma_f32 v7, v8, v5, -v7
	v_fmac_f32_e32 v6, v2, v5
	buffer_store_dword v7, off, s[0:3], 0 offset:376
	buffer_store_dword v6, off, s[0:3], 0 offset:380
.LBB124_203:
	s_or_b32 exec_lo, exec_lo, s4
	s_waitcnt_vscnt null, 0x0
	s_barrier
	buffer_gl0_inv
	s_clause 0x1
	buffer_load_dword v5, off, s[0:3], 0 offset:384
	buffer_load_dword v6, off, s[0:3], 0 offset:388
	s_mov_b32 s4, exec_lo
	s_waitcnt vmcnt(0)
	ds_write_b64 v4, v[5:6]
	s_waitcnt lgkmcnt(0)
	s_barrier
	buffer_gl0_inv
	v_cmpx_gt_u32_e32 48, v0
	s_cbranch_execz .LBB124_207
; %bb.204:
	v_add_nc_u32_e32 v5, -1, v0
	v_add_nc_u32_e32 v6, 0x1f0, v3
	v_mov_b32_e32 v7, v3
	v_mov_b32_e32 v2, 0
	;; [unrolled: 1-line block ×3, first 2 shown]
	s_mov_b32 s5, 0
	.p2align	6
.LBB124_205:                            ; =>This Inner Loop Header: Depth=1
	s_clause 0x1
	buffer_load_dword v11, v7, s[0:3], 0 offen offset:4
	buffer_load_dword v12, v7, s[0:3], 0 offen
	ds_read_b64 v[9:10], v6
	v_add_nc_u32_e32 v5, 1, v5
	v_add_nc_u32_e32 v6, 8, v6
	;; [unrolled: 1-line block ×3, first 2 shown]
	v_cmp_lt_u32_e32 vcc_lo, 46, v5
	s_or_b32 s5, vcc_lo, s5
	s_waitcnt vmcnt(1) lgkmcnt(0)
	v_mul_f32_e32 v135, v10, v11
	v_mul_f32_e32 v11, v9, v11
	s_waitcnt vmcnt(0)
	v_fma_f32 v9, v9, v12, -v135
	v_fmac_f32_e32 v11, v10, v12
	v_add_f32_e32 v8, v8, v9
	v_add_f32_e32 v2, v2, v11
	s_andn2_b32 exec_lo, exec_lo, s5
	s_cbranch_execnz .LBB124_205
; %bb.206:
	s_or_b32 exec_lo, exec_lo, s5
	v_mov_b32_e32 v5, 0
	ds_read_b64 v[5:6], v5 offset:384
	s_waitcnt lgkmcnt(0)
	v_mul_f32_e32 v7, v2, v6
	v_mul_f32_e32 v6, v8, v6
	v_fma_f32 v7, v8, v5, -v7
	v_fmac_f32_e32 v6, v2, v5
	buffer_store_dword v7, off, s[0:3], 0 offset:384
	buffer_store_dword v6, off, s[0:3], 0 offset:388
.LBB124_207:
	s_or_b32 exec_lo, exec_lo, s4
	s_waitcnt_vscnt null, 0x0
	s_barrier
	buffer_gl0_inv
	s_clause 0x1
	buffer_load_dword v5, off, s[0:3], 0 offset:392
	buffer_load_dword v6, off, s[0:3], 0 offset:396
	s_mov_b32 s4, exec_lo
	s_waitcnt vmcnt(0)
	ds_write_b64 v4, v[5:6]
	s_waitcnt lgkmcnt(0)
	s_barrier
	buffer_gl0_inv
	v_cmpx_gt_u32_e32 49, v0
	s_cbranch_execz .LBB124_211
; %bb.208:
	v_add_nc_u32_e32 v5, -1, v0
	v_add_nc_u32_e32 v6, 0x1f0, v3
	v_mov_b32_e32 v7, v3
	v_mov_b32_e32 v2, 0
	;; [unrolled: 1-line block ×3, first 2 shown]
	s_mov_b32 s5, 0
	.p2align	6
.LBB124_209:                            ; =>This Inner Loop Header: Depth=1
	s_clause 0x1
	buffer_load_dword v11, v7, s[0:3], 0 offen offset:4
	buffer_load_dword v12, v7, s[0:3], 0 offen
	ds_read_b64 v[9:10], v6
	v_add_nc_u32_e32 v5, 1, v5
	v_add_nc_u32_e32 v6, 8, v6
	;; [unrolled: 1-line block ×3, first 2 shown]
	v_cmp_lt_u32_e32 vcc_lo, 47, v5
	s_or_b32 s5, vcc_lo, s5
	s_waitcnt vmcnt(1) lgkmcnt(0)
	v_mul_f32_e32 v135, v10, v11
	v_mul_f32_e32 v11, v9, v11
	s_waitcnt vmcnt(0)
	v_fma_f32 v9, v9, v12, -v135
	v_fmac_f32_e32 v11, v10, v12
	v_add_f32_e32 v8, v8, v9
	v_add_f32_e32 v2, v2, v11
	s_andn2_b32 exec_lo, exec_lo, s5
	s_cbranch_execnz .LBB124_209
; %bb.210:
	s_or_b32 exec_lo, exec_lo, s5
	v_mov_b32_e32 v5, 0
	ds_read_b64 v[5:6], v5 offset:392
	s_waitcnt lgkmcnt(0)
	v_mul_f32_e32 v7, v2, v6
	v_mul_f32_e32 v6, v8, v6
	v_fma_f32 v7, v8, v5, -v7
	v_fmac_f32_e32 v6, v2, v5
	buffer_store_dword v7, off, s[0:3], 0 offset:392
	buffer_store_dword v6, off, s[0:3], 0 offset:396
.LBB124_211:
	s_or_b32 exec_lo, exec_lo, s4
	s_waitcnt_vscnt null, 0x0
	s_barrier
	buffer_gl0_inv
	s_clause 0x1
	buffer_load_dword v5, off, s[0:3], 0 offset:400
	buffer_load_dword v6, off, s[0:3], 0 offset:404
	s_mov_b32 s4, exec_lo
	s_waitcnt vmcnt(0)
	ds_write_b64 v4, v[5:6]
	s_waitcnt lgkmcnt(0)
	s_barrier
	buffer_gl0_inv
	v_cmpx_gt_u32_e32 50, v0
	s_cbranch_execz .LBB124_215
; %bb.212:
	v_add_nc_u32_e32 v5, -1, v0
	v_add_nc_u32_e32 v6, 0x1f0, v3
	v_mov_b32_e32 v7, v3
	v_mov_b32_e32 v2, 0
	;; [unrolled: 1-line block ×3, first 2 shown]
	s_mov_b32 s5, 0
	.p2align	6
.LBB124_213:                            ; =>This Inner Loop Header: Depth=1
	s_clause 0x1
	buffer_load_dword v11, v7, s[0:3], 0 offen offset:4
	buffer_load_dword v12, v7, s[0:3], 0 offen
	ds_read_b64 v[9:10], v6
	v_add_nc_u32_e32 v5, 1, v5
	v_add_nc_u32_e32 v6, 8, v6
	;; [unrolled: 1-line block ×3, first 2 shown]
	v_cmp_lt_u32_e32 vcc_lo, 48, v5
	s_or_b32 s5, vcc_lo, s5
	s_waitcnt vmcnt(1) lgkmcnt(0)
	v_mul_f32_e32 v135, v10, v11
	v_mul_f32_e32 v11, v9, v11
	s_waitcnt vmcnt(0)
	v_fma_f32 v9, v9, v12, -v135
	v_fmac_f32_e32 v11, v10, v12
	v_add_f32_e32 v8, v8, v9
	v_add_f32_e32 v2, v2, v11
	s_andn2_b32 exec_lo, exec_lo, s5
	s_cbranch_execnz .LBB124_213
; %bb.214:
	s_or_b32 exec_lo, exec_lo, s5
	v_mov_b32_e32 v5, 0
	ds_read_b64 v[5:6], v5 offset:400
	s_waitcnt lgkmcnt(0)
	v_mul_f32_e32 v7, v2, v6
	v_mul_f32_e32 v6, v8, v6
	v_fma_f32 v7, v8, v5, -v7
	v_fmac_f32_e32 v6, v2, v5
	buffer_store_dword v7, off, s[0:3], 0 offset:400
	buffer_store_dword v6, off, s[0:3], 0 offset:404
.LBB124_215:
	s_or_b32 exec_lo, exec_lo, s4
	s_waitcnt_vscnt null, 0x0
	s_barrier
	buffer_gl0_inv
	s_clause 0x1
	buffer_load_dword v5, off, s[0:3], 0 offset:408
	buffer_load_dword v6, off, s[0:3], 0 offset:412
	s_mov_b32 s4, exec_lo
	s_waitcnt vmcnt(0)
	ds_write_b64 v4, v[5:6]
	s_waitcnt lgkmcnt(0)
	s_barrier
	buffer_gl0_inv
	v_cmpx_gt_u32_e32 51, v0
	s_cbranch_execz .LBB124_219
; %bb.216:
	v_add_nc_u32_e32 v5, -1, v0
	v_add_nc_u32_e32 v6, 0x1f0, v3
	v_mov_b32_e32 v7, v3
	v_mov_b32_e32 v2, 0
	;; [unrolled: 1-line block ×3, first 2 shown]
	s_mov_b32 s5, 0
	.p2align	6
.LBB124_217:                            ; =>This Inner Loop Header: Depth=1
	s_clause 0x1
	buffer_load_dword v11, v7, s[0:3], 0 offen offset:4
	buffer_load_dword v12, v7, s[0:3], 0 offen
	ds_read_b64 v[9:10], v6
	v_add_nc_u32_e32 v5, 1, v5
	v_add_nc_u32_e32 v6, 8, v6
	;; [unrolled: 1-line block ×3, first 2 shown]
	v_cmp_lt_u32_e32 vcc_lo, 49, v5
	s_or_b32 s5, vcc_lo, s5
	s_waitcnt vmcnt(1) lgkmcnt(0)
	v_mul_f32_e32 v135, v10, v11
	v_mul_f32_e32 v11, v9, v11
	s_waitcnt vmcnt(0)
	v_fma_f32 v9, v9, v12, -v135
	v_fmac_f32_e32 v11, v10, v12
	v_add_f32_e32 v8, v8, v9
	v_add_f32_e32 v2, v2, v11
	s_andn2_b32 exec_lo, exec_lo, s5
	s_cbranch_execnz .LBB124_217
; %bb.218:
	s_or_b32 exec_lo, exec_lo, s5
	v_mov_b32_e32 v5, 0
	ds_read_b64 v[5:6], v5 offset:408
	s_waitcnt lgkmcnt(0)
	v_mul_f32_e32 v7, v2, v6
	v_mul_f32_e32 v6, v8, v6
	v_fma_f32 v7, v8, v5, -v7
	v_fmac_f32_e32 v6, v2, v5
	buffer_store_dword v7, off, s[0:3], 0 offset:408
	buffer_store_dword v6, off, s[0:3], 0 offset:412
.LBB124_219:
	s_or_b32 exec_lo, exec_lo, s4
	s_waitcnt_vscnt null, 0x0
	s_barrier
	buffer_gl0_inv
	s_clause 0x1
	buffer_load_dword v5, off, s[0:3], 0 offset:416
	buffer_load_dword v6, off, s[0:3], 0 offset:420
	s_mov_b32 s4, exec_lo
	s_waitcnt vmcnt(0)
	ds_write_b64 v4, v[5:6]
	s_waitcnt lgkmcnt(0)
	s_barrier
	buffer_gl0_inv
	v_cmpx_gt_u32_e32 52, v0
	s_cbranch_execz .LBB124_223
; %bb.220:
	v_add_nc_u32_e32 v5, -1, v0
	v_add_nc_u32_e32 v6, 0x1f0, v3
	v_mov_b32_e32 v7, v3
	v_mov_b32_e32 v2, 0
	;; [unrolled: 1-line block ×3, first 2 shown]
	s_mov_b32 s5, 0
	.p2align	6
.LBB124_221:                            ; =>This Inner Loop Header: Depth=1
	s_clause 0x1
	buffer_load_dword v11, v7, s[0:3], 0 offen offset:4
	buffer_load_dword v12, v7, s[0:3], 0 offen
	ds_read_b64 v[9:10], v6
	v_add_nc_u32_e32 v5, 1, v5
	v_add_nc_u32_e32 v6, 8, v6
	;; [unrolled: 1-line block ×3, first 2 shown]
	v_cmp_lt_u32_e32 vcc_lo, 50, v5
	s_or_b32 s5, vcc_lo, s5
	s_waitcnt vmcnt(1) lgkmcnt(0)
	v_mul_f32_e32 v135, v10, v11
	v_mul_f32_e32 v11, v9, v11
	s_waitcnt vmcnt(0)
	v_fma_f32 v9, v9, v12, -v135
	v_fmac_f32_e32 v11, v10, v12
	v_add_f32_e32 v8, v8, v9
	v_add_f32_e32 v2, v2, v11
	s_andn2_b32 exec_lo, exec_lo, s5
	s_cbranch_execnz .LBB124_221
; %bb.222:
	s_or_b32 exec_lo, exec_lo, s5
	v_mov_b32_e32 v5, 0
	ds_read_b64 v[5:6], v5 offset:416
	s_waitcnt lgkmcnt(0)
	v_mul_f32_e32 v7, v2, v6
	v_mul_f32_e32 v6, v8, v6
	v_fma_f32 v7, v8, v5, -v7
	v_fmac_f32_e32 v6, v2, v5
	buffer_store_dword v7, off, s[0:3], 0 offset:416
	buffer_store_dword v6, off, s[0:3], 0 offset:420
.LBB124_223:
	s_or_b32 exec_lo, exec_lo, s4
	s_waitcnt_vscnt null, 0x0
	s_barrier
	buffer_gl0_inv
	s_clause 0x1
	buffer_load_dword v5, off, s[0:3], 0 offset:424
	buffer_load_dword v6, off, s[0:3], 0 offset:428
	s_mov_b32 s4, exec_lo
	s_waitcnt vmcnt(0)
	ds_write_b64 v4, v[5:6]
	s_waitcnt lgkmcnt(0)
	s_barrier
	buffer_gl0_inv
	v_cmpx_gt_u32_e32 53, v0
	s_cbranch_execz .LBB124_227
; %bb.224:
	v_add_nc_u32_e32 v5, -1, v0
	v_add_nc_u32_e32 v6, 0x1f0, v3
	v_mov_b32_e32 v7, v3
	v_mov_b32_e32 v2, 0
	;; [unrolled: 1-line block ×3, first 2 shown]
	s_mov_b32 s5, 0
	.p2align	6
.LBB124_225:                            ; =>This Inner Loop Header: Depth=1
	s_clause 0x1
	buffer_load_dword v11, v7, s[0:3], 0 offen offset:4
	buffer_load_dword v12, v7, s[0:3], 0 offen
	ds_read_b64 v[9:10], v6
	v_add_nc_u32_e32 v5, 1, v5
	v_add_nc_u32_e32 v6, 8, v6
	;; [unrolled: 1-line block ×3, first 2 shown]
	v_cmp_lt_u32_e32 vcc_lo, 51, v5
	s_or_b32 s5, vcc_lo, s5
	s_waitcnt vmcnt(1) lgkmcnt(0)
	v_mul_f32_e32 v135, v10, v11
	v_mul_f32_e32 v11, v9, v11
	s_waitcnt vmcnt(0)
	v_fma_f32 v9, v9, v12, -v135
	v_fmac_f32_e32 v11, v10, v12
	v_add_f32_e32 v8, v8, v9
	v_add_f32_e32 v2, v2, v11
	s_andn2_b32 exec_lo, exec_lo, s5
	s_cbranch_execnz .LBB124_225
; %bb.226:
	s_or_b32 exec_lo, exec_lo, s5
	v_mov_b32_e32 v5, 0
	ds_read_b64 v[5:6], v5 offset:424
	s_waitcnt lgkmcnt(0)
	v_mul_f32_e32 v7, v2, v6
	v_mul_f32_e32 v6, v8, v6
	v_fma_f32 v7, v8, v5, -v7
	v_fmac_f32_e32 v6, v2, v5
	buffer_store_dword v7, off, s[0:3], 0 offset:424
	buffer_store_dword v6, off, s[0:3], 0 offset:428
.LBB124_227:
	s_or_b32 exec_lo, exec_lo, s4
	s_waitcnt_vscnt null, 0x0
	s_barrier
	buffer_gl0_inv
	s_clause 0x1
	buffer_load_dword v5, off, s[0:3], 0 offset:432
	buffer_load_dword v6, off, s[0:3], 0 offset:436
	s_mov_b32 s4, exec_lo
	s_waitcnt vmcnt(0)
	ds_write_b64 v4, v[5:6]
	s_waitcnt lgkmcnt(0)
	s_barrier
	buffer_gl0_inv
	v_cmpx_gt_u32_e32 54, v0
	s_cbranch_execz .LBB124_231
; %bb.228:
	v_add_nc_u32_e32 v5, -1, v0
	v_add_nc_u32_e32 v6, 0x1f0, v3
	v_mov_b32_e32 v7, v3
	v_mov_b32_e32 v2, 0
	;; [unrolled: 1-line block ×3, first 2 shown]
	s_mov_b32 s5, 0
	.p2align	6
.LBB124_229:                            ; =>This Inner Loop Header: Depth=1
	s_clause 0x1
	buffer_load_dword v11, v7, s[0:3], 0 offen offset:4
	buffer_load_dword v12, v7, s[0:3], 0 offen
	ds_read_b64 v[9:10], v6
	v_add_nc_u32_e32 v5, 1, v5
	v_add_nc_u32_e32 v6, 8, v6
	;; [unrolled: 1-line block ×3, first 2 shown]
	v_cmp_lt_u32_e32 vcc_lo, 52, v5
	s_or_b32 s5, vcc_lo, s5
	s_waitcnt vmcnt(1) lgkmcnt(0)
	v_mul_f32_e32 v135, v10, v11
	v_mul_f32_e32 v11, v9, v11
	s_waitcnt vmcnt(0)
	v_fma_f32 v9, v9, v12, -v135
	v_fmac_f32_e32 v11, v10, v12
	v_add_f32_e32 v8, v8, v9
	v_add_f32_e32 v2, v2, v11
	s_andn2_b32 exec_lo, exec_lo, s5
	s_cbranch_execnz .LBB124_229
; %bb.230:
	s_or_b32 exec_lo, exec_lo, s5
	v_mov_b32_e32 v5, 0
	ds_read_b64 v[5:6], v5 offset:432
	s_waitcnt lgkmcnt(0)
	v_mul_f32_e32 v7, v2, v6
	v_mul_f32_e32 v6, v8, v6
	v_fma_f32 v7, v8, v5, -v7
	v_fmac_f32_e32 v6, v2, v5
	buffer_store_dword v7, off, s[0:3], 0 offset:432
	buffer_store_dword v6, off, s[0:3], 0 offset:436
.LBB124_231:
	s_or_b32 exec_lo, exec_lo, s4
	s_waitcnt_vscnt null, 0x0
	s_barrier
	buffer_gl0_inv
	s_clause 0x1
	buffer_load_dword v5, off, s[0:3], 0 offset:440
	buffer_load_dword v6, off, s[0:3], 0 offset:444
	s_mov_b32 s4, exec_lo
	s_waitcnt vmcnt(0)
	ds_write_b64 v4, v[5:6]
	s_waitcnt lgkmcnt(0)
	s_barrier
	buffer_gl0_inv
	v_cmpx_gt_u32_e32 55, v0
	s_cbranch_execz .LBB124_235
; %bb.232:
	v_add_nc_u32_e32 v5, -1, v0
	v_add_nc_u32_e32 v6, 0x1f0, v3
	v_mov_b32_e32 v7, v3
	v_mov_b32_e32 v2, 0
	;; [unrolled: 1-line block ×3, first 2 shown]
	s_mov_b32 s5, 0
	.p2align	6
.LBB124_233:                            ; =>This Inner Loop Header: Depth=1
	s_clause 0x1
	buffer_load_dword v11, v7, s[0:3], 0 offen offset:4
	buffer_load_dword v12, v7, s[0:3], 0 offen
	ds_read_b64 v[9:10], v6
	v_add_nc_u32_e32 v5, 1, v5
	v_add_nc_u32_e32 v6, 8, v6
	;; [unrolled: 1-line block ×3, first 2 shown]
	v_cmp_lt_u32_e32 vcc_lo, 53, v5
	s_or_b32 s5, vcc_lo, s5
	s_waitcnt vmcnt(1) lgkmcnt(0)
	v_mul_f32_e32 v135, v10, v11
	v_mul_f32_e32 v11, v9, v11
	s_waitcnt vmcnt(0)
	v_fma_f32 v9, v9, v12, -v135
	v_fmac_f32_e32 v11, v10, v12
	v_add_f32_e32 v8, v8, v9
	v_add_f32_e32 v2, v2, v11
	s_andn2_b32 exec_lo, exec_lo, s5
	s_cbranch_execnz .LBB124_233
; %bb.234:
	s_or_b32 exec_lo, exec_lo, s5
	v_mov_b32_e32 v5, 0
	ds_read_b64 v[5:6], v5 offset:440
	s_waitcnt lgkmcnt(0)
	v_mul_f32_e32 v7, v2, v6
	v_mul_f32_e32 v6, v8, v6
	v_fma_f32 v7, v8, v5, -v7
	v_fmac_f32_e32 v6, v2, v5
	buffer_store_dword v7, off, s[0:3], 0 offset:440
	buffer_store_dword v6, off, s[0:3], 0 offset:444
.LBB124_235:
	s_or_b32 exec_lo, exec_lo, s4
	s_waitcnt_vscnt null, 0x0
	s_barrier
	buffer_gl0_inv
	s_clause 0x1
	buffer_load_dword v5, off, s[0:3], 0 offset:448
	buffer_load_dword v6, off, s[0:3], 0 offset:452
	s_mov_b32 s4, exec_lo
	s_waitcnt vmcnt(0)
	ds_write_b64 v4, v[5:6]
	s_waitcnt lgkmcnt(0)
	s_barrier
	buffer_gl0_inv
	v_cmpx_gt_u32_e32 56, v0
	s_cbranch_execz .LBB124_239
; %bb.236:
	v_add_nc_u32_e32 v5, -1, v0
	v_add_nc_u32_e32 v6, 0x1f0, v3
	v_mov_b32_e32 v7, v3
	v_mov_b32_e32 v2, 0
	;; [unrolled: 1-line block ×3, first 2 shown]
	s_mov_b32 s5, 0
	.p2align	6
.LBB124_237:                            ; =>This Inner Loop Header: Depth=1
	s_clause 0x1
	buffer_load_dword v11, v7, s[0:3], 0 offen offset:4
	buffer_load_dword v12, v7, s[0:3], 0 offen
	ds_read_b64 v[9:10], v6
	v_add_nc_u32_e32 v5, 1, v5
	v_add_nc_u32_e32 v6, 8, v6
	;; [unrolled: 1-line block ×3, first 2 shown]
	v_cmp_lt_u32_e32 vcc_lo, 54, v5
	s_or_b32 s5, vcc_lo, s5
	s_waitcnt vmcnt(1) lgkmcnt(0)
	v_mul_f32_e32 v135, v10, v11
	v_mul_f32_e32 v11, v9, v11
	s_waitcnt vmcnt(0)
	v_fma_f32 v9, v9, v12, -v135
	v_fmac_f32_e32 v11, v10, v12
	v_add_f32_e32 v8, v8, v9
	v_add_f32_e32 v2, v2, v11
	s_andn2_b32 exec_lo, exec_lo, s5
	s_cbranch_execnz .LBB124_237
; %bb.238:
	s_or_b32 exec_lo, exec_lo, s5
	v_mov_b32_e32 v5, 0
	ds_read_b64 v[5:6], v5 offset:448
	s_waitcnt lgkmcnt(0)
	v_mul_f32_e32 v7, v2, v6
	v_mul_f32_e32 v6, v8, v6
	v_fma_f32 v7, v8, v5, -v7
	v_fmac_f32_e32 v6, v2, v5
	buffer_store_dword v7, off, s[0:3], 0 offset:448
	buffer_store_dword v6, off, s[0:3], 0 offset:452
.LBB124_239:
	s_or_b32 exec_lo, exec_lo, s4
	s_waitcnt_vscnt null, 0x0
	s_barrier
	buffer_gl0_inv
	s_clause 0x1
	buffer_load_dword v5, off, s[0:3], 0 offset:456
	buffer_load_dword v6, off, s[0:3], 0 offset:460
	s_mov_b32 s4, exec_lo
	s_waitcnt vmcnt(0)
	ds_write_b64 v4, v[5:6]
	s_waitcnt lgkmcnt(0)
	s_barrier
	buffer_gl0_inv
	v_cmpx_gt_u32_e32 57, v0
	s_cbranch_execz .LBB124_243
; %bb.240:
	v_add_nc_u32_e32 v5, -1, v0
	v_add_nc_u32_e32 v6, 0x1f0, v3
	v_mov_b32_e32 v7, v3
	v_mov_b32_e32 v2, 0
	;; [unrolled: 1-line block ×3, first 2 shown]
	s_mov_b32 s5, 0
	.p2align	6
.LBB124_241:                            ; =>This Inner Loop Header: Depth=1
	s_clause 0x1
	buffer_load_dword v11, v7, s[0:3], 0 offen offset:4
	buffer_load_dword v12, v7, s[0:3], 0 offen
	ds_read_b64 v[9:10], v6
	v_add_nc_u32_e32 v5, 1, v5
	v_add_nc_u32_e32 v6, 8, v6
	;; [unrolled: 1-line block ×3, first 2 shown]
	v_cmp_lt_u32_e32 vcc_lo, 55, v5
	s_or_b32 s5, vcc_lo, s5
	s_waitcnt vmcnt(1) lgkmcnt(0)
	v_mul_f32_e32 v135, v10, v11
	v_mul_f32_e32 v11, v9, v11
	s_waitcnt vmcnt(0)
	v_fma_f32 v9, v9, v12, -v135
	v_fmac_f32_e32 v11, v10, v12
	v_add_f32_e32 v8, v8, v9
	v_add_f32_e32 v2, v2, v11
	s_andn2_b32 exec_lo, exec_lo, s5
	s_cbranch_execnz .LBB124_241
; %bb.242:
	s_or_b32 exec_lo, exec_lo, s5
	v_mov_b32_e32 v5, 0
	ds_read_b64 v[5:6], v5 offset:456
	s_waitcnt lgkmcnt(0)
	v_mul_f32_e32 v7, v2, v6
	v_mul_f32_e32 v6, v8, v6
	v_fma_f32 v7, v8, v5, -v7
	v_fmac_f32_e32 v6, v2, v5
	buffer_store_dword v7, off, s[0:3], 0 offset:456
	buffer_store_dword v6, off, s[0:3], 0 offset:460
.LBB124_243:
	s_or_b32 exec_lo, exec_lo, s4
	s_waitcnt_vscnt null, 0x0
	s_barrier
	buffer_gl0_inv
	s_clause 0x1
	buffer_load_dword v5, off, s[0:3], 0 offset:464
	buffer_load_dword v6, off, s[0:3], 0 offset:468
	s_mov_b32 s4, exec_lo
	s_waitcnt vmcnt(0)
	ds_write_b64 v4, v[5:6]
	s_waitcnt lgkmcnt(0)
	s_barrier
	buffer_gl0_inv
	v_cmpx_gt_u32_e32 58, v0
	s_cbranch_execz .LBB124_247
; %bb.244:
	v_add_nc_u32_e32 v5, -1, v0
	v_add_nc_u32_e32 v6, 0x1f0, v3
	v_mov_b32_e32 v7, v3
	v_mov_b32_e32 v2, 0
	;; [unrolled: 1-line block ×3, first 2 shown]
	s_mov_b32 s5, 0
	.p2align	6
.LBB124_245:                            ; =>This Inner Loop Header: Depth=1
	s_clause 0x1
	buffer_load_dword v11, v7, s[0:3], 0 offen offset:4
	buffer_load_dword v12, v7, s[0:3], 0 offen
	ds_read_b64 v[9:10], v6
	v_add_nc_u32_e32 v5, 1, v5
	v_add_nc_u32_e32 v6, 8, v6
	;; [unrolled: 1-line block ×3, first 2 shown]
	v_cmp_lt_u32_e32 vcc_lo, 56, v5
	s_or_b32 s5, vcc_lo, s5
	s_waitcnt vmcnt(1) lgkmcnt(0)
	v_mul_f32_e32 v135, v10, v11
	v_mul_f32_e32 v11, v9, v11
	s_waitcnt vmcnt(0)
	v_fma_f32 v9, v9, v12, -v135
	v_fmac_f32_e32 v11, v10, v12
	v_add_f32_e32 v8, v8, v9
	v_add_f32_e32 v2, v2, v11
	s_andn2_b32 exec_lo, exec_lo, s5
	s_cbranch_execnz .LBB124_245
; %bb.246:
	s_or_b32 exec_lo, exec_lo, s5
	v_mov_b32_e32 v5, 0
	ds_read_b64 v[5:6], v5 offset:464
	s_waitcnt lgkmcnt(0)
	v_mul_f32_e32 v7, v2, v6
	v_mul_f32_e32 v6, v8, v6
	v_fma_f32 v7, v8, v5, -v7
	v_fmac_f32_e32 v6, v2, v5
	buffer_store_dword v7, off, s[0:3], 0 offset:464
	buffer_store_dword v6, off, s[0:3], 0 offset:468
.LBB124_247:
	s_or_b32 exec_lo, exec_lo, s4
	s_waitcnt_vscnt null, 0x0
	s_barrier
	buffer_gl0_inv
	s_clause 0x1
	buffer_load_dword v5, off, s[0:3], 0 offset:472
	buffer_load_dword v6, off, s[0:3], 0 offset:476
	s_mov_b32 s4, exec_lo
	s_waitcnt vmcnt(0)
	ds_write_b64 v4, v[5:6]
	s_waitcnt lgkmcnt(0)
	s_barrier
	buffer_gl0_inv
	v_cmpx_gt_u32_e32 59, v0
	s_cbranch_execz .LBB124_251
; %bb.248:
	v_add_nc_u32_e32 v5, -1, v0
	v_add_nc_u32_e32 v6, 0x1f0, v3
	v_mov_b32_e32 v7, v3
	v_mov_b32_e32 v2, 0
	v_mov_b32_e32 v8, 0
	s_mov_b32 s5, 0
	.p2align	6
.LBB124_249:                            ; =>This Inner Loop Header: Depth=1
	s_clause 0x1
	buffer_load_dword v11, v7, s[0:3], 0 offen offset:4
	buffer_load_dword v12, v7, s[0:3], 0 offen
	ds_read_b64 v[9:10], v6
	v_add_nc_u32_e32 v5, 1, v5
	v_add_nc_u32_e32 v6, 8, v6
	;; [unrolled: 1-line block ×3, first 2 shown]
	v_cmp_lt_u32_e32 vcc_lo, 57, v5
	s_or_b32 s5, vcc_lo, s5
	s_waitcnt vmcnt(1) lgkmcnt(0)
	v_mul_f32_e32 v135, v10, v11
	v_mul_f32_e32 v11, v9, v11
	s_waitcnt vmcnt(0)
	v_fma_f32 v9, v9, v12, -v135
	v_fmac_f32_e32 v11, v10, v12
	v_add_f32_e32 v8, v8, v9
	v_add_f32_e32 v2, v2, v11
	s_andn2_b32 exec_lo, exec_lo, s5
	s_cbranch_execnz .LBB124_249
; %bb.250:
	s_or_b32 exec_lo, exec_lo, s5
	v_mov_b32_e32 v5, 0
	ds_read_b64 v[5:6], v5 offset:472
	s_waitcnt lgkmcnt(0)
	v_mul_f32_e32 v7, v2, v6
	v_mul_f32_e32 v6, v8, v6
	v_fma_f32 v7, v8, v5, -v7
	v_fmac_f32_e32 v6, v2, v5
	buffer_store_dword v7, off, s[0:3], 0 offset:472
	buffer_store_dword v6, off, s[0:3], 0 offset:476
.LBB124_251:
	s_or_b32 exec_lo, exec_lo, s4
	s_waitcnt_vscnt null, 0x0
	s_barrier
	buffer_gl0_inv
	s_clause 0x1
	buffer_load_dword v5, off, s[0:3], 0 offset:480
	buffer_load_dword v6, off, s[0:3], 0 offset:484
	s_mov_b32 s4, exec_lo
	s_waitcnt vmcnt(0)
	ds_write_b64 v4, v[5:6]
	s_waitcnt lgkmcnt(0)
	s_barrier
	buffer_gl0_inv
	v_cmpx_ne_u32_e32 60, v0
	s_cbranch_execz .LBB124_255
; %bb.252:
	v_mov_b32_e32 v2, 0
	v_mov_b32_e32 v5, 0
	s_mov_b32 s5, 0
	.p2align	6
.LBB124_253:                            ; =>This Inner Loop Header: Depth=1
	s_clause 0x1
	buffer_load_dword v8, v3, s[0:3], 0 offen offset:4
	buffer_load_dword v9, v3, s[0:3], 0 offen
	ds_read_b64 v[6:7], v4
	v_add_nc_u32_e32 v1, 1, v1
	v_add_nc_u32_e32 v4, 8, v4
	;; [unrolled: 1-line block ×3, first 2 shown]
	v_cmp_lt_u32_e32 vcc_lo, 58, v1
	s_or_b32 s5, vcc_lo, s5
	s_waitcnt vmcnt(1) lgkmcnt(0)
	v_mul_f32_e32 v10, v7, v8
	v_mul_f32_e32 v8, v6, v8
	s_waitcnt vmcnt(0)
	v_fma_f32 v6, v6, v9, -v10
	v_fmac_f32_e32 v8, v7, v9
	v_add_f32_e32 v5, v5, v6
	v_add_f32_e32 v2, v2, v8
	s_andn2_b32 exec_lo, exec_lo, s5
	s_cbranch_execnz .LBB124_253
; %bb.254:
	s_or_b32 exec_lo, exec_lo, s5
	v_mov_b32_e32 v1, 0
	ds_read_b64 v[3:4], v1 offset:480
	s_waitcnt lgkmcnt(0)
	v_mul_f32_e32 v1, v2, v4
	v_mul_f32_e32 v4, v5, v4
	v_fma_f32 v1, v5, v3, -v1
	v_fmac_f32_e32 v4, v2, v3
	buffer_store_dword v1, off, s[0:3], 0 offset:480
	buffer_store_dword v4, off, s[0:3], 0 offset:484
.LBB124_255:
	s_or_b32 exec_lo, exec_lo, s4
	s_mov_b32 s5, -1
	s_waitcnt_vscnt null, 0x0
	s_barrier
	buffer_gl0_inv
.LBB124_256:
	s_and_b32 vcc_lo, exec_lo, s5
	s_cbranch_vccz .LBB124_258
; %bb.257:
	s_lshl_b64 s[4:5], s[6:7], 2
	v_mov_b32_e32 v1, 0
	s_add_u32 s4, s10, s4
	s_addc_u32 s5, s11, s5
	global_load_dword v1, v1, s[4:5]
	s_waitcnt vmcnt(0)
	v_cmp_ne_u32_e32 vcc_lo, 0, v1
	s_cbranch_vccz .LBB124_259
.LBB124_258:
	s_endpgm
.LBB124_259:
	v_lshl_add_u32 v135, v0, 3, 0x1f0
	s_mov_b32 s4, exec_lo
	v_cmpx_eq_u32_e32 60, v0
	s_cbranch_execz .LBB124_261
; %bb.260:
	s_clause 0x1
	buffer_load_dword v1, off, s[0:3], 0 offset:472
	buffer_load_dword v2, off, s[0:3], 0 offset:476
	v_mov_b32_e32 v3, 0
	buffer_store_dword v3, off, s[0:3], 0 offset:472
	buffer_store_dword v3, off, s[0:3], 0 offset:476
	s_waitcnt vmcnt(0)
	ds_write_b64 v135, v[1:2]
.LBB124_261:
	s_or_b32 exec_lo, exec_lo, s4
	s_waitcnt lgkmcnt(0)
	s_waitcnt_vscnt null, 0x0
	s_barrier
	buffer_gl0_inv
	s_clause 0x3
	buffer_load_dword v4, off, s[0:3], 0 offset:484
	buffer_load_dword v5, off, s[0:3], 0 offset:480
	;; [unrolled: 1-line block ×4, first 2 shown]
	v_mov_b32_e32 v1, 0
	s_mov_b32 s4, exec_lo
	ds_read_b64 v[2:3], v1 offset:976
	s_waitcnt vmcnt(3) lgkmcnt(0)
	v_mul_f32_e32 v8, v3, v4
	v_mul_f32_e32 v4, v2, v4
	s_waitcnt vmcnt(2)
	v_fma_f32 v2, v2, v5, -v8
	v_fmac_f32_e32 v4, v3, v5
	v_add_f32_e32 v2, 0, v2
	v_add_f32_e32 v3, 0, v4
	s_waitcnt vmcnt(1)
	v_sub_f32_e32 v2, v6, v2
	s_waitcnt vmcnt(0)
	v_sub_f32_e32 v3, v7, v3
	buffer_store_dword v2, off, s[0:3], 0 offset:472
	buffer_store_dword v3, off, s[0:3], 0 offset:476
	v_cmpx_lt_u32_e32 58, v0
	s_cbranch_execz .LBB124_263
; %bb.262:
	s_clause 0x1
	buffer_load_dword v2, off, s[0:3], 0 offset:464
	buffer_load_dword v3, off, s[0:3], 0 offset:468
	buffer_store_dword v1, off, s[0:3], 0 offset:464
	buffer_store_dword v1, off, s[0:3], 0 offset:468
	s_waitcnt vmcnt(0)
	ds_write_b64 v135, v[2:3]
.LBB124_263:
	s_or_b32 exec_lo, exec_lo, s4
	s_waitcnt lgkmcnt(0)
	s_waitcnt_vscnt null, 0x0
	s_barrier
	buffer_gl0_inv
	s_clause 0x5
	buffer_load_dword v5, off, s[0:3], 0 offset:476
	buffer_load_dword v6, off, s[0:3], 0 offset:484
	buffer_load_dword v7, off, s[0:3], 0 offset:472
	buffer_load_dword v8, off, s[0:3], 0 offset:480
	buffer_load_dword v9, off, s[0:3], 0 offset:464
	buffer_load_dword v10, off, s[0:3], 0 offset:468
	ds_read2_b64 v[1:4], v1 offset0:121 offset1:122
	s_mov_b32 s4, exec_lo
	s_waitcnt vmcnt(5) lgkmcnt(0)
	v_mul_f32_e32 v11, v2, v5
	v_mul_f32_e32 v5, v1, v5
	s_waitcnt vmcnt(4)
	v_mul_f32_e32 v12, v3, v6
	v_mul_f32_e32 v6, v4, v6
	s_waitcnt vmcnt(3)
	v_fma_f32 v1, v1, v7, -v11
	v_fmac_f32_e32 v5, v2, v7
	s_waitcnt vmcnt(2)
	v_fmac_f32_e32 v12, v4, v8
	v_fma_f32 v2, v3, v8, -v6
	v_add_f32_e32 v1, 0, v1
	v_add_f32_e32 v3, 0, v5
	;; [unrolled: 1-line block ×4, first 2 shown]
	s_waitcnt vmcnt(1)
	v_sub_f32_e32 v1, v9, v1
	s_waitcnt vmcnt(0)
	v_sub_f32_e32 v2, v10, v2
	buffer_store_dword v1, off, s[0:3], 0 offset:464
	buffer_store_dword v2, off, s[0:3], 0 offset:468
	v_cmpx_lt_u32_e32 57, v0
	s_cbranch_execz .LBB124_265
; %bb.264:
	s_clause 0x1
	buffer_load_dword v1, off, s[0:3], 0 offset:456
	buffer_load_dword v2, off, s[0:3], 0 offset:460
	v_mov_b32_e32 v3, 0
	buffer_store_dword v3, off, s[0:3], 0 offset:456
	buffer_store_dword v3, off, s[0:3], 0 offset:460
	s_waitcnt vmcnt(0)
	ds_write_b64 v135, v[1:2]
.LBB124_265:
	s_or_b32 exec_lo, exec_lo, s4
	s_waitcnt lgkmcnt(0)
	s_waitcnt_vscnt null, 0x0
	s_barrier
	buffer_gl0_inv
	s_clause 0x7
	buffer_load_dword v8, off, s[0:3], 0 offset:468
	buffer_load_dword v9, off, s[0:3], 0 offset:476
	;; [unrolled: 1-line block ×8, first 2 shown]
	v_mov_b32_e32 v1, 0
	ds_read_b128 v[2:5], v1 offset:960
	ds_read_b64 v[6:7], v1 offset:976
	s_mov_b32 s4, exec_lo
	s_waitcnt vmcnt(7) lgkmcnt(1)
	v_mul_f32_e32 v139, v3, v8
	v_mul_f32_e32 v8, v2, v8
	s_waitcnt vmcnt(6)
	v_mul_f32_e32 v140, v4, v9
	v_mul_f32_e32 v9, v5, v9
	s_waitcnt vmcnt(5) lgkmcnt(0)
	v_mul_f32_e32 v141, v6, v10
	s_waitcnt vmcnt(4)
	v_fma_f32 v2, v2, v11, -v139
	v_fmac_f32_e32 v8, v3, v11
	v_mul_f32_e32 v3, v7, v10
	s_waitcnt vmcnt(3)
	v_fma_f32 v4, v4, v12, -v9
	v_fmac_f32_e32 v140, v5, v12
	v_add_f32_e32 v2, 0, v2
	v_add_f32_e32 v5, 0, v8
	s_waitcnt vmcnt(2)
	v_fma_f32 v3, v6, v136, -v3
	v_fmac_f32_e32 v141, v7, v136
	v_add_f32_e32 v2, v2, v4
	v_add_f32_e32 v4, v5, v140
	;; [unrolled: 1-line block ×4, first 2 shown]
	s_waitcnt vmcnt(1)
	v_sub_f32_e32 v2, v137, v2
	s_waitcnt vmcnt(0)
	v_sub_f32_e32 v3, v138, v3
	buffer_store_dword v2, off, s[0:3], 0 offset:456
	buffer_store_dword v3, off, s[0:3], 0 offset:460
	v_cmpx_lt_u32_e32 56, v0
	s_cbranch_execz .LBB124_267
; %bb.266:
	s_clause 0x1
	buffer_load_dword v2, off, s[0:3], 0 offset:448
	buffer_load_dword v3, off, s[0:3], 0 offset:452
	buffer_store_dword v1, off, s[0:3], 0 offset:448
	buffer_store_dword v1, off, s[0:3], 0 offset:452
	s_waitcnt vmcnt(0)
	ds_write_b64 v135, v[2:3]
.LBB124_267:
	s_or_b32 exec_lo, exec_lo, s4
	s_waitcnt lgkmcnt(0)
	s_waitcnt_vscnt null, 0x0
	s_barrier
	buffer_gl0_inv
	s_clause 0x9
	buffer_load_dword v10, off, s[0:3], 0 offset:460
	buffer_load_dword v11, off, s[0:3], 0 offset:468
	;; [unrolled: 1-line block ×10, first 2 shown]
	ds_read2_b64 v[2:5], v1 offset0:119 offset1:120
	ds_read2_b64 v[6:9], v1 offset0:121 offset1:122
	s_mov_b32 s4, exec_lo
	s_waitcnt vmcnt(9) lgkmcnt(1)
	v_mul_f32_e32 v1, v2, v10
	v_mul_f32_e32 v10, v3, v10
	s_waitcnt vmcnt(8)
	v_mul_f32_e32 v143, v4, v11
	v_mul_f32_e32 v11, v5, v11
	s_waitcnt vmcnt(7) lgkmcnt(0)
	v_mul_f32_e32 v144, v6, v12
	s_waitcnt vmcnt(5)
	v_fmac_f32_e32 v1, v3, v137
	v_fma_f32 v2, v2, v137, -v10
	v_mul_f32_e32 v3, v7, v12
	s_waitcnt vmcnt(4)
	v_fma_f32 v4, v4, v138, -v11
	v_fmac_f32_e32 v143, v5, v138
	v_add_f32_e32 v1, 0, v1
	v_add_f32_e32 v2, 0, v2
	v_mul_f32_e32 v5, v9, v136
	s_waitcnt vmcnt(3)
	v_fma_f32 v3, v6, v139, -v3
	v_mul_f32_e32 v145, v8, v136
	v_fmac_f32_e32 v144, v7, v139
	v_add_f32_e32 v2, v2, v4
	v_add_f32_e32 v1, v1, v143
	s_waitcnt vmcnt(2)
	v_fma_f32 v4, v8, v140, -v5
	v_fmac_f32_e32 v145, v9, v140
	v_add_f32_e32 v2, v2, v3
	v_add_f32_e32 v1, v1, v144
	;; [unrolled: 1-line block ×4, first 2 shown]
	s_waitcnt vmcnt(1)
	v_sub_f32_e32 v2, v141, v2
	s_waitcnt vmcnt(0)
	v_sub_f32_e32 v1, v142, v1
	buffer_store_dword v2, off, s[0:3], 0 offset:448
	buffer_store_dword v1, off, s[0:3], 0 offset:452
	v_cmpx_lt_u32_e32 55, v0
	s_cbranch_execz .LBB124_269
; %bb.268:
	s_clause 0x1
	buffer_load_dword v1, off, s[0:3], 0 offset:440
	buffer_load_dword v2, off, s[0:3], 0 offset:444
	v_mov_b32_e32 v3, 0
	buffer_store_dword v3, off, s[0:3], 0 offset:440
	buffer_store_dword v3, off, s[0:3], 0 offset:444
	s_waitcnt vmcnt(0)
	ds_write_b64 v135, v[1:2]
.LBB124_269:
	s_or_b32 exec_lo, exec_lo, s4
	s_waitcnt lgkmcnt(0)
	s_waitcnt_vscnt null, 0x0
	s_barrier
	buffer_gl0_inv
	s_clause 0xb
	buffer_load_dword v12, off, s[0:3], 0 offset:452
	buffer_load_dword v136, off, s[0:3], 0 offset:460
	;; [unrolled: 1-line block ×12, first 2 shown]
	v_mov_b32_e32 v1, 0
	ds_read_b128 v[2:5], v1 offset:944
	ds_read_b128 v[6:9], v1 offset:960
	ds_read_b64 v[10:11], v1 offset:976
	s_mov_b32 s4, exec_lo
	s_waitcnt vmcnt(11) lgkmcnt(2)
	v_mul_f32_e32 v147, v2, v12
	v_mul_f32_e32 v12, v3, v12
	s_waitcnt vmcnt(10)
	v_mul_f32_e32 v148, v4, v136
	v_mul_f32_e32 v136, v5, v136
	s_waitcnt vmcnt(9) lgkmcnt(1)
	v_mul_f32_e32 v149, v6, v137
	s_waitcnt vmcnt(6)
	v_fmac_f32_e32 v147, v3, v140
	v_fma_f32 v2, v2, v140, -v12
	v_mul_f32_e32 v3, v7, v137
	s_waitcnt vmcnt(5)
	v_fma_f32 v4, v4, v141, -v136
	v_fmac_f32_e32 v148, v5, v141
	v_add_f32_e32 v5, 0, v147
	v_add_f32_e32 v2, 0, v2
	v_mul_f32_e32 v12, v9, v138
	s_waitcnt vmcnt(4)
	v_fma_f32 v3, v6, v142, -v3
	v_mul_f32_e32 v150, v8, v138
	v_fmac_f32_e32 v149, v7, v142
	v_add_f32_e32 v2, v2, v4
	v_add_f32_e32 v4, v5, v148
	s_waitcnt lgkmcnt(0)
	v_mul_f32_e32 v5, v11, v139
	s_waitcnt vmcnt(3)
	v_fma_f32 v6, v8, v143, -v12
	v_mul_f32_e32 v151, v10, v139
	v_add_f32_e32 v2, v2, v3
	v_fmac_f32_e32 v150, v9, v143
	v_add_f32_e32 v3, v4, v149
	s_waitcnt vmcnt(2)
	v_fma_f32 v4, v10, v144, -v5
	v_fmac_f32_e32 v151, v11, v144
	v_add_f32_e32 v2, v2, v6
	v_add_f32_e32 v3, v3, v150
	;; [unrolled: 1-line block ×4, first 2 shown]
	s_waitcnt vmcnt(1)
	v_sub_f32_e32 v2, v145, v2
	s_waitcnt vmcnt(0)
	v_sub_f32_e32 v3, v146, v3
	buffer_store_dword v2, off, s[0:3], 0 offset:440
	buffer_store_dword v3, off, s[0:3], 0 offset:444
	v_cmpx_lt_u32_e32 54, v0
	s_cbranch_execz .LBB124_271
; %bb.270:
	s_clause 0x1
	buffer_load_dword v2, off, s[0:3], 0 offset:432
	buffer_load_dword v3, off, s[0:3], 0 offset:436
	buffer_store_dword v1, off, s[0:3], 0 offset:432
	buffer_store_dword v1, off, s[0:3], 0 offset:436
	s_waitcnt vmcnt(0)
	ds_write_b64 v135, v[2:3]
.LBB124_271:
	s_or_b32 exec_lo, exec_lo, s4
	s_waitcnt lgkmcnt(0)
	s_waitcnt_vscnt null, 0x0
	s_barrier
	buffer_gl0_inv
	s_clause 0xd
	buffer_load_dword v10, off, s[0:3], 0 offset:444
	buffer_load_dword v11, off, s[0:3], 0 offset:452
	buffer_load_dword v12, off, s[0:3], 0 offset:460
	buffer_load_dword v140, off, s[0:3], 0 offset:468
	buffer_load_dword v141, off, s[0:3], 0 offset:476
	buffer_load_dword v142, off, s[0:3], 0 offset:484
	buffer_load_dword v143, off, s[0:3], 0 offset:440
	buffer_load_dword v144, off, s[0:3], 0 offset:448
	buffer_load_dword v145, off, s[0:3], 0 offset:456
	buffer_load_dword v146, off, s[0:3], 0 offset:464
	buffer_load_dword v147, off, s[0:3], 0 offset:472
	buffer_load_dword v148, off, s[0:3], 0 offset:480
	buffer_load_dword v149, off, s[0:3], 0 offset:432
	buffer_load_dword v150, off, s[0:3], 0 offset:436
	ds_read2_b64 v[2:5], v1 offset0:117 offset1:118
	ds_read2_b64 v[6:9], v1 offset0:119 offset1:120
	;; [unrolled: 1-line block ×3, first 2 shown]
	s_mov_b32 s4, exec_lo
	s_waitcnt vmcnt(13) lgkmcnt(2)
	v_mul_f32_e32 v1, v2, v10
	v_mul_f32_e32 v10, v3, v10
	s_waitcnt vmcnt(12)
	v_mul_f32_e32 v151, v4, v11
	v_mul_f32_e32 v11, v5, v11
	s_waitcnt vmcnt(11) lgkmcnt(1)
	v_mul_f32_e32 v152, v6, v12
	s_waitcnt vmcnt(10)
	v_mul_f32_e32 v153, v8, v140
	s_waitcnt vmcnt(7)
	v_fma_f32 v2, v2, v143, -v10
	v_fmac_f32_e32 v1, v3, v143
	v_mul_f32_e32 v3, v7, v12
	s_waitcnt vmcnt(6)
	v_fma_f32 v4, v4, v144, -v11
	v_fmac_f32_e32 v151, v5, v144
	v_add_f32_e32 v2, 0, v2
	v_add_f32_e32 v1, 0, v1
	v_mul_f32_e32 v5, v9, v140
	s_waitcnt vmcnt(5)
	v_fma_f32 v3, v6, v145, -v3
	v_fmac_f32_e32 v152, v7, v145
	v_add_f32_e32 v2, v2, v4
	v_add_f32_e32 v1, v1, v151
	s_waitcnt lgkmcnt(0)
	v_mul_f32_e32 v4, v137, v141
	s_waitcnt vmcnt(4)
	v_fma_f32 v5, v8, v146, -v5
	v_mul_f32_e32 v154, v136, v141
	v_add_f32_e32 v2, v2, v3
	v_fmac_f32_e32 v153, v9, v146
	v_add_f32_e32 v1, v1, v152
	v_mul_f32_e32 v3, v139, v142
	s_waitcnt vmcnt(3)
	v_fma_f32 v4, v136, v147, -v4
	v_add_f32_e32 v2, v2, v5
	v_mul_f32_e32 v155, v138, v142
	v_fmac_f32_e32 v154, v137, v147
	v_add_f32_e32 v1, v1, v153
	s_waitcnt vmcnt(2)
	v_fma_f32 v3, v138, v148, -v3
	v_add_f32_e32 v2, v2, v4
	v_fmac_f32_e32 v155, v139, v148
	v_add_f32_e32 v1, v1, v154
	v_add_f32_e32 v2, v2, v3
	;; [unrolled: 1-line block ×3, first 2 shown]
	s_waitcnt vmcnt(1)
	v_sub_f32_e32 v2, v149, v2
	s_waitcnt vmcnt(0)
	v_sub_f32_e32 v1, v150, v1
	buffer_store_dword v2, off, s[0:3], 0 offset:432
	buffer_store_dword v1, off, s[0:3], 0 offset:436
	v_cmpx_lt_u32_e32 53, v0
	s_cbranch_execz .LBB124_273
; %bb.272:
	s_clause 0x1
	buffer_load_dword v1, off, s[0:3], 0 offset:424
	buffer_load_dword v2, off, s[0:3], 0 offset:428
	v_mov_b32_e32 v3, 0
	buffer_store_dword v3, off, s[0:3], 0 offset:424
	buffer_store_dword v3, off, s[0:3], 0 offset:428
	s_waitcnt vmcnt(0)
	ds_write_b64 v135, v[1:2]
.LBB124_273:
	s_or_b32 exec_lo, exec_lo, s4
	s_waitcnt lgkmcnt(0)
	s_waitcnt_vscnt null, 0x0
	s_barrier
	buffer_gl0_inv
	s_clause 0xf
	buffer_load_dword v12, off, s[0:3], 0 offset:436
	buffer_load_dword v140, off, s[0:3], 0 offset:444
	buffer_load_dword v141, off, s[0:3], 0 offset:452
	buffer_load_dword v142, off, s[0:3], 0 offset:460
	buffer_load_dword v143, off, s[0:3], 0 offset:468
	buffer_load_dword v144, off, s[0:3], 0 offset:476
	buffer_load_dword v145, off, s[0:3], 0 offset:484
	buffer_load_dword v146, off, s[0:3], 0 offset:432
	buffer_load_dword v147, off, s[0:3], 0 offset:440
	buffer_load_dword v148, off, s[0:3], 0 offset:448
	buffer_load_dword v149, off, s[0:3], 0 offset:456
	buffer_load_dword v150, off, s[0:3], 0 offset:464
	buffer_load_dword v151, off, s[0:3], 0 offset:472
	buffer_load_dword v152, off, s[0:3], 0 offset:480
	buffer_load_dword v153, off, s[0:3], 0 offset:424
	buffer_load_dword v154, off, s[0:3], 0 offset:428
	v_mov_b32_e32 v1, 0
	ds_read_b128 v[2:5], v1 offset:928
	ds_read_b128 v[6:9], v1 offset:944
	;; [unrolled: 1-line block ×3, first 2 shown]
	ds_read_b64 v[10:11], v1 offset:976
	s_mov_b32 s4, exec_lo
	s_waitcnt vmcnt(15) lgkmcnt(3)
	v_mul_f32_e32 v155, v2, v12
	v_mul_f32_e32 v12, v3, v12
	s_waitcnt vmcnt(14)
	v_mul_f32_e32 v156, v4, v140
	v_mul_f32_e32 v140, v5, v140
	s_waitcnt vmcnt(13) lgkmcnt(2)
	v_mul_f32_e32 v157, v6, v141
	s_waitcnt vmcnt(12)
	v_mul_f32_e32 v158, v8, v142
	s_waitcnt vmcnt(11) lgkmcnt(1)
	v_mul_f32_e32 v159, v136, v143
	s_waitcnt vmcnt(8)
	v_fma_f32 v2, v2, v146, -v12
	v_fmac_f32_e32 v155, v3, v146
	v_mul_f32_e32 v3, v7, v141
	s_waitcnt vmcnt(7)
	v_fma_f32 v4, v4, v147, -v140
	v_fmac_f32_e32 v156, v5, v147
	v_add_f32_e32 v2, 0, v2
	v_add_f32_e32 v5, 0, v155
	v_mul_f32_e32 v12, v9, v142
	s_waitcnt vmcnt(6)
	v_fma_f32 v3, v6, v148, -v3
	v_fmac_f32_e32 v157, v7, v148
	v_add_f32_e32 v2, v2, v4
	v_add_f32_e32 v4, v5, v156
	;; [unrolled: 6-line block ×3, first 2 shown]
	v_mul_f32_e32 v4, v139, v144
	s_waitcnt vmcnt(4)
	v_fma_f32 v5, v136, v150, -v5
	v_mul_f32_e32 v160, v138, v144
	v_add_f32_e32 v2, v2, v6
	v_fmac_f32_e32 v159, v137, v150
	v_add_f32_e32 v3, v3, v158
	s_waitcnt lgkmcnt(0)
	v_mul_f32_e32 v6, v11, v145
	s_waitcnt vmcnt(3)
	v_fma_f32 v4, v138, v151, -v4
	v_add_f32_e32 v2, v2, v5
	v_mul_f32_e32 v161, v10, v145
	v_fmac_f32_e32 v160, v139, v151
	v_add_f32_e32 v3, v3, v159
	s_waitcnt vmcnt(2)
	v_fma_f32 v5, v10, v152, -v6
	v_add_f32_e32 v2, v2, v4
	v_fmac_f32_e32 v161, v11, v152
	v_add_f32_e32 v3, v3, v160
	v_add_f32_e32 v2, v2, v5
	;; [unrolled: 1-line block ×3, first 2 shown]
	s_waitcnt vmcnt(1)
	v_sub_f32_e32 v2, v153, v2
	s_waitcnt vmcnt(0)
	v_sub_f32_e32 v3, v154, v3
	buffer_store_dword v2, off, s[0:3], 0 offset:424
	buffer_store_dword v3, off, s[0:3], 0 offset:428
	v_cmpx_lt_u32_e32 52, v0
	s_cbranch_execz .LBB124_275
; %bb.274:
	s_clause 0x1
	buffer_load_dword v2, off, s[0:3], 0 offset:416
	buffer_load_dword v3, off, s[0:3], 0 offset:420
	buffer_store_dword v1, off, s[0:3], 0 offset:416
	buffer_store_dword v1, off, s[0:3], 0 offset:420
	s_waitcnt vmcnt(0)
	ds_write_b64 v135, v[2:3]
.LBB124_275:
	s_or_b32 exec_lo, exec_lo, s4
	s_waitcnt lgkmcnt(0)
	s_waitcnt_vscnt null, 0x0
	s_barrier
	buffer_gl0_inv
	s_clause 0x11
	buffer_load_dword v10, off, s[0:3], 0 offset:428
	buffer_load_dword v11, off, s[0:3], 0 offset:436
	buffer_load_dword v12, off, s[0:3], 0 offset:444
	buffer_load_dword v144, off, s[0:3], 0 offset:452
	buffer_load_dword v145, off, s[0:3], 0 offset:460
	buffer_load_dword v146, off, s[0:3], 0 offset:468
	buffer_load_dword v147, off, s[0:3], 0 offset:476
	buffer_load_dword v148, off, s[0:3], 0 offset:484
	buffer_load_dword v149, off, s[0:3], 0 offset:424
	buffer_load_dword v150, off, s[0:3], 0 offset:432
	buffer_load_dword v151, off, s[0:3], 0 offset:440
	buffer_load_dword v152, off, s[0:3], 0 offset:448
	buffer_load_dword v153, off, s[0:3], 0 offset:456
	buffer_load_dword v154, off, s[0:3], 0 offset:464
	buffer_load_dword v155, off, s[0:3], 0 offset:472
	buffer_load_dword v156, off, s[0:3], 0 offset:480
	buffer_load_dword v157, off, s[0:3], 0 offset:416
	buffer_load_dword v158, off, s[0:3], 0 offset:420
	ds_read2_b64 v[2:5], v1 offset0:115 offset1:116
	ds_read2_b64 v[6:9], v1 offset0:117 offset1:118
	;; [unrolled: 1-line block ×4, first 2 shown]
	s_mov_b32 s4, exec_lo
	s_waitcnt vmcnt(17) lgkmcnt(3)
	v_mul_f32_e32 v1, v2, v10
	v_mul_f32_e32 v10, v3, v10
	s_waitcnt vmcnt(16)
	v_mul_f32_e32 v159, v4, v11
	v_mul_f32_e32 v11, v5, v11
	s_waitcnt vmcnt(15) lgkmcnt(2)
	v_mul_f32_e32 v160, v6, v12
	s_waitcnt vmcnt(14)
	v_mul_f32_e32 v161, v8, v144
	s_waitcnt vmcnt(13) lgkmcnt(1)
	v_mul_f32_e32 v162, v136, v145
	s_waitcnt vmcnt(12)
	v_mul_f32_e32 v163, v138, v146
	s_waitcnt vmcnt(9)
	v_fma_f32 v2, v2, v149, -v10
	v_fmac_f32_e32 v1, v3, v149
	v_mul_f32_e32 v3, v7, v12
	s_waitcnt vmcnt(8)
	v_fma_f32 v4, v4, v150, -v11
	v_fmac_f32_e32 v159, v5, v150
	v_add_f32_e32 v2, 0, v2
	v_add_f32_e32 v1, 0, v1
	v_mul_f32_e32 v5, v9, v144
	s_waitcnt vmcnt(7)
	v_fma_f32 v3, v6, v151, -v3
	v_fmac_f32_e32 v160, v7, v151
	v_add_f32_e32 v2, v2, v4
	v_add_f32_e32 v1, v1, v159
	v_mul_f32_e32 v4, v137, v145
	s_waitcnt vmcnt(6)
	v_fma_f32 v5, v8, v152, -v5
	v_fmac_f32_e32 v161, v9, v152
	v_add_f32_e32 v2, v2, v3
	v_add_f32_e32 v1, v1, v160
	v_mul_f32_e32 v3, v139, v146
	s_waitcnt vmcnt(5)
	v_fma_f32 v4, v136, v153, -v4
	v_fmac_f32_e32 v162, v137, v153
	v_add_f32_e32 v2, v2, v5
	v_add_f32_e32 v1, v1, v161
	s_waitcnt lgkmcnt(0)
	v_mul_f32_e32 v5, v141, v147
	s_waitcnt vmcnt(4)
	v_fma_f32 v3, v138, v154, -v3
	v_mul_f32_e32 v164, v140, v147
	v_add_f32_e32 v2, v2, v4
	v_fmac_f32_e32 v163, v139, v154
	v_add_f32_e32 v1, v1, v162
	v_mul_f32_e32 v4, v143, v148
	s_waitcnt vmcnt(3)
	v_fma_f32 v5, v140, v155, -v5
	v_add_f32_e32 v2, v2, v3
	v_mul_f32_e32 v165, v142, v148
	v_fmac_f32_e32 v164, v141, v155
	v_add_f32_e32 v1, v1, v163
	s_waitcnt vmcnt(2)
	v_fma_f32 v3, v142, v156, -v4
	v_add_f32_e32 v2, v2, v5
	v_fmac_f32_e32 v165, v143, v156
	v_add_f32_e32 v1, v1, v164
	v_add_f32_e32 v2, v2, v3
	v_add_f32_e32 v1, v1, v165
	s_waitcnt vmcnt(1)
	v_sub_f32_e32 v2, v157, v2
	s_waitcnt vmcnt(0)
	v_sub_f32_e32 v1, v158, v1
	buffer_store_dword v2, off, s[0:3], 0 offset:416
	buffer_store_dword v1, off, s[0:3], 0 offset:420
	v_cmpx_lt_u32_e32 51, v0
	s_cbranch_execz .LBB124_277
; %bb.276:
	s_clause 0x1
	buffer_load_dword v1, off, s[0:3], 0 offset:408
	buffer_load_dword v2, off, s[0:3], 0 offset:412
	v_mov_b32_e32 v3, 0
	buffer_store_dword v3, off, s[0:3], 0 offset:408
	buffer_store_dword v3, off, s[0:3], 0 offset:412
	s_waitcnt vmcnt(0)
	ds_write_b64 v135, v[1:2]
.LBB124_277:
	s_or_b32 exec_lo, exec_lo, s4
	s_waitcnt lgkmcnt(0)
	s_waitcnt_vscnt null, 0x0
	s_barrier
	buffer_gl0_inv
	s_clause 0x13
	buffer_load_dword v12, off, s[0:3], 0 offset:420
	buffer_load_dword v144, off, s[0:3], 0 offset:428
	;; [unrolled: 1-line block ×20, first 2 shown]
	v_mov_b32_e32 v1, 0
	ds_read_b128 v[2:5], v1 offset:912
	ds_read_b128 v[6:9], v1 offset:928
	;; [unrolled: 1-line block ×4, first 2 shown]
	ds_read_b64 v[10:11], v1 offset:976
	s_mov_b32 s4, exec_lo
	s_waitcnt vmcnt(19) lgkmcnt(4)
	v_mul_f32_e32 v163, v2, v12
	v_mul_f32_e32 v12, v3, v12
	s_waitcnt vmcnt(18)
	v_mul_f32_e32 v164, v4, v144
	v_mul_f32_e32 v144, v5, v144
	s_waitcnt vmcnt(17) lgkmcnt(3)
	v_mul_f32_e32 v165, v6, v145
	s_waitcnt vmcnt(16)
	v_mul_f32_e32 v166, v8, v146
	s_waitcnt vmcnt(15) lgkmcnt(2)
	v_mul_f32_e32 v167, v136, v147
	s_waitcnt vmcnt(14)
	;; [unrolled: 4-line block ×3, first 2 shown]
	v_fma_f32 v2, v2, v152, -v12
	v_fmac_f32_e32 v163, v3, v152
	v_mul_f32_e32 v3, v7, v145
	s_waitcnt vmcnt(9)
	v_fma_f32 v4, v4, v153, -v144
	v_fmac_f32_e32 v164, v5, v153
	v_add_f32_e32 v2, 0, v2
	v_add_f32_e32 v5, 0, v163
	v_mul_f32_e32 v12, v9, v146
	s_waitcnt vmcnt(8)
	v_fma_f32 v3, v6, v154, -v3
	v_fmac_f32_e32 v165, v7, v154
	v_add_f32_e32 v2, v2, v4
	v_add_f32_e32 v4, v5, v164
	;; [unrolled: 6-line block ×5, first 2 shown]
	v_mul_f32_e32 v5, v143, v150
	s_waitcnt vmcnt(4)
	v_fma_f32 v6, v140, v158, -v6
	v_mul_f32_e32 v170, v142, v150
	v_add_f32_e32 v2, v2, v4
	v_fmac_f32_e32 v169, v141, v158
	v_add_f32_e32 v3, v3, v168
	s_waitcnt lgkmcnt(0)
	v_mul_f32_e32 v4, v11, v151
	s_waitcnt vmcnt(3)
	v_fma_f32 v5, v142, v159, -v5
	v_add_f32_e32 v2, v2, v6
	v_mul_f32_e32 v171, v10, v151
	v_fmac_f32_e32 v170, v143, v159
	v_add_f32_e32 v3, v3, v169
	s_waitcnt vmcnt(2)
	v_fma_f32 v4, v10, v160, -v4
	v_add_f32_e32 v2, v2, v5
	v_fmac_f32_e32 v171, v11, v160
	v_add_f32_e32 v3, v3, v170
	v_add_f32_e32 v2, v2, v4
	;; [unrolled: 1-line block ×3, first 2 shown]
	s_waitcnt vmcnt(1)
	v_sub_f32_e32 v2, v161, v2
	s_waitcnt vmcnt(0)
	v_sub_f32_e32 v3, v162, v3
	buffer_store_dword v2, off, s[0:3], 0 offset:408
	buffer_store_dword v3, off, s[0:3], 0 offset:412
	v_cmpx_lt_u32_e32 50, v0
	s_cbranch_execz .LBB124_279
; %bb.278:
	s_clause 0x1
	buffer_load_dword v2, off, s[0:3], 0 offset:400
	buffer_load_dword v3, off, s[0:3], 0 offset:404
	buffer_store_dword v1, off, s[0:3], 0 offset:400
	buffer_store_dword v1, off, s[0:3], 0 offset:404
	s_waitcnt vmcnt(0)
	ds_write_b64 v135, v[2:3]
.LBB124_279:
	s_or_b32 exec_lo, exec_lo, s4
	s_waitcnt lgkmcnt(0)
	s_waitcnt_vscnt null, 0x0
	s_barrier
	buffer_gl0_inv
	s_clause 0x15
	buffer_load_dword v10, off, s[0:3], 0 offset:412
	buffer_load_dword v11, off, s[0:3], 0 offset:420
	;; [unrolled: 1-line block ×22, first 2 shown]
	ds_read2_b64 v[2:5], v1 offset0:113 offset1:114
	ds_read2_b64 v[6:9], v1 offset0:115 offset1:116
	ds_read2_b64 v[136:139], v1 offset0:117 offset1:118
	ds_read2_b64 v[140:143], v1 offset0:119 offset1:120
	ds_read2_b64 v[144:147], v1 offset0:121 offset1:122
	s_mov_b32 s4, exec_lo
	s_waitcnt vmcnt(21) lgkmcnt(4)
	v_mul_f32_e32 v1, v2, v10
	v_mul_f32_e32 v10, v3, v10
	s_waitcnt vmcnt(20)
	v_mul_f32_e32 v167, v4, v11
	v_mul_f32_e32 v11, v5, v11
	s_waitcnt vmcnt(19) lgkmcnt(3)
	v_mul_f32_e32 v168, v6, v12
	s_waitcnt vmcnt(18)
	v_mul_f32_e32 v169, v8, v148
	s_waitcnt vmcnt(17) lgkmcnt(2)
	v_mul_f32_e32 v170, v136, v149
	s_waitcnt vmcnt(16)
	;; [unrolled: 4-line block ×3, first 2 shown]
	v_mul_f32_e32 v173, v142, v152
	s_waitcnt vmcnt(11)
	v_fma_f32 v2, v2, v155, -v10
	v_fmac_f32_e32 v1, v3, v155
	v_mul_f32_e32 v3, v7, v12
	s_waitcnt vmcnt(10)
	v_fma_f32 v4, v4, v156, -v11
	v_fmac_f32_e32 v167, v5, v156
	v_add_f32_e32 v2, 0, v2
	v_add_f32_e32 v1, 0, v1
	v_mul_f32_e32 v5, v9, v148
	s_waitcnt vmcnt(9)
	v_fma_f32 v3, v6, v157, -v3
	v_fmac_f32_e32 v168, v7, v157
	v_add_f32_e32 v2, v2, v4
	v_add_f32_e32 v1, v1, v167
	;; [unrolled: 6-line block ×6, first 2 shown]
	s_waitcnt lgkmcnt(0)
	v_mul_f32_e32 v3, v145, v153
	s_waitcnt vmcnt(4)
	v_fma_f32 v4, v142, v162, -v4
	v_mul_f32_e32 v174, v144, v153
	v_add_f32_e32 v2, v2, v5
	v_fmac_f32_e32 v173, v143, v162
	v_add_f32_e32 v1, v1, v172
	v_mul_f32_e32 v5, v147, v154
	s_waitcnt vmcnt(3)
	v_fma_f32 v3, v144, v163, -v3
	v_add_f32_e32 v2, v2, v4
	v_mul_f32_e32 v175, v146, v154
	v_fmac_f32_e32 v174, v145, v163
	v_add_f32_e32 v1, v1, v173
	s_waitcnt vmcnt(2)
	v_fma_f32 v4, v146, v164, -v5
	v_add_f32_e32 v2, v2, v3
	v_fmac_f32_e32 v175, v147, v164
	v_add_f32_e32 v1, v1, v174
	v_add_f32_e32 v2, v2, v4
	;; [unrolled: 1-line block ×3, first 2 shown]
	s_waitcnt vmcnt(1)
	v_sub_f32_e32 v2, v165, v2
	s_waitcnt vmcnt(0)
	v_sub_f32_e32 v1, v166, v1
	buffer_store_dword v2, off, s[0:3], 0 offset:400
	buffer_store_dword v1, off, s[0:3], 0 offset:404
	v_cmpx_lt_u32_e32 49, v0
	s_cbranch_execz .LBB124_281
; %bb.280:
	s_clause 0x1
	buffer_load_dword v1, off, s[0:3], 0 offset:392
	buffer_load_dword v2, off, s[0:3], 0 offset:396
	v_mov_b32_e32 v3, 0
	buffer_store_dword v3, off, s[0:3], 0 offset:392
	buffer_store_dword v3, off, s[0:3], 0 offset:396
	s_waitcnt vmcnt(0)
	ds_write_b64 v135, v[1:2]
.LBB124_281:
	s_or_b32 exec_lo, exec_lo, s4
	s_waitcnt lgkmcnt(0)
	s_waitcnt_vscnt null, 0x0
	s_barrier
	buffer_gl0_inv
	s_clause 0x17
	buffer_load_dword v12, off, s[0:3], 0 offset:404
	buffer_load_dword v148, off, s[0:3], 0 offset:412
	;; [unrolled: 1-line block ×24, first 2 shown]
	v_mov_b32_e32 v1, 0
	ds_read_b128 v[2:5], v1 offset:896
	ds_read_b128 v[6:9], v1 offset:912
	;; [unrolled: 1-line block ×5, first 2 shown]
	ds_read_b64 v[10:11], v1 offset:976
	s_mov_b32 s4, exec_lo
	s_waitcnt vmcnt(23) lgkmcnt(5)
	v_mul_f32_e32 v171, v2, v12
	v_mul_f32_e32 v12, v3, v12
	s_waitcnt vmcnt(22)
	v_mul_f32_e32 v172, v4, v148
	v_mul_f32_e32 v148, v5, v148
	s_waitcnt vmcnt(21) lgkmcnt(4)
	v_mul_f32_e32 v173, v6, v149
	s_waitcnt vmcnt(20)
	v_mul_f32_e32 v174, v8, v150
	s_waitcnt vmcnt(19) lgkmcnt(3)
	v_mul_f32_e32 v175, v136, v151
	s_waitcnt vmcnt(18)
	v_mul_f32_e32 v176, v138, v152
	s_waitcnt vmcnt(17) lgkmcnt(2)
	v_mul_f32_e32 v177, v140, v153
	s_waitcnt vmcnt(16)
	v_mul_f32_e32 v178, v142, v154
	s_waitcnt vmcnt(15) lgkmcnt(1)
	v_mul_f32_e32 v179, v144, v155
	s_waitcnt vmcnt(12)
	v_fma_f32 v2, v2, v158, -v12
	v_fmac_f32_e32 v171, v3, v158
	v_mul_f32_e32 v3, v7, v149
	s_waitcnt vmcnt(11)
	v_fma_f32 v4, v4, v159, -v148
	v_fmac_f32_e32 v172, v5, v159
	v_add_f32_e32 v2, 0, v2
	v_add_f32_e32 v5, 0, v171
	v_mul_f32_e32 v12, v9, v150
	s_waitcnt vmcnt(10)
	v_fma_f32 v3, v6, v160, -v3
	v_fmac_f32_e32 v173, v7, v160
	v_add_f32_e32 v2, v2, v4
	v_add_f32_e32 v4, v5, v172
	;; [unrolled: 6-line block ×7, first 2 shown]
	v_mul_f32_e32 v6, v147, v156
	s_waitcnt vmcnt(4)
	v_fma_f32 v4, v144, v166, -v4
	v_mul_f32_e32 v180, v146, v156
	v_add_f32_e32 v2, v2, v5
	v_fmac_f32_e32 v179, v145, v166
	v_add_f32_e32 v3, v3, v178
	s_waitcnt lgkmcnt(0)
	v_mul_f32_e32 v5, v11, v157
	s_waitcnt vmcnt(3)
	v_fma_f32 v6, v146, v167, -v6
	v_add_f32_e32 v2, v2, v4
	v_mul_f32_e32 v181, v10, v157
	v_fmac_f32_e32 v180, v147, v167
	v_add_f32_e32 v3, v3, v179
	s_waitcnt vmcnt(2)
	v_fma_f32 v4, v10, v168, -v5
	v_add_f32_e32 v2, v2, v6
	v_fmac_f32_e32 v181, v11, v168
	v_add_f32_e32 v3, v3, v180
	v_add_f32_e32 v2, v2, v4
	;; [unrolled: 1-line block ×3, first 2 shown]
	s_waitcnt vmcnt(1)
	v_sub_f32_e32 v2, v169, v2
	s_waitcnt vmcnt(0)
	v_sub_f32_e32 v3, v170, v3
	buffer_store_dword v2, off, s[0:3], 0 offset:392
	buffer_store_dword v3, off, s[0:3], 0 offset:396
	v_cmpx_lt_u32_e32 48, v0
	s_cbranch_execz .LBB124_283
; %bb.282:
	s_clause 0x1
	buffer_load_dword v2, off, s[0:3], 0 offset:384
	buffer_load_dword v3, off, s[0:3], 0 offset:388
	buffer_store_dword v1, off, s[0:3], 0 offset:384
	buffer_store_dword v1, off, s[0:3], 0 offset:388
	s_waitcnt vmcnt(0)
	ds_write_b64 v135, v[2:3]
.LBB124_283:
	s_or_b32 exec_lo, exec_lo, s4
	s_waitcnt lgkmcnt(0)
	s_waitcnt_vscnt null, 0x0
	s_barrier
	buffer_gl0_inv
	s_clause 0x19
	buffer_load_dword v10, off, s[0:3], 0 offset:396
	buffer_load_dword v11, off, s[0:3], 0 offset:404
	;; [unrolled: 1-line block ×26, first 2 shown]
	ds_read2_b64 v[2:5], v1 offset0:111 offset1:112
	ds_read2_b64 v[6:9], v1 offset0:113 offset1:114
	ds_read2_b64 v[136:139], v1 offset0:115 offset1:116
	ds_read2_b64 v[140:143], v1 offset0:117 offset1:118
	ds_read2_b64 v[144:147], v1 offset0:119 offset1:120
	ds_read2_b64 v[148:151], v1 offset0:121 offset1:122
	s_mov_b32 s4, exec_lo
	s_waitcnt vmcnt(25) lgkmcnt(5)
	v_mul_f32_e32 v1, v2, v10
	v_mul_f32_e32 v10, v3, v10
	s_waitcnt vmcnt(24)
	v_mul_f32_e32 v175, v4, v11
	v_mul_f32_e32 v11, v5, v11
	s_waitcnt vmcnt(23) lgkmcnt(4)
	v_mul_f32_e32 v176, v6, v12
	s_waitcnt vmcnt(22)
	v_mul_f32_e32 v177, v8, v152
	s_waitcnt vmcnt(21) lgkmcnt(3)
	v_mul_f32_e32 v178, v136, v153
	s_waitcnt vmcnt(20)
	;; [unrolled: 4-line block ×4, first 2 shown]
	v_mul_f32_e32 v183, v146, v158
	s_waitcnt vmcnt(13)
	v_fma_f32 v2, v2, v161, -v10
	v_fmac_f32_e32 v1, v3, v161
	v_mul_f32_e32 v3, v7, v12
	s_waitcnt vmcnt(12)
	v_fma_f32 v4, v4, v162, -v11
	v_fmac_f32_e32 v175, v5, v162
	v_add_f32_e32 v2, 0, v2
	v_add_f32_e32 v1, 0, v1
	v_mul_f32_e32 v5, v9, v152
	s_waitcnt vmcnt(11)
	v_fma_f32 v3, v6, v163, -v3
	v_fmac_f32_e32 v176, v7, v163
	v_add_f32_e32 v2, v2, v4
	v_add_f32_e32 v1, v1, v175
	v_mul_f32_e32 v4, v137, v153
	s_waitcnt vmcnt(10)
	v_fma_f32 v5, v8, v164, -v5
	v_fmac_f32_e32 v177, v9, v164
	v_add_f32_e32 v2, v2, v3
	v_add_f32_e32 v1, v1, v176
	v_mul_f32_e32 v3, v139, v154
	s_waitcnt vmcnt(9)
	v_fma_f32 v4, v136, v165, -v4
	v_fmac_f32_e32 v178, v137, v165
	v_add_f32_e32 v2, v2, v5
	v_add_f32_e32 v1, v1, v177
	v_mul_f32_e32 v5, v141, v155
	s_waitcnt vmcnt(8)
	v_fma_f32 v3, v138, v166, -v3
	v_fmac_f32_e32 v179, v139, v166
	v_add_f32_e32 v2, v2, v4
	v_add_f32_e32 v1, v1, v178
	v_mul_f32_e32 v4, v143, v156
	s_waitcnt vmcnt(7)
	v_fma_f32 v5, v140, v167, -v5
	v_fmac_f32_e32 v180, v141, v167
	v_add_f32_e32 v2, v2, v3
	v_add_f32_e32 v1, v1, v179
	v_mul_f32_e32 v3, v145, v157
	s_waitcnt vmcnt(6)
	v_fma_f32 v4, v142, v168, -v4
	v_fmac_f32_e32 v181, v143, v168
	v_add_f32_e32 v2, v2, v5
	v_add_f32_e32 v1, v1, v180
	v_mul_f32_e32 v5, v147, v158
	s_waitcnt vmcnt(5)
	v_fma_f32 v3, v144, v169, -v3
	v_fmac_f32_e32 v182, v145, v169
	v_add_f32_e32 v2, v2, v4
	v_add_f32_e32 v1, v1, v181
	s_waitcnt lgkmcnt(0)
	v_mul_f32_e32 v4, v149, v159
	s_waitcnt vmcnt(4)
	v_fma_f32 v5, v146, v170, -v5
	v_mul_f32_e32 v184, v148, v159
	v_add_f32_e32 v2, v2, v3
	v_fmac_f32_e32 v183, v147, v170
	v_add_f32_e32 v1, v1, v182
	v_mul_f32_e32 v3, v151, v160
	s_waitcnt vmcnt(3)
	v_fma_f32 v4, v148, v171, -v4
	v_add_f32_e32 v2, v2, v5
	v_mul_f32_e32 v185, v150, v160
	v_fmac_f32_e32 v184, v149, v171
	v_add_f32_e32 v1, v1, v183
	s_waitcnt vmcnt(2)
	v_fma_f32 v3, v150, v172, -v3
	v_add_f32_e32 v2, v2, v4
	v_fmac_f32_e32 v185, v151, v172
	v_add_f32_e32 v1, v1, v184
	v_add_f32_e32 v2, v2, v3
	;; [unrolled: 1-line block ×3, first 2 shown]
	s_waitcnt vmcnt(1)
	v_sub_f32_e32 v2, v173, v2
	s_waitcnt vmcnt(0)
	v_sub_f32_e32 v1, v174, v1
	buffer_store_dword v2, off, s[0:3], 0 offset:384
	buffer_store_dword v1, off, s[0:3], 0 offset:388
	v_cmpx_lt_u32_e32 47, v0
	s_cbranch_execz .LBB124_285
; %bb.284:
	s_clause 0x1
	buffer_load_dword v1, off, s[0:3], 0 offset:376
	buffer_load_dword v2, off, s[0:3], 0 offset:380
	v_mov_b32_e32 v3, 0
	buffer_store_dword v3, off, s[0:3], 0 offset:376
	buffer_store_dword v3, off, s[0:3], 0 offset:380
	s_waitcnt vmcnt(0)
	ds_write_b64 v135, v[1:2]
.LBB124_285:
	s_or_b32 exec_lo, exec_lo, s4
	s_waitcnt lgkmcnt(0)
	s_waitcnt_vscnt null, 0x0
	s_barrier
	buffer_gl0_inv
	s_clause 0x1b
	buffer_load_dword v12, off, s[0:3], 0 offset:388
	buffer_load_dword v152, off, s[0:3], 0 offset:396
	;; [unrolled: 1-line block ×28, first 2 shown]
	v_mov_b32_e32 v1, 0
	ds_read_b128 v[2:5], v1 offset:880
	ds_read_b128 v[6:9], v1 offset:896
	;; [unrolled: 1-line block ×6, first 2 shown]
	ds_read_b64 v[10:11], v1 offset:976
	s_mov_b32 s4, exec_lo
	s_waitcnt vmcnt(27) lgkmcnt(6)
	v_mul_f32_e32 v179, v2, v12
	v_mul_f32_e32 v12, v3, v12
	s_waitcnt vmcnt(26)
	v_mul_f32_e32 v180, v4, v152
	v_mul_f32_e32 v152, v5, v152
	s_waitcnt vmcnt(25) lgkmcnt(5)
	v_mul_f32_e32 v181, v6, v153
	s_waitcnt vmcnt(24)
	v_mul_f32_e32 v182, v8, v154
	s_waitcnt vmcnt(23) lgkmcnt(4)
	v_mul_f32_e32 v183, v136, v155
	s_waitcnt vmcnt(22)
	v_mul_f32_e32 v184, v138, v156
	s_waitcnt vmcnt(21) lgkmcnt(3)
	v_mul_f32_e32 v185, v140, v157
	s_waitcnt vmcnt(20)
	v_mul_f32_e32 v186, v142, v158
	s_waitcnt vmcnt(19) lgkmcnt(2)
	v_mul_f32_e32 v187, v144, v159
	s_waitcnt vmcnt(18)
	v_mul_f32_e32 v188, v146, v160
	s_waitcnt vmcnt(17) lgkmcnt(1)
	v_mul_f32_e32 v189, v148, v161
	s_waitcnt vmcnt(14)
	v_fma_f32 v2, v2, v164, -v12
	v_fmac_f32_e32 v179, v3, v164
	v_mul_f32_e32 v3, v7, v153
	s_waitcnt vmcnt(13)
	v_fma_f32 v4, v4, v165, -v152
	v_fmac_f32_e32 v180, v5, v165
	v_add_f32_e32 v2, 0, v2
	v_add_f32_e32 v5, 0, v179
	v_mul_f32_e32 v12, v9, v154
	s_waitcnt vmcnt(12)
	v_fma_f32 v3, v6, v166, -v3
	v_fmac_f32_e32 v181, v7, v166
	v_add_f32_e32 v2, v2, v4
	v_add_f32_e32 v4, v5, v180
	;; [unrolled: 6-line block ×9, first 2 shown]
	v_mul_f32_e32 v4, v151, v162
	s_waitcnt vmcnt(4)
	v_fma_f32 v5, v148, v174, -v5
	v_mul_f32_e32 v190, v150, v162
	v_add_f32_e32 v2, v2, v6
	v_fmac_f32_e32 v189, v149, v174
	v_add_f32_e32 v3, v3, v188
	s_waitcnt lgkmcnt(0)
	v_mul_f32_e32 v6, v11, v163
	s_waitcnt vmcnt(3)
	v_fma_f32 v4, v150, v175, -v4
	v_add_f32_e32 v2, v2, v5
	v_mul_f32_e32 v191, v10, v163
	v_fmac_f32_e32 v190, v151, v175
	v_add_f32_e32 v3, v3, v189
	s_waitcnt vmcnt(2)
	v_fma_f32 v5, v10, v176, -v6
	v_add_f32_e32 v2, v2, v4
	v_fmac_f32_e32 v191, v11, v176
	v_add_f32_e32 v3, v3, v190
	v_add_f32_e32 v2, v2, v5
	;; [unrolled: 1-line block ×3, first 2 shown]
	s_waitcnt vmcnt(1)
	v_sub_f32_e32 v2, v177, v2
	s_waitcnt vmcnt(0)
	v_sub_f32_e32 v3, v178, v3
	buffer_store_dword v2, off, s[0:3], 0 offset:376
	buffer_store_dword v3, off, s[0:3], 0 offset:380
	v_cmpx_lt_u32_e32 46, v0
	s_cbranch_execz .LBB124_287
; %bb.286:
	s_clause 0x1
	buffer_load_dword v2, off, s[0:3], 0 offset:368
	buffer_load_dword v3, off, s[0:3], 0 offset:372
	buffer_store_dword v1, off, s[0:3], 0 offset:368
	buffer_store_dword v1, off, s[0:3], 0 offset:372
	s_waitcnt vmcnt(0)
	ds_write_b64 v135, v[2:3]
.LBB124_287:
	s_or_b32 exec_lo, exec_lo, s4
	s_waitcnt lgkmcnt(0)
	s_waitcnt_vscnt null, 0x0
	s_barrier
	buffer_gl0_inv
	s_clause 0x1d
	buffer_load_dword v10, off, s[0:3], 0 offset:380
	buffer_load_dword v11, off, s[0:3], 0 offset:388
	;; [unrolled: 1-line block ×30, first 2 shown]
	ds_read2_b64 v[2:5], v1 offset0:109 offset1:110
	ds_read2_b64 v[6:9], v1 offset0:111 offset1:112
	;; [unrolled: 1-line block ×7, first 2 shown]
	s_mov_b32 s4, exec_lo
	s_waitcnt vmcnt(29) lgkmcnt(6)
	v_mul_f32_e32 v1, v2, v10
	v_mul_f32_e32 v10, v3, v10
	s_waitcnt vmcnt(28)
	v_mul_f32_e32 v183, v4, v11
	v_mul_f32_e32 v11, v5, v11
	s_waitcnt vmcnt(27) lgkmcnt(5)
	v_mul_f32_e32 v184, v6, v12
	s_waitcnt vmcnt(26)
	v_mul_f32_e32 v185, v8, v156
	s_waitcnt vmcnt(25) lgkmcnt(4)
	v_mul_f32_e32 v186, v136, v157
	s_waitcnt vmcnt(24)
	;; [unrolled: 4-line block ×5, first 2 shown]
	v_mul_f32_e32 v193, v150, v164
	s_waitcnt vmcnt(15)
	v_fma_f32 v2, v2, v167, -v10
	v_fmac_f32_e32 v1, v3, v167
	v_mul_f32_e32 v3, v7, v12
	s_waitcnt vmcnt(14)
	v_fma_f32 v4, v4, v168, -v11
	v_fmac_f32_e32 v183, v5, v168
	v_add_f32_e32 v2, 0, v2
	v_add_f32_e32 v1, 0, v1
	v_mul_f32_e32 v5, v9, v156
	s_waitcnt vmcnt(13)
	v_fma_f32 v3, v6, v169, -v3
	v_fmac_f32_e32 v184, v7, v169
	v_add_f32_e32 v2, v2, v4
	v_add_f32_e32 v1, v1, v183
	;; [unrolled: 6-line block ×10, first 2 shown]
	s_waitcnt lgkmcnt(0)
	v_mul_f32_e32 v5, v153, v165
	s_waitcnt vmcnt(4)
	v_fma_f32 v3, v150, v178, -v3
	v_mul_f32_e32 v194, v152, v165
	v_add_f32_e32 v2, v2, v4
	v_fmac_f32_e32 v193, v151, v178
	v_add_f32_e32 v1, v1, v192
	v_mul_f32_e32 v4, v155, v166
	s_waitcnt vmcnt(3)
	v_fma_f32 v5, v152, v179, -v5
	v_add_f32_e32 v2, v2, v3
	v_mul_f32_e32 v195, v154, v166
	v_fmac_f32_e32 v194, v153, v179
	v_add_f32_e32 v1, v1, v193
	s_waitcnt vmcnt(2)
	v_fma_f32 v3, v154, v180, -v4
	v_add_f32_e32 v2, v2, v5
	v_fmac_f32_e32 v195, v155, v180
	v_add_f32_e32 v1, v1, v194
	v_add_f32_e32 v2, v2, v3
	;; [unrolled: 1-line block ×3, first 2 shown]
	s_waitcnt vmcnt(1)
	v_sub_f32_e32 v2, v181, v2
	s_waitcnt vmcnt(0)
	v_sub_f32_e32 v1, v182, v1
	buffer_store_dword v2, off, s[0:3], 0 offset:368
	buffer_store_dword v1, off, s[0:3], 0 offset:372
	v_cmpx_lt_u32_e32 45, v0
	s_cbranch_execz .LBB124_289
; %bb.288:
	s_clause 0x1
	buffer_load_dword v1, off, s[0:3], 0 offset:360
	buffer_load_dword v2, off, s[0:3], 0 offset:364
	v_mov_b32_e32 v3, 0
	buffer_store_dword v3, off, s[0:3], 0 offset:360
	buffer_store_dword v3, off, s[0:3], 0 offset:364
	s_waitcnt vmcnt(0)
	ds_write_b64 v135, v[1:2]
.LBB124_289:
	s_or_b32 exec_lo, exec_lo, s4
	s_waitcnt lgkmcnt(0)
	s_waitcnt_vscnt null, 0x0
	s_barrier
	buffer_gl0_inv
	s_clause 0x1f
	buffer_load_dword v12, off, s[0:3], 0 offset:372
	buffer_load_dword v156, off, s[0:3], 0 offset:380
	;; [unrolled: 1-line block ×32, first 2 shown]
	v_mov_b32_e32 v1, 0
	ds_read_b128 v[2:5], v1 offset:864
	ds_read_b128 v[6:9], v1 offset:880
	;; [unrolled: 1-line block ×7, first 2 shown]
	ds_read_b64 v[10:11], v1 offset:976
	s_mov_b32 s4, exec_lo
	s_waitcnt vmcnt(31) lgkmcnt(7)
	v_mul_f32_e32 v187, v2, v12
	v_mul_f32_e32 v12, v3, v12
	s_waitcnt vmcnt(30)
	v_mul_f32_e32 v188, v4, v156
	v_mul_f32_e32 v156, v5, v156
	s_waitcnt vmcnt(29) lgkmcnt(6)
	v_mul_f32_e32 v189, v6, v157
	s_waitcnt vmcnt(28)
	v_mul_f32_e32 v190, v8, v158
	s_waitcnt vmcnt(27) lgkmcnt(5)
	v_mul_f32_e32 v191, v136, v159
	s_waitcnt vmcnt(26)
	v_mul_f32_e32 v192, v138, v160
	s_waitcnt vmcnt(25) lgkmcnt(4)
	v_mul_f32_e32 v193, v140, v161
	s_waitcnt vmcnt(24)
	v_mul_f32_e32 v194, v142, v162
	s_waitcnt vmcnt(23) lgkmcnt(3)
	v_mul_f32_e32 v195, v144, v163
	s_waitcnt vmcnt(22)
	v_mul_f32_e32 v196, v146, v164
	s_waitcnt vmcnt(21) lgkmcnt(2)
	v_mul_f32_e32 v197, v148, v165
	s_waitcnt vmcnt(20)
	v_mul_f32_e32 v198, v150, v166
	s_waitcnt vmcnt(19) lgkmcnt(1)
	v_mul_f32_e32 v199, v152, v167
	s_waitcnt vmcnt(16)
	v_fma_f32 v2, v2, v170, -v12
	v_fmac_f32_e32 v187, v3, v170
	v_mul_f32_e32 v3, v7, v157
	s_waitcnt vmcnt(15)
	v_fma_f32 v4, v4, v171, -v156
	v_fmac_f32_e32 v188, v5, v171
	v_add_f32_e32 v2, 0, v2
	v_add_f32_e32 v5, 0, v187
	v_mul_f32_e32 v12, v9, v158
	s_waitcnt vmcnt(14)
	v_fma_f32 v3, v6, v172, -v3
	v_fmac_f32_e32 v189, v7, v172
	v_add_f32_e32 v2, v2, v4
	v_add_f32_e32 v4, v5, v188
	;; [unrolled: 6-line block ×11, first 2 shown]
	v_mul_f32_e32 v5, v155, v168
	s_waitcnt vmcnt(4)
	v_fma_f32 v6, v152, v182, -v6
	v_mul_f32_e32 v200, v154, v168
	v_add_f32_e32 v2, v2, v4
	v_fmac_f32_e32 v199, v153, v182
	v_add_f32_e32 v3, v3, v198
	s_waitcnt lgkmcnt(0)
	v_mul_f32_e32 v4, v11, v169
	s_waitcnt vmcnt(3)
	v_fma_f32 v5, v154, v183, -v5
	v_add_f32_e32 v2, v2, v6
	v_mul_f32_e32 v201, v10, v169
	v_fmac_f32_e32 v200, v155, v183
	v_add_f32_e32 v3, v3, v199
	s_waitcnt vmcnt(2)
	v_fma_f32 v4, v10, v184, -v4
	v_add_f32_e32 v2, v2, v5
	v_fmac_f32_e32 v201, v11, v184
	v_add_f32_e32 v3, v3, v200
	v_add_f32_e32 v2, v2, v4
	;; [unrolled: 1-line block ×3, first 2 shown]
	s_waitcnt vmcnt(1)
	v_sub_f32_e32 v2, v185, v2
	s_waitcnt vmcnt(0)
	v_sub_f32_e32 v3, v186, v3
	buffer_store_dword v2, off, s[0:3], 0 offset:360
	buffer_store_dword v3, off, s[0:3], 0 offset:364
	v_cmpx_lt_u32_e32 44, v0
	s_cbranch_execz .LBB124_291
; %bb.290:
	s_clause 0x1
	buffer_load_dword v2, off, s[0:3], 0 offset:352
	buffer_load_dword v3, off, s[0:3], 0 offset:356
	buffer_store_dword v1, off, s[0:3], 0 offset:352
	buffer_store_dword v1, off, s[0:3], 0 offset:356
	s_waitcnt vmcnt(0)
	ds_write_b64 v135, v[2:3]
.LBB124_291:
	s_or_b32 exec_lo, exec_lo, s4
	s_waitcnt lgkmcnt(0)
	s_waitcnt_vscnt null, 0x0
	s_barrier
	buffer_gl0_inv
	s_clause 0x21
	buffer_load_dword v10, off, s[0:3], 0 offset:364
	buffer_load_dword v11, off, s[0:3], 0 offset:372
	;; [unrolled: 1-line block ×34, first 2 shown]
	ds_read2_b64 v[2:5], v1 offset0:107 offset1:108
	ds_read2_b64 v[6:9], v1 offset0:109 offset1:110
	;; [unrolled: 1-line block ×8, first 2 shown]
	s_mov_b32 s4, exec_lo
	s_waitcnt vmcnt(33) lgkmcnt(7)
	v_mul_f32_e32 v1, v2, v10
	v_mul_f32_e32 v10, v3, v10
	s_waitcnt vmcnt(32)
	v_mul_f32_e32 v191, v4, v11
	v_mul_f32_e32 v11, v5, v11
	s_waitcnt vmcnt(31) lgkmcnt(6)
	v_mul_f32_e32 v192, v6, v12
	s_waitcnt vmcnt(30)
	v_mul_f32_e32 v193, v8, v160
	s_waitcnt vmcnt(29) lgkmcnt(5)
	v_mul_f32_e32 v194, v136, v161
	s_waitcnt vmcnt(28)
	;; [unrolled: 4-line block ×6, first 2 shown]
	v_mul_f32_e32 v203, v154, v170
	s_waitcnt vmcnt(17)
	v_fma_f32 v2, v2, v173, -v10
	v_fmac_f32_e32 v1, v3, v173
	v_mul_f32_e32 v3, v7, v12
	s_waitcnt vmcnt(16)
	v_fma_f32 v4, v4, v174, -v11
	v_fmac_f32_e32 v191, v5, v174
	v_add_f32_e32 v2, 0, v2
	v_add_f32_e32 v1, 0, v1
	v_mul_f32_e32 v5, v9, v160
	s_waitcnt vmcnt(15)
	v_fma_f32 v3, v6, v175, -v3
	v_fmac_f32_e32 v192, v7, v175
	v_add_f32_e32 v2, v2, v4
	v_add_f32_e32 v1, v1, v191
	v_mul_f32_e32 v4, v137, v161
	s_waitcnt vmcnt(14)
	v_fma_f32 v5, v8, v176, -v5
	v_fmac_f32_e32 v193, v9, v176
	v_add_f32_e32 v2, v2, v3
	v_add_f32_e32 v1, v1, v192
	v_mul_f32_e32 v3, v139, v162
	s_waitcnt vmcnt(13)
	v_fma_f32 v4, v136, v177, -v4
	v_fmac_f32_e32 v194, v137, v177
	v_add_f32_e32 v2, v2, v5
	v_add_f32_e32 v1, v1, v193
	v_mul_f32_e32 v5, v141, v163
	s_waitcnt vmcnt(12)
	v_fma_f32 v3, v138, v178, -v3
	v_fmac_f32_e32 v195, v139, v178
	v_add_f32_e32 v2, v2, v4
	v_add_f32_e32 v1, v1, v194
	v_mul_f32_e32 v4, v143, v164
	s_waitcnt vmcnt(11)
	v_fma_f32 v5, v140, v179, -v5
	v_fmac_f32_e32 v196, v141, v179
	v_add_f32_e32 v2, v2, v3
	v_add_f32_e32 v1, v1, v195
	v_mul_f32_e32 v3, v145, v165
	s_waitcnt vmcnt(10)
	v_fma_f32 v4, v142, v180, -v4
	v_fmac_f32_e32 v197, v143, v180
	v_add_f32_e32 v2, v2, v5
	v_add_f32_e32 v1, v1, v196
	v_mul_f32_e32 v5, v147, v166
	s_waitcnt vmcnt(9)
	v_fma_f32 v3, v144, v181, -v3
	v_fmac_f32_e32 v198, v145, v181
	v_add_f32_e32 v2, v2, v4
	v_add_f32_e32 v1, v1, v197
	v_mul_f32_e32 v4, v149, v167
	s_waitcnt vmcnt(8)
	v_fma_f32 v5, v146, v182, -v5
	v_fmac_f32_e32 v199, v147, v182
	v_add_f32_e32 v2, v2, v3
	v_add_f32_e32 v1, v1, v198
	v_mul_f32_e32 v3, v151, v168
	s_waitcnt vmcnt(7)
	v_fma_f32 v4, v148, v183, -v4
	v_fmac_f32_e32 v200, v149, v183
	v_add_f32_e32 v2, v2, v5
	v_add_f32_e32 v1, v1, v199
	v_mul_f32_e32 v5, v153, v169
	s_waitcnt vmcnt(6)
	v_fma_f32 v3, v150, v184, -v3
	v_fmac_f32_e32 v201, v151, v184
	v_add_f32_e32 v2, v2, v4
	v_add_f32_e32 v1, v1, v200
	v_mul_f32_e32 v4, v155, v170
	s_waitcnt vmcnt(5)
	v_fma_f32 v5, v152, v185, -v5
	v_fmac_f32_e32 v202, v153, v185
	v_add_f32_e32 v2, v2, v3
	v_add_f32_e32 v1, v1, v201
	s_waitcnt lgkmcnt(0)
	v_mul_f32_e32 v3, v157, v171
	s_waitcnt vmcnt(4)
	v_fma_f32 v4, v154, v186, -v4
	v_mul_f32_e32 v204, v156, v171
	v_add_f32_e32 v2, v2, v5
	v_fmac_f32_e32 v203, v155, v186
	v_add_f32_e32 v1, v1, v202
	v_mul_f32_e32 v5, v159, v172
	s_waitcnt vmcnt(3)
	v_fma_f32 v3, v156, v187, -v3
	v_add_f32_e32 v2, v2, v4
	v_mul_f32_e32 v205, v158, v172
	v_fmac_f32_e32 v204, v157, v187
	v_add_f32_e32 v1, v1, v203
	s_waitcnt vmcnt(2)
	v_fma_f32 v4, v158, v188, -v5
	v_add_f32_e32 v2, v2, v3
	v_fmac_f32_e32 v205, v159, v188
	v_add_f32_e32 v1, v1, v204
	v_add_f32_e32 v2, v2, v4
	v_add_f32_e32 v1, v1, v205
	s_waitcnt vmcnt(1)
	v_sub_f32_e32 v2, v189, v2
	s_waitcnt vmcnt(0)
	v_sub_f32_e32 v1, v190, v1
	buffer_store_dword v2, off, s[0:3], 0 offset:352
	buffer_store_dword v1, off, s[0:3], 0 offset:356
	v_cmpx_lt_u32_e32 43, v0
	s_cbranch_execz .LBB124_293
; %bb.292:
	s_clause 0x1
	buffer_load_dword v1, off, s[0:3], 0 offset:344
	buffer_load_dword v2, off, s[0:3], 0 offset:348
	v_mov_b32_e32 v3, 0
	buffer_store_dword v3, off, s[0:3], 0 offset:344
	buffer_store_dword v3, off, s[0:3], 0 offset:348
	s_waitcnt vmcnt(0)
	ds_write_b64 v135, v[1:2]
.LBB124_293:
	s_or_b32 exec_lo, exec_lo, s4
	s_waitcnt lgkmcnt(0)
	s_waitcnt_vscnt null, 0x0
	s_barrier
	buffer_gl0_inv
	s_clause 0x23
	buffer_load_dword v12, off, s[0:3], 0 offset:356
	buffer_load_dword v160, off, s[0:3], 0 offset:364
	;; [unrolled: 1-line block ×36, first 2 shown]
	v_mov_b32_e32 v1, 0
	ds_read_b128 v[2:5], v1 offset:848
	ds_read_b128 v[6:9], v1 offset:864
	;; [unrolled: 1-line block ×8, first 2 shown]
	ds_read_b64 v[10:11], v1 offset:976
	s_mov_b32 s4, exec_lo
	s_waitcnt vmcnt(35) lgkmcnt(8)
	v_mul_f32_e32 v195, v2, v12
	v_mul_f32_e32 v12, v3, v12
	s_waitcnt vmcnt(34)
	v_mul_f32_e32 v196, v4, v160
	v_mul_f32_e32 v160, v5, v160
	s_waitcnt vmcnt(33) lgkmcnt(7)
	v_mul_f32_e32 v197, v6, v161
	s_waitcnt vmcnt(32)
	v_mul_f32_e32 v198, v8, v162
	s_waitcnt vmcnt(31) lgkmcnt(6)
	v_mul_f32_e32 v199, v136, v163
	s_waitcnt vmcnt(30)
	;; [unrolled: 4-line block ×7, first 2 shown]
	v_fma_f32 v2, v2, v176, -v12
	v_fmac_f32_e32 v195, v3, v176
	v_mul_f32_e32 v3, v7, v161
	s_waitcnt vmcnt(17)
	v_fma_f32 v4, v4, v177, -v160
	v_fmac_f32_e32 v196, v5, v177
	v_add_f32_e32 v2, 0, v2
	v_add_f32_e32 v5, 0, v195
	v_mul_f32_e32 v12, v9, v162
	s_waitcnt vmcnt(16)
	v_fma_f32 v3, v6, v178, -v3
	v_fmac_f32_e32 v197, v7, v178
	v_add_f32_e32 v2, v2, v4
	v_add_f32_e32 v4, v5, v196
	;; [unrolled: 6-line block ×13, first 2 shown]
	v_mul_f32_e32 v6, v159, v174
	s_waitcnt vmcnt(4)
	v_fma_f32 v4, v156, v190, -v4
	v_mul_f32_e32 v210, v158, v174
	v_add_f32_e32 v2, v2, v5
	v_fmac_f32_e32 v209, v157, v190
	v_add_f32_e32 v3, v3, v208
	s_waitcnt lgkmcnt(0)
	v_mul_f32_e32 v5, v11, v175
	s_waitcnt vmcnt(3)
	v_fma_f32 v6, v158, v191, -v6
	v_add_f32_e32 v2, v2, v4
	v_mul_f32_e32 v211, v10, v175
	v_fmac_f32_e32 v210, v159, v191
	v_add_f32_e32 v3, v3, v209
	s_waitcnt vmcnt(2)
	v_fma_f32 v4, v10, v192, -v5
	v_add_f32_e32 v2, v2, v6
	v_fmac_f32_e32 v211, v11, v192
	v_add_f32_e32 v3, v3, v210
	v_add_f32_e32 v2, v2, v4
	v_add_f32_e32 v3, v3, v211
	s_waitcnt vmcnt(1)
	v_sub_f32_e32 v2, v193, v2
	s_waitcnt vmcnt(0)
	v_sub_f32_e32 v3, v194, v3
	buffer_store_dword v2, off, s[0:3], 0 offset:344
	buffer_store_dword v3, off, s[0:3], 0 offset:348
	v_cmpx_lt_u32_e32 42, v0
	s_cbranch_execz .LBB124_295
; %bb.294:
	s_clause 0x1
	buffer_load_dword v2, off, s[0:3], 0 offset:336
	buffer_load_dword v3, off, s[0:3], 0 offset:340
	buffer_store_dword v1, off, s[0:3], 0 offset:336
	buffer_store_dword v1, off, s[0:3], 0 offset:340
	s_waitcnt vmcnt(0)
	ds_write_b64 v135, v[2:3]
.LBB124_295:
	s_or_b32 exec_lo, exec_lo, s4
	s_waitcnt lgkmcnt(0)
	s_waitcnt_vscnt null, 0x0
	s_barrier
	buffer_gl0_inv
	s_clause 0x25
	buffer_load_dword v10, off, s[0:3], 0 offset:348
	buffer_load_dword v11, off, s[0:3], 0 offset:356
	;; [unrolled: 1-line block ×38, first 2 shown]
	ds_read2_b64 v[2:5], v1 offset0:105 offset1:106
	ds_read2_b64 v[6:9], v1 offset0:107 offset1:108
	;; [unrolled: 1-line block ×9, first 2 shown]
	s_mov_b32 s4, exec_lo
	s_waitcnt vmcnt(37) lgkmcnt(8)
	v_mul_f32_e32 v1, v2, v10
	v_mul_f32_e32 v10, v3, v10
	s_waitcnt vmcnt(36)
	v_mul_f32_e32 v199, v4, v11
	v_mul_f32_e32 v11, v5, v11
	s_waitcnt vmcnt(35) lgkmcnt(7)
	v_mul_f32_e32 v200, v6, v12
	s_waitcnt vmcnt(34)
	v_mul_f32_e32 v201, v8, v164
	s_waitcnt vmcnt(33) lgkmcnt(6)
	v_mul_f32_e32 v202, v136, v165
	s_waitcnt vmcnt(32)
	;; [unrolled: 4-line block ×7, first 2 shown]
	v_mul_f32_e32 v213, v158, v176
	s_waitcnt vmcnt(19)
	v_fma_f32 v2, v2, v179, -v10
	v_fmac_f32_e32 v1, v3, v179
	v_mul_f32_e32 v3, v7, v12
	s_waitcnt vmcnt(18)
	v_fma_f32 v4, v4, v180, -v11
	v_fmac_f32_e32 v199, v5, v180
	v_add_f32_e32 v2, 0, v2
	v_add_f32_e32 v1, 0, v1
	v_mul_f32_e32 v5, v9, v164
	s_waitcnt vmcnt(17)
	v_fma_f32 v3, v6, v181, -v3
	v_fmac_f32_e32 v200, v7, v181
	v_add_f32_e32 v2, v2, v4
	v_add_f32_e32 v1, v1, v199
	;; [unrolled: 6-line block ×14, first 2 shown]
	s_waitcnt lgkmcnt(0)
	v_mul_f32_e32 v4, v161, v177
	s_waitcnt vmcnt(4)
	v_fma_f32 v5, v158, v194, -v5
	v_mul_f32_e32 v214, v160, v177
	v_add_f32_e32 v2, v2, v3
	v_fmac_f32_e32 v213, v159, v194
	v_add_f32_e32 v1, v1, v212
	v_mul_f32_e32 v3, v163, v178
	s_waitcnt vmcnt(3)
	v_fma_f32 v4, v160, v195, -v4
	v_add_f32_e32 v2, v2, v5
	v_mul_f32_e32 v215, v162, v178
	v_fmac_f32_e32 v214, v161, v195
	v_add_f32_e32 v1, v1, v213
	s_waitcnt vmcnt(2)
	v_fma_f32 v3, v162, v196, -v3
	v_add_f32_e32 v2, v2, v4
	v_fmac_f32_e32 v215, v163, v196
	v_add_f32_e32 v1, v1, v214
	v_add_f32_e32 v2, v2, v3
	v_add_f32_e32 v1, v1, v215
	s_waitcnt vmcnt(1)
	v_sub_f32_e32 v2, v197, v2
	s_waitcnt vmcnt(0)
	v_sub_f32_e32 v1, v198, v1
	buffer_store_dword v2, off, s[0:3], 0 offset:336
	buffer_store_dword v1, off, s[0:3], 0 offset:340
	v_cmpx_lt_u32_e32 41, v0
	s_cbranch_execz .LBB124_297
; %bb.296:
	s_clause 0x1
	buffer_load_dword v1, off, s[0:3], 0 offset:328
	buffer_load_dword v2, off, s[0:3], 0 offset:332
	v_mov_b32_e32 v3, 0
	buffer_store_dword v3, off, s[0:3], 0 offset:328
	buffer_store_dword v3, off, s[0:3], 0 offset:332
	s_waitcnt vmcnt(0)
	ds_write_b64 v135, v[1:2]
.LBB124_297:
	s_or_b32 exec_lo, exec_lo, s4
	s_waitcnt lgkmcnt(0)
	s_waitcnt_vscnt null, 0x0
	s_barrier
	buffer_gl0_inv
	s_clause 0x27
	buffer_load_dword v12, off, s[0:3], 0 offset:340
	buffer_load_dword v164, off, s[0:3], 0 offset:348
	;; [unrolled: 1-line block ×40, first 2 shown]
	v_mov_b32_e32 v1, 0
	ds_read_b128 v[2:5], v1 offset:832
	ds_read_b128 v[6:9], v1 offset:848
	;; [unrolled: 1-line block ×9, first 2 shown]
	ds_read_b64 v[10:11], v1 offset:976
	s_mov_b32 s4, exec_lo
	s_waitcnt vmcnt(39) lgkmcnt(9)
	v_mul_f32_e32 v203, v2, v12
	v_mul_f32_e32 v12, v3, v12
	s_waitcnt vmcnt(38)
	v_mul_f32_e32 v204, v4, v164
	v_mul_f32_e32 v164, v5, v164
	s_waitcnt vmcnt(37) lgkmcnt(8)
	v_mul_f32_e32 v205, v6, v165
	s_waitcnt vmcnt(36)
	v_mul_f32_e32 v206, v8, v166
	s_waitcnt vmcnt(35) lgkmcnt(7)
	v_mul_f32_e32 v207, v136, v167
	s_waitcnt vmcnt(34)
	;; [unrolled: 4-line block ×8, first 2 shown]
	v_fma_f32 v2, v2, v182, -v12
	v_fmac_f32_e32 v203, v3, v182
	v_mul_f32_e32 v3, v7, v165
	s_waitcnt vmcnt(19)
	v_fma_f32 v4, v4, v183, -v164
	v_fmac_f32_e32 v204, v5, v183
	v_add_f32_e32 v2, 0, v2
	v_add_f32_e32 v5, 0, v203
	v_mul_f32_e32 v12, v9, v166
	s_waitcnt vmcnt(18)
	v_fma_f32 v3, v6, v184, -v3
	v_fmac_f32_e32 v205, v7, v184
	v_add_f32_e32 v2, v2, v4
	v_add_f32_e32 v4, v5, v204
	;; [unrolled: 6-line block ×15, first 2 shown]
	v_mul_f32_e32 v4, v163, v180
	s_waitcnt vmcnt(4)
	v_fma_f32 v5, v160, v198, -v5
	v_mul_f32_e32 v220, v162, v180
	v_add_f32_e32 v2, v2, v6
	v_fmac_f32_e32 v219, v161, v198
	v_add_f32_e32 v3, v3, v218
	s_waitcnt lgkmcnt(0)
	v_mul_f32_e32 v6, v11, v181
	s_waitcnt vmcnt(3)
	v_fma_f32 v4, v162, v199, -v4
	v_add_f32_e32 v2, v2, v5
	v_mul_f32_e32 v221, v10, v181
	v_fmac_f32_e32 v220, v163, v199
	v_add_f32_e32 v3, v3, v219
	s_waitcnt vmcnt(2)
	v_fma_f32 v5, v10, v200, -v6
	v_add_f32_e32 v2, v2, v4
	v_fmac_f32_e32 v221, v11, v200
	v_add_f32_e32 v3, v3, v220
	v_add_f32_e32 v2, v2, v5
	v_add_f32_e32 v3, v3, v221
	s_waitcnt vmcnt(1)
	v_sub_f32_e32 v2, v201, v2
	s_waitcnt vmcnt(0)
	v_sub_f32_e32 v3, v202, v3
	buffer_store_dword v2, off, s[0:3], 0 offset:328
	buffer_store_dword v3, off, s[0:3], 0 offset:332
	v_cmpx_lt_u32_e32 40, v0
	s_cbranch_execz .LBB124_299
; %bb.298:
	s_clause 0x1
	buffer_load_dword v2, off, s[0:3], 0 offset:320
	buffer_load_dword v3, off, s[0:3], 0 offset:324
	buffer_store_dword v1, off, s[0:3], 0 offset:320
	buffer_store_dword v1, off, s[0:3], 0 offset:324
	s_waitcnt vmcnt(0)
	ds_write_b64 v135, v[2:3]
.LBB124_299:
	s_or_b32 exec_lo, exec_lo, s4
	s_waitcnt lgkmcnt(0)
	s_waitcnt_vscnt null, 0x0
	s_barrier
	buffer_gl0_inv
	s_clause 0x29
	buffer_load_dword v10, off, s[0:3], 0 offset:332
	buffer_load_dword v11, off, s[0:3], 0 offset:340
	;; [unrolled: 1-line block ×42, first 2 shown]
	ds_read2_b64 v[2:5], v1 offset0:103 offset1:104
	ds_read2_b64 v[6:9], v1 offset0:105 offset1:106
	;; [unrolled: 1-line block ×10, first 2 shown]
	s_mov_b32 s4, exec_lo
	s_waitcnt vmcnt(41) lgkmcnt(9)
	v_mul_f32_e32 v1, v2, v10
	v_mul_f32_e32 v10, v3, v10
	s_waitcnt vmcnt(40)
	v_mul_f32_e32 v207, v4, v11
	v_mul_f32_e32 v11, v5, v11
	s_waitcnt vmcnt(39) lgkmcnt(8)
	v_mul_f32_e32 v208, v6, v12
	s_waitcnt vmcnt(38)
	v_mul_f32_e32 v209, v8, v168
	s_waitcnt vmcnt(37) lgkmcnt(7)
	v_mul_f32_e32 v210, v136, v169
	s_waitcnt vmcnt(36)
	;; [unrolled: 4-line block ×8, first 2 shown]
	v_mul_f32_e32 v223, v162, v182
	s_waitcnt vmcnt(21)
	v_fma_f32 v2, v2, v185, -v10
	v_fmac_f32_e32 v1, v3, v185
	v_mul_f32_e32 v3, v7, v12
	s_waitcnt vmcnt(20)
	v_fma_f32 v4, v4, v186, -v11
	v_fmac_f32_e32 v207, v5, v186
	v_add_f32_e32 v2, 0, v2
	v_add_f32_e32 v1, 0, v1
	v_mul_f32_e32 v5, v9, v168
	s_waitcnt vmcnt(19)
	v_fma_f32 v3, v6, v187, -v3
	v_fmac_f32_e32 v208, v7, v187
	v_add_f32_e32 v2, v2, v4
	v_add_f32_e32 v1, v1, v207
	;; [unrolled: 6-line block ×16, first 2 shown]
	s_waitcnt lgkmcnt(0)
	v_mul_f32_e32 v5, v165, v183
	s_waitcnt vmcnt(4)
	v_fma_f32 v3, v162, v202, -v3
	v_mul_f32_e32 v224, v164, v183
	v_add_f32_e32 v2, v2, v4
	v_fmac_f32_e32 v223, v163, v202
	v_add_f32_e32 v1, v1, v222
	v_mul_f32_e32 v4, v167, v184
	s_waitcnt vmcnt(3)
	v_fma_f32 v5, v164, v203, -v5
	v_add_f32_e32 v2, v2, v3
	v_mul_f32_e32 v225, v166, v184
	v_fmac_f32_e32 v224, v165, v203
	v_add_f32_e32 v1, v1, v223
	s_waitcnt vmcnt(2)
	v_fma_f32 v3, v166, v204, -v4
	v_add_f32_e32 v2, v2, v5
	v_fmac_f32_e32 v225, v167, v204
	v_add_f32_e32 v1, v1, v224
	v_add_f32_e32 v2, v2, v3
	;; [unrolled: 1-line block ×3, first 2 shown]
	s_waitcnt vmcnt(1)
	v_sub_f32_e32 v2, v205, v2
	s_waitcnt vmcnt(0)
	v_sub_f32_e32 v1, v206, v1
	buffer_store_dword v2, off, s[0:3], 0 offset:320
	buffer_store_dword v1, off, s[0:3], 0 offset:324
	v_cmpx_lt_u32_e32 39, v0
	s_cbranch_execz .LBB124_301
; %bb.300:
	s_clause 0x1
	buffer_load_dword v1, off, s[0:3], 0 offset:312
	buffer_load_dword v2, off, s[0:3], 0 offset:316
	v_mov_b32_e32 v3, 0
	buffer_store_dword v3, off, s[0:3], 0 offset:312
	buffer_store_dword v3, off, s[0:3], 0 offset:316
	s_waitcnt vmcnt(0)
	ds_write_b64 v135, v[1:2]
.LBB124_301:
	s_or_b32 exec_lo, exec_lo, s4
	s_waitcnt lgkmcnt(0)
	s_waitcnt_vscnt null, 0x0
	s_barrier
	buffer_gl0_inv
	s_clause 0x2b
	buffer_load_dword v12, off, s[0:3], 0 offset:324
	buffer_load_dword v168, off, s[0:3], 0 offset:332
	;; [unrolled: 1-line block ×44, first 2 shown]
	v_mov_b32_e32 v1, 0
	ds_read_b128 v[2:5], v1 offset:816
	ds_read_b128 v[6:9], v1 offset:832
	;; [unrolled: 1-line block ×10, first 2 shown]
	ds_read_b64 v[10:11], v1 offset:976
	s_mov_b32 s4, exec_lo
	s_waitcnt vmcnt(43) lgkmcnt(10)
	v_mul_f32_e32 v211, v2, v12
	v_mul_f32_e32 v12, v3, v12
	s_waitcnt vmcnt(42)
	v_mul_f32_e32 v212, v4, v168
	v_mul_f32_e32 v168, v5, v168
	s_waitcnt vmcnt(41) lgkmcnt(9)
	v_mul_f32_e32 v213, v6, v169
	s_waitcnt vmcnt(40)
	v_mul_f32_e32 v214, v8, v170
	s_waitcnt vmcnt(39) lgkmcnt(8)
	v_mul_f32_e32 v215, v136, v171
	s_waitcnt vmcnt(38)
	;; [unrolled: 4-line block ×9, first 2 shown]
	v_fma_f32 v2, v2, v188, -v12
	v_fmac_f32_e32 v211, v3, v188
	v_mul_f32_e32 v3, v7, v169
	s_waitcnt vmcnt(21)
	v_fma_f32 v4, v4, v189, -v168
	v_fmac_f32_e32 v212, v5, v189
	v_add_f32_e32 v2, 0, v2
	v_add_f32_e32 v5, 0, v211
	v_mul_f32_e32 v12, v9, v170
	s_waitcnt vmcnt(20)
	v_fma_f32 v3, v6, v190, -v3
	v_fmac_f32_e32 v213, v7, v190
	v_add_f32_e32 v2, v2, v4
	v_add_f32_e32 v4, v5, v212
	;; [unrolled: 6-line block ×17, first 2 shown]
	v_mul_f32_e32 v5, v167, v186
	s_waitcnt vmcnt(4)
	v_fma_f32 v6, v164, v206, -v6
	v_mul_f32_e32 v230, v166, v186
	v_add_f32_e32 v2, v2, v4
	v_fmac_f32_e32 v229, v165, v206
	v_add_f32_e32 v3, v3, v228
	s_waitcnt lgkmcnt(0)
	v_mul_f32_e32 v4, v11, v187
	s_waitcnt vmcnt(3)
	v_fma_f32 v5, v166, v207, -v5
	v_add_f32_e32 v2, v2, v6
	v_mul_f32_e32 v231, v10, v187
	v_fmac_f32_e32 v230, v167, v207
	v_add_f32_e32 v3, v3, v229
	s_waitcnt vmcnt(2)
	v_fma_f32 v4, v10, v208, -v4
	v_add_f32_e32 v2, v2, v5
	v_fmac_f32_e32 v231, v11, v208
	v_add_f32_e32 v3, v3, v230
	v_add_f32_e32 v2, v2, v4
	;; [unrolled: 1-line block ×3, first 2 shown]
	s_waitcnt vmcnt(1)
	v_sub_f32_e32 v2, v209, v2
	s_waitcnt vmcnt(0)
	v_sub_f32_e32 v3, v210, v3
	buffer_store_dword v2, off, s[0:3], 0 offset:312
	buffer_store_dword v3, off, s[0:3], 0 offset:316
	v_cmpx_lt_u32_e32 38, v0
	s_cbranch_execz .LBB124_303
; %bb.302:
	s_clause 0x1
	buffer_load_dword v2, off, s[0:3], 0 offset:304
	buffer_load_dword v3, off, s[0:3], 0 offset:308
	buffer_store_dword v1, off, s[0:3], 0 offset:304
	buffer_store_dword v1, off, s[0:3], 0 offset:308
	s_waitcnt vmcnt(0)
	ds_write_b64 v135, v[2:3]
.LBB124_303:
	s_or_b32 exec_lo, exec_lo, s4
	s_waitcnt lgkmcnt(0)
	s_waitcnt_vscnt null, 0x0
	s_barrier
	buffer_gl0_inv
	s_clause 0x2d
	buffer_load_dword v10, off, s[0:3], 0 offset:316
	buffer_load_dword v11, off, s[0:3], 0 offset:324
	buffer_load_dword v12, off, s[0:3], 0 offset:332
	buffer_load_dword v172, off, s[0:3], 0 offset:340
	buffer_load_dword v173, off, s[0:3], 0 offset:348
	buffer_load_dword v174, off, s[0:3], 0 offset:356
	buffer_load_dword v175, off, s[0:3], 0 offset:364
	buffer_load_dword v176, off, s[0:3], 0 offset:372
	buffer_load_dword v177, off, s[0:3], 0 offset:380
	buffer_load_dword v178, off, s[0:3], 0 offset:388
	buffer_load_dword v179, off, s[0:3], 0 offset:396
	buffer_load_dword v180, off, s[0:3], 0 offset:404
	buffer_load_dword v181, off, s[0:3], 0 offset:412
	buffer_load_dword v182, off, s[0:3], 0 offset:420
	buffer_load_dword v183, off, s[0:3], 0 offset:428
	buffer_load_dword v184, off, s[0:3], 0 offset:436
	buffer_load_dword v185, off, s[0:3], 0 offset:444
	buffer_load_dword v186, off, s[0:3], 0 offset:452
	buffer_load_dword v187, off, s[0:3], 0 offset:460
	buffer_load_dword v188, off, s[0:3], 0 offset:468
	buffer_load_dword v189, off, s[0:3], 0 offset:476
	buffer_load_dword v190, off, s[0:3], 0 offset:484
	buffer_load_dword v191, off, s[0:3], 0 offset:312
	buffer_load_dword v192, off, s[0:3], 0 offset:320
	buffer_load_dword v193, off, s[0:3], 0 offset:328
	buffer_load_dword v194, off, s[0:3], 0 offset:336
	buffer_load_dword v195, off, s[0:3], 0 offset:344
	buffer_load_dword v196, off, s[0:3], 0 offset:352
	buffer_load_dword v197, off, s[0:3], 0 offset:360
	buffer_load_dword v198, off, s[0:3], 0 offset:368
	buffer_load_dword v199, off, s[0:3], 0 offset:376
	buffer_load_dword v200, off, s[0:3], 0 offset:384
	buffer_load_dword v201, off, s[0:3], 0 offset:392
	buffer_load_dword v202, off, s[0:3], 0 offset:400
	buffer_load_dword v203, off, s[0:3], 0 offset:408
	buffer_load_dword v204, off, s[0:3], 0 offset:416
	buffer_load_dword v205, off, s[0:3], 0 offset:424
	buffer_load_dword v206, off, s[0:3], 0 offset:432
	buffer_load_dword v207, off, s[0:3], 0 offset:440
	buffer_load_dword v208, off, s[0:3], 0 offset:448
	buffer_load_dword v209, off, s[0:3], 0 offset:456
	buffer_load_dword v210, off, s[0:3], 0 offset:464
	buffer_load_dword v211, off, s[0:3], 0 offset:472
	buffer_load_dword v212, off, s[0:3], 0 offset:480
	buffer_load_dword v213, off, s[0:3], 0 offset:304
	buffer_load_dword v214, off, s[0:3], 0 offset:308
	ds_read2_b64 v[2:5], v1 offset0:101 offset1:102
	ds_read2_b64 v[6:9], v1 offset0:103 offset1:104
	;; [unrolled: 1-line block ×11, first 2 shown]
	s_mov_b32 s4, exec_lo
	s_waitcnt vmcnt(45) lgkmcnt(10)
	v_mul_f32_e32 v1, v2, v10
	v_mul_f32_e32 v10, v3, v10
	s_waitcnt vmcnt(44)
	v_mul_f32_e32 v215, v4, v11
	v_mul_f32_e32 v11, v5, v11
	s_waitcnt vmcnt(43) lgkmcnt(9)
	v_mul_f32_e32 v216, v6, v12
	s_waitcnt vmcnt(42)
	v_mul_f32_e32 v217, v8, v172
	s_waitcnt vmcnt(41) lgkmcnt(8)
	v_mul_f32_e32 v218, v136, v173
	s_waitcnt vmcnt(40)
	;; [unrolled: 4-line block ×9, first 2 shown]
	v_mul_f32_e32 v233, v166, v188
	s_waitcnt vmcnt(23)
	v_fma_f32 v2, v2, v191, -v10
	v_fmac_f32_e32 v1, v3, v191
	v_mul_f32_e32 v3, v7, v12
	s_waitcnt vmcnt(22)
	v_fma_f32 v4, v4, v192, -v11
	v_fmac_f32_e32 v215, v5, v192
	v_add_f32_e32 v2, 0, v2
	v_add_f32_e32 v1, 0, v1
	v_mul_f32_e32 v5, v9, v172
	s_waitcnt vmcnt(21)
	v_fma_f32 v3, v6, v193, -v3
	v_fmac_f32_e32 v216, v7, v193
	v_add_f32_e32 v2, v2, v4
	v_add_f32_e32 v1, v1, v215
	;; [unrolled: 6-line block ×18, first 2 shown]
	s_waitcnt lgkmcnt(0)
	v_mul_f32_e32 v3, v169, v189
	s_waitcnt vmcnt(4)
	v_fma_f32 v4, v166, v210, -v4
	v_mul_f32_e32 v234, v168, v189
	v_add_f32_e32 v2, v2, v5
	v_fmac_f32_e32 v233, v167, v210
	v_add_f32_e32 v1, v1, v232
	v_mul_f32_e32 v5, v171, v190
	s_waitcnt vmcnt(3)
	v_fma_f32 v3, v168, v211, -v3
	v_add_f32_e32 v2, v2, v4
	v_mul_f32_e32 v235, v170, v190
	v_fmac_f32_e32 v234, v169, v211
	v_add_f32_e32 v1, v1, v233
	s_waitcnt vmcnt(2)
	v_fma_f32 v4, v170, v212, -v5
	v_add_f32_e32 v2, v2, v3
	v_fmac_f32_e32 v235, v171, v212
	v_add_f32_e32 v1, v1, v234
	v_add_f32_e32 v2, v2, v4
	;; [unrolled: 1-line block ×3, first 2 shown]
	s_waitcnt vmcnt(1)
	v_sub_f32_e32 v2, v213, v2
	s_waitcnt vmcnt(0)
	v_sub_f32_e32 v1, v214, v1
	buffer_store_dword v2, off, s[0:3], 0 offset:304
	buffer_store_dword v1, off, s[0:3], 0 offset:308
	v_cmpx_lt_u32_e32 37, v0
	s_cbranch_execz .LBB124_305
; %bb.304:
	s_clause 0x1
	buffer_load_dword v1, off, s[0:3], 0 offset:296
	buffer_load_dword v2, off, s[0:3], 0 offset:300
	v_mov_b32_e32 v3, 0
	buffer_store_dword v3, off, s[0:3], 0 offset:296
	buffer_store_dword v3, off, s[0:3], 0 offset:300
	s_waitcnt vmcnt(0)
	ds_write_b64 v135, v[1:2]
.LBB124_305:
	s_or_b32 exec_lo, exec_lo, s4
	s_waitcnt lgkmcnt(0)
	s_waitcnt_vscnt null, 0x0
	s_barrier
	buffer_gl0_inv
	s_clause 0x2f
	buffer_load_dword v12, off, s[0:3], 0 offset:308
	buffer_load_dword v172, off, s[0:3], 0 offset:316
	;; [unrolled: 1-line block ×48, first 2 shown]
	v_mov_b32_e32 v1, 0
	ds_read_b128 v[2:5], v1 offset:800
	ds_read_b128 v[6:9], v1 offset:816
	;; [unrolled: 1-line block ×11, first 2 shown]
	ds_read_b64 v[10:11], v1 offset:976
	s_mov_b32 s4, exec_lo
	s_waitcnt vmcnt(47) lgkmcnt(11)
	v_mul_f32_e32 v219, v2, v12
	v_mul_f32_e32 v12, v3, v12
	s_waitcnt vmcnt(46)
	v_mul_f32_e32 v220, v4, v172
	v_mul_f32_e32 v172, v5, v172
	s_waitcnt vmcnt(45) lgkmcnt(10)
	v_mul_f32_e32 v221, v6, v173
	s_waitcnt vmcnt(44)
	v_mul_f32_e32 v222, v8, v174
	s_waitcnt vmcnt(43) lgkmcnt(9)
	v_mul_f32_e32 v223, v136, v175
	s_waitcnt vmcnt(42)
	;; [unrolled: 4-line block ×10, first 2 shown]
	v_fma_f32 v2, v2, v194, -v12
	v_fmac_f32_e32 v219, v3, v194
	v_mul_f32_e32 v3, v7, v173
	s_waitcnt vmcnt(23)
	v_fma_f32 v4, v4, v195, -v172
	v_fmac_f32_e32 v220, v5, v195
	v_add_f32_e32 v2, 0, v2
	v_add_f32_e32 v5, 0, v219
	v_mul_f32_e32 v12, v9, v174
	s_waitcnt vmcnt(22)
	v_fma_f32 v3, v6, v196, -v3
	v_fmac_f32_e32 v221, v7, v196
	v_add_f32_e32 v2, v2, v4
	v_add_f32_e32 v4, v5, v220
	;; [unrolled: 6-line block ×19, first 2 shown]
	v_mul_f32_e32 v6, v171, v192
	s_waitcnt vmcnt(4)
	v_fma_f32 v4, v168, v214, -v4
	v_mul_f32_e32 v240, v170, v192
	v_add_f32_e32 v2, v2, v5
	v_fmac_f32_e32 v239, v169, v214
	v_add_f32_e32 v3, v3, v238
	s_waitcnt lgkmcnt(0)
	v_mul_f32_e32 v5, v11, v193
	s_waitcnt vmcnt(3)
	v_fma_f32 v6, v170, v215, -v6
	v_add_f32_e32 v2, v2, v4
	v_mul_f32_e32 v241, v10, v193
	v_fmac_f32_e32 v240, v171, v215
	v_add_f32_e32 v3, v3, v239
	s_waitcnt vmcnt(2)
	v_fma_f32 v4, v10, v216, -v5
	v_add_f32_e32 v2, v2, v6
	v_fmac_f32_e32 v241, v11, v216
	v_add_f32_e32 v3, v3, v240
	v_add_f32_e32 v2, v2, v4
	;; [unrolled: 1-line block ×3, first 2 shown]
	s_waitcnt vmcnt(1)
	v_sub_f32_e32 v2, v217, v2
	s_waitcnt vmcnt(0)
	v_sub_f32_e32 v3, v218, v3
	buffer_store_dword v2, off, s[0:3], 0 offset:296
	buffer_store_dword v3, off, s[0:3], 0 offset:300
	v_cmpx_lt_u32_e32 36, v0
	s_cbranch_execz .LBB124_307
; %bb.306:
	s_clause 0x1
	buffer_load_dword v2, off, s[0:3], 0 offset:288
	buffer_load_dword v3, off, s[0:3], 0 offset:292
	buffer_store_dword v1, off, s[0:3], 0 offset:288
	buffer_store_dword v1, off, s[0:3], 0 offset:292
	s_waitcnt vmcnt(0)
	ds_write_b64 v135, v[2:3]
.LBB124_307:
	s_or_b32 exec_lo, exec_lo, s4
	s_waitcnt lgkmcnt(0)
	s_waitcnt_vscnt null, 0x0
	s_barrier
	buffer_gl0_inv
	s_clause 0x31
	buffer_load_dword v10, off, s[0:3], 0 offset:300
	buffer_load_dword v11, off, s[0:3], 0 offset:308
	;; [unrolled: 1-line block ×50, first 2 shown]
	ds_read2_b64 v[2:5], v1 offset0:99 offset1:100
	ds_read2_b64 v[6:9], v1 offset0:101 offset1:102
	;; [unrolled: 1-line block ×12, first 2 shown]
	s_mov_b32 s4, exec_lo
	s_waitcnt vmcnt(49) lgkmcnt(11)
	v_mul_f32_e32 v1, v2, v10
	v_mul_f32_e32 v10, v3, v10
	s_waitcnt vmcnt(48)
	v_mul_f32_e32 v223, v4, v11
	v_mul_f32_e32 v11, v5, v11
	s_waitcnt vmcnt(47) lgkmcnt(10)
	v_mul_f32_e32 v224, v6, v12
	s_waitcnt vmcnt(46)
	v_mul_f32_e32 v225, v8, v176
	s_waitcnt vmcnt(45) lgkmcnt(9)
	v_mul_f32_e32 v226, v136, v177
	s_waitcnt vmcnt(44)
	;; [unrolled: 4-line block ×10, first 2 shown]
	v_mul_f32_e32 v243, v170, v194
	s_waitcnt vmcnt(25)
	v_fma_f32 v2, v2, v197, -v10
	v_fmac_f32_e32 v1, v3, v197
	v_mul_f32_e32 v3, v7, v12
	s_waitcnt vmcnt(24)
	v_fma_f32 v4, v4, v198, -v11
	v_fmac_f32_e32 v223, v5, v198
	v_add_f32_e32 v2, 0, v2
	v_add_f32_e32 v1, 0, v1
	v_mul_f32_e32 v5, v9, v176
	s_waitcnt vmcnt(23)
	v_fma_f32 v3, v6, v199, -v3
	v_fmac_f32_e32 v224, v7, v199
	v_add_f32_e32 v2, v2, v4
	v_add_f32_e32 v1, v1, v223
	v_mul_f32_e32 v4, v137, v177
	s_waitcnt vmcnt(22)
	v_fma_f32 v5, v8, v200, -v5
	v_fmac_f32_e32 v225, v9, v200
	v_add_f32_e32 v2, v2, v3
	v_add_f32_e32 v1, v1, v224
	v_mul_f32_e32 v3, v139, v178
	s_waitcnt vmcnt(21)
	v_fma_f32 v4, v136, v201, -v4
	v_fmac_f32_e32 v226, v137, v201
	v_add_f32_e32 v2, v2, v5
	v_add_f32_e32 v1, v1, v225
	v_mul_f32_e32 v5, v141, v179
	s_waitcnt vmcnt(20)
	v_fma_f32 v3, v138, v202, -v3
	v_fmac_f32_e32 v227, v139, v202
	v_add_f32_e32 v2, v2, v4
	v_add_f32_e32 v1, v1, v226
	v_mul_f32_e32 v4, v143, v180
	s_waitcnt vmcnt(19)
	v_fma_f32 v5, v140, v203, -v5
	v_fmac_f32_e32 v228, v141, v203
	v_add_f32_e32 v2, v2, v3
	v_add_f32_e32 v1, v1, v227
	v_mul_f32_e32 v3, v145, v181
	s_waitcnt vmcnt(18)
	v_fma_f32 v4, v142, v204, -v4
	v_fmac_f32_e32 v229, v143, v204
	v_add_f32_e32 v2, v2, v5
	v_add_f32_e32 v1, v1, v228
	v_mul_f32_e32 v5, v147, v182
	s_waitcnt vmcnt(17)
	v_fma_f32 v3, v144, v205, -v3
	v_fmac_f32_e32 v230, v145, v205
	v_add_f32_e32 v2, v2, v4
	v_add_f32_e32 v1, v1, v229
	v_mul_f32_e32 v4, v149, v183
	s_waitcnt vmcnt(16)
	v_fma_f32 v5, v146, v206, -v5
	v_fmac_f32_e32 v231, v147, v206
	v_add_f32_e32 v2, v2, v3
	v_add_f32_e32 v1, v1, v230
	v_mul_f32_e32 v3, v151, v184
	s_waitcnt vmcnt(15)
	v_fma_f32 v4, v148, v207, -v4
	v_fmac_f32_e32 v232, v149, v207
	v_add_f32_e32 v2, v2, v5
	v_add_f32_e32 v1, v1, v231
	v_mul_f32_e32 v5, v153, v185
	s_waitcnt vmcnt(14)
	v_fma_f32 v3, v150, v208, -v3
	v_fmac_f32_e32 v233, v151, v208
	v_add_f32_e32 v2, v2, v4
	v_add_f32_e32 v1, v1, v232
	v_mul_f32_e32 v4, v155, v186
	s_waitcnt vmcnt(13)
	v_fma_f32 v5, v152, v209, -v5
	v_fmac_f32_e32 v234, v153, v209
	v_add_f32_e32 v2, v2, v3
	v_add_f32_e32 v1, v1, v233
	v_mul_f32_e32 v3, v157, v187
	s_waitcnt vmcnt(12)
	v_fma_f32 v4, v154, v210, -v4
	v_fmac_f32_e32 v235, v155, v210
	v_add_f32_e32 v2, v2, v5
	v_add_f32_e32 v1, v1, v234
	v_mul_f32_e32 v5, v159, v188
	s_waitcnt vmcnt(11)
	v_fma_f32 v3, v156, v211, -v3
	v_fmac_f32_e32 v236, v157, v211
	v_add_f32_e32 v2, v2, v4
	v_add_f32_e32 v1, v1, v235
	v_mul_f32_e32 v4, v161, v189
	s_waitcnt vmcnt(10)
	v_fma_f32 v5, v158, v212, -v5
	v_fmac_f32_e32 v237, v159, v212
	v_add_f32_e32 v2, v2, v3
	v_add_f32_e32 v1, v1, v236
	v_mul_f32_e32 v3, v163, v190
	s_waitcnt vmcnt(9)
	v_fma_f32 v4, v160, v213, -v4
	v_fmac_f32_e32 v238, v161, v213
	v_add_f32_e32 v2, v2, v5
	v_add_f32_e32 v1, v1, v237
	v_mul_f32_e32 v5, v165, v191
	s_waitcnt vmcnt(8)
	v_fma_f32 v3, v162, v214, -v3
	v_fmac_f32_e32 v239, v163, v214
	v_add_f32_e32 v2, v2, v4
	v_add_f32_e32 v1, v1, v238
	v_mul_f32_e32 v4, v167, v192
	s_waitcnt vmcnt(7)
	v_fma_f32 v5, v164, v215, -v5
	v_fmac_f32_e32 v240, v165, v215
	v_add_f32_e32 v2, v2, v3
	v_add_f32_e32 v1, v1, v239
	v_mul_f32_e32 v3, v169, v193
	s_waitcnt vmcnt(6)
	v_fma_f32 v4, v166, v216, -v4
	v_fmac_f32_e32 v241, v167, v216
	v_add_f32_e32 v2, v2, v5
	v_add_f32_e32 v1, v1, v240
	v_mul_f32_e32 v5, v171, v194
	s_waitcnt vmcnt(5)
	v_fma_f32 v3, v168, v217, -v3
	v_fmac_f32_e32 v242, v169, v217
	v_add_f32_e32 v2, v2, v4
	v_add_f32_e32 v1, v1, v241
	s_waitcnt lgkmcnt(0)
	v_mul_f32_e32 v4, v173, v195
	s_waitcnt vmcnt(4)
	v_fma_f32 v5, v170, v218, -v5
	v_mul_f32_e32 v244, v172, v195
	v_add_f32_e32 v2, v2, v3
	v_fmac_f32_e32 v243, v171, v218
	v_add_f32_e32 v1, v1, v242
	v_mul_f32_e32 v3, v175, v196
	s_waitcnt vmcnt(3)
	v_fma_f32 v4, v172, v219, -v4
	v_add_f32_e32 v2, v2, v5
	v_mul_f32_e32 v245, v174, v196
	v_fmac_f32_e32 v244, v173, v219
	v_add_f32_e32 v1, v1, v243
	s_waitcnt vmcnt(2)
	v_fma_f32 v3, v174, v220, -v3
	v_add_f32_e32 v2, v2, v4
	v_fmac_f32_e32 v245, v175, v220
	v_add_f32_e32 v1, v1, v244
	v_add_f32_e32 v2, v2, v3
	;; [unrolled: 1-line block ×3, first 2 shown]
	s_waitcnt vmcnt(1)
	v_sub_f32_e32 v2, v221, v2
	s_waitcnt vmcnt(0)
	v_sub_f32_e32 v1, v222, v1
	buffer_store_dword v2, off, s[0:3], 0 offset:288
	buffer_store_dword v1, off, s[0:3], 0 offset:292
	v_cmpx_lt_u32_e32 35, v0
	s_cbranch_execz .LBB124_309
; %bb.308:
	s_clause 0x1
	buffer_load_dword v1, off, s[0:3], 0 offset:280
	buffer_load_dword v2, off, s[0:3], 0 offset:284
	v_mov_b32_e32 v3, 0
	buffer_store_dword v3, off, s[0:3], 0 offset:280
	buffer_store_dword v3, off, s[0:3], 0 offset:284
	s_waitcnt vmcnt(0)
	ds_write_b64 v135, v[1:2]
.LBB124_309:
	s_or_b32 exec_lo, exec_lo, s4
	s_waitcnt lgkmcnt(0)
	s_waitcnt_vscnt null, 0x0
	s_barrier
	buffer_gl0_inv
	s_clause 0x33
	buffer_load_dword v12, off, s[0:3], 0 offset:292
	buffer_load_dword v176, off, s[0:3], 0 offset:300
	;; [unrolled: 1-line block ×52, first 2 shown]
	v_mov_b32_e32 v1, 0
	ds_read_b128 v[2:5], v1 offset:784
	ds_read_b128 v[6:9], v1 offset:800
	;; [unrolled: 1-line block ×12, first 2 shown]
	ds_read_b64 v[10:11], v1 offset:976
	s_mov_b32 s4, exec_lo
	s_waitcnt vmcnt(51) lgkmcnt(12)
	v_mul_f32_e32 v227, v2, v12
	v_mul_f32_e32 v12, v3, v12
	s_waitcnt vmcnt(50)
	v_mul_f32_e32 v228, v4, v176
	v_mul_f32_e32 v176, v5, v176
	s_waitcnt vmcnt(49) lgkmcnt(11)
	v_mul_f32_e32 v229, v6, v177
	s_waitcnt vmcnt(48)
	v_mul_f32_e32 v230, v8, v178
	s_waitcnt vmcnt(47) lgkmcnt(10)
	v_mul_f32_e32 v231, v136, v179
	s_waitcnt vmcnt(46)
	;; [unrolled: 4-line block ×11, first 2 shown]
	v_fma_f32 v2, v2, v200, -v12
	v_fmac_f32_e32 v227, v3, v200
	v_mul_f32_e32 v3, v7, v177
	s_waitcnt vmcnt(25)
	v_fma_f32 v4, v4, v201, -v176
	v_fmac_f32_e32 v228, v5, v201
	v_add_f32_e32 v2, 0, v2
	v_add_f32_e32 v5, 0, v227
	v_mul_f32_e32 v12, v9, v178
	s_waitcnt vmcnt(24)
	v_fma_f32 v3, v6, v202, -v3
	v_fmac_f32_e32 v229, v7, v202
	v_add_f32_e32 v2, v2, v4
	v_add_f32_e32 v4, v5, v228
	;; [unrolled: 6-line block ×21, first 2 shown]
	v_mul_f32_e32 v4, v175, v198
	s_waitcnt vmcnt(4)
	v_fma_f32 v5, v172, v222, -v5
	v_mul_f32_e32 v250, v174, v198
	v_add_f32_e32 v2, v2, v6
	v_fmac_f32_e32 v249, v173, v222
	v_add_f32_e32 v3, v3, v248
	s_waitcnt lgkmcnt(0)
	v_mul_f32_e32 v6, v11, v199
	s_waitcnt vmcnt(3)
	v_fma_f32 v4, v174, v223, -v4
	v_add_f32_e32 v2, v2, v5
	v_mul_f32_e32 v251, v10, v199
	v_fmac_f32_e32 v250, v175, v223
	v_add_f32_e32 v3, v3, v249
	s_waitcnt vmcnt(2)
	v_fma_f32 v5, v10, v224, -v6
	v_add_f32_e32 v2, v2, v4
	v_fmac_f32_e32 v251, v11, v224
	v_add_f32_e32 v3, v3, v250
	v_add_f32_e32 v2, v2, v5
	;; [unrolled: 1-line block ×3, first 2 shown]
	s_waitcnt vmcnt(1)
	v_sub_f32_e32 v2, v225, v2
	s_waitcnt vmcnt(0)
	v_sub_f32_e32 v3, v226, v3
	buffer_store_dword v2, off, s[0:3], 0 offset:280
	buffer_store_dword v3, off, s[0:3], 0 offset:284
	v_cmpx_lt_u32_e32 34, v0
	s_cbranch_execz .LBB124_311
; %bb.310:
	s_clause 0x1
	buffer_load_dword v2, off, s[0:3], 0 offset:272
	buffer_load_dword v3, off, s[0:3], 0 offset:276
	buffer_store_dword v1, off, s[0:3], 0 offset:272
	buffer_store_dword v1, off, s[0:3], 0 offset:276
	s_waitcnt vmcnt(0)
	ds_write_b64 v135, v[2:3]
.LBB124_311:
	s_or_b32 exec_lo, exec_lo, s4
	s_waitcnt lgkmcnt(0)
	s_waitcnt_vscnt null, 0x0
	s_barrier
	buffer_gl0_inv
	s_clause 0x35
	buffer_load_dword v12, off, s[0:3], 0 offset:284
	buffer_load_dword v140, off, s[0:3], 0 offset:292
	;; [unrolled: 1-line block ×54, first 2 shown]
	ds_read2_b64 v[4:7], v1 offset0:97 offset1:98
	ds_read2_b64 v[8:11], v1 offset0:99 offset1:100
	;; [unrolled: 1-line block ×3, first 2 shown]
	s_mov_b32 s4, exec_lo
	s_waitcnt vmcnt(53) lgkmcnt(2)
	v_mul_f32_e32 v194, v4, v12
	s_waitcnt vmcnt(52)
	v_mul_f32_e32 v195, v6, v140
	v_mul_f32_e32 v196, v7, v140
	ds_read2_b64 v[140:143], v1 offset0:103 offset1:104
	v_mul_f32_e32 v12, v5, v12
	s_waitcnt vmcnt(49)
	v_fmac_f32_e32 v194, v5, v146
	v_fmac_f32_e32 v195, v7, v145
	v_fma_f32 v145, v6, v145, -v196
	s_waitcnt vmcnt(48) lgkmcnt(2)
	v_mul_f32_e32 v196, v8, v147
	v_fma_f32 v12, v4, v146, -v12
	v_mul_f32_e32 v146, v9, v147
	s_waitcnt vmcnt(47)
	v_mul_f32_e32 v197, v10, v148
	v_mul_f32_e32 v147, v11, v148
	v_fmac_f32_e32 v196, v9, v144
	s_waitcnt vmcnt(42) lgkmcnt(1)
	v_mul_f32_e32 v198, v136, v151
	v_fma_f32 v148, v8, v144, -v146
	v_mul_f32_e32 v144, v137, v151
	ds_read2_b64 v[4:7], v1 offset0:105 offset1:106
	v_fmac_f32_e32 v197, v11, v150
	v_fma_f32 v150, v10, v150, -v147
	v_add_f32_e32 v12, 0, v12
	ds_read2_b64 v[8:11], v1 offset0:107 offset1:108
	s_waitcnt vmcnt(41)
	v_mul_f32_e32 v199, v138, v152
	s_waitcnt vmcnt(40) lgkmcnt(2)
	v_mul_f32_e32 v200, v140, v153
	v_mul_f32_e32 v147, v141, v153
	;; [unrolled: 1-line block ×3, first 2 shown]
	v_fmac_f32_e32 v198, v137, v149
	v_fma_f32 v149, v136, v149, -v144
	v_add_f32_e32 v136, 0, v194
	v_fmac_f32_e32 v200, v141, v2
	v_fma_f32 v194, v140, v2, -v147
	v_add_f32_e32 v2, v12, v145
	s_waitcnt vmcnt(39)
	v_mul_f32_e32 v201, v142, v154
	v_mul_f32_e32 v151, v143, v154
	v_fmac_f32_e32 v199, v139, v3
	v_fma_f32 v152, v138, v3, -v146
	v_add_f32_e32 v3, v136, v195
	v_add_f32_e32 v148, v2, v148
	s_waitcnt vmcnt(34)
	v_fmac_f32_e32 v201, v143, v159
	v_fma_f32 v159, v142, v159, -v151
	s_waitcnt lgkmcnt(1)
	v_mul_f32_e32 v202, v4, v155
	v_add_f32_e32 v151, v3, v196
	v_add_f32_e32 v148, v148, v150
	v_mul_f32_e32 v12, v5, v155
	s_waitcnt vmcnt(31) lgkmcnt(0)
	v_mul_f32_e32 v195, v10, v162
	v_fmac_f32_e32 v202, v5, v158
	v_add_f32_e32 v151, v151, v197
	v_add_f32_e32 v148, v148, v149
	v_fma_f32 v12, v4, v158, -v12
	v_mul_f32_e32 v158, v6, v160
	v_mul_f32_e32 v150, v7, v160
	v_add_f32_e32 v154, v151, v198
	v_mul_f32_e32 v160, v8, v161
	v_mul_f32_e32 v149, v9, v161
	v_add_f32_e32 v161, v148, v152
	v_mul_f32_e32 v153, v11, v162
	s_waitcnt vmcnt(27)
	v_fmac_f32_e32 v195, v11, v166
	v_add_f32_e32 v11, v154, v199
	ds_read2_b64 v[136:139], v1 offset0:109 offset1:110
	ds_read2_b64 v[144:147], v1 offset0:111 offset1:112
	v_add_f32_e32 v161, v161, v194
	v_fmac_f32_e32 v158, v7, v157
	v_fma_f32 v157, v6, v157, -v150
	v_add_f32_e32 v11, v11, v200
	v_fmac_f32_e32 v160, v9, v156
	v_add_f32_e32 v159, v161, v159
	v_fma_f32 v156, v8, v156, -v149
	v_fma_f32 v10, v10, v166, -v153
	v_add_f32_e32 v11, v11, v201
	ds_read2_b64 v[2:5], v1 offset0:113 offset1:114
	ds_read2_b64 v[140:143], v1 offset0:115 offset1:116
	v_add_f32_e32 v12, v159, v12
	ds_read2_b64 v[6:9], v1 offset0:117 offset1:118
	ds_read2_b64 v[148:151], v1 offset0:119 offset1:120
	;; [unrolled: 1-line block ×3, first 2 shown]
	v_add_f32_e32 v11, v11, v202
	v_add_f32_e32 v12, v12, v157
	v_add_f32_e32 v11, v11, v158
	s_waitcnt vmcnt(26) lgkmcnt(6)
	v_mul_f32_e32 v162, v137, v167
	v_add_f32_e32 v12, v12, v156
	v_mul_f32_e32 v1, v136, v167
	s_waitcnt vmcnt(25)
	v_mul_f32_e32 v167, v139, v168
	v_add_f32_e32 v11, v11, v160
	v_fma_f32 v136, v136, v165, -v162
	v_add_f32_e32 v10, v12, v10
	v_mul_f32_e32 v166, v138, v168
	v_fmac_f32_e32 v1, v137, v165
	v_add_f32_e32 v11, v11, v195
	s_waitcnt vmcnt(24) lgkmcnt(5)
	v_mul_f32_e32 v12, v145, v169
	v_fma_f32 v138, v138, v164, -v167
	v_add_f32_e32 v10, v10, v136
	v_mul_f32_e32 v161, v144, v169
	v_fmac_f32_e32 v166, v139, v164
	v_add_f32_e32 v1, v11, v1
	s_waitcnt vmcnt(23)
	v_mul_f32_e32 v11, v147, v170
	v_fma_f32 v12, v144, v163, -v12
	v_add_f32_e32 v10, v10, v138
	v_mul_f32_e32 v168, v146, v170
	v_fmac_f32_e32 v161, v145, v163
	v_add_f32_e32 v1, v1, v166
	s_waitcnt vmcnt(22) lgkmcnt(4)
	v_mul_f32_e32 v194, v2, v171
	v_mul_f32_e32 v136, v3, v171
	s_waitcnt vmcnt(9)
	v_fma_f32 v11, v146, v184, -v11
	v_add_f32_e32 v10, v10, v12
	v_fmac_f32_e32 v168, v147, v184
	v_add_f32_e32 v1, v1, v161
	v_mul_f32_e32 v12, v5, v172
	v_fmac_f32_e32 v194, v3, v183
	v_fma_f32 v2, v2, v183, -v136
	v_add_f32_e32 v3, v10, v11
	v_mul_f32_e32 v159, v4, v172
	v_add_f32_e32 v1, v1, v168
	s_waitcnt lgkmcnt(3)
	v_mul_f32_e32 v10, v141, v173
	v_fma_f32 v4, v4, v182, -v12
	v_add_f32_e32 v2, v3, v2
	v_mul_f32_e32 v196, v140, v173
	v_fmac_f32_e32 v159, v5, v182
	v_add_f32_e32 v1, v1, v194
	v_mul_f32_e32 v3, v143, v174
	v_fma_f32 v5, v140, v181, -v10
	v_add_f32_e32 v2, v2, v4
	v_mul_f32_e32 v197, v142, v174
	v_fmac_f32_e32 v196, v141, v181
	v_add_f32_e32 v1, v1, v159
	s_waitcnt lgkmcnt(2)
	v_mul_f32_e32 v4, v7, v175
	s_waitcnt vmcnt(5)
	v_fma_f32 v3, v142, v188, -v3
	v_add_f32_e32 v2, v2, v5
	v_mul_f32_e32 v157, v6, v175
	v_fmac_f32_e32 v197, v143, v188
	v_add_f32_e32 v1, v1, v196
	v_mul_f32_e32 v5, v9, v176
	v_fma_f32 v4, v6, v187, -v4
	v_add_f32_e32 v2, v2, v3
	v_mul_f32_e32 v158, v8, v176
	v_fmac_f32_e32 v157, v7, v187
	v_add_f32_e32 v1, v1, v197
	s_waitcnt lgkmcnt(1)
	v_mul_f32_e32 v3, v149, v177
	v_fma_f32 v5, v8, v186, -v5
	v_add_f32_e32 v2, v2, v4
	v_mul_f32_e32 v198, v148, v177
	v_fmac_f32_e32 v158, v9, v186
	v_add_f32_e32 v1, v1, v157
	v_mul_f32_e32 v4, v151, v178
	v_fma_f32 v3, v148, v185, -v3
	v_add_f32_e32 v2, v2, v5
	v_mul_f32_e32 v156, v150, v178
	v_fmac_f32_e32 v198, v149, v185
	v_add_f32_e32 v1, v1, v158
	s_waitcnt lgkmcnt(0)
	v_mul_f32_e32 v5, v153, v179
	s_waitcnt vmcnt(2)
	v_fma_f32 v4, v150, v191, -v4
	v_add_f32_e32 v2, v2, v3
	v_mul_f32_e32 v160, v152, v179
	v_fmac_f32_e32 v156, v151, v191
	v_add_f32_e32 v1, v1, v198
	v_mul_f32_e32 v3, v155, v180
	v_fma_f32 v5, v152, v190, -v5
	v_add_f32_e32 v2, v2, v4
	v_mul_f32_e32 v137, v154, v180
	v_fmac_f32_e32 v160, v153, v190
	v_add_f32_e32 v1, v1, v156
	v_fma_f32 v3, v154, v189, -v3
	v_add_f32_e32 v2, v2, v5
	v_fmac_f32_e32 v137, v155, v189
	v_add_f32_e32 v1, v1, v160
	v_add_f32_e32 v2, v2, v3
	;; [unrolled: 1-line block ×3, first 2 shown]
	s_waitcnt vmcnt(1)
	v_sub_f32_e32 v2, v192, v2
	s_waitcnt vmcnt(0)
	v_sub_f32_e32 v1, v193, v1
	buffer_store_dword v2, off, s[0:3], 0 offset:272
	buffer_store_dword v1, off, s[0:3], 0 offset:276
	v_cmpx_lt_u32_e32 33, v0
	s_cbranch_execz .LBB124_313
; %bb.312:
	s_clause 0x1
	buffer_load_dword v1, off, s[0:3], 0 offset:264
	buffer_load_dword v2, off, s[0:3], 0 offset:268
	v_mov_b32_e32 v3, 0
	buffer_store_dword v3, off, s[0:3], 0 offset:264
	buffer_store_dword v3, off, s[0:3], 0 offset:268
	s_waitcnt vmcnt(0)
	ds_write_b64 v135, v[1:2]
.LBB124_313:
	s_or_b32 exec_lo, exec_lo, s4
	s_waitcnt lgkmcnt(0)
	s_waitcnt_vscnt null, 0x0
	s_barrier
	buffer_gl0_inv
	s_clause 0x37
	buffer_load_dword v149, off, s[0:3], 0 offset:276
	buffer_load_dword v153, off, s[0:3], 0 offset:284
	;; [unrolled: 1-line block ×56, first 2 shown]
	v_mov_b32_e32 v1, 0
	ds_read_b128 v[137:140], v1 offset:768
	ds_read_b128 v[141:144], v1 offset:784
	;; [unrolled: 1-line block ×3, first 2 shown]
	s_mov_b32 s4, exec_lo
	s_waitcnt vmcnt(55) lgkmcnt(2)
	v_mul_f32_e32 v196, v137, v149
	v_mul_f32_e32 v197, v138, v149
	ds_read_b128 v[149:152], v1 offset:816
	s_waitcnt vmcnt(54)
	v_mul_f32_e32 v198, v139, v153
	v_mul_f32_e32 v153, v140, v153
	s_waitcnt vmcnt(51)
	v_fmac_f32_e32 v196, v138, v156
	v_fma_f32 v156, v137, v156, -v197
	s_waitcnt vmcnt(50) lgkmcnt(2)
	v_mul_f32_e32 v197, v141, v157
	v_fmac_f32_e32 v198, v140, v155
	v_fma_f32 v153, v139, v155, -v153
	s_waitcnt vmcnt(49)
	v_mul_f32_e32 v199, v143, v158
	v_mul_f32_e32 v155, v142, v157
	;; [unrolled: 1-line block ×3, first 2 shown]
	ds_read_b128 v[137:140], v1 offset:832
	v_fmac_f32_e32 v197, v142, v154
	s_waitcnt vmcnt(45)
	v_fmac_f32_e32 v199, v144, v162
	v_fma_f32 v154, v141, v154, -v155
	v_fma_f32 v157, v143, v162, -v157
	s_waitcnt vmcnt(44) lgkmcnt(2)
	v_mul_f32_e32 v162, v145, v163
	v_mul_f32_e32 v155, v146, v163
	ds_read_b128 v[141:144], v1 offset:848
	s_waitcnt vmcnt(43)
	v_mul_f32_e32 v163, v147, v164
	v_mul_f32_e32 v158, v148, v164
	v_add_f32_e32 v164, 0, v196
	v_fmac_f32_e32 v162, v146, v161
	v_fma_f32 v161, v145, v161, -v155
	v_add_f32_e32 v145, 0, v156
	s_waitcnt vmcnt(42) lgkmcnt(2)
	v_mul_f32_e32 v196, v149, v165
	v_add_f32_e32 v146, v164, v198
	v_mul_f32_e32 v155, v150, v165
	s_waitcnt vmcnt(41)
	v_mul_f32_e32 v198, v151, v166
	v_add_f32_e32 v145, v145, v153
	v_mul_f32_e32 v164, v152, v166
	s_waitcnt vmcnt(40) lgkmcnt(1)
	v_mul_f32_e32 v200, v137, v167
	v_fma_f32 v165, v147, v160, -v158
	v_fmac_f32_e32 v196, v150, v159
	v_fma_f32 v166, v149, v159, -v155
	v_add_f32_e32 v149, v146, v197
	v_add_f32_e32 v150, v145, v154
	v_mul_f32_e32 v158, v138, v167
	s_waitcnt vmcnt(37)
	v_fmac_f32_e32 v200, v138, v170
	s_waitcnt vmcnt(36)
	v_fmac_f32_e32 v198, v152, v171
	v_add_f32_e32 v138, v149, v199
	v_fma_f32 v167, v151, v171, -v164
	v_fma_f32 v170, v137, v170, -v158
	v_add_f32_e32 v137, v150, v157
	s_waitcnt vmcnt(35)
	v_mul_f32_e32 v171, v139, v172
	v_add_f32_e32 v138, v138, v162
	v_mul_f32_e32 v162, v140, v172
	s_waitcnt vmcnt(34) lgkmcnt(0)
	v_mul_f32_e32 v172, v141, v173
	v_add_f32_e32 v137, v137, v161
	v_mul_f32_e32 v161, v142, v173
	v_fmac_f32_e32 v163, v148, v160
	s_waitcnt vmcnt(33)
	v_mul_f32_e32 v197, v143, v174
	v_mul_f32_e32 v173, v144, v174
	v_fmac_f32_e32 v172, v142, v168
	v_fma_f32 v168, v141, v168, -v161
	v_add_f32_e32 v141, v137, v165
	v_add_f32_e32 v138, v138, v163
	s_waitcnt vmcnt(29)
	v_fmac_f32_e32 v197, v144, v178
	v_fma_f32 v173, v143, v178, -v173
	ds_read_b128 v[145:148], v1 offset:864
	ds_read_b128 v[153:156], v1 offset:880
	v_add_f32_e32 v178, v141, v166
	v_add_f32_e32 v174, v138, v196
	v_fmac_f32_e32 v171, v140, v169
	v_fma_f32 v169, v139, v169, -v162
	ds_read_b128 v[149:152], v1 offset:896
	ds_read_b128 v[157:160], v1 offset:912
	v_add_f32_e32 v167, v178, v167
	v_add_f32_e32 v174, v174, v198
	ds_read_b128 v[137:140], v1 offset:928
	ds_read_b128 v[161:164], v1 offset:944
	;; [unrolled: 1-line block ×3, first 2 shown]
	ds_read_b64 v[165:166], v1 offset:976
	v_add_f32_e32 v167, v167, v170
	v_add_f32_e32 v174, v174, v200
	;; [unrolled: 1-line block ×4, first 2 shown]
	s_waitcnt vmcnt(28) lgkmcnt(7)
	v_mul_f32_e32 v196, v145, v179
	v_mul_f32_e32 v179, v146, v179
	v_add_f32_e32 v167, v167, v168
	v_add_f32_e32 v168, v171, v172
	s_waitcnt vmcnt(27)
	v_mul_f32_e32 v178, v147, v180
	v_mul_f32_e32 v180, v148, v180
	v_fma_f32 v145, v145, v177, -v179
	v_add_f32_e32 v167, v167, v173
	v_fmac_f32_e32 v196, v146, v177
	v_add_f32_e32 v168, v168, v197
	s_waitcnt vmcnt(26) lgkmcnt(6)
	v_mul_f32_e32 v177, v154, v181
	v_fma_f32 v147, v147, v176, -v180
	v_add_f32_e32 v145, v167, v145
	v_mul_f32_e32 v198, v153, v181
	v_fmac_f32_e32 v178, v148, v176
	v_add_f32_e32 v167, v168, v196
	s_waitcnt vmcnt(25)
	v_mul_f32_e32 v173, v156, v182
	v_fma_f32 v153, v153, v175, -v177
	v_add_f32_e32 v145, v145, v147
	v_mul_f32_e32 v170, v155, v182
	v_fmac_f32_e32 v198, v154, v175
	v_add_f32_e32 v147, v167, v178
	s_waitcnt vmcnt(24) lgkmcnt(5)
	v_mul_f32_e32 v154, v150, v183
	s_waitcnt vmcnt(10)
	v_fma_f32 v155, v155, v189, -v173
	v_add_f32_e32 v145, v145, v153
	v_mul_f32_e32 v146, v149, v183
	v_fmac_f32_e32 v170, v156, v189
	v_add_f32_e32 v147, v147, v198
	v_mul_f32_e32 v153, v152, v184
	v_fma_f32 v149, v149, v188, -v154
	v_add_f32_e32 v145, v145, v155
	v_mul_f32_e32 v174, v151, v184
	v_fmac_f32_e32 v146, v150, v188
	v_add_f32_e32 v147, v147, v170
	s_waitcnt lgkmcnt(4)
	v_mul_f32_e32 v150, v158, v185
	v_fma_f32 v151, v151, v187, -v153
	v_add_f32_e32 v145, v145, v149
	v_mul_f32_e32 v169, v157, v185
	v_fmac_f32_e32 v174, v152, v187
	v_add_f32_e32 v146, v147, v146
	v_mul_f32_e32 v148, v159, v136
	v_mul_f32_e32 v136, v160, v136
	v_fma_f32 v147, v157, v186, -v150
	v_add_f32_e32 v145, v145, v151
	v_fmac_f32_e32 v169, v158, v186
	v_add_f32_e32 v146, v146, v174
	s_waitcnt lgkmcnt(3)
	v_mul_f32_e32 v176, v137, v11
	v_mul_f32_e32 v11, v138, v11
	s_waitcnt vmcnt(6)
	v_fma_f32 v136, v159, v193, -v136
	v_add_f32_e32 v145, v145, v147
	v_fmac_f32_e32 v148, v160, v193
	v_add_f32_e32 v146, v146, v169
	v_mul_f32_e32 v171, v139, v10
	v_mul_f32_e32 v10, v140, v10
	v_fma_f32 v11, v137, v192, -v11
	v_add_f32_e32 v136, v145, v136
	v_fmac_f32_e32 v176, v138, v192
	v_add_f32_e32 v137, v146, v148
	s_waitcnt lgkmcnt(2)
	v_mul_f32_e32 v172, v161, v9
	v_mul_f32_e32 v9, v162, v9
	v_fma_f32 v10, v139, v191, -v10
	v_add_f32_e32 v11, v136, v11
	v_fmac_f32_e32 v171, v140, v191
	v_add_f32_e32 v136, v137, v176
	v_mul_f32_e32 v179, v163, v7
	v_mul_f32_e32 v7, v164, v7
	v_fma_f32 v9, v161, v190, -v9
	v_add_f32_e32 v10, v11, v10
	v_fmac_f32_e32 v172, v162, v190
	v_add_f32_e32 v11, v136, v171
	s_waitcnt lgkmcnt(1)
	v_mul_f32_e32 v180, v141, v6
	v_mul_f32_e32 v6, v142, v6
	s_waitcnt vmcnt(2)
	v_fma_f32 v7, v163, v195, -v7
	v_add_f32_e32 v9, v10, v9
	v_fmac_f32_e32 v179, v164, v195
	v_add_f32_e32 v10, v11, v172
	v_mul_f32_e32 v181, v143, v2
	v_mul_f32_e32 v2, v144, v2
	v_fma_f32 v6, v141, v194, -v6
	v_add_f32_e32 v7, v9, v7
	v_fmac_f32_e32 v180, v142, v194
	v_add_f32_e32 v9, v10, v179
	s_waitcnt lgkmcnt(0)
	v_mul_f32_e32 v168, v165, v3
	v_mul_f32_e32 v3, v166, v3
	v_fma_f32 v2, v143, v12, -v2
	v_add_f32_e32 v6, v7, v6
	v_fmac_f32_e32 v181, v144, v12
	v_add_f32_e32 v7, v9, v180
	v_fma_f32 v3, v165, v8, -v3
	v_fmac_f32_e32 v168, v166, v8
	v_add_f32_e32 v2, v6, v2
	v_add_f32_e32 v6, v7, v181
	;; [unrolled: 1-line block ×4, first 2 shown]
	s_waitcnt vmcnt(1)
	v_sub_f32_e32 v2, v4, v2
	s_waitcnt vmcnt(0)
	v_sub_f32_e32 v3, v5, v3
	buffer_store_dword v2, off, s[0:3], 0 offset:264
	buffer_store_dword v3, off, s[0:3], 0 offset:268
	v_cmpx_lt_u32_e32 32, v0
	s_cbranch_execz .LBB124_315
; %bb.314:
	s_clause 0x1
	buffer_load_dword v2, off, s[0:3], 0 offset:256
	buffer_load_dword v3, off, s[0:3], 0 offset:260
	buffer_store_dword v1, off, s[0:3], 0 offset:256
	buffer_store_dword v1, off, s[0:3], 0 offset:260
	s_waitcnt vmcnt(0)
	ds_write_b64 v135, v[2:3]
.LBB124_315:
	s_or_b32 exec_lo, exec_lo, s4
	s_waitcnt lgkmcnt(0)
	s_waitcnt_vscnt null, 0x0
	s_barrier
	buffer_gl0_inv
	s_clause 0x39
	buffer_load_dword v156, off, s[0:3], 0 offset:268
	buffer_load_dword v157, off, s[0:3], 0 offset:276
	;; [unrolled: 1-line block ×58, first 2 shown]
	ds_read2_b64 v[144:147], v1 offset0:95 offset1:96
	ds_read2_b64 v[148:151], v1 offset0:97 offset1:98
	;; [unrolled: 1-line block ×3, first 2 shown]
	s_mov_b32 s4, exec_lo
	s_waitcnt vmcnt(57) lgkmcnt(2)
	v_mul_f32_e32 v195, v144, v156
	v_mul_f32_e32 v156, v145, v156
	s_waitcnt vmcnt(56)
	v_mul_f32_e32 v196, v146, v157
	v_mul_f32_e32 v157, v147, v157
	s_waitcnt vmcnt(53)
	v_fmac_f32_e32 v195, v145, v160
	v_fma_f32 v156, v144, v160, -v156
	v_fmac_f32_e32 v196, v147, v159
	v_fma_f32 v160, v146, v159, -v157
	ds_read2_b64 v[144:147], v1 offset0:101 offset1:102
	s_waitcnt vmcnt(52) lgkmcnt(2)
	v_mul_f32_e32 v197, v148, v161
	v_mul_f32_e32 v157, v149, v161
	s_waitcnt vmcnt(51)
	v_mul_f32_e32 v161, v150, v162
	v_mul_f32_e32 v159, v151, v162
	s_waitcnt vmcnt(50) lgkmcnt(1)
	v_mul_f32_e32 v198, v152, v163
	v_mul_f32_e32 v162, v153, v163
	s_waitcnt vmcnt(49)
	v_mul_f32_e32 v199, v154, v164
	v_mul_f32_e32 v163, v155, v164
	v_fmac_f32_e32 v197, v149, v158
	v_fma_f32 v164, v148, v158, -v157
	s_waitcnt vmcnt(45)
	v_fmac_f32_e32 v161, v151, v167
	v_fma_f32 v167, v150, v167, -v159
	ds_read2_b64 v[148:151], v1 offset0:103 offset1:104
	v_fmac_f32_e32 v198, v153, v166
	v_fma_f32 v166, v152, v166, -v162
	v_fmac_f32_e32 v199, v155, v165
	v_fma_f32 v200, v154, v165, -v163
	ds_read2_b64 v[152:155], v1 offset0:105 offset1:106
	v_add_f32_e32 v162, 0, v195
	s_waitcnt vmcnt(44) lgkmcnt(2)
	v_mul_f32_e32 v201, v144, v168
	v_mul_f32_e32 v157, v145, v168
	s_waitcnt vmcnt(43)
	v_mul_f32_e32 v168, v146, v169
	v_mul_f32_e32 v158, v147, v169
	v_add_f32_e32 v162, v162, v196
	v_fmac_f32_e32 v201, v145, v143
	v_fma_f32 v169, v144, v143, -v157
	s_waitcnt vmcnt(39)
	v_fmac_f32_e32 v168, v147, v173
	v_add_f32_e32 v147, 0, v156
	v_fma_f32 v173, v146, v173, -v158
	ds_read2_b64 v[143:146], v1 offset0:107 offset1:108
	ds_read2_b64 v[156:159], v1 offset0:109 offset1:110
	v_add_f32_e32 v162, v162, v197
	v_add_f32_e32 v147, v147, v160
	s_waitcnt vmcnt(38) lgkmcnt(3)
	v_mul_f32_e32 v195, v148, v174
	v_mul_f32_e32 v160, v149, v174
	s_waitcnt vmcnt(37)
	v_mul_f32_e32 v174, v150, v175
	v_mul_f32_e32 v163, v151, v175
	v_add_f32_e32 v147, v147, v164
	s_waitcnt vmcnt(36) lgkmcnt(2)
	v_mul_f32_e32 v175, v152, v176
	s_waitcnt vmcnt(35)
	v_mul_f32_e32 v196, v154, v177
	v_mul_f32_e32 v164, v153, v176
	v_fmac_f32_e32 v174, v151, v171
	v_add_f32_e32 v151, v147, v167
	v_add_f32_e32 v165, v162, v161
	v_mul_f32_e32 v167, v155, v177
	v_fmac_f32_e32 v175, v153, v170
	s_waitcnt vmcnt(31)
	v_fmac_f32_e32 v196, v155, v180
	v_fma_f32 v155, v152, v170, -v164
	v_add_f32_e32 v170, v151, v166
	v_fma_f32 v176, v150, v171, -v163
	v_add_f32_e32 v171, v165, v198
	v_fma_f32 v177, v154, v180, -v167
	s_waitcnt vmcnt(30) lgkmcnt(1)
	v_mul_f32_e32 v180, v143, v181
	v_add_f32_e32 v170, v170, v200
	v_mul_f32_e32 v181, v144, v181
	v_add_f32_e32 v171, v171, v199
	v_fmac_f32_e32 v195, v149, v172
	v_fmac_f32_e32 v180, v144, v179
	v_add_f32_e32 v144, v170, v169
	v_fma_f32 v172, v148, v172, -v160
	v_add_f32_e32 v169, v171, v201
	v_fma_f32 v179, v143, v179, -v181
	ds_read2_b64 v[147:150], v1 offset0:111 offset1:112
	ds_read2_b64 v[160:163], v1 offset0:113 offset1:114
	v_add_f32_e32 v173, v144, v173
	s_waitcnt vmcnt(29)
	v_mul_f32_e32 v197, v145, v182
	v_add_f32_e32 v181, v169, v168
	v_mul_f32_e32 v182, v146, v182
	ds_read2_b64 v[151:154], v1 offset0:115 offset1:116
	ds_read2_b64 v[164:167], v1 offset0:117 offset1:118
	v_add_f32_e32 v172, v173, v172
	v_fmac_f32_e32 v197, v146, v178
	v_add_f32_e32 v181, v181, v195
	v_fma_f32 v178, v145, v178, -v182
	ds_read2_b64 v[143:146], v1 offset0:119 offset1:120
	ds_read2_b64 v[168:171], v1 offset0:121 offset1:122
	v_add_f32_e32 v172, v172, v176
	s_waitcnt vmcnt(28) lgkmcnt(6)
	v_mul_f32_e32 v1, v156, v183
	v_add_f32_e32 v174, v181, v174
	v_mul_f32_e32 v173, v157, v183
	s_waitcnt vmcnt(27)
	v_mul_f32_e32 v183, v159, v184
	v_add_f32_e32 v155, v172, v155
	v_fmac_f32_e32 v1, v157, v12
	v_add_f32_e32 v174, v174, v175
	v_fma_f32 v12, v156, v12, -v173
	v_mul_f32_e32 v182, v158, v184
	v_add_f32_e32 v155, v155, v177
	s_waitcnt vmcnt(26) lgkmcnt(5)
	v_mul_f32_e32 v176, v147, v141
	v_add_f32_e32 v174, v174, v196
	v_mul_f32_e32 v141, v148, v141
	s_waitcnt vmcnt(11)
	v_fma_f32 v158, v158, v188, -v183
	v_add_f32_e32 v155, v155, v179
	v_fmac_f32_e32 v182, v159, v188
	v_add_f32_e32 v174, v174, v180
	v_mul_f32_e32 v181, v149, v140
	v_mul_f32_e32 v140, v150, v140
	v_add_f32_e32 v155, v155, v178
	v_fma_f32 v141, v147, v187, -v141
	v_add_f32_e32 v157, v174, v197
	v_fmac_f32_e32 v176, v148, v187
	s_waitcnt lgkmcnt(4)
	v_mul_f32_e32 v184, v160, v139
	v_add_f32_e32 v12, v155, v12
	v_mul_f32_e32 v139, v161, v139
	v_add_f32_e32 v1, v157, v1
	v_fma_f32 v140, v149, v186, -v140
	v_fmac_f32_e32 v181, v150, v186
	v_add_f32_e32 v12, v12, v158
	v_mul_f32_e32 v172, v162, v138
	v_add_f32_e32 v1, v1, v182
	v_mul_f32_e32 v138, v163, v138
	v_fma_f32 v139, v160, v185, -v139
	v_add_f32_e32 v12, v12, v141
	v_fmac_f32_e32 v184, v161, v185
	v_add_f32_e32 v1, v1, v176
	s_waitcnt lgkmcnt(3)
	v_mul_f32_e32 v175, v151, v136
	v_mul_f32_e32 v136, v152, v136
	v_add_f32_e32 v12, v12, v140
	s_waitcnt vmcnt(7)
	v_fma_f32 v138, v162, v192, -v138
	v_add_f32_e32 v1, v1, v181
	v_fmac_f32_e32 v172, v163, v192
	v_mul_f32_e32 v195, v153, v11
	v_add_f32_e32 v12, v12, v139
	v_mul_f32_e32 v11, v154, v11
	v_add_f32_e32 v1, v1, v184
	v_fma_f32 v136, v151, v191, -v136
	v_fmac_f32_e32 v175, v152, v191
	v_add_f32_e32 v12, v12, v138
	s_waitcnt lgkmcnt(2)
	v_mul_f32_e32 v177, v164, v10
	v_add_f32_e32 v1, v1, v172
	v_mul_f32_e32 v10, v165, v10
	v_fma_f32 v11, v153, v190, -v11
	v_add_f32_e32 v12, v12, v136
	v_fmac_f32_e32 v195, v154, v190
	v_add_f32_e32 v1, v1, v175
	v_mul_f32_e32 v196, v166, v8
	v_mul_f32_e32 v8, v167, v8
	v_fma_f32 v10, v164, v189, -v10
	v_add_f32_e32 v11, v12, v11
	v_fmac_f32_e32 v177, v165, v189
	v_add_f32_e32 v1, v1, v195
	s_waitcnt lgkmcnt(1)
	v_mul_f32_e32 v198, v143, v7
	v_mul_f32_e32 v7, v144, v7
	s_waitcnt vmcnt(3)
	v_fma_f32 v8, v166, v194, -v8
	v_add_f32_e32 v10, v11, v10
	v_fmac_f32_e32 v196, v167, v194
	v_add_f32_e32 v1, v1, v177
	v_mul_f32_e32 v179, v145, v6
	v_mul_f32_e32 v6, v146, v6
	v_fma_f32 v7, v143, v193, -v7
	v_add_f32_e32 v8, v10, v8
	v_fmac_f32_e32 v198, v144, v193
	v_add_f32_e32 v1, v1, v196
	s_waitcnt lgkmcnt(0)
	v_mul_f32_e32 v180, v168, v5
	v_mul_f32_e32 v5, v169, v5
	v_fma_f32 v6, v145, v142, -v6
	v_add_f32_e32 v7, v8, v7
	v_fmac_f32_e32 v179, v146, v142
	v_add_f32_e32 v1, v1, v198
	v_mul_f32_e32 v156, v170, v2
	v_mul_f32_e32 v2, v171, v2
	v_fma_f32 v5, v168, v137, -v5
	v_add_f32_e32 v6, v7, v6
	v_fmac_f32_e32 v180, v169, v137
	v_add_f32_e32 v1, v1, v179
	s_waitcnt vmcnt(2)
	v_fma_f32 v2, v170, v9, -v2
	v_fmac_f32_e32 v156, v171, v9
	v_add_f32_e32 v5, v6, v5
	v_add_f32_e32 v1, v1, v180
	;; [unrolled: 1-line block ×4, first 2 shown]
	s_waitcnt vmcnt(1)
	v_sub_f32_e32 v2, v3, v2
	s_waitcnt vmcnt(0)
	v_sub_f32_e32 v1, v4, v1
	buffer_store_dword v2, off, s[0:3], 0 offset:256
	buffer_store_dword v1, off, s[0:3], 0 offset:260
	v_cmpx_lt_u32_e32 31, v0
	s_cbranch_execz .LBB124_317
; %bb.316:
	s_clause 0x1
	buffer_load_dword v1, off, s[0:3], 0 offset:248
	buffer_load_dword v2, off, s[0:3], 0 offset:252
	v_mov_b32_e32 v3, 0
	buffer_store_dword v3, off, s[0:3], 0 offset:248
	buffer_store_dword v3, off, s[0:3], 0 offset:252
	s_waitcnt vmcnt(0)
	ds_write_b64 v135, v[1:2]
.LBB124_317:
	s_or_b32 exec_lo, exec_lo, s4
	s_waitcnt lgkmcnt(0)
	s_waitcnt_vscnt null, 0x0
	s_barrier
	buffer_gl0_inv
	s_clause 0x3b
	buffer_load_dword v167, off, s[0:3], 0 offset:260
	buffer_load_dword v168, off, s[0:3], 0 offset:268
	;; [unrolled: 1-line block ×60, first 2 shown]
	v_mov_b32_e32 v1, 0
	ds_read_b128 v[155:158], v1 offset:752
	ds_read_b128 v[159:162], v1 offset:768
	;; [unrolled: 1-line block ×3, first 2 shown]
	s_mov_b32 s4, exec_lo
	s_waitcnt vmcnt(59) lgkmcnt(2)
	v_mul_f32_e32 v197, v155, v167
	s_waitcnt vmcnt(58)
	v_mul_f32_e32 v198, v157, v168
	v_mul_f32_e32 v167, v156, v167
	;; [unrolled: 1-line block ×3, first 2 shown]
	s_waitcnt vmcnt(55)
	v_fmac_f32_e32 v197, v156, v170
	v_fmac_f32_e32 v198, v158, v169
	v_fma_f32 v167, v155, v170, -v167
	v_fma_f32 v168, v157, v169, -v168
	ds_read_b128 v[155:158], v1 offset:800
	s_waitcnt vmcnt(54) lgkmcnt(2)
	v_mul_f32_e32 v199, v159, v154
	v_mul_f32_e32 v154, v160, v154
	s_waitcnt vmcnt(53)
	v_mul_f32_e32 v200, v161, v153
	v_mul_f32_e32 v153, v162, v153
	v_add_f32_e32 v169, 0, v197
	v_fmac_f32_e32 v199, v160, v148
	v_fma_f32 v148, v159, v148, -v154
	s_waitcnt vmcnt(48)
	v_fmac_f32_e32 v200, v162, v173
	v_fma_f32 v173, v161, v173, -v153
	s_waitcnt vmcnt(47) lgkmcnt(1)
	v_mul_f32_e32 v153, v166, v174
	ds_read_b128 v[159:162], v1 offset:816
	v_mul_f32_e32 v201, v163, v151
	v_mul_f32_e32 v151, v164, v151
	;; [unrolled: 1-line block ×3, first 2 shown]
	v_fma_f32 v203, v165, v171, -v153
	v_fmac_f32_e32 v201, v164, v172
	v_fma_f32 v151, v163, v172, -v151
	v_fmac_f32_e32 v202, v166, v171
	s_waitcnt vmcnt(46) lgkmcnt(1)
	v_mul_f32_e32 v204, v155, v175
	s_waitcnt vmcnt(45)
	v_mul_f32_e32 v205, v157, v176
	v_mul_f32_e32 v153, v156, v175
	;; [unrolled: 1-line block ×3, first 2 shown]
	ds_read_b128 v[163:166], v1 offset:832
	v_fmac_f32_e32 v204, v156, v150
	v_add_f32_e32 v156, 0, v167
	s_waitcnt vmcnt(41)
	v_fmac_f32_e32 v205, v158, v179
	v_fma_f32 v179, v157, v179, -v154
	v_add_f32_e32 v158, v169, v198
	v_fma_f32 v150, v155, v150, -v153
	v_add_f32_e32 v157, v156, v168
	s_waitcnt vmcnt(39) lgkmcnt(1)
	v_mul_f32_e32 v171, v162, v181
	v_mul_f32_e32 v198, v161, v181
	v_add_f32_e32 v158, v158, v199
	ds_read_b128 v[153:156], v1 offset:848
	ds_read_b128 v[167:170], v1 offset:864
	v_add_f32_e32 v148, v157, v148
	v_fma_f32 v206, v161, v177, -v171
	v_mul_f32_e32 v157, v160, v180
	v_add_f32_e32 v158, v158, v200
	v_mul_f32_e32 v197, v159, v180
	v_add_f32_e32 v148, v148, v173
	v_fmac_f32_e32 v198, v162, v177
	v_fma_f32 v180, v159, v178, -v157
	v_add_f32_e32 v161, v158, v201
	s_waitcnt vmcnt(37) lgkmcnt(2)
	v_mul_f32_e32 v200, v165, v146
	v_add_f32_e32 v148, v148, v151
	v_fmac_f32_e32 v197, v160, v178
	v_mul_f32_e32 v146, v166, v146
	v_add_f32_e32 v151, v161, v202
	v_mul_f32_e32 v199, v163, v182
	v_add_f32_e32 v148, v148, v203
	v_mul_f32_e32 v175, v164, v182
	s_waitcnt vmcnt(33)
	v_fmac_f32_e32 v200, v166, v185
	v_add_f32_e32 v151, v151, v204
	v_fma_f32 v146, v165, v185, -v146
	v_add_f32_e32 v148, v148, v150
	v_fmac_f32_e32 v199, v164, v143
	v_fma_f32 v143, v163, v143, -v175
	v_add_f32_e32 v151, v151, v205
	s_waitcnt vmcnt(32) lgkmcnt(1)
	v_mul_f32_e32 v165, v153, v186
	v_add_f32_e32 v148, v148, v179
	v_mul_f32_e32 v150, v154, v186
	ds_read_b128 v[157:160], v1 offset:880
	ds_read_b128 v[171:174], v1 offset:896
	v_add_f32_e32 v185, v151, v197
	s_waitcnt vmcnt(30) lgkmcnt(2)
	v_mul_f32_e32 v186, v167, v141
	v_add_f32_e32 v148, v148, v180
	v_mul_f32_e32 v141, v168, v141
	v_mul_f32_e32 v166, v155, v187
	v_add_f32_e32 v185, v185, v198
	v_mul_f32_e32 v181, v156, v187
	v_add_f32_e32 v148, v148, v206
	v_fmac_f32_e32 v165, v154, v184
	v_fma_f32 v184, v153, v184, -v150
	v_add_f32_e32 v185, v185, v199
	v_fmac_f32_e32 v186, v168, v137
	v_add_f32_e32 v143, v148, v143
	v_fma_f32 v137, v167, v137, -v141
	v_fmac_f32_e32 v166, v156, v183
	v_add_f32_e32 v167, v185, v200
	v_fma_f32 v183, v155, v183, -v181
	v_add_f32_e32 v143, v143, v146
	s_waitcnt vmcnt(29)
	v_mul_f32_e32 v187, v169, v142
	v_mul_f32_e32 v142, v170, v142
	v_add_f32_e32 v165, v167, v165
	s_waitcnt vmcnt(28) lgkmcnt(1)
	v_mul_f32_e32 v197, v157, v138
	v_add_f32_e32 v143, v143, v184
	v_mul_f32_e32 v138, v158, v138
	s_waitcnt vmcnt(20)
	v_fma_f32 v142, v169, v191, -v142
	v_add_f32_e32 v165, v165, v166
	ds_read_b128 v[161:164], v1 offset:912
	ds_read_b128 v[175:178], v1 offset:928
	v_add_f32_e32 v143, v143, v183
	v_fmac_f32_e32 v187, v170, v191
	v_mul_f32_e32 v148, v159, v10
	v_mul_f32_e32 v10, v160, v10
	v_fma_f32 v138, v157, v190, -v138
	v_add_f32_e32 v137, v143, v137
	v_add_f32_e32 v143, v165, v186
	v_fmac_f32_e32 v197, v158, v190
	s_waitcnt lgkmcnt(2)
	v_mul_f32_e32 v141, v171, v8
	v_mul_f32_e32 v8, v172, v8
	v_add_f32_e32 v137, v137, v142
	v_add_f32_e32 v142, v143, v187
	v_fma_f32 v10, v159, v189, -v10
	v_fmac_f32_e32 v148, v160, v189
	v_mul_f32_e32 v168, v173, v6
	v_add_f32_e32 v137, v137, v138
	v_add_f32_e32 v138, v142, v197
	v_mul_f32_e32 v6, v174, v6
	v_fma_f32 v8, v171, v188, -v8
	v_fmac_f32_e32 v141, v172, v188
	v_add_f32_e32 v10, v137, v10
	v_add_f32_e32 v137, v138, v148
	s_waitcnt lgkmcnt(1)
	v_mul_f32_e32 v146, v161, v5
	v_mul_f32_e32 v5, v162, v5
	s_waitcnt vmcnt(8)
	v_fma_f32 v6, v173, v196, -v6
	v_add_f32_e32 v8, v10, v8
	v_fmac_f32_e32 v168, v174, v196
	v_add_f32_e32 v10, v137, v141
	ds_read_b128 v[153:156], v1 offset:944
	ds_read_b128 v[179:182], v1 offset:960
	ds_read_b64 v[150:151], v1 offset:976
	v_mul_f32_e32 v137, v164, v192
	v_fma_f32 v5, v161, v195, -v5
	v_add_f32_e32 v6, v8, v6
	v_mul_f32_e32 v169, v163, v192
	v_fmac_f32_e32 v146, v162, v195
	v_add_f32_e32 v8, v10, v168
	s_waitcnt lgkmcnt(3)
	v_mul_f32_e32 v10, v176, v193
	v_fma_f32 v137, v163, v194, -v137
	v_add_f32_e32 v5, v6, v5
	v_mul_f32_e32 v170, v175, v193
	v_fmac_f32_e32 v169, v164, v194
	v_add_f32_e32 v6, v8, v146
	v_mul_f32_e32 v8, v178, v147
	v_fma_f32 v10, v175, v152, -v10
	v_add_f32_e32 v5, v5, v137
	v_mul_f32_e32 v167, v177, v147
	v_fmac_f32_e32 v170, v176, v152
	v_add_f32_e32 v6, v6, v169
	s_waitcnt lgkmcnt(2)
	v_mul_f32_e32 v137, v154, v144
	s_waitcnt vmcnt(4)
	v_fma_f32 v8, v177, v149, -v8
	v_add_f32_e32 v5, v5, v10
	v_mul_f32_e32 v184, v153, v144
	v_fmac_f32_e32 v167, v178, v149
	v_add_f32_e32 v6, v6, v170
	v_mul_f32_e32 v10, v156, v140
	v_fma_f32 v137, v153, v145, -v137
	v_add_f32_e32 v5, v5, v8
	v_mul_f32_e32 v185, v155, v140
	v_fmac_f32_e32 v184, v154, v145
	v_add_f32_e32 v6, v6, v167
	s_waitcnt lgkmcnt(1)
	v_mul_f32_e32 v8, v180, v136
	v_fma_f32 v10, v155, v139, -v10
	v_add_f32_e32 v5, v5, v137
	v_mul_f32_e32 v166, v179, v136
	v_fmac_f32_e32 v185, v156, v139
	v_add_f32_e32 v6, v6, v184
	v_mul_f32_e32 v183, v181, v9
	v_mul_f32_e32 v9, v182, v9
	v_fma_f32 v8, v179, v12, -v8
	v_add_f32_e32 v5, v5, v10
	v_fmac_f32_e32 v166, v180, v12
	v_add_f32_e32 v6, v6, v185
	s_waitcnt lgkmcnt(0)
	v_mul_f32_e32 v165, v150, v4
	v_mul_f32_e32 v4, v151, v4
	s_waitcnt vmcnt(2)
	v_fma_f32 v9, v181, v11, -v9
	v_add_f32_e32 v5, v5, v8
	v_fmac_f32_e32 v183, v182, v11
	v_add_f32_e32 v6, v6, v166
	v_fma_f32 v4, v150, v7, -v4
	v_fmac_f32_e32 v165, v151, v7
	v_add_f32_e32 v5, v5, v9
	v_add_f32_e32 v6, v6, v183
	;; [unrolled: 1-line block ×4, first 2 shown]
	s_waitcnt vmcnt(1)
	v_sub_f32_e32 v2, v2, v4
	s_waitcnt vmcnt(0)
	v_sub_f32_e32 v3, v3, v5
	buffer_store_dword v2, off, s[0:3], 0 offset:248
	buffer_store_dword v3, off, s[0:3], 0 offset:252
	v_cmpx_lt_u32_e32 30, v0
	s_cbranch_execz .LBB124_319
; %bb.318:
	s_clause 0x1
	buffer_load_dword v2, off, s[0:3], 0 offset:240
	buffer_load_dword v3, off, s[0:3], 0 offset:244
	buffer_store_dword v1, off, s[0:3], 0 offset:240
	buffer_store_dword v1, off, s[0:3], 0 offset:244
	s_waitcnt vmcnt(0)
	ds_write_b64 v135, v[2:3]
.LBB124_319:
	s_or_b32 exec_lo, exec_lo, s4
	s_waitcnt lgkmcnt(0)
	s_waitcnt_vscnt null, 0x0
	s_barrier
	buffer_gl0_inv
	s_clause 0x3d
	buffer_load_dword v167, off, s[0:3], 0 offset:252
	buffer_load_dword v168, off, s[0:3], 0 offset:260
	;; [unrolled: 1-line block ×62, first 2 shown]
	ds_read2_b64 v[159:162], v1 offset0:93 offset1:94
	ds_read2_b64 v[163:166], v1 offset0:95 offset1:96
	s_mov_b32 s4, exec_lo
	s_waitcnt vmcnt(61) lgkmcnt(1)
	v_mul_f32_e32 v195, v159, v167
	s_waitcnt vmcnt(60)
	v_mul_f32_e32 v196, v161, v168
	v_mul_f32_e32 v167, v160, v167
	;; [unrolled: 1-line block ×3, first 2 shown]
	s_waitcnt vmcnt(57)
	v_fmac_f32_e32 v195, v160, v170
	v_fmac_f32_e32 v196, v162, v169
	v_fma_f32 v167, v159, v170, -v167
	v_fma_f32 v197, v161, v169, -v168
	ds_read2_b64 v[159:162], v1 offset0:97 offset1:98
	s_waitcnt vmcnt(56) lgkmcnt(1)
	v_mul_f32_e32 v198, v163, v156
	v_mul_f32_e32 v156, v164, v156
	s_waitcnt vmcnt(55)
	v_mul_f32_e32 v199, v165, v157
	v_mul_f32_e32 v157, v166, v157
	v_fmac_f32_e32 v198, v164, v150
	v_fma_f32 v150, v163, v150, -v156
	s_waitcnt vmcnt(51)
	v_fmac_f32_e32 v199, v166, v171
	v_fma_f32 v171, v165, v171, -v157
	ds_read2_b64 v[163:166], v1 offset0:99 offset1:100
	v_add_f32_e32 v157, 0, v195
	v_add_f32_e32 v157, v157, v196
	s_waitcnt vmcnt(50) lgkmcnt(1)
	v_mul_f32_e32 v200, v159, v147
	v_mul_f32_e32 v147, v160, v147
	s_waitcnt vmcnt(49)
	v_mul_f32_e32 v201, v161, v146
	v_mul_f32_e32 v146, v162, v146
	v_fmac_f32_e32 v200, v160, v144
	v_fma_f32 v144, v159, v144, -v147
	v_fmac_f32_e32 v201, v162, v143
	v_fma_f32 v143, v161, v143, -v146
	ds_read2_b64 v[159:162], v1 offset0:101 offset1:102
	s_waitcnt vmcnt(48) lgkmcnt(1)
	v_mul_f32_e32 v146, v163, v9
	v_mul_f32_e32 v9, v164, v9
	s_waitcnt vmcnt(47)
	v_mul_f32_e32 v147, v165, v172
	v_mul_f32_e32 v156, v166, v172
	v_fmac_f32_e32 v146, v164, v5
	v_fma_f32 v5, v163, v5, -v9
	s_waitcnt vmcnt(43)
	v_fmac_f32_e32 v147, v166, v173
	v_fma_f32 v9, v165, v173, -v156
	ds_read2_b64 v[163:166], v1 offset0:103 offset1:104
	v_add_f32_e32 v156, 0, v167
	ds_read2_b64 v[167:170], v1 offset0:105 offset1:106
	v_add_f32_e32 v156, v156, v197
	s_waitcnt vmcnt(42) lgkmcnt(2)
	v_mul_f32_e32 v195, v159, v158
	v_mul_f32_e32 v158, v160, v158
	v_add_f32_e32 v150, v156, v150
	s_waitcnt vmcnt(41)
	v_mul_f32_e32 v197, v161, v151
	v_mul_f32_e32 v151, v162, v151
	v_fmac_f32_e32 v195, v160, v152
	v_fma_f32 v196, v159, v152, -v158
	v_add_f32_e32 v152, v157, v198
	v_add_f32_e32 v150, v150, v171
	ds_read2_b64 v[156:159], v1 offset0:107 offset1:108
	s_waitcnt vmcnt(40) lgkmcnt(2)
	v_mul_f32_e32 v198, v163, v148
	v_mul_f32_e32 v148, v164, v148
	v_add_f32_e32 v152, v152, v199
	v_add_f32_e32 v144, v150, v144
	s_waitcnt vmcnt(39)
	v_mul_f32_e32 v199, v165, v153
	v_fmac_f32_e32 v198, v164, v8
	v_fma_f32 v148, v163, v8, -v148
	v_add_f32_e32 v150, v152, v200
	v_add_f32_e32 v8, v144, v143
	v_mul_f32_e32 v171, v166, v153
	v_fmac_f32_e32 v197, v162, v10
	v_fma_f32 v10, v161, v10, -v151
	v_add_f32_e32 v143, v150, v201
	v_add_f32_e32 v5, v8, v5
	s_waitcnt vmcnt(34)
	v_fmac_f32_e32 v199, v166, v175
	v_fma_f32 v144, v165, v175, -v171
	s_waitcnt lgkmcnt(1)
	v_mul_f32_e32 v200, v167, v140
	v_add_f32_e32 v8, v143, v146
	v_add_f32_e32 v5, v5, v9
	s_waitcnt vmcnt(33)
	v_mul_f32_e32 v143, v169, v141
	v_mul_f32_e32 v9, v170, v141
	s_waitcnt vmcnt(32) lgkmcnt(0)
	v_mul_f32_e32 v146, v156, v138
	v_add_f32_e32 v8, v8, v147
	v_mul_f32_e32 v138, v157, v138
	v_add_f32_e32 v5, v5, v196
	s_waitcnt vmcnt(31)
	v_mul_f32_e32 v175, v159, v139
	v_fmac_f32_e32 v143, v170, v12
	v_fma_f32 v12, v169, v12, -v9
	v_fma_f32 v169, v156, v11, -v138
	v_add_f32_e32 v156, v8, v195
	v_add_f32_e32 v5, v5, v10
	s_waitcnt vmcnt(27)
	v_fma_f32 v170, v158, v179, -v175
	v_mul_f32_e32 v140, v168, v140
	ds_read2_b64 v[150:153], v1 offset0:109 offset1:110
	ds_read2_b64 v[160:163], v1 offset0:111 offset1:112
	v_add_f32_e32 v175, v156, v197
	v_add_f32_e32 v5, v5, v148
	v_fmac_f32_e32 v200, v168, v174
	v_fma_f32 v168, v167, v174, -v140
	v_mul_f32_e32 v147, v158, v139
	v_add_f32_e32 v175, v175, v198
	v_add_f32_e32 v5, v5, v144
	v_fmac_f32_e32 v146, v157, v11
	ds_read2_b64 v[164:167], v1 offset0:113 offset1:114
	ds_read2_b64 v[171:174], v1 offset0:115 offset1:116
	;; [unrolled: 1-line block ×4, first 2 shown]
	v_add_f32_e32 v175, v175, v199
	v_add_f32_e32 v5, v5, v168
	v_fmac_f32_e32 v147, v159, v179
	ds_read2_b64 v[156:159], v1 offset0:121 offset1:122
	v_add_f32_e32 v175, v175, v200
	v_add_f32_e32 v5, v5, v12
	s_waitcnt vmcnt(26) lgkmcnt(6)
	v_mul_f32_e32 v148, v151, v180
	v_mul_f32_e32 v1, v150, v180
	v_add_f32_e32 v143, v175, v143
	v_add_f32_e32 v5, v5, v169
	s_waitcnt vmcnt(25)
	v_mul_f32_e32 v180, v153, v181
	v_fma_f32 v148, v150, v178, -v148
	v_mul_f32_e32 v179, v152, v181
	v_add_f32_e32 v143, v143, v146
	v_add_f32_e32 v5, v5, v170
	v_fmac_f32_e32 v1, v151, v178
	v_fma_f32 v151, v152, v177, -v180
	s_waitcnt vmcnt(24) lgkmcnt(5)
	v_mul_f32_e32 v144, v160, v182
	v_add_f32_e32 v143, v143, v147
	v_mul_f32_e32 v147, v161, v182
	v_add_f32_e32 v5, v5, v148
	v_fmac_f32_e32 v179, v153, v177
	s_waitcnt vmcnt(23)
	v_mul_f32_e32 v181, v162, v183
	v_add_f32_e32 v1, v143, v1
	v_mul_f32_e32 v143, v163, v183
	v_fma_f32 v147, v160, v176, -v147
	v_add_f32_e32 v5, v5, v151
	v_fmac_f32_e32 v144, v161, v176
	v_add_f32_e32 v1, v1, v179
	s_waitcnt vmcnt(22) lgkmcnt(4)
	v_mul_f32_e32 v148, v165, v184
	s_waitcnt vmcnt(9)
	v_fma_f32 v143, v162, v189, -v143
	v_add_f32_e32 v5, v5, v147
	v_mul_f32_e32 v195, v164, v184
	v_fmac_f32_e32 v181, v163, v189
	v_add_f32_e32 v1, v1, v144
	v_mul_f32_e32 v144, v167, v185
	v_fma_f32 v147, v164, v188, -v148
	v_add_f32_e32 v5, v5, v143
	v_mul_f32_e32 v168, v166, v185
	v_fmac_f32_e32 v195, v165, v188
	v_add_f32_e32 v1, v1, v181
	s_waitcnt lgkmcnt(3)
	v_mul_f32_e32 v143, v172, v186
	v_fma_f32 v144, v166, v187, -v144
	v_add_f32_e32 v5, v5, v147
	v_mul_f32_e32 v196, v171, v186
	v_fmac_f32_e32 v168, v167, v187
	v_add_f32_e32 v1, v1, v195
	v_mul_f32_e32 v147, v174, v149
	v_fma_f32 v143, v171, v155, -v143
	v_add_f32_e32 v5, v5, v144
	v_mul_f32_e32 v197, v173, v149
	v_fmac_f32_e32 v196, v172, v155
	v_add_f32_e32 v1, v1, v168
	s_waitcnt lgkmcnt(2)
	v_mul_f32_e32 v12, v8, v142
	v_mul_f32_e32 v142, v9, v142
	s_waitcnt vmcnt(5)
	v_fma_f32 v144, v173, v154, -v147
	v_add_f32_e32 v5, v5, v143
	v_fmac_f32_e32 v197, v174, v154
	v_add_f32_e32 v1, v1, v196
	v_mul_f32_e32 v175, v10, v136
	v_mul_f32_e32 v136, v11, v136
	v_fma_f32 v8, v8, v145, -v142
	v_add_f32_e32 v5, v5, v144
	v_fmac_f32_e32 v12, v9, v145
	v_add_f32_e32 v1, v1, v197
	s_waitcnt lgkmcnt(1)
	v_mul_f32_e32 v198, v138, v7
	v_mul_f32_e32 v7, v139, v7
	v_fma_f32 v9, v10, v137, -v136
	v_add_f32_e32 v5, v5, v8
	v_fmac_f32_e32 v175, v11, v137
	v_add_f32_e32 v1, v1, v12
	v_mul_f32_e32 v169, v140, v4
	v_mul_f32_e32 v4, v141, v4
	v_fmac_f32_e32 v198, v139, v6
	v_fma_f32 v6, v138, v6, -v7
	v_add_f32_e32 v5, v5, v9
	v_add_f32_e32 v1, v1, v175
	s_waitcnt lgkmcnt(0)
	v_mul_f32_e32 v146, v156, v3
	v_mul_f32_e32 v3, v157, v3
	s_waitcnt vmcnt(2)
	v_fma_f32 v4, v140, v192, -v4
	v_add_f32_e32 v5, v5, v6
	v_fmac_f32_e32 v169, v141, v192
	v_add_f32_e32 v1, v1, v198
	v_mul_f32_e32 v150, v158, v2
	v_mul_f32_e32 v2, v159, v2
	v_fma_f32 v3, v156, v191, -v3
	v_add_f32_e32 v4, v5, v4
	v_fmac_f32_e32 v146, v157, v191
	v_add_f32_e32 v1, v1, v169
	v_fma_f32 v2, v158, v190, -v2
	v_fmac_f32_e32 v150, v159, v190
	v_add_f32_e32 v3, v4, v3
	v_add_f32_e32 v1, v1, v146
	;; [unrolled: 1-line block ×4, first 2 shown]
	s_waitcnt vmcnt(1)
	v_sub_f32_e32 v2, v193, v2
	s_waitcnt vmcnt(0)
	v_sub_f32_e32 v1, v194, v1
	buffer_store_dword v2, off, s[0:3], 0 offset:240
	buffer_store_dword v1, off, s[0:3], 0 offset:244
	v_cmpx_lt_u32_e32 29, v0
	s_cbranch_execz .LBB124_321
; %bb.320:
	s_clause 0x1
	buffer_load_dword v1, off, s[0:3], 0 offset:232
	buffer_load_dword v2, off, s[0:3], 0 offset:236
	v_mov_b32_e32 v3, 0
	buffer_store_dword v3, off, s[0:3], 0 offset:232
	buffer_store_dword v3, off, s[0:3], 0 offset:236
	s_waitcnt vmcnt(0)
	ds_write_b64 v135, v[1:2]
.LBB124_321:
	s_or_b32 exec_lo, exec_lo, s4
	s_waitcnt lgkmcnt(0)
	s_waitcnt_vscnt null, 0x0
	s_barrier
	buffer_gl0_inv
	s_clause 0x3e
	buffer_load_dword v9, off, s[0:3], 0 offset:244
	buffer_load_dword v12, off, s[0:3], 0 offset:252
	;; [unrolled: 1-line block ×64, first 2 shown]
	v_mov_b32_e32 v1, 0
	ds_read_b128 v[175:178], v1 offset:736
	ds_read_b128 v[179:182], v1 offset:752
	s_mov_b32 s4, exec_lo
	ds_read_b128 v[187:190], v1 offset:848
	s_waitcnt vmcnt(62) lgkmcnt(2)
	v_mul_f32_e32 v183, v175, v9
	v_mul_f32_e32 v184, v177, v12
	;; [unrolled: 1-line block ×4, first 2 shown]
	s_waitcnt vmcnt(59)
	v_fmac_f32_e32 v183, v176, v142
	v_fmac_f32_e32 v184, v178, v141
	v_fma_f32 v9, v175, v142, -v9
	v_fma_f32 v12, v177, v141, -v12
	ds_read_b128 v[175:178], v1 offset:768
	s_waitcnt vmcnt(58) lgkmcnt(2)
	v_mul_f32_e32 v141, v179, v138
	s_waitcnt vmcnt(57)
	v_mul_f32_e32 v142, v181, v139
	v_mul_f32_e32 v138, v180, v138
	;; [unrolled: 1-line block ×3, first 2 shown]
	v_add_f32_e32 v9, 0, v9
	v_fmac_f32_e32 v141, v180, v8
	s_waitcnt vmcnt(53)
	v_fmac_f32_e32 v142, v182, v165
	v_fma_f32 v8, v179, v8, -v138
	v_fma_f32 v138, v181, v165, -v139
	ds_read_b128 v[179:182], v1 offset:784
	v_add_f32_e32 v9, v9, v12
	v_add_f32_e32 v8, v9, v8
	s_waitcnt vmcnt(51) lgkmcnt(1)
	v_mul_f32_e32 v165, v177, v163
	v_mul_f32_e32 v163, v178, v163
	;; [unrolled: 1-line block ×4, first 2 shown]
	v_add_f32_e32 v8, v8, v138
	v_fmac_f32_e32 v165, v178, v156
	v_fma_f32 v156, v177, v156, -v163
	v_fmac_f32_e32 v139, v176, v160
	v_fma_f32 v160, v175, v160, -v164
	ds_read_b128 v[175:178], v1 offset:800
	s_waitcnt vmcnt(50) lgkmcnt(1)
	v_mul_f32_e32 v163, v179, v159
	v_mul_f32_e32 v159, v180, v159
	s_waitcnt vmcnt(49)
	v_mul_f32_e32 v205, v181, v157
	v_mul_f32_e32 v157, v182, v157
	v_add_f32_e32 v8, v8, v160
	v_fmac_f32_e32 v163, v180, v150
	v_fma_f32 v150, v179, v150, -v159
	v_add_f32_e32 v159, 0, v183
	s_waitcnt vmcnt(45)
	v_fmac_f32_e32 v205, v182, v173
	v_fma_f32 v157, v181, v173, -v157
	ds_read_b128 v[179:182], v1 offset:816
	v_add_f32_e32 v8, v8, v156
	v_add_f32_e32 v159, v159, v184
	ds_read_b128 v[183:186], v1 offset:832
	v_add_f32_e32 v8, v8, v150
	v_add_f32_e32 v12, v159, v141
	s_waitcnt vmcnt(34)
	v_mul_f32_e32 v150, v188, v154
	s_waitcnt lgkmcnt(2)
	v_mul_f32_e32 v159, v176, v171
	v_mul_f32_e32 v141, v175, v171
	v_add_f32_e32 v8, v8, v157
	v_add_f32_e32 v9, v12, v142
	v_mul_f32_e32 v138, v177, v167
	v_fma_f32 v12, v175, v168, -v159
	v_fmac_f32_e32 v141, v176, v168
	v_add_f32_e32 v9, v9, v139
	v_mul_f32_e32 v139, v178, v167
	v_add_f32_e32 v8, v8, v12
	s_waitcnt lgkmcnt(1)
	v_mul_f32_e32 v142, v179, v166
	v_mul_f32_e32 v159, v180, v166
	v_add_f32_e32 v9, v9, v165
	v_fma_f32 v139, v177, v148, -v139
	v_fmac_f32_e32 v138, v178, v148
	v_mul_f32_e32 v167, v182, v169
	v_fmac_f32_e32 v142, v180, v146
	v_add_f32_e32 v9, v9, v163
	v_fma_f32 v146, v179, v146, -v159
	v_add_f32_e32 v8, v8, v139
	v_mul_f32_e32 v160, v181, v169
	s_waitcnt lgkmcnt(0)
	v_mul_f32_e32 v148, v184, v158
	v_add_f32_e32 v9, v9, v205
	v_fma_f32 v167, v181, v174, -v167
	v_add_f32_e32 v146, v8, v146
	v_mul_f32_e32 v168, v183, v158
	ds_read_b128 v[163:166], v1 offset:864
	ds_read_b128 v[175:178], v1 offset:880
	v_add_f32_e32 v9, v9, v141
	v_fmac_f32_e32 v160, v182, v174
	v_fma_f32 v169, v183, v172, -v148
	v_mul_f32_e32 v148, v186, v161
	v_add_f32_e32 v146, v146, v167
	v_add_f32_e32 v9, v9, v138
	v_fmac_f32_e32 v168, v184, v172
	v_mul_f32_e32 v141, v185, v161
	v_mul_f32_e32 v12, v187, v154
	s_waitcnt vmcnt(33)
	v_mul_f32_e32 v138, v189, v155
	v_add_f32_e32 v139, v9, v142
	v_mul_f32_e32 v154, v190, v155
	v_fma_f32 v155, v185, v151, -v148
	v_add_f32_e32 v146, v146, v169
	v_fmac_f32_e32 v141, v186, v151
	v_add_f32_e32 v139, v139, v160
	v_fma_f32 v161, v187, v149, -v150
	v_fmac_f32_e32 v12, v188, v149
	v_add_f32_e32 v146, v146, v155
	s_waitcnt vmcnt(28)
	v_fma_f32 v142, v189, v162, -v154
	v_add_f32_e32 v139, v139, v168
	s_waitcnt vmcnt(27) lgkmcnt(1)
	v_mul_f32_e32 v154, v163, v152
	v_mul_f32_e32 v152, v164, v152
	v_add_f32_e32 v146, v146, v161
	ds_read_b128 v[156:159], v1 offset:896
	ds_read_b128 v[171:174], v1 offset:912
	v_add_f32_e32 v139, v139, v141
	v_fmac_f32_e32 v138, v190, v162
	s_waitcnt vmcnt(26)
	v_mul_f32_e32 v160, v165, v153
	v_mul_f32_e32 v153, v166, v153
	v_fmac_f32_e32 v154, v164, v147
	v_add_f32_e32 v12, v139, v12
	v_fma_f32 v147, v163, v147, -v152
	v_add_f32_e32 v142, v146, v142
	s_waitcnt lgkmcnt(2)
	v_mul_f32_e32 v162, v175, v145
	v_mul_f32_e32 v145, v176, v145
	v_add_f32_e32 v12, v12, v138
	v_fmac_f32_e32 v160, v166, v144
	v_fma_f32 v144, v165, v144, -v153
	v_add_f32_e32 v142, v142, v147
	s_waitcnt vmcnt(25)
	v_mul_f32_e32 v138, v178, v143
	v_add_f32_e32 v12, v12, v154
	v_fmac_f32_e32 v162, v176, v2
	v_fma_f32 v2, v175, v2, -v145
	v_add_f32_e32 v142, v142, v144
	v_mul_f32_e32 v167, v177, v143
	v_add_f32_e32 v12, v12, v160
	s_waitcnt vmcnt(24) lgkmcnt(1)
	v_mul_f32_e32 v152, v156, v140
	v_mul_f32_e32 v140, v157, v140
	s_waitcnt vmcnt(13)
	v_fma_f32 v138, v177, v191, -v138
	v_add_f32_e32 v2, v142, v2
	ds_read_b128 v[148:151], v1 offset:928
	ds_read_b128 v[179:182], v1 offset:944
	v_fmac_f32_e32 v167, v178, v191
	v_add_f32_e32 v12, v12, v162
	v_mul_f32_e32 v141, v158, v136
	v_mul_f32_e32 v136, v159, v136
	s_waitcnt vmcnt(10)
	v_fma_f32 v140, v156, v194, -v140
	v_add_f32_e32 v2, v2, v138
	v_fmac_f32_e32 v152, v157, v194
	v_add_f32_e32 v12, v12, v167
	s_waitcnt lgkmcnt(2)
	v_mul_f32_e32 v155, v171, v137
	v_mul_f32_e32 v137, v172, v137
	v_fma_f32 v136, v158, v193, -v136
	v_add_f32_e32 v2, v2, v140
	v_fmac_f32_e32 v141, v159, v193
	v_add_f32_e32 v12, v12, v152
	v_mul_f32_e32 v153, v173, v11
	v_mul_f32_e32 v11, v174, v11
	v_fma_f32 v137, v171, v192, -v137
	v_add_f32_e32 v2, v2, v136
	v_fmac_f32_e32 v155, v172, v192
	v_add_f32_e32 v12, v12, v141
	s_waitcnt lgkmcnt(1)
	v_mul_f32_e32 v163, v148, v10
	v_mul_f32_e32 v10, v149, v10
	s_waitcnt vmcnt(6)
	v_fma_f32 v11, v173, v198, -v11
	v_add_f32_e32 v2, v2, v137
	ds_read_b128 v[183:186], v1 offset:960
	ds_read_b64 v[8:9], v1 offset:976
	v_fmac_f32_e32 v153, v174, v198
	v_add_f32_e32 v12, v12, v155
	v_mul_f32_e32 v139, v150, v7
	v_mul_f32_e32 v7, v151, v7
	v_fma_f32 v10, v148, v197, -v10
	v_add_f32_e32 v2, v2, v11
	v_fmac_f32_e32 v163, v149, v197
	v_add_f32_e32 v11, v12, v153
	s_waitcnt lgkmcnt(2)
	v_mul_f32_e32 v161, v179, v6
	v_mul_f32_e32 v6, v180, v6
	v_fma_f32 v7, v150, v196, -v7
	v_add_f32_e32 v2, v2, v10
	v_fmac_f32_e32 v139, v151, v196
	v_add_f32_e32 v10, v11, v163
	v_mul_f32_e32 v164, v181, v5
	v_mul_f32_e32 v5, v182, v5
	v_fma_f32 v6, v179, v195, -v6
	v_add_f32_e32 v2, v2, v7
	v_fmac_f32_e32 v161, v180, v195
	v_add_f32_e32 v7, v10, v139
	s_waitcnt lgkmcnt(1)
	v_mul_f32_e32 v143, v183, v4
	v_mul_f32_e32 v4, v184, v4
	s_waitcnt vmcnt(2)
	v_fma_f32 v5, v181, v202, -v5
	v_add_f32_e32 v2, v2, v6
	v_fmac_f32_e32 v164, v182, v202
	v_add_f32_e32 v6, v7, v161
	v_mul_f32_e32 v146, v185, v3
	v_mul_f32_e32 v3, v186, v3
	v_fma_f32 v4, v183, v201, -v4
	v_add_f32_e32 v2, v2, v5
	v_fmac_f32_e32 v143, v184, v201
	v_add_f32_e32 v5, v6, v164
	s_waitcnt lgkmcnt(0)
	v_mul_f32_e32 v6, v9, v170
	v_fma_f32 v3, v185, v200, -v3
	v_add_f32_e32 v2, v2, v4
	v_mul_f32_e32 v147, v8, v170
	v_fmac_f32_e32 v146, v186, v200
	v_add_f32_e32 v4, v5, v143
	v_fma_f32 v5, v8, v199, -v6
	v_add_f32_e32 v2, v2, v3
	v_fmac_f32_e32 v147, v9, v199
	v_add_f32_e32 v3, v4, v146
	v_add_f32_e32 v2, v2, v5
	v_add_f32_e32 v3, v3, v147
	s_waitcnt vmcnt(1)
	v_sub_f32_e32 v2, v203, v2
	s_waitcnt vmcnt(0)
	v_sub_f32_e32 v3, v204, v3
	buffer_store_dword v2, off, s[0:3], 0 offset:232
	buffer_store_dword v3, off, s[0:3], 0 offset:236
	v_cmpx_lt_u32_e32 28, v0
	s_cbranch_execz .LBB124_323
; %bb.322:
	s_clause 0x1
	buffer_load_dword v2, off, s[0:3], 0 offset:224
	buffer_load_dword v3, off, s[0:3], 0 offset:228
	buffer_store_dword v1, off, s[0:3], 0 offset:224
	buffer_store_dword v1, off, s[0:3], 0 offset:228
	s_waitcnt vmcnt(0)
	ds_write_b64 v135, v[2:3]
.LBB124_323:
	s_or_b32 exec_lo, exec_lo, s4
	s_waitcnt lgkmcnt(0)
	s_waitcnt_vscnt null, 0x0
	s_barrier
	buffer_gl0_inv
	s_clause 0x31
	buffer_load_dword v10, off, s[0:3], 0 offset:236
	buffer_load_dword v11, off, s[0:3], 0 offset:244
	;; [unrolled: 1-line block ×50, first 2 shown]
	ds_read2_b64 v[2:5], v1 offset0:91 offset1:92
	s_clause 0x4
	buffer_load_dword v187, off, s[0:3], 0 offset:484
	buffer_load_dword v188, off, s[0:3], 0 offset:408
	buffer_load_dword v189, off, s[0:3], 0 offset:400
	buffer_load_dword v190, off, s[0:3], 0 offset:392
	buffer_load_dword v191, off, s[0:3], 0 offset:384
	ds_read2_b64 v[6:9], v1 offset0:93 offset1:94
	ds_read2_b64 v[136:139], v1 offset0:95 offset1:96
	s_clause 0x4
	buffer_load_dword v192, off, s[0:3], 0 offset:440
	buffer_load_dword v193, off, s[0:3], 0 offset:432
	;; [unrolled: 1-line block ×5, first 2 shown]
	s_mov_b32 s4, exec_lo
	s_waitcnt vmcnt(59) lgkmcnt(2)
	v_mul_f32_e32 v196, v3, v10
	v_mul_f32_e32 v10, v2, v10
	s_waitcnt vmcnt(58)
	v_mul_f32_e32 v198, v4, v11
	v_mul_f32_e32 v11, v5, v11
	s_waitcnt vmcnt(55)
	v_fma_f32 v196, v2, v141, -v196
	v_fmac_f32_e32 v10, v3, v141
	s_waitcnt vmcnt(54) lgkmcnt(1)
	v_mul_f32_e32 v141, v6, v142
	v_mul_f32_e32 v142, v7, v142
	v_fmac_f32_e32 v198, v5, v140
	v_fma_f32 v11, v4, v140, -v11
	ds_read2_b64 v[2:5], v1 offset0:97 offset1:98
	s_clause 0x3
	buffer_load_dword v199, off, s[0:3], 0 offset:472
	buffer_load_dword v200, off, s[0:3], 0 offset:464
	;; [unrolled: 1-line block ×4, first 2 shown]
	s_waitcnt vmcnt(57)
	v_mul_f32_e32 v140, v8, v143
	v_mul_f32_e32 v143, v9, v143
	v_fmac_f32_e32 v141, v7, v12
	v_fma_f32 v12, v6, v12, -v142
	s_waitcnt vmcnt(56) lgkmcnt(1)
	v_mul_f32_e32 v142, v136, v144
	v_mul_f32_e32 v6, v137, v144
	s_waitcnt vmcnt(51)
	v_mul_f32_e32 v144, v138, v149
	v_mul_f32_e32 v7, v139, v149
	v_fmac_f32_e32 v140, v9, v148
	v_fma_f32 v143, v8, v148, -v143
	v_fmac_f32_e32 v142, v137, v147
	v_fma_f32 v147, v136, v147, -v6
	;; [unrolled: 2-line block ×3, first 2 shown]
	ds_read2_b64 v[6:9], v1 offset0:99 offset1:100
	buffer_load_dword v203, off, s[0:3], 0 offset:480
	s_waitcnt vmcnt(51) lgkmcnt(1)
	v_mul_f32_e32 v148, v2, v150
	v_mul_f32_e32 v136, v3, v150
	s_waitcnt vmcnt(50)
	v_mul_f32_e32 v149, v4, v151
	v_mul_f32_e32 v137, v5, v151
	v_fmac_f32_e32 v148, v3, v145
	v_fma_f32 v145, v2, v145, -v136
	s_waitcnt vmcnt(46)
	v_fmac_f32_e32 v149, v5, v155
	v_fma_f32 v150, v4, v155, -v137
	ds_read2_b64 v[2:5], v1 offset0:101 offset1:102
	s_waitcnt vmcnt(45) lgkmcnt(1)
	v_mul_f32_e32 v151, v6, v156
	v_mul_f32_e32 v136, v7, v156
	buffer_load_dword v156, off, s[0:3], 0 offset:224
	v_fmac_f32_e32 v151, v7, v154
	v_fma_f32 v154, v6, v154, -v136
	v_add_f32_e32 v6, 0, v196
	v_add_f32_e32 v7, 0, v10
	s_waitcnt vmcnt(45)
	v_mul_f32_e32 v10, v9, v157
	v_add_f32_e32 v6, v6, v11
	v_add_f32_e32 v136, v7, v198
	v_mul_f32_e32 v11, v8, v157
	v_fma_f32 v10, v8, v153, -v10
	s_waitcnt vmcnt(43) lgkmcnt(0)
	v_mul_f32_e32 v155, v4, v159
	v_add_f32_e32 v12, v6, v12
	v_add_f32_e32 v141, v136, v141
	v_fmac_f32_e32 v11, v9, v153
	v_mul_f32_e32 v153, v2, v158
	ds_read2_b64 v[6:9], v1 offset0:103 offset1:104
	ds_read2_b64 v[136:139], v1 offset0:105 offset1:106
	v_add_f32_e32 v12, v12, v143
	v_add_f32_e32 v140, v141, v140
	v_mul_f32_e32 v143, v3, v158
	v_mul_f32_e32 v141, v5, v159
	v_fmac_f32_e32 v153, v3, v152
	v_add_f32_e32 v12, v12, v147
	v_add_f32_e32 v147, v140, v142
	v_fma_f32 v152, v2, v152, -v143
	s_waitcnt vmcnt(39)
	v_fmac_f32_e32 v155, v5, v163
	v_fma_f32 v157, v4, v163, -v141
	v_add_f32_e32 v12, v12, v146
	ds_read2_b64 v[2:5], v1 offset0:107 offset1:108
	ds_read2_b64 v[140:143], v1 offset0:109 offset1:110
	v_add_f32_e32 v144, v147, v144
	v_add_f32_e32 v12, v12, v145
	;; [unrolled: 1-line block ×3, first 2 shown]
	s_waitcnt vmcnt(38) lgkmcnt(3)
	v_mul_f32_e32 v158, v6, v164
	v_mul_f32_e32 v146, v7, v164
	v_add_f32_e32 v12, v12, v150
	s_waitcnt vmcnt(37)
	v_mul_f32_e32 v159, v8, v165
	v_add_f32_e32 v148, v144, v149
	v_mul_f32_e32 v147, v9, v165
	v_fmac_f32_e32 v158, v7, v162
	v_add_f32_e32 v12, v12, v154
	v_fma_f32 v162, v6, v162, -v146
	v_add_f32_e32 v154, v148, v151
	s_waitcnt vmcnt(36) lgkmcnt(2)
	v_mul_f32_e32 v163, v136, v166
	v_mul_f32_e32 v164, v137, v166
	v_add_f32_e32 v10, v12, v10
	s_waitcnt vmcnt(30) lgkmcnt(1)
	v_mul_f32_e32 v12, v2, v172
	v_add_f32_e32 v11, v154, v11
	v_mul_f32_e32 v154, v3, v172
	v_fmac_f32_e32 v159, v9, v161
	v_fma_f32 v161, v8, v161, -v147
	v_fmac_f32_e32 v12, v3, v170
	v_add_f32_e32 v3, v10, v152
	v_add_f32_e32 v10, v11, v153
	v_mul_f32_e32 v149, v139, v167
	v_fmac_f32_e32 v163, v137, v160
	v_fma_f32 v160, v136, v160, -v164
	v_add_f32_e32 v157, v3, v157
	v_add_f32_e32 v10, v10, v155
	v_mul_f32_e32 v165, v138, v167
	v_fma_f32 v164, v138, v171, -v149
	ds_read2_b64 v[6:9], v1 offset0:111 offset1:112
	ds_read2_b64 v[144:147], v1 offset0:113 offset1:114
	v_add_f32_e32 v157, v157, v162
	v_add_f32_e32 v10, v10, v158
	v_fmac_f32_e32 v165, v139, v171
	s_waitcnt vmcnt(29)
	v_mul_f32_e32 v167, v5, v173
	v_fma_f32 v11, v2, v170, -v154
	v_add_f32_e32 v157, v157, v161
	v_add_f32_e32 v10, v10, v159
	v_mul_f32_e32 v166, v4, v173
	v_fma_f32 v167, v4, v169, -v167
	s_waitcnt vmcnt(28) lgkmcnt(2)
	v_mul_f32_e32 v162, v141, v174
	v_add_f32_e32 v157, v157, v160
	v_add_f32_e32 v10, v10, v163
	ds_read2_b64 v[136:139], v1 offset0:115 offset1:116
	ds_read2_b64 v[148:151], v1 offset0:117 offset1:118
	v_fmac_f32_e32 v166, v5, v169
	ds_read2_b64 v[2:5], v1 offset0:119 offset1:120
	ds_read2_b64 v[152:155], v1 offset0:121 offset1:122
	v_add_f32_e32 v157, v157, v164
	v_add_f32_e32 v10, v10, v165
	v_mul_f32_e32 v1, v140, v174
	s_waitcnt vmcnt(27)
	v_mul_f32_e32 v169, v143, v175
	v_fma_f32 v140, v140, v168, -v162
	v_add_f32_e32 v11, v157, v11
	v_add_f32_e32 v10, v10, v12
	v_mul_f32_e32 v158, v142, v175
	v_fmac_f32_e32 v1, v141, v168
	s_waitcnt vmcnt(26) lgkmcnt(5)
	v_mul_f32_e32 v161, v6, v176
	v_add_f32_e32 v11, v11, v167
	v_add_f32_e32 v10, v10, v166
	v_mul_f32_e32 v162, v7, v176
	s_waitcnt vmcnt(11)
	v_fma_f32 v142, v142, v191, -v169
	v_fmac_f32_e32 v158, v143, v191
	v_add_f32_e32 v11, v11, v140
	v_add_f32_e32 v1, v10, v1
	v_mul_f32_e32 v10, v9, v177
	v_fmac_f32_e32 v161, v7, v190
	v_fma_f32 v6, v6, v190, -v162
	v_add_f32_e32 v7, v11, v142
	v_mul_f32_e32 v159, v8, v177
	v_add_f32_e32 v1, v1, v158
	s_waitcnt lgkmcnt(4)
	v_mul_f32_e32 v11, v145, v178
	v_fma_f32 v8, v8, v189, -v10
	v_add_f32_e32 v6, v7, v6
	v_mul_f32_e32 v170, v144, v178
	v_fmac_f32_e32 v159, v9, v189
	v_add_f32_e32 v1, v1, v161
	v_mul_f32_e32 v7, v147, v179
	v_fma_f32 v9, v144, v188, -v11
	v_add_f32_e32 v6, v6, v8
	v_mul_f32_e32 v160, v146, v179
	v_fmac_f32_e32 v170, v145, v188
	v_add_f32_e32 v1, v1, v159
	s_waitcnt lgkmcnt(3)
	v_mul_f32_e32 v8, v137, v180
	s_waitcnt vmcnt(7)
	v_fma_f32 v7, v146, v195, -v7
	v_add_f32_e32 v6, v6, v9
	v_mul_f32_e32 v163, v136, v180
	v_fmac_f32_e32 v160, v147, v195
	v_add_f32_e32 v1, v1, v170
	v_mul_f32_e32 v9, v139, v181
	v_fma_f32 v8, v136, v194, -v8
	v_add_f32_e32 v6, v6, v7
	v_mul_f32_e32 v171, v138, v181
	v_fmac_f32_e32 v163, v137, v194
	v_add_f32_e32 v1, v1, v160
	s_waitcnt lgkmcnt(2)
	v_mul_f32_e32 v7, v149, v182
	v_fma_f32 v9, v138, v193, -v9
	v_add_f32_e32 v6, v6, v8
	v_mul_f32_e32 v164, v148, v182
	v_fmac_f32_e32 v171, v139, v193
	v_add_f32_e32 v1, v1, v163
	v_mul_f32_e32 v8, v151, v183
	v_fma_f32 v7, v148, v192, -v7
	v_add_f32_e32 v6, v6, v9
	v_mul_f32_e32 v165, v150, v183
	v_fmac_f32_e32 v164, v149, v192
	v_add_f32_e32 v1, v1, v171
	s_waitcnt lgkmcnt(1)
	v_mul_f32_e32 v172, v2, v184
	v_mul_f32_e32 v9, v3, v184
	v_add_f32_e32 v6, v6, v7
	v_mul_f32_e32 v7, v5, v185
	v_add_f32_e32 v1, v1, v164
	v_mul_f32_e32 v157, v4, v185
	s_waitcnt lgkmcnt(0)
	v_mul_f32_e32 v12, v152, v186
	v_mul_f32_e32 v141, v154, v187
	s_waitcnt vmcnt(5)
	v_fmac_f32_e32 v12, v153, v199
	s_waitcnt vmcnt(4)
	v_fma_f32 v4, v4, v200, -v7
	s_waitcnt vmcnt(3)
	v_fmac_f32_e32 v172, v3, v201
	s_waitcnt vmcnt(2)
	v_fma_f32 v8, v150, v202, -v8
	v_fmac_f32_e32 v165, v151, v202
	v_fma_f32 v2, v2, v201, -v9
	v_fmac_f32_e32 v157, v5, v200
	v_add_f32_e32 v3, v6, v8
	v_add_f32_e32 v1, v1, v165
	v_mul_f32_e32 v6, v153, v186
	v_add_f32_e32 v2, v3, v2
	v_add_f32_e32 v1, v1, v172
	v_mul_f32_e32 v3, v155, v187
	v_fma_f32 v5, v152, v199, -v6
	v_add_f32_e32 v2, v2, v4
	v_add_f32_e32 v1, v1, v157
	s_waitcnt vmcnt(1)
	v_fma_f32 v3, v154, v203, -v3
	v_fmac_f32_e32 v141, v155, v203
	v_add_f32_e32 v2, v2, v5
	v_add_f32_e32 v1, v1, v12
	;; [unrolled: 1-line block ×4, first 2 shown]
	v_sub_f32_e32 v1, v197, v1
	s_waitcnt vmcnt(0)
	v_sub_f32_e32 v2, v156, v2
	buffer_store_dword v2, off, s[0:3], 0 offset:224
	buffer_store_dword v1, off, s[0:3], 0 offset:228
	v_cmpx_lt_u32_e32 27, v0
	s_cbranch_execz .LBB124_325
; %bb.324:
	s_clause 0x1
	buffer_load_dword v1, off, s[0:3], 0 offset:216
	buffer_load_dword v2, off, s[0:3], 0 offset:220
	v_mov_b32_e32 v3, 0
	buffer_store_dword v3, off, s[0:3], 0 offset:216
	buffer_store_dword v3, off, s[0:3], 0 offset:220
	s_waitcnt vmcnt(0)
	ds_write_b64 v135, v[1:2]
.LBB124_325:
	s_or_b32 exec_lo, exec_lo, s4
	s_waitcnt lgkmcnt(0)
	s_waitcnt_vscnt null, 0x0
	s_barrier
	buffer_gl0_inv
	s_clause 0x26
	buffer_load_dword v2, off, s[0:3], 0 offset:228
	buffer_load_dword v3, off, s[0:3], 0 offset:236
	buffer_load_dword v12, off, s[0:3], 0 offset:244
	buffer_load_dword v140, off, s[0:3], 0 offset:240
	buffer_load_dword v141, off, s[0:3], 0 offset:232
	buffer_load_dword v142, off, s[0:3], 0 offset:224
	buffer_load_dword v143, off, s[0:3], 0 offset:252
	buffer_load_dword v144, off, s[0:3], 0 offset:272
	buffer_load_dword v145, off, s[0:3], 0 offset:264
	buffer_load_dword v146, off, s[0:3], 0 offset:256
	buffer_load_dword v147, off, s[0:3], 0 offset:248
	buffer_load_dword v148, off, s[0:3], 0 offset:260
	buffer_load_dword v149, off, s[0:3], 0 offset:268
	buffer_load_dword v150, off, s[0:3], 0 offset:276
	buffer_load_dword v151, off, s[0:3], 0 offset:284
	buffer_load_dword v152, off, s[0:3], 0 offset:304
	buffer_load_dword v153, off, s[0:3], 0 offset:296
	buffer_load_dword v154, off, s[0:3], 0 offset:288
	buffer_load_dword v155, off, s[0:3], 0 offset:280
	buffer_load_dword v156, off, s[0:3], 0 offset:292
	buffer_load_dword v157, off, s[0:3], 0 offset:300
	buffer_load_dword v158, off, s[0:3], 0 offset:308
	buffer_load_dword v159, off, s[0:3], 0 offset:316
	buffer_load_dword v160, off, s[0:3], 0 offset:336
	buffer_load_dword v161, off, s[0:3], 0 offset:328
	buffer_load_dword v162, off, s[0:3], 0 offset:320
	buffer_load_dword v163, off, s[0:3], 0 offset:312
	buffer_load_dword v164, off, s[0:3], 0 offset:324
	buffer_load_dword v165, off, s[0:3], 0 offset:332
	buffer_load_dword v166, off, s[0:3], 0 offset:340
	buffer_load_dword v167, off, s[0:3], 0 offset:348
	buffer_load_dword v168, off, s[0:3], 0 offset:368
	buffer_load_dword v169, off, s[0:3], 0 offset:360
	buffer_load_dword v170, off, s[0:3], 0 offset:352
	buffer_load_dword v171, off, s[0:3], 0 offset:344
	buffer_load_dword v172, off, s[0:3], 0 offset:356
	buffer_load_dword v173, off, s[0:3], 0 offset:364
	buffer_load_dword v174, off, s[0:3], 0 offset:372
	buffer_load_dword v175, off, s[0:3], 0 offset:380
	v_mov_b32_e32 v1, 0
	s_clause 0x2
	buffer_load_dword v176, off, s[0:3], 0 offset:388
	buffer_load_dword v177, off, s[0:3], 0 offset:396
	;; [unrolled: 1-line block ×3, first 2 shown]
	s_mov_b32 s4, exec_lo
	ds_read_b128 v[4:7], v1 offset:720
	s_clause 0x1
	buffer_load_dword v179, off, s[0:3], 0 offset:412
	buffer_load_dword v180, off, s[0:3], 0 offset:420
	ds_read_b128 v[8:11], v1 offset:736
	s_clause 0xc
	buffer_load_dword v181, off, s[0:3], 0 offset:400
	buffer_load_dword v182, off, s[0:3], 0 offset:392
	buffer_load_dword v183, off, s[0:3], 0 offset:384
	buffer_load_dword v184, off, s[0:3], 0 offset:376
	buffer_load_dword v185, off, s[0:3], 0 offset:428
	buffer_load_dword v186, off, s[0:3], 0 offset:436
	buffer_load_dword v187, off, s[0:3], 0 offset:444
	buffer_load_dword v188, off, s[0:3], 0 offset:452
	buffer_load_dword v189, off, s[0:3], 0 offset:460
	buffer_load_dword v190, off, s[0:3], 0 offset:468
	buffer_load_dword v191, off, s[0:3], 0 offset:476
	buffer_load_dword v192, off, s[0:3], 0 offset:484
	buffer_load_dword v193, off, s[0:3], 0 offset:220
	ds_read_b128 v[136:139], v1 offset:752
	s_waitcnt vmcnt(56) lgkmcnt(2)
	v_mul_f32_e32 v194, v5, v2
	v_mul_f32_e32 v195, v4, v2
	s_waitcnt vmcnt(55)
	v_mul_f32_e32 v196, v6, v3
	v_mul_f32_e32 v2, v7, v3
	s_waitcnt vmcnt(54) lgkmcnt(1)
	v_mul_f32_e32 v197, v8, v12
	s_waitcnt vmcnt(51)
	v_fma_f32 v194, v4, v142, -v194
	v_fmac_f32_e32 v195, v5, v142
	v_fmac_f32_e32 v196, v7, v141
	v_fma_f32 v141, v6, v141, -v2
	ds_read_b128 v[2:5], v1 offset:768
	s_clause 0x3
	buffer_load_dword v198, off, s[0:3], 0 offset:432
	buffer_load_dword v199, off, s[0:3], 0 offset:424
	;; [unrolled: 1-line block ×4, first 2 shown]
	s_waitcnt vmcnt(54)
	v_mul_f32_e32 v142, v10, v143
	v_mul_f32_e32 v6, v11, v143
	;; [unrolled: 1-line block ×3, first 2 shown]
	v_fmac_f32_e32 v197, v9, v140
	s_waitcnt vmcnt(48) lgkmcnt(1)
	v_mul_f32_e32 v143, v139, v149
	v_fmac_f32_e32 v142, v11, v147
	v_fma_f32 v10, v10, v147, -v6
	v_mul_f32_e32 v11, v136, v148
	v_mul_f32_e32 v6, v137, v148
	v_fma_f32 v12, v8, v140, -v12
	v_mul_f32_e32 v140, v138, v149
	v_fma_f32 v143, v138, v145, -v143
	v_fmac_f32_e32 v11, v137, v146
	v_fma_f32 v146, v136, v146, -v6
	ds_read_b128 v[6:9], v1 offset:784
	s_clause 0x3
	buffer_load_dword v202, off, s[0:3], 0 offset:464
	buffer_load_dword v203, off, s[0:3], 0 offset:456
	;; [unrolled: 1-line block ×4, first 2 shown]
	v_fmac_f32_e32 v140, v139, v145
	v_add_f32_e32 v137, 0, v194
	s_waitcnt vmcnt(51) lgkmcnt(1)
	v_mul_f32_e32 v145, v2, v150
	v_mul_f32_e32 v136, v3, v150
	s_waitcnt vmcnt(50)
	v_mul_f32_e32 v147, v4, v151
	v_fmac_f32_e32 v145, v3, v144
	v_fma_f32 v144, v2, v144, -v136
	v_mul_f32_e32 v2, v5, v151
	s_waitcnt vmcnt(46)
	v_fmac_f32_e32 v147, v5, v155
	v_fma_f32 v148, v4, v155, -v2
	ds_read_b128 v[2:5], v1 offset:800
	s_waitcnt vmcnt(45) lgkmcnt(1)
	v_mul_f32_e32 v149, v6, v156
	v_mul_f32_e32 v136, v7, v156
	s_clause 0x1
	buffer_load_dword v156, off, s[0:3], 0 offset:480
	buffer_load_dword v194, off, s[0:3], 0 offset:472
	v_fmac_f32_e32 v149, v7, v154
	v_add_f32_e32 v7, 0, v195
	buffer_load_dword v195, off, s[0:3], 0 offset:216
	v_fma_f32 v150, v6, v154, -v136
	v_add_f32_e32 v6, v137, v141
	s_waitcnt vmcnt(47)
	v_mul_f32_e32 v136, v9, v157
	v_add_f32_e32 v7, v7, v196
	v_add_f32_e32 v6, v6, v12
	v_mul_f32_e32 v12, v8, v157
	v_add_f32_e32 v137, v7, v197
	v_fma_f32 v151, v8, v153, -v136
	s_waitcnt vmcnt(45) lgkmcnt(0)
	v_mul_f32_e32 v154, v4, v159
	v_add_f32_e32 v10, v6, v10
	v_fmac_f32_e32 v12, v9, v153
	v_add_f32_e32 v141, v137, v142
	v_mul_f32_e32 v153, v2, v158
	v_mul_f32_e32 v142, v3, v158
	v_add_f32_e32 v10, v10, v146
	ds_read_b128 v[6:9], v1 offset:816
	ds_read_b128 v[136:139], v1 offset:832
	v_add_f32_e32 v11, v141, v11
	v_mul_f32_e32 v141, v5, v159
	v_add_f32_e32 v10, v10, v143
	v_fmac_f32_e32 v153, v3, v152
	v_fma_f32 v152, v2, v152, -v142
	v_add_f32_e32 v11, v11, v140
	s_waitcnt vmcnt(41)
	v_fmac_f32_e32 v154, v5, v163
	v_add_f32_e32 v10, v10, v144
	v_fma_f32 v155, v4, v163, -v141
	ds_read_b128 v[2:5], v1 offset:848
	ds_read_b128 v[140:143], v1 offset:864
	v_add_f32_e32 v11, v11, v145
	v_add_f32_e32 v10, v10, v148
	;; [unrolled: 1-line block ×4, first 2 shown]
	s_waitcnt vmcnt(40) lgkmcnt(3)
	v_mul_f32_e32 v157, v6, v164
	v_mul_f32_e32 v144, v7, v164
	v_add_f32_e32 v11, v11, v149
	s_waitcnt vmcnt(39)
	v_mul_f32_e32 v158, v8, v165
	v_add_f32_e32 v10, v10, v151
	v_mul_f32_e32 v145, v9, v165
	v_fmac_f32_e32 v157, v7, v162
	v_add_f32_e32 v11, v11, v12
	v_fma_f32 v162, v6, v162, -v144
	v_add_f32_e32 v10, v10, v152
	s_waitcnt vmcnt(32) lgkmcnt(1)
	v_mul_f32_e32 v12, v2, v172
	v_mul_f32_e32 v152, v3, v172
	v_add_f32_e32 v11, v11, v153
	v_mul_f32_e32 v159, v136, v166
	v_mul_f32_e32 v148, v137, v166
	v_fmac_f32_e32 v12, v3, v170
	v_add_f32_e32 v3, v10, v155
	v_add_f32_e32 v10, v11, v154
	v_fmac_f32_e32 v158, v9, v161
	v_fma_f32 v161, v8, v161, -v145
	v_mul_f32_e32 v149, v139, v167
	v_add_f32_e32 v162, v3, v162
	v_add_f32_e32 v157, v10, v157
	v_fmac_f32_e32 v159, v137, v160
	v_fma_f32 v160, v136, v160, -v148
	v_mul_f32_e32 v163, v138, v167
	v_add_f32_e32 v161, v162, v161
	v_add_f32_e32 v157, v157, v158
	v_fma_f32 v164, v138, v171, -v149
	ds_read_b128 v[6:9], v1 offset:880
	ds_read_b128 v[144:147], v1 offset:896
	v_fmac_f32_e32 v163, v139, v171
	v_add_f32_e32 v160, v161, v160
	v_add_f32_e32 v157, v157, v159
	s_waitcnt vmcnt(31)
	v_mul_f32_e32 v165, v4, v173
	v_mul_f32_e32 v153, v5, v173
	v_fma_f32 v166, v2, v170, -v152
	v_add_f32_e32 v160, v160, v164
	v_add_f32_e32 v157, v157, v163
	v_fmac_f32_e32 v165, v5, v169
	v_fma_f32 v167, v4, v169, -v153
	s_waitcnt vmcnt(30) lgkmcnt(2)
	v_mul_f32_e32 v169, v141, v174
	v_add_f32_e32 v160, v160, v166
	v_mul_f32_e32 v162, v140, v174
	v_add_f32_e32 v12, v157, v12
	s_waitcnt vmcnt(29)
	v_mul_f32_e32 v170, v143, v175
	v_fma_f32 v140, v140, v168, -v169
	v_add_f32_e32 v160, v160, v167
	v_mul_f32_e32 v158, v142, v175
	v_fmac_f32_e32 v162, v141, v168
	v_add_f32_e32 v12, v12, v165
	s_waitcnt vmcnt(28) lgkmcnt(1)
	v_mul_f32_e32 v161, v6, v176
	v_mul_f32_e32 v168, v7, v176
	s_waitcnt vmcnt(20)
	v_fma_f32 v142, v142, v184, -v170
	v_add_f32_e32 v140, v160, v140
	ds_read_b128 v[136:139], v1 offset:912
	ds_read_b128 v[148:151], v1 offset:928
	v_fmac_f32_e32 v158, v143, v184
	v_add_f32_e32 v12, v12, v162
	v_mul_f32_e32 v165, v9, v177
	v_fmac_f32_e32 v161, v7, v183
	v_fma_f32 v6, v6, v183, -v168
	v_add_f32_e32 v7, v140, v142
	v_mul_f32_e32 v159, v8, v177
	v_add_f32_e32 v12, v12, v158
	s_waitcnt lgkmcnt(2)
	v_mul_f32_e32 v140, v145, v178
	v_fma_f32 v8, v8, v182, -v165
	v_add_f32_e32 v6, v7, v6
	v_mul_f32_e32 v141, v144, v178
	v_fmac_f32_e32 v159, v9, v182
	v_add_f32_e32 v7, v12, v161
	v_mul_f32_e32 v9, v147, v179
	v_fma_f32 v12, v144, v181, -v140
	v_add_f32_e32 v6, v6, v8
	v_mul_f32_e32 v164, v146, v179
	v_fmac_f32_e32 v141, v145, v181
	v_add_f32_e32 v7, v7, v159
	s_waitcnt lgkmcnt(1)
	v_mul_f32_e32 v8, v137, v180
	v_add_f32_e32 v6, v6, v12
	v_mul_f32_e32 v163, v136, v180
	ds_read_b128 v[2:5], v1 offset:944
	ds_read_b128 v[152:155], v1 offset:960
	ds_read_b64 v[10:11], v1 offset:976
	v_add_f32_e32 v7, v7, v141
	s_waitcnt vmcnt(19)
	v_mul_f32_e32 v12, v139, v185
	v_mul_f32_e32 v143, v138, v185
	s_waitcnt vmcnt(18) lgkmcnt(3)
	v_mul_f32_e32 v169, v148, v186
	s_waitcnt vmcnt(17)
	v_mul_f32_e32 v157, v150, v187
	s_waitcnt vmcnt(16) lgkmcnt(2)
	v_mul_f32_e32 v166, v2, v188
	s_waitcnt vmcnt(15)
	;; [unrolled: 4-line block ×4, first 2 shown]
	v_fmac_f32_e32 v169, v149, v198
	s_waitcnt vmcnt(9)
	v_fma_f32 v12, v138, v199, -v12
	s_waitcnt vmcnt(8)
	v_fma_f32 v8, v136, v200, -v8
	s_waitcnt vmcnt(7)
	v_fma_f32 v9, v146, v201, -v9
	v_fmac_f32_e32 v164, v147, v201
	v_fmac_f32_e32 v163, v137, v200
	;; [unrolled: 1-line block ×3, first 2 shown]
	v_add_f32_e32 v6, v6, v9
	v_add_f32_e32 v7, v7, v164
	v_mul_f32_e32 v9, v149, v186
	v_add_f32_e32 v6, v6, v8
	v_add_f32_e32 v7, v7, v163
	v_mul_f32_e32 v8, v151, v187
	v_fma_f32 v9, v148, v198, -v9
	s_waitcnt vmcnt(5)
	v_fmac_f32_e32 v170, v5, v203
	v_add_f32_e32 v6, v6, v12
	v_add_f32_e32 v7, v7, v143
	v_mul_f32_e32 v12, v3, v188
	s_waitcnt vmcnt(3)
	v_fma_f32 v8, v150, v205, -v8
	v_fmac_f32_e32 v157, v151, v205
	v_add_f32_e32 v6, v6, v9
	v_add_f32_e32 v7, v7, v169
	v_mul_f32_e32 v9, v5, v189
	v_fmac_f32_e32 v166, v3, v204
	v_fma_f32 v2, v2, v204, -v12
	v_add_f32_e32 v3, v6, v8
	v_add_f32_e32 v6, v7, v157
	v_mul_f32_e32 v7, v153, v190
	v_fma_f32 v4, v4, v203, -v9
	v_mul_f32_e32 v5, v155, v191
	v_add_f32_e32 v2, v3, v2
	v_add_f32_e32 v3, v6, v166
	v_fma_f32 v6, v152, v202, -v7
	v_fmac_f32_e32 v167, v153, v202
	v_add_f32_e32 v2, v2, v4
	v_add_f32_e32 v3, v3, v170
	v_mul_f32_e32 v4, v11, v192
	s_waitcnt vmcnt(1)
	v_fma_f32 v5, v154, v194, -v5
	v_fmac_f32_e32 v171, v155, v194
	v_add_f32_e32 v2, v2, v6
	v_add_f32_e32 v3, v3, v167
	v_fma_f32 v4, v10, v156, -v4
	v_fmac_f32_e32 v160, v11, v156
	v_add_f32_e32 v2, v2, v5
	v_add_f32_e32 v3, v3, v171
	;; [unrolled: 1-line block ×4, first 2 shown]
	s_waitcnt vmcnt(0)
	v_sub_f32_e32 v2, v195, v2
	v_sub_f32_e32 v3, v193, v3
	buffer_store_dword v2, off, s[0:3], 0 offset:216
	buffer_store_dword v3, off, s[0:3], 0 offset:220
	v_cmpx_lt_u32_e32 26, v0
	s_cbranch_execz .LBB124_327
; %bb.326:
	s_clause 0x1
	buffer_load_dword v2, off, s[0:3], 0 offset:208
	buffer_load_dword v3, off, s[0:3], 0 offset:212
	buffer_store_dword v1, off, s[0:3], 0 offset:208
	buffer_store_dword v1, off, s[0:3], 0 offset:212
	s_waitcnt vmcnt(0)
	ds_write_b64 v135, v[2:3]
.LBB124_327:
	s_or_b32 exec_lo, exec_lo, s4
	s_waitcnt lgkmcnt(0)
	s_waitcnt_vscnt null, 0x0
	s_barrier
	buffer_gl0_inv
	s_clause 0x24
	buffer_load_dword v10, off, s[0:3], 0 offset:220
	buffer_load_dword v11, off, s[0:3], 0 offset:228
	;; [unrolled: 1-line block ×37, first 2 shown]
	ds_read2_b64 v[2:5], v1 offset0:89 offset1:90
	s_clause 0x1
	buffer_load_dword v182, off, s[0:3], 0 offset:364
	buffer_load_dword v183, off, s[0:3], 0 offset:372
	ds_read2_b64 v[6:9], v1 offset0:91 offset1:92
	s_clause 0xa
	buffer_load_dword v184, off, s[0:3], 0 offset:380
	buffer_load_dword v185, off, s[0:3], 0 offset:388
	;; [unrolled: 1-line block ×11, first 2 shown]
	ds_read2_b64 v[136:139], v1 offset0:93 offset1:94
	ds_read2_b64 v[140:143], v1 offset0:95 offset1:96
	ds_read2_b64 v[144:147], v1 offset0:97 offset1:98
	s_clause 0x7
	buffer_load_dword v197, off, s[0:3], 0 offset:212
	buffer_load_dword v198, off, s[0:3], 0 offset:436
	;; [unrolled: 1-line block ×8, first 2 shown]
	s_mov_b32 s4, exec_lo
	s_waitcnt vmcnt(57) lgkmcnt(4)
	v_mul_f32_e32 v195, v3, v10
	v_mul_f32_e32 v10, v2, v10
	s_waitcnt vmcnt(56)
	v_mul_f32_e32 v196, v4, v11
	v_mul_f32_e32 v11, v5, v11
	s_waitcnt vmcnt(53)
	v_fma_f32 v195, v2, v149, -v195
	v_fmac_f32_e32 v10, v3, v149
	v_fmac_f32_e32 v196, v5, v148
	v_fma_f32 v11, v4, v148, -v11
	s_waitcnt vmcnt(52) lgkmcnt(3)
	v_mul_f32_e32 v148, v6, v150
	v_mul_f32_e32 v2, v7, v150
	s_waitcnt vmcnt(51)
	v_mul_f32_e32 v3, v9, v151
	v_mul_f32_e32 v149, v8, v151
	s_waitcnt vmcnt(46) lgkmcnt(2)
	v_mul_f32_e32 v150, v136, v156
	v_fmac_f32_e32 v148, v7, v12
	v_fma_f32 v6, v6, v12, -v2
	v_fma_f32 v12, v8, v155, -v3
	v_mul_f32_e32 v2, v137, v156
	s_waitcnt vmcnt(45)
	v_mul_f32_e32 v151, v138, v157
	v_mul_f32_e32 v3, v139, v157
	s_clause 0x3
	buffer_load_dword v156, off, s[0:3], 0 offset:424
	buffer_load_dword v157, off, s[0:3], 0 offset:416
	;; [unrolled: 1-line block ×4, first 2 shown]
	v_fmac_f32_e32 v149, v9, v155
	v_fmac_f32_e32 v150, v137, v154
	v_fma_f32 v136, v136, v154, -v2
	v_fmac_f32_e32 v151, v139, v153
	v_fma_f32 v153, v138, v153, -v3
	s_waitcnt vmcnt(48) lgkmcnt(1)
	v_mul_f32_e32 v154, v140, v158
	v_mul_f32_e32 v2, v141, v158
	s_waitcnt vmcnt(47)
	v_mul_f32_e32 v155, v142, v159
	v_mul_f32_e32 v3, v143, v159
	s_waitcnt vmcnt(42) lgkmcnt(0)
	v_mul_f32_e32 v158, v144, v164
	v_mul_f32_e32 v7, v145, v164
	s_waitcnt vmcnt(41)
	v_mul_f32_e32 v159, v146, v165
	v_mul_f32_e32 v8, v147, v165
	v_fmac_f32_e32 v154, v141, v152
	v_fma_f32 v140, v140, v152, -v2
	v_fmac_f32_e32 v155, v143, v163
	v_fma_f32 v152, v142, v163, -v3
	ds_read2_b64 v[2:5], v1 offset0:99 offset1:100
	v_fmac_f32_e32 v158, v145, v162
	v_fma_f32 v144, v144, v162, -v7
	v_fmac_f32_e32 v159, v147, v161
	v_fma_f32 v145, v146, v161, -v8
	s_clause 0x7
	buffer_load_dword v161, off, s[0:3], 0 offset:456
	buffer_load_dword v162, off, s[0:3], 0 offset:448
	;; [unrolled: 1-line block ×8, first 2 shown]
	v_add_f32_e32 v7, 0, v195
	v_add_f32_e32 v8, 0, v10
	v_add_f32_e32 v7, v7, v11
	v_add_f32_e32 v8, v8, v196
	s_waitcnt vmcnt(48) lgkmcnt(0)
	v_mul_f32_e32 v10, v2, v166
	v_mul_f32_e32 v9, v3, v166
	v_fmac_f32_e32 v10, v3, v160
	v_fma_f32 v11, v2, v160, -v9
	v_add_f32_e32 v2, v7, v6
	v_add_f32_e32 v3, v8, v148
	ds_read2_b64 v[6:9], v1 offset0:101 offset1:102
	s_waitcnt vmcnt(47)
	v_mul_f32_e32 v160, v4, v167
	v_add_f32_e32 v12, v2, v12
	v_mul_f32_e32 v2, v5, v167
	v_add_f32_e32 v137, v3, v149
	s_waitcnt vmcnt(43)
	v_fmac_f32_e32 v160, v5, v171
	v_add_f32_e32 v12, v12, v136
	v_fma_f32 v166, v4, v171, -v2
	ds_read2_b64 v[2:5], v1 offset0:103 offset1:104
	v_add_f32_e32 v141, v137, v150
	ds_read2_b64 v[136:139], v1 offset0:105 offset1:106
	v_add_f32_e32 v12, v12, v153
	v_add_f32_e32 v141, v141, v151
	;; [unrolled: 1-line block ×3, first 2 shown]
	s_waitcnt vmcnt(42) lgkmcnt(2)
	v_mul_f32_e32 v142, v7, v172
	v_mul_f32_e32 v153, v6, v172
	s_waitcnt vmcnt(41)
	v_mul_f32_e32 v146, v9, v173
	v_fma_f32 v167, v6, v170, -v142
	v_add_f32_e32 v6, v141, v154
	v_fmac_f32_e32 v153, v7, v170
	v_add_f32_e32 v7, v12, v152
	v_mul_f32_e32 v12, v8, v173
	s_waitcnt vmcnt(40) lgkmcnt(1)
	v_mul_f32_e32 v170, v2, v174
	v_add_f32_e32 v6, v6, v155
	v_mul_f32_e32 v147, v3, v174
	v_add_f32_e32 v7, v7, v144
	ds_read2_b64 v[140:143], v1 offset0:107 offset1:108
	v_fmac_f32_e32 v170, v3, v168
	v_add_f32_e32 v6, v6, v158
	v_fma_f32 v168, v2, v168, -v147
	v_add_f32_e32 v2, v7, v145
	v_fma_f32 v152, v8, v169, -v146
	v_fmac_f32_e32 v12, v9, v169
	v_add_f32_e32 v3, v6, v159
	s_waitcnt vmcnt(39)
	v_mul_f32_e32 v148, v5, v175
	v_add_f32_e32 v11, v2, v11
	v_mul_f32_e32 v171, v4, v175
	s_waitcnt vmcnt(38) lgkmcnt(1)
	v_mul_f32_e32 v149, v137, v176
	v_add_f32_e32 v10, v3, v10
	s_waitcnt vmcnt(34)
	v_fma_f32 v159, v4, v180, -v148
	v_add_f32_e32 v11, v11, v166
	v_mul_f32_e32 v158, v136, v176
	ds_read2_b64 v[6:9], v1 offset0:109 offset1:110
	ds_read2_b64 v[144:147], v1 offset0:111 offset1:112
	v_add_f32_e32 v10, v10, v160
	v_fmac_f32_e32 v171, v5, v180
	v_add_f32_e32 v11, v11, v167
	v_fma_f32 v169, v136, v179, -v149
	s_waitcnt vmcnt(33)
	v_mul_f32_e32 v136, v139, v181
	v_add_f32_e32 v10, v10, v153
	v_fmac_f32_e32 v158, v137, v179
	v_add_f32_e32 v11, v11, v152
	v_mul_f32_e32 v166, v138, v181
	s_waitcnt vmcnt(32) lgkmcnt(2)
	v_mul_f32_e32 v137, v141, v182
	v_add_f32_e32 v10, v10, v12
	v_fma_f32 v173, v138, v178, -v136
	v_add_f32_e32 v11, v11, v168
	v_mul_f32_e32 v160, v140, v182
	v_fmac_f32_e32 v166, v139, v178
	v_add_f32_e32 v10, v10, v170
	s_waitcnt vmcnt(31)
	v_mul_f32_e32 v172, v143, v183
	v_add_f32_e32 v11, v11, v159
	v_fma_f32 v174, v140, v177, -v137
	v_mul_f32_e32 v167, v142, v183
	v_add_f32_e32 v10, v10, v171
	v_fmac_f32_e32 v160, v141, v177
	v_add_f32_e32 v11, v11, v169
	s_waitcnt vmcnt(24)
	v_fma_f32 v172, v142, v190, -v172
	s_waitcnt lgkmcnt(1)
	v_mul_f32_e32 v12, v7, v184
	v_add_f32_e32 v10, v10, v158
	ds_read2_b64 v[2:5], v1 offset0:113 offset1:114
	ds_read2_b64 v[148:151], v1 offset0:115 offset1:116
	v_add_f32_e32 v11, v11, v173
	ds_read2_b64 v[136:139], v1 offset0:117 offset1:118
	ds_read2_b64 v[152:155], v1 offset0:119 offset1:120
	v_fmac_f32_e32 v167, v143, v190
	v_add_f32_e32 v10, v10, v166
	ds_read2_b64 v[140:143], v1 offset0:121 offset1:122
	v_add_f32_e32 v11, v11, v174
	v_mul_f32_e32 v1, v6, v184
	v_mul_f32_e32 v170, v9, v185
	v_add_f32_e32 v10, v10, v160
	v_fma_f32 v6, v6, v189, -v12
	v_add_f32_e32 v11, v11, v172
	v_mul_f32_e32 v168, v8, v185
	v_fmac_f32_e32 v1, v7, v189
	v_add_f32_e32 v10, v10, v167
	s_waitcnt lgkmcnt(5)
	v_mul_f32_e32 v12, v145, v186
	v_fma_f32 v8, v8, v188, -v170
	v_add_f32_e32 v6, v11, v6
	v_mul_f32_e32 v159, v144, v186
	v_fmac_f32_e32 v168, v9, v188
	v_add_f32_e32 v1, v10, v1
	s_waitcnt vmcnt(23)
	v_mul_f32_e32 v9, v147, v191
	v_fma_f32 v10, v144, v187, -v12
	v_add_f32_e32 v6, v6, v8
	v_mul_f32_e32 v171, v146, v191
	v_fmac_f32_e32 v159, v145, v187
	v_add_f32_e32 v1, v1, v168
	s_waitcnt vmcnt(22) lgkmcnt(4)
	v_mul_f32_e32 v175, v2, v192
	v_mul_f32_e32 v8, v3, v192
	v_add_f32_e32 v6, v6, v10
	s_waitcnt vmcnt(21)
	v_mul_f32_e32 v10, v5, v193
	v_add_f32_e32 v1, v1, v159
	v_mul_f32_e32 v169, v4, v193
	s_waitcnt vmcnt(20) lgkmcnt(3)
	v_mul_f32_e32 v158, v148, v194
	s_waitcnt vmcnt(18)
	v_mul_f32_e32 v176, v150, v198
	s_waitcnt vmcnt(17) lgkmcnt(2)
	v_mul_f32_e32 v173, v136, v199
	s_waitcnt vmcnt(16)
	;; [unrolled: 4-line block ×4, first 2 shown]
	v_mul_f32_e32 v7, v142, v204
	s_waitcnt vmcnt(11)
	v_fmac_f32_e32 v158, v149, v156
	s_waitcnt vmcnt(10)
	v_fma_f32 v4, v4, v157, -v10
	s_waitcnt vmcnt(9)
	v_fmac_f32_e32 v175, v3, v205
	s_waitcnt vmcnt(8)
	v_fma_f32 v9, v146, v206, -v9
	v_fmac_f32_e32 v171, v147, v206
	v_fma_f32 v2, v2, v205, -v8
	v_fmac_f32_e32 v169, v5, v157
	v_add_f32_e32 v3, v6, v9
	v_add_f32_e32 v1, v1, v171
	v_mul_f32_e32 v6, v149, v194
	v_add_f32_e32 v2, v3, v2
	v_add_f32_e32 v1, v1, v175
	v_mul_f32_e32 v3, v151, v198
	v_fma_f32 v5, v148, v156, -v6
	v_add_f32_e32 v2, v2, v4
	v_add_f32_e32 v1, v1, v169
	v_mul_f32_e32 v4, v137, v199
	s_waitcnt vmcnt(5)
	v_fmac_f32_e32 v173, v137, v163
	s_waitcnt vmcnt(4)
	v_fma_f32 v3, v150, v164, -v3
	v_add_f32_e32 v2, v2, v5
	v_fmac_f32_e32 v176, v151, v164
	v_add_f32_e32 v1, v1, v158
	v_mul_f32_e32 v5, v139, v200
	v_fma_f32 v4, v136, v163, -v4
	v_add_f32_e32 v2, v2, v3
	v_mul_f32_e32 v3, v153, v201
	v_add_f32_e32 v1, v1, v176
	v_fma_f32 v5, v138, v162, -v5
	v_fmac_f32_e32 v166, v139, v162
	v_add_f32_e32 v2, v2, v4
	v_mul_f32_e32 v4, v155, v202
	v_add_f32_e32 v1, v1, v173
	v_fma_f32 v3, v152, v161, -v3
	v_fmac_f32_e32 v177, v153, v161
	v_add_f32_e32 v2, v2, v5
	v_mul_f32_e32 v5, v141, v203
	v_add_f32_e32 v1, v1, v166
	s_waitcnt vmcnt(1)
	v_fma_f32 v4, v154, v208, -v4
	v_fmac_f32_e32 v174, v155, v208
	v_add_f32_e32 v2, v2, v3
	v_mul_f32_e32 v3, v143, v204
	v_add_f32_e32 v1, v1, v177
	v_fma_f32 v5, v140, v207, -v5
	v_fmac_f32_e32 v160, v141, v207
	v_add_f32_e32 v2, v2, v4
	v_fma_f32 v3, v142, v165, -v3
	v_add_f32_e32 v1, v1, v174
	v_fmac_f32_e32 v7, v143, v165
	v_add_f32_e32 v2, v2, v5
	v_add_f32_e32 v1, v1, v160
	;; [unrolled: 1-line block ×4, first 2 shown]
	s_waitcnt vmcnt(0)
	v_sub_f32_e32 v2, v209, v2
	v_sub_f32_e32 v1, v197, v1
	buffer_store_dword v2, off, s[0:3], 0 offset:208
	buffer_store_dword v1, off, s[0:3], 0 offset:212
	v_cmpx_lt_u32_e32 25, v0
	s_cbranch_execz .LBB124_329
; %bb.328:
	s_clause 0x1
	buffer_load_dword v1, off, s[0:3], 0 offset:200
	buffer_load_dword v2, off, s[0:3], 0 offset:204
	v_mov_b32_e32 v3, 0
	buffer_store_dword v3, off, s[0:3], 0 offset:200
	buffer_store_dword v3, off, s[0:3], 0 offset:204
	s_waitcnt vmcnt(0)
	ds_write_b64 v135, v[1:2]
.LBB124_329:
	s_or_b32 exec_lo, exec_lo, s4
	s_waitcnt lgkmcnt(0)
	s_waitcnt_vscnt null, 0x0
	s_barrier
	buffer_gl0_inv
	s_clause 0x23
	buffer_load_dword v2, off, s[0:3], 0 offset:212
	buffer_load_dword v3, off, s[0:3], 0 offset:220
	buffer_load_dword v12, off, s[0:3], 0 offset:224
	buffer_load_dword v144, off, s[0:3], 0 offset:216
	buffer_load_dword v145, off, s[0:3], 0 offset:208
	buffer_load_dword v146, off, s[0:3], 0 offset:228
	buffer_load_dword v147, off, s[0:3], 0 offset:236
	buffer_load_dword v148, off, s[0:3], 0 offset:244
	buffer_load_dword v149, off, s[0:3], 0 offset:252
	buffer_load_dword v150, off, s[0:3], 0 offset:256
	buffer_load_dword v151, off, s[0:3], 0 offset:248
	buffer_load_dword v152, off, s[0:3], 0 offset:240
	buffer_load_dword v153, off, s[0:3], 0 offset:232
	buffer_load_dword v154, off, s[0:3], 0 offset:260
	buffer_load_dword v155, off, s[0:3], 0 offset:268
	buffer_load_dword v156, off, s[0:3], 0 offset:288
	buffer_load_dword v157, off, s[0:3], 0 offset:280
	buffer_load_dword v158, off, s[0:3], 0 offset:272
	buffer_load_dword v159, off, s[0:3], 0 offset:264
	buffer_load_dword v160, off, s[0:3], 0 offset:276
	buffer_load_dword v161, off, s[0:3], 0 offset:284
	buffer_load_dword v162, off, s[0:3], 0 offset:292
	buffer_load_dword v163, off, s[0:3], 0 offset:300
	buffer_load_dword v164, off, s[0:3], 0 offset:320
	buffer_load_dword v165, off, s[0:3], 0 offset:312
	buffer_load_dword v166, off, s[0:3], 0 offset:304
	buffer_load_dword v167, off, s[0:3], 0 offset:296
	buffer_load_dword v168, off, s[0:3], 0 offset:308
	buffer_load_dword v169, off, s[0:3], 0 offset:316
	buffer_load_dword v170, off, s[0:3], 0 offset:324
	buffer_load_dword v171, off, s[0:3], 0 offset:332
	buffer_load_dword v172, off, s[0:3], 0 offset:340
	buffer_load_dword v173, off, s[0:3], 0 offset:352
	buffer_load_dword v174, off, s[0:3], 0 offset:344
	buffer_load_dword v175, off, s[0:3], 0 offset:336
	buffer_load_dword v176, off, s[0:3], 0 offset:328
	v_mov_b32_e32 v1, 0
	s_clause 0x1
	buffer_load_dword v177, off, s[0:3], 0 offset:348
	buffer_load_dword v178, off, s[0:3], 0 offset:356
	s_mov_b32 s4, exec_lo
	ds_read_b128 v[4:7], v1 offset:704
	s_clause 0x7
	buffer_load_dword v179, off, s[0:3], 0 offset:364
	buffer_load_dword v180, off, s[0:3], 0 offset:372
	;; [unrolled: 1-line block ×8, first 2 shown]
	ds_read_b128 v[8:11], v1 offset:720
	s_clause 0x3
	buffer_load_dword v187, off, s[0:3], 0 offset:396
	buffer_load_dword v188, off, s[0:3], 0 offset:404
	;; [unrolled: 1-line block ×4, first 2 shown]
	ds_read_b128 v[136:139], v1 offset:736
	s_clause 0x4
	buffer_load_dword v191, off, s[0:3], 0 offset:428
	buffer_load_dword v192, off, s[0:3], 0 offset:436
	;; [unrolled: 1-line block ×5, first 2 shown]
	ds_read_b128 v[140:143], v1 offset:752
	s_waitcnt vmcnt(54) lgkmcnt(3)
	v_mul_f32_e32 v196, v5, v2
	v_mul_f32_e32 v197, v4, v2
	s_waitcnt vmcnt(53)
	v_mul_f32_e32 v198, v6, v3
	v_mul_f32_e32 v2, v7, v3
	s_waitcnt vmcnt(50)
	v_fma_f32 v196, v4, v145, -v196
	v_fmac_f32_e32 v197, v5, v145
	v_fmac_f32_e32 v198, v7, v144
	v_fma_f32 v144, v6, v144, -v2
	ds_read_b128 v[2:5], v1 offset:768
	s_waitcnt vmcnt(49) lgkmcnt(3)
	v_mul_f32_e32 v145, v8, v146
	v_mul_f32_e32 v6, v9, v146
	s_clause 0x7
	buffer_load_dword v200, off, s[0:3], 0 offset:460
	buffer_load_dword v201, off, s[0:3], 0 offset:468
	;; [unrolled: 1-line block ×8, first 2 shown]
	s_waitcnt vmcnt(56)
	v_mul_f32_e32 v146, v10, v147
	v_mul_f32_e32 v7, v11, v147
	s_waitcnt vmcnt(55) lgkmcnt(2)
	v_mul_f32_e32 v147, v136, v148
	v_mul_f32_e32 v148, v137, v148
	v_fmac_f32_e32 v145, v9, v12
	v_fma_f32 v12, v8, v12, -v6
	s_waitcnt vmcnt(54)
	v_mul_f32_e32 v6, v139, v149
	v_mul_f32_e32 v199, v138, v149
	s_waitcnt vmcnt(50)
	v_fmac_f32_e32 v146, v11, v153
	v_fma_f32 v11, v136, v152, -v148
	s_waitcnt vmcnt(49) lgkmcnt(1)
	v_mul_f32_e32 v148, v140, v154
	v_fma_f32 v136, v138, v151, -v6
	v_mul_f32_e32 v6, v141, v154
	v_fma_f32 v10, v10, v153, -v7
	v_fmac_f32_e32 v147, v137, v152
	v_fmac_f32_e32 v199, v139, v151
	s_waitcnt vmcnt(48)
	v_mul_f32_e32 v149, v142, v155
	v_mul_f32_e32 v7, v143, v155
	v_fmac_f32_e32 v148, v141, v150
	v_fma_f32 v140, v140, v150, -v6
	s_waitcnt vmcnt(43) lgkmcnt(0)
	v_mul_f32_e32 v150, v2, v160
	v_mul_f32_e32 v137, v3, v160
	s_waitcnt vmcnt(42)
	v_mul_f32_e32 v151, v4, v161
	v_mul_f32_e32 v138, v5, v161
	v_fmac_f32_e32 v149, v143, v159
	v_fma_f32 v141, v142, v159, -v7
	ds_read_b128 v[6:9], v1 offset:784
	v_fmac_f32_e32 v150, v3, v158
	v_fma_f32 v152, v2, v158, -v137
	v_fmac_f32_e32 v151, v5, v157
	v_fma_f32 v153, v4, v157, -v138
	s_clause 0x3
	buffer_load_dword v157, off, s[0:3], 0 offset:448
	buffer_load_dword v158, off, s[0:3], 0 offset:440
	;; [unrolled: 1-line block ×4, first 2 shown]
	v_add_f32_e32 v2, 0, v196
	s_clause 0x3
	buffer_load_dword v161, off, s[0:3], 0 offset:480
	buffer_load_dword v196, off, s[0:3], 0 offset:472
	;; [unrolled: 1-line block ×4, first 2 shown]
	v_add_f32_e32 v3, 0, v197
	buffer_load_dword v197, off, s[0:3], 0 offset:200
	v_add_f32_e32 v2, v2, v144
	v_add_f32_e32 v3, v3, v198
	;; [unrolled: 1-line block ×4, first 2 shown]
	s_waitcnt vmcnt(50) lgkmcnt(0)
	v_mul_f32_e32 v12, v6, v162
	v_mul_f32_e32 v4, v7, v162
	v_fmac_f32_e32 v12, v7, v156
	v_fma_f32 v144, v6, v156, -v4
	v_add_f32_e32 v6, v2, v10
	v_add_f32_e32 v7, v3, v146
	ds_read_b128 v[2:5], v1 offset:800
	v_add_f32_e32 v10, v6, v11
	s_waitcnt vmcnt(49)
	v_mul_f32_e32 v11, v8, v163
	v_mul_f32_e32 v6, v9, v163
	v_add_f32_e32 v137, v7, v147
	v_add_f32_e32 v10, v10, v136
	s_waitcnt vmcnt(45)
	v_fmac_f32_e32 v11, v9, v167
	v_fma_f32 v154, v8, v167, -v6
	ds_read_b128 v[6:9], v1 offset:816
	v_add_f32_e32 v142, v137, v199
	ds_read_b128 v[136:139], v1 offset:832
	v_add_f32_e32 v10, v10, v140
	v_add_f32_e32 v142, v142, v148
	;; [unrolled: 1-line block ×3, first 2 shown]
	s_waitcnt vmcnt(44) lgkmcnt(2)
	v_mul_f32_e32 v140, v3, v168
	v_mul_f32_e32 v155, v2, v168
	s_waitcnt vmcnt(43)
	v_mul_f32_e32 v145, v5, v169
	v_fma_f32 v156, v2, v166, -v140
	v_add_f32_e32 v2, v142, v149
	v_fmac_f32_e32 v155, v3, v166
	v_add_f32_e32 v3, v10, v152
	ds_read_b128 v[140:143], v1 offset:848
	v_mul_f32_e32 v10, v4, v169
	v_add_f32_e32 v2, v2, v150
	s_waitcnt vmcnt(42) lgkmcnt(2)
	v_mul_f32_e32 v146, v7, v170
	v_add_f32_e32 v3, v3, v153
	v_mul_f32_e32 v162, v6, v170
	s_waitcnt vmcnt(40) lgkmcnt(1)
	v_mul_f32_e32 v166, v136, v172
	v_add_f32_e32 v2, v2, v151
	v_fma_f32 v153, v6, v164, -v146
	v_add_f32_e32 v6, v3, v144
	v_fmac_f32_e32 v162, v7, v164
	s_waitcnt vmcnt(37)
	v_fmac_f32_e32 v166, v137, v175
	v_add_f32_e32 v7, v2, v12
	v_mul_f32_e32 v12, v137, v172
	v_add_f32_e32 v137, v6, v154
	v_fma_f32 v152, v4, v165, -v145
	v_fmac_f32_e32 v10, v5, v165
	v_add_f32_e32 v11, v7, v11
	v_fma_f32 v12, v136, v175, -v12
	v_add_f32_e32 v136, v137, v156
	v_mul_f32_e32 v148, v9, v171
	v_mul_f32_e32 v163, v8, v171
	v_add_f32_e32 v11, v11, v155
	ds_read_b128 v[2:5], v1 offset:864
	ds_read_b128 v[144:147], v1 offset:880
	v_add_f32_e32 v136, v136, v152
	s_waitcnt vmcnt(36)
	v_fma_f32 v164, v8, v176, -v148
	v_fmac_f32_e32 v163, v9, v176
	v_add_f32_e32 v10, v11, v10
	s_waitcnt vmcnt(35)
	v_mul_f32_e32 v137, v139, v177
	v_add_f32_e32 v171, v136, v153
	v_mul_f32_e32 v156, v138, v177
	s_waitcnt vmcnt(34) lgkmcnt(2)
	v_mul_f32_e32 v152, v141, v178
	v_add_f32_e32 v162, v10, v162
	v_fma_f32 v169, v138, v174, -v137
	v_add_f32_e32 v164, v171, v164
	v_mul_f32_e32 v165, v140, v178
	v_fmac_f32_e32 v156, v139, v174
	v_add_f32_e32 v162, v162, v163
	s_waitcnt vmcnt(33)
	v_mul_f32_e32 v168, v143, v179
	v_add_f32_e32 v12, v164, v12
	v_fma_f32 v170, v140, v173, -v152
	v_mul_f32_e32 v167, v142, v179
	v_add_f32_e32 v162, v162, v166
	v_fmac_f32_e32 v165, v141, v173
	v_add_f32_e32 v12, v12, v169
	s_waitcnt vmcnt(26)
	v_fma_f32 v168, v142, v186, -v168
	s_waitcnt lgkmcnt(1)
	v_mul_f32_e32 v172, v3, v180
	v_add_f32_e32 v156, v162, v156
	ds_read_b128 v[6:9], v1 offset:896
	ds_read_b128 v[148:151], v1 offset:912
	v_add_f32_e32 v12, v12, v170
	v_fmac_f32_e32 v167, v143, v186
	v_mul_f32_e32 v171, v2, v180
	v_add_f32_e32 v156, v156, v165
	v_mul_f32_e32 v173, v5, v181
	v_fma_f32 v2, v2, v185, -v172
	v_add_f32_e32 v12, v12, v168
	v_mul_f32_e32 v163, v4, v181
	v_fmac_f32_e32 v171, v3, v185
	v_add_f32_e32 v156, v156, v167
	s_waitcnt lgkmcnt(2)
	v_mul_f32_e32 v172, v145, v182
	v_fma_f32 v4, v4, v184, -v173
	v_add_f32_e32 v2, v12, v2
	v_mul_f32_e32 v164, v144, v182
	v_fmac_f32_e32 v163, v5, v184
	v_add_f32_e32 v12, v156, v171
	s_waitcnt vmcnt(25)
	v_mul_f32_e32 v167, v147, v187
	v_fma_f32 v144, v144, v183, -v172
	v_add_f32_e32 v2, v2, v4
	v_mul_f32_e32 v166, v146, v187
	v_fmac_f32_e32 v164, v145, v183
	v_add_f32_e32 v4, v12, v163
	s_waitcnt vmcnt(24) lgkmcnt(1)
	v_mul_f32_e32 v12, v7, v188
	v_add_f32_e32 v2, v2, v144
	ds_read_b128 v[136:139], v1 offset:928
	ds_read_b128 v[152:155], v1 offset:944
	v_mul_f32_e32 v3, v6, v188
	v_add_f32_e32 v4, v4, v164
	s_waitcnt vmcnt(23)
	v_mul_f32_e32 v144, v9, v189
	v_mul_f32_e32 v169, v8, v189
	s_waitcnt vmcnt(22) lgkmcnt(2)
	v_mul_f32_e32 v162, v148, v190
	s_waitcnt vmcnt(21)
	v_mul_f32_e32 v5, v150, v191
	ds_read_b128 v[140:143], v1 offset:960
	ds_read_b64 v[10:11], v1 offset:976
	s_waitcnt vmcnt(20) lgkmcnt(3)
	v_mul_f32_e32 v173, v136, v192
	s_waitcnt vmcnt(19)
	v_mul_f32_e32 v165, v138, v193
	s_waitcnt vmcnt(18) lgkmcnt(2)
	v_mul_f32_e32 v170, v152, v194
	s_waitcnt vmcnt(16)
	v_mul_f32_e32 v174, v154, v200
	s_waitcnt vmcnt(12)
	v_fmac_f32_e32 v162, v149, v204
	s_waitcnt vmcnt(11)
	v_fma_f32 v8, v8, v205, -v144
	s_waitcnt vmcnt(10)
	v_fma_f32 v6, v6, v206, -v12
	;; [unrolled: 2-line block ×3, first 2 shown]
	v_fmac_f32_e32 v166, v147, v207
	v_fmac_f32_e32 v3, v7, v206
	v_mul_f32_e32 v7, v149, v190
	v_fmac_f32_e32 v169, v9, v205
	v_add_f32_e32 v2, v2, v145
	v_add_f32_e32 v4, v4, v166
	s_waitcnt lgkmcnt(1)
	v_mul_f32_e32 v168, v140, v201
	v_mul_f32_e32 v175, v142, v202
	s_waitcnt lgkmcnt(0)
	v_mul_f32_e32 v156, v10, v203
	v_add_f32_e32 v2, v2, v6
	v_add_f32_e32 v3, v4, v3
	v_mul_f32_e32 v4, v151, v191
	v_fma_f32 v6, v148, v204, -v7
	v_mul_f32_e32 v7, v137, v192
	v_add_f32_e32 v2, v2, v8
	v_add_f32_e32 v3, v3, v169
	;; [unrolled: 1-line block ×4, first 2 shown]
	v_mul_f32_e32 v6, v139, v193
	s_waitcnt vmcnt(8)
	v_fmac_f32_e32 v170, v153, v157
	s_waitcnt vmcnt(7)
	v_fmac_f32_e32 v165, v139, v158
	s_waitcnt vmcnt(6)
	v_fma_f32 v7, v136, v159, -v7
	s_waitcnt vmcnt(5)
	v_fma_f32 v4, v150, v160, -v4
	v_fmac_f32_e32 v5, v151, v160
	v_fmac_f32_e32 v173, v137, v159
	s_waitcnt vmcnt(1)
	v_fmac_f32_e32 v174, v155, v209
	v_fmac_f32_e32 v168, v141, v208
	v_add_f32_e32 v2, v2, v4
	v_add_f32_e32 v3, v3, v5
	v_mul_f32_e32 v4, v153, v194
	v_fma_f32 v5, v138, v158, -v6
	v_mul_f32_e32 v6, v155, v200
	v_add_f32_e32 v2, v2, v7
	v_add_f32_e32 v3, v3, v173
	v_fma_f32 v4, v152, v157, -v4
	v_fmac_f32_e32 v175, v143, v196
	v_fma_f32 v6, v154, v209, -v6
	v_add_f32_e32 v2, v2, v5
	v_add_f32_e32 v3, v3, v165
	v_mul_f32_e32 v5, v141, v201
	v_fmac_f32_e32 v156, v11, v161
	v_add_f32_e32 v2, v2, v4
	v_add_f32_e32 v3, v3, v170
	v_mul_f32_e32 v4, v143, v202
	v_fma_f32 v5, v140, v208, -v5
	v_add_f32_e32 v2, v2, v6
	v_add_f32_e32 v3, v3, v174
	v_mul_f32_e32 v6, v11, v203
	v_fma_f32 v4, v142, v196, -v4
	v_add_f32_e32 v2, v2, v5
	v_add_f32_e32 v3, v3, v168
	v_fma_f32 v5, v10, v161, -v6
	v_add_f32_e32 v2, v2, v4
	v_add_f32_e32 v3, v3, v175
	;; [unrolled: 1-line block ×4, first 2 shown]
	s_waitcnt vmcnt(0)
	v_sub_f32_e32 v2, v197, v2
	v_sub_f32_e32 v3, v195, v3
	buffer_store_dword v2, off, s[0:3], 0 offset:200
	buffer_store_dword v3, off, s[0:3], 0 offset:204
	v_cmpx_lt_u32_e32 24, v0
	s_cbranch_execz .LBB124_331
; %bb.330:
	s_clause 0x1
	buffer_load_dword v2, off, s[0:3], 0 offset:192
	buffer_load_dword v3, off, s[0:3], 0 offset:196
	buffer_store_dword v1, off, s[0:3], 0 offset:192
	buffer_store_dword v1, off, s[0:3], 0 offset:196
	s_waitcnt vmcnt(0)
	ds_write_b64 v135, v[2:3]
.LBB124_331:
	s_or_b32 exec_lo, exec_lo, s4
	s_waitcnt lgkmcnt(0)
	s_waitcnt_vscnt null, 0x0
	s_barrier
	buffer_gl0_inv
	s_clause 0x23
	buffer_load_dword v144, off, s[0:3], 0 offset:204
	buffer_load_dword v145, off, s[0:3], 0 offset:212
	;; [unrolled: 1-line block ×36, first 2 shown]
	ds_read2_b64 v[5:8], v1 offset0:87 offset1:88
	s_clause 0x2
	buffer_load_dword v180, off, s[0:3], 0 offset:340
	buffer_load_dword v181, off, s[0:3], 0 offset:348
	;; [unrolled: 1-line block ×3, first 2 shown]
	ds_read2_b64 v[9:12], v1 offset0:89 offset1:90
	s_clause 0x3
	buffer_load_dword v183, off, s[0:3], 0 offset:388
	buffer_load_dword v4, off, s[0:3], 0 offset:396
	;; [unrolled: 1-line block ×4, first 2 shown]
	ds_read2_b64 v[136:139], v1 offset0:91 offset1:92
	s_clause 0x6
	buffer_load_dword v184, off, s[0:3], 0 offset:364
	buffer_load_dword v185, off, s[0:3], 0 offset:372
	;; [unrolled: 1-line block ×7, first 2 shown]
	ds_read2_b64 v[140:143], v1 offset0:93 offset1:94
	buffer_load_dword v194, off, s[0:3], 0 offset:196
	s_mov_b32 s4, exec_lo
	s_waitcnt vmcnt(50) lgkmcnt(3)
	v_mul_f32_e32 v191, v6, v144
	v_mul_f32_e32 v192, v5, v144
	s_waitcnt vmcnt(49)
	v_mul_f32_e32 v193, v7, v145
	v_mul_f32_e32 v144, v8, v145
	s_waitcnt vmcnt(46)
	v_fma_f32 v191, v5, v147, -v191
	v_fmac_f32_e32 v192, v6, v147
	v_fmac_f32_e32 v193, v8, v146
	v_fma_f32 v195, v7, v146, -v144
	ds_read2_b64 v[5:8], v1 offset0:95 offset1:96
	ds_read2_b64 v[144:147], v1 offset0:97 offset1:98
	s_waitcnt vmcnt(45) lgkmcnt(4)
	v_mul_f32_e32 v196, v9, v149
	v_mul_f32_e32 v149, v10, v149
	s_waitcnt vmcnt(43) lgkmcnt(3)
	v_mul_f32_e32 v198, v136, v151
	v_mul_f32_e32 v151, v137, v151
	;; [unrolled: 1-line block ×3, first 2 shown]
	v_fmac_f32_e32 v196, v10, v148
	v_fma_f32 v148, v9, v148, -v149
	s_waitcnt vmcnt(42)
	v_mul_f32_e32 v9, v139, v152
	v_mul_f32_e32 v150, v12, v150
	;; [unrolled: 1-line block ×3, first 2 shown]
	s_waitcnt vmcnt(39)
	v_fmac_f32_e32 v198, v137, v155
	v_fma_f32 v136, v136, v155, -v151
	v_fma_f32 v137, v138, v154, -v9
	s_waitcnt vmcnt(37) lgkmcnt(2)
	v_mul_f32_e32 v138, v140, v157
	v_mul_f32_e32 v9, v141, v157
	s_waitcnt vmcnt(36)
	v_mul_f32_e32 v151, v142, v158
	v_mul_f32_e32 v10, v143, v158
	v_fmac_f32_e32 v197, v12, v156
	v_fma_f32 v150, v11, v156, -v150
	s_clause 0x3
	buffer_load_dword v156, off, s[0:3], 0 offset:420
	buffer_load_dword v199, off, s[0:3], 0 offset:428
	;; [unrolled: 1-line block ×4, first 2 shown]
	v_fmac_f32_e32 v149, v139, v154
	s_clause 0x4
	buffer_load_dword v202, off, s[0:3], 0 offset:452
	buffer_load_dword v203, off, s[0:3], 0 offset:460
	;; [unrolled: 1-line block ×5, first 2 shown]
	v_fmac_f32_e32 v138, v141, v153
	v_fma_f32 v139, v140, v153, -v9
	s_waitcnt vmcnt(44) lgkmcnt(1)
	v_mul_f32_e32 v140, v5, v159
	v_mul_f32_e32 v9, v6, v159
	s_waitcnt vmcnt(40)
	v_fmac_f32_e32 v151, v143, v163
	v_fma_f32 v141, v142, v163, -v10
	s_waitcnt vmcnt(39)
	v_mul_f32_e32 v152, v7, v164
	v_mul_f32_e32 v10, v8, v164
	s_clause 0x3
	buffer_load_dword v158, off, s[0:3], 0 offset:408
	buffer_load_dword v159, off, s[0:3], 0 offset:400
	;; [unrolled: 1-line block ×4, first 2 shown]
	v_fmac_f32_e32 v140, v6, v162
	v_fma_f32 v142, v5, v162, -v9
	v_fmac_f32_e32 v152, v8, v161
	v_fma_f32 v153, v7, v161, -v10
	ds_read2_b64 v[5:8], v1 offset0:99 offset1:100
	s_waitcnt vmcnt(42) lgkmcnt(1)
	v_mul_f32_e32 v154, v144, v165
	v_mul_f32_e32 v9, v145, v165
	s_waitcnt vmcnt(41)
	v_mul_f32_e32 v155, v146, v166
	v_mul_f32_e32 v10, v147, v166
	v_fmac_f32_e32 v154, v145, v160
	v_fma_f32 v144, v144, v160, -v9
	s_clause 0x3
	buffer_load_dword v160, off, s[0:3], 0 offset:440
	buffer_load_dword v161, off, s[0:3], 0 offset:432
	;; [unrolled: 1-line block ×4, first 2 shown]
	v_add_f32_e32 v9, 0, v191
	s_waitcnt vmcnt(41)
	v_fmac_f32_e32 v155, v147, v170
	v_fma_f32 v145, v146, v170, -v10
	v_add_f32_e32 v10, 0, v192
	v_add_f32_e32 v143, v9, v195
	;; [unrolled: 1-line block ×3, first 2 shown]
	ds_read2_b64 v[9:12], v1 offset0:101 offset1:102
	v_add_f32_e32 v143, v143, v148
	s_waitcnt vmcnt(40) lgkmcnt(1)
	v_mul_f32_e32 v148, v5, v171
	v_mul_f32_e32 v147, v6, v171
	v_add_f32_e32 v146, v146, v196
	s_waitcnt vmcnt(39)
	v_mul_f32_e32 v195, v7, v172
	v_fmac_f32_e32 v148, v6, v169
	v_fma_f32 v166, v5, v169, -v147
	s_clause 0x5
	buffer_load_dword v169, off, s[0:3], 0 offset:472
	buffer_load_dword v170, off, s[0:3], 0 offset:464
	;; [unrolled: 1-line block ×6, first 2 shown]
	v_add_f32_e32 v5, v143, v150
	v_add_f32_e32 v6, v146, v197
	v_fmac_f32_e32 v195, v8, v168
	v_add_f32_e32 v5, v5, v136
	v_add_f32_e32 v6, v6, v198
	v_mul_f32_e32 v136, v8, v172
	s_waitcnt vmcnt(43) lgkmcnt(0)
	v_mul_f32_e32 v147, v12, v174
	v_mul_f32_e32 v172, v9, v173
	v_add_f32_e32 v5, v5, v137
	v_add_f32_e32 v137, v6, v149
	v_fma_f32 v168, v7, v168, -v136
	v_fmac_f32_e32 v172, v10, v167
	v_add_f32_e32 v143, v5, v139
	ds_read2_b64 v[5:8], v1 offset0:103 offset1:104
	v_add_f32_e32 v146, v137, v138
	ds_read2_b64 v[136:139], v1 offset0:105 offset1:106
	v_add_f32_e32 v141, v143, v141
	v_mul_f32_e32 v143, v10, v173
	v_add_f32_e32 v146, v146, v151
	v_mul_f32_e32 v173, v11, v174
	s_waitcnt vmcnt(39)
	v_fma_f32 v174, v11, v178, -v147
	v_add_f32_e32 v149, v141, v142
	v_fma_f32 v167, v9, v167, -v143
	v_add_f32_e32 v146, v146, v140
	v_fmac_f32_e32 v173, v12, v178
	ds_read2_b64 v[9:12], v1 offset0:107 offset1:108
	ds_read2_b64 v[140:143], v1 offset0:109 offset1:110
	v_add_f32_e32 v147, v149, v153
	v_add_f32_e32 v146, v146, v152
	v_add_f32_e32 v144, v147, v144
	s_waitcnt vmcnt(38) lgkmcnt(3)
	v_mul_f32_e32 v178, v5, v179
	v_mul_f32_e32 v149, v6, v179
	s_waitcnt vmcnt(37)
	v_mul_f32_e32 v179, v7, v180
	v_mul_f32_e32 v150, v8, v180
	v_add_f32_e32 v146, v146, v154
	v_fmac_f32_e32 v178, v6, v177
	v_fma_f32 v177, v5, v177, -v149
	v_add_f32_e32 v149, v144, v145
	v_fmac_f32_e32 v179, v8, v176
	v_fma_f32 v176, v7, v176, -v150
	v_add_f32_e32 v150, v146, v155
	s_waitcnt vmcnt(35) lgkmcnt(2)
	v_mul_f32_e32 v152, v139, v182
	v_add_f32_e32 v153, v149, v166
	s_waitcnt vmcnt(30) lgkmcnt(1)
	v_mul_f32_e32 v154, v10, v184
	v_mul_f32_e32 v180, v136, v181
	;; [unrolled: 1-line block ×3, first 2 shown]
	s_waitcnt vmcnt(24)
	v_fma_f32 v166, v138, v190, -v152
	v_add_f32_e32 v152, v150, v148
	v_add_f32_e32 v153, v153, v168
	v_mul_f32_e32 v168, v9, v184
	v_fmac_f32_e32 v180, v137, v175
	v_fma_f32 v175, v136, v175, -v151
	v_add_f32_e32 v152, v152, v195
	v_mul_f32_e32 v181, v138, v182
	v_fmac_f32_e32 v168, v10, v189
	v_add_f32_e32 v10, v153, v167
	ds_read2_b64 v[5:8], v1 offset0:111 offset1:112
	ds_read2_b64 v[144:147], v1 offset0:113 offset1:114
	v_add_f32_e32 v152, v152, v172
	v_fmac_f32_e32 v181, v139, v190
	v_mul_f32_e32 v155, v12, v185
	v_add_f32_e32 v174, v10, v174
	v_fma_f32 v167, v9, v189, -v154
	v_add_f32_e32 v173, v152, v173
	v_mul_f32_e32 v182, v11, v185
	v_fma_f32 v172, v11, v188, -v155
	v_add_f32_e32 v174, v174, v177
	s_waitcnt lgkmcnt(2)
	v_mul_f32_e32 v177, v141, v186
	v_add_f32_e32 v173, v173, v178
	ds_read2_b64 v[136:139], v1 offset0:115 offset1:116
	ds_read2_b64 v[148:151], v1 offset0:117 offset1:118
	v_fmac_f32_e32 v182, v12, v188
	v_add_f32_e32 v174, v174, v176
	ds_read2_b64 v[9:12], v1 offset0:119 offset1:120
	ds_read2_b64 v[152:155], v1 offset0:121 offset1:122
	v_add_f32_e32 v173, v173, v179
	v_mul_f32_e32 v1, v140, v186
	v_mul_f32_e32 v178, v142, v183
	v_add_f32_e32 v174, v174, v175
	v_mul_f32_e32 v183, v143, v183
	v_add_f32_e32 v173, v173, v180
	v_fma_f32 v140, v140, v187, -v177
	v_fmac_f32_e32 v1, v141, v187
	v_add_f32_e32 v166, v174, v166
	s_waitcnt lgkmcnt(5)
	v_mul_f32_e32 v176, v5, v4
	v_add_f32_e32 v173, v173, v181
	v_mul_f32_e32 v4, v6, v4
	v_mul_f32_e32 v179, v7, v3
	v_add_f32_e32 v166, v166, v167
	v_mul_f32_e32 v3, v8, v3
	v_add_f32_e32 v168, v173, v168
	s_waitcnt lgkmcnt(4)
	v_mul_f32_e32 v184, v144, v2
	v_mul_f32_e32 v2, v145, v2
	v_add_f32_e32 v166, v166, v172
	v_add_f32_e32 v168, v168, v182
	;; [unrolled: 1-line block ×4, first 2 shown]
	s_waitcnt vmcnt(22)
	v_mul_f32_e32 v175, v146, v156
	s_waitcnt vmcnt(21) lgkmcnt(3)
	v_mul_f32_e32 v180, v136, v199
	s_waitcnt vmcnt(20)
	v_mul_f32_e32 v185, v138, v200
	s_waitcnt vmcnt(19) lgkmcnt(2)
	v_mul_f32_e32 v174, v148, v201
	s_waitcnt vmcnt(18)
	v_mul_f32_e32 v181, v150, v202
	s_waitcnt vmcnt(17) lgkmcnt(1)
	v_mul_f32_e32 v186, v9, v203
	s_waitcnt vmcnt(16)
	v_mul_f32_e32 v167, v11, v204
	s_waitcnt vmcnt(15) lgkmcnt(0)
	v_mul_f32_e32 v173, v152, v205
	s_waitcnt vmcnt(14)
	v_mul_f32_e32 v141, v154, v157
	s_waitcnt vmcnt(13)
	v_fma_f32 v2, v144, v158, -v2
	s_waitcnt vmcnt(12)
	v_fma_f32 v3, v7, v159, -v3
	s_waitcnt vmcnt(11)
	v_fma_f32 v4, v5, v163, -v4
	s_waitcnt vmcnt(10)
	v_fma_f32 v142, v142, v164, -v183
	v_fmac_f32_e32 v178, v143, v164
	v_fmac_f32_e32 v176, v6, v163
	;; [unrolled: 1-line block ×4, first 2 shown]
	v_add_f32_e32 v5, v140, v142
	v_add_f32_e32 v1, v1, v178
	;; [unrolled: 1-line block ×4, first 2 shown]
	v_mul_f32_e32 v5, v147, v156
	s_waitcnt vmcnt(6)
	v_fmac_f32_e32 v175, v147, v165
	v_fmac_f32_e32 v180, v137, v162
	v_add_f32_e32 v3, v4, v3
	v_add_f32_e32 v1, v1, v179
	v_mul_f32_e32 v4, v137, v199
	v_fma_f32 v5, v146, v165, -v5
	v_fmac_f32_e32 v185, v139, v161
	v_add_f32_e32 v2, v3, v2
	v_add_f32_e32 v1, v1, v184
	v_mul_f32_e32 v3, v139, v200
	v_fma_f32 v4, v136, v162, -v4
	;; [unrolled: 5-line block ×3, first 2 shown]
	s_waitcnt vmcnt(5)
	v_fmac_f32_e32 v173, v153, v169
	v_add_f32_e32 v2, v2, v4
	v_add_f32_e32 v1, v1, v180
	v_mul_f32_e32 v4, v151, v202
	v_fma_f32 v5, v148, v160, -v5
	s_waitcnt vmcnt(2)
	v_fmac_f32_e32 v181, v151, v191
	v_add_f32_e32 v2, v2, v3
	v_add_f32_e32 v1, v1, v185
	v_mul_f32_e32 v3, v10, v203
	v_fma_f32 v4, v150, v191, -v4
	v_fmac_f32_e32 v186, v10, v171
	v_add_f32_e32 v2, v2, v5
	v_add_f32_e32 v1, v1, v174
	v_mul_f32_e32 v5, v12, v204
	v_fma_f32 v3, v9, v171, -v3
	;; [unrolled: 5-line block ×3, first 2 shown]
	s_waitcnt vmcnt(1)
	v_fmac_f32_e32 v141, v155, v192
	v_add_f32_e32 v2, v2, v3
	v_add_f32_e32 v1, v1, v186
	v_mul_f32_e32 v3, v155, v157
	v_fma_f32 v4, v152, v169, -v4
	v_add_f32_e32 v2, v2, v5
	v_add_f32_e32 v1, v1, v167
	v_fma_f32 v3, v154, v192, -v3
	v_add_f32_e32 v2, v2, v4
	v_add_f32_e32 v1, v1, v173
	;; [unrolled: 1-line block ×4, first 2 shown]
	s_waitcnt vmcnt(0)
	v_sub_f32_e32 v2, v193, v2
	v_sub_f32_e32 v1, v194, v1
	buffer_store_dword v2, off, s[0:3], 0 offset:192
	buffer_store_dword v1, off, s[0:3], 0 offset:196
	v_cmpx_lt_u32_e32 23, v0
	s_cbranch_execz .LBB124_333
; %bb.332:
	s_clause 0x1
	buffer_load_dword v1, off, s[0:3], 0 offset:184
	buffer_load_dword v2, off, s[0:3], 0 offset:188
	v_mov_b32_e32 v3, 0
	buffer_store_dword v3, off, s[0:3], 0 offset:184
	buffer_store_dword v3, off, s[0:3], 0 offset:188
	s_waitcnt vmcnt(0)
	ds_write_b64 v135, v[1:2]
.LBB124_333:
	s_or_b32 exec_lo, exec_lo, s4
	s_waitcnt lgkmcnt(0)
	s_waitcnt_vscnt null, 0x0
	s_barrier
	buffer_gl0_inv
	s_clause 0x25
	buffer_load_dword v2, off, s[0:3], 0 offset:196
	buffer_load_dword v3, off, s[0:3], 0 offset:204
	;; [unrolled: 1-line block ×38, first 2 shown]
	v_mov_b32_e32 v1, 0
	ds_read_b128 v[4:7], v1 offset:688
	ds_read_b128 v[8:11], v1 offset:704
	s_clause 0x10
	buffer_load_dword v179, off, s[0:3], 0 offset:348
	buffer_load_dword v180, off, s[0:3], 0 offset:356
	;; [unrolled: 1-line block ×17, first 2 shown]
	ds_read_b128 v[136:139], v1 offset:720
	ds_read_b128 v[140:143], v1 offset:736
	s_mov_b32 s4, exec_lo
	s_waitcnt vmcnt(54) lgkmcnt(3)
	v_mul_f32_e32 v196, v5, v2
	v_mul_f32_e32 v197, v4, v2
	s_waitcnt vmcnt(53)
	v_mul_f32_e32 v198, v6, v3
	v_mul_f32_e32 v2, v7, v3
	s_waitcnt vmcnt(52) lgkmcnt(2)
	v_mul_f32_e32 v199, v8, v12
	v_mul_f32_e32 v3, v9, v12
	s_waitcnt vmcnt(49)
	v_fma_f32 v12, v4, v146, -v196
	s_waitcnt vmcnt(48)
	v_mul_f32_e32 v4, v11, v147
	v_fmac_f32_e32 v197, v5, v146
	v_mul_f32_e32 v146, v10, v147
	v_fmac_f32_e32 v198, v7, v145
	v_fma_f32 v145, v6, v145, -v2
	v_fmac_f32_e32 v199, v9, v144
	v_fma_f32 v144, v8, v144, -v3
	s_waitcnt vmcnt(44)
	v_fma_f32 v10, v10, v151, -v4
	ds_read_b128 v[2:5], v1 offset:752
	ds_read_b128 v[6:9], v1 offset:768
	v_fmac_f32_e32 v146, v11, v151
	s_waitcnt vmcnt(43) lgkmcnt(3)
	v_mul_f32_e32 v11, v136, v152
	v_mul_f32_e32 v147, v137, v152
	s_waitcnt vmcnt(42)
	v_mul_f32_e32 v151, v138, v153
	v_mul_f32_e32 v152, v139, v153
	s_waitcnt vmcnt(41) lgkmcnt(2)
	v_mul_f32_e32 v153, v140, v154
	v_mul_f32_e32 v154, v141, v154
	v_fmac_f32_e32 v11, v137, v150
	v_fma_f32 v136, v136, v150, -v147
	s_waitcnt vmcnt(40)
	v_mul_f32_e32 v137, v142, v155
	v_mul_f32_e32 v147, v143, v155
	v_fmac_f32_e32 v151, v139, v149
	v_fma_f32 v138, v138, v149, -v152
	v_fmac_f32_e32 v153, v141, v148
	v_fma_f32 v139, v140, v148, -v154
	s_waitcnt vmcnt(36)
	v_fmac_f32_e32 v137, v143, v159
	v_fma_f32 v140, v142, v159, -v147
	s_clause 0x3
	buffer_load_dword v196, off, s[0:3], 0 offset:412
	buffer_load_dword v200, off, s[0:3], 0 offset:420
	buffer_load_dword v201, off, s[0:3], 0 offset:428
	buffer_load_dword v202, off, s[0:3], 0 offset:436
	s_waitcnt vmcnt(39) lgkmcnt(1)
	v_mul_f32_e32 v141, v2, v160
	v_mul_f32_e32 v142, v3, v160
	s_waitcnt vmcnt(38)
	v_mul_f32_e32 v143, v4, v161
	v_mul_f32_e32 v147, v5, v161
	s_waitcnt vmcnt(37) lgkmcnt(0)
	v_mul_f32_e32 v149, v7, v162
	s_clause 0x3
	buffer_load_dword v159, off, s[0:3], 0 offset:444
	buffer_load_dword v203, off, s[0:3], 0 offset:452
	;; [unrolled: 1-line block ×4, first 2 shown]
	v_fmac_f32_e32 v141, v3, v158
	v_fma_f32 v142, v2, v158, -v142
	v_mul_f32_e32 v148, v6, v162
	v_fmac_f32_e32 v143, v5, v157
	v_fma_f32 v147, v4, v157, -v147
	ds_read_b128 v[2:5], v1 offset:784
	v_fma_f32 v149, v6, v156, -v149
	s_waitcnt vmcnt(40)
	v_mul_f32_e32 v6, v9, v163
	s_clause 0x1
	buffer_load_dword v160, off, s[0:3], 0 offset:476
	buffer_load_dword v157, off, s[0:3], 0 offset:484
	v_fmac_f32_e32 v148, v7, v156
	v_mul_f32_e32 v150, v8, v163
	s_waitcnt vmcnt(38)
	v_fma_f32 v152, v8, v167, -v6
	v_add_f32_e32 v6, 0, v12
	s_clause 0x3
	buffer_load_dword v12, off, s[0:3], 0 offset:432
	buffer_load_dword v156, off, s[0:3], 0 offset:424
	;; [unrolled: 1-line block ×4, first 2 shown]
	v_add_f32_e32 v7, 0, v197
	v_fmac_f32_e32 v150, v9, v167
	v_add_f32_e32 v6, v6, v145
	v_add_f32_e32 v145, v7, v198
	;; [unrolled: 1-line block ×3, first 2 shown]
	ds_read_b128 v[6:9], v1 offset:800
	s_waitcnt vmcnt(41) lgkmcnt(1)
	v_mul_f32_e32 v154, v2, v168
	v_mul_f32_e32 v155, v3, v168
	v_add_f32_e32 v145, v145, v199
	v_add_f32_e32 v10, v144, v10
	v_fmac_f32_e32 v154, v3, v166
	v_fma_f32 v144, v2, v166, -v155
	s_clause 0x6
	buffer_load_dword v162, off, s[0:3], 0 offset:464
	buffer_load_dword v163, off, s[0:3], 0 offset:456
	;; [unrolled: 1-line block ×7, first 2 shown]
	v_add_f32_e32 v2, v145, v146
	v_add_f32_e32 v3, v10, v136
	s_waitcnt vmcnt(47)
	v_mul_f32_e32 v10, v4, v169
	v_add_f32_e32 v2, v2, v11
	v_add_f32_e32 v3, v3, v138
	v_mul_f32_e32 v11, v5, v169
	v_fmac_f32_e32 v10, v5, v165
	s_waitcnt vmcnt(45) lgkmcnt(0)
	v_mul_f32_e32 v155, v8, v171
	v_add_f32_e32 v2, v2, v151
	v_add_f32_e32 v3, v3, v139
	v_fma_f32 v11, v4, v165, -v11
	s_waitcnt vmcnt(41)
	v_fmac_f32_e32 v155, v9, v175
	v_add_f32_e32 v136, v2, v153
	v_add_f32_e32 v140, v3, v140
	ds_read_b128 v[2:5], v1 offset:816
	v_mul_f32_e32 v153, v6, v170
	v_add_f32_e32 v145, v136, v137
	v_add_f32_e32 v140, v140, v142
	v_mul_f32_e32 v142, v7, v170
	ds_read_b128 v[136:139], v1 offset:832
	v_fmac_f32_e32 v153, v7, v164
	v_add_f32_e32 v141, v145, v141
	v_mul_f32_e32 v145, v9, v171
	v_add_f32_e32 v146, v140, v147
	v_fma_f32 v164, v6, v164, -v142
	v_fma_f32 v165, v8, v175, -v145
	v_add_f32_e32 v145, v141, v143
	v_add_f32_e32 v146, v146, v149
	ds_read_b128 v[6:9], v1 offset:848
	ds_read_b128 v[140:143], v1 offset:864
	v_add_f32_e32 v145, v145, v148
	s_waitcnt vmcnt(39) lgkmcnt(3)
	v_mul_f32_e32 v170, v4, v177
	v_mul_f32_e32 v148, v5, v177
	v_add_f32_e32 v146, v146, v152
	v_mul_f32_e32 v147, v3, v176
	v_add_f32_e32 v145, v145, v150
	v_fmac_f32_e32 v170, v5, v173
	v_fma_f32 v173, v4, v173, -v148
	v_add_f32_e32 v148, v146, v144
	v_mul_f32_e32 v169, v2, v176
	v_add_f32_e32 v150, v145, v154
	v_fma_f32 v152, v2, v174, -v147
	s_waitcnt vmcnt(38) lgkmcnt(2)
	v_mul_f32_e32 v171, v136, v178
	v_add_f32_e32 v11, v148, v11
	v_fmac_f32_e32 v169, v3, v174
	v_add_f32_e32 v10, v150, v10
	v_mul_f32_e32 v149, v137, v178
	s_waitcnt vmcnt(37)
	v_mul_f32_e32 v151, v139, v179
	v_add_f32_e32 v11, v11, v164
	s_waitcnt vmcnt(36) lgkmcnt(1)
	v_mul_f32_e32 v164, v6, v180
	v_add_f32_e32 v10, v10, v153
	v_mul_f32_e32 v153, v7, v180
	v_fmac_f32_e32 v171, v137, v172
	v_fma_f32 v172, v136, v172, -v149
	s_waitcnt vmcnt(31)
	v_fmac_f32_e32 v164, v7, v185
	v_add_f32_e32 v7, v11, v165
	v_add_f32_e32 v10, v10, v155
	v_mul_f32_e32 v175, v138, v179
	s_waitcnt vmcnt(30)
	v_fma_f32 v174, v138, v186, -v151
	ds_read_b128 v[2:5], v1 offset:880
	ds_read_b128 v[144:147], v1 offset:896
	v_add_f32_e32 v178, v7, v152
	v_add_f32_e32 v169, v10, v169
	v_fmac_f32_e32 v175, v139, v186
	v_mul_f32_e32 v154, v9, v181
	v_fma_f32 v165, v6, v185, -v153
	v_add_f32_e32 v173, v178, v173
	v_add_f32_e32 v169, v169, v170
	v_mul_f32_e32 v176, v8, v181
	v_fma_f32 v177, v8, v184, -v154
	s_waitcnt lgkmcnt(2)
	v_mul_f32_e32 v179, v141, v182
	v_add_f32_e32 v172, v173, v172
	v_add_f32_e32 v169, v169, v171
	v_fmac_f32_e32 v176, v9, v184
	v_mul_f32_e32 v178, v140, v182
	s_waitcnt vmcnt(29)
	v_mul_f32_e32 v180, v143, v187
	v_add_f32_e32 v172, v172, v174
	v_add_f32_e32 v169, v169, v175
	v_fma_f32 v140, v140, v183, -v179
	v_mul_f32_e32 v170, v142, v187
	v_fmac_f32_e32 v178, v141, v183
	v_add_f32_e32 v165, v172, v165
	v_add_f32_e32 v164, v169, v164
	s_waitcnt vmcnt(28) lgkmcnt(1)
	v_mul_f32_e32 v173, v2, v188
	v_mul_f32_e32 v179, v3, v188
	s_waitcnt vmcnt(22)
	v_fma_f32 v142, v142, v194, -v180
	v_add_f32_e32 v165, v165, v177
	v_add_f32_e32 v164, v164, v176
	ds_read_b128 v[136:139], v1 offset:912
	ds_read_b128 v[148:151], v1 offset:928
	v_fmac_f32_e32 v170, v143, v194
	v_mul_f32_e32 v176, v5, v189
	v_add_f32_e32 v140, v165, v140
	v_add_f32_e32 v164, v164, v178
	v_fmac_f32_e32 v173, v3, v193
	v_fma_f32 v2, v2, v193, -v179
	v_mul_f32_e32 v171, v4, v189
	v_add_f32_e32 v3, v140, v142
	v_add_f32_e32 v140, v164, v170
	s_waitcnt lgkmcnt(2)
	v_mul_f32_e32 v142, v145, v190
	v_fma_f32 v4, v4, v192, -v176
	v_mul_f32_e32 v141, v144, v190
	v_add_f32_e32 v2, v3, v2
	v_fmac_f32_e32 v171, v5, v192
	v_add_f32_e32 v3, v140, v173
	v_fma_f32 v140, v144, v191, -v142
	v_fmac_f32_e32 v141, v145, v191
	v_add_f32_e32 v2, v2, v4
	ds_read_b128 v[6:9], v1 offset:944
	ds_read_b128 v[152:155], v1 offset:960
	ds_read_b64 v[10:11], v1 offset:976
	v_add_f32_e32 v3, v3, v171
	v_add_f32_e32 v2, v2, v140
	v_add_f32_e32 v3, v3, v141
	s_waitcnt vmcnt(20)
	v_mul_f32_e32 v5, v147, v196
	v_mul_f32_e32 v174, v146, v196
	s_waitcnt vmcnt(19) lgkmcnt(4)
	v_mul_f32_e32 v4, v137, v200
	v_mul_f32_e32 v175, v136, v200
	s_waitcnt vmcnt(18)
	v_mul_f32_e32 v140, v139, v201
	v_mul_f32_e32 v143, v138, v201
	s_waitcnt vmcnt(17) lgkmcnt(3)
	v_mul_f32_e32 v180, v148, v202
	s_waitcnt vmcnt(16)
	v_mul_f32_e32 v169, v150, v159
	s_waitcnt vmcnt(15) lgkmcnt(2)
	v_mul_f32_e32 v172, v6, v203
	s_waitcnt vmcnt(14)
	;; [unrolled: 4-line block ×4, first 2 shown]
	v_fmac_f32_e32 v180, v149, v12
	s_waitcnt vmcnt(9)
	v_fmac_f32_e32 v143, v139, v156
	s_waitcnt vmcnt(8)
	v_fma_f32 v4, v136, v158, -v4
	s_waitcnt vmcnt(7)
	v_fma_f32 v5, v146, v161, -v5
	v_fmac_f32_e32 v174, v147, v161
	v_fmac_f32_e32 v175, v137, v158
	v_fma_f32 v136, v138, v156, -v140
	v_add_f32_e32 v2, v2, v5
	v_add_f32_e32 v3, v3, v174
	v_mul_f32_e32 v5, v149, v202
	v_add_f32_e32 v2, v2, v4
	v_add_f32_e32 v3, v3, v175
	v_mul_f32_e32 v4, v151, v159
	v_fma_f32 v5, v148, v12, -v5
	v_mul_f32_e32 v12, v7, v203
	v_add_f32_e32 v2, v2, v136
	v_add_f32_e32 v3, v3, v143
	s_waitcnt vmcnt(4)
	v_fmac_f32_e32 v172, v7, v166
	s_waitcnt vmcnt(3)
	v_fma_f32 v4, v150, v167, -v4
	v_fmac_f32_e32 v169, v151, v167
	v_add_f32_e32 v2, v2, v5
	v_add_f32_e32 v3, v3, v180
	v_mul_f32_e32 v5, v9, v204
	v_fma_f32 v6, v6, v166, -v12
	v_fmac_f32_e32 v181, v9, v163
	v_add_f32_e32 v2, v2, v4
	v_add_f32_e32 v3, v3, v169
	v_mul_f32_e32 v4, v153, v205
	;; [unrolled: 5-line block ×3, first 2 shown]
	v_fma_f32 v4, v152, v162, -v4
	s_waitcnt vmcnt(1)
	v_fmac_f32_e32 v182, v155, v197
	v_add_f32_e32 v2, v2, v5
	v_add_f32_e32 v3, v3, v181
	v_mul_f32_e32 v5, v11, v157
	v_fma_f32 v6, v154, v197, -v6
	v_fmac_f32_e32 v165, v11, v168
	v_add_f32_e32 v2, v2, v4
	v_add_f32_e32 v3, v3, v177
	v_fma_f32 v4, v10, v168, -v5
	v_add_f32_e32 v2, v2, v6
	v_add_f32_e32 v3, v3, v182
	;; [unrolled: 1-line block ×4, first 2 shown]
	s_waitcnt vmcnt(0)
	v_sub_f32_e32 v2, v198, v2
	v_sub_f32_e32 v3, v195, v3
	buffer_store_dword v2, off, s[0:3], 0 offset:184
	buffer_store_dword v3, off, s[0:3], 0 offset:188
	v_cmpx_lt_u32_e32 22, v0
	s_cbranch_execz .LBB124_335
; %bb.334:
	s_clause 0x1
	buffer_load_dword v2, off, s[0:3], 0 offset:176
	buffer_load_dword v3, off, s[0:3], 0 offset:180
	buffer_store_dword v1, off, s[0:3], 0 offset:176
	buffer_store_dword v1, off, s[0:3], 0 offset:180
	s_waitcnt vmcnt(0)
	ds_write_b64 v135, v[2:3]
.LBB124_335:
	s_or_b32 exec_lo, exec_lo, s4
	s_waitcnt lgkmcnt(0)
	s_waitcnt_vscnt null, 0x0
	s_barrier
	buffer_gl0_inv
	s_clause 0x1e
	buffer_load_dword v2, off, s[0:3], 0 offset:188
	buffer_load_dword v3, off, s[0:3], 0 offset:196
	;; [unrolled: 1-line block ×31, first 2 shown]
	ds_read2_b64 v[4:7], v1 offset0:85 offset1:86
	s_clause 0x3
	buffer_load_dword v180, off, s[0:3], 0 offset:328
	buffer_load_dword v181, off, s[0:3], 0 offset:320
	;; [unrolled: 1-line block ×4, first 2 shown]
	ds_read2_b64 v[8:11], v1 offset0:87 offset1:88
	s_clause 0xa
	buffer_load_dword v184, off, s[0:3], 0 offset:316
	buffer_load_dword v185, off, s[0:3], 0 offset:324
	;; [unrolled: 1-line block ×11, first 2 shown]
	ds_read2_b64 v[136:139], v1 offset0:89 offset1:90
	ds_read2_b64 v[140:143], v1 offset0:91 offset1:92
	;; [unrolled: 1-line block ×4, first 2 shown]
	buffer_load_dword v195, off, s[0:3], 0 offset:180
	s_mov_b32 s4, exec_lo
	s_waitcnt vmcnt(46) lgkmcnt(5)
	v_mul_f32_e32 v196, v5, v2
	v_mul_f32_e32 v197, v4, v2
	s_waitcnt vmcnt(45)
	v_mul_f32_e32 v198, v6, v3
	v_mul_f32_e32 v2, v7, v3
	s_waitcnt vmcnt(44) lgkmcnt(4)
	v_mul_f32_e32 v199, v8, v12
	v_mul_f32_e32 v3, v9, v12
	s_waitcnt vmcnt(41)
	v_fma_f32 v12, v4, v154, -v196
	v_fmac_f32_e32 v197, v5, v154
	s_waitcnt vmcnt(40)
	v_mul_f32_e32 v154, v10, v155
	v_mul_f32_e32 v4, v11, v155
	v_fmac_f32_e32 v198, v7, v153
	s_waitcnt vmcnt(35) lgkmcnt(3)
	v_mul_f32_e32 v155, v137, v160
	v_fma_f32 v153, v6, v153, -v2
	v_fmac_f32_e32 v154, v11, v159
	v_mul_f32_e32 v11, v136, v160
	v_fma_f32 v10, v10, v159, -v4
	s_waitcnt vmcnt(34)
	v_mul_f32_e32 v159, v138, v161
	v_mul_f32_e32 v160, v139, v161
	s_waitcnt vmcnt(33) lgkmcnt(2)
	v_mul_f32_e32 v161, v140, v162
	v_mul_f32_e32 v162, v141, v162
	v_fmac_f32_e32 v11, v137, v158
	v_fma_f32 v136, v136, v158, -v155
	s_waitcnt vmcnt(32)
	v_mul_f32_e32 v137, v142, v163
	v_mul_f32_e32 v155, v143, v163
	v_fmac_f32_e32 v199, v9, v152
	v_fma_f32 v152, v8, v152, -v3
	ds_read2_b64 v[2:5], v1 offset0:97 offset1:98
	ds_read2_b64 v[6:9], v1 offset0:99 offset1:100
	v_fmac_f32_e32 v159, v139, v157
	v_fma_f32 v138, v138, v157, -v160
	v_fmac_f32_e32 v161, v141, v156
	v_fma_f32 v139, v140, v156, -v162
	s_waitcnt vmcnt(28)
	v_fmac_f32_e32 v137, v143, v167
	v_fma_f32 v140, v142, v167, -v155
	s_clause 0x7
	buffer_load_dword v155, off, s[0:3], 0 offset:372
	buffer_load_dword v156, off, s[0:3], 0 offset:380
	;; [unrolled: 1-line block ×8, first 2 shown]
	s_waitcnt vmcnt(35) lgkmcnt(3)
	v_mul_f32_e32 v141, v144, v168
	v_mul_f32_e32 v142, v145, v168
	s_waitcnt vmcnt(34)
	v_mul_f32_e32 v143, v146, v169
	v_mul_f32_e32 v168, v147, v169
	s_waitcnt vmcnt(33) lgkmcnt(2)
	v_mul_f32_e32 v169, v148, v170
	v_mul_f32_e32 v170, v149, v170
	v_fmac_f32_e32 v141, v145, v166
	v_fma_f32 v142, v144, v166, -v142
	s_waitcnt vmcnt(32)
	v_mul_f32_e32 v144, v150, v171
	v_mul_f32_e32 v145, v151, v171
	v_fmac_f32_e32 v143, v147, v165
	v_fmac_f32_e32 v169, v149, v164
	v_fma_f32 v147, v148, v164, -v170
	s_waitcnt vmcnt(28)
	v_fmac_f32_e32 v144, v151, v175
	v_fma_f32 v145, v150, v175, -v145
	s_waitcnt vmcnt(27) lgkmcnt(1)
	v_mul_f32_e32 v148, v2, v176
	v_mul_f32_e32 v149, v3, v176
	s_waitcnt vmcnt(26)
	v_mul_f32_e32 v150, v4, v177
	v_mul_f32_e32 v151, v5, v177
	v_fma_f32 v146, v146, v165, -v168
	s_clause 0x8
	buffer_load_dword v165, off, s[0:3], 0 offset:404
	buffer_load_dword v166, off, s[0:3], 0 offset:412
	;; [unrolled: 1-line block ×9, first 2 shown]
	v_fmac_f32_e32 v148, v3, v174
	v_fma_f32 v149, v2, v174, -v149
	buffer_load_dword v174, off, s[0:3], 0 offset:476
	v_fmac_f32_e32 v150, v5, v173
	v_fma_f32 v151, v4, v173, -v151
	s_clause 0x4
	buffer_load_dword v173, off, s[0:3], 0 offset:484
	buffer_load_dword v177, off, s[0:3], 0 offset:424
	;; [unrolled: 1-line block ×5, first 2 shown]
	v_add_f32_e32 v3, 0, v197
	v_add_f32_e32 v2, 0, v12
	s_waitcnt vmcnt(40) lgkmcnt(0)
	v_mul_f32_e32 v4, v7, v178
	v_add_f32_e32 v3, v3, v198
	v_add_f32_e32 v2, v2, v153
	v_fma_f32 v153, v6, v172, -v4
	v_add_f32_e32 v3, v3, v199
	s_clause 0x3
	buffer_load_dword v12, off, s[0:3], 0 offset:456
	buffer_load_dword v197, off, s[0:3], 0 offset:448
	;; [unrolled: 1-line block ×4, first 2 shown]
	v_add_f32_e32 v2, v2, v152
	v_mul_f32_e32 v152, v6, v178
	v_add_f32_e32 v3, v3, v154
	s_waitcnt vmcnt(43)
	v_mul_f32_e32 v154, v8, v179
	v_add_f32_e32 v2, v2, v10
	s_clause 0x2
	buffer_load_dword v10, off, s[0:3], 0 offset:480
	buffer_load_dword v203, off, s[0:3], 0 offset:472
	;; [unrolled: 1-line block ×3, first 2 shown]
	v_fmac_f32_e32 v152, v7, v172
	v_add_f32_e32 v3, v3, v11
	buffer_load_dword v11, off, s[0:3], 0 offset:176
	v_add_f32_e32 v2, v2, v136
	s_waitcnt vmcnt(43)
	v_fmac_f32_e32 v154, v9, v183
	v_add_f32_e32 v3, v3, v159
	v_add_f32_e32 v2, v2, v138
	;; [unrolled: 1-line block ×4, first 2 shown]
	ds_read2_b64 v[2:5], v1 offset0:101 offset1:102
	v_add_f32_e32 v137, v7, v137
	v_add_f32_e32 v136, v6, v140
	v_mul_f32_e32 v6, v9, v179
	v_add_f32_e32 v141, v137, v141
	v_add_f32_e32 v140, v136, v142
	v_fma_f32 v159, v8, v183, -v6
	ds_read2_b64 v[6:9], v1 offset0:103 offset1:104
	ds_read2_b64 v[136:139], v1 offset0:105 offset1:106
	v_add_f32_e32 v141, v141, v143
	v_add_f32_e32 v140, v140, v146
	;; [unrolled: 1-line block ×3, first 2 shown]
	s_waitcnt vmcnt(42) lgkmcnt(2)
	v_mul_f32_e32 v142, v3, v184
	v_mul_f32_e32 v161, v2, v184
	v_fma_f32 v172, v2, v182, -v142
	v_add_f32_e32 v2, v141, v169
	v_fmac_f32_e32 v161, v3, v182
	v_add_f32_e32 v3, v146, v145
	ds_read2_b64 v[140:143], v1 offset0:107 offset1:108
	s_waitcnt vmcnt(41)
	v_mul_f32_e32 v169, v4, v185
	v_add_f32_e32 v2, v2, v144
	s_waitcnt vmcnt(40) lgkmcnt(2)
	v_mul_f32_e32 v178, v6, v186
	v_mul_f32_e32 v144, v7, v186
	v_add_f32_e32 v3, v3, v149
	s_waitcnt vmcnt(38) lgkmcnt(1)
	v_mul_f32_e32 v182, v136, v188
	v_add_f32_e32 v2, v2, v148
	v_fmac_f32_e32 v178, v7, v180
	v_fma_f32 v180, v6, v180, -v144
	v_add_f32_e32 v6, v3, v151
	v_mul_f32_e32 v148, v137, v188
	v_add_f32_e32 v7, v2, v150
	s_waitcnt vmcnt(33)
	v_fmac_f32_e32 v182, v137, v193
	v_mul_f32_e32 v145, v5, v185
	v_add_f32_e32 v137, v6, v153
	v_fma_f32 v184, v136, v193, -v148
	v_add_f32_e32 v136, v7, v152
	v_fmac_f32_e32 v169, v5, v181
	v_fma_f32 v181, v4, v181, -v145
	v_add_f32_e32 v137, v137, v159
	s_waitcnt lgkmcnt(0)
	v_mul_f32_e32 v153, v141, v190
	v_add_f32_e32 v136, v136, v154
	v_mul_f32_e32 v185, v140, v190
	v_mul_f32_e32 v149, v9, v187
	v_add_f32_e32 v137, v137, v172
	v_fma_f32 v188, v140, v191, -v153
	v_add_f32_e32 v140, v136, v161
	v_mul_f32_e32 v179, v8, v187
	s_waitcnt vmcnt(32)
	v_fma_f32 v183, v8, v194, -v149
	v_add_f32_e32 v161, v137, v181
	ds_read2_b64 v[2:5], v1 offset0:109 offset1:110
	ds_read2_b64 v[144:147], v1 offset0:111 offset1:112
	v_add_f32_e32 v169, v140, v169
	v_fmac_f32_e32 v179, v9, v194
	v_mul_f32_e32 v152, v139, v189
	v_add_f32_e32 v161, v161, v180
	v_mul_f32_e32 v159, v138, v189
	v_add_f32_e32 v169, v169, v178
	v_fmac_f32_e32 v185, v141, v191
	v_fma_f32 v187, v138, v192, -v152
	v_add_f32_e32 v161, v161, v183
	v_fmac_f32_e32 v159, v139, v192
	v_add_f32_e32 v169, v169, v179
	ds_read2_b64 v[6:9], v1 offset0:113 offset1:114
	ds_read2_b64 v[148:151], v1 offset0:115 offset1:116
	v_add_f32_e32 v161, v161, v184
	v_add_f32_e32 v169, v169, v182
	;; [unrolled: 1-line block ×6, first 2 shown]
	s_waitcnt vmcnt(30)
	v_mul_f32_e32 v172, v142, v155
	v_mul_f32_e32 v186, v143, v155
	ds_read2_b64 v[136:139], v1 offset0:117 offset1:118
	ds_read2_b64 v[152:155], v1 offset0:119 offset1:120
	s_waitcnt vmcnt(28) lgkmcnt(5)
	v_mul_f32_e32 v178, v4, v157
	v_mul_f32_e32 v157, v5, v157
	s_waitcnt vmcnt(27) lgkmcnt(4)
	v_mul_f32_e32 v180, v144, v158
	v_mul_f32_e32 v158, v145, v158
	s_waitcnt vmcnt(23)
	v_fmac_f32_e32 v172, v143, v167
	v_fma_f32 v167, v142, v167, -v186
	ds_read2_b64 v[140:143], v1 offset0:121 offset1:122
	v_mul_f32_e32 v1, v2, v156
	v_mul_f32_e32 v156, v3, v156
	v_add_f32_e32 v159, v159, v172
	v_fma_f32 v4, v4, v162, -v157
	v_fmac_f32_e32 v178, v5, v162
	v_fmac_f32_e32 v1, v3, v163
	v_fma_f32 v2, v2, v163, -v156
	v_add_f32_e32 v156, v161, v167
	v_fma_f32 v144, v144, v160, -v158
	v_fmac_f32_e32 v180, v145, v160
	v_add_f32_e32 v1, v159, v1
	v_add_f32_e32 v2, v156, v2
	s_waitcnt vmcnt(22)
	v_mul_f32_e32 v5, v147, v165
	v_mul_f32_e32 v179, v146, v165
	v_add_f32_e32 v2, v2, v4
	v_add_f32_e32 v1, v1, v178
	s_waitcnt vmcnt(21) lgkmcnt(4)
	v_mul_f32_e32 v4, v7, v166
	v_mul_f32_e32 v181, v6, v166
	s_waitcnt vmcnt(20)
	v_mul_f32_e32 v183, v8, v168
	v_add_f32_e32 v2, v2, v144
	v_add_f32_e32 v1, v1, v180
	v_mul_f32_e32 v144, v9, v168
	s_waitcnt vmcnt(9)
	v_fma_f32 v4, v6, v201, -v4
	s_waitcnt vmcnt(8)
	v_fma_f32 v5, v146, v202, -v5
	v_fmac_f32_e32 v179, v147, v202
	v_fmac_f32_e32 v181, v7, v201
	v_fma_f32 v6, v8, v200, -v144
	s_waitcnt lgkmcnt(3)
	v_mul_f32_e32 v182, v148, v171
	v_add_f32_e32 v2, v2, v5
	v_add_f32_e32 v1, v1, v179
	v_mul_f32_e32 v5, v149, v171
	v_fmac_f32_e32 v183, v9, v200
	v_mul_f32_e32 v184, v150, v164
	v_add_f32_e32 v2, v2, v4
	v_add_f32_e32 v1, v1, v181
	v_mul_f32_e32 v4, v151, v164
	v_fma_f32 v5, v148, v177, -v5
	v_fmac_f32_e32 v182, v149, v177
	v_add_f32_e32 v2, v2, v6
	v_add_f32_e32 v1, v1, v183
	s_waitcnt lgkmcnt(2)
	v_mul_f32_e32 v6, v137, v170
	s_waitcnt vmcnt(4)
	v_fma_f32 v4, v150, v199, -v4
	v_mul_f32_e32 v186, v136, v170
	v_add_f32_e32 v2, v2, v5
	v_fmac_f32_e32 v184, v151, v199
	v_add_f32_e32 v1, v1, v182
	v_mul_f32_e32 v5, v139, v175
	v_fma_f32 v6, v136, v198, -v6
	v_add_f32_e32 v2, v2, v4
	v_mul_f32_e32 v169, v138, v175
	v_fmac_f32_e32 v186, v137, v198
	v_add_f32_e32 v1, v1, v184
	s_waitcnt lgkmcnt(1)
	v_mul_f32_e32 v4, v153, v196
	v_fma_f32 v5, v138, v197, -v5
	v_add_f32_e32 v2, v2, v6
	v_mul_f32_e32 v187, v152, v196
	v_fmac_f32_e32 v169, v139, v197
	v_add_f32_e32 v1, v1, v186
	v_mul_f32_e32 v6, v155, v176
	v_fma_f32 v4, v152, v12, -v4
	v_add_f32_e32 v2, v2, v5
	v_mul_f32_e32 v188, v154, v176
	v_fmac_f32_e32 v187, v153, v12
	v_add_f32_e32 v1, v1, v169
	s_waitcnt lgkmcnt(0)
	v_mul_f32_e32 v5, v141, v174
	s_waitcnt vmcnt(1)
	v_fma_f32 v6, v154, v204, -v6
	v_add_f32_e32 v2, v2, v4
	v_mul_f32_e32 v185, v140, v174
	v_fmac_f32_e32 v188, v155, v204
	v_add_f32_e32 v1, v1, v187
	v_mul_f32_e32 v4, v143, v173
	v_fma_f32 v5, v140, v203, -v5
	v_add_f32_e32 v2, v2, v6
	v_mul_f32_e32 v3, v142, v173
	v_fmac_f32_e32 v185, v141, v203
	v_add_f32_e32 v1, v1, v188
	v_fma_f32 v4, v142, v10, -v4
	v_add_f32_e32 v2, v2, v5
	v_fmac_f32_e32 v3, v143, v10
	v_add_f32_e32 v1, v1, v185
	v_add_f32_e32 v2, v2, v4
	;; [unrolled: 1-line block ×3, first 2 shown]
	s_waitcnt vmcnt(0)
	v_sub_f32_e32 v2, v11, v2
	v_sub_f32_e32 v1, v195, v1
	buffer_store_dword v2, off, s[0:3], 0 offset:176
	buffer_store_dword v1, off, s[0:3], 0 offset:180
	v_cmpx_lt_u32_e32 21, v0
	s_cbranch_execz .LBB124_337
; %bb.336:
	s_clause 0x1
	buffer_load_dword v1, off, s[0:3], 0 offset:168
	buffer_load_dword v2, off, s[0:3], 0 offset:172
	v_mov_b32_e32 v3, 0
	buffer_store_dword v3, off, s[0:3], 0 offset:168
	buffer_store_dword v3, off, s[0:3], 0 offset:172
	s_waitcnt vmcnt(0)
	ds_write_b64 v135, v[1:2]
.LBB124_337:
	s_or_b32 exec_lo, exec_lo, s4
	s_waitcnt lgkmcnt(0)
	s_waitcnt_vscnt null, 0x0
	s_barrier
	buffer_gl0_inv
	s_clause 0x25
	buffer_load_dword v2, off, s[0:3], 0 offset:180
	buffer_load_dword v3, off, s[0:3], 0 offset:188
	;; [unrolled: 1-line block ×38, first 2 shown]
	v_mov_b32_e32 v1, 0
	ds_read_b128 v[4:7], v1 offset:672
	ds_read_b128 v[8:11], v1 offset:688
	s_clause 0x10
	buffer_load_dword v179, off, s[0:3], 0 offset:332
	buffer_load_dword v180, off, s[0:3], 0 offset:340
	;; [unrolled: 1-line block ×17, first 2 shown]
	ds_read_b128 v[136:139], v1 offset:704
	ds_read_b128 v[140:143], v1 offset:720
	s_mov_b32 s4, exec_lo
	s_waitcnt vmcnt(54) lgkmcnt(3)
	v_mul_f32_e32 v196, v5, v2
	v_mul_f32_e32 v197, v4, v2
	s_waitcnt vmcnt(53)
	v_mul_f32_e32 v198, v6, v3
	v_mul_f32_e32 v2, v7, v3
	s_waitcnt vmcnt(52) lgkmcnt(2)
	v_mul_f32_e32 v199, v8, v12
	v_mul_f32_e32 v3, v9, v12
	s_waitcnt vmcnt(49)
	v_fma_f32 v12, v4, v146, -v196
	v_fmac_f32_e32 v197, v5, v146
	s_waitcnt vmcnt(48)
	v_mul_f32_e32 v146, v10, v147
	v_mul_f32_e32 v4, v11, v147
	v_fmac_f32_e32 v198, v7, v145
	s_waitcnt vmcnt(43) lgkmcnt(1)
	v_mul_f32_e32 v147, v137, v152
	v_fma_f32 v145, v6, v145, -v2
	v_fmac_f32_e32 v199, v9, v144
	v_fma_f32 v144, v8, v144, -v3
	v_fmac_f32_e32 v146, v11, v151
	v_fma_f32 v10, v10, v151, -v4
	ds_read_b128 v[2:5], v1 offset:736
	ds_read_b128 v[6:9], v1 offset:752
	v_mul_f32_e32 v11, v136, v152
	s_waitcnt vmcnt(42)
	v_mul_f32_e32 v151, v138, v153
	v_mul_f32_e32 v152, v139, v153
	s_waitcnt vmcnt(41) lgkmcnt(2)
	v_mul_f32_e32 v153, v140, v154
	v_fma_f32 v147, v136, v150, -v147
	s_waitcnt vmcnt(40)
	v_mul_f32_e32 v136, v143, v155
	v_mul_f32_e32 v154, v141, v154
	v_fmac_f32_e32 v11, v137, v150
	v_fmac_f32_e32 v151, v139, v149
	v_fma_f32 v149, v138, v149, -v152
	s_clause 0x3
	buffer_load_dword v196, off, s[0:3], 0 offset:396
	buffer_load_dword v200, off, s[0:3], 0 offset:404
	;; [unrolled: 1-line block ×4, first 2 shown]
	v_fmac_f32_e32 v153, v141, v148
	s_waitcnt vmcnt(40)
	v_fma_f32 v141, v142, v159, -v136
	ds_read_b128 v[136:139], v1 offset:768
	v_mul_f32_e32 v150, v142, v155
	v_fma_f32 v140, v140, v148, -v154
	s_waitcnt vmcnt(39) lgkmcnt(2)
	v_mul_f32_e32 v142, v2, v160
	v_fmac_f32_e32 v150, v143, v159
	v_mul_f32_e32 v143, v3, v160
	s_waitcnt vmcnt(37) lgkmcnt(1)
	v_mul_f32_e32 v155, v7, v162
	v_mul_f32_e32 v148, v4, v161
	;; [unrolled: 1-line block ×4, first 2 shown]
	v_fmac_f32_e32 v142, v3, v158
	v_fma_f32 v143, v2, v158, -v143
	s_waitcnt vmcnt(36)
	v_mul_f32_e32 v158, v8, v163
	v_mul_f32_e32 v2, v9, v163
	v_fma_f32 v155, v6, v156, -v155
	v_fmac_f32_e32 v148, v5, v157
	v_fma_f32 v152, v4, v157, -v152
	s_clause 0x3
	buffer_load_dword v157, off, s[0:3], 0 offset:428
	buffer_load_dword v159, off, s[0:3], 0 offset:436
	;; [unrolled: 1-line block ×4, first 2 shown]
	s_waitcnt vmcnt(35) lgkmcnt(0)
	v_mul_f32_e32 v162, v136, v168
	v_mul_f32_e32 v6, v137, v168
	v_fmac_f32_e32 v154, v7, v156
	v_fmac_f32_e32 v158, v9, v167
	v_fma_f32 v156, v8, v167, -v2
	ds_read_b128 v[2:5], v1 offset:784
	s_waitcnt vmcnt(34)
	v_mul_f32_e32 v163, v138, v169
	v_mul_f32_e32 v7, v139, v169
	buffer_load_dword v167, off, s[0:3], 0 offset:460
	v_fmac_f32_e32 v162, v137, v166
	v_fma_f32 v166, v136, v166, -v6
	v_add_f32_e32 v6, 0, v12
	s_clause 0x6
	buffer_load_dword v12, off, s[0:3], 0 offset:468
	buffer_load_dword v168, off, s[0:3], 0 offset:476
	;; [unrolled: 1-line block ×7, first 2 shown]
	v_fmac_f32_e32 v163, v139, v165
	v_fma_f32 v165, v138, v165, -v7
	v_add_f32_e32 v7, 0, v197
	v_add_f32_e32 v6, v6, v145
	;; [unrolled: 1-line block ×4, first 2 shown]
	s_waitcnt vmcnt(41) lgkmcnt(0)
	v_mul_f32_e32 v8, v3, v170
	v_add_f32_e32 v7, v7, v199
	s_clause 0x8
	buffer_load_dword v197, off, s[0:3], 0 offset:448
	buffer_load_dword v198, off, s[0:3], 0 offset:440
	;; [unrolled: 1-line block ×9, first 2 shown]
	v_add_f32_e32 v6, v6, v10
	v_add_f32_e32 v7, v7, v146
	v_mul_f32_e32 v10, v2, v170
	v_add_f32_e32 v6, v6, v147
	v_add_f32_e32 v7, v7, v11
	v_fmac_f32_e32 v10, v3, v164
	v_fma_f32 v11, v2, v164, -v8
	v_add_f32_e32 v6, v6, v149
	v_add_f32_e32 v7, v7, v151
	s_waitcnt vmcnt(49)
	v_mul_f32_e32 v149, v4, v171
	v_add_f32_e32 v6, v6, v140
	v_add_f32_e32 v7, v7, v153
	s_waitcnt vmcnt(45)
	v_fmac_f32_e32 v149, v5, v175
	v_add_f32_e32 v2, v6, v141
	v_add_f32_e32 v3, v7, v150
	ds_read_b128 v[6:9], v1 offset:800
	v_add_f32_e32 v136, v2, v143
	v_mul_f32_e32 v2, v5, v171
	v_add_f32_e32 v137, v3, v142
	v_add_f32_e32 v140, v136, v152
	v_fma_f32 v150, v4, v175, -v2
	ds_read_b128 v[2:5], v1 offset:816
	v_add_f32_e32 v141, v137, v148
	ds_read_b128 v[136:139], v1 offset:832
	v_add_f32_e32 v140, v140, v155
	v_add_f32_e32 v141, v141, v154
	;; [unrolled: 1-line block ×3, first 2 shown]
	s_waitcnt vmcnt(44) lgkmcnt(2)
	v_mul_f32_e32 v142, v7, v176
	v_mul_f32_e32 v152, v6, v176
	s_waitcnt vmcnt(43)
	v_mul_f32_e32 v154, v8, v177
	v_fma_f32 v153, v6, v174, -v142
	v_add_f32_e32 v6, v141, v158
	v_fmac_f32_e32 v152, v7, v174
	v_add_f32_e32 v7, v144, v166
	ds_read_b128 v[140:143], v1 offset:848
	s_waitcnt vmcnt(42) lgkmcnt(2)
	v_mul_f32_e32 v145, v3, v178
	v_add_f32_e32 v6, v6, v162
	v_mul_f32_e32 v156, v2, v178
	v_add_f32_e32 v7, v7, v165
	v_mul_f32_e32 v144, v9, v177
	v_fmac_f32_e32 v154, v9, v173
	v_add_f32_e32 v6, v6, v163
	v_fma_f32 v163, v2, v172, -v145
	v_add_f32_e32 v2, v7, v11
	v_fmac_f32_e32 v156, v3, v172
	v_fma_f32 v155, v8, v173, -v144
	v_add_f32_e32 v3, v6, v10
	s_waitcnt vmcnt(40) lgkmcnt(1)
	v_mul_f32_e32 v10, v137, v180
	v_add_f32_e32 v11, v2, v150
	v_mul_f32_e32 v148, v5, v179
	v_mul_f32_e32 v158, v4, v179
	v_mul_f32_e32 v162, v136, v180
	s_waitcnt vmcnt(35)
	v_fma_f32 v165, v136, v185, -v10
	v_add_f32_e32 v10, v3, v149
	v_add_f32_e32 v11, v11, v153
	s_waitcnt vmcnt(34)
	v_fma_f32 v164, v4, v186, -v148
	ds_read_b128 v[6:9], v1 offset:864
	ds_read_b128 v[144:147], v1 offset:880
	v_fmac_f32_e32 v158, v5, v186
	v_add_f32_e32 v10, v10, v152
	v_add_f32_e32 v11, v11, v155
	v_mul_f32_e32 v136, v139, v181
	v_fmac_f32_e32 v162, v137, v185
	v_mul_f32_e32 v166, v138, v181
	v_add_f32_e32 v10, v10, v154
	v_add_f32_e32 v163, v11, v163
	s_waitcnt lgkmcnt(2)
	v_mul_f32_e32 v137, v141, v182
	v_fma_f32 v173, v138, v184, -v136
	v_mul_f32_e32 v170, v140, v182
	v_add_f32_e32 v156, v10, v156
	v_add_f32_e32 v163, v163, v164
	v_fmac_f32_e32 v166, v139, v184
	s_waitcnt vmcnt(33)
	v_mul_f32_e32 v172, v143, v187
	v_fma_f32 v174, v140, v183, -v137
	v_add_f32_e32 v156, v156, v158
	v_add_f32_e32 v163, v163, v165
	v_mul_f32_e32 v171, v142, v187
	v_fmac_f32_e32 v170, v141, v183
	s_waitcnt vmcnt(26)
	v_fma_f32 v172, v142, v194, -v172
	v_add_f32_e32 v156, v156, v162
	v_add_f32_e32 v163, v163, v173
	s_waitcnt lgkmcnt(1)
	v_mul_f32_e32 v175, v7, v188
	ds_read_b128 v[2:5], v1 offset:896
	ds_read_b128 v[148:151], v1 offset:912
	v_fmac_f32_e32 v171, v143, v194
	v_add_f32_e32 v156, v156, v166
	v_add_f32_e32 v163, v163, v174
	v_mul_f32_e32 v164, v6, v188
	v_mul_f32_e32 v176, v9, v189
	v_fma_f32 v6, v6, v193, -v175
	v_add_f32_e32 v156, v156, v170
	v_add_f32_e32 v163, v163, v172
	v_mul_f32_e32 v158, v8, v189
	v_fmac_f32_e32 v164, v7, v193
	s_waitcnt lgkmcnt(2)
	v_mul_f32_e32 v175, v145, v190
	v_add_f32_e32 v156, v156, v171
	v_fma_f32 v8, v8, v192, -v176
	v_add_f32_e32 v6, v163, v6
	v_mul_f32_e32 v165, v144, v190
	v_fmac_f32_e32 v158, v9, v192
	v_add_f32_e32 v156, v156, v164
	v_fma_f32 v144, v144, v191, -v175
	v_add_f32_e32 v6, v6, v8
	v_fmac_f32_e32 v165, v145, v191
	ds_read_b128 v[136:139], v1 offset:928
	ds_read_b128 v[152:155], v1 offset:944
	v_add_f32_e32 v8, v156, v158
	ds_read_b128 v[140:143], v1 offset:960
	ds_read_b64 v[10:11], v1 offset:976
	v_add_f32_e32 v6, v6, v144
	v_add_f32_e32 v8, v8, v165
	s_waitcnt vmcnt(24)
	v_mul_f32_e32 v171, v147, v196
	v_mul_f32_e32 v162, v146, v196
	s_waitcnt vmcnt(23) lgkmcnt(5)
	v_mul_f32_e32 v7, v2, v200
	v_mul_f32_e32 v145, v3, v200
	s_waitcnt vmcnt(22)
	v_mul_f32_e32 v144, v5, v201
	v_mul_f32_e32 v173, v4, v201
	s_waitcnt vmcnt(21) lgkmcnt(4)
	v_mul_f32_e32 v166, v148, v202
	s_waitcnt vmcnt(20)
	v_mul_f32_e32 v9, v150, v157
	s_waitcnt vmcnt(19) lgkmcnt(3)
	v_mul_f32_e32 v176, v136, v159
	s_waitcnt vmcnt(18)
	;; [unrolled: 4-line block ×3, first 2 shown]
	v_mul_f32_e32 v177, v154, v167
	s_waitcnt vmcnt(12)
	v_fmac_f32_e32 v166, v149, v203
	s_waitcnt vmcnt(11)
	v_fma_f32 v4, v4, v204, -v144
	s_waitcnt vmcnt(10)
	v_fmac_f32_e32 v7, v3, v205
	s_waitcnt vmcnt(9)
	v_fma_f32 v146, v146, v206, -v171
	v_fmac_f32_e32 v162, v147, v206
	v_fma_f32 v2, v2, v205, -v145
	v_fmac_f32_e32 v173, v5, v204
	v_mul_f32_e32 v5, v151, v157
	v_add_f32_e32 v3, v6, v146
	v_add_f32_e32 v6, v8, v162
	v_mul_f32_e32 v8, v149, v202
	s_waitcnt lgkmcnt(1)
	v_mul_f32_e32 v172, v140, v12
	v_mul_f32_e32 v178, v142, v168
	v_add_f32_e32 v2, v3, v2
	v_add_f32_e32 v3, v6, v7
	v_fma_f32 v6, v148, v203, -v8
	s_waitcnt vmcnt(6)
	v_fmac_f32_e32 v176, v137, v199
	s_waitcnt vmcnt(5)
	v_fma_f32 v5, v150, v207, -v5
	v_add_f32_e32 v2, v2, v4
	v_add_f32_e32 v3, v3, v173
	v_mul_f32_e32 v4, v137, v159
	v_fmac_f32_e32 v9, v151, v207
	v_fmac_f32_e32 v170, v139, v198
	v_add_f32_e32 v2, v2, v6
	v_add_f32_e32 v3, v3, v166
	v_mul_f32_e32 v6, v139, v160
	v_fma_f32 v4, v136, v199, -v4
	v_fmac_f32_e32 v174, v153, v197
	v_add_f32_e32 v2, v2, v5
	v_add_f32_e32 v3, v3, v9
	v_mul_f32_e32 v5, v153, v161
	v_fma_f32 v6, v138, v198, -v6
	s_waitcnt vmcnt(1)
	v_fmac_f32_e32 v177, v155, v211
	v_add_f32_e32 v2, v2, v4
	v_add_f32_e32 v3, v3, v176
	v_mul_f32_e32 v4, v155, v167
	v_fma_f32 v5, v152, v197, -v5
	v_fmac_f32_e32 v172, v141, v210
	v_add_f32_e32 v2, v2, v6
	v_add_f32_e32 v3, v3, v170
	v_mul_f32_e32 v6, v141, v12
	v_fma_f32 v4, v154, v211, -v4
	s_waitcnt lgkmcnt(0)
	v_mul_f32_e32 v163, v10, v169
	v_add_f32_e32 v2, v2, v5
	v_add_f32_e32 v3, v3, v174
	v_mul_f32_e32 v5, v143, v168
	v_fma_f32 v6, v140, v210, -v6
	v_fmac_f32_e32 v178, v143, v209
	v_add_f32_e32 v2, v2, v4
	v_add_f32_e32 v3, v3, v177
	v_mul_f32_e32 v4, v11, v169
	v_fma_f32 v5, v142, v209, -v5
	v_fmac_f32_e32 v163, v11, v208
	v_add_f32_e32 v2, v2, v6
	v_add_f32_e32 v3, v3, v172
	v_fma_f32 v4, v10, v208, -v4
	v_add_f32_e32 v2, v2, v5
	v_add_f32_e32 v3, v3, v178
	;; [unrolled: 1-line block ×4, first 2 shown]
	s_waitcnt vmcnt(0)
	v_sub_f32_e32 v2, v212, v2
	v_sub_f32_e32 v3, v195, v3
	buffer_store_dword v2, off, s[0:3], 0 offset:168
	buffer_store_dword v3, off, s[0:3], 0 offset:172
	v_cmpx_lt_u32_e32 20, v0
	s_cbranch_execz .LBB124_339
; %bb.338:
	s_clause 0x1
	buffer_load_dword v2, off, s[0:3], 0 offset:160
	buffer_load_dword v3, off, s[0:3], 0 offset:164
	buffer_store_dword v1, off, s[0:3], 0 offset:160
	buffer_store_dword v1, off, s[0:3], 0 offset:164
	s_waitcnt vmcnt(0)
	ds_write_b64 v135, v[2:3]
.LBB124_339:
	s_or_b32 exec_lo, exec_lo, s4
	s_waitcnt lgkmcnt(0)
	s_waitcnt_vscnt null, 0x0
	s_barrier
	buffer_gl0_inv
	s_clause 0x23
	buffer_load_dword v10, off, s[0:3], 0 offset:172
	buffer_load_dword v11, off, s[0:3], 0 offset:180
	;; [unrolled: 1-line block ×36, first 2 shown]
	ds_read2_b64 v[2:5], v1 offset0:83 offset1:84
	s_clause 0x1
	buffer_load_dword v185, off, s[0:3], 0 offset:308
	buffer_load_dword v186, off, s[0:3], 0 offset:316
	ds_read2_b64 v[6:9], v1 offset0:85 offset1:86
	ds_read2_b64 v[136:139], v1 offset0:87 offset1:88
	s_clause 0x7
	buffer_load_dword v187, off, s[0:3], 0 offset:324
	buffer_load_dword v188, off, s[0:3], 0 offset:332
	;; [unrolled: 1-line block ×8, first 2 shown]
	ds_read2_b64 v[140:143], v1 offset0:89 offset1:90
	ds_read2_b64 v[144:147], v1 offset0:91 offset1:92
	;; [unrolled: 1-line block ×3, first 2 shown]
	buffer_load_dword v197, off, s[0:3], 0 offset:164
	s_mov_b32 s4, exec_lo
	s_waitcnt vmcnt(46) lgkmcnt(5)
	v_mul_f32_e32 v195, v3, v10
	v_mul_f32_e32 v10, v2, v10
	s_waitcnt vmcnt(45)
	v_mul_f32_e32 v196, v4, v11
	v_mul_f32_e32 v11, v5, v11
	s_waitcnt vmcnt(42)
	v_fma_f32 v195, v2, v153, -v195
	v_fmac_f32_e32 v10, v3, v153
	v_fmac_f32_e32 v196, v5, v152
	v_fma_f32 v11, v4, v152, -v11
	s_waitcnt vmcnt(41) lgkmcnt(4)
	v_mul_f32_e32 v152, v6, v154
	v_mul_f32_e32 v153, v7, v154
	s_waitcnt vmcnt(40)
	v_mul_f32_e32 v154, v8, v155
	v_mul_f32_e32 v155, v9, v155
	s_waitcnt vmcnt(39) lgkmcnt(3)
	v_mul_f32_e32 v198, v136, v156
	v_mul_f32_e32 v156, v137, v156
	v_fmac_f32_e32 v152, v7, v12
	v_fma_f32 v12, v6, v12, -v153
	s_waitcnt vmcnt(38)
	v_mul_f32_e32 v153, v138, v157
	v_mul_f32_e32 v6, v139, v157
	ds_read2_b64 v[2:5], v1 offset0:95 offset1:96
	s_waitcnt vmcnt(34)
	v_fmac_f32_e32 v154, v9, v161
	v_fma_f32 v155, v8, v161, -v155
	v_fmac_f32_e32 v198, v137, v160
	v_fma_f32 v136, v136, v160, -v156
	;; [unrolled: 2-line block ×3, first 2 shown]
	s_clause 0x7
	buffer_load_dword v156, off, s[0:3], 0 offset:356
	buffer_load_dword v157, off, s[0:3], 0 offset:364
	;; [unrolled: 1-line block ×8, first 2 shown]
	s_waitcnt vmcnt(41) lgkmcnt(3)
	v_mul_f32_e32 v6, v141, v162
	s_waitcnt vmcnt(40)
	v_mul_f32_e32 v7, v143, v163
	v_mul_f32_e32 v138, v140, v162
	;; [unrolled: 1-line block ×3, first 2 shown]
	s_waitcnt vmcnt(39) lgkmcnt(2)
	v_mul_f32_e32 v162, v144, v164
	v_fma_f32 v140, v140, v158, -v6
	s_waitcnt vmcnt(34)
	v_fma_f32 v142, v142, v169, -v7
	ds_read2_b64 v[6:9], v1 offset0:97 offset1:98
	v_mul_f32_e32 v163, v145, v164
	v_fmac_f32_e32 v138, v141, v158
	v_mul_f32_e32 v141, v146, v165
	v_mul_f32_e32 v158, v147, v165
	v_fmac_f32_e32 v139, v143, v169
	v_fmac_f32_e32 v162, v145, v168
	v_fma_f32 v143, v144, v168, -v163
	v_fmac_f32_e32 v141, v147, v167
	v_fma_f32 v144, v146, v167, -v158
	s_waitcnt vmcnt(33) lgkmcnt(2)
	v_mul_f32_e32 v145, v148, v170
	v_mul_f32_e32 v146, v149, v170
	s_waitcnt vmcnt(32)
	v_mul_f32_e32 v147, v150, v171
	s_waitcnt vmcnt(31) lgkmcnt(1)
	v_mul_f32_e32 v168, v2, v172
	v_mul_f32_e32 v169, v3, v172
	;; [unrolled: 1-line block ×3, first 2 shown]
	v_fmac_f32_e32 v145, v149, v166
	v_fma_f32 v146, v148, v166, -v146
	s_waitcnt vmcnt(30)
	v_mul_f32_e32 v148, v4, v173
	v_mul_f32_e32 v149, v5, v173
	s_waitcnt vmcnt(26)
	v_fmac_f32_e32 v147, v151, v177
	v_fmac_f32_e32 v168, v3, v176
	v_fma_f32 v151, v2, v176, -v169
	s_waitcnt vmcnt(25) lgkmcnt(0)
	v_mul_f32_e32 v176, v6, v178
	v_mul_f32_e32 v2, v7, v178
	v_add_f32_e32 v3, 0, v195
	s_clause 0x3
	buffer_load_dword v158, off, s[0:3], 0 offset:388
	buffer_load_dword v163, off, s[0:3], 0 offset:396
	;; [unrolled: 1-line block ×4, first 2 shown]
	v_fma_f32 v150, v150, v177, -v167
	s_clause 0x3
	buffer_load_dword v166, off, s[0:3], 0 offset:420
	buffer_load_dword v167, off, s[0:3], 0 offset:428
	;; [unrolled: 1-line block ×4, first 2 shown]
	v_fmac_f32_e32 v148, v5, v175
	v_fma_f32 v149, v4, v175, -v149
	s_clause 0x3
	buffer_load_dword v169, off, s[0:3], 0 offset:452
	buffer_load_dword v172, off, s[0:3], 0 offset:460
	;; [unrolled: 1-line block ×4, first 2 shown]
	v_add_f32_e32 v4, 0, v10
	buffer_load_dword v10, off, s[0:3], 0 offset:484
	v_fmac_f32_e32 v176, v7, v174
	v_fma_f32 v174, v6, v174, -v2
	v_add_f32_e32 v2, v3, v11
	s_clause 0x3
	buffer_load_dword v11, off, s[0:3], 0 offset:408
	buffer_load_dword v177, off, s[0:3], 0 offset:400
	;; [unrolled: 1-line block ×4, first 2 shown]
	v_add_f32_e32 v6, v4, v196
	v_add_f32_e32 v7, v2, v12
	s_waitcnt vmcnt(41)
	v_mul_f32_e32 v2, v9, v179
	v_mul_f32_e32 v12, v8, v179
	v_add_f32_e32 v6, v6, v152
	v_add_f32_e32 v7, v7, v155
	s_waitcnt vmcnt(37)
	v_fma_f32 v179, v8, v183, -v2
	ds_read2_b64 v[2:5], v1 offset0:99 offset1:100
	v_fmac_f32_e32 v12, v9, v183
	s_clause 0x3
	buffer_load_dword v183, off, s[0:3], 0 offset:440
	buffer_load_dword v196, off, s[0:3], 0 offset:432
	;; [unrolled: 1-line block ×4, first 2 shown]
	v_add_f32_e32 v7, v7, v136
	v_add_f32_e32 v6, v6, v154
	;; [unrolled: 1-line block ×6, first 2 shown]
	ds_read2_b64 v[6:9], v1 offset0:101 offset1:102
	v_add_f32_e32 v137, v137, v138
	s_waitcnt vmcnt(40) lgkmcnt(1)
	v_mul_f32_e32 v152, v2, v184
	v_mul_f32_e32 v140, v3, v184
	s_waitcnt vmcnt(39)
	v_mul_f32_e32 v154, v4, v185
	v_fmac_f32_e32 v152, v3, v182
	v_fma_f32 v153, v2, v182, -v140
	s_clause 0x4
	buffer_load_dword v182, off, s[0:3], 0 offset:472
	buffer_load_dword v184, off, s[0:3], 0 offset:464
	;; [unrolled: 1-line block ×5, first 2 shown]
	v_add_f32_e32 v3, v137, v139
	v_add_f32_e32 v2, v136, v142
	v_mul_f32_e32 v136, v5, v185
	v_fmac_f32_e32 v154, v5, v181
	v_add_f32_e32 v3, v3, v162
	buffer_load_dword v162, off, s[0:3], 0 offset:160
	v_add_f32_e32 v2, v2, v143
	v_fma_f32 v155, v4, v181, -v136
	s_waitcnt vmcnt(44) lgkmcnt(0)
	v_mul_f32_e32 v181, v6, v186
	v_add_f32_e32 v137, v3, v141
	v_mul_f32_e32 v142, v7, v186
	v_add_f32_e32 v2, v2, v144
	s_waitcnt vmcnt(43)
	v_mul_f32_e32 v185, v8, v187
	v_mul_f32_e32 v143, v9, v187
	v_add_f32_e32 v141, v137, v145
	ds_read2_b64 v[136:139], v1 offset0:105 offset1:106
	v_add_f32_e32 v140, v2, v146
	ds_read2_b64 v[2:5], v1 offset0:103 offset1:104
	v_fmac_f32_e32 v181, v7, v180
	v_add_f32_e32 v141, v141, v147
	v_fma_f32 v180, v6, v180, -v142
	v_add_f32_e32 v140, v140, v150
	s_waitcnt vmcnt(36)
	v_fmac_f32_e32 v185, v9, v194
	v_fma_f32 v186, v8, v194, -v143
	v_add_f32_e32 v145, v141, v168
	v_add_f32_e32 v144, v140, v151
	ds_read2_b64 v[6:9], v1 offset0:107 offset1:108
	ds_read2_b64 v[140:143], v1 offset0:109 offset1:110
	v_add_f32_e32 v145, v145, v148
	v_add_f32_e32 v144, v144, v149
	;; [unrolled: 1-line block ×3, first 2 shown]
	s_waitcnt lgkmcnt(3)
	v_mul_f32_e32 v148, v137, v190
	v_add_f32_e32 v144, v144, v174
	v_mul_f32_e32 v174, v136, v190
	s_waitcnt lgkmcnt(2)
	v_mul_f32_e32 v146, v3, v188
	v_add_f32_e32 v12, v145, v12
	v_mul_f32_e32 v168, v2, v188
	v_add_f32_e32 v149, v144, v179
	v_mul_f32_e32 v147, v5, v189
	v_fma_f32 v188, v2, v193, -v146
	v_add_f32_e32 v12, v12, v152
	v_mul_f32_e32 v187, v4, v189
	v_add_f32_e32 v153, v149, v153
	v_fmac_f32_e32 v168, v3, v193
	v_fma_f32 v189, v4, v192, -v147
	v_add_f32_e32 v12, v12, v154
	v_fmac_f32_e32 v187, v5, v192
	v_add_f32_e32 v152, v153, v155
	v_fmac_f32_e32 v174, v137, v191
	ds_read2_b64 v[2:5], v1 offset0:111 offset1:112
	ds_read2_b64 v[144:147], v1 offset0:113 offset1:114
	v_add_f32_e32 v12, v12, v181
	v_add_f32_e32 v12, v12, v185
	;; [unrolled: 1-line block ×5, first 2 shown]
	s_waitcnt vmcnt(34)
	v_mul_f32_e32 v176, v138, v156
	s_waitcnt vmcnt(33) lgkmcnt(3)
	v_mul_f32_e32 v190, v6, v157
	v_mul_f32_e32 v153, v7, v157
	;; [unrolled: 1-line block ×3, first 2 shown]
	v_fma_f32 v156, v136, v191, -v148
	s_waitcnt vmcnt(32)
	v_mul_f32_e32 v191, v8, v159
	s_waitcnt vmcnt(28)
	v_fmac_f32_e32 v190, v7, v200
	v_add_f32_e32 v7, v152, v180
	s_waitcnt vmcnt(27)
	v_fma_f32 v179, v138, v201, -v150
	v_fmac_f32_e32 v176, v139, v201
	v_mul_f32_e32 v154, v9, v159
	v_fma_f32 v157, v6, v200, -v153
	v_add_f32_e32 v180, v7, v186
	ds_read2_b64 v[136:139], v1 offset0:115 offset1:116
	ds_read2_b64 v[148:151], v1 offset0:117 offset1:118
	v_add_f32_e32 v12, v12, v176
	v_fmac_f32_e32 v191, v9, v199
	v_fma_f32 v159, v8, v199, -v154
	v_add_f32_e32 v180, v180, v188
	ds_read2_b64 v[6:9], v1 offset0:119 offset1:120
	ds_read2_b64 v[152:155], v1 offset0:121 offset1:122
	s_waitcnt lgkmcnt(6)
	v_mul_f32_e32 v1, v140, v160
	v_mul_f32_e32 v160, v141, v160
	v_add_f32_e32 v12, v12, v190
	v_add_f32_e32 v180, v180, v189
	v_fmac_f32_e32 v1, v141, v161
	v_fma_f32 v140, v140, v161, -v160
	v_add_f32_e32 v12, v12, v191
	v_add_f32_e32 v156, v180, v156
	;; [unrolled: 1-line block ×5, first 2 shown]
	s_waitcnt vmcnt(26)
	v_mul_f32_e32 v168, v142, v158
	v_mul_f32_e32 v158, v143, v158
	s_waitcnt vmcnt(25) lgkmcnt(5)
	v_mul_f32_e32 v181, v2, v163
	s_waitcnt vmcnt(24)
	v_mul_f32_e32 v12, v5, v164
	v_add_f32_e32 v156, v156, v159
	v_mul_f32_e32 v159, v3, v163
	v_mul_f32_e32 v185, v4, v164
	s_waitcnt vmcnt(23) lgkmcnt(4)
	v_mul_f32_e32 v186, v144, v165
	s_waitcnt vmcnt(22)
	v_mul_f32_e32 v180, v146, v166
	v_add_f32_e32 v140, v156, v140
	s_waitcnt vmcnt(21) lgkmcnt(3)
	v_mul_f32_e32 v174, v136, v167
	s_waitcnt vmcnt(20)
	v_mul_f32_e32 v187, v138, v170
	s_waitcnt vmcnt(12)
	v_fma_f32 v4, v4, v177, -v12
	s_waitcnt vmcnt(11)
	v_fmac_f32_e32 v181, v3, v178
	s_waitcnt vmcnt(10)
	v_fma_f32 v142, v142, v195, -v158
	v_fmac_f32_e32 v168, v143, v195
	v_fma_f32 v2, v2, v178, -v159
	v_fmac_f32_e32 v185, v5, v177
	v_fmac_f32_e32 v186, v145, v11
	v_add_f32_e32 v3, v140, v142
	v_add_f32_e32 v1, v1, v168
	v_mul_f32_e32 v140, v145, v165
	s_waitcnt lgkmcnt(2)
	v_mul_f32_e32 v179, v148, v171
	v_mul_f32_e32 v176, v150, v169
	v_add_f32_e32 v2, v3, v2
	v_add_f32_e32 v1, v1, v181
	v_mul_f32_e32 v3, v147, v166
	v_fma_f32 v5, v144, v11, -v140
	s_waitcnt vmcnt(6)
	v_fmac_f32_e32 v180, v147, v203
	v_add_f32_e32 v2, v2, v4
	v_add_f32_e32 v1, v1, v185
	v_mul_f32_e32 v4, v137, v167
	v_fma_f32 v3, v146, v203, -v3
	v_fmac_f32_e32 v174, v137, v202
	v_add_f32_e32 v2, v2, v5
	v_add_f32_e32 v1, v1, v186
	v_mul_f32_e32 v5, v139, v170
	v_fma_f32 v4, v136, v202, -v4
	;; [unrolled: 5-line block ×4, first 2 shown]
	s_waitcnt lgkmcnt(1)
	v_mul_f32_e32 v188, v6, v172
	v_add_f32_e32 v2, v2, v5
	v_add_f32_e32 v1, v1, v187
	v_mul_f32_e32 v5, v7, v172
	s_waitcnt vmcnt(2)
	v_fma_f32 v4, v150, v204, -v4
	v_fmac_f32_e32 v176, v151, v204
	v_add_f32_e32 v2, v2, v3
	v_add_f32_e32 v1, v1, v179
	v_mul_f32_e32 v3, v9, v173
	v_fma_f32 v5, v6, v198, -v5
	v_mul_f32_e32 v157, v8, v173
	v_add_f32_e32 v2, v2, v4
	v_fmac_f32_e32 v188, v7, v198
	v_add_f32_e32 v1, v1, v176
	s_waitcnt lgkmcnt(0)
	v_mul_f32_e32 v4, v153, v175
	v_fma_f32 v3, v8, v184, -v3
	v_add_f32_e32 v2, v2, v5
	v_mul_f32_e32 v189, v152, v175
	v_fmac_f32_e32 v157, v9, v184
	v_add_f32_e32 v1, v1, v188
	v_mul_f32_e32 v5, v155, v10
	v_fma_f32 v4, v152, v182, -v4
	v_add_f32_e32 v2, v2, v3
	v_mul_f32_e32 v141, v154, v10
	v_fmac_f32_e32 v189, v153, v182
	v_add_f32_e32 v1, v1, v157
	s_waitcnt vmcnt(1)
	v_fma_f32 v3, v154, v205, -v5
	v_add_f32_e32 v2, v2, v4
	v_fmac_f32_e32 v141, v155, v205
	v_add_f32_e32 v1, v1, v189
	v_add_f32_e32 v2, v2, v3
	;; [unrolled: 1-line block ×3, first 2 shown]
	s_waitcnt vmcnt(0)
	v_sub_f32_e32 v2, v162, v2
	v_sub_f32_e32 v1, v197, v1
	buffer_store_dword v2, off, s[0:3], 0 offset:160
	buffer_store_dword v1, off, s[0:3], 0 offset:164
	v_cmpx_lt_u32_e32 19, v0
	s_cbranch_execz .LBB124_341
; %bb.340:
	s_clause 0x1
	buffer_load_dword v1, off, s[0:3], 0 offset:152
	buffer_load_dword v2, off, s[0:3], 0 offset:156
	v_mov_b32_e32 v3, 0
	buffer_store_dword v3, off, s[0:3], 0 offset:152
	buffer_store_dword v3, off, s[0:3], 0 offset:156
	s_waitcnt vmcnt(0)
	ds_write_b64 v135, v[1:2]
.LBB124_341:
	s_or_b32 exec_lo, exec_lo, s4
	s_waitcnt lgkmcnt(0)
	s_waitcnt_vscnt null, 0x0
	s_barrier
	buffer_gl0_inv
	s_clause 0x23
	buffer_load_dword v2, off, s[0:3], 0 offset:164
	buffer_load_dword v1, off, s[0:3], 0 offset:172
	;; [unrolled: 1-line block ×36, first 2 shown]
	v_mov_b32_e32 v136, 0
	s_mov_b32 s4, exec_lo
	ds_read_b128 v[3:6], v136 offset:656
	s_clause 0x1
	buffer_load_dword v185, off, s[0:3], 0 offset:300
	buffer_load_dword v186, off, s[0:3], 0 offset:308
	ds_read_b128 v[7:10], v136 offset:672
	s_clause 0x8
	buffer_load_dword v187, off, s[0:3], 0 offset:316
	buffer_load_dword v188, off, s[0:3], 0 offset:324
	;; [unrolled: 1-line block ×9, first 2 shown]
	ds_read_b128 v[137:140], v136 offset:688
	ds_read_b128 v[141:144], v136 offset:704
	buffer_load_dword v196, off, s[0:3], 0 offset:156
	ds_read_b128 v[145:148], v136 offset:720
	ds_read_b128 v[149:152], v136 offset:736
	s_waitcnt vmcnt(47) lgkmcnt(5)
	v_mul_f32_e32 v197, v4, v2
	v_mul_f32_e32 v198, v3, v2
	s_waitcnt vmcnt(46)
	v_mul_f32_e32 v199, v5, v1
	v_mul_f32_e32 v1, v6, v1
	s_waitcnt vmcnt(43)
	v_fma_f32 v197, v3, v153, -v197
	v_fmac_f32_e32 v198, v4, v153
	s_waitcnt vmcnt(42) lgkmcnt(4)
	v_mul_f32_e32 v153, v7, v154
	v_mul_f32_e32 v154, v8, v154
	v_fmac_f32_e32 v199, v6, v12
	v_fma_f32 v12, v5, v12, -v1
	s_waitcnt vmcnt(41)
	v_mul_f32_e32 v200, v9, v155
	v_mul_f32_e32 v5, v10, v155
	v_fmac_f32_e32 v153, v8, v11
	v_fma_f32 v11, v7, v11, -v154
	s_waitcnt vmcnt(40) lgkmcnt(3)
	v_mul_f32_e32 v154, v137, v156
	v_mul_f32_e32 v6, v138, v156
	s_waitcnt vmcnt(36)
	v_fmac_f32_e32 v200, v10, v160
	v_fma_f32 v9, v9, v160, -v5
	s_waitcnt vmcnt(35)
	v_mul_f32_e32 v10, v139, v161
	v_mul_f32_e32 v5, v140, v161
	ds_read_b128 v[1:4], v136 offset:752
	s_waitcnt vmcnt(34) lgkmcnt(3)
	v_mul_f32_e32 v155, v141, v162
	v_mul_f32_e32 v7, v142, v162
	s_waitcnt vmcnt(33)
	v_mul_f32_e32 v156, v143, v163
	v_mul_f32_e32 v8, v144, v163
	v_fmac_f32_e32 v154, v138, v159
	v_fma_f32 v137, v137, v159, -v6
	v_fmac_f32_e32 v10, v140, v158
	v_fma_f32 v138, v139, v158, -v5
	s_clause 0x6
	buffer_load_dword v158, off, s[0:3], 0 offset:356
	buffer_load_dword v159, off, s[0:3], 0 offset:364
	;; [unrolled: 1-line block ×7, first 2 shown]
	v_fma_f32 v139, v141, v157, -v7
	s_waitcnt vmcnt(36)
	v_fma_f32 v140, v143, v167, -v8
	ds_read_b128 v[5:8], v136 offset:768
	v_fmac_f32_e32 v155, v142, v157
	v_fmac_f32_e32 v156, v144, v167
	s_waitcnt vmcnt(35) lgkmcnt(3)
	v_mul_f32_e32 v142, v146, v168
	s_waitcnt vmcnt(34)
	v_mul_f32_e32 v143, v147, v169
	v_mul_f32_e32 v144, v148, v169
	;; [unrolled: 1-line block ×3, first 2 shown]
	s_waitcnt vmcnt(33) lgkmcnt(2)
	v_mul_f32_e32 v157, v149, v170
	v_mul_f32_e32 v167, v150, v170
	v_fma_f32 v142, v145, v166, -v142
	s_waitcnt vmcnt(32)
	v_mul_f32_e32 v145, v151, v171
	v_fmac_f32_e32 v143, v148, v165
	v_fma_f32 v144, v147, v165, -v144
	s_waitcnt vmcnt(31) lgkmcnt(1)
	v_mul_f32_e32 v147, v1, v172
	v_mul_f32_e32 v148, v2, v172
	v_fmac_f32_e32 v141, v146, v166
	v_mul_f32_e32 v146, v152, v171
	v_fmac_f32_e32 v157, v150, v164
	v_fma_f32 v149, v149, v164, -v167
	s_waitcnt vmcnt(27)
	v_fmac_f32_e32 v145, v152, v176
	s_clause 0x7
	buffer_load_dword v164, off, s[0:3], 0 offset:380
	buffer_load_dword v165, off, s[0:3], 0 offset:388
	;; [unrolled: 1-line block ×8, first 2 shown]
	v_fmac_f32_e32 v147, v2, v175
	v_fma_f32 v148, v1, v175, -v148
	s_waitcnt vmcnt(33) lgkmcnt(0)
	v_mul_f32_e32 v152, v5, v178
	v_mul_f32_e32 v1, v6, v178
	v_add_f32_e32 v2, 0, v197
	v_fma_f32 v146, v151, v176, -v146
	v_mul_f32_e32 v150, v3, v177
	v_fmac_f32_e32 v152, v6, v173
	v_fma_f32 v173, v5, v173, -v1
	v_add_f32_e32 v1, 0, v198
	v_add_f32_e32 v2, v2, v12
	v_mul_f32_e32 v151, v4, v177
	s_clause 0x1
	buffer_load_dword v172, off, s[0:3], 0 offset:412
	buffer_load_dword v175, off, s[0:3], 0 offset:420
	v_fmac_f32_e32 v150, v4, v174
	v_add_f32_e32 v1, v1, v199
	v_add_f32_e32 v5, v2, v11
	s_waitcnt vmcnt(34)
	v_mul_f32_e32 v2, v8, v179
	v_fma_f32 v151, v3, v174, -v151
	s_clause 0x5
	buffer_load_dword v174, off, s[0:3], 0 offset:428
	buffer_load_dword v176, off, s[0:3], 0 offset:436
	buffer_load_dword v177, off, s[0:3], 0 offset:444
	buffer_load_dword v178, off, s[0:3], 0 offset:452
	buffer_load_dword v197, off, s[0:3], 0 offset:460
	buffer_load_dword v198, off, s[0:3], 0 offset:468
	v_mul_f32_e32 v202, v7, v179
	v_add_f32_e32 v6, v1, v153
	s_waitcnt vmcnt(36)
	v_fma_f32 v153, v7, v183, -v2
	ds_read_b128 v[1:4], v136 offset:784
	s_clause 0x1
	buffer_load_dword v199, off, s[0:3], 0 offset:476
	buffer_load_dword v179, off, s[0:3], 0 offset:484
	v_fmac_f32_e32 v202, v8, v183
	v_add_f32_e32 v6, v6, v200
	s_clause 0x3
	buffer_load_dword v183, off, s[0:3], 0 offset:432
	buffer_load_dword v200, off, s[0:3], 0 offset:424
	;; [unrolled: 1-line block ×4, first 2 shown]
	v_add_f32_e32 v5, v5, v9
	v_add_f32_e32 v6, v6, v154
	;; [unrolled: 1-line block ×6, first 2 shown]
	s_waitcnt vmcnt(41) lgkmcnt(0)
	v_mul_f32_e32 v154, v1, v184
	v_mul_f32_e32 v11, v2, v184
	v_add_f32_e32 v10, v5, v139
	ds_read_b128 v[5:8], v136 offset:800
	v_fmac_f32_e32 v154, v2, v182
	v_fma_f32 v155, v1, v182, -v11
	v_add_f32_e32 v1, v9, v156
	s_clause 0x6
	buffer_load_dword v156, off, s[0:3], 0 offset:464
	buffer_load_dword v182, off, s[0:3], 0 offset:456
	;; [unrolled: 1-line block ×7, first 2 shown]
	v_add_f32_e32 v10, v10, v140
	v_add_f32_e32 v1, v1, v141
	s_waitcnt vmcnt(47)
	v_mul_f32_e32 v9, v4, v185
	v_add_f32_e32 v2, v10, v142
	v_add_f32_e32 v1, v1, v143
	;; [unrolled: 1-line block ×4, first 2 shown]
	v_fma_f32 v157, v3, v181, -v9
	s_waitcnt vmcnt(46) lgkmcnt(0)
	v_mul_f32_e32 v139, v6, v186
	s_waitcnt vmcnt(45)
	v_mul_f32_e32 v140, v8, v187
	v_add_f32_e32 v2, v2, v149
	v_add_f32_e32 v138, v10, v145
	v_mul_f32_e32 v149, v3, v185
	v_mul_f32_e32 v185, v7, v187
	ds_read_b128 v[9:12], v136 offset:832
	v_add_f32_e32 v137, v2, v146
	v_add_f32_e32 v138, v138, v147
	v_fmac_f32_e32 v149, v4, v181
	v_mul_f32_e32 v181, v5, v186
	ds_read_b128 v[1:4], v136 offset:816
	v_add_f32_e32 v137, v137, v148
	v_add_f32_e32 v142, v138, v150
	s_waitcnt vmcnt(38)
	v_fmac_f32_e32 v185, v8, v194
	v_fmac_f32_e32 v181, v6, v180
	v_fma_f32 v180, v5, v180, -v139
	v_add_f32_e32 v141, v137, v151
	v_fma_f32 v151, v7, v194, -v140
	ds_read_b128 v[5:8], v136 offset:848
	ds_read_b128 v[137:140], v136 offset:864
	v_add_f32_e32 v142, v142, v152
	v_add_f32_e32 v141, v141, v173
	;; [unrolled: 1-line block ×3, first 2 shown]
	s_waitcnt lgkmcnt(3)
	v_mul_f32_e32 v145, v10, v190
	v_add_f32_e32 v141, v141, v153
	v_mul_f32_e32 v186, v9, v190
	s_waitcnt vmcnt(37)
	v_mul_f32_e32 v148, v12, v195
	v_add_f32_e32 v147, v142, v154
	s_waitcnt lgkmcnt(2)
	v_mul_f32_e32 v143, v2, v188
	v_add_f32_e32 v146, v141, v155
	v_mul_f32_e32 v150, v1, v188
	v_mul_f32_e32 v144, v4, v189
	v_add_f32_e32 v149, v147, v149
	v_fma_f32 v152, v1, v193, -v143
	v_add_f32_e32 v153, v146, v157
	v_mul_f32_e32 v173, v3, v189
	v_fmac_f32_e32 v150, v2, v193
	v_add_f32_e32 v149, v149, v181
	v_fma_f32 v188, v3, v192, -v144
	v_add_f32_e32 v153, v153, v180
	v_fmac_f32_e32 v173, v4, v192
	v_fma_f32 v155, v9, v191, -v145
	v_add_f32_e32 v149, v149, v185
	v_mul_f32_e32 v187, v11, v195
	v_fmac_f32_e32 v186, v10, v191
	ds_read_b128 v[1:4], v136 offset:880
	ds_read_b128 v[141:144], v136 offset:896
	s_waitcnt vmcnt(35) lgkmcnt(3)
	v_mul_f32_e32 v180, v5, v158
	s_waitcnt vmcnt(34)
	v_mul_f32_e32 v181, v7, v159
	v_mul_f32_e32 v154, v6, v158
	;; [unrolled: 1-line block ×3, first 2 shown]
	s_waitcnt vmcnt(33) lgkmcnt(2)
	v_mul_f32_e32 v185, v137, v160
	s_waitcnt vmcnt(30)
	v_fmac_f32_e32 v180, v6, v163
	v_add_f32_e32 v6, v153, v151
	v_fmac_f32_e32 v181, v8, v162
	v_fma_f32 v158, v7, v162, -v158
	v_fma_f32 v159, v5, v163, -v154
	v_add_f32_e32 v163, v149, v150
	v_add_f32_e32 v162, v6, v152
	s_waitcnt vmcnt(29)
	v_fma_f32 v157, v11, v201, -v148
	v_fmac_f32_e32 v187, v12, v201
	v_mul_f32_e32 v160, v138, v160
	v_add_f32_e32 v163, v163, v173
	v_add_f32_e32 v162, v162, v188
	v_fmac_f32_e32 v185, v138, v161
	ds_read_b128 v[9:12], v136 offset:912
	ds_read_b128 v[145:148], v136 offset:928
	v_fma_f32 v137, v137, v161, -v160
	v_add_f32_e32 v163, v163, v186
	v_add_f32_e32 v155, v162, v155
	s_waitcnt vmcnt(28)
	v_mul_f32_e32 v173, v139, v164
	v_mul_f32_e32 v164, v140, v164
	s_waitcnt vmcnt(27) lgkmcnt(3)
	v_mul_f32_e32 v162, v1, v165
	v_add_f32_e32 v160, v163, v187
	v_add_f32_e32 v155, v155, v157
	v_mul_f32_e32 v163, v2, v165
	s_waitcnt vmcnt(26)
	v_mul_f32_e32 v186, v3, v166
	s_waitcnt vmcnt(21)
	v_fma_f32 v139, v139, v171, -v164
	v_fmac_f32_e32 v173, v140, v171
	v_add_f32_e32 v155, v155, v159
	v_add_f32_e32 v159, v160, v180
	v_fmac_f32_e32 v162, v2, v170
	v_fma_f32 v1, v1, v170, -v163
	s_waitcnt lgkmcnt(2)
	v_mul_f32_e32 v138, v141, v167
	v_add_f32_e32 v155, v155, v158
	v_add_f32_e32 v158, v159, v181
	v_mul_f32_e32 v159, v4, v166
	v_fmac_f32_e32 v186, v4, v169
	v_fmac_f32_e32 v138, v142, v168
	v_add_f32_e32 v137, v155, v137
	v_add_f32_e32 v155, v158, v185
	v_fma_f32 v3, v3, v169, -v159
	s_waitcnt vmcnt(20)
	v_mul_f32_e32 v4, v144, v172
	v_mul_f32_e32 v157, v143, v172
	v_add_f32_e32 v2, v137, v139
	v_add_f32_e32 v137, v155, v173
	v_mul_f32_e32 v139, v142, v167
	s_waitcnt vmcnt(19) lgkmcnt(1)
	v_mul_f32_e32 v161, v9, v175
	ds_read_b128 v[5:8], v136 offset:944
	ds_read_b128 v[149:152], v136 offset:960
	ds_read_b64 v[153:154], v136 offset:976
	v_add_f32_e32 v1, v2, v1
	v_add_f32_e32 v2, v137, v162
	v_fma_f32 v137, v141, v168, -v139
	s_waitcnt vmcnt(18)
	v_mul_f32_e32 v140, v11, v174
	s_waitcnt vmcnt(17) lgkmcnt(3)
	v_mul_f32_e32 v164, v145, v176
	v_add_f32_e32 v1, v1, v3
	v_add_f32_e32 v2, v2, v186
	v_mul_f32_e32 v3, v10, v175
	s_waitcnt vmcnt(7)
	v_fma_f32 v4, v143, v204, -v4
	v_fmac_f32_e32 v157, v144, v204
	v_add_f32_e32 v1, v1, v137
	v_add_f32_e32 v2, v2, v138
	v_mul_f32_e32 v137, v12, v174
	v_fma_f32 v3, v9, v203, -v3
	v_fmac_f32_e32 v161, v10, v203
	v_add_f32_e32 v1, v1, v4
	v_add_f32_e32 v2, v2, v157
	v_mul_f32_e32 v4, v146, v176
	;; [unrolled: 5-line block ×3, first 2 shown]
	v_fma_f32 v4, v145, v183, -v4
	v_mul_f32_e32 v160, v147, v177
	v_add_f32_e32 v1, v1, v9
	v_fmac_f32_e32 v164, v146, v183
	v_add_f32_e32 v2, v2, v140
	s_waitcnt lgkmcnt(2)
	v_mul_f32_e32 v9, v6, v178
	v_mul_f32_e32 v165, v5, v178
	s_waitcnt vmcnt(3)
	v_fma_f32 v3, v147, v205, -v3
	v_add_f32_e32 v1, v1, v4
	v_fmac_f32_e32 v160, v148, v205
	v_add_f32_e32 v2, v2, v164
	v_mul_f32_e32 v4, v8, v197
	v_fma_f32 v5, v5, v184, -v9
	v_add_f32_e32 v1, v1, v3
	v_mul_f32_e32 v171, v7, v197
	v_fmac_f32_e32 v165, v6, v184
	v_add_f32_e32 v2, v2, v160
	s_waitcnt lgkmcnt(1)
	v_mul_f32_e32 v3, v150, v198
	v_fma_f32 v4, v7, v182, -v4
	v_add_f32_e32 v1, v1, v5
	v_mul_f32_e32 v166, v149, v198
	v_fmac_f32_e32 v171, v8, v182
	v_add_f32_e32 v2, v2, v165
	v_mul_f32_e32 v5, v152, v199
	v_fma_f32 v3, v149, v156, -v3
	v_add_f32_e32 v1, v1, v4
	v_mul_f32_e32 v180, v151, v199
	v_fmac_f32_e32 v166, v150, v156
	v_add_f32_e32 v2, v2, v171
	s_waitcnt lgkmcnt(0)
	v_mul_f32_e32 v4, v154, v179
	s_waitcnt vmcnt(1)
	v_fma_f32 v5, v151, v207, -v5
	v_add_f32_e32 v1, v1, v3
	v_mul_f32_e32 v158, v153, v179
	v_fmac_f32_e32 v180, v152, v207
	v_add_f32_e32 v2, v2, v166
	v_fma_f32 v3, v153, v206, -v4
	v_add_f32_e32 v1, v1, v5
	v_fmac_f32_e32 v158, v154, v206
	v_add_f32_e32 v2, v2, v180
	v_add_f32_e32 v1, v1, v3
	;; [unrolled: 1-line block ×3, first 2 shown]
	s_waitcnt vmcnt(0)
	v_sub_f32_e32 v1, v208, v1
	v_sub_f32_e32 v2, v196, v2
	buffer_store_dword v1, off, s[0:3], 0 offset:152
	buffer_store_dword v2, off, s[0:3], 0 offset:156
	v_cmpx_lt_u32_e32 18, v0
	s_cbranch_execz .LBB124_343
; %bb.342:
	s_clause 0x1
	buffer_load_dword v1, off, s[0:3], 0 offset:144
	buffer_load_dword v2, off, s[0:3], 0 offset:148
	buffer_store_dword v136, off, s[0:3], 0 offset:144
	buffer_store_dword v136, off, s[0:3], 0 offset:148
	s_waitcnt vmcnt(0)
	ds_write_b64 v135, v[1:2]
.LBB124_343:
	s_or_b32 exec_lo, exec_lo, s4
	s_waitcnt lgkmcnt(0)
	s_waitcnt_vscnt null, 0x0
	s_barrier
	buffer_gl0_inv
	s_clause 0x24
	buffer_load_dword v137, off, s[0:3], 0 offset:156
	buffer_load_dword v138, off, s[0:3], 0 offset:164
	;; [unrolled: 1-line block ×37, first 2 shown]
	ds_read2_b64 v[9:12], v136 offset0:81 offset1:82
	ds_read2_b64 v[5:8], v136 offset0:83 offset1:84
	s_clause 0x8
	buffer_load_dword v182, off, s[0:3], 0 offset:300
	buffer_load_dword v177, off, s[0:3], 0 offset:308
	buffer_load_dword v173, off, s[0:3], 0 offset:316
	buffer_load_dword v172, off, s[0:3], 0 offset:324
	buffer_load_dword v171, off, s[0:3], 0 offset:332
	buffer_load_dword v161, off, s[0:3], 0 offset:328
	buffer_load_dword v163, off, s[0:3], 0 offset:320
	buffer_load_dword v174, off, s[0:3], 0 offset:312
	buffer_load_dword v179, off, s[0:3], 0 offset:304
	ds_read2_b64 v[1:4], v136 offset0:85 offset1:86
	ds_read2_b64 v[183:186], v136 offset0:87 offset1:88
	;; [unrolled: 1-line block ×4, first 2 shown]
	buffer_load_dword v195, off, s[0:3], 0 offset:148
	s_mov_b32 s4, exec_lo
	s_waitcnt vmcnt(46) lgkmcnt(5)
	v_mul_f32_e32 v196, v9, v137
	s_waitcnt vmcnt(45)
	v_mul_f32_e32 v197, v11, v138
	v_mul_f32_e32 v137, v10, v137
	;; [unrolled: 1-line block ×3, first 2 shown]
	s_waitcnt vmcnt(44) lgkmcnt(4)
	v_mul_f32_e32 v198, v5, v140
	v_mul_f32_e32 v140, v6, v140
	s_waitcnt vmcnt(41)
	v_fmac_f32_e32 v196, v10, v143
	v_fma_f32 v137, v9, v143, -v137
	s_waitcnt vmcnt(40)
	v_mul_f32_e32 v143, v7, v142
	v_mul_f32_e32 v9, v8, v142
	v_fmac_f32_e32 v197, v12, v141
	v_fma_f32 v138, v11, v141, -v138
	s_waitcnt vmcnt(35) lgkmcnt(3)
	v_mul_f32_e32 v141, v1, v150
	v_mul_f32_e32 v150, v2, v150
	v_fmac_f32_e32 v198, v6, v139
	v_fma_f32 v139, v5, v139, -v140
	v_fmac_f32_e32 v143, v8, v153
	v_fma_f32 v140, v7, v153, -v9
	s_waitcnt vmcnt(34)
	v_mul_f32_e32 v142, v3, v151
	v_mul_f32_e32 v151, v4, v151
	s_waitcnt vmcnt(33) lgkmcnt(2)
	v_mul_f32_e32 v153, v183, v149
	v_mul_f32_e32 v149, v184, v149
	v_fmac_f32_e32 v141, v2, v147
	v_fma_f32 v147, v1, v147, -v150
	s_waitcnt vmcnt(32)
	v_mul_f32_e32 v150, v185, v148
	v_mul_f32_e32 v1, v186, v148
	ds_read2_b64 v[5:8], v136 offset0:93 offset1:94
	ds_read2_b64 v[9:12], v136 offset0:95 offset1:96
	v_fmac_f32_e32 v142, v4, v145
	v_fma_f32 v145, v3, v145, -v151
	s_waitcnt vmcnt(31) lgkmcnt(3)
	v_mul_f32_e32 v151, v187, v146
	s_waitcnt vmcnt(30)
	v_mul_f32_e32 v148, v189, v152
	v_mul_f32_e32 v2, v188, v146
	v_mul_f32_e32 v3, v190, v152
	v_fmac_f32_e32 v153, v184, v144
	v_fma_f32 v144, v183, v144, -v149
	s_waitcnt vmcnt(26)
	v_fmac_f32_e32 v150, v186, v164
	v_fma_f32 v146, v185, v164, -v1
	s_clause 0x7
	buffer_load_dword v149, off, s[0:3], 0 offset:340
	buffer_load_dword v152, off, s[0:3], 0 offset:344
	;; [unrolled: 1-line block ×8, first 2 shown]
	v_fmac_f32_e32 v151, v188, v159
	v_fmac_f32_e32 v148, v190, v157
	v_fma_f32 v159, v187, v159, -v2
	v_fma_f32 v157, v189, v157, -v3
	ds_read2_b64 v[1:4], v136 offset0:97 offset1:98
	s_waitcnt vmcnt(33) lgkmcnt(3)
	v_mul_f32_e32 v187, v191, v158
	v_mul_f32_e32 v158, v192, v158
	s_waitcnt vmcnt(32)
	v_mul_f32_e32 v189, v193, v156
	v_mul_f32_e32 v156, v194, v156
	buffer_load_dword v188, off, s[0:3], 0 offset:372
	v_fmac_f32_e32 v187, v192, v154
	v_fma_f32 v154, v191, v154, -v158
	s_waitcnt vmcnt(32) lgkmcnt(2)
	v_mul_f32_e32 v158, v5, v155
	s_waitcnt vmcnt(28)
	v_fmac_f32_e32 v189, v194, v170
	v_fma_f32 v156, v193, v170, -v156
	s_waitcnt vmcnt(27)
	v_mul_f32_e32 v170, v7, v169
	v_mul_f32_e32 v155, v6, v155
	;; [unrolled: 1-line block ×3, first 2 shown]
	s_waitcnt vmcnt(26) lgkmcnt(1)
	v_mul_f32_e32 v190, v9, v168
	v_mul_f32_e32 v168, v10, v168
	v_fmac_f32_e32 v158, v6, v167
	v_fmac_f32_e32 v170, v8, v166
	v_fma_f32 v155, v5, v167, -v155
	v_fma_f32 v166, v7, v166, -v169
	s_clause 0x4
	buffer_load_dword v167, off, s[0:3], 0 offset:380
	buffer_load_dword v169, off, s[0:3], 0 offset:392
	buffer_load_dword v191, off, s[0:3], 0 offset:384
	buffer_load_dword v192, off, s[0:3], 0 offset:376
	buffer_load_dword v193, off, s[0:3], 0 offset:368
	s_waitcnt vmcnt(30)
	v_mul_f32_e32 v194, v11, v165
	v_mul_f32_e32 v165, v12, v165
	v_fmac_f32_e32 v190, v10, v162
	v_fma_f32 v162, v9, v162, -v168
	s_waitcnt vmcnt(25) lgkmcnt(0)
	v_mul_f32_e32 v168, v1, v180
	v_mul_f32_e32 v9, v2, v180
	ds_read2_b64 v[5:8], v136 offset0:99 offset1:100
	v_fmac_f32_e32 v194, v12, v181
	v_fma_f32 v165, v11, v181, -v165
	s_clause 0x1
	buffer_load_dword v180, off, s[0:3], 0 offset:388
	buffer_load_dword v181, off, s[0:3], 0 offset:396
	v_fmac_f32_e32 v168, v2, v176
	v_fma_f32 v176, v1, v176, -v9
	v_add_f32_e32 v1, 0, v196
	s_waitcnt vmcnt(26)
	v_mul_f32_e32 v200, v3, v178
	v_mul_f32_e32 v10, v4, v178
	s_clause 0x2
	buffer_load_dword v178, off, s[0:3], 0 offset:404
	buffer_load_dword v201, off, s[0:3], 0 offset:412
	;; [unrolled: 1-line block ×3, first 2 shown]
	v_add_f32_e32 v1, v1, v197
	s_clause 0x6
	buffer_load_dword v196, off, s[0:3], 0 offset:428
	buffer_load_dword v203, off, s[0:3], 0 offset:436
	;; [unrolled: 1-line block ×7, first 2 shown]
	v_add_f32_e32 v1, v1, v198
	s_clause 0x4
	buffer_load_dword v198, off, s[0:3], 0 offset:476
	buffer_load_dword v208, off, s[0:3], 0 offset:424
	buffer_load_dword v209, off, s[0:3], 0 offset:416
	buffer_load_dword v210, off, s[0:3], 0 offset:408
	buffer_load_dword v211, off, s[0:3], 0 offset:400
	v_add_f32_e32 v2, 0, v137
	v_fmac_f32_e32 v200, v4, v175
	v_add_f32_e32 v1, v1, v143
	v_fma_f32 v175, v3, v175, -v10
	s_waitcnt vmcnt(40) lgkmcnt(0)
	v_mul_f32_e32 v3, v6, v182
	v_add_f32_e32 v2, v2, v138
	v_add_f32_e32 v1, v1, v141
	;; [unrolled: 1-line block ×6, first 2 shown]
	s_clause 0x6
	buffer_load_dword v153, off, s[0:3], 0 offset:456
	buffer_load_dword v212, off, s[0:3], 0 offset:448
	;; [unrolled: 1-line block ×7, first 2 shown]
	v_add_f32_e32 v2, v2, v147
	v_add_f32_e32 v1, v1, v150
	s_waitcnt vmcnt(46)
	v_mul_f32_e32 v150, v7, v177
	v_add_f32_e32 v2, v2, v145
	v_mul_f32_e32 v145, v5, v182
	v_add_f32_e32 v1, v1, v151
	s_waitcnt vmcnt(39)
	v_fmac_f32_e32 v150, v8, v179
	v_add_f32_e32 v2, v2, v144
	v_fmac_f32_e32 v145, v6, v160
	v_add_f32_e32 v1, v1, v148
	v_add_f32_e32 v2, v2, v146
	v_fma_f32 v146, v5, v160, -v3
	v_add_f32_e32 v6, v1, v187
	v_add_f32_e32 v2, v2, v159
	buffer_load_dword v159, off, s[0:3], 0 offset:144
	v_add_f32_e32 v10, v6, v189
	v_add_f32_e32 v2, v2, v157
	;; [unrolled: 1-line block ×4, first 2 shown]
	ds_read2_b64 v[1:4], v136 offset0:101 offset1:102
	v_add_f32_e32 v138, v138, v170
	v_add_f32_e32 v9, v5, v156
	v_mul_f32_e32 v5, v8, v177
	v_add_f32_e32 v137, v9, v155
	v_fma_f32 v151, v7, v179, -v5
	ds_read2_b64 v[5:8], v136 offset0:103 offset1:104
	ds_read2_b64 v[9:12], v136 offset0:105 offset1:106
	v_add_f32_e32 v137, v137, v166
	v_add_f32_e32 v141, v137, v162
	s_waitcnt lgkmcnt(2)
	v_mul_f32_e32 v139, v2, v173
	v_mul_f32_e32 v154, v1, v173
	;; [unrolled: 1-line block ×3, first 2 shown]
	v_fma_f32 v155, v1, v174, -v139
	v_add_f32_e32 v1, v138, v190
	v_fmac_f32_e32 v154, v2, v174
	v_add_f32_e32 v2, v141, v165
	ds_read2_b64 v[137:140], v136 offset0:107 offset1:108
	v_mul_f32_e32 v141, v4, v172
	v_add_f32_e32 v1, v1, v194
	s_waitcnt lgkmcnt(2)
	v_mul_f32_e32 v157, v5, v171
	v_mul_f32_e32 v142, v6, v171
	v_add_f32_e32 v2, v2, v176
	v_fmac_f32_e32 v156, v4, v163
	v_add_f32_e32 v1, v1, v168
	v_fmac_f32_e32 v157, v6, v161
	v_fma_f32 v161, v5, v161, -v142
	v_add_f32_e32 v5, v2, v175
	v_add_f32_e32 v6, v1, v200
	s_waitcnt vmcnt(38)
	v_mul_f32_e32 v158, v7, v149
	v_mul_f32_e32 v147, v8, v149
	s_waitcnt vmcnt(36) lgkmcnt(1)
	v_mul_f32_e32 v160, v9, v164
	v_mul_f32_e32 v148, v10, v164
	v_fma_f32 v149, v3, v163, -v141
	s_waitcnt vmcnt(33) lgkmcnt(0)
	v_mul_f32_e32 v165, v137, v185
	ds_read2_b64 v[1:4], v136 offset0:109 offset1:110
	ds_read2_b64 v[141:144], v136 offset0:111 offset1:112
	v_fmac_f32_e32 v160, v10, v152
	v_add_f32_e32 v10, v5, v146
	v_fma_f32 v163, v9, v152, -v148
	v_add_f32_e32 v9, v6, v145
	s_waitcnt vmcnt(31)
	v_fma_f32 v162, v7, v199, -v147
	v_fmac_f32_e32 v158, v8, v199
	v_add_f32_e32 v10, v10, v151
	v_mul_f32_e32 v151, v12, v184
	v_add_f32_e32 v9, v9, v150
	v_mul_f32_e32 v150, v138, v185
	v_mul_f32_e32 v164, v11, v184
	v_add_f32_e32 v10, v10, v155
	v_fma_f32 v168, v11, v183, -v151
	s_waitcnt vmcnt(30)
	v_mul_f32_e32 v155, v139, v188
	v_fma_f32 v170, v137, v186, -v150
	v_add_f32_e32 v137, v9, v154
	v_add_f32_e32 v154, v10, v149
	v_fmac_f32_e32 v164, v12, v183
	v_mul_f32_e32 v166, v140, v188
	v_fmac_f32_e32 v165, v138, v186
	v_add_f32_e32 v156, v137, v156
	v_add_f32_e32 v154, v154, v161
	s_waitcnt vmcnt(29) lgkmcnt(1)
	v_mul_f32_e32 v161, v2, v167
	ds_read2_b64 v[5:8], v136 offset0:113 offset1:114
	ds_read2_b64 v[145:148], v136 offset0:115 offset1:116
	;; [unrolled: 1-line block ×4, first 2 shown]
	v_add_f32_e32 v156, v156, v157
	v_add_f32_e32 v154, v154, v162
	s_waitcnt vmcnt(25)
	v_fmac_f32_e32 v155, v140, v193
	v_fma_f32 v140, v139, v193, -v166
	v_mul_f32_e32 v166, v1, v167
	v_add_f32_e32 v156, v156, v158
	v_add_f32_e32 v154, v154, v163
	v_fma_f32 v1, v1, v192, -v161
	ds_read2_b64 v[136:139], v136 offset0:121 offset1:122
	s_waitcnt vmcnt(24)
	v_mul_f32_e32 v167, v4, v180
	v_add_f32_e32 v156, v156, v160
	v_add_f32_e32 v154, v154, v168
	v_mul_f32_e32 v157, v3, v180
	v_fmac_f32_e32 v166, v2, v192
	v_fma_f32 v3, v3, v191, -v167
	v_add_f32_e32 v156, v156, v164
	v_add_f32_e32 v154, v154, v170
	s_waitcnt vmcnt(23) lgkmcnt(5)
	v_mul_f32_e32 v162, v141, v181
	v_fmac_f32_e32 v157, v4, v191
	s_waitcnt vmcnt(22)
	v_mul_f32_e32 v158, v143, v178
	v_add_f32_e32 v156, v156, v165
	v_add_f32_e32 v140, v154, v140
	v_fmac_f32_e32 v162, v142, v169
	s_waitcnt vmcnt(21) lgkmcnt(4)
	v_mul_f32_e32 v171, v5, v201
	s_waitcnt vmcnt(20)
	v_mul_f32_e32 v163, v7, v202
	v_add_f32_e32 v154, v156, v155
	v_mul_f32_e32 v155, v142, v181
	v_add_f32_e32 v1, v140, v1
	v_mul_f32_e32 v140, v144, v178
	s_waitcnt vmcnt(8)
	v_fmac_f32_e32 v158, v144, v211
	v_add_f32_e32 v4, v154, v166
	v_fma_f32 v141, v141, v169, -v155
	v_add_f32_e32 v1, v1, v3
	v_fma_f32 v140, v143, v211, -v140
	v_fmac_f32_e32 v171, v6, v210
	v_add_f32_e32 v3, v4, v157
	v_mul_f32_e32 v4, v6, v201
	v_add_f32_e32 v1, v1, v141
	v_mul_f32_e32 v141, v8, v202
	s_waitcnt lgkmcnt(3)
	v_mul_f32_e32 v160, v145, v196
	v_add_f32_e32 v3, v3, v162
	v_fma_f32 v4, v5, v210, -v4
	v_add_f32_e32 v1, v1, v140
	v_mul_f32_e32 v5, v146, v196
	v_fma_f32 v6, v7, v209, -v141
	v_add_f32_e32 v3, v3, v158
	v_fmac_f32_e32 v163, v8, v209
	v_add_f32_e32 v1, v1, v4
	v_mul_f32_e32 v4, v148, v203
	v_fma_f32 v5, v145, v208, -v5
	v_add_f32_e32 v3, v3, v171
	v_mul_f32_e32 v172, v147, v203
	v_add_f32_e32 v1, v1, v6
	v_fmac_f32_e32 v160, v146, v208
	s_waitcnt lgkmcnt(2)
	v_mul_f32_e32 v6, v10, v204
	v_add_f32_e32 v3, v3, v163
	s_waitcnt vmcnt(4)
	v_fma_f32 v4, v147, v214, -v4
	v_add_f32_e32 v1, v1, v5
	v_mul_f32_e32 v168, v9, v204
	v_fmac_f32_e32 v172, v148, v214
	v_add_f32_e32 v3, v3, v160
	v_mul_f32_e32 v5, v12, v197
	v_fma_f32 v6, v9, v213, -v6
	v_add_f32_e32 v1, v1, v4
	v_mul_f32_e32 v164, v11, v197
	v_fmac_f32_e32 v168, v10, v213
	v_add_f32_e32 v3, v3, v172
	s_waitcnt lgkmcnt(1)
	v_mul_f32_e32 v4, v150, v205
	v_fma_f32 v5, v11, v212, -v5
	v_add_f32_e32 v1, v1, v6
	v_mul_f32_e32 v173, v149, v205
	v_fmac_f32_e32 v164, v12, v212
	v_add_f32_e32 v3, v3, v168
	v_mul_f32_e32 v6, v152, v206
	v_fma_f32 v4, v149, v153, -v4
	v_add_f32_e32 v1, v1, v5
	v_mul_f32_e32 v170, v151, v206
	v_fmac_f32_e32 v173, v150, v153
	v_add_f32_e32 v3, v3, v164
	s_waitcnt lgkmcnt(0)
	v_mul_f32_e32 v5, v137, v198
	s_waitcnt vmcnt(1)
	v_fma_f32 v6, v151, v217, -v6
	v_add_f32_e32 v1, v1, v4
	v_mul_f32_e32 v165, v136, v198
	v_fmac_f32_e32 v170, v152, v217
	v_add_f32_e32 v3, v3, v173
	v_mul_f32_e32 v4, v139, v207
	v_fma_f32 v5, v136, v216, -v5
	v_add_f32_e32 v1, v1, v6
	v_mul_f32_e32 v2, v138, v207
	v_fmac_f32_e32 v165, v137, v216
	v_add_f32_e32 v3, v3, v170
	v_fma_f32 v4, v138, v215, -v4
	v_add_f32_e32 v1, v1, v5
	v_fmac_f32_e32 v2, v139, v215
	v_add_f32_e32 v3, v3, v165
	v_add_f32_e32 v1, v1, v4
	v_add_f32_e32 v2, v3, v2
	s_waitcnt vmcnt(0)
	v_sub_f32_e32 v1, v159, v1
	v_sub_f32_e32 v2, v195, v2
	buffer_store_dword v1, off, s[0:3], 0 offset:144
	buffer_store_dword v2, off, s[0:3], 0 offset:148
	v_cmpx_lt_u32_e32 17, v0
	s_cbranch_execz .LBB124_345
; %bb.344:
	s_clause 0x1
	buffer_load_dword v1, off, s[0:3], 0 offset:136
	buffer_load_dword v2, off, s[0:3], 0 offset:140
	v_mov_b32_e32 v3, 0
	buffer_store_dword v3, off, s[0:3], 0 offset:136
	buffer_store_dword v3, off, s[0:3], 0 offset:140
	s_waitcnt vmcnt(0)
	ds_write_b64 v135, v[1:2]
.LBB124_345:
	s_or_b32 exec_lo, exec_lo, s4
	s_waitcnt lgkmcnt(0)
	s_waitcnt_vscnt null, 0x0
	s_barrier
	buffer_gl0_inv
	s_clause 0x25
	buffer_load_dword v138, off, s[0:3], 0 offset:148
	buffer_load_dword v139, off, s[0:3], 0 offset:156
	;; [unrolled: 1-line block ×38, first 2 shown]
	v_mov_b32_e32 v136, 0
	ds_read_b128 v[9:12], v136 offset:640
	ds_read_b128 v[1:4], v136 offset:656
	s_clause 0x7
	buffer_load_dword v179, off, s[0:3], 0 offset:300
	buffer_load_dword v176, off, s[0:3], 0 offset:308
	;; [unrolled: 1-line block ×8, first 2 shown]
	ds_read_b128 v[5:8], v136 offset:672
	s_clause 0x9
	buffer_load_dword v174, off, s[0:3], 0 offset:332
	buffer_load_dword v161, off, s[0:3], 0 offset:336
	;; [unrolled: 1-line block ×10, first 2 shown]
	ds_read_b128 v[186:189], v136 offset:688
	s_mov_b32 s4, exec_lo
	s_waitcnt vmcnt(55) lgkmcnt(3)
	v_mul_f32_e32 v197, v9, v138
	v_mul_f32_e32 v138, v10, v138
	s_waitcnt vmcnt(54)
	v_mul_f32_e32 v198, v11, v139
	v_mul_f32_e32 v139, v12, v139
	s_waitcnt vmcnt(51)
	v_fmac_f32_e32 v197, v10, v144
	v_fma_f32 v144, v9, v144, -v138
	s_waitcnt vmcnt(50) lgkmcnt(2)
	v_mul_f32_e32 v199, v1, v143
	v_mul_f32_e32 v138, v2, v143
	v_fmac_f32_e32 v198, v12, v141
	v_fma_f32 v141, v11, v141, -v139
	ds_read_b128 v[9:12], v136 offset:704
	s_waitcnt vmcnt(49)
	v_mul_f32_e32 v143, v3, v142
	v_mul_f32_e32 v139, v4, v142
	v_fmac_f32_e32 v199, v2, v137
	v_fma_f32 v142, v1, v137, -v138
	s_waitcnt vmcnt(48) lgkmcnt(2)
	v_mul_f32_e32 v200, v5, v140
	v_mul_f32_e32 v137, v6, v140
	s_waitcnt vmcnt(44)
	v_fmac_f32_e32 v143, v4, v152
	v_fma_f32 v152, v3, v152, -v139
	ds_read_b128 v[1:4], v136 offset:720
	s_waitcnt vmcnt(43)
	v_mul_f32_e32 v201, v7, v150
	v_mul_f32_e32 v138, v8, v150
	v_fmac_f32_e32 v200, v6, v148
	v_fma_f32 v148, v5, v148, -v137
	s_waitcnt vmcnt(42) lgkmcnt(2)
	v_mul_f32_e32 v150, v186, v149
	v_fmac_f32_e32 v201, v8, v146
	v_fma_f32 v146, v7, v146, -v138
	ds_read_b128 v[5:8], v136 offset:736
	v_mul_f32_e32 v137, v187, v149
	s_waitcnt vmcnt(41)
	v_mul_f32_e32 v149, v188, v147
	v_mul_f32_e32 v138, v189, v147
	s_waitcnt vmcnt(40) lgkmcnt(2)
	v_mul_f32_e32 v147, v9, v151
	v_mul_f32_e32 v151, v10, v151
	v_fmac_f32_e32 v150, v187, v145
	v_fma_f32 v145, v186, v145, -v137
	s_waitcnt vmcnt(36)
	v_fmac_f32_e32 v149, v189, v160
	v_fma_f32 v160, v188, v160, -v138
	ds_read_b128 v[137:140], v136 offset:752
	s_waitcnt vmcnt(35)
	v_mul_f32_e32 v186, v11, v159
	v_mul_f32_e32 v159, v12, v159
	v_fmac_f32_e32 v147, v10, v156
	v_fma_f32 v151, v9, v156, -v151
	s_waitcnt vmcnt(34) lgkmcnt(2)
	v_mul_f32_e32 v156, v1, v157
	v_mul_f32_e32 v157, v2, v157
	v_fmac_f32_e32 v186, v12, v154
	v_fma_f32 v154, v11, v154, -v159
	ds_read_b128 v[9:12], v136 offset:768
	v_fmac_f32_e32 v156, v2, v153
	v_fma_f32 v153, v1, v153, -v157
	s_waitcnt vmcnt(32) lgkmcnt(2)
	v_mul_f32_e32 v157, v5, v158
	v_mul_f32_e32 v1, v6, v158
	;; [unrolled: 1-line block ×4, first 2 shown]
	s_waitcnt vmcnt(27)
	v_mul_f32_e32 v2, v8, v170
	v_fmac_f32_e32 v157, v6, v167
	v_add_f32_e32 v6, 0, v197
	v_fmac_f32_e32 v159, v4, v171
	v_fma_f32 v155, v3, v171, -v155
	v_mul_f32_e32 v171, v7, v170
	s_waitcnt vmcnt(26) lgkmcnt(1)
	v_mul_f32_e32 v158, v137, v169
	v_add_f32_e32 v6, v6, v198
	v_mul_f32_e32 v3, v138, v169
	s_waitcnt vmcnt(25)
	v_mul_f32_e32 v169, v139, v168
	v_mul_f32_e32 v4, v140, v168
	s_clause 0x6
	buffer_load_dword v168, off, s[0:3], 0 offset:372
	buffer_load_dword v170, off, s[0:3], 0 offset:384
	;; [unrolled: 1-line block ×7, first 2 shown]
	v_add_f32_e32 v6, v6, v199
	v_fma_f32 v167, v5, v167, -v1
	v_fmac_f32_e32 v158, v138, v164
	v_fma_f32 v137, v137, v164, -v3
	s_waitcnt vmcnt(27) lgkmcnt(0)
	v_mul_f32_e32 v164, v9, v183
	v_mul_f32_e32 v5, v10, v183
	v_add_f32_e32 v6, v6, v143
	v_fmac_f32_e32 v171, v8, v166
	v_fma_f32 v166, v7, v166, -v2
	v_fmac_f32_e32 v169, v140, v184
	v_fma_f32 v138, v139, v184, -v4
	buffer_load_dword v183, off, s[0:3], 0 offset:396
	s_waitcnt vmcnt(27)
	v_mul_f32_e32 v184, v11, v178
	v_fmac_f32_e32 v164, v10, v180
	v_fma_f32 v180, v9, v180, -v5
	v_add_f32_e32 v5, 0, v144
	v_mul_f32_e32 v7, v12, v178
	v_add_f32_e32 v6, v6, v200
	ds_read_b128 v[1:4], v136 offset:784
	s_clause 0x1
	buffer_load_dword v197, off, s[0:3], 0 offset:404
	buffer_load_dword v198, off, s[0:3], 0 offset:412
	v_add_f32_e32 v5, v5, v141
	buffer_load_dword v178, off, s[0:3], 0 offset:420
	v_fmac_f32_e32 v184, v12, v175
	v_fma_f32 v141, v11, v175, -v7
	s_clause 0x7
	buffer_load_dword v175, off, s[0:3], 0 offset:428
	buffer_load_dword v199, off, s[0:3], 0 offset:436
	buffer_load_dword v204, off, s[0:3], 0 offset:444
	buffer_load_dword v205, off, s[0:3], 0 offset:452
	buffer_load_dword v206, off, s[0:3], 0 offset:460
	buffer_load_dword v200, off, s[0:3], 0 offset:468
	buffer_load_dword v207, off, s[0:3], 0 offset:476
	buffer_load_dword v208, off, s[0:3], 0 offset:484
	v_add_f32_e32 v6, v6, v201
	s_clause 0x3
	buffer_load_dword v201, off, s[0:3], 0 offset:416
	buffer_load_dword v209, off, s[0:3], 0 offset:408
	;; [unrolled: 1-line block ×4, first 2 shown]
	v_add_f32_e32 v5, v5, v142
	s_clause 0x3
	buffer_load_dword v212, off, s[0:3], 0 offset:448
	buffer_load_dword v213, off, s[0:3], 0 offset:440
	;; [unrolled: 1-line block ×4, first 2 shown]
	v_add_f32_e32 v6, v6, v150
	v_add_f32_e32 v5, v5, v152
	v_add_f32_e32 v6, v6, v149
	s_waitcnt vmcnt(45) lgkmcnt(0)
	v_mul_f32_e32 v142, v1, v182
	v_add_f32_e32 v5, v5, v148
	v_mul_f32_e32 v7, v2, v182
	v_add_f32_e32 v6, v6, v147
	v_fmac_f32_e32 v142, v2, v162
	v_add_f32_e32 v5, v5, v146
	v_fma_f32 v143, v1, v162, -v7
	v_add_f32_e32 v6, v6, v186
	v_add_f32_e32 v5, v5, v145
	s_waitcnt vmcnt(44)
	v_mul_f32_e32 v145, v3, v179
	v_add_f32_e32 v6, v6, v156
	v_add_f32_e32 v5, v5, v160
	s_clause 0x4
	buffer_load_dword v160, off, s[0:3], 0 offset:480
	buffer_load_dword v186, off, s[0:3], 0 offset:472
	;; [unrolled: 1-line block ×5, first 2 shown]
	v_add_f32_e32 v1, v6, v159
	s_waitcnt vmcnt(42)
	v_fmac_f32_e32 v145, v4, v181
	v_add_f32_e32 v5, v5, v151
	v_add_f32_e32 v9, v1, v157
	v_mul_f32_e32 v1, v4, v179
	v_add_f32_e32 v5, v5, v154
	v_add_f32_e32 v139, v9, v171
	v_fma_f32 v146, v3, v181, -v1
	v_add_f32_e32 v5, v5, v153
	v_add_f32_e32 v139, v139, v158
	;; [unrolled: 1-line block ×3, first 2 shown]
	ds_read_b128 v[5:8], v136 offset:800
	v_add_f32_e32 v147, v139, v169
	v_add_f32_e32 v10, v2, v167
	ds_read_b128 v[1:4], v136 offset:816
	v_add_f32_e32 v140, v10, v166
	ds_read_b128 v[9:12], v136 offset:832
	v_add_f32_e32 v137, v140, v137
	s_waitcnt lgkmcnt(2)
	v_mul_f32_e32 v144, v6, v176
	v_mul_f32_e32 v149, v5, v176
	;; [unrolled: 1-line block ×3, first 2 shown]
	v_fma_f32 v150, v5, v177, -v144
	v_add_f32_e32 v5, v137, v138
	ds_read_b128 v[137:140], v136 offset:848
	v_fmac_f32_e32 v149, v6, v177
	v_add_f32_e32 v6, v147, v164
	s_waitcnt lgkmcnt(2)
	v_mul_f32_e32 v152, v1, v172
	v_add_f32_e32 v5, v5, v180
	v_mul_f32_e32 v147, v2, v172
	s_waitcnt vmcnt(39) lgkmcnt(1)
	v_mul_f32_e32 v156, v9, v190
	v_add_f32_e32 v6, v6, v184
	v_fmac_f32_e32 v152, v2, v163
	v_add_f32_e32 v5, v5, v141
	v_fma_f32 v154, v1, v163, -v147
	v_mul_f32_e32 v147, v10, v190
	v_add_f32_e32 v1, v6, v142
	v_mul_f32_e32 v144, v8, v173
	v_add_f32_e32 v2, v5, v143
	v_fmac_f32_e32 v156, v10, v161
	v_fma_f32 v158, v9, v161, -v147
	v_add_f32_e32 v10, v1, v145
	v_fma_f32 v153, v7, v165, -v144
	v_add_f32_e32 v9, v2, v146
	v_fmac_f32_e32 v151, v8, v165
	v_mul_f32_e32 v148, v4, v174
	v_add_f32_e32 v10, v10, v149
	s_waitcnt vmcnt(36) lgkmcnt(0)
	v_mul_f32_e32 v161, v137, v193
	v_add_f32_e32 v9, v9, v150
	v_mul_f32_e32 v150, v138, v193
	v_mul_f32_e32 v155, v3, v174
	v_add_f32_e32 v10, v10, v151
	s_waitcnt vmcnt(34)
	v_fma_f32 v157, v3, v195, -v148
	ds_read_b128 v[5:8], v136 offset:864
	ds_read_b128 v[141:144], v136 offset:880
	v_fma_f32 v165, v137, v194, -v150
	v_add_f32_e32 v137, v9, v153
	v_fmac_f32_e32 v155, v4, v195
	v_add_f32_e32 v166, v10, v152
	v_mul_f32_e32 v149, v12, v192
	v_mul_f32_e32 v159, v11, v192
	v_add_f32_e32 v167, v137, v154
	s_waitcnt vmcnt(33)
	v_mul_f32_e32 v163, v140, v196
	v_add_f32_e32 v155, v166, v155
	v_fma_f32 v164, v11, v191, -v149
	v_fmac_f32_e32 v159, v12, v191
	v_add_f32_e32 v157, v167, v157
	v_mul_f32_e32 v162, v139, v196
	v_add_f32_e32 v155, v155, v156
	v_fmac_f32_e32 v161, v138, v194
	ds_read_b128 v[1:4], v136 offset:896
	ds_read_b128 v[145:148], v136 offset:912
	v_add_f32_e32 v157, v157, v158
	ds_read_b128 v[9:12], v136 offset:928
	ds_read_b128 v[149:152], v136 offset:944
	v_add_f32_e32 v155, v155, v159
	v_add_f32_e32 v157, v157, v164
	;; [unrolled: 1-line block ×4, first 2 shown]
	s_waitcnt vmcnt(31) lgkmcnt(5)
	v_mul_f32_e32 v166, v5, v168
	v_mul_f32_e32 v168, v6, v168
	s_waitcnt vmcnt(27)
	v_fma_f32 v163, v139, v189, -v163
	v_fmac_f32_e32 v162, v140, v189
	s_waitcnt vmcnt(26)
	v_mul_f32_e32 v169, v8, v202
	v_fma_f32 v5, v5, v188, -v168
	v_mul_f32_e32 v167, v7, v202
	v_add_f32_e32 v157, v157, v163
	v_fmac_f32_e32 v166, v6, v188
	v_add_f32_e32 v155, v155, v162
	s_waitcnt vmcnt(25) lgkmcnt(4)
	v_mul_f32_e32 v168, v142, v203
	v_fma_f32 v7, v7, v187, -v169
	v_add_f32_e32 v5, v157, v5
	v_mul_f32_e32 v156, v141, v203
	v_fmac_f32_e32 v167, v8, v187
	v_add_f32_e32 v155, v155, v166
	s_waitcnt vmcnt(24)
	v_mul_f32_e32 v162, v144, v183
	v_fma_f32 v141, v141, v170, -v168
	v_add_f32_e32 v5, v5, v7
	v_mul_f32_e32 v158, v143, v183
	v_fmac_f32_e32 v156, v142, v170
	v_add_f32_e32 v7, v155, v167
	ds_read_b128 v[137:140], v136 offset:960
	ds_read_b64 v[153:154], v136 offset:976
	s_waitcnt vmcnt(23) lgkmcnt(5)
	v_mul_f32_e32 v6, v1, v197
	v_mul_f32_e32 v142, v2, v197
	v_add_f32_e32 v5, v5, v141
	v_add_f32_e32 v7, v7, v156
	s_waitcnt vmcnt(22)
	v_mul_f32_e32 v141, v4, v198
	v_mul_f32_e32 v159, v3, v198
	s_waitcnt vmcnt(21) lgkmcnt(4)
	v_mul_f32_e32 v164, v145, v178
	s_waitcnt vmcnt(20)
	v_mul_f32_e32 v8, v147, v175
	s_waitcnt vmcnt(19) lgkmcnt(3)
	v_mul_f32_e32 v169, v9, v199
	s_waitcnt vmcnt(10)
	v_fmac_f32_e32 v6, v2, v210
	s_waitcnt vmcnt(9)
	v_fma_f32 v143, v143, v211, -v162
	v_fmac_f32_e32 v158, v144, v211
	v_fma_f32 v1, v1, v210, -v142
	v_fma_f32 v3, v3, v209, -v141
	v_fmac_f32_e32 v159, v4, v209
	v_add_f32_e32 v2, v5, v143
	v_add_f32_e32 v5, v7, v158
	v_mul_f32_e32 v7, v146, v178
	v_mul_f32_e32 v4, v148, v175
	v_fmac_f32_e32 v164, v146, v201
	v_add_f32_e32 v1, v2, v1
	v_add_f32_e32 v2, v5, v6
	v_fma_f32 v5, v145, v201, -v7
	s_waitcnt vmcnt(5)
	v_fma_f32 v4, v147, v215, -v4
	v_fmac_f32_e32 v8, v148, v215
	v_add_f32_e32 v1, v1, v3
	v_add_f32_e32 v2, v2, v159
	v_mul_f32_e32 v3, v10, v199
	v_mul_f32_e32 v161, v11, v204
	v_fmac_f32_e32 v169, v10, v214
	v_add_f32_e32 v1, v1, v5
	v_add_f32_e32 v2, v2, v164
	v_mul_f32_e32 v5, v12, v204
	v_fma_f32 v3, v9, v214, -v3
	s_waitcnt lgkmcnt(2)
	v_mul_f32_e32 v165, v149, v205
	v_add_f32_e32 v1, v1, v4
	v_add_f32_e32 v2, v2, v8
	v_mul_f32_e32 v4, v150, v205
	v_fma_f32 v5, v11, v213, -v5
	v_fmac_f32_e32 v161, v12, v213
	v_add_f32_e32 v1, v1, v3
	v_add_f32_e32 v2, v2, v169
	v_mul_f32_e32 v3, v152, v206
	v_fma_f32 v4, v149, v212, -v4
	v_mul_f32_e32 v171, v151, v206
	v_add_f32_e32 v1, v1, v5
	v_fmac_f32_e32 v165, v150, v212
	v_add_f32_e32 v2, v2, v161
	s_waitcnt lgkmcnt(1)
	v_mul_f32_e32 v5, v138, v200
	s_waitcnt vmcnt(1)
	v_fma_f32 v3, v151, v217, -v3
	v_add_f32_e32 v1, v1, v4
	v_mul_f32_e32 v163, v137, v200
	v_fmac_f32_e32 v171, v152, v217
	v_add_f32_e32 v2, v2, v165
	v_mul_f32_e32 v4, v140, v207
	v_fma_f32 v5, v137, v216, -v5
	v_add_f32_e32 v1, v1, v3
	v_mul_f32_e32 v172, v139, v207
	v_fmac_f32_e32 v163, v138, v216
	v_add_f32_e32 v2, v2, v171
	s_waitcnt lgkmcnt(0)
	v_mul_f32_e32 v3, v154, v208
	v_fma_f32 v4, v139, v186, -v4
	v_add_f32_e32 v1, v1, v5
	v_mul_f32_e32 v157, v153, v208
	v_fmac_f32_e32 v172, v140, v186
	v_add_f32_e32 v2, v2, v163
	v_fma_f32 v3, v153, v160, -v3
	v_add_f32_e32 v1, v1, v4
	v_fmac_f32_e32 v157, v154, v160
	v_add_f32_e32 v2, v2, v172
	v_add_f32_e32 v1, v1, v3
	;; [unrolled: 1-line block ×3, first 2 shown]
	s_waitcnt vmcnt(0)
	v_sub_f32_e32 v1, v218, v1
	v_sub_f32_e32 v2, v185, v2
	buffer_store_dword v1, off, s[0:3], 0 offset:136
	buffer_store_dword v2, off, s[0:3], 0 offset:140
	v_cmpx_lt_u32_e32 16, v0
	s_cbranch_execz .LBB124_347
; %bb.346:
	s_clause 0x1
	buffer_load_dword v1, off, s[0:3], 0 offset:128
	buffer_load_dword v2, off, s[0:3], 0 offset:132
	buffer_store_dword v136, off, s[0:3], 0 offset:128
	buffer_store_dword v136, off, s[0:3], 0 offset:132
	s_waitcnt vmcnt(0)
	ds_write_b64 v135, v[1:2]
.LBB124_347:
	s_or_b32 exec_lo, exec_lo, s4
	s_waitcnt lgkmcnt(0)
	s_waitcnt_vscnt null, 0x0
	s_barrier
	buffer_gl0_inv
	s_clause 0x2b
	buffer_load_dword v157, off, s[0:3], 0 offset:140
	buffer_load_dword v158, off, s[0:3], 0 offset:148
	;; [unrolled: 1-line block ×44, first 2 shown]
	ds_read2_b64 v[9:12], v136 offset0:79 offset1:80
	s_clause 0x1
	buffer_load_dword v185, off, s[0:3], 0 offset:308
	buffer_load_dword v179, off, s[0:3], 0 offset:316
	ds_read2_b64 v[5:8], v136 offset0:81 offset1:82
	ds_read2_b64 v[1:4], v136 offset0:83 offset1:84
	s_clause 0x7
	buffer_load_dword v180, off, s[0:3], 0 offset:324
	buffer_load_dword v169, off, s[0:3], 0 offset:332
	;; [unrolled: 1-line block ×8, first 2 shown]
	ds_read2_b64 v[186:189], v136 offset0:85 offset1:86
	buffer_load_dword v197, off, s[0:3], 0 offset:132
	s_mov_b32 s4, exec_lo
	s_waitcnt vmcnt(54) lgkmcnt(3)
	v_mul_f32_e32 v195, v9, v157
	s_waitcnt vmcnt(53)
	v_mul_f32_e32 v196, v11, v158
	v_mul_f32_e32 v157, v10, v157
	;; [unrolled: 1-line block ×3, first 2 shown]
	s_waitcnt vmcnt(50)
	v_fmac_f32_e32 v195, v10, v143
	v_fmac_f32_e32 v196, v12, v142
	v_fma_f32 v143, v9, v143, -v157
	v_fma_f32 v142, v11, v142, -v158
	ds_read2_b64 v[9:12], v136 offset0:87 offset1:88
	s_waitcnt vmcnt(49) lgkmcnt(3)
	v_mul_f32_e32 v157, v5, v140
	v_mul_f32_e32 v140, v6, v140
	s_waitcnt vmcnt(48)
	v_mul_f32_e32 v158, v7, v139
	v_mul_f32_e32 v139, v8, v139
	s_waitcnt vmcnt(47) lgkmcnt(2)
	v_mul_f32_e32 v198, v1, v138
	v_fmac_f32_e32 v157, v6, v137
	v_fma_f32 v199, v5, v137, -v140
	s_waitcnt vmcnt(46)
	v_mul_f32_e32 v200, v3, v141
	v_mul_f32_e32 v137, v2, v138
	;; [unrolled: 1-line block ×3, first 2 shown]
	s_waitcnt vmcnt(42)
	v_fmac_f32_e32 v158, v8, v149
	v_fma_f32 v141, v7, v149, -v139
	ds_read2_b64 v[5:8], v136 offset0:89 offset1:90
	v_fmac_f32_e32 v198, v2, v148
	v_fmac_f32_e32 v200, v4, v146
	v_fma_f32 v148, v1, v148, -v137
	v_fma_f32 v146, v3, v146, -v138
	ds_read2_b64 v[1:4], v136 offset0:91 offset1:92
	s_waitcnt vmcnt(41) lgkmcnt(3)
	v_mul_f32_e32 v149, v186, v147
	v_mul_f32_e32 v137, v187, v147
	s_waitcnt vmcnt(40)
	v_mul_f32_e32 v147, v188, v145
	v_mul_f32_e32 v138, v189, v145
	s_waitcnt vmcnt(39) lgkmcnt(2)
	v_mul_f32_e32 v145, v9, v150
	v_fmac_f32_e32 v149, v187, v144
	v_fma_f32 v144, v186, v144, -v137
	s_waitcnt vmcnt(34)
	v_fmac_f32_e32 v147, v189, v159
	v_fma_f32 v159, v188, v159, -v138
	ds_read2_b64 v[137:140], v136 offset0:93 offset1:94
	v_mul_f32_e32 v186, v11, v151
	v_mul_f32_e32 v151, v12, v151
	;; [unrolled: 1-line block ×3, first 2 shown]
	v_fmac_f32_e32 v145, v10, v156
	s_waitcnt vmcnt(32) lgkmcnt(2)
	v_mul_f32_e32 v187, v7, v153
	v_fmac_f32_e32 v186, v12, v154
	v_fma_f32 v151, v11, v154, -v151
	v_mul_f32_e32 v154, v5, v155
	v_mul_f32_e32 v155, v6, v155
	v_mul_f32_e32 v153, v8, v153
	v_fma_f32 v150, v9, v156, -v150
	ds_read2_b64 v[9:12], v136 offset0:95 offset1:96
	v_fmac_f32_e32 v154, v6, v152
	v_fma_f32 v152, v5, v152, -v155
	s_waitcnt vmcnt(31) lgkmcnt(2)
	v_mul_f32_e32 v155, v1, v160
	v_mul_f32_e32 v5, v2, v160
	buffer_load_dword v156, off, s[0:3], 0 offset:356
	s_waitcnt vmcnt(28)
	v_fmac_f32_e32 v187, v8, v173
	v_fma_f32 v153, v7, v173, -v153
	s_clause 0x3
	buffer_load_dword v160, off, s[0:3], 0 offset:376
	buffer_load_dword v173, off, s[0:3], 0 offset:368
	;; [unrolled: 1-line block ×4, first 2 shown]
	s_waitcnt vmcnt(31)
	v_mul_f32_e32 v201, v3, v172
	v_mul_f32_e32 v6, v4, v172
	v_fmac_f32_e32 v155, v2, v167
	v_fma_f32 v167, v1, v167, -v5
	s_waitcnt vmcnt(30) lgkmcnt(1)
	v_mul_f32_e32 v172, v137, v164
	s_waitcnt vmcnt(29)
	v_mul_f32_e32 v202, v139, v165
	v_mul_f32_e32 v1, v138, v164
	;; [unrolled: 1-line block ×3, first 2 shown]
	s_clause 0x2
	buffer_load_dword v164, off, s[0:3], 0 offset:364
	buffer_load_dword v165, off, s[0:3], 0 offset:372
	;; [unrolled: 1-line block ×3, first 2 shown]
	v_fmac_f32_e32 v201, v4, v163
	v_fma_f32 v163, v3, v163, -v6
	v_fmac_f32_e32 v172, v138, v161
	v_fma_f32 v137, v137, v161, -v1
	s_waitcnt vmcnt(28)
	v_fma_f32 v138, v139, v184, -v2
	ds_read2_b64 v[1:4], v136 offset0:97 offset1:98
	s_waitcnt vmcnt(27) lgkmcnt(1)
	v_mul_f32_e32 v5, v10, v182
	v_add_f32_e32 v6, 0, v195
	v_fmac_f32_e32 v202, v140, v184
	v_add_f32_e32 v7, 0, v143
	v_mul_f32_e32 v139, v9, v182
	v_fma_f32 v140, v9, v178, -v5
	v_add_f32_e32 v5, v6, v196
	s_waitcnt vmcnt(26)
	v_mul_f32_e32 v161, v11, v181
	v_add_f32_e32 v6, v7, v142
	v_mul_f32_e32 v8, v12, v181
	v_fmac_f32_e32 v139, v10, v178
	v_add_f32_e32 v5, v5, v157
	s_clause 0x3
	buffer_load_dword v178, off, s[0:3], 0 offset:388
	buffer_load_dword v181, off, s[0:3], 0 offset:396
	;; [unrolled: 1-line block ×4, first 2 shown]
	v_add_f32_e32 v6, v6, v199
	v_fmac_f32_e32 v161, v12, v176
	v_fma_f32 v142, v11, v176, -v8
	v_add_f32_e32 v5, v5, v158
	s_clause 0x3
	buffer_load_dword v157, off, s[0:3], 0 offset:420
	buffer_load_dword v176, off, s[0:3], 0 offset:428
	;; [unrolled: 1-line block ×4, first 2 shown]
	v_add_f32_e32 v6, v6, v141
	s_waitcnt vmcnt(33) lgkmcnt(0)
	v_mul_f32_e32 v141, v1, v174
	v_mul_f32_e32 v7, v2, v174
	v_add_f32_e32 v5, v5, v198
	s_clause 0x3
	buffer_load_dword v158, off, s[0:3], 0 offset:452
	buffer_load_dword v199, off, s[0:3], 0 offset:460
	;; [unrolled: 1-line block ×4, first 2 shown]
	v_add_f32_e32 v6, v6, v148
	buffer_load_dword v174, off, s[0:3], 0 offset:484
	v_fmac_f32_e32 v141, v2, v170
	v_fma_f32 v143, v1, v170, -v7
	v_add_f32_e32 v5, v5, v200
	s_clause 0x3
	buffer_load_dword v170, off, s[0:3], 0 offset:408
	buffer_load_dword v198, off, s[0:3], 0 offset:400
	buffer_load_dword v200, off, s[0:3], 0 offset:392
	buffer_load_dword v206, off, s[0:3], 0 offset:384
	v_add_f32_e32 v1, v6, v146
	v_add_f32_e32 v5, v5, v149
	;; [unrolled: 1-line block ×3, first 2 shown]
	s_waitcnt vmcnt(41)
	v_mul_f32_e32 v144, v3, v168
	v_mul_f32_e32 v1, v4, v168
	v_add_f32_e32 v5, v5, v147
	v_add_f32_e32 v6, v6, v159
	s_waitcnt vmcnt(37)
	v_fmac_f32_e32 v144, v4, v183
	v_fma_f32 v146, v3, v183, -v1
	ds_read2_b64 v[1:4], v136 offset0:99 offset1:100
	s_clause 0x3
	buffer_load_dword v159, off, s[0:3], 0 offset:440
	buffer_load_dword v168, off, s[0:3], 0 offset:432
	buffer_load_dword v183, off, s[0:3], 0 offset:424
	buffer_load_dword v207, off, s[0:3], 0 offset:416
	v_add_f32_e32 v6, v6, v150
	v_add_f32_e32 v5, v5, v145
	;; [unrolled: 1-line block ×4, first 2 shown]
	ds_read2_b64 v[5:8], v136 offset0:101 offset1:102
	v_add_f32_e32 v9, v9, v152
	v_add_f32_e32 v10, v10, v154
	s_waitcnt vmcnt(40) lgkmcnt(1)
	v_mul_f32_e32 v145, v1, v177
	v_mul_f32_e32 v11, v2, v177
	s_waitcnt vmcnt(39)
	v_mul_f32_e32 v149, v3, v185
	v_fmac_f32_e32 v145, v2, v175
	v_fma_f32 v147, v1, v175, -v11
	v_add_f32_e32 v1, v9, v153
	s_clause 0x3
	buffer_load_dword v153, off, s[0:3], 0 offset:472
	buffer_load_dword v154, off, s[0:3], 0 offset:464
	;; [unrolled: 1-line block ×4, first 2 shown]
	v_add_f32_e32 v2, v10, v187
	v_mul_f32_e32 v9, v4, v185
	v_fmac_f32_e32 v149, v4, v171
	v_add_f32_e32 v1, v1, v167
	buffer_load_dword v167, off, s[0:3], 0 offset:480
	v_add_f32_e32 v2, v2, v155
	buffer_load_dword v155, off, s[0:3], 0 offset:128
	v_fma_f32 v150, v3, v171, -v9
	v_add_f32_e32 v1, v1, v163
	s_waitcnt vmcnt(44) lgkmcnt(0)
	v_mul_f32_e32 v151, v5, v179
	v_add_f32_e32 v10, v2, v201
	s_waitcnt vmcnt(43)
	v_mul_f32_e32 v152, v7, v180
	v_mul_f32_e32 v163, v8, v180
	v_add_f32_e32 v137, v1, v137
	ds_read2_b64 v[1:4], v136 offset0:103 offset1:104
	v_add_f32_e32 v148, v10, v172
	ds_read2_b64 v[9:12], v136 offset0:105 offset1:106
	v_fmac_f32_e32 v151, v6, v162
	v_add_f32_e32 v137, v137, v138
	v_mul_f32_e32 v138, v6, v179
	v_add_f32_e32 v148, v148, v202
	s_waitcnt vmcnt(36)
	v_fmac_f32_e32 v152, v8, v194
	v_fma_f32 v163, v7, v194, -v163
	v_add_f32_e32 v171, v137, v140
	v_fma_f32 v162, v5, v162, -v138
	v_add_f32_e32 v148, v148, v139
	ds_read2_b64 v[5:8], v136 offset0:107 offset1:108
	ds_read2_b64 v[137:140], v136 offset0:109 offset1:110
	v_add_f32_e32 v142, v171, v142
	v_add_f32_e32 v148, v148, v161
	v_add_f32_e32 v142, v142, v143
	s_waitcnt lgkmcnt(3)
	v_mul_f32_e32 v171, v1, v169
	v_add_f32_e32 v141, v148, v141
	v_mul_f32_e32 v169, v2, v169
	v_mul_f32_e32 v161, v3, v166
	v_add_f32_e32 v146, v142, v146
	v_mul_f32_e32 v166, v4, v166
	v_add_f32_e32 v180, v141, v144
	v_fma_f32 v169, v1, v193, -v169
	v_fmac_f32_e32 v171, v2, v193
	v_add_f32_e32 v186, v146, v147
	s_waitcnt lgkmcnt(2)
	v_mul_f32_e32 v148, v10, v190
	v_add_f32_e32 v180, v180, v145
	v_fma_f32 v166, v3, v192, -v166
	v_mul_f32_e32 v172, v9, v190
	v_add_f32_e32 v150, v186, v150
	v_fmac_f32_e32 v161, v4, v192
	v_add_f32_e32 v149, v180, v149
	v_fma_f32 v185, v9, v191, -v148
	v_fmac_f32_e32 v172, v10, v191
	ds_read2_b64 v[1:4], v136 offset0:111 offset1:112
	ds_read2_b64 v[141:144], v136 offset0:113 offset1:114
	v_add_f32_e32 v149, v149, v151
	s_waitcnt vmcnt(34)
	v_mul_f32_e32 v179, v11, v156
	v_mul_f32_e32 v156, v12, v156
	s_waitcnt vmcnt(30)
	v_fmac_f32_e32 v179, v12, v189
	v_fma_f32 v156, v11, v189, -v156
	ds_read2_b64 v[9:12], v136 offset0:115 offset1:116
	ds_read2_b64 v[145:148], v136 offset0:117 offset1:118
	s_waitcnt vmcnt(29) lgkmcnt(5)
	v_mul_f32_e32 v186, v5, v164
	v_mul_f32_e32 v164, v6, v164
	s_waitcnt vmcnt(28)
	v_mul_f32_e32 v180, v7, v165
	v_mul_f32_e32 v165, v8, v165
	v_fmac_f32_e32 v186, v6, v188
	v_add_f32_e32 v6, v150, v162
	v_fma_f32 v162, v5, v188, -v164
	v_fma_f32 v164, v7, v173, -v165
	v_add_f32_e32 v165, v149, v152
	v_fmac_f32_e32 v180, v8, v173
	v_add_f32_e32 v163, v6, v163
	ds_read2_b64 v[5:8], v136 offset0:119 offset1:120
	ds_read2_b64 v[149:152], v136 offset0:121 offset1:122
	s_waitcnt vmcnt(27) lgkmcnt(6)
	v_mul_f32_e32 v136, v137, v203
	v_add_f32_e32 v165, v165, v171
	v_add_f32_e32 v163, v163, v169
	v_mul_f32_e32 v169, v138, v203
	s_waitcnt vmcnt(26)
	v_mul_f32_e32 v173, v140, v178
	v_add_f32_e32 v161, v165, v161
	v_mul_f32_e32 v171, v139, v178
	v_add_f32_e32 v163, v163, v166
	v_fma_f32 v137, v137, v160, -v169
	v_fmac_f32_e32 v136, v138, v160
	v_add_f32_e32 v161, v161, v172
	s_waitcnt vmcnt(25) lgkmcnt(5)
	v_mul_f32_e32 v166, v1, v181
	v_add_f32_e32 v163, v163, v185
	s_waitcnt vmcnt(24)
	v_mul_f32_e32 v165, v3, v182
	s_waitcnt vmcnt(23) lgkmcnt(4)
	v_mul_f32_e32 v178, v141, v184
	v_add_f32_e32 v161, v161, v179
	s_waitcnt vmcnt(22)
	v_mul_f32_e32 v185, v143, v157
	v_add_f32_e32 v156, v163, v156
	s_waitcnt vmcnt(21) lgkmcnt(3)
	v_mul_f32_e32 v172, v9, v176
	s_waitcnt vmcnt(20)
	v_mul_f32_e32 v187, v11, v195
	v_add_f32_e32 v161, v161, v186
	s_waitcnt vmcnt(12)
	v_fmac_f32_e32 v165, v4, v198
	v_add_f32_e32 v156, v156, v162
	s_waitcnt vmcnt(10)
	v_fma_f32 v139, v139, v206, -v173
	v_fmac_f32_e32 v171, v140, v206
	v_add_f32_e32 v160, v161, v180
	v_mul_f32_e32 v161, v2, v181
	v_add_f32_e32 v156, v156, v164
	v_mul_f32_e32 v140, v4, v182
	v_fmac_f32_e32 v166, v2, v200
	v_add_f32_e32 v136, v160, v136
	v_fma_f32 v1, v1, v200, -v161
	v_add_f32_e32 v137, v156, v137
	v_fma_f32 v3, v3, v198, -v140
	v_mul_f32_e32 v4, v144, v157
	v_add_f32_e32 v136, v136, v171
	v_fmac_f32_e32 v178, v142, v170
	v_add_f32_e32 v2, v137, v139
	v_mul_f32_e32 v137, v142, v184
	s_waitcnt vmcnt(6)
	v_fma_f32 v4, v143, v207, -v4
	v_fmac_f32_e32 v185, v144, v207
	v_fmac_f32_e32 v172, v10, v183
	v_add_f32_e32 v1, v2, v1
	v_add_f32_e32 v2, v136, v166
	v_fma_f32 v136, v141, v170, -v137
	s_waitcnt lgkmcnt(2)
	v_mul_f32_e32 v163, v145, v196
	v_fmac_f32_e32 v187, v12, v168
	v_add_f32_e32 v1, v1, v3
	v_add_f32_e32 v2, v2, v165
	v_mul_f32_e32 v3, v10, v176
	v_mul_f32_e32 v179, v147, v158
	v_fmac_f32_e32 v163, v146, v159
	v_add_f32_e32 v1, v1, v136
	v_add_f32_e32 v2, v2, v178
	v_mul_f32_e32 v136, v12, v195
	v_fma_f32 v3, v9, v183, -v3
	s_waitcnt lgkmcnt(1)
	v_mul_f32_e32 v188, v5, v199
	v_add_f32_e32 v1, v1, v4
	v_add_f32_e32 v2, v2, v185
	v_mul_f32_e32 v4, v146, v196
	v_fma_f32 v9, v11, v168, -v136
	v_mul_f32_e32 v162, v7, v204
	v_add_f32_e32 v1, v1, v3
	v_add_f32_e32 v2, v2, v172
	v_mul_f32_e32 v3, v148, v158
	v_fma_f32 v4, v145, v159, -v4
	s_waitcnt vmcnt(2)
	v_fmac_f32_e32 v179, v148, v177
	v_add_f32_e32 v1, v1, v9
	v_add_f32_e32 v2, v2, v187
	v_mul_f32_e32 v9, v6, v199
	v_fma_f32 v3, v147, v177, -v3
	v_fmac_f32_e32 v188, v6, v175
	v_add_f32_e32 v1, v1, v4
	v_add_f32_e32 v2, v2, v163
	v_mul_f32_e32 v4, v8, v204
	v_fma_f32 v5, v5, v175, -v9
	s_waitcnt lgkmcnt(0)
	v_mul_f32_e32 v186, v149, v205
	v_add_f32_e32 v1, v1, v3
	v_add_f32_e32 v2, v2, v179
	v_mul_f32_e32 v3, v150, v205
	v_fma_f32 v4, v7, v154, -v4
	v_fmac_f32_e32 v162, v8, v154
	v_add_f32_e32 v1, v1, v5
	v_add_f32_e32 v2, v2, v188
	v_mul_f32_e32 v5, v152, v174
	v_fma_f32 v3, v149, v153, -v3
	v_mul_f32_e32 v138, v151, v174
	v_add_f32_e32 v1, v1, v4
	v_fmac_f32_e32 v186, v150, v153
	v_add_f32_e32 v2, v2, v162
	s_waitcnt vmcnt(1)
	v_fma_f32 v4, v151, v167, -v5
	v_fmac_f32_e32 v138, v152, v167
	v_add_f32_e32 v1, v1, v3
	v_add_f32_e32 v2, v2, v186
	;; [unrolled: 1-line block ×4, first 2 shown]
	s_waitcnt vmcnt(0)
	v_sub_f32_e32 v1, v155, v1
	v_sub_f32_e32 v2, v197, v2
	buffer_store_dword v1, off, s[0:3], 0 offset:128
	buffer_store_dword v2, off, s[0:3], 0 offset:132
	v_cmpx_lt_u32_e32 15, v0
	s_cbranch_execz .LBB124_349
; %bb.348:
	s_clause 0x1
	buffer_load_dword v1, off, s[0:3], 0 offset:120
	buffer_load_dword v2, off, s[0:3], 0 offset:124
	v_mov_b32_e32 v3, 0
	buffer_store_dword v3, off, s[0:3], 0 offset:120
	buffer_store_dword v3, off, s[0:3], 0 offset:124
	s_waitcnt vmcnt(0)
	ds_write_b64 v135, v[1:2]
.LBB124_349:
	s_or_b32 exec_lo, exec_lo, s4
	s_waitcnt lgkmcnt(0)
	s_waitcnt_vscnt null, 0x0
	s_barrier
	buffer_gl0_inv
	s_clause 0x2b
	buffer_load_dword v138, off, s[0:3], 0 offset:132
	buffer_load_dword v139, off, s[0:3], 0 offset:140
	;; [unrolled: 1-line block ×44, first 2 shown]
	v_mov_b32_e32 v136, 0
	ds_read_b128 v[9:12], v136 offset:624
	ds_read_b128 v[5:8], v136 offset:640
	s_clause 0x1
	buffer_load_dword v185, off, s[0:3], 0 offset:300
	buffer_load_dword v180, off, s[0:3], 0 offset:308
	ds_read_b128 v[1:4], v136 offset:656
	s_clause 0x9
	buffer_load_dword v179, off, s[0:3], 0 offset:316
	buffer_load_dword v167, off, s[0:3], 0 offset:324
	;; [unrolled: 1-line block ×10, first 2 shown]
	ds_read_b128 v[187:190], v136 offset:672
	s_mov_b32 s4, exec_lo
	s_waitcnt vmcnt(55) lgkmcnt(3)
	v_mul_f32_e32 v197, v9, v138
	v_mul_f32_e32 v138, v10, v138
	s_waitcnt vmcnt(54)
	v_mul_f32_e32 v198, v11, v139
	v_mul_f32_e32 v139, v12, v139
	s_waitcnt vmcnt(51)
	v_fmac_f32_e32 v197, v10, v144
	v_fma_f32 v144, v9, v144, -v138
	s_waitcnt vmcnt(50) lgkmcnt(2)
	v_mul_f32_e32 v199, v5, v143
	v_mul_f32_e32 v138, v6, v143
	v_fmac_f32_e32 v198, v12, v140
	v_fma_f32 v143, v11, v140, -v139
	ds_read_b128 v[9:12], v136 offset:688
	s_waitcnt vmcnt(49)
	v_mul_f32_e32 v200, v7, v141
	v_mul_f32_e32 v139, v8, v141
	v_fmac_f32_e32 v199, v6, v137
	v_fma_f32 v141, v5, v137, -v138
	s_waitcnt vmcnt(48) lgkmcnt(2)
	v_mul_f32_e32 v201, v1, v142
	v_mul_f32_e32 v137, v2, v142
	s_waitcnt vmcnt(44)
	v_fmac_f32_e32 v200, v8, v151
	v_fma_f32 v142, v7, v151, -v139
	ds_read_b128 v[5:8], v136 offset:704
	s_waitcnt vmcnt(43)
	v_mul_f32_e32 v151, v3, v150
	v_mul_f32_e32 v138, v4, v150
	v_fmac_f32_e32 v201, v2, v148
	v_fma_f32 v148, v1, v148, -v137
	s_waitcnt vmcnt(42) lgkmcnt(2)
	v_mul_f32_e32 v150, v187, v149
	v_mul_f32_e32 v137, v188, v149
	v_fmac_f32_e32 v151, v4, v146
	v_fma_f32 v146, v3, v146, -v138
	ds_read_b128 v[1:4], v136 offset:720
	s_waitcnt vmcnt(41)
	v_mul_f32_e32 v149, v189, v147
	v_mul_f32_e32 v138, v190, v147
	v_fmac_f32_e32 v150, v188, v145
	v_fma_f32 v145, v187, v145, -v137
	s_waitcnt vmcnt(40) lgkmcnt(2)
	v_mul_f32_e32 v147, v9, v152
	s_waitcnt vmcnt(36)
	v_fmac_f32_e32 v149, v190, v159
	v_fma_f32 v159, v189, v159, -v138
	ds_read_b128 v[137:140], v136 offset:736
	v_mul_f32_e32 v152, v10, v152
	s_waitcnt vmcnt(35)
	v_mul_f32_e32 v187, v11, v158
	v_mul_f32_e32 v158, v12, v158
	v_fmac_f32_e32 v147, v10, v156
	v_fma_f32 v152, v9, v156, -v152
	s_waitcnt vmcnt(34) lgkmcnt(2)
	v_mul_f32_e32 v156, v5, v157
	v_mul_f32_e32 v157, v6, v157
	v_fmac_f32_e32 v187, v12, v154
	v_fma_f32 v154, v11, v154, -v158
	s_waitcnt vmcnt(33)
	v_mul_f32_e32 v158, v7, v155
	v_mul_f32_e32 v155, v8, v155
	v_fmac_f32_e32 v156, v6, v153
	v_fma_f32 v153, v5, v153, -v157
	s_waitcnt vmcnt(32) lgkmcnt(1)
	v_mul_f32_e32 v157, v1, v160
	v_mul_f32_e32 v5, v2, v160
	ds_read_b128 v[9:12], v136 offset:752
	s_waitcnt vmcnt(28)
	v_fmac_f32_e32 v158, v8, v173
	v_fma_f32 v155, v7, v173, -v155
	s_clause 0x3
	buffer_load_dword v160, off, s[0:3], 0 offset:368
	buffer_load_dword v173, off, s[0:3], 0 offset:360
	;; [unrolled: 1-line block ×4, first 2 shown]
	s_waitcnt vmcnt(31)
	v_mul_f32_e32 v190, v3, v171
	v_mul_f32_e32 v6, v4, v171
	v_fmac_f32_e32 v157, v2, v169
	v_fma_f32 v169, v1, v169, -v5
	s_waitcnt vmcnt(30) lgkmcnt(1)
	v_mul_f32_e32 v171, v137, v165
	s_waitcnt vmcnt(29)
	v_mul_f32_e32 v202, v139, v166
	v_mul_f32_e32 v1, v138, v165
	;; [unrolled: 1-line block ×3, first 2 shown]
	s_clause 0x2
	buffer_load_dword v165, off, s[0:3], 0 offset:356
	buffer_load_dword v166, off, s[0:3], 0 offset:364
	;; [unrolled: 1-line block ×3, first 2 shown]
	v_fmac_f32_e32 v190, v4, v163
	v_fma_f32 v163, v3, v163, -v6
	v_fmac_f32_e32 v171, v138, v162
	v_fma_f32 v137, v137, v162, -v1
	s_waitcnt vmcnt(28)
	v_fma_f32 v138, v139, v184, -v2
	ds_read_b128 v[1:4], v136 offset:768
	v_add_f32_e32 v5, 0, v197
	s_waitcnt vmcnt(27) lgkmcnt(1)
	v_mul_f32_e32 v6, v10, v181
	v_add_f32_e32 v8, 0, v144
	v_fmac_f32_e32 v202, v140, v184
	v_mul_f32_e32 v139, v9, v181
	v_add_f32_e32 v5, v5, v198
	v_fma_f32 v144, v9, v178, -v6
	v_add_f32_e32 v6, v8, v143
	s_waitcnt vmcnt(26)
	v_mul_f32_e32 v140, v11, v182
	v_mul_f32_e32 v7, v12, v182
	v_add_f32_e32 v5, v5, v199
	v_fmac_f32_e32 v139, v10, v178
	v_add_f32_e32 v6, v6, v141
	v_fmac_f32_e32 v140, v12, v177
	v_fma_f32 v162, v11, v177, -v7
	v_add_f32_e32 v5, v5, v200
	s_clause 0x7
	buffer_load_dword v177, off, s[0:3], 0 offset:380
	buffer_load_dword v178, off, s[0:3], 0 offset:388
	;; [unrolled: 1-line block ×8, first 2 shown]
	v_add_f32_e32 v6, v6, v142
	s_clause 0x1
	buffer_load_dword v200, off, s[0:3], 0 offset:412
	buffer_load_dword v204, off, s[0:3], 0 offset:420
	s_waitcnt vmcnt(35) lgkmcnt(0)
	v_mul_f32_e32 v141, v1, v174
	v_mul_f32_e32 v7, v2, v174
	v_add_f32_e32 v5, v5, v201
	s_waitcnt vmcnt(34)
	v_mul_f32_e32 v143, v3, v170
	s_clause 0x1
	buffer_load_dword v174, off, s[0:3], 0 offset:428
	buffer_load_dword v201, off, s[0:3], 0 offset:436
	v_fmac_f32_e32 v141, v2, v172
	v_fma_f32 v142, v1, v172, -v7
	v_add_f32_e32 v1, v6, v148
	v_add_f32_e32 v2, v5, v151
	s_clause 0x3
	buffer_load_dword v172, off, s[0:3], 0 offset:444
	buffer_load_dword v205, off, s[0:3], 0 offset:452
	;; [unrolled: 1-line block ×4, first 2 shown]
	s_waitcnt vmcnt(36)
	v_fmac_f32_e32 v143, v4, v183
	buffer_load_dword v208, off, s[0:3], 0 offset:476
	v_add_f32_e32 v1, v1, v146
	v_add_f32_e32 v5, v2, v150
	v_mul_f32_e32 v2, v4, v170
	buffer_load_dword v170, off, s[0:3], 0 offset:484
	v_add_f32_e32 v6, v1, v145
	v_add_f32_e32 v5, v5, v149
	v_fma_f32 v145, v3, v183, -v2
	ds_read_b128 v[1:4], v136 offset:784
	v_add_f32_e32 v6, v6, v159
	v_add_f32_e32 v5, v5, v147
	s_clause 0x3
	buffer_load_dword v159, off, s[0:3], 0 offset:432
	buffer_load_dword v183, off, s[0:3], 0 offset:424
	;; [unrolled: 1-line block ×4, first 2 shown]
	v_add_f32_e32 v6, v6, v152
	v_add_f32_e32 v5, v5, v187
	;; [unrolled: 1-line block ×4, first 2 shown]
	ds_read_b128 v[5:8], v136 offset:800
	v_add_f32_e32 v9, v9, v153
	v_add_f32_e32 v10, v10, v158
	s_waitcnt vmcnt(41) lgkmcnt(1)
	v_mul_f32_e32 v146, v1, v176
	v_mul_f32_e32 v11, v2, v176
	s_waitcnt vmcnt(40)
	v_mul_f32_e32 v148, v3, v185
	v_fmac_f32_e32 v146, v2, v175
	v_fma_f32 v147, v1, v175, -v11
	v_add_f32_e32 v1, v9, v155
	v_add_f32_e32 v2, v10, v157
	s_clause 0x3
	buffer_load_dword v155, off, s[0:3], 0 offset:464
	buffer_load_dword v156, off, s[0:3], 0 offset:456
	;; [unrolled: 1-line block ×4, first 2 shown]
	v_mul_f32_e32 v9, v4, v185
	v_fmac_f32_e32 v148, v4, v168
	v_add_f32_e32 v1, v1, v169
	s_clause 0x1
	buffer_load_dword v169, off, s[0:3], 0 offset:480
	buffer_load_dword v175, off, s[0:3], 0 offset:472
	v_add_f32_e32 v2, v2, v190
	s_waitcnt vmcnt(45) lgkmcnt(0)
	v_mul_f32_e32 v150, v5, v180
	s_waitcnt vmcnt(44)
	v_mul_f32_e32 v151, v7, v179
	v_add_f32_e32 v1, v1, v163
	buffer_load_dword v163, off, s[0:3], 0 offset:120
	v_add_f32_e32 v2, v2, v171
	v_fma_f32 v149, v3, v168, -v9
	v_fmac_f32_e32 v150, v6, v161
	v_add_f32_e32 v10, v1, v137
	s_waitcnt vmcnt(38)
	v_fmac_f32_e32 v151, v8, v195
	v_add_f32_e32 v137, v2, v202
	ds_read_b128 v[1:4], v136 offset:816
	v_add_f32_e32 v138, v10, v138
	ds_read_b128 v[9:12], v136 offset:832
	v_add_f32_e32 v137, v137, v139
	v_mul_f32_e32 v139, v6, v180
	v_add_f32_e32 v138, v138, v144
	v_mul_f32_e32 v144, v8, v179
	v_add_f32_e32 v153, v137, v140
	v_fma_f32 v152, v5, v161, -v139
	v_fma_f32 v154, v7, v195, -v144
	v_add_f32_e32 v144, v138, v162
	v_add_f32_e32 v141, v153, v141
	ds_read_b128 v[5:8], v136 offset:848
	ds_read_b128 v[137:140], v136 offset:864
	v_add_f32_e32 v142, v144, v142
	v_add_f32_e32 v141, v141, v143
	s_waitcnt lgkmcnt(3)
	v_mul_f32_e32 v161, v2, v167
	v_mul_f32_e32 v153, v1, v167
	;; [unrolled: 1-line block ×3, first 2 shown]
	v_add_f32_e32 v142, v142, v145
	v_add_f32_e32 v146, v141, v146
	v_fma_f32 v161, v1, v194, -v161
	v_mul_f32_e32 v162, v3, v164
	v_fmac_f32_e32 v153, v2, v194
	v_add_f32_e32 v147, v142, v147
	v_add_f32_e32 v179, v146, v148
	s_waitcnt lgkmcnt(2)
	v_mul_f32_e32 v145, v10, v192
	v_fma_f32 v168, v3, v193, -v144
	v_mul_f32_e32 v164, v9, v192
	v_add_f32_e32 v149, v147, v149
	v_add_f32_e32 v150, v179, v150
	v_fmac_f32_e32 v162, v4, v193
	s_waitcnt vmcnt(37)
	v_mul_f32_e32 v171, v12, v196
	v_fma_f32 v176, v9, v191, -v145
	v_add_f32_e32 v149, v149, v152
	v_mul_f32_e32 v167, v11, v196
	v_fmac_f32_e32 v164, v10, v191
	ds_read_b128 v[1:4], v136 offset:880
	ds_read_b128 v[141:144], v136 offset:896
	v_add_f32_e32 v149, v149, v154
	v_add_f32_e32 v161, v149, v161
	;; [unrolled: 1-line block ×4, first 2 shown]
	s_waitcnt vmcnt(32)
	v_fma_f32 v171, v11, v189, -v171
	v_fmac_f32_e32 v167, v12, v189
	ds_read_b128 v[9:12], v136 offset:912
	ds_read_b128 v[145:148], v136 offset:928
	v_add_f32_e32 v161, v161, v171
	s_waitcnt vmcnt(31) lgkmcnt(5)
	v_mul_f32_e32 v179, v5, v165
	s_waitcnt vmcnt(30)
	v_mul_f32_e32 v180, v7, v166
	v_mul_f32_e32 v152, v6, v165
	;; [unrolled: 1-line block ×3, first 2 shown]
	s_waitcnt vmcnt(29) lgkmcnt(4)
	v_mul_f32_e32 v185, v138, v203
	v_fmac_f32_e32 v179, v6, v188
	v_add_f32_e32 v6, v150, v151
	v_fmac_f32_e32 v180, v8, v173
	v_fma_f32 v165, v7, v173, -v165
	v_fma_f32 v166, v5, v188, -v152
	v_add_f32_e32 v173, v6, v153
	ds_read_b128 v[5:8], v136 offset:944
	ds_read_b128 v[149:152], v136 offset:960
	ds_read_b64 v[153:154], v136 offset:976
	v_add_f32_e32 v161, v161, v166
	v_add_f32_e32 v162, v173, v162
	v_mul_f32_e32 v173, v137, v203
	v_fma_f32 v137, v137, v160, -v185
	s_waitcnt vmcnt(28)
	v_mul_f32_e32 v168, v139, v177
	v_mul_f32_e32 v177, v140, v177
	v_add_f32_e32 v162, v162, v164
	v_fmac_f32_e32 v173, v138, v160
	v_add_f32_e32 v161, v161, v165
	s_waitcnt vmcnt(27) lgkmcnt(6)
	v_mul_f32_e32 v164, v1, v178
	v_mul_f32_e32 v171, v2, v178
	v_add_f32_e32 v160, v162, v167
	s_waitcnt vmcnt(21)
	v_fma_f32 v139, v139, v199, -v177
	v_add_f32_e32 v137, v161, v137
	v_fmac_f32_e32 v168, v140, v199
	v_mul_f32_e32 v165, v4, v181
	v_add_f32_e32 v160, v160, v179
	v_fmac_f32_e32 v164, v2, v198
	v_fma_f32 v1, v1, v198, -v171
	v_add_f32_e32 v2, v137, v139
	v_mul_f32_e32 v176, v3, v181
	v_add_f32_e32 v160, v160, v180
	s_waitcnt lgkmcnt(5)
	v_mul_f32_e32 v139, v142, v182
	v_fma_f32 v3, v3, v197, -v165
	v_add_f32_e32 v1, v2, v1
	v_mul_f32_e32 v138, v141, v182
	v_add_f32_e32 v160, v160, v173
	v_fmac_f32_e32 v176, v4, v197
	s_waitcnt vmcnt(20)
	v_mul_f32_e32 v4, v144, v200
	v_add_f32_e32 v1, v1, v3
	v_mul_f32_e32 v162, v143, v200
	v_add_f32_e32 v137, v160, v168
	v_fmac_f32_e32 v138, v142, v184
	s_waitcnt vmcnt(19) lgkmcnt(4)
	v_mul_f32_e32 v3, v10, v204
	v_mul_f32_e32 v167, v9, v204
	s_waitcnt vmcnt(18)
	v_mul_f32_e32 v140, v11, v174
	v_add_f32_e32 v2, v137, v164
	v_fma_f32 v137, v141, v184, -v139
	s_waitcnt vmcnt(7)
	v_fma_f32 v4, v143, v210, -v4
	v_fmac_f32_e32 v162, v144, v210
	v_fma_f32 v3, v9, v209, -v3
	v_add_f32_e32 v2, v2, v176
	v_add_f32_e32 v1, v1, v137
	v_mul_f32_e32 v137, v12, v174
	v_fmac_f32_e32 v167, v10, v209
	s_waitcnt lgkmcnt(3)
	v_mul_f32_e32 v177, v145, v201
	v_add_f32_e32 v2, v2, v138
	v_add_f32_e32 v1, v1, v4
	v_mul_f32_e32 v4, v146, v201
	v_fma_f32 v9, v11, v183, -v137
	v_fmac_f32_e32 v140, v12, v183
	v_add_f32_e32 v2, v2, v162
	v_add_f32_e32 v1, v1, v3
	v_mul_f32_e32 v3, v148, v172
	v_fma_f32 v4, v145, v159, -v4
	v_mul_f32_e32 v166, v147, v172
	v_add_f32_e32 v2, v2, v167
	v_add_f32_e32 v1, v1, v9
	v_fmac_f32_e32 v177, v146, v159
	s_waitcnt lgkmcnt(2)
	v_mul_f32_e32 v9, v6, v205
	v_mul_f32_e32 v178, v5, v205
	v_add_f32_e32 v2, v2, v140
	s_waitcnt vmcnt(3)
	v_fma_f32 v3, v147, v158, -v3
	v_add_f32_e32 v1, v1, v4
	v_fmac_f32_e32 v166, v148, v158
	v_mul_f32_e32 v4, v8, v206
	v_add_f32_e32 v2, v2, v177
	v_fma_f32 v5, v5, v157, -v9
	v_add_f32_e32 v1, v1, v3
	v_mul_f32_e32 v179, v7, v206
	v_fmac_f32_e32 v178, v6, v157
	v_add_f32_e32 v2, v2, v166
	s_waitcnt lgkmcnt(1)
	v_mul_f32_e32 v3, v150, v207
	v_fma_f32 v4, v7, v156, -v4
	v_add_f32_e32 v1, v1, v5
	v_mul_f32_e32 v180, v149, v207
	v_fmac_f32_e32 v179, v8, v156
	v_add_f32_e32 v2, v2, v178
	v_mul_f32_e32 v5, v152, v208
	v_fma_f32 v3, v149, v155, -v3
	v_add_f32_e32 v1, v1, v4
	v_mul_f32_e32 v181, v151, v208
	v_fmac_f32_e32 v180, v150, v155
	v_add_f32_e32 v2, v2, v179
	s_waitcnt lgkmcnt(0)
	v_mul_f32_e32 v4, v154, v170
	s_waitcnt vmcnt(1)
	v_fma_f32 v5, v151, v175, -v5
	v_add_f32_e32 v1, v1, v3
	v_mul_f32_e32 v161, v153, v170
	v_fmac_f32_e32 v181, v152, v175
	v_add_f32_e32 v2, v2, v180
	v_fma_f32 v3, v153, v169, -v4
	v_add_f32_e32 v1, v1, v5
	v_fmac_f32_e32 v161, v154, v169
	v_add_f32_e32 v2, v2, v181
	v_add_f32_e32 v1, v1, v3
	;; [unrolled: 1-line block ×3, first 2 shown]
	s_waitcnt vmcnt(0)
	v_sub_f32_e32 v1, v163, v1
	v_sub_f32_e32 v2, v186, v2
	buffer_store_dword v1, off, s[0:3], 0 offset:120
	buffer_store_dword v2, off, s[0:3], 0 offset:124
	v_cmpx_lt_u32_e32 14, v0
	s_cbranch_execz .LBB124_351
; %bb.350:
	s_clause 0x1
	buffer_load_dword v1, off, s[0:3], 0 offset:112
	buffer_load_dword v2, off, s[0:3], 0 offset:116
	buffer_store_dword v136, off, s[0:3], 0 offset:112
	buffer_store_dword v136, off, s[0:3], 0 offset:116
	s_waitcnt vmcnt(0)
	ds_write_b64 v135, v[1:2]
.LBB124_351:
	s_or_b32 exec_lo, exec_lo, s4
	s_waitcnt lgkmcnt(0)
	s_waitcnt_vscnt null, 0x0
	s_barrier
	buffer_gl0_inv
	s_clause 0x2c
	buffer_load_dword v177, off, s[0:3], 0 offset:124
	buffer_load_dword v178, off, s[0:3], 0 offset:132
	;; [unrolled: 1-line block ×45, first 2 shown]
	ds_read2_b64 v[5:8], v136 offset0:77 offset1:78
	buffer_load_dword v171, off, s[0:3], 0 offset:300
	ds_read2_b64 v[1:4], v136 offset0:79 offset1:80
	ds_read2_b64 v[187:190], v136 offset0:81 offset1:82
	s_clause 0x7
	buffer_load_dword v185, off, s[0:3], 0 offset:308
	buffer_load_dword v183, off, s[0:3], 0 offset:316
	;; [unrolled: 1-line block ×8, first 2 shown]
	ds_read2_b64 v[191:194], v136 offset0:83 offset1:84
	s_mov_b32 s4, exec_lo
	s_waitcnt vmcnt(53) lgkmcnt(3)
	v_mul_f32_e32 v195, v5, v177
	s_waitcnt vmcnt(52)
	v_mul_f32_e32 v196, v7, v178
	v_mul_f32_e32 v197, v6, v177
	;; [unrolled: 1-line block ×3, first 2 shown]
	buffer_load_dword v177, off, s[0:3], 0 offset:116
	s_waitcnt vmcnt(50)
	v_fmac_f32_e32 v195, v6, v139
	v_fmac_f32_e32 v196, v8, v138
	v_fma_f32 v197, v5, v139, -v197
	v_fma_f32 v178, v7, v138, -v178
	ds_read2_b64 v[5:8], v136 offset0:85 offset1:86
	s_waitcnt vmcnt(49) lgkmcnt(3)
	v_mul_f32_e32 v198, v1, v12
	v_mul_f32_e32 v12, v2, v12
	s_waitcnt vmcnt(48)
	v_mul_f32_e32 v199, v3, v11
	v_mul_f32_e32 v11, v4, v11
	s_waitcnt vmcnt(47) lgkmcnt(2)
	v_mul_f32_e32 v200, v187, v10
	v_fmac_f32_e32 v198, v2, v9
	v_fma_f32 v201, v1, v9, -v12
	s_waitcnt vmcnt(46)
	v_mul_f32_e32 v202, v189, v137
	v_mul_f32_e32 v9, v188, v10
	v_mul_f32_e32 v10, v190, v137
	s_waitcnt vmcnt(42)
	v_fmac_f32_e32 v199, v4, v145
	v_fma_f32 v145, v3, v145, -v11
	ds_read2_b64 v[1:4], v136 offset0:87 offset1:88
	v_fmac_f32_e32 v200, v188, v144
	v_fmac_f32_e32 v202, v190, v142
	v_fma_f32 v144, v187, v144, -v9
	v_fma_f32 v142, v189, v142, -v10
	ds_read2_b64 v[9:12], v136 offset0:89 offset1:90
	s_waitcnt vmcnt(41) lgkmcnt(3)
	v_mul_f32_e32 v187, v191, v143
	v_mul_f32_e32 v137, v192, v143
	s_waitcnt vmcnt(40)
	v_mul_f32_e32 v143, v193, v141
	v_mul_f32_e32 v138, v194, v141
	s_waitcnt vmcnt(39) lgkmcnt(2)
	v_mul_f32_e32 v141, v5, v146
	v_fmac_f32_e32 v187, v192, v140
	v_fma_f32 v188, v191, v140, -v137
	s_waitcnt vmcnt(34)
	v_fmac_f32_e32 v143, v194, v153
	v_fma_f32 v153, v193, v153, -v138
	ds_read2_b64 v[137:140], v136 offset0:91 offset1:92
	v_mul_f32_e32 v189, v7, v147
	v_mul_f32_e32 v146, v6, v146
	;; [unrolled: 1-line block ×3, first 2 shown]
	v_fmac_f32_e32 v141, v6, v152
	v_fmac_f32_e32 v189, v8, v150
	v_fma_f32 v146, v5, v152, -v146
	v_fma_f32 v147, v7, v150, -v147
	ds_read2_b64 v[5:8], v136 offset0:93 offset1:94
	s_waitcnt vmcnt(33) lgkmcnt(3)
	v_mul_f32_e32 v150, v1, v151
	v_mul_f32_e32 v151, v2, v151
	s_waitcnt vmcnt(32)
	v_mul_f32_e32 v152, v3, v149
	v_mul_f32_e32 v149, v4, v149
	s_waitcnt vmcnt(31) lgkmcnt(2)
	v_mul_f32_e32 v190, v9, v154
	v_fmac_f32_e32 v150, v2, v148
	v_fma_f32 v148, v1, v148, -v151
	s_waitcnt vmcnt(30)
	v_mul_f32_e32 v151, v11, v155
	v_mul_f32_e32 v155, v12, v155
	s_waitcnt vmcnt(26)
	v_fmac_f32_e32 v152, v4, v162
	v_fma_f32 v149, v3, v162, -v149
	ds_read2_b64 v[1:4], v136 offset0:95 offset1:96
	v_mul_f32_e32 v154, v10, v154
	v_fmac_f32_e32 v151, v12, v159
	v_fma_f32 v155, v11, v159, -v155
	s_waitcnt vmcnt(25) lgkmcnt(2)
	v_mul_f32_e32 v159, v137, v157
	v_mul_f32_e32 v157, v138, v157
	v_fmac_f32_e32 v190, v10, v161
	v_fma_f32 v154, v9, v161, -v154
	ds_read2_b64 v[9:12], v136 offset0:97 offset1:98
	v_fmac_f32_e32 v159, v138, v156
	v_fma_f32 v137, v137, v156, -v157
	s_clause 0x1
	buffer_load_dword v156, off, s[0:3], 0 offset:340
	buffer_load_dword v157, off, s[0:3], 0 offset:348
	s_waitcnt vmcnt(26)
	v_mul_f32_e32 v161, v139, v158
	v_mul_f32_e32 v158, v140, v158
	s_waitcnt vmcnt(25) lgkmcnt(2)
	v_mul_f32_e32 v162, v5, v163
	v_mul_f32_e32 v163, v6, v163
	s_waitcnt vmcnt(21)
	v_fmac_f32_e32 v161, v140, v170
	v_fma_f32 v138, v139, v170, -v158
	s_waitcnt vmcnt(20)
	v_mul_f32_e32 v139, v7, v169
	v_mul_f32_e32 v140, v8, v169
	v_fmac_f32_e32 v162, v6, v168
	v_fma_f32 v158, v5, v168, -v163
	s_clause 0x3
	buffer_load_dword v163, off, s[0:3], 0 offset:360
	buffer_load_dword v168, off, s[0:3], 0 offset:352
	;; [unrolled: 1-line block ×4, first 2 shown]
	v_fmac_f32_e32 v139, v8, v165
	v_fma_f32 v140, v7, v165, -v140
	s_waitcnt vmcnt(23) lgkmcnt(1)
	v_mul_f32_e32 v165, v1, v166
	s_waitcnt vmcnt(22)
	v_mul_f32_e32 v191, v3, v167
	v_mul_f32_e32 v5, v2, v166
	v_mul_f32_e32 v6, v4, v167
	s_clause 0x1
	buffer_load_dword v166, off, s[0:3], 0 offset:356
	buffer_load_dword v167, off, s[0:3], 0 offset:364
	s_waitcnt vmcnt(18) lgkmcnt(0)
	v_mul_f32_e32 v194, v11, v175
	v_fmac_f32_e32 v191, v4, v176
	v_fmac_f32_e32 v165, v2, v164
	v_fma_f32 v176, v3, v176, -v6
	v_mul_f32_e32 v6, v12, v175
	v_fma_f32 v164, v1, v164, -v5
	v_mul_f32_e32 v193, v9, v174
	v_mul_f32_e32 v5, v10, v174
	v_fmac_f32_e32 v194, v12, v172
	v_fma_f32 v172, v11, v172, -v6
	v_add_f32_e32 v6, 0, v197
	v_fmac_f32_e32 v193, v10, v173
	v_fma_f32 v173, v9, v173, -v5
	v_add_f32_e32 v5, 0, v195
	buffer_load_dword v192, off, s[0:3], 0 offset:372
	v_add_f32_e32 v6, v6, v178
	ds_read2_b64 v[1:4], v136 offset0:99 offset1:100
	s_clause 0x3
	buffer_load_dword v174, off, s[0:3], 0 offset:392
	buffer_load_dword v175, off, s[0:3], 0 offset:384
	;; [unrolled: 1-line block ×4, first 2 shown]
	v_add_f32_e32 v5, v5, v196
	s_clause 0x2
	buffer_load_dword v196, off, s[0:3], 0 offset:380
	buffer_load_dword v178, off, s[0:3], 0 offset:388
	;; [unrolled: 1-line block ×3, first 2 shown]
	v_add_f32_e32 v6, v6, v201
	v_add_f32_e32 v5, v5, v198
	;; [unrolled: 1-line block ×4, first 2 shown]
	s_clause 0x2
	buffer_load_dword v198, off, s[0:3], 0 offset:404
	buffer_load_dword v199, off, s[0:3], 0 offset:412
	;; [unrolled: 1-line block ×3, first 2 shown]
	v_add_f32_e32 v6, v6, v144
	v_add_f32_e32 v5, v5, v200
	s_clause 0x2
	buffer_load_dword v200, off, s[0:3], 0 offset:428
	buffer_load_dword v204, off, s[0:3], 0 offset:436
	;; [unrolled: 1-line block ×3, first 2 shown]
	s_waitcnt vmcnt(31) lgkmcnt(0)
	v_mul_f32_e32 v145, v1, v171
	v_add_f32_e32 v6, v6, v142
	v_add_f32_e32 v5, v5, v202
	s_clause 0x2
	buffer_load_dword v202, off, s[0:3], 0 offset:452
	buffer_load_dword v206, off, s[0:3], 0 offset:460
	;; [unrolled: 1-line block ×3, first 2 shown]
	v_mul_f32_e32 v7, v2, v171
	v_add_f32_e32 v6, v6, v188
	v_add_f32_e32 v5, v5, v187
	s_clause 0x1
	buffer_load_dword v187, off, s[0:3], 0 offset:476
	buffer_load_dword v188, off, s[0:3], 0 offset:484
	v_fmac_f32_e32 v145, v2, v160
	v_add_f32_e32 v6, v6, v153
	s_clause 0x3
	buffer_load_dword v153, off, s[0:3], 0 offset:424
	buffer_load_dword v208, off, s[0:3], 0 offset:416
	;; [unrolled: 1-line block ×4, first 2 shown]
	v_add_f32_e32 v5, v5, v143
	v_add_f32_e32 v6, v6, v146
	v_fma_f32 v146, v1, v160, -v7
	v_add_f32_e32 v5, v5, v141
	v_add_f32_e32 v6, v6, v147
	;; [unrolled: 1-line block ×3, first 2 shown]
	s_clause 0x3
	buffer_load_dword v189, off, s[0:3], 0 offset:456
	buffer_load_dword v211, off, s[0:3], 0 offset:448
	;; [unrolled: 1-line block ×4, first 2 shown]
	v_add_f32_e32 v6, v6, v148
	v_add_f32_e32 v5, v5, v150
	;; [unrolled: 1-line block ×3, first 2 shown]
	s_waitcnt vmcnt(43)
	v_mul_f32_e32 v149, v3, v185
	v_add_f32_e32 v5, v5, v152
	v_add_f32_e32 v6, v6, v154
	s_waitcnt vmcnt(36)
	v_fmac_f32_e32 v149, v4, v186
	v_add_f32_e32 v5, v5, v190
	s_clause 0x3
	buffer_load_dword v190, off, s[0:3], 0 offset:480
	buffer_load_dword v214, off, s[0:3], 0 offset:472
	;; [unrolled: 1-line block ×4, first 2 shown]
	v_add_f32_e32 v6, v6, v155
	v_add_f32_e32 v5, v5, v151
	;; [unrolled: 1-line block ×4, first 2 shown]
	ds_read2_b64 v[5:8], v136 offset0:101 offset1:102
	v_add_f32_e32 v9, v1, v138
	v_mul_f32_e32 v1, v4, v185
	v_add_f32_e32 v10, v2, v161
	v_add_f32_e32 v137, v9, v158
	v_fma_f32 v150, v3, v186, -v1
	ds_read2_b64 v[1:4], v136 offset0:103 offset1:104
	v_add_f32_e32 v138, v10, v162
	ds_read2_b64 v[9:12], v136 offset0:105 offset1:106
	v_add_f32_e32 v137, v137, v140
	v_add_f32_e32 v138, v138, v139
	v_add_f32_e32 v141, v137, v164
	s_waitcnt lgkmcnt(2)
	v_mul_f32_e32 v140, v6, v183
	v_mul_f32_e32 v151, v5, v183
	;; [unrolled: 1-line block ×3, first 2 shown]
	v_fma_f32 v152, v5, v184, -v140
	v_add_f32_e32 v5, v138, v165
	v_fmac_f32_e32 v151, v6, v184
	v_add_f32_e32 v6, v141, v176
	ds_read2_b64 v[137:140], v136 offset0:107 offset1:108
	s_waitcnt lgkmcnt(2)
	v_mul_f32_e32 v142, v2, v181
	v_add_f32_e32 v5, v5, v191
	v_mul_f32_e32 v158, v1, v181
	v_add_f32_e32 v6, v6, v173
	v_mul_f32_e32 v141, v8, v182
	v_fma_f32 v161, v1, v179, -v142
	v_add_f32_e32 v5, v5, v193
	v_fmac_f32_e32 v158, v2, v179
	v_add_f32_e32 v1, v6, v172
	v_fma_f32 v160, v7, v180, -v141
	v_fmac_f32_e32 v155, v8, v180
	v_add_f32_e32 v2, v5, v194
	ds_read2_b64 v[5:8], v136 offset0:109 offset1:110
	ds_read2_b64 v[141:144], v136 offset0:111 offset1:112
	s_waitcnt vmcnt(38)
	v_mul_f32_e32 v159, v3, v156
	v_mul_f32_e32 v147, v4, v156
	s_waitcnt vmcnt(37) lgkmcnt(3)
	v_mul_f32_e32 v156, v9, v157
	v_mul_f32_e32 v148, v10, v157
	s_waitcnt vmcnt(34)
	v_fmac_f32_e32 v156, v10, v169
	v_add_f32_e32 v10, v1, v146
	v_fma_f32 v162, v9, v169, -v148
	v_add_f32_e32 v9, v2, v145
	s_waitcnt vmcnt(33)
	v_fma_f32 v157, v3, v170, -v147
	v_fmac_f32_e32 v159, v4, v170
	v_add_f32_e32 v10, v10, v150
	s_waitcnt vmcnt(32)
	v_mul_f32_e32 v164, v11, v166
	v_add_f32_e32 v9, v9, v149
	s_waitcnt vmcnt(31) lgkmcnt(2)
	v_mul_f32_e32 v165, v137, v167
	v_mul_f32_e32 v149, v138, v167
	v_add_f32_e32 v10, v10, v152
	v_mul_f32_e32 v150, v12, v166
	v_fmac_f32_e32 v164, v12, v168
	v_fmac_f32_e32 v165, v138, v163
	v_fma_f32 v163, v137, v163, -v149
	v_add_f32_e32 v137, v9, v151
	v_add_f32_e32 v160, v10, v160
	v_fma_f32 v168, v11, v168, -v150
	ds_read2_b64 v[1:4], v136 offset0:113 offset1:114
	ds_read2_b64 v[145:148], v136 offset0:115 offset1:116
	;; [unrolled: 1-line block ×4, first 2 shown]
	v_add_f32_e32 v155, v137, v155
	v_add_f32_e32 v160, v160, v161
	s_waitcnt vmcnt(30)
	v_mul_f32_e32 v166, v139, v192
	v_mul_f32_e32 v167, v140, v192
	v_add_f32_e32 v155, v155, v158
	v_add_f32_e32 v157, v160, v157
	s_waitcnt vmcnt(26)
	v_fmac_f32_e32 v166, v140, v203
	v_fma_f32 v140, v139, v203, -v167
	s_waitcnt vmcnt(25) lgkmcnt(5)
	v_mul_f32_e32 v161, v6, v196
	v_add_f32_e32 v155, v155, v159
	v_add_f32_e32 v157, v157, v162
	v_mul_f32_e32 v167, v5, v196
	s_waitcnt vmcnt(24)
	v_mul_f32_e32 v169, v8, v178
	v_fma_f32 v5, v5, v195, -v161
	v_add_f32_e32 v155, v155, v156
	v_add_f32_e32 v157, v157, v168
	v_mul_f32_e32 v158, v7, v178
	v_fmac_f32_e32 v167, v6, v195
	v_fma_f32 v7, v7, v175, -v169
	v_add_f32_e32 v155, v155, v164
	v_add_f32_e32 v157, v157, v163
	s_waitcnt vmcnt(23) lgkmcnt(4)
	v_mul_f32_e32 v160, v141, v197
	v_fmac_f32_e32 v158, v8, v175
	s_waitcnt vmcnt(22)
	v_mul_f32_e32 v159, v143, v198
	v_add_f32_e32 v155, v155, v165
	v_add_f32_e32 v140, v157, v140
	v_mul_f32_e32 v157, v142, v197
	v_fmac_f32_e32 v160, v142, v174
	s_waitcnt vmcnt(21) lgkmcnt(3)
	v_mul_f32_e32 v170, v1, v199
	v_add_f32_e32 v155, v155, v166
	v_add_f32_e32 v5, v140, v5
	v_mul_f32_e32 v140, v144, v198
	v_fma_f32 v141, v141, v174, -v157
	s_waitcnt vmcnt(20)
	v_mul_f32_e32 v162, v3, v201
	v_add_f32_e32 v8, v155, v167
	v_add_f32_e32 v5, v5, v7
	s_waitcnt vmcnt(8)
	v_fma_f32 v140, v143, v210, -v140
	v_fmac_f32_e32 v159, v144, v210
	v_fmac_f32_e32 v170, v2, v209
	v_add_f32_e32 v7, v8, v158
	v_mul_f32_e32 v8, v2, v199
	v_add_f32_e32 v5, v5, v141
	v_mul_f32_e32 v141, v4, v201
	s_waitcnt lgkmcnt(2)
	v_mul_f32_e32 v156, v145, v200
	v_add_f32_e32 v7, v7, v160
	v_fma_f32 v1, v1, v209, -v8
	v_add_f32_e32 v2, v5, v140
	v_fma_f32 v3, v3, v208, -v141
	v_fmac_f32_e32 v162, v4, v208
	v_add_f32_e32 v5, v7, v159
	v_mul_f32_e32 v7, v146, v200
	v_add_f32_e32 v1, v2, v1
	v_mul_f32_e32 v4, v148, v204
	v_mul_f32_e32 v171, v147, v204
	v_add_f32_e32 v2, v5, v170
	v_fma_f32 v5, v145, v153, -v7
	v_add_f32_e32 v1, v1, v3
	v_fmac_f32_e32 v156, v146, v153
	ds_read2_b64 v[136:139], v136 offset0:121 offset1:122
	v_add_f32_e32 v2, v2, v162
	s_waitcnt lgkmcnt(2)
	v_mul_f32_e32 v3, v10, v205
	s_waitcnt vmcnt(4)
	v_fma_f32 v4, v147, v213, -v4
	v_add_f32_e32 v1, v1, v5
	v_mul_f32_e32 v168, v9, v205
	v_fmac_f32_e32 v171, v148, v213
	v_add_f32_e32 v2, v2, v156
	v_mul_f32_e32 v5, v12, v202
	v_fma_f32 v3, v9, v212, -v3
	v_add_f32_e32 v1, v1, v4
	v_mul_f32_e32 v164, v11, v202
	v_fmac_f32_e32 v168, v10, v212
	v_add_f32_e32 v2, v2, v171
	s_waitcnt lgkmcnt(1)
	v_mul_f32_e32 v4, v150, v206
	v_fma_f32 v5, v11, v211, -v5
	v_add_f32_e32 v1, v1, v3
	v_mul_f32_e32 v172, v149, v206
	v_fmac_f32_e32 v164, v12, v211
	v_add_f32_e32 v2, v2, v168
	v_mul_f32_e32 v3, v152, v207
	v_fma_f32 v4, v149, v189, -v4
	v_add_f32_e32 v1, v1, v5
	v_mul_f32_e32 v163, v151, v207
	v_fmac_f32_e32 v172, v150, v189
	v_add_f32_e32 v2, v2, v164
	s_waitcnt lgkmcnt(0)
	v_mul_f32_e32 v5, v137, v187
	s_waitcnt vmcnt(1)
	v_fma_f32 v3, v151, v215, -v3
	v_add_f32_e32 v1, v1, v4
	v_mul_f32_e32 v165, v136, v187
	v_fmac_f32_e32 v163, v152, v215
	v_add_f32_e32 v2, v2, v172
	v_mul_f32_e32 v4, v139, v188
	v_fma_f32 v5, v136, v214, -v5
	v_add_f32_e32 v1, v1, v3
	v_mul_f32_e32 v6, v138, v188
	v_fmac_f32_e32 v165, v137, v214
	v_add_f32_e32 v2, v2, v163
	v_fma_f32 v3, v138, v190, -v4
	v_add_f32_e32 v1, v1, v5
	v_fmac_f32_e32 v6, v139, v190
	v_add_f32_e32 v2, v2, v165
	v_add_f32_e32 v1, v1, v3
	;; [unrolled: 1-line block ×3, first 2 shown]
	s_waitcnt vmcnt(0)
	v_sub_f32_e32 v1, v154, v1
	v_sub_f32_e32 v2, v177, v2
	buffer_store_dword v1, off, s[0:3], 0 offset:112
	buffer_store_dword v2, off, s[0:3], 0 offset:116
	v_cmpx_lt_u32_e32 13, v0
	s_cbranch_execz .LBB124_353
; %bb.352:
	s_clause 0x1
	buffer_load_dword v1, off, s[0:3], 0 offset:104
	buffer_load_dword v2, off, s[0:3], 0 offset:108
	v_mov_b32_e32 v3, 0
	buffer_store_dword v3, off, s[0:3], 0 offset:104
	buffer_store_dword v3, off, s[0:3], 0 offset:108
	s_waitcnt vmcnt(0)
	ds_write_b64 v135, v[1:2]
.LBB124_353:
	s_or_b32 exec_lo, exec_lo, s4
	s_waitcnt lgkmcnt(0)
	s_waitcnt_vscnt null, 0x0
	s_barrier
	buffer_gl0_inv
	s_clause 0x2c
	buffer_load_dword v11, off, s[0:3], 0 offset:116
	buffer_load_dword v12, off, s[0:3], 0 offset:124
	;; [unrolled: 1-line block ×45, first 2 shown]
	v_mov_b32_e32 v9, 0
	ds_read_b128 v[5:8], v9 offset:608
	ds_read_b128 v[1:4], v9 offset:624
	s_clause 0x9
	buffer_load_dword v184, off, s[0:3], 0 offset:292
	buffer_load_dword v181, off, s[0:3], 0 offset:300
	;; [unrolled: 1-line block ×10, first 2 shown]
	ds_read_b128 v[188:191], v9 offset:640
	ds_read_b128 v[192:195], v9 offset:656
	s_mov_b32 s4, exec_lo
	s_waitcnt vmcnt(54) lgkmcnt(3)
	v_mul_f32_e32 v196, v5, v11
	v_mul_f32_e32 v11, v6, v11
	s_waitcnt vmcnt(53)
	v_mul_f32_e32 v197, v7, v12
	v_mul_f32_e32 v12, v8, v12
	s_waitcnt vmcnt(52) lgkmcnt(2)
	v_mul_f32_e32 v198, v1, v136
	s_waitcnt vmcnt(49)
	v_fmac_f32_e32 v196, v6, v139
	v_fma_f32 v11, v5, v139, -v11
	s_waitcnt vmcnt(48)
	v_mul_f32_e32 v199, v3, v138
	v_mul_f32_e32 v5, v2, v136
	;; [unrolled: 1-line block ×3, first 2 shown]
	v_fmac_f32_e32 v197, v8, v137
	s_waitcnt vmcnt(43) lgkmcnt(1)
	v_mul_f32_e32 v200, v188, v146
	v_mul_f32_e32 v136, v189, v146
	v_fma_f32 v12, v7, v137, -v12
	v_fmac_f32_e32 v198, v2, v10
	v_fmac_f32_e32 v199, v4, v147
	v_fma_f32 v10, v1, v10, -v5
	v_fma_f32 v147, v3, v147, -v6
	ds_read_b128 v[1:4], v9 offset:672
	ds_read_b128 v[5:8], v9 offset:688
	s_waitcnt vmcnt(42)
	v_mul_f32_e32 v146, v190, v145
	v_mul_f32_e32 v137, v191, v145
	s_waitcnt vmcnt(41) lgkmcnt(2)
	v_mul_f32_e32 v145, v192, v143
	v_fmac_f32_e32 v200, v189, v142
	v_fma_f32 v188, v188, v142, -v136
	s_waitcnt vmcnt(40)
	v_mul_f32_e32 v189, v194, v144
	v_mul_f32_e32 v136, v193, v143
	;; [unrolled: 1-line block ×3, first 2 shown]
	v_fmac_f32_e32 v146, v191, v141
	v_fma_f32 v144, v190, v141, -v137
	v_fmac_f32_e32 v145, v193, v140
	s_waitcnt vmcnt(36)
	v_fmac_f32_e32 v189, v195, v155
	v_fma_f32 v190, v192, v140, -v136
	v_fma_f32 v155, v194, v155, -v138
	ds_read_b128 v[136:139], v9 offset:704
	ds_read_b128 v[140:143], v9 offset:720
	s_waitcnt vmcnt(35) lgkmcnt(3)
	v_mul_f32_e32 v191, v1, v153
	s_waitcnt vmcnt(34)
	v_mul_f32_e32 v192, v3, v154
	v_mul_f32_e32 v153, v2, v153
	;; [unrolled: 1-line block ×3, first 2 shown]
	s_waitcnt vmcnt(33) lgkmcnt(2)
	v_mul_f32_e32 v193, v5, v152
	v_mul_f32_e32 v152, v6, v152
	v_fmac_f32_e32 v191, v2, v150
	v_fmac_f32_e32 v192, v4, v149
	v_fma_f32 v150, v1, v150, -v153
	v_fma_f32 v149, v3, v149, -v154
	s_clause 0x1
	buffer_load_dword v153, off, s[0:3], 0 offset:332
	buffer_load_dword v154, off, s[0:3], 0 offset:340
	s_waitcnt vmcnt(34)
	v_mul_f32_e32 v194, v7, v151
	v_mul_f32_e32 v151, v8, v151
	v_fmac_f32_e32 v193, v6, v148
	v_fma_f32 v148, v5, v148, -v152
	ds_read_b128 v[1:4], v9 offset:736
	s_waitcnt vmcnt(29) lgkmcnt(2)
	v_mul_f32_e32 v152, v136, v163
	v_mul_f32_e32 v5, v137, v163
	s_waitcnt vmcnt(28)
	v_mul_f32_e32 v6, v139, v164
	v_fmac_f32_e32 v194, v8, v166
	v_fma_f32 v151, v7, v166, -v151
	v_fmac_f32_e32 v152, v137, v158
	v_fma_f32 v136, v136, v158, -v5
	v_fma_f32 v137, v138, v157, -v6
	ds_read_b128 v[5:8], v9 offset:752
	v_mul_f32_e32 v166, v138, v164
	s_waitcnt vmcnt(27) lgkmcnt(2)
	v_mul_f32_e32 v163, v140, v160
	s_waitcnt vmcnt(26)
	v_mul_f32_e32 v164, v142, v161
	v_mul_f32_e32 v160, v141, v160
	;; [unrolled: 1-line block ×3, first 2 shown]
	v_fmac_f32_e32 v166, v139, v157
	v_fmac_f32_e32 v163, v141, v156
	s_waitcnt vmcnt(22)
	v_fmac_f32_e32 v164, v143, v179
	v_fma_f32 v138, v140, v156, -v160
	v_fma_f32 v139, v142, v179, -v161
	s_clause 0x5
	buffer_load_dword v156, off, s[0:3], 0 offset:348
	buffer_load_dword v157, off, s[0:3], 0 offset:356
	;; [unrolled: 1-line block ×6, first 2 shown]
	s_waitcnt vmcnt(27) lgkmcnt(1)
	v_mul_f32_e32 v140, v1, v174
	s_waitcnt vmcnt(26)
	v_mul_f32_e32 v141, v3, v175
	v_mul_f32_e32 v142, v2, v174
	v_mul_f32_e32 v143, v4, v175
	v_add_f32_e32 v175, 0, v196
	v_fmac_f32_e32 v140, v2, v172
	v_fmac_f32_e32 v141, v4, v168
	v_fma_f32 v142, v1, v172, -v142
	v_fma_f32 v143, v3, v168, -v143
	ds_read_b128 v[1:4], v9 offset:768
	s_waitcnt vmcnt(25) lgkmcnt(1)
	v_mul_f32_e32 v168, v5, v169
	v_mul_f32_e32 v169, v6, v169
	buffer_load_dword v174, off, s[0:3], 0 offset:364
	s_waitcnt vmcnt(25)
	v_mul_f32_e32 v172, v7, v170
	v_mul_f32_e32 v170, v8, v170
	v_fmac_f32_e32 v168, v6, v167
	v_add_f32_e32 v6, 0, v11
	v_add_f32_e32 v11, v175, v197
	v_fma_f32 v167, v5, v167, -v169
	s_waitcnt vmcnt(21)
	v_fmac_f32_e32 v172, v8, v186
	v_fma_f32 v169, v7, v186, -v170
	v_add_f32_e32 v5, v6, v12
	v_add_f32_e32 v11, v11, v198
	s_clause 0x4
	buffer_load_dword v12, off, s[0:3], 0 offset:384
	buffer_load_dword v170, off, s[0:3], 0 offset:376
	buffer_load_dword v175, off, s[0:3], 0 offset:368
	buffer_load_dword v186, off, s[0:3], 0 offset:360
	buffer_load_dword v195, off, s[0:3], 0 offset:372
	v_add_f32_e32 v10, v5, v10
	v_add_f32_e32 v11, v11, v199
	ds_read_b128 v[5:8], v9 offset:784
	s_waitcnt vmcnt(25) lgkmcnt(1)
	v_mul_f32_e32 v196, v1, v185
	v_mul_f32_e32 v185, v2, v185
	v_add_f32_e32 v10, v10, v147
	v_add_f32_e32 v11, v11, v200
	s_clause 0x1
	buffer_load_dword v197, off, s[0:3], 0 offset:380
	buffer_load_dword v198, off, s[0:3], 0 offset:388
	v_fmac_f32_e32 v196, v2, v182
	v_fma_f32 v147, v1, v182, -v185
	v_add_f32_e32 v1, v10, v188
	v_add_f32_e32 v2, v11, v146
	buffer_load_dword v199, off, s[0:3], 0 offset:396
	s_waitcnt vmcnt(27)
	v_mul_f32_e32 v182, v3, v180
	v_mul_f32_e32 v10, v4, v180
	v_add_f32_e32 v1, v1, v144
	v_add_f32_e32 v2, v2, v145
	s_clause 0x2
	buffer_load_dword v185, off, s[0:3], 0 offset:404
	buffer_load_dword v188, off, s[0:3], 0 offset:412
	;; [unrolled: 1-line block ×3, first 2 shown]
	v_fmac_f32_e32 v182, v4, v176
	v_fma_f32 v10, v3, v176, -v10
	v_add_f32_e32 v2, v2, v189
	s_clause 0x1
	buffer_load_dword v176, off, s[0:3], 0 offset:428
	buffer_load_dword v200, off, s[0:3], 0 offset:436
	v_add_f32_e32 v1, v1, v190
	s_clause 0x2
	buffer_load_dword v189, off, s[0:3], 0 offset:444
	buffer_load_dword v190, off, s[0:3], 0 offset:452
	;; [unrolled: 1-line block ×3, first 2 shown]
	s_waitcnt vmcnt(34) lgkmcnt(0)
	v_mul_f32_e32 v11, v5, v184
	v_add_f32_e32 v2, v2, v191
	s_clause 0x2
	buffer_load_dword v191, off, s[0:3], 0 offset:468
	buffer_load_dword v202, off, s[0:3], 0 offset:476
	;; [unrolled: 1-line block ×3, first 2 shown]
	v_add_f32_e32 v1, v1, v155
	v_mul_f32_e32 v3, v6, v184
	v_fmac_f32_e32 v11, v6, v159
	v_add_f32_e32 v2, v2, v192
	s_clause 0x3
	buffer_load_dword v192, off, s[0:3], 0 offset:416
	buffer_load_dword v204, off, s[0:3], 0 offset:408
	;; [unrolled: 1-line block ×4, first 2 shown]
	v_add_f32_e32 v1, v1, v150
	v_fma_f32 v144, v5, v159, -v3
	v_add_f32_e32 v2, v2, v193
	v_add_f32_e32 v1, v1, v149
	;; [unrolled: 1-line block ×3, first 2 shown]
	s_clause 0x3
	buffer_load_dword v193, off, s[0:3], 0 offset:448
	buffer_load_dword v194, off, s[0:3], 0 offset:440
	;; [unrolled: 1-line block ×4, first 2 shown]
	v_add_f32_e32 v1, v1, v148
	s_waitcnt vmcnt(44)
	v_mul_f32_e32 v148, v7, v181
	v_add_f32_e32 v2, v2, v152
	v_add_f32_e32 v1, v1, v151
	s_waitcnt vmcnt(37)
	v_fmac_f32_e32 v148, v8, v183
	v_add_f32_e32 v2, v2, v166
	s_clause 0x4
	buffer_load_dword v166, off, s[0:3], 0 offset:480
	buffer_load_dword v209, off, s[0:3], 0 offset:472
	;; [unrolled: 1-line block ×5, first 2 shown]
	v_add_f32_e32 v1, v1, v136
	v_add_f32_e32 v2, v2, v163
	;; [unrolled: 1-line block ×6, first 2 shown]
	v_mul_f32_e32 v5, v8, v181
	v_add_f32_e32 v6, v1, v139
	ds_read_b128 v[1:4], v9 offset:800
	v_add_f32_e32 v140, v136, v141
	v_fma_f32 v149, v7, v183, -v5
	v_add_f32_e32 v137, v6, v142
	ds_read_b128 v[5:8], v9 offset:816
	v_add_f32_e32 v140, v140, v168
	v_add_f32_e32 v141, v137, v143
	ds_read_b128 v[136:139], v9 offset:832
	v_add_f32_e32 v145, v140, v172
	v_add_f32_e32 v141, v141, v167
	s_waitcnt lgkmcnt(2)
	v_mul_f32_e32 v142, v2, v177
	v_mul_f32_e32 v152, v1, v177
	;; [unrolled: 1-line block ×3, first 2 shown]
	v_fma_f32 v155, v1, v178, -v142
	v_add_f32_e32 v1, v141, v169
	v_fmac_f32_e32 v152, v2, v178
	v_add_f32_e32 v2, v145, v196
	s_waitcnt lgkmcnt(1)
	v_mul_f32_e32 v163, v5, v171
	v_mul_f32_e32 v146, v6, v171
	v_add_f32_e32 v1, v1, v147
	ds_read_b128 v[140:143], v9 offset:848
	v_add_f32_e32 v2, v2, v182
	v_fmac_f32_e32 v163, v6, v162
	v_fma_f32 v162, v5, v162, -v146
	v_add_f32_e32 v1, v1, v10
	v_mul_f32_e32 v145, v4, v173
	v_add_f32_e32 v5, v2, v11
	v_fmac_f32_e32 v159, v4, v165
	v_add_f32_e32 v6, v1, v144
	v_fma_f32 v10, v3, v165, -v145
	ds_read_b128 v[1:4], v9 offset:864
	ds_read_b128 v[144:147], v9 offset:880
	s_waitcnt vmcnt(40)
	v_mul_f32_e32 v150, v8, v153
	s_waitcnt vmcnt(39) lgkmcnt(3)
	v_mul_f32_e32 v167, v136, v154
	v_mul_f32_e32 v11, v137, v154
	;; [unrolled: 1-line block ×3, first 2 shown]
	s_waitcnt vmcnt(38)
	v_mul_f32_e32 v168, v138, v156
	s_waitcnt vmcnt(34)
	v_fmac_f32_e32 v167, v137, v161
	v_fma_f32 v161, v136, v161, -v11
	v_add_f32_e32 v11, v6, v149
	v_add_f32_e32 v137, v5, v148
	s_waitcnt vmcnt(33)
	v_fma_f32 v165, v7, v179, -v150
	v_fmac_f32_e32 v164, v8, v179
	v_fmac_f32_e32 v168, v139, v160
	v_add_f32_e32 v11, v11, v155
	v_add_f32_e32 v136, v137, v152
	v_mul_f32_e32 v137, v139, v156
	s_waitcnt lgkmcnt(2)
	v_mul_f32_e32 v156, v140, v157
	v_mul_f32_e32 v152, v141, v157
	v_add_f32_e32 v10, v11, v10
	v_add_f32_e32 v136, v136, v159
	v_fma_f32 v160, v138, v160, -v137
	s_waitcnt vmcnt(32)
	v_mul_f32_e32 v157, v143, v174
	v_fmac_f32_e32 v156, v141, v158
	v_add_f32_e32 v162, v10, v162
	v_add_f32_e32 v163, v136, v163
	v_fma_f32 v158, v140, v158, -v152
	v_mul_f32_e32 v159, v142, v174
	ds_read_b128 v[5:8], v9 offset:896
	ds_read_b128 v[148:151], v9 offset:912
	v_add_f32_e32 v162, v162, v165
	v_add_f32_e32 v163, v163, v164
	s_waitcnt vmcnt(28)
	v_fma_f32 v157, v142, v186, -v157
	s_waitcnt vmcnt(27) lgkmcnt(3)
	v_mul_f32_e32 v169, v2, v195
	v_fmac_f32_e32 v159, v143, v186
	v_add_f32_e32 v161, v162, v161
	v_add_f32_e32 v163, v163, v167
	v_mul_f32_e32 v164, v1, v195
	v_fma_f32 v1, v1, v175, -v169
	ds_read_b128 v[136:139], v9 offset:928
	ds_read_b128 v[152:155], v9 offset:944
	v_add_f32_e32 v160, v161, v160
	v_add_f32_e32 v163, v163, v168
	s_waitcnt vmcnt(26)
	v_mul_f32_e32 v171, v4, v197
	v_mul_f32_e32 v165, v3, v197
	v_fmac_f32_e32 v164, v2, v175
	v_add_f32_e32 v158, v160, v158
	v_add_f32_e32 v156, v163, v156
	s_waitcnt vmcnt(25) lgkmcnt(4)
	v_mul_f32_e32 v167, v144, v198
	v_mul_f32_e32 v169, v145, v198
	v_fma_f32 v3, v3, v170, -v171
	v_add_f32_e32 v157, v158, v157
	v_add_f32_e32 v156, v156, v159
	v_fmac_f32_e32 v165, v4, v170
	s_waitcnt vmcnt(24)
	v_mul_f32_e32 v158, v147, v199
	v_fmac_f32_e32 v167, v145, v12
	v_add_f32_e32 v1, v157, v1
	v_add_f32_e32 v156, v156, v164
	v_fma_f32 v12, v144, v12, -v169
	v_mul_f32_e32 v162, v146, v199
	s_waitcnt vmcnt(23) lgkmcnt(3)
	v_mul_f32_e32 v144, v6, v185
	v_add_f32_e32 v1, v1, v3
	v_add_f32_e32 v3, v156, v165
	v_mul_f32_e32 v2, v5, v185
	s_waitcnt vmcnt(22)
	v_mul_f32_e32 v168, v7, v188
	s_waitcnt vmcnt(21) lgkmcnt(2)
	v_mul_f32_e32 v161, v148, v180
	v_add_f32_e32 v1, v1, v12
	v_add_f32_e32 v3, v3, v167
	v_mul_f32_e32 v12, v8, v188
	s_waitcnt vmcnt(9)
	v_fma_f32 v145, v146, v206, -v158
	v_fmac_f32_e32 v162, v147, v206
	v_fma_f32 v5, v5, v205, -v144
	v_fmac_f32_e32 v2, v6, v205
	v_mul_f32_e32 v6, v149, v180
	v_add_f32_e32 v1, v1, v145
	v_add_f32_e32 v3, v3, v162
	v_fma_f32 v7, v7, v204, -v12
	v_fmac_f32_e32 v168, v8, v204
	v_mul_f32_e32 v4, v150, v176
	v_add_f32_e32 v1, v1, v5
	v_add_f32_e32 v2, v3, v2
	v_mul_f32_e32 v3, v151, v176
	v_fma_f32 v5, v148, v192, -v6
	v_fmac_f32_e32 v161, v149, v192
	v_add_f32_e32 v1, v1, v7
	v_add_f32_e32 v2, v2, v168
	s_waitcnt lgkmcnt(1)
	v_mul_f32_e32 v6, v137, v200
	s_waitcnt vmcnt(5)
	v_fma_f32 v3, v150, v208, -v3
	ds_read_b128 v[140:143], v9 offset:960
	ds_read_b64 v[10:11], v9 offset:976
	v_add_f32_e32 v1, v1, v5
	v_mul_f32_e32 v170, v136, v200
	v_fmac_f32_e32 v4, v151, v208
	v_add_f32_e32 v2, v2, v161
	v_mul_f32_e32 v5, v139, v189
	v_fma_f32 v6, v136, v207, -v6
	v_add_f32_e32 v1, v1, v3
	v_mul_f32_e32 v160, v138, v189
	v_fmac_f32_e32 v170, v137, v207
	v_add_f32_e32 v2, v2, v4
	s_waitcnt lgkmcnt(2)
	v_mul_f32_e32 v3, v153, v190
	v_fma_f32 v4, v138, v194, -v5
	v_add_f32_e32 v1, v1, v6
	v_mul_f32_e32 v163, v152, v190
	v_fmac_f32_e32 v160, v139, v194
	v_add_f32_e32 v2, v2, v170
	v_mul_f32_e32 v5, v155, v201
	v_fma_f32 v3, v152, v193, -v3
	v_add_f32_e32 v1, v1, v4
	v_mul_f32_e32 v171, v154, v201
	v_fmac_f32_e32 v163, v153, v193
	v_add_f32_e32 v2, v2, v160
	s_waitcnt lgkmcnt(1)
	v_mul_f32_e32 v4, v141, v191
	s_waitcnt vmcnt(1)
	v_fma_f32 v5, v154, v211, -v5
	v_add_f32_e32 v1, v1, v3
	v_mul_f32_e32 v159, v140, v191
	v_fmac_f32_e32 v171, v155, v211
	v_add_f32_e32 v2, v2, v163
	v_mul_f32_e32 v3, v143, v202
	v_fma_f32 v4, v140, v210, -v4
	v_add_f32_e32 v1, v1, v5
	v_mul_f32_e32 v172, v142, v202
	v_fmac_f32_e32 v159, v141, v210
	v_add_f32_e32 v2, v2, v171
	s_waitcnt lgkmcnt(0)
	v_mul_f32_e32 v5, v11, v203
	v_fma_f32 v3, v142, v209, -v3
	v_add_f32_e32 v1, v1, v4
	v_mul_f32_e32 v157, v10, v203
	v_fmac_f32_e32 v172, v143, v209
	v_add_f32_e32 v2, v2, v159
	v_fma_f32 v4, v10, v166, -v5
	v_add_f32_e32 v1, v1, v3
	v_fmac_f32_e32 v157, v11, v166
	v_add_f32_e32 v2, v2, v172
	v_add_f32_e32 v1, v1, v4
	;; [unrolled: 1-line block ×3, first 2 shown]
	s_waitcnt vmcnt(0)
	v_sub_f32_e32 v1, v212, v1
	v_sub_f32_e32 v2, v187, v2
	buffer_store_dword v1, off, s[0:3], 0 offset:104
	buffer_store_dword v2, off, s[0:3], 0 offset:108
	v_cmpx_lt_u32_e32 12, v0
	s_cbranch_execz .LBB124_355
; %bb.354:
	s_clause 0x1
	buffer_load_dword v1, off, s[0:3], 0 offset:96
	buffer_load_dword v2, off, s[0:3], 0 offset:100
	buffer_store_dword v9, off, s[0:3], 0 offset:96
	buffer_store_dword v9, off, s[0:3], 0 offset:100
	s_waitcnt vmcnt(0)
	ds_write_b64 v135, v[1:2]
.LBB124_355:
	s_or_b32 exec_lo, exec_lo, s4
	s_waitcnt lgkmcnt(0)
	s_waitcnt_vscnt null, 0x0
	s_barrier
	buffer_gl0_inv
	s_clause 0x33
	buffer_load_dword v170, off, s[0:3], 0 offset:108
	buffer_load_dword v171, off, s[0:3], 0 offset:116
	;; [unrolled: 1-line block ×52, first 2 shown]
	ds_read2_b64 v[179:182], v9 offset0:75 offset1:76
	ds_read2_b64 v[183:186], v9 offset0:77 offset1:78
	;; [unrolled: 1-line block ×3, first 2 shown]
	s_clause 0x1
	buffer_load_dword v176, off, s[0:3], 0 offset:300
	buffer_load_dword v177, off, s[0:3], 0 offset:308
	ds_read2_b64 v[191:194], v9 offset0:81 offset1:82
	s_mov_b32 s4, exec_lo
	s_waitcnt vmcnt(53) lgkmcnt(3)
	v_mul_f32_e32 v195, v179, v170
	v_mul_f32_e32 v196, v180, v170
	s_waitcnt vmcnt(52)
	v_mul_f32_e32 v197, v181, v171
	v_mul_f32_e32 v171, v182, v171
	buffer_load_dword v170, off, s[0:3], 0 offset:100
	s_waitcnt vmcnt(50)
	v_fmac_f32_e32 v195, v180, v7
	v_fma_f32 v196, v179, v7, -v196
	v_fmac_f32_e32 v197, v182, v5
	v_fma_f32 v171, v181, v5, -v171
	ds_read2_b64 v[179:182], v9 offset0:83 offset1:84
	s_waitcnt vmcnt(49) lgkmcnt(3)
	v_mul_f32_e32 v198, v183, v2
	s_waitcnt vmcnt(48)
	v_mul_f32_e32 v199, v185, v3
	v_mul_f32_e32 v2, v184, v2
	;; [unrolled: 1-line block ×3, first 2 shown]
	s_waitcnt vmcnt(47) lgkmcnt(2)
	v_mul_f32_e32 v200, v187, v6
	v_mul_f32_e32 v5, v188, v6
	v_fmac_f32_e32 v198, v184, v1
	v_fma_f32 v201, v183, v1, -v2
	s_waitcnt vmcnt(46)
	v_mul_f32_e32 v202, v189, v4
	v_mul_f32_e32 v6, v190, v4
	s_waitcnt vmcnt(42)
	v_fma_f32 v203, v185, v137, -v3
	ds_read2_b64 v[1:4], v9 offset0:85 offset1:86
	v_fmac_f32_e32 v199, v186, v137
	v_fmac_f32_e32 v200, v188, v136
	v_fma_f32 v187, v187, v136, -v5
	v_fmac_f32_e32 v202, v190, v11
	v_fma_f32 v11, v189, v11, -v6
	ds_read2_b64 v[183:186], v9 offset0:87 offset1:88
	s_waitcnt vmcnt(41) lgkmcnt(3)
	v_mul_f32_e32 v188, v191, v12
	v_mul_f32_e32 v5, v192, v12
	s_waitcnt vmcnt(40)
	v_mul_f32_e32 v12, v193, v10
	v_mul_f32_e32 v6, v194, v10
	s_waitcnt vmcnt(39) lgkmcnt(2)
	v_mul_f32_e32 v10, v179, v138
	v_fmac_f32_e32 v188, v192, v8
	v_fma_f32 v189, v191, v8, -v5
	v_mul_f32_e32 v136, v180, v138
	s_waitcnt vmcnt(38)
	v_mul_f32_e32 v137, v182, v139
	s_waitcnt vmcnt(34)
	v_fmac_f32_e32 v12, v194, v145
	v_fma_f32 v145, v193, v145, -v6
	ds_read2_b64 v[5:8], v9 offset0:89 offset1:90
	v_mul_f32_e32 v190, v181, v139
	v_fmac_f32_e32 v10, v180, v144
	v_fma_f32 v144, v179, v144, -v136
	v_fma_f32 v179, v181, v142, -v137
	ds_read2_b64 v[136:139], v9 offset0:91 offset1:92
	v_fmac_f32_e32 v190, v182, v142
	s_waitcnt vmcnt(33) lgkmcnt(3)
	v_mul_f32_e32 v180, v1, v143
	v_mul_f32_e32 v142, v2, v143
	s_waitcnt vmcnt(32)
	v_mul_f32_e32 v181, v3, v141
	v_mul_f32_e32 v141, v4, v141
	s_waitcnt vmcnt(31) lgkmcnt(2)
	v_mul_f32_e32 v182, v183, v146
	v_fmac_f32_e32 v180, v2, v140
	v_fma_f32 v191, v1, v140, -v142
	v_mul_f32_e32 v140, v184, v146
	s_waitcnt vmcnt(30)
	v_mul_f32_e32 v192, v185, v147
	v_mul_f32_e32 v142, v186, v147
	s_waitcnt vmcnt(26)
	v_fmac_f32_e32 v181, v4, v153
	v_fma_f32 v146, v3, v153, -v141
	ds_read2_b64 v[1:4], v9 offset0:93 offset1:94
	v_fmac_f32_e32 v182, v184, v152
	v_fma_f32 v147, v183, v152, -v140
	s_waitcnt vmcnt(25) lgkmcnt(2)
	v_mul_f32_e32 v152, v5, v151
	v_fmac_f32_e32 v192, v186, v150
	v_fma_f32 v150, v185, v150, -v142
	ds_read2_b64 v[140:143], v9 offset0:95 offset1:96
	v_mul_f32_e32 v151, v6, v151
	s_waitcnt vmcnt(24)
	v_mul_f32_e32 v153, v7, v149
	v_mul_f32_e32 v149, v8, v149
	s_waitcnt vmcnt(23) lgkmcnt(2)
	v_mul_f32_e32 v183, v136, v154
	v_fmac_f32_e32 v152, v6, v148
	v_mul_f32_e32 v6, v137, v154
	v_fma_f32 v5, v5, v148, -v151
	s_waitcnt vmcnt(22)
	v_mul_f32_e32 v148, v138, v155
	v_mul_f32_e32 v151, v139, v155
	s_waitcnt vmcnt(18)
	v_fmac_f32_e32 v153, v8, v162
	v_fma_f32 v7, v7, v162, -v149
	v_fmac_f32_e32 v183, v137, v161
	v_fma_f32 v6, v136, v161, -v6
	s_clause 0x5
	buffer_load_dword v149, off, s[0:3], 0 offset:324
	buffer_load_dword v154, off, s[0:3], 0 offset:328
	;; [unrolled: 1-line block ×6, first 2 shown]
	v_fma_f32 v136, v138, v157, -v151
	s_waitcnt vmcnt(23) lgkmcnt(1)
	v_mul_f32_e32 v137, v1, v158
	s_waitcnt vmcnt(22)
	v_mul_f32_e32 v151, v3, v159
	v_mul_f32_e32 v8, v2, v158
	;; [unrolled: 1-line block ×3, first 2 shown]
	v_fmac_f32_e32 v148, v139, v157
	v_fmac_f32_e32 v137, v2, v156
	s_waitcnt vmcnt(18)
	v_fmac_f32_e32 v151, v4, v169
	v_fma_f32 v139, v1, v156, -v8
	v_fma_f32 v156, v3, v169, -v138
	s_waitcnt vmcnt(17) lgkmcnt(0)
	v_mul_f32_e32 v169, v140, v167
	v_mul_f32_e32 v8, v141, v167
	s_clause 0x1
	buffer_load_dword v157, off, s[0:3], 0 offset:340
	buffer_load_dword v158, off, s[0:3], 0 offset:348
	ds_read2_b64 v[1:4], v9 offset0:97 offset1:98
	buffer_load_dword v159, off, s[0:3], 0 offset:356
	s_waitcnt vmcnt(19)
	v_mul_f32_e32 v185, v142, v168
	v_mul_f32_e32 v138, v143, v168
	v_fmac_f32_e32 v169, v141, v166
	v_fma_f32 v140, v140, v166, -v8
	s_clause 0x5
	buffer_load_dword v166, off, s[0:3], 0 offset:376
	buffer_load_dword v167, off, s[0:3], 0 offset:368
	buffer_load_dword v168, off, s[0:3], 0 offset:360
	buffer_load_dword v186, off, s[0:3], 0 offset:352
	buffer_load_dword v193, off, s[0:3], 0 offset:364
	buffer_load_dword v194, off, s[0:3], 0 offset:372
	v_fmac_f32_e32 v185, v143, v165
	v_fma_f32 v165, v142, v165, -v138
	v_add_f32_e32 v8, 0, v195
	v_add_f32_e32 v138, 0, v196
	;; [unrolled: 1-line block ×4, first 2 shown]
	buffer_load_dword v171, off, s[0:3], 0 offset:380
	s_waitcnt vmcnt(25) lgkmcnt(0)
	v_mul_f32_e32 v141, v2, v164
	v_add_f32_e32 v8, v8, v198
	v_add_f32_e32 v138, v138, v201
	s_waitcnt vmcnt(24)
	v_mul_f32_e32 v142, v4, v163
	s_clause 0x3
	buffer_load_dword v195, off, s[0:3], 0 offset:388
	buffer_load_dword v196, off, s[0:3], 0 offset:396
	;; [unrolled: 1-line block ×4, first 2 shown]
	v_add_f32_e32 v8, v8, v199
	v_add_f32_e32 v138, v138, v203
	v_mul_f32_e32 v199, v1, v164
	v_mul_f32_e32 v164, v3, v163
	v_add_f32_e32 v8, v8, v200
	v_add_f32_e32 v138, v138, v187
	v_fmac_f32_e32 v199, v2, v160
	v_fma_f32 v160, v1, v160, -v141
	s_clause 0x3
	buffer_load_dword v163, off, s[0:3], 0 offset:420
	buffer_load_dword v187, off, s[0:3], 0 offset:428
	;; [unrolled: 1-line block ×4, first 2 shown]
	v_add_f32_e32 v1, v8, v202
	v_add_f32_e32 v2, v138, v11
	s_waitcnt vmcnt(27)
	v_fmac_f32_e32 v164, v4, v178
	v_fma_f32 v11, v3, v178, -v142
	s_clause 0x1
	buffer_load_dword v178, off, s[0:3], 0 offset:452
	buffer_load_dword v202, off, s[0:3], 0 offset:460
	v_add_f32_e32 v1, v1, v188
	v_add_f32_e32 v2, v2, v189
	s_clause 0x6
	buffer_load_dword v188, off, s[0:3], 0 offset:468
	buffer_load_dword v189, off, s[0:3], 0 offset:476
	;; [unrolled: 1-line block ×7, first 2 shown]
	v_add_f32_e32 v1, v1, v12
	v_add_f32_e32 v2, v2, v145
	;; [unrolled: 1-line block ×6, first 2 shown]
	s_clause 0x3
	buffer_load_dword v179, off, s[0:3], 0 offset:440
	buffer_load_dword v190, off, s[0:3], 0 offset:432
	;; [unrolled: 1-line block ×4, first 2 shown]
	v_add_f32_e32 v1, v1, v180
	v_add_f32_e32 v2, v2, v191
	;; [unrolled: 1-line block ×3, first 2 shown]
	s_clause 0x4
	buffer_load_dword v180, off, s[0:3], 0 offset:472
	buffer_load_dword v181, off, s[0:3], 0 offset:464
	;; [unrolled: 1-line block ×5, first 2 shown]
	v_add_f32_e32 v2, v2, v146
	v_add_f32_e32 v1, v1, v182
	buffer_load_dword v182, off, s[0:3], 0 offset:480
	v_add_f32_e32 v2, v2, v147
	v_add_f32_e32 v1, v1, v192
	;; [unrolled: 1-line block ×5, first 2 shown]
	ds_read2_b64 v[1:4], v9 offset0:99 offset1:100
	v_add_f32_e32 v5, v5, v7
	v_add_f32_e32 v7, v8, v153
	;; [unrolled: 1-line block ×4, first 2 shown]
	ds_read2_b64 v[5:8], v9 offset0:101 offset1:102
	v_add_f32_e32 v10, v10, v136
	v_add_f32_e32 v12, v12, v148
	;; [unrolled: 1-line block ×4, first 2 shown]
	s_waitcnt vmcnt(44) lgkmcnt(1)
	v_mul_f32_e32 v152, v3, v177
	v_mul_f32_e32 v138, v4, v177
	v_mul_f32_e32 v150, v1, v176
	v_add_f32_e32 v10, v10, v156
	v_add_f32_e32 v12, v12, v151
	v_mul_f32_e32 v136, v2, v176
	v_fmac_f32_e32 v152, v4, v174
	v_fma_f32 v153, v3, v174, -v138
	v_add_f32_e32 v10, v10, v140
	v_add_f32_e32 v12, v12, v169
	s_waitcnt lgkmcnt(0)
	v_mul_f32_e32 v156, v5, v173
	v_mul_f32_e32 v141, v6, v173
	v_fmac_f32_e32 v150, v2, v175
	v_fma_f32 v148, v1, v175, -v136
	ds_read2_b64 v[1:4], v9 offset0:103 offset1:104
	ds_read2_b64 v[136:139], v9 offset0:105 offset1:106
	v_add_f32_e32 v10, v10, v165
	v_fmac_f32_e32 v156, v6, v172
	v_fma_f32 v172, v5, v172, -v141
	v_add_f32_e32 v12, v12, v185
	v_add_f32_e32 v10, v10, v160
	;; [unrolled: 1-line block ×9, first 2 shown]
	s_waitcnt vmcnt(42)
	v_mul_f32_e32 v174, v7, v149
	v_mul_f32_e32 v142, v8, v149
	s_waitcnt vmcnt(40) lgkmcnt(1)
	v_mul_f32_e32 v165, v1, v155
	v_mul_f32_e32 v144, v2, v155
	s_waitcnt vmcnt(37)
	v_fmac_f32_e32 v174, v8, v184
	v_fma_f32 v173, v7, v184, -v142
	ds_read2_b64 v[5:8], v9 offset0:107 offset1:108
	ds_read2_b64 v[140:143], v9 offset0:109 offset1:110
	v_fmac_f32_e32 v165, v2, v154
	v_fma_f32 v154, v1, v154, -v144
	s_waitcnt vmcnt(36)
	v_mul_f32_e32 v155, v3, v157
	v_mul_f32_e32 v145, v4, v157
	s_waitcnt vmcnt(35) lgkmcnt(2)
	v_mul_f32_e32 v157, v136, v158
	v_mul_f32_e32 v149, v137, v158
	s_waitcnt vmcnt(34)
	v_mul_f32_e32 v12, v139, v159
	v_mul_f32_e32 v160, v138, v159
	v_fmac_f32_e32 v155, v4, v162
	v_fmac_f32_e32 v157, v137, v161
	v_fma_f32 v159, v136, v161, -v149
	s_waitcnt vmcnt(29) lgkmcnt(1)
	v_mul_f32_e32 v153, v5, v193
	v_fma_f32 v161, v138, v186, -v12
	v_mul_f32_e32 v12, v6, v193
	v_fma_f32 v158, v3, v162, -v145
	s_waitcnt vmcnt(28)
	v_mul_f32_e32 v152, v7, v194
	v_fmac_f32_e32 v153, v6, v168
	v_add_f32_e32 v6, v10, v172
	v_mul_f32_e32 v162, v8, v194
	v_add_f32_e32 v10, v11, v156
	v_fmac_f32_e32 v152, v8, v167
	ds_read2_b64 v[1:4], v9 offset0:111 offset1:112
	ds_read2_b64 v[144:147], v9 offset0:113 offset1:114
	v_add_f32_e32 v164, v6, v173
	v_fma_f32 v162, v7, v167, -v162
	v_add_f32_e32 v167, v10, v174
	v_fmac_f32_e32 v160, v139, v186
	v_fma_f32 v156, v5, v168, -v12
	v_add_f32_e32 v154, v164, v154
	s_waitcnt vmcnt(27) lgkmcnt(2)
	v_mul_f32_e32 v164, v141, v171
	v_add_f32_e32 v165, v167, v165
	v_mul_f32_e32 v168, v140, v171
	s_waitcnt vmcnt(26)
	v_mul_f32_e32 v169, v143, v195
	v_add_f32_e32 v154, v154, v158
	v_fma_f32 v140, v140, v166, -v164
	v_add_f32_e32 v155, v165, v155
	v_mul_f32_e32 v167, v142, v195
	v_fmac_f32_e32 v168, v141, v166
	v_add_f32_e32 v154, v154, v159
	ds_read2_b64 v[136:139], v9 offset0:115 offset1:116
	ds_read2_b64 v[148:151], v9 offset0:117 offset1:118
	v_add_f32_e32 v155, v155, v157
	s_waitcnt vmcnt(25) lgkmcnt(3)
	v_mul_f32_e32 v158, v1, v196
	s_waitcnt vmcnt(24)
	v_mul_f32_e32 v165, v3, v197
	v_add_f32_e32 v154, v154, v161
	s_waitcnt vmcnt(23) lgkmcnt(2)
	v_mul_f32_e32 v171, v144, v198
	v_add_f32_e32 v155, v155, v160
	s_waitcnt vmcnt(22)
	v_mul_f32_e32 v159, v146, v163
	s_waitcnt vmcnt(12)
	v_fmac_f32_e32 v165, v4, v205
	v_add_f32_e32 v154, v154, v156
	s_waitcnt vmcnt(10)
	v_fma_f32 v142, v142, v207, -v169
	v_add_f32_e32 v153, v155, v153
	v_fmac_f32_e32 v167, v143, v207
	v_fmac_f32_e32 v158, v2, v206
	v_add_f32_e32 v154, v154, v162
	v_fmac_f32_e32 v171, v145, v204
	v_add_f32_e32 v152, v153, v152
	v_mul_f32_e32 v153, v2, v196
	ds_read2_b64 v[5:8], v9 offset0:119 offset1:120
	ds_read2_b64 v[9:12], v9 offset0:121 offset1:122
	v_add_f32_e32 v140, v154, v140
	s_waitcnt lgkmcnt(3)
	v_mul_f32_e32 v157, v136, v187
	v_add_f32_e32 v143, v152, v168
	v_mul_f32_e32 v152, v4, v197
	v_fma_f32 v1, v1, v206, -v153
	v_add_f32_e32 v2, v140, v142
	v_mul_f32_e32 v142, v145, v198
	v_add_f32_e32 v140, v143, v167
	v_fma_f32 v3, v3, v205, -v152
	v_mul_f32_e32 v4, v147, v163
	v_add_f32_e32 v1, v2, v1
	s_waitcnt vmcnt(6)
	v_fmac_f32_e32 v159, v147, v209
	v_add_f32_e32 v2, v140, v158
	v_fma_f32 v140, v144, v204, -v142
	v_fma_f32 v4, v146, v209, -v4
	v_add_f32_e32 v1, v1, v3
	v_mul_f32_e32 v3, v137, v187
	v_add_f32_e32 v2, v2, v165
	v_mul_f32_e32 v172, v138, v200
	v_fmac_f32_e32 v157, v137, v208
	v_add_f32_e32 v1, v1, v140
	v_mul_f32_e32 v140, v139, v200
	v_add_f32_e32 v2, v2, v171
	v_fma_f32 v3, v136, v208, -v3
	s_waitcnt lgkmcnt(2)
	v_mul_f32_e32 v161, v148, v201
	v_add_f32_e32 v1, v1, v4
	v_mul_f32_e32 v4, v149, v201
	v_add_f32_e32 v2, v2, v159
	v_fma_f32 v136, v138, v190, -v140
	v_fmac_f32_e32 v172, v139, v190
	v_add_f32_e32 v1, v1, v3
	v_mul_f32_e32 v3, v151, v178
	v_add_f32_e32 v2, v2, v157
	v_fma_f32 v4, v148, v179, -v4
	v_mul_f32_e32 v160, v150, v178
	v_add_f32_e32 v1, v1, v136
	v_fmac_f32_e32 v161, v149, v179
	v_add_f32_e32 v2, v2, v172
	s_waitcnt lgkmcnt(1)
	v_mul_f32_e32 v136, v6, v202
	s_waitcnt vmcnt(2)
	v_fma_f32 v3, v150, v210, -v3
	v_add_f32_e32 v1, v1, v4
	v_mul_f32_e32 v173, v5, v202
	v_fmac_f32_e32 v160, v151, v210
	v_add_f32_e32 v2, v2, v161
	v_mul_f32_e32 v4, v8, v188
	v_fma_f32 v5, v5, v191, -v136
	v_add_f32_e32 v1, v1, v3
	v_mul_f32_e32 v156, v7, v188
	v_fmac_f32_e32 v173, v6, v191
	v_add_f32_e32 v2, v2, v160
	s_waitcnt lgkmcnt(0)
	v_mul_f32_e32 v3, v10, v189
	v_fma_f32 v4, v7, v181, -v4
	v_add_f32_e32 v1, v1, v5
	v_mul_f32_e32 v155, v9, v189
	v_fmac_f32_e32 v156, v8, v181
	v_add_f32_e32 v2, v2, v173
	v_mul_f32_e32 v5, v12, v203
	v_fma_f32 v3, v9, v180, -v3
	v_add_f32_e32 v1, v1, v4
	v_mul_f32_e32 v141, v11, v203
	v_fmac_f32_e32 v155, v10, v180
	v_add_f32_e32 v2, v2, v156
	s_waitcnt vmcnt(0)
	v_fma_f32 v4, v11, v182, -v5
	v_add_f32_e32 v1, v1, v3
	v_fmac_f32_e32 v141, v12, v182
	v_add_f32_e32 v2, v2, v155
	v_add_f32_e32 v1, v1, v4
	;; [unrolled: 1-line block ×3, first 2 shown]
	v_sub_f32_e32 v1, v211, v1
	v_sub_f32_e32 v2, v170, v2
	buffer_store_dword v1, off, s[0:3], 0 offset:96
	buffer_store_dword v2, off, s[0:3], 0 offset:100
	v_cmpx_lt_u32_e32 11, v0
	s_cbranch_execz .LBB124_357
; %bb.356:
	s_clause 0x1
	buffer_load_dword v1, off, s[0:3], 0 offset:88
	buffer_load_dword v2, off, s[0:3], 0 offset:92
	v_mov_b32_e32 v3, 0
	buffer_store_dword v3, off, s[0:3], 0 offset:88
	buffer_store_dword v3, off, s[0:3], 0 offset:92
	s_waitcnt vmcnt(0)
	ds_write_b64 v135, v[1:2]
.LBB124_357:
	s_or_b32 exec_lo, exec_lo, s4
	s_waitcnt lgkmcnt(0)
	s_waitcnt_vscnt null, 0x0
	s_barrier
	buffer_gl0_inv
	s_clause 0x33
	buffer_load_dword v11, off, s[0:3], 0 offset:100
	buffer_load_dword v12, off, s[0:3], 0 offset:108
	;; [unrolled: 1-line block ×52, first 2 shown]
	v_mov_b32_e32 v9, 0
	ds_read_b128 v[5:8], v9 offset:592
	ds_read_b128 v[1:4], v9 offset:608
	;; [unrolled: 1-line block ×3, first 2 shown]
	s_clause 0x2
	buffer_load_dword v185, off, s[0:3], 0 offset:292
	buffer_load_dword v186, off, s[0:3], 0 offset:300
	;; [unrolled: 1-line block ×3, first 2 shown]
	ds_read_b128 v[192:195], v9 offset:640
	s_mov_b32 s4, exec_lo
	s_waitcnt vmcnt(54) lgkmcnt(3)
	v_mul_f32_e32 v196, v5, v11
	s_waitcnt vmcnt(53)
	v_mul_f32_e32 v197, v7, v12
	v_mul_f32_e32 v11, v6, v11
	;; [unrolled: 1-line block ×3, first 2 shown]
	s_waitcnt vmcnt(50)
	v_fmac_f32_e32 v196, v6, v141
	v_fmac_f32_e32 v197, v8, v139
	v_fma_f32 v11, v5, v141, -v11
	v_fma_f32 v12, v7, v139, -v12
	ds_read_b128 v[5:8], v9 offset:656
	s_waitcnt vmcnt(49) lgkmcnt(3)
	v_mul_f32_e32 v198, v1, v136
	s_waitcnt vmcnt(48)
	v_mul_f32_e32 v199, v3, v137
	v_mul_f32_e32 v136, v2, v136
	;; [unrolled: 1-line block ×3, first 2 shown]
	s_waitcnt vmcnt(47) lgkmcnt(2)
	v_mul_f32_e32 v200, v188, v140
	v_mul_f32_e32 v139, v189, v140
	v_fmac_f32_e32 v198, v2, v10
	v_fma_f32 v10, v1, v10, -v136
	s_waitcnt vmcnt(46)
	v_mul_f32_e32 v201, v190, v138
	v_mul_f32_e32 v136, v191, v138
	s_waitcnt vmcnt(42)
	v_fmac_f32_e32 v199, v4, v147
	v_fma_f32 v147, v3, v147, -v137
	ds_read_b128 v[1:4], v9 offset:672
	v_fmac_f32_e32 v200, v189, v146
	v_fma_f32 v146, v188, v146, -v139
	v_fmac_f32_e32 v201, v191, v144
	v_fma_f32 v144, v190, v144, -v136
	ds_read_b128 v[136:139], v9 offset:688
	s_waitcnt vmcnt(41) lgkmcnt(3)
	v_mul_f32_e32 v188, v192, v145
	v_mul_f32_e32 v140, v193, v145
	s_waitcnt vmcnt(40)
	v_mul_f32_e32 v145, v194, v143
	v_mul_f32_e32 v141, v195, v143
	s_waitcnt vmcnt(39) lgkmcnt(2)
	v_mul_f32_e32 v189, v5, v148
	v_fmac_f32_e32 v188, v193, v142
	v_fma_f32 v190, v192, v142, -v140
	s_waitcnt vmcnt(38)
	v_mul_f32_e32 v191, v7, v149
	v_mul_f32_e32 v148, v6, v148
	;; [unrolled: 1-line block ×3, first 2 shown]
	s_waitcnt vmcnt(34)
	v_fmac_f32_e32 v145, v195, v155
	v_fma_f32 v155, v194, v155, -v141
	ds_read_b128 v[140:143], v9 offset:704
	v_fmac_f32_e32 v189, v6, v154
	v_fmac_f32_e32 v191, v8, v152
	v_fma_f32 v148, v5, v154, -v148
	v_fma_f32 v149, v7, v152, -v149
	ds_read_b128 v[5:8], v9 offset:720
	s_waitcnt vmcnt(33) lgkmcnt(3)
	v_mul_f32_e32 v152, v1, v153
	v_mul_f32_e32 v153, v2, v153
	s_waitcnt vmcnt(32)
	v_mul_f32_e32 v154, v3, v151
	v_mul_f32_e32 v151, v4, v151
	s_waitcnt vmcnt(31) lgkmcnt(2)
	v_mul_f32_e32 v192, v136, v156
	v_fmac_f32_e32 v152, v2, v150
	v_fma_f32 v150, v1, v150, -v153
	s_waitcnt vmcnt(30)
	v_mul_f32_e32 v153, v138, v157
	v_mul_f32_e32 v157, v139, v157
	;; [unrolled: 1-line block ×3, first 2 shown]
	s_waitcnt vmcnt(26)
	v_fmac_f32_e32 v154, v4, v164
	v_fma_f32 v151, v3, v164, -v151
	v_fmac_f32_e32 v153, v139, v161
	v_fma_f32 v157, v138, v161, -v157
	s_waitcnt vmcnt(25) lgkmcnt(1)
	v_mul_f32_e32 v161, v140, v162
	v_mul_f32_e32 v162, v141, v162
	ds_read_b128 v[1:4], v9 offset:736
	v_fmac_f32_e32 v192, v137, v163
	v_fma_f32 v156, v136, v163, -v156
	s_waitcnt vmcnt(24)
	v_mul_f32_e32 v163, v142, v160
	v_mul_f32_e32 v160, v143, v160
	s_waitcnt vmcnt(23) lgkmcnt(1)
	v_mul_f32_e32 v164, v5, v165
	v_fmac_f32_e32 v161, v141, v158
	v_fma_f32 v140, v140, v158, -v162
	v_mul_f32_e32 v158, v6, v165
	ds_read_b128 v[136:139], v9 offset:752
	s_waitcnt vmcnt(22)
	v_mul_f32_e32 v141, v7, v167
	v_mul_f32_e32 v162, v8, v167
	s_waitcnt vmcnt(18)
	v_fmac_f32_e32 v163, v143, v175
	v_fma_f32 v142, v142, v175, -v160
	v_fmac_f32_e32 v164, v6, v174
	v_fma_f32 v5, v5, v174, -v158
	s_clause 0x5
	buffer_load_dword v143, off, s[0:3], 0 offset:316
	buffer_load_dword v158, off, s[0:3], 0 offset:320
	;; [unrolled: 1-line block ×6, first 2 shown]
	v_fmac_f32_e32 v141, v8, v173
	v_fma_f32 v6, v7, v173, -v162
	s_clause 0x1
	buffer_load_dword v162, off, s[0:3], 0 offset:332
	buffer_load_dword v173, off, s[0:3], 0 offset:340
	s_waitcnt vmcnt(25) lgkmcnt(1)
	v_mul_f32_e32 v175, v1, v171
	s_waitcnt vmcnt(24)
	v_mul_f32_e32 v193, v3, v172
	v_mul_f32_e32 v7, v2, v171
	;; [unrolled: 1-line block ×3, first 2 shown]
	buffer_load_dword v171, off, s[0:3], 0 offset:348
	v_fmac_f32_e32 v175, v2, v169
	s_waitcnt vmcnt(21)
	v_fmac_f32_e32 v193, v4, v183
	v_fma_f32 v169, v1, v169, -v7
	v_fma_f32 v172, v3, v183, -v8
	ds_read_b128 v[1:4], v9 offset:768
	s_waitcnt vmcnt(20) lgkmcnt(1)
	v_mul_f32_e32 v183, v136, v181
	s_waitcnt vmcnt(19)
	v_mul_f32_e32 v194, v138, v182
	v_mul_f32_e32 v7, v137, v181
	;; [unrolled: 1-line block ×3, first 2 shown]
	s_clause 0x4
	buffer_load_dword v181, off, s[0:3], 0 offset:368
	buffer_load_dword v182, off, s[0:3], 0 offset:360
	;; [unrolled: 1-line block ×5, first 2 shown]
	v_fmac_f32_e32 v183, v137, v180
	v_fmac_f32_e32 v194, v139, v179
	v_fma_f32 v180, v136, v180, -v7
	v_add_f32_e32 v7, 0, v196
	v_fma_f32 v179, v138, v179, -v8
	buffer_load_dword v196, off, s[0:3], 0 offset:364
	v_add_f32_e32 v8, 0, v11
	v_add_f32_e32 v7, v7, v197
	buffer_load_dword v197, off, s[0:3], 0 offset:372
	v_add_f32_e32 v8, v8, v12
	v_add_f32_e32 v7, v7, v198
	s_waitcnt vmcnt(25) lgkmcnt(0)
	v_mul_f32_e32 v11, v1, v178
	v_mul_f32_e32 v12, v2, v178
	s_waitcnt vmcnt(24)
	v_mul_f32_e32 v178, v3, v177
	v_mul_f32_e32 v136, v4, v177
	v_fmac_f32_e32 v11, v2, v176
	v_add_f32_e32 v2, v7, v199
	v_fma_f32 v12, v1, v176, -v12
	s_clause 0x2
	buffer_load_dword v176, off, s[0:3], 0 offset:380
	buffer_load_dword v177, off, s[0:3], 0 offset:388
	;; [unrolled: 1-line block ×3, first 2 shown]
	v_add_f32_e32 v1, v8, v10
	buffer_load_dword v199, off, s[0:3], 0 offset:412
	v_add_f32_e32 v2, v2, v200
	s_waitcnt vmcnt(23)
	v_fmac_f32_e32 v178, v4, v184
	v_fma_f32 v10, v3, v184, -v136
	s_clause 0x5
	buffer_load_dword v184, off, s[0:3], 0 offset:404
	buffer_load_dword v200, off, s[0:3], 0 offset:400
	;; [unrolled: 1-line block ×6, first 2 shown]
	v_add_f32_e32 v1, v1, v147
	v_add_f32_e32 v2, v2, v201
	s_clause 0x1
	buffer_load_dword v201, off, s[0:3], 0 offset:428
	buffer_load_dword v208, off, s[0:3], 0 offset:436
	v_add_f32_e32 v1, v1, v146
	v_add_f32_e32 v2, v2, v188
	;; [unrolled: 1-line block ×6, first 2 shown]
	s_clause 0x5
	buffer_load_dword v188, off, s[0:3], 0 offset:444
	buffer_load_dword v190, off, s[0:3], 0 offset:452
	;; [unrolled: 1-line block ×6, first 2 shown]
	v_add_f32_e32 v2, v2, v191
	s_clause 0x3
	buffer_load_dword v191, off, s[0:3], 0 offset:432
	buffer_load_dword v212, off, s[0:3], 0 offset:424
	;; [unrolled: 1-line block ×4, first 2 shown]
	v_add_f32_e32 v1, v1, v155
	v_add_f32_e32 v2, v2, v152
	;; [unrolled: 1-line block ×6, first 2 shown]
	s_clause 0x3
	buffer_load_dword v192, off, s[0:3], 0 offset:464
	buffer_load_dword v215, off, s[0:3], 0 offset:456
	;; [unrolled: 1-line block ×4, first 2 shown]
	v_add_f32_e32 v1, v1, v150
	v_add_f32_e32 v2, v2, v153
	;; [unrolled: 1-line block ×5, first 2 shown]
	s_clause 0x1
	buffer_load_dword v156, off, s[0:3], 0 offset:480
	buffer_load_dword v218, off, s[0:3], 0 offset:472
	v_add_f32_e32 v7, v2, v163
	v_add_f32_e32 v1, v1, v157
	buffer_load_dword v157, off, s[0:3], 0 offset:88
	v_add_f32_e32 v7, v7, v164
	v_add_f32_e32 v1, v1, v140
	;; [unrolled: 1-line block ×4, first 2 shown]
	ds_read_b128 v[1:4], v9 offset:784
	v_add_f32_e32 v136, v136, v175
	v_add_f32_e32 v5, v8, v5
	;; [unrolled: 1-line block ×4, first 2 shown]
	ds_read_b128 v[5:8], v9 offset:800
	v_add_f32_e32 v140, v140, v183
	v_add_f32_e32 v137, v137, v169
	;; [unrolled: 1-line block ×4, first 2 shown]
	s_waitcnt vmcnt(47) lgkmcnt(1)
	v_mul_f32_e32 v144, v1, v185
	s_waitcnt vmcnt(46)
	v_mul_f32_e32 v148, v3, v186
	v_mul_f32_e32 v138, v2, v185
	v_mul_f32_e32 v139, v4, v186
	v_add_f32_e32 v141, v141, v180
	v_fmac_f32_e32 v144, v2, v170
	v_fmac_f32_e32 v148, v4, v168
	v_fma_f32 v145, v1, v170, -v138
	v_fma_f32 v149, v3, v168, -v139
	v_add_f32_e32 v147, v141, v179
	ds_read_b128 v[1:4], v9 offset:816
	ds_read_b128 v[136:139], v9 offset:832
	s_waitcnt lgkmcnt(2)
	v_mul_f32_e32 v152, v5, v166
	v_mul_f32_e32 v142, v6, v166
	v_add_f32_e32 v12, v147, v12
	v_add_f32_e32 v11, v146, v11
	v_fmac_f32_e32 v152, v6, v159
	v_fma_f32 v154, v5, v159, -v142
	v_add_f32_e32 v10, v12, v10
	v_add_f32_e32 v11, v11, v178
	;; [unrolled: 1-line block ×8, first 2 shown]
	s_waitcnt vmcnt(44)
	v_mul_f32_e32 v153, v7, v143
	v_mul_f32_e32 v143, v8, v143
	s_waitcnt vmcnt(42) lgkmcnt(1)
	v_mul_f32_e32 v159, v1, v160
	v_mul_f32_e32 v146, v2, v160
	s_waitcnt vmcnt(39)
	v_fmac_f32_e32 v153, v8, v174
	v_fma_f32 v155, v7, v174, -v143
	ds_read_b128 v[5:8], v9 offset:848
	ds_read_b128 v[140:143], v9 offset:864
	s_waitcnt vmcnt(37) lgkmcnt(2)
	v_mul_f32_e32 v161, v136, v173
	v_mul_f32_e32 v150, v137, v173
	;; [unrolled: 1-line block ×3, first 2 shown]
	v_fmac_f32_e32 v159, v2, v158
	v_fma_f32 v158, v1, v158, -v146
	v_fmac_f32_e32 v161, v137, v165
	v_fma_f32 v163, v136, v165, -v150
	v_add_f32_e32 v10, v10, v155
	v_mul_f32_e32 v160, v3, v162
	v_fma_f32 v162, v3, v167, -v147
	s_waitcnt vmcnt(36)
	v_mul_f32_e32 v151, v139, v171
	v_mul_f32_e32 v12, v138, v171
	v_add_f32_e32 v158, v10, v158
	v_fmac_f32_e32 v160, v4, v167
	ds_read_b128 v[1:4], v9 offset:880
	ds_read_b128 v[144:147], v9 offset:896
	s_waitcnt vmcnt(32)
	v_fma_f32 v164, v138, v202, -v151
	v_fmac_f32_e32 v12, v139, v202
	v_add_f32_e32 v158, v158, v162
	s_waitcnt vmcnt(31) lgkmcnt(3)
	v_mul_f32_e32 v165, v5, v203
	v_mul_f32_e32 v152, v6, v203
	ds_read_b128 v[136:139], v9 offset:912
	ds_read_b128 v[148:151], v9 offset:928
	s_waitcnt vmcnt(30)
	v_mul_f32_e32 v154, v8, v196
	v_add_f32_e32 v158, v158, v163
	v_fmac_f32_e32 v165, v6, v195
	v_add_f32_e32 v6, v11, v153
	v_fma_f32 v167, v5, v195, -v152
	v_mul_f32_e32 v166, v7, v196
	v_add_f32_e32 v158, v158, v164
	v_fma_f32 v168, v7, v182, -v154
	v_add_f32_e32 v159, v6, v159
	s_waitcnt vmcnt(29) lgkmcnt(4)
	v_mul_f32_e32 v169, v141, v197
	v_fmac_f32_e32 v166, v8, v182
	v_add_f32_e32 v158, v158, v167
	ds_read_b128 v[5:8], v9 offset:944
	ds_read_b128 v[152:155], v9 offset:960
	ds_read_b64 v[10:11], v9 offset:976
	v_add_f32_e32 v159, v159, v160
	v_mul_f32_e32 v160, v140, v197
	s_waitcnt vmcnt(28)
	v_mul_f32_e32 v170, v143, v176
	v_fma_f32 v140, v140, v181, -v169
	v_add_f32_e32 v158, v158, v168
	v_add_f32_e32 v159, v159, v161
	v_mul_f32_e32 v162, v142, v176
	v_fmac_f32_e32 v160, v141, v181
	s_waitcnt vmcnt(27) lgkmcnt(6)
	v_mul_f32_e32 v161, v1, v177
	v_mul_f32_e32 v169, v2, v177
	v_add_f32_e32 v12, v159, v12
	s_waitcnt vmcnt(20)
	v_fma_f32 v142, v142, v206, -v170
	v_add_f32_e32 v140, v158, v140
	v_fmac_f32_e32 v162, v143, v206
	v_fmac_f32_e32 v161, v2, v205
	v_add_f32_e32 v12, v12, v165
	v_fma_f32 v1, v1, v205, -v169
	v_add_f32_e32 v2, v140, v142
	v_mul_f32_e32 v163, v3, v198
	s_waitcnt lgkmcnt(5)
	v_mul_f32_e32 v140, v145, v184
	v_add_f32_e32 v12, v12, v166
	v_mul_f32_e32 v166, v4, v198
	v_add_f32_e32 v1, v2, v1
	v_mul_f32_e32 v141, v144, v184
	v_fmac_f32_e32 v163, v4, v204
	v_add_f32_e32 v12, v12, v160
	v_fma_f32 v3, v3, v204, -v166
	v_mul_f32_e32 v4, v147, v199
	v_mul_f32_e32 v159, v146, v199
	v_fmac_f32_e32 v141, v145, v200
	v_add_f32_e32 v12, v12, v162
	v_add_f32_e32 v1, v1, v3
	s_waitcnt vmcnt(19) lgkmcnt(4)
	v_mul_f32_e32 v3, v137, v207
	s_waitcnt vmcnt(7)
	v_fma_f32 v4, v146, v214, -v4
	v_mul_f32_e32 v164, v136, v207
	v_add_f32_e32 v2, v12, v161
	v_fma_f32 v12, v144, v200, -v140
	v_fmac_f32_e32 v159, v147, v214
	v_fma_f32 v3, v136, v213, -v3
	v_mul_f32_e32 v143, v138, v201
	v_add_f32_e32 v2, v2, v163
	v_add_f32_e32 v1, v1, v12
	v_mul_f32_e32 v12, v139, v201
	v_fmac_f32_e32 v164, v137, v213
	s_waitcnt lgkmcnt(3)
	v_mul_f32_e32 v170, v148, v208
	v_add_f32_e32 v2, v2, v141
	v_add_f32_e32 v1, v1, v4
	v_mul_f32_e32 v4, v149, v208
	v_fma_f32 v12, v138, v212, -v12
	v_fmac_f32_e32 v143, v139, v212
	v_add_f32_e32 v2, v2, v159
	v_add_f32_e32 v1, v1, v3
	v_mul_f32_e32 v3, v151, v188
	v_fma_f32 v4, v148, v191, -v4
	v_mul_f32_e32 v165, v150, v188
	v_add_f32_e32 v2, v2, v164
	v_add_f32_e32 v1, v1, v12
	v_fmac_f32_e32 v170, v149, v191
	s_waitcnt lgkmcnt(2)
	v_mul_f32_e32 v12, v6, v190
	s_waitcnt vmcnt(3)
	v_fma_f32 v3, v150, v217, -v3
	v_add_f32_e32 v2, v2, v143
	v_add_f32_e32 v1, v1, v4
	v_mul_f32_e32 v167, v5, v190
	v_fmac_f32_e32 v165, v151, v217
	v_mul_f32_e32 v4, v8, v209
	v_add_f32_e32 v2, v2, v170
	v_fma_f32 v5, v5, v216, -v12
	v_add_f32_e32 v1, v1, v3
	v_mul_f32_e32 v171, v7, v209
	v_fmac_f32_e32 v167, v6, v216
	v_add_f32_e32 v2, v2, v165
	s_waitcnt lgkmcnt(1)
	v_mul_f32_e32 v3, v153, v210
	v_fma_f32 v4, v7, v215, -v4
	v_add_f32_e32 v1, v1, v5
	v_mul_f32_e32 v168, v152, v210
	v_fmac_f32_e32 v171, v8, v215
	v_add_f32_e32 v2, v2, v167
	v_mul_f32_e32 v5, v155, v211
	v_fma_f32 v3, v152, v192, -v3
	v_add_f32_e32 v1, v1, v4
	v_mul_f32_e32 v172, v154, v211
	v_fmac_f32_e32 v168, v153, v192
	v_add_f32_e32 v2, v2, v171
	s_waitcnt lgkmcnt(0)
	v_mul_f32_e32 v4, v11, v189
	s_waitcnt vmcnt(1)
	v_fma_f32 v5, v154, v218, -v5
	v_add_f32_e32 v1, v1, v3
	v_mul_f32_e32 v158, v10, v189
	v_fmac_f32_e32 v172, v155, v218
	v_add_f32_e32 v2, v2, v168
	v_fma_f32 v3, v10, v156, -v4
	v_add_f32_e32 v1, v1, v5
	v_fmac_f32_e32 v158, v11, v156
	v_add_f32_e32 v2, v2, v172
	v_add_f32_e32 v1, v1, v3
	;; [unrolled: 1-line block ×3, first 2 shown]
	s_waitcnt vmcnt(0)
	v_sub_f32_e32 v1, v157, v1
	v_sub_f32_e32 v2, v187, v2
	buffer_store_dword v1, off, s[0:3], 0 offset:88
	buffer_store_dword v2, off, s[0:3], 0 offset:92
	v_cmpx_lt_u32_e32 10, v0
	s_cbranch_execz .LBB124_359
; %bb.358:
	s_clause 0x1
	buffer_load_dword v1, off, s[0:3], 0 offset:80
	buffer_load_dword v2, off, s[0:3], 0 offset:84
	buffer_store_dword v9, off, s[0:3], 0 offset:80
	buffer_store_dword v9, off, s[0:3], 0 offset:84
	s_waitcnt vmcnt(0)
	ds_write_b64 v135, v[1:2]
.LBB124_359:
	s_or_b32 exec_lo, exec_lo, s4
	s_waitcnt lgkmcnt(0)
	s_waitcnt_vscnt null, 0x0
	s_barrier
	buffer_gl0_inv
	s_clause 0x35
	buffer_load_dword v1, off, s[0:3], 0 offset:92
	buffer_load_dword v3, off, s[0:3], 0 offset:100
	;; [unrolled: 1-line block ×54, first 2 shown]
	ds_read2_b64 v[180:183], v9 offset0:73 offset1:74
	ds_read2_b64 v[184:187], v9 offset0:75 offset1:76
	;; [unrolled: 1-line block ×4, first 2 shown]
	buffer_load_dword v174, off, s[0:3], 0 offset:84
	s_mov_b32 s4, exec_lo
	s_waitcnt vmcnt(54) lgkmcnt(3)
	v_mul_f32_e32 v196, v180, v1
	v_mul_f32_e32 v1, v181, v1
	s_waitcnt vmcnt(53)
	v_mul_f32_e32 v197, v182, v3
	v_mul_f32_e32 v3, v183, v3
	s_waitcnt vmcnt(52) lgkmcnt(2)
	v_mul_f32_e32 v198, v184, v5
	v_mul_f32_e32 v5, v185, v5
	s_waitcnt vmcnt(49)
	v_fma_f32 v199, v180, v7, -v1
	s_waitcnt vmcnt(48)
	v_mul_f32_e32 v1, v187, v6
	v_fmac_f32_e32 v196, v181, v7
	v_fmac_f32_e32 v197, v183, v4
	v_fma_f32 v201, v182, v4, -v3
	v_fmac_f32_e32 v198, v185, v2
	v_fma_f32 v184, v184, v2, -v5
	s_waitcnt vmcnt(44)
	v_fma_f32 v185, v186, v139, -v1
	ds_read2_b64 v[1:4], v9 offset0:81 offset1:82
	ds_read2_b64 v[180:183], v9 offset0:83 offset1:84
	v_mul_f32_e32 v200, v186, v6
	s_waitcnt vmcnt(43) lgkmcnt(3)
	v_mul_f32_e32 v186, v188, v138
	v_mul_f32_e32 v5, v189, v138
	s_waitcnt vmcnt(42)
	v_mul_f32_e32 v6, v191, v137
	s_waitcnt vmcnt(41) lgkmcnt(2)
	v_mul_f32_e32 v202, v192, v12
	v_fmac_f32_e32 v200, v187, v139
	v_mul_f32_e32 v187, v190, v137
	v_fmac_f32_e32 v186, v189, v11
	v_fma_f32 v11, v188, v11, -v5
	s_waitcnt vmcnt(40)
	v_mul_f32_e32 v188, v194, v136
	v_mul_f32_e32 v5, v193, v12
	;; [unrolled: 1-line block ×3, first 2 shown]
	v_fmac_f32_e32 v187, v191, v10
	v_fma_f32 v10, v190, v10, -v6
	v_fmac_f32_e32 v202, v193, v8
	s_waitcnt vmcnt(36)
	v_fmac_f32_e32 v188, v195, v147
	v_fma_f32 v12, v192, v8, -v5
	v_fma_f32 v147, v194, v147, -v7
	ds_read2_b64 v[5:8], v9 offset0:85 offset1:86
	ds_read2_b64 v[136:139], v9 offset0:87 offset1:88
	s_waitcnt vmcnt(35) lgkmcnt(3)
	v_mul_f32_e32 v189, v1, v146
	v_mul_f32_e32 v146, v2, v146
	s_waitcnt vmcnt(34)
	v_mul_f32_e32 v190, v3, v145
	v_mul_f32_e32 v145, v4, v145
	s_waitcnt vmcnt(33) lgkmcnt(2)
	v_mul_f32_e32 v191, v180, v143
	v_fmac_f32_e32 v189, v2, v142
	v_fma_f32 v146, v1, v142, -v146
	s_waitcnt vmcnt(32)
	v_mul_f32_e32 v192, v182, v144
	v_mul_f32_e32 v1, v181, v143
	;; [unrolled: 1-line block ×3, first 2 shown]
	v_fmac_f32_e32 v190, v4, v141
	v_fma_f32 v144, v3, v141, -v145
	v_fmac_f32_e32 v191, v181, v140
	s_waitcnt vmcnt(28)
	v_fmac_f32_e32 v192, v183, v154
	v_fma_f32 v145, v180, v140, -v1
	v_fma_f32 v154, v182, v154, -v2
	ds_read2_b64 v[1:4], v9 offset0:89 offset1:90
	ds_read2_b64 v[140:143], v9 offset0:91 offset1:92
	s_waitcnt vmcnt(27) lgkmcnt(3)
	v_mul_f32_e32 v180, v5, v153
	v_mul_f32_e32 v153, v6, v153
	s_waitcnt vmcnt(26)
	v_mul_f32_e32 v181, v7, v152
	v_mul_f32_e32 v152, v8, v152
	s_waitcnt vmcnt(25) lgkmcnt(2)
	v_mul_f32_e32 v182, v136, v151
	v_mul_f32_e32 v151, v137, v151
	v_fmac_f32_e32 v180, v6, v150
	v_fma_f32 v150, v5, v150, -v153
	s_waitcnt vmcnt(24)
	v_mul_f32_e32 v153, v138, v155
	v_mul_f32_e32 v5, v139, v155
	v_fmac_f32_e32 v181, v8, v149
	v_fma_f32 v149, v7, v149, -v152
	v_fmac_f32_e32 v182, v137, v148
	v_fma_f32 v148, v136, v148, -v151
	s_waitcnt vmcnt(20)
	v_fmac_f32_e32 v153, v139, v162
	v_fma_f32 v151, v138, v162, -v5
	ds_read2_b64 v[5:8], v9 offset0:93 offset1:94
	ds_read2_b64 v[136:139], v9 offset0:95 offset1:96
	s_waitcnt vmcnt(19) lgkmcnt(3)
	v_mul_f32_e32 v155, v2, v161
	v_mul_f32_e32 v152, v1, v161
	s_waitcnt vmcnt(18)
	v_mul_f32_e32 v161, v3, v160
	v_mul_f32_e32 v160, v4, v160
	s_waitcnt vmcnt(17) lgkmcnt(2)
	v_mul_f32_e32 v162, v140, v159
	v_fma_f32 v155, v1, v158, -v155
	s_waitcnt vmcnt(16)
	v_mul_f32_e32 v1, v143, v163
	v_mul_f32_e32 v159, v141, v159
	v_fmac_f32_e32 v152, v2, v158
	v_mul_f32_e32 v158, v142, v163
	v_fmac_f32_e32 v161, v4, v157
	v_fma_f32 v157, v3, v157, -v160
	s_clause 0x4
	buffer_load_dword v160, off, s[0:3], 0 offset:308
	buffer_load_dword v163, off, s[0:3], 0 offset:328
	;; [unrolled: 1-line block ×5, first 2 shown]
	v_fmac_f32_e32 v162, v141, v156
	s_waitcnt vmcnt(17)
	v_fma_f32 v141, v142, v171, -v1
	ds_read2_b64 v[1:4], v9 offset0:97 offset1:98
	v_fmac_f32_e32 v158, v143, v171
	v_fma_f32 v140, v140, v156, -v159
	s_waitcnt vmcnt(16) lgkmcnt(2)
	v_mul_f32_e32 v142, v5, v169
	v_mul_f32_e32 v143, v6, v169
	s_waitcnt vmcnt(15)
	v_mul_f32_e32 v156, v7, v168
	v_mul_f32_e32 v159, v8, v168
	buffer_load_dword v168, off, s[0:3], 0 offset:324
	v_fmac_f32_e32 v142, v6, v167
	v_fma_f32 v143, v5, v167, -v143
	buffer_load_dword v167, off, s[0:3], 0 offset:316
	v_fmac_f32_e32 v156, v8, v165
	v_fma_f32 v159, v7, v165, -v159
	s_waitcnt vmcnt(16) lgkmcnt(1)
	v_mul_f32_e32 v165, v136, v166
	v_mul_f32_e32 v5, v137, v166
	s_waitcnt vmcnt(15)
	v_mul_f32_e32 v6, v139, v170
	v_mul_f32_e32 v166, v138, v170
	v_fmac_f32_e32 v165, v137, v164
	v_fma_f32 v164, v136, v164, -v5
	s_waitcnt vmcnt(10)
	v_fma_f32 v169, v138, v179, -v6
	ds_read2_b64 v[5:8], v9 offset0:99 offset1:100
	s_waitcnt vmcnt(9) lgkmcnt(1)
	v_mul_f32_e32 v170, v1, v178
	v_mul_f32_e32 v136, v2, v178
	s_waitcnt vmcnt(8)
	v_mul_f32_e32 v195, v3, v177
	v_fmac_f32_e32 v166, v139, v179
	s_clause 0x2
	buffer_load_dword v171, off, s[0:3], 0 offset:332
	buffer_load_dword v178, off, s[0:3], 0 offset:340
	;; [unrolled: 1-line block ×3, first 2 shown]
	v_fmac_f32_e32 v170, v2, v176
	v_fma_f32 v176, v1, v176, -v136
	v_mul_f32_e32 v1, v4, v177
	v_fmac_f32_e32 v195, v4, v175
	v_add_f32_e32 v2, 0, v199
	s_clause 0x3
	buffer_load_dword v177, off, s[0:3], 0 offset:360
	buffer_load_dword v203, off, s[0:3], 0 offset:352
	;; [unrolled: 1-line block ×4, first 2 shown]
	v_fma_f32 v175, v3, v175, -v1
	v_add_f32_e32 v1, 0, v196
	v_add_f32_e32 v2, v2, v201
	buffer_load_dword v196, off, s[0:3], 0 offset:356
	v_add_f32_e32 v1, v1, v197
	v_add_f32_e32 v2, v2, v184
	s_waitcnt lgkmcnt(0)
	v_mul_f32_e32 v3, v6, v173
	v_add_f32_e32 v1, v1, v198
	s_clause 0x1
	buffer_load_dword v197, off, s[0:3], 0 offset:364
	buffer_load_dword v198, off, s[0:3], 0 offset:372
	v_add_f32_e32 v2, v2, v185
	v_add_f32_e32 v1, v1, v200
	;; [unrolled: 1-line block ×3, first 2 shown]
	v_fma_f32 v11, v5, v172, -v3
	v_add_f32_e32 v1, v1, v186
	s_clause 0x5
	buffer_load_dword v184, off, s[0:3], 0 offset:392
	buffer_load_dword v185, off, s[0:3], 0 offset:384
	;; [unrolled: 1-line block ×6, first 2 shown]
	v_add_f32_e32 v2, v2, v10
	v_add_f32_e32 v1, v1, v187
	buffer_load_dword v187, off, s[0:3], 0 offset:380
	v_mul_f32_e32 v10, v5, v173
	v_add_f32_e32 v2, v2, v12
	v_add_f32_e32 v1, v1, v202
	v_fmac_f32_e32 v10, v6, v172
	v_add_f32_e32 v2, v2, v147
	v_add_f32_e32 v1, v1, v188
	s_clause 0x2
	buffer_load_dword v188, off, s[0:3], 0 offset:404
	buffer_load_dword v202, off, s[0:3], 0 offset:412
	buffer_load_dword v206, off, s[0:3], 0 offset:420
	v_add_f32_e32 v2, v2, v146
	v_add_f32_e32 v1, v1, v189
	s_clause 0x2
	buffer_load_dword v189, off, s[0:3], 0 offset:428
	buffer_load_dword v207, off, s[0:3], 0 offset:436
	buffer_load_dword v208, off, s[0:3], 0 offset:444
	;; [unrolled: 6-line block ×3, first 2 shown]
	buffer_load_dword v211, off, s[0:3], 0 offset:484
	v_add_f32_e32 v2, v2, v145
	v_add_f32_e32 v1, v1, v191
	buffer_load_dword v191, off, s[0:3], 0 offset:476
	v_add_f32_e32 v2, v2, v154
	v_add_f32_e32 v1, v1, v192
	;; [unrolled: 1-line block ×4, first 2 shown]
	s_clause 0x3
	buffer_load_dword v180, off, s[0:3], 0 offset:424
	buffer_load_dword v192, off, s[0:3], 0 offset:416
	;; [unrolled: 1-line block ×4, first 2 shown]
	v_add_f32_e32 v2, v2, v149
	v_add_f32_e32 v1, v1, v181
	;; [unrolled: 1-line block ×4, first 2 shown]
	s_clause 0x7
	buffer_load_dword v181, off, s[0:3], 0 offset:456
	buffer_load_dword v182, off, s[0:3], 0 offset:448
	;; [unrolled: 1-line block ×8, first 2 shown]
	v_add_f32_e32 v2, v2, v151
	v_add_f32_e32 v1, v1, v153
	;; [unrolled: 1-line block ×8, first 2 shown]
	ds_read2_b64 v[1:4], v9 offset0:101 offset1:102
	v_add_f32_e32 v12, v5, v141
	v_add_f32_e32 v136, v6, v158
	;; [unrolled: 1-line block ×4, first 2 shown]
	ds_read2_b64 v[136:139], v9 offset0:105 offset1:106
	v_add_f32_e32 v12, v12, v159
	v_add_f32_e32 v140, v140, v156
	v_add_f32_e32 v12, v12, v164
	s_waitcnt vmcnt(46)
	v_mul_f32_e32 v152, v7, v160
	v_mul_f32_e32 v5, v8, v160
	s_waitcnt vmcnt(42)
	v_fmac_f32_e32 v152, v8, v194
	v_fma_f32 v153, v7, v194, -v5
	ds_read2_b64 v[5:8], v9 offset0:103 offset1:104
	s_waitcnt vmcnt(41) lgkmcnt(2)
	v_mul_f32_e32 v144, v4, v168
	s_waitcnt vmcnt(40)
	v_mul_f32_e32 v141, v2, v167
	v_mul_f32_e32 v154, v1, v167
	v_fma_f32 v159, v3, v183, -v144
	v_fma_f32 v155, v1, v193, -v141
	v_add_f32_e32 v1, v140, v165
	v_fmac_f32_e32 v154, v2, v193
	v_add_f32_e32 v2, v12, v169
	ds_read2_b64 v[140:143], v9 offset0:107 offset1:108
	v_mul_f32_e32 v12, v3, v168
	v_add_f32_e32 v1, v1, v166
	v_add_f32_e32 v2, v2, v176
	s_waitcnt vmcnt(39) lgkmcnt(1)
	v_mul_f32_e32 v145, v6, v171
	v_mul_f32_e32 v156, v5, v171
	v_add_f32_e32 v1, v1, v170
	s_waitcnt vmcnt(37)
	v_mul_f32_e32 v158, v136, v179
	v_fmac_f32_e32 v12, v4, v183
	v_fma_f32 v160, v5, v163, -v145
	v_add_f32_e32 v5, v2, v175
	v_fmac_f32_e32 v156, v6, v163
	v_add_f32_e32 v6, v1, v195
	v_mul_f32_e32 v148, v8, v178
	v_mul_f32_e32 v149, v137, v179
	v_add_f32_e32 v11, v5, v11
	s_waitcnt vmcnt(34)
	v_fmac_f32_e32 v158, v137, v204
	v_add_f32_e32 v10, v6, v10
	v_mul_f32_e32 v157, v7, v178
	s_waitcnt vmcnt(33)
	v_fma_f32 v161, v7, v205, -v148
	v_add_f32_e32 v11, v11, v153
	ds_read2_b64 v[1:4], v9 offset0:109 offset1:110
	ds_read2_b64 v[144:147], v9 offset0:111 offset1:112
	v_add_f32_e32 v10, v10, v152
	v_fmac_f32_e32 v157, v8, v205
	v_fma_f32 v162, v136, v204, -v149
	s_waitcnt vmcnt(31) lgkmcnt(2)
	v_mul_f32_e32 v164, v140, v197
	v_add_f32_e32 v11, v11, v155
	s_waitcnt vmcnt(30)
	v_mul_f32_e32 v165, v142, v198
	v_add_f32_e32 v10, v10, v154
	v_mul_f32_e32 v137, v141, v197
	v_fmac_f32_e32 v164, v141, v177
	v_add_f32_e32 v141, v11, v159
	v_mul_f32_e32 v166, v143, v198
	v_mul_f32_e32 v136, v139, v196
	;; [unrolled: 1-line block ×3, first 2 shown]
	v_fma_f32 v140, v140, v177, -v137
	s_waitcnt vmcnt(26)
	v_fmac_f32_e32 v165, v143, v199
	v_add_f32_e32 v143, v10, v12
	v_add_f32_e32 v141, v141, v160
	v_fma_f32 v167, v138, v203, -v136
	v_fmac_f32_e32 v163, v139, v203
	v_fma_f32 v142, v142, v199, -v166
	v_add_f32_e32 v143, v143, v156
	v_add_f32_e32 v141, v141, v161
	s_waitcnt vmcnt(23) lgkmcnt(1)
	v_mul_f32_e32 v160, v2, v187
	ds_read2_b64 v[5:8], v9 offset0:113 offset1:114
	ds_read2_b64 v[148:151], v9 offset0:115 offset1:116
	v_mul_f32_e32 v159, v1, v187
	v_add_f32_e32 v143, v143, v157
	v_add_f32_e32 v141, v141, v162
	v_mul_f32_e32 v166, v4, v200
	v_fma_f32 v1, v1, v186, -v160
	v_mul_f32_e32 v156, v3, v200
	v_add_f32_e32 v143, v143, v158
	v_add_f32_e32 v141, v141, v167
	v_fmac_f32_e32 v159, v2, v186
	v_fma_f32 v3, v3, v185, -v166
	s_waitcnt lgkmcnt(2)
	v_mul_f32_e32 v161, v144, v201
	v_add_f32_e32 v143, v143, v163
	v_add_f32_e32 v140, v141, v140
	v_fmac_f32_e32 v156, v4, v185
	s_waitcnt vmcnt(22)
	v_mul_f32_e32 v157, v146, v188
	v_fmac_f32_e32 v161, v145, v184
	v_add_f32_e32 v143, v143, v164
	v_add_f32_e32 v140, v140, v142
	ds_read2_b64 v[136:139], v9 offset0:117 offset1:118
	ds_read2_b64 v[152:155], v9 offset0:119 offset1:120
	s_waitcnt vmcnt(21) lgkmcnt(3)
	v_mul_f32_e32 v168, v5, v202
	s_waitcnt vmcnt(20)
	v_mul_f32_e32 v162, v7, v206
	v_add_f32_e32 v142, v143, v165
	v_mul_f32_e32 v143, v145, v201
	v_add_f32_e32 v1, v140, v1
	v_mul_f32_e32 v140, v147, v188
	s_waitcnt vmcnt(19) lgkmcnt(2)
	v_mul_f32_e32 v158, v148, v189
	v_add_f32_e32 v4, v142, v159
	v_fma_f32 v142, v144, v184, -v143
	v_add_f32_e32 v1, v1, v3
	s_waitcnt vmcnt(9)
	v_fmac_f32_e32 v168, v6, v212
	s_waitcnt vmcnt(8)
	v_fma_f32 v140, v146, v213, -v140
	v_add_f32_e32 v3, v4, v156
	v_mul_f32_e32 v4, v6, v202
	v_add_f32_e32 v1, v1, v142
	v_fmac_f32_e32 v157, v147, v213
	v_mul_f32_e32 v142, v8, v206
	v_add_f32_e32 v3, v3, v161
	v_fma_f32 v4, v5, v212, -v4
	v_add_f32_e32 v1, v1, v140
	v_mul_f32_e32 v5, v149, v189
	v_fma_f32 v6, v7, v192, -v142
	v_add_f32_e32 v3, v3, v157
	v_fmac_f32_e32 v162, v8, v192
	v_add_f32_e32 v1, v1, v4
	v_mul_f32_e32 v4, v151, v207
	v_fma_f32 v5, v148, v180, -v5
	v_add_f32_e32 v3, v3, v168
	v_mul_f32_e32 v169, v150, v207
	v_add_f32_e32 v1, v1, v6
	v_fmac_f32_e32 v158, v149, v180
	ds_read2_b64 v[9:12], v9 offset0:121 offset1:122
	v_add_f32_e32 v3, v3, v162
	s_waitcnt lgkmcnt(2)
	v_mul_f32_e32 v6, v137, v208
	s_waitcnt vmcnt(4)
	v_fma_f32 v4, v150, v215, -v4
	v_add_f32_e32 v1, v1, v5
	v_mul_f32_e32 v167, v136, v208
	v_fmac_f32_e32 v169, v151, v215
	v_add_f32_e32 v3, v3, v158
	v_mul_f32_e32 v5, v139, v190
	v_fma_f32 v6, v136, v214, -v6
	v_add_f32_e32 v1, v1, v4
	v_mul_f32_e32 v163, v138, v190
	v_fmac_f32_e32 v167, v137, v214
	v_add_f32_e32 v3, v3, v169
	s_waitcnt lgkmcnt(1)
	v_mul_f32_e32 v4, v153, v209
	v_fma_f32 v5, v138, v182, -v5
	v_add_f32_e32 v1, v1, v6
	v_mul_f32_e32 v170, v152, v209
	v_fmac_f32_e32 v163, v139, v182
	v_add_f32_e32 v3, v3, v167
	v_mul_f32_e32 v6, v155, v210
	v_fma_f32 v4, v152, v181, -v4
	v_add_f32_e32 v1, v1, v5
	v_mul_f32_e32 v141, v154, v210
	v_fmac_f32_e32 v170, v153, v181
	v_add_f32_e32 v3, v3, v163
	s_waitcnt lgkmcnt(0)
	v_mul_f32_e32 v5, v10, v191
	s_waitcnt vmcnt(1)
	v_fma_f32 v6, v154, v218, -v6
	v_add_f32_e32 v1, v1, v4
	v_mul_f32_e32 v164, v9, v191
	v_fmac_f32_e32 v141, v155, v218
	v_add_f32_e32 v3, v3, v170
	v_mul_f32_e32 v4, v12, v211
	v_fma_f32 v5, v9, v217, -v5
	v_add_f32_e32 v1, v1, v6
	v_mul_f32_e32 v2, v11, v211
	v_fmac_f32_e32 v164, v10, v217
	v_add_f32_e32 v3, v3, v141
	v_fma_f32 v4, v11, v216, -v4
	v_add_f32_e32 v1, v1, v5
	v_fmac_f32_e32 v2, v12, v216
	v_add_f32_e32 v3, v3, v164
	v_add_f32_e32 v1, v1, v4
	;; [unrolled: 1-line block ×3, first 2 shown]
	s_waitcnt vmcnt(0)
	v_sub_f32_e32 v1, v219, v1
	v_sub_f32_e32 v2, v174, v2
	buffer_store_dword v1, off, s[0:3], 0 offset:80
	buffer_store_dword v2, off, s[0:3], 0 offset:84
	v_cmpx_lt_u32_e32 9, v0
	s_cbranch_execz .LBB124_361
; %bb.360:
	s_clause 0x1
	buffer_load_dword v1, off, s[0:3], 0 offset:72
	buffer_load_dword v2, off, s[0:3], 0 offset:76
	v_mov_b32_e32 v3, 0
	buffer_store_dword v3, off, s[0:3], 0 offset:72
	buffer_store_dword v3, off, s[0:3], 0 offset:76
	s_waitcnt vmcnt(0)
	ds_write_b64 v135, v[1:2]
.LBB124_361:
	s_or_b32 exec_lo, exec_lo, s4
	s_waitcnt lgkmcnt(0)
	s_waitcnt_vscnt null, 0x0
	s_barrier
	buffer_gl0_inv
	s_clause 0x35
	buffer_load_dword v2, off, s[0:3], 0 offset:84
	buffer_load_dword v4, off, s[0:3], 0 offset:92
	;; [unrolled: 1-line block ×54, first 2 shown]
	v_mov_b32_e32 v1, 0
	ds_read_b128 v[180:183], v1 offset:576
	ds_read_b128 v[184:187], v1 offset:592
	buffer_load_dword v177, off, s[0:3], 0 offset:76
	ds_read_b128 v[188:191], v1 offset:608
	ds_read_b128 v[192:195], v1 offset:624
	s_mov_b32 s4, exec_lo
	s_waitcnt vmcnt(54) lgkmcnt(3)
	v_mul_f32_e32 v196, v180, v2
	v_mul_f32_e32 v2, v181, v2
	s_waitcnt vmcnt(53)
	v_mul_f32_e32 v197, v182, v4
	v_mul_f32_e32 v4, v183, v4
	s_waitcnt vmcnt(52) lgkmcnt(2)
	v_mul_f32_e32 v198, v184, v6
	v_mul_f32_e32 v6, v185, v6
	s_waitcnt vmcnt(49)
	v_fma_f32 v199, v180, v8, -v2
	s_waitcnt vmcnt(48)
	v_mul_f32_e32 v2, v187, v7
	v_fmac_f32_e32 v196, v181, v8
	v_fmac_f32_e32 v197, v183, v5
	v_fma_f32 v201, v182, v5, -v4
	v_fmac_f32_e32 v198, v185, v3
	v_fma_f32 v184, v184, v3, -v6
	s_waitcnt vmcnt(44)
	v_fma_f32 v185, v186, v139, -v2
	ds_read_b128 v[2:5], v1 offset:640
	ds_read_b128 v[180:183], v1 offset:656
	v_mul_f32_e32 v200, v186, v7
	s_waitcnt vmcnt(43) lgkmcnt(3)
	v_mul_f32_e32 v186, v188, v137
	v_mul_f32_e32 v6, v189, v137
	s_waitcnt vmcnt(42)
	v_mul_f32_e32 v7, v191, v138
	s_waitcnt vmcnt(41) lgkmcnt(2)
	v_mul_f32_e32 v202, v192, v136
	v_fmac_f32_e32 v200, v187, v139
	v_mul_f32_e32 v187, v190, v138
	v_mul_f32_e32 v8, v193, v136
	v_fmac_f32_e32 v186, v189, v11
	v_fma_f32 v11, v188, v11, -v6
	s_waitcnt vmcnt(40)
	v_mul_f32_e32 v188, v194, v12
	v_mul_f32_e32 v6, v195, v12
	v_fmac_f32_e32 v187, v191, v10
	v_fma_f32 v10, v190, v10, -v7
	v_fmac_f32_e32 v202, v193, v9
	v_fma_f32 v12, v192, v9, -v8
	s_waitcnt vmcnt(36)
	v_fmac_f32_e32 v188, v195, v147
	v_fma_f32 v147, v194, v147, -v6
	ds_read_b128 v[6:9], v1 offset:672
	ds_read_b128 v[136:139], v1 offset:688
	s_waitcnt vmcnt(35) lgkmcnt(3)
	v_mul_f32_e32 v189, v2, v146
	v_mul_f32_e32 v146, v3, v146
	s_waitcnt vmcnt(34)
	v_mul_f32_e32 v190, v4, v145
	v_mul_f32_e32 v145, v5, v145
	s_waitcnt vmcnt(33) lgkmcnt(2)
	v_mul_f32_e32 v191, v180, v143
	v_fmac_f32_e32 v189, v3, v142
	v_fma_f32 v146, v2, v142, -v146
	s_waitcnt vmcnt(32)
	v_mul_f32_e32 v192, v182, v144
	v_mul_f32_e32 v2, v181, v143
	;; [unrolled: 1-line block ×3, first 2 shown]
	v_fmac_f32_e32 v190, v5, v141
	v_fma_f32 v144, v4, v141, -v145
	v_fmac_f32_e32 v191, v181, v140
	s_waitcnt vmcnt(28)
	v_fmac_f32_e32 v192, v183, v155
	v_fma_f32 v145, v180, v140, -v2
	v_fma_f32 v155, v182, v155, -v3
	ds_read_b128 v[2:5], v1 offset:704
	ds_read_b128 v[140:143], v1 offset:720
	s_waitcnt vmcnt(27) lgkmcnt(3)
	v_mul_f32_e32 v180, v6, v154
	v_mul_f32_e32 v154, v7, v154
	s_waitcnt vmcnt(26)
	v_mul_f32_e32 v181, v8, v153
	v_mul_f32_e32 v153, v9, v153
	s_waitcnt vmcnt(25) lgkmcnt(2)
	v_mul_f32_e32 v182, v136, v152
	v_fmac_f32_e32 v180, v7, v150
	v_fma_f32 v150, v6, v150, -v154
	v_fmac_f32_e32 v181, v9, v149
	v_fma_f32 v149, v8, v149, -v153
	s_clause 0x4
	buffer_load_dword v153, off, s[0:3], 0 offset:300
	buffer_load_dword v154, off, s[0:3], 0 offset:320
	;; [unrolled: 1-line block ×5, first 2 shown]
	v_mul_f32_e32 v152, v137, v152
	s_waitcnt vmcnt(29)
	v_mul_f32_e32 v6, v139, v151
	v_mul_f32_e32 v195, v138, v151
	v_fmac_f32_e32 v182, v137, v148
	v_fma_f32 v136, v136, v148, -v152
	s_waitcnt vmcnt(24)
	v_fma_f32 v138, v138, v164, -v6
	ds_read_b128 v[6:9], v1 offset:736
	buffer_load_dword v152, off, s[0:3], 0 offset:308
	s_waitcnt lgkmcnt(2)
	v_mul_f32_e32 v137, v2, v156
	v_mul_f32_e32 v148, v3, v156
	v_fmac_f32_e32 v195, v139, v164
	s_waitcnt vmcnt(24)
	v_mul_f32_e32 v139, v4, v162
	v_mul_f32_e32 v151, v5, v162
	v_fmac_f32_e32 v137, v3, v160
	v_fma_f32 v148, v2, v160, -v148
	s_waitcnt vmcnt(23) lgkmcnt(1)
	v_mul_f32_e32 v156, v140, v159
	v_mul_f32_e32 v2, v141, v159
	s_waitcnt vmcnt(22)
	v_mul_f32_e32 v3, v143, v163
	v_fmac_f32_e32 v139, v5, v158
	v_fma_f32 v151, v4, v158, -v151
	s_clause 0x1
	buffer_load_dword v158, off, s[0:3], 0 offset:316
	buffer_load_dword v159, off, s[0:3], 0 offset:324
	v_mul_f32_e32 v160, v142, v163
	v_fmac_f32_e32 v156, v141, v157
	v_fma_f32 v140, v140, v157, -v2
	s_clause 0x1
	buffer_load_dword v157, off, s[0:3], 0 offset:332
	buffer_load_dword v162, off, s[0:3], 0 offset:340
	v_add_f32_e32 v141, 0, v196
	s_waitcnt vmcnt(22)
	v_fma_f32 v142, v142, v171, -v3
	ds_read_b128 v[2:5], v1 offset:752
	v_fmac_f32_e32 v160, v143, v171
	s_waitcnt vmcnt(21) lgkmcnt(1)
	v_mul_f32_e32 v143, v6, v170
	v_mul_f32_e32 v163, v7, v170
	v_add_f32_e32 v141, v141, v197
	v_add_f32_e32 v170, 0, v199
	s_waitcnt vmcnt(20)
	v_mul_f32_e32 v164, v8, v169
	v_mul_f32_e32 v169, v9, v169
	v_fmac_f32_e32 v143, v7, v168
	v_fma_f32 v163, v6, v168, -v163
	v_add_f32_e32 v6, v170, v201
	v_add_f32_e32 v7, v141, v198
	v_fmac_f32_e32 v164, v9, v167
	v_fma_f32 v167, v8, v167, -v169
	s_clause 0x3
	buffer_load_dword v168, off, s[0:3], 0 offset:352
	buffer_load_dword v169, off, s[0:3], 0 offset:344
	;; [unrolled: 1-line block ×4, first 2 shown]
	v_add_f32_e32 v6, v6, v184
	v_add_f32_e32 v141, v7, v200
	s_clause 0x2
	buffer_load_dword v184, off, s[0:3], 0 offset:348
	buffer_load_dword v196, off, s[0:3], 0 offset:356
	;; [unrolled: 1-line block ×3, first 2 shown]
	v_add_f32_e32 v185, v6, v185
	ds_read_b128 v[6:9], v1 offset:768
	v_add_f32_e32 v141, v141, v186
	s_waitcnt vmcnt(26) lgkmcnt(1)
	v_mul_f32_e32 v186, v2, v165
	v_mul_f32_e32 v165, v3, v165
	v_add_f32_e32 v11, v185, v11
	s_waitcnt vmcnt(25)
	v_mul_f32_e32 v185, v4, v166
	v_mul_f32_e32 v166, v5, v166
	v_fmac_f32_e32 v186, v3, v161
	v_add_f32_e32 v3, v141, v187
	v_fma_f32 v141, v2, v161, -v165
	v_add_f32_e32 v2, v11, v10
	s_waitcnt vmcnt(20)
	v_fmac_f32_e32 v185, v5, v179
	v_fma_f32 v161, v4, v179, -v166
	v_add_f32_e32 v10, v3, v202
	s_clause 0x4
	buffer_load_dword v165, off, s[0:3], 0 offset:384
	buffer_load_dword v166, off, s[0:3], 0 offset:376
	;; [unrolled: 1-line block ×5, first 2 shown]
	v_add_f32_e32 v12, v2, v12
	ds_read_b128 v[2:5], v1 offset:784
	v_add_f32_e32 v10, v10, v188
	s_clause 0x1
	buffer_load_dword v188, off, s[0:3], 0 offset:380
	buffer_load_dword v199, off, s[0:3], 0 offset:388
	s_waitcnt vmcnt(26) lgkmcnt(1)
	v_mul_f32_e32 v198, v6, v178
	v_mul_f32_e32 v178, v7, v178
	v_add_f32_e32 v12, v12, v147
	v_add_f32_e32 v10, v10, v189
	buffer_load_dword v189, off, s[0:3], 0 offset:396
	v_fmac_f32_e32 v198, v7, v176
	v_fma_f32 v147, v6, v176, -v178
	s_waitcnt vmcnt(26)
	v_mul_f32_e32 v176, v8, v175
	v_add_f32_e32 v7, v10, v190
	v_mul_f32_e32 v10, v9, v175
	v_add_f32_e32 v6, v12, v146
	s_clause 0x2
	buffer_load_dword v12, off, s[0:3], 0 offset:404
	buffer_load_dword v178, off, s[0:3], 0 offset:412
	;; [unrolled: 1-line block ×3, first 2 shown]
	v_add_f32_e32 v7, v7, v191
	v_fmac_f32_e32 v176, v9, v174
	v_fma_f32 v10, v8, v174, -v10
	s_clause 0x1
	buffer_load_dword v174, off, s[0:3], 0 offset:428
	buffer_load_dword v190, off, s[0:3], 0 offset:436
	v_add_f32_e32 v6, v6, v144
	v_add_f32_e32 v7, v7, v192
	s_clause 0x2
	buffer_load_dword v191, off, s[0:3], 0 offset:444
	buffer_load_dword v192, off, s[0:3], 0 offset:452
	buffer_load_dword v200, off, s[0:3], 0 offset:460
	s_waitcnt lgkmcnt(0)
	v_mul_f32_e32 v144, v2, v173
	v_mul_f32_e32 v8, v3, v173
	v_add_f32_e32 v6, v6, v145
	v_add_f32_e32 v7, v7, v180
	s_clause 0x2
	buffer_load_dword v180, off, s[0:3], 0 offset:468
	buffer_load_dword v201, off, s[0:3], 0 offset:476
	;; [unrolled: 1-line block ×3, first 2 shown]
	v_fmac_f32_e32 v144, v3, v172
	v_fma_f32 v145, v2, v172, -v8
	v_add_f32_e32 v6, v6, v155
	v_add_f32_e32 v7, v7, v181
	s_clause 0x3
	buffer_load_dword v181, off, s[0:3], 0 offset:416
	buffer_load_dword v203, off, s[0:3], 0 offset:408
	;; [unrolled: 1-line block ×4, first 2 shown]
	v_add_f32_e32 v6, v6, v150
	v_add_f32_e32 v7, v7, v182
	;; [unrolled: 1-line block ×4, first 2 shown]
	s_clause 0x8
	buffer_load_dword v182, off, s[0:3], 0 offset:448
	buffer_load_dword v195, off, s[0:3], 0 offset:440
	;; [unrolled: 1-line block ×9, first 2 shown]
	v_add_f32_e32 v6, v6, v136
	v_add_f32_e32 v7, v7, v137
	;; [unrolled: 1-line block ×11, first 2 shown]
	ds_read_b128 v[6:9], v1 offset:800
	v_add_f32_e32 v140, v136, v164
	v_add_f32_e32 v137, v3, v163
	;; [unrolled: 1-line block ×4, first 2 shown]
	ds_read_b128 v[136:139], v1 offset:832
	v_add_f32_e32 v146, v140, v185
	v_add_f32_e32 v141, v142, v141
	s_waitcnt vmcnt(48)
	v_mul_f32_e32 v148, v4, v153
	v_mul_f32_e32 v2, v5, v153
	s_waitcnt vmcnt(44)
	v_fmac_f32_e32 v148, v5, v194
	v_fma_f32 v149, v4, v194, -v2
	ds_read_b128 v[2:5], v1 offset:816
	s_waitcnt vmcnt(43) lgkmcnt(2)
	v_mul_f32_e32 v143, v7, v152
	v_mul_f32_e32 v153, v6, v152
	v_fma_f32 v152, v6, v193, -v143
	v_add_f32_e32 v6, v141, v161
	v_fmac_f32_e32 v153, v7, v193
	v_add_f32_e32 v7, v146, v198
	ds_read_b128 v[140:143], v1 offset:848
	v_add_f32_e32 v6, v6, v147
	s_waitcnt vmcnt(42)
	v_mul_f32_e32 v155, v8, v158
	v_add_f32_e32 v7, v7, v176
	s_waitcnt vmcnt(41) lgkmcnt(1)
	v_mul_f32_e32 v156, v2, v159
	v_mul_f32_e32 v147, v3, v159
	v_add_f32_e32 v6, v6, v10
	s_waitcnt vmcnt(39)
	v_mul_f32_e32 v151, v137, v162
	v_mul_f32_e32 v146, v9, v158
	v_fmac_f32_e32 v156, v3, v154
	v_mul_f32_e32 v158, v4, v157
	v_add_f32_e32 v3, v6, v145
	v_mul_f32_e32 v150, v5, v157
	v_mul_f32_e32 v157, v136, v162
	v_fma_f32 v159, v2, v154, -v147
	v_add_f32_e32 v2, v7, v144
	v_fma_f32 v10, v8, v183, -v146
	v_fmac_f32_e32 v155, v9, v183
	ds_read_b128 v[6:9], v1 offset:864
	ds_read_b128 v[144:147], v1 offset:880
	s_waitcnt vmcnt(36)
	v_fma_f32 v161, v136, v170, -v151
	v_add_f32_e32 v136, v3, v149
	v_fmac_f32_e32 v157, v137, v170
	v_add_f32_e32 v137, v2, v148
	s_waitcnt vmcnt(35)
	v_fma_f32 v160, v4, v171, -v150
	v_fmac_f32_e32 v158, v5, v171
	v_add_f32_e32 v136, v136, v152
	s_waitcnt vmcnt(34)
	v_mul_f32_e32 v162, v138, v184
	v_add_f32_e32 v137, v137, v153
	v_mul_f32_e32 v153, v139, v184
	s_waitcnt vmcnt(33) lgkmcnt(2)
	v_mul_f32_e32 v163, v140, v196
	v_add_f32_e32 v10, v136, v10
	v_mul_f32_e32 v152, v141, v196
	v_add_f32_e32 v137, v137, v155
	v_fmac_f32_e32 v162, v139, v169
	v_fma_f32 v169, v138, v169, -v153
	v_add_f32_e32 v159, v10, v159
	s_waitcnt vmcnt(32)
	v_mul_f32_e32 v167, v143, v197
	v_add_f32_e32 v156, v137, v156
	v_fmac_f32_e32 v163, v141, v168
	v_fma_f32 v168, v140, v168, -v152
	v_add_f32_e32 v159, v159, v160
	v_mul_f32_e32 v164, v142, v197
	v_add_f32_e32 v156, v156, v158
	s_waitcnt vmcnt(28)
	v_fma_f32 v167, v142, v11, -v167
	s_waitcnt vmcnt(27) lgkmcnt(1)
	v_mul_f32_e32 v170, v7, v187
	v_add_f32_e32 v159, v159, v161
	ds_read_b128 v[2:5], v1 offset:896
	ds_read_b128 v[148:151], v1 offset:912
	v_add_f32_e32 v156, v156, v157
	v_fmac_f32_e32 v164, v143, v11
	v_mul_f32_e32 v158, v6, v187
	v_add_f32_e32 v159, v159, v169
	s_waitcnt vmcnt(26)
	v_mul_f32_e32 v171, v9, v188
	v_add_f32_e32 v156, v156, v162
	v_fma_f32 v6, v6, v179, -v170
	v_mul_f32_e32 v160, v8, v188
	v_add_f32_e32 v159, v159, v168
	v_fmac_f32_e32 v158, v7, v179
	v_add_f32_e32 v156, v156, v163
	s_waitcnt vmcnt(25) lgkmcnt(2)
	v_mul_f32_e32 v170, v145, v199
	v_fma_f32 v8, v8, v166, -v171
	v_add_f32_e32 v159, v159, v167
	v_mul_f32_e32 v157, v144, v199
	v_add_f32_e32 v156, v156, v164
	v_fmac_f32_e32 v160, v9, v166
	s_waitcnt vmcnt(24)
	v_mul_f32_e32 v164, v147, v189
	v_add_f32_e32 v6, v159, v6
	v_fma_f32 v144, v144, v165, -v170
	v_add_f32_e32 v156, v156, v158
	v_mul_f32_e32 v161, v146, v189
	v_fmac_f32_e32 v157, v145, v165
	v_add_f32_e32 v6, v6, v8
	s_waitcnt vmcnt(23) lgkmcnt(1)
	v_mul_f32_e32 v7, v2, v12
	v_add_f32_e32 v8, v156, v160
	v_mul_f32_e32 v12, v3, v12
	ds_read_b128 v[136:139], v1 offset:928
	ds_read_b128 v[152:155], v1 offset:944
	v_add_f32_e32 v6, v6, v144
	s_waitcnt vmcnt(9)
	v_fma_f32 v145, v146, v205, -v164
	v_fmac_f32_e32 v161, v147, v205
	v_add_f32_e32 v8, v8, v157
	v_mul_f32_e32 v144, v5, v178
	v_fmac_f32_e32 v7, v3, v204
	v_fma_f32 v2, v2, v204, -v12
	v_add_f32_e32 v3, v6, v145
	v_mul_f32_e32 v162, v4, v178
	v_add_f32_e32 v6, v8, v161
	s_waitcnt lgkmcnt(2)
	v_mul_f32_e32 v8, v149, v175
	v_fma_f32 v4, v4, v203, -v144
	v_add_f32_e32 v2, v3, v2
	v_mul_f32_e32 v169, v148, v175
	v_fmac_f32_e32 v162, v5, v203
	v_add_f32_e32 v3, v6, v7
	v_mul_f32_e32 v5, v151, v174
	v_fma_f32 v6, v148, v181, -v8
	v_add_f32_e32 v2, v2, v4
	v_mul_f32_e32 v9, v150, v174
	v_fmac_f32_e32 v169, v149, v181
	v_add_f32_e32 v3, v3, v162
	s_waitcnt lgkmcnt(1)
	v_mul_f32_e32 v4, v137, v190
	s_waitcnt vmcnt(5)
	v_fma_f32 v5, v150, v207, -v5
	v_add_f32_e32 v2, v2, v6
	ds_read_b128 v[140:143], v1 offset:960
	ds_read_b64 v[10:11], v1 offset:976
	v_mul_f32_e32 v166, v136, v190
	v_fmac_f32_e32 v9, v151, v207
	v_add_f32_e32 v3, v3, v169
	v_mul_f32_e32 v6, v139, v191
	v_fma_f32 v4, v136, v206, -v4
	v_add_f32_e32 v2, v2, v5
	v_mul_f32_e32 v163, v138, v191
	v_fmac_f32_e32 v166, v137, v206
	v_add_f32_e32 v3, v3, v9
	s_waitcnt lgkmcnt(2)
	v_mul_f32_e32 v5, v153, v192
	v_fma_f32 v6, v138, v195, -v6
	v_add_f32_e32 v2, v2, v4
	v_mul_f32_e32 v168, v152, v192
	v_fmac_f32_e32 v163, v139, v195
	v_add_f32_e32 v3, v3, v166
	v_mul_f32_e32 v4, v155, v200
	v_fma_f32 v5, v152, v182, -v5
	v_add_f32_e32 v2, v2, v6
	v_mul_f32_e32 v171, v154, v200
	v_fmac_f32_e32 v168, v153, v182
	v_add_f32_e32 v3, v3, v163
	s_waitcnt lgkmcnt(1)
	v_mul_f32_e32 v6, v141, v180
	s_waitcnt vmcnt(1)
	v_fma_f32 v4, v154, v211, -v4
	v_add_f32_e32 v2, v2, v5
	v_mul_f32_e32 v167, v140, v180
	v_fmac_f32_e32 v171, v155, v211
	v_add_f32_e32 v3, v3, v168
	v_mul_f32_e32 v5, v143, v201
	v_fma_f32 v6, v140, v210, -v6
	v_add_f32_e32 v2, v2, v4
	v_mul_f32_e32 v172, v142, v201
	v_fmac_f32_e32 v167, v141, v210
	v_add_f32_e32 v3, v3, v171
	s_waitcnt lgkmcnt(0)
	v_mul_f32_e32 v4, v11, v202
	v_fma_f32 v5, v142, v209, -v5
	v_add_f32_e32 v2, v2, v6
	v_mul_f32_e32 v158, v10, v202
	v_fmac_f32_e32 v172, v143, v209
	v_add_f32_e32 v3, v3, v167
	v_fma_f32 v4, v10, v208, -v4
	v_add_f32_e32 v2, v2, v5
	v_fmac_f32_e32 v158, v11, v208
	v_add_f32_e32 v3, v3, v172
	v_add_f32_e32 v2, v2, v4
	;; [unrolled: 1-line block ×3, first 2 shown]
	s_waitcnt vmcnt(0)
	v_sub_f32_e32 v2, v212, v2
	v_sub_f32_e32 v3, v177, v3
	buffer_store_dword v2, off, s[0:3], 0 offset:72
	buffer_store_dword v3, off, s[0:3], 0 offset:76
	v_cmpx_lt_u32_e32 8, v0
	s_cbranch_execz .LBB124_363
; %bb.362:
	s_clause 0x1
	buffer_load_dword v2, off, s[0:3], 0 offset:64
	buffer_load_dword v3, off, s[0:3], 0 offset:68
	buffer_store_dword v1, off, s[0:3], 0 offset:64
	buffer_store_dword v1, off, s[0:3], 0 offset:68
	s_waitcnt vmcnt(0)
	ds_write_b64 v135, v[2:3]
.LBB124_363:
	s_or_b32 exec_lo, exec_lo, s4
	s_waitcnt lgkmcnt(0)
	s_waitcnt_vscnt null, 0x0
	s_barrier
	buffer_gl0_inv
	s_clause 0x3b
	buffer_load_dword v4, off, s[0:3], 0 offset:76
	buffer_load_dword v3, off, s[0:3], 0 offset:88
	;; [unrolled: 1-line block ×60, first 2 shown]
	ds_read2_b64 v[181:184], v1 offset0:71 offset1:72
	ds_read2_b64 v[185:188], v1 offset0:73 offset1:74
	;; [unrolled: 1-line block ×3, first 2 shown]
	buffer_load_dword v198, off, s[0:3], 0 offset:68
	s_mov_b32 s4, exec_lo
	s_waitcnt vmcnt(60) lgkmcnt(2)
	v_mul_f32_e32 v197, v181, v4
	v_mul_f32_e32 v4, v182, v4
	s_waitcnt vmcnt(56)
	v_mul_f32_e32 v199, v183, v10
	v_mul_f32_e32 v10, v184, v10
	v_fmac_f32_e32 v197, v182, v11
	v_fma_f32 v4, v181, v11, -v4
	s_waitcnt vmcnt(55) lgkmcnt(1)
	v_mul_f32_e32 v200, v185, v9
	v_fmac_f32_e32 v199, v184, v7
	v_fma_f32 v7, v183, v7, -v10
	ds_read2_b64 v[181:184], v1 offset0:77 offset1:78
	v_mul_f32_e32 v9, v186, v9
	s_waitcnt vmcnt(54)
	v_mul_f32_e32 v201, v187, v5
	v_mul_f32_e32 v5, v188, v5
	v_fmac_f32_e32 v200, v186, v3
	s_waitcnt vmcnt(48) lgkmcnt(1)
	v_mul_f32_e32 v202, v191, v167
	v_fma_f32 v3, v185, v3, -v9
	v_fmac_f32_e32 v201, v188, v171
	v_fma_f32 v5, v187, v171, -v5
	v_mul_f32_e32 v9, v190, v170
	ds_read2_b64 v[185:188], v1 offset0:79 offset1:80
	v_mul_f32_e32 v171, v189, v170
	v_fmac_f32_e32 v202, v192, v158
	v_add_f32_e32 v4, 0, v4
	v_fma_f32 v170, v189, v166, -v9
	v_mul_f32_e32 v9, v192, v167
	v_fmac_f32_e32 v171, v190, v166
	v_add_f32_e32 v4, v4, v7
	v_fma_f32 v203, v191, v158, -v9
	s_waitcnt vmcnt(47) lgkmcnt(1)
	v_mul_f32_e32 v204, v181, v162
	v_mul_f32_e32 v9, v182, v162
	ds_read2_b64 v[189:192], v1 offset0:81 offset1:82
	s_waitcnt vmcnt(46)
	v_mul_f32_e32 v205, v183, v155
	v_add_f32_e32 v3, v4, v3
	v_fmac_f32_e32 v204, v182, v146
	v_fma_f32 v146, v181, v146, -v9
	v_mul_f32_e32 v9, v184, v155
	s_waitcnt vmcnt(42)
	v_fmac_f32_e32 v205, v184, v169
	s_waitcnt vmcnt(41) lgkmcnt(1)
	v_mul_f32_e32 v207, v185, v168
	v_fma_f32 v206, v183, v169, -v9
	v_mul_f32_e32 v9, v186, v168
	ds_read2_b64 v[166:169], v1 offset0:83 offset1:84
	ds_read2_b64 v[181:184], v1 offset0:85 offset1:86
	v_fmac_f32_e32 v207, v186, v161
	s_waitcnt vmcnt(40)
	v_mul_f32_e32 v186, v187, v163
	v_fma_f32 v185, v185, v161, -v9
	v_mul_f32_e32 v9, v188, v163
	v_fmac_f32_e32 v186, v188, v153
	s_waitcnt vmcnt(39) lgkmcnt(2)
	v_mul_f32_e32 v188, v189, v159
	v_fma_f32 v187, v187, v153, -v9
	v_mul_f32_e32 v9, v190, v159
	s_waitcnt vmcnt(38)
	v_mul_f32_e32 v159, v191, v151
	v_fmac_f32_e32 v188, v190, v141
	v_fma_f32 v141, v189, v141, -v9
	v_mul_f32_e32 v9, v192, v151
	s_waitcnt vmcnt(34)
	v_fmac_f32_e32 v159, v192, v165
	s_waitcnt vmcnt(33) lgkmcnt(1)
	v_mul_f32_e32 v189, v166, v164
	s_waitcnt vmcnt(30) lgkmcnt(0)
	v_mul_f32_e32 v10, v184, v148
	v_fma_f32 v165, v191, v165, -v9
	v_mul_f32_e32 v9, v167, v164
	ds_read2_b64 v[161:164], v1 offset0:87 offset1:88
	v_fmac_f32_e32 v189, v167, v154
	v_mul_f32_e32 v167, v168, v156
	v_fma_f32 v166, v166, v154, -v9
	v_mul_f32_e32 v9, v169, v156
	v_fmac_f32_e32 v167, v169, v144
	v_mul_f32_e32 v169, v183, v148
	s_waitcnt vmcnt(26)
	v_fma_f32 v148, v183, v160, -v10
	v_fma_f32 v144, v168, v144, -v9
	v_mul_f32_e32 v168, v181, v152
	v_mul_f32_e32 v9, v182, v152
	ds_read2_b64 v[151:154], v1 offset0:89 offset1:90
	v_fmac_f32_e32 v169, v184, v160
	v_fmac_f32_e32 v168, v182, v137
	v_fma_f32 v137, v181, v137, -v9
	s_waitcnt vmcnt(25) lgkmcnt(1)
	v_mul_f32_e32 v160, v161, v157
	v_mul_f32_e32 v9, v162, v157
	ds_read2_b64 v[155:158], v1 offset0:91 offset1:92
	v_fmac_f32_e32 v160, v162, v147
	v_fma_f32 v147, v161, v147, -v9
	s_waitcnt vmcnt(24)
	v_mul_f32_e32 v161, v163, v149
	v_mul_f32_e32 v9, v164, v149
	buffer_load_dword v149, off, s[0:3], 0 offset:308
	v_fmac_f32_e32 v161, v164, v139
	v_fma_f32 v139, v163, v139, -v9
	s_waitcnt vmcnt(24) lgkmcnt(1)
	v_mul_f32_e32 v162, v151, v142
	v_mul_f32_e32 v9, v152, v142
	s_waitcnt vmcnt(23)
	v_mul_f32_e32 v142, v153, v140
	v_mul_f32_e32 v10, v154, v140
	buffer_load_dword v140, off, s[0:3], 0 offset:316
	v_fmac_f32_e32 v162, v152, v12
	v_fma_f32 v151, v151, v12, -v9
	s_waitcnt vmcnt(20)
	v_fmac_f32_e32 v142, v154, v150
	v_fma_f32 v150, v153, v150, -v10
	ds_read2_b64 v[9:12], v1 offset0:93 offset1:94
	s_waitcnt vmcnt(18) lgkmcnt(1)
	v_mul_f32_e32 v153, v157, v143
	v_mul_f32_e32 v143, v158, v143
	;; [unrolled: 1-line block ×4, first 2 shown]
	buffer_load_dword v154, off, s[0:3], 0 offset:324
	v_fmac_f32_e32 v153, v158, v136
	v_fma_f32 v136, v157, v136, -v143
	v_add_f32_e32 v157, 0, v197
	v_fmac_f32_e32 v152, v156, v138
	v_fma_f32 v138, v155, v138, -v145
	s_clause 0x6
	buffer_load_dword v155, off, s[0:3], 0 offset:344
	buffer_load_dword v145, off, s[0:3], 0 offset:336
	;; [unrolled: 1-line block ×7, first 2 shown]
	v_add_f32_e32 v7, v157, v199
	buffer_load_dword v157, off, s[0:3], 0 offset:356
	v_add_f32_e32 v7, v7, v200
	s_waitcnt vmcnt(26) lgkmcnt(0)
	v_mul_f32_e32 v181, v9, v8
	v_mul_f32_e32 v4, v10, v8
	s_waitcnt vmcnt(25)
	v_mul_f32_e32 v182, v11, v6
	v_mul_f32_e32 v6, v12, v6
	v_add_f32_e32 v8, v3, v5
	v_add_f32_e32 v7, v7, v201
	v_fmac_f32_e32 v181, v10, v2
	v_fma_f32 v10, v9, v2, -v4
	s_waitcnt vmcnt(21)
	v_fma_f32 v11, v11, v193, -v6
	ds_read2_b64 v[2:5], v1 offset0:95 offset1:96
	v_add_f32_e32 v6, v8, v170
	v_add_f32_e32 v7, v7, v171
	v_fmac_f32_e32 v182, v12, v193
	s_clause 0x6
	buffer_load_dword v12, off, s[0:3], 0 offset:376
	buffer_load_dword v170, off, s[0:3], 0 offset:368
	;; [unrolled: 1-line block ×7, first 2 shown]
	v_add_f32_e32 v6, v6, v203
	v_add_f32_e32 v7, v7, v202
	;; [unrolled: 1-line block ×6, first 2 shown]
	ds_read2_b64 v[6:9], v1 offset0:97 offset1:98
	s_waitcnt vmcnt(27) lgkmcnt(1)
	v_mul_f32_e32 v193, v2, v180
	v_mul_f32_e32 v180, v3, v180
	v_add_f32_e32 v146, v146, v207
	v_add_f32_e32 v185, v192, v185
	s_waitcnt vmcnt(26)
	v_mul_f32_e32 v192, v4, v179
	v_fmac_f32_e32 v193, v3, v177
	v_fma_f32 v177, v2, v177, -v180
	v_add_f32_e32 v3, v146, v186
	v_add_f32_e32 v2, v185, v187
	v_mul_f32_e32 v179, v5, v179
	s_clause 0x3
	buffer_load_dword v180, off, s[0:3], 0 offset:388
	buffer_load_dword v185, off, s[0:3], 0 offset:396
	buffer_load_dword v186, off, s[0:3], 0 offset:404
	buffer_load_dword v187, off, s[0:3], 0 offset:412
	v_fmac_f32_e32 v192, v5, v176
	v_add_f32_e32 v3, v3, v188
	v_add_f32_e32 v2, v2, v141
	v_fma_f32 v146, v4, v176, -v179
	s_clause 0x3
	buffer_load_dword v176, off, s[0:3], 0 offset:420
	buffer_load_dword v179, off, s[0:3], 0 offset:428
	;; [unrolled: 1-line block ×4, first 2 shown]
	v_add_f32_e32 v3, v3, v159
	v_add_f32_e32 v2, v2, v165
	s_waitcnt vmcnt(33) lgkmcnt(0)
	v_mul_f32_e32 v201, v6, v174
	v_mul_f32_e32 v4, v7, v174
	s_clause 0x3
	buffer_load_dword v159, off, s[0:3], 0 offset:452
	buffer_load_dword v165, off, s[0:3], 0 offset:460
	;; [unrolled: 1-line block ×4, first 2 shown]
	v_add_f32_e32 v3, v3, v189
	v_add_f32_e32 v2, v2, v166
	buffer_load_dword v166, off, s[0:3], 0 offset:484
	v_fmac_f32_e32 v201, v7, v173
	v_fma_f32 v173, v6, v173, -v4
	v_add_f32_e32 v6, v3, v167
	s_clause 0x3
	buffer_load_dword v167, off, s[0:3], 0 offset:408
	buffer_load_dword v174, off, s[0:3], 0 offset:400
	;; [unrolled: 1-line block ×4, first 2 shown]
	v_add_f32_e32 v2, v2, v144
	s_waitcnt vmcnt(41)
	v_mul_f32_e32 v144, v8, v172
	v_add_f32_e32 v6, v6, v168
	v_add_f32_e32 v7, v2, v137
	v_mul_f32_e32 v2, v9, v172
	s_waitcnt vmcnt(37)
	v_fmac_f32_e32 v144, v9, v195
	v_add_f32_e32 v6, v6, v169
	v_add_f32_e32 v7, v7, v148
	v_fma_f32 v172, v8, v195, -v2
	ds_read2_b64 v[2:5], v1 offset0:99 offset1:100
	s_clause 0x3
	buffer_load_dword v168, off, s[0:3], 0 offset:440
	buffer_load_dword v169, off, s[0:3], 0 offset:432
	;; [unrolled: 1-line block ×4, first 2 shown]
	v_add_f32_e32 v6, v6, v160
	v_add_f32_e32 v7, v7, v147
	;; [unrolled: 1-line block ×4, first 2 shown]
	ds_read2_b64 v[6:9], v1 offset0:101 offset1:102
	v_add_f32_e32 v137, v137, v151
	v_add_f32_e32 v139, v139, v162
	s_waitcnt vmcnt(40) lgkmcnt(1)
	v_mul_f32_e32 v148, v2, v196
	v_mul_f32_e32 v141, v3, v196
	v_fmac_f32_e32 v148, v3, v194
	v_fma_f32 v151, v2, v194, -v141
	s_clause 0x5
	buffer_load_dword v160, off, s[0:3], 0 offset:472
	buffer_load_dword v161, off, s[0:3], 0 offset:464
	;; [unrolled: 1-line block ×6, first 2 shown]
	v_add_f32_e32 v2, v137, v150
	v_add_f32_e32 v3, v139, v142
	;; [unrolled: 1-line block ×18, first 2 shown]
	s_waitcnt vmcnt(44)
	v_mul_f32_e32 v152, v4, v149
	v_mul_f32_e32 v136, v5, v149
	v_fmac_f32_e32 v152, v5, v178
	v_fma_f32 v153, v4, v178, -v136
	ds_read2_b64 v[2:5], v1 offset0:103 offset1:104
	ds_read2_b64 v[136:139], v1 offset0:105 offset1:106
	s_waitcnt vmcnt(43) lgkmcnt(2)
	v_mul_f32_e32 v11, v6, v140
	v_mul_f32_e32 v140, v7, v140
	v_add_f32_e32 v10, v10, v153
	v_fmac_f32_e32 v11, v7, v175
	s_waitcnt vmcnt(42)
	v_mul_f32_e32 v178, v8, v154
	v_mul_f32_e32 v142, v9, v154
	v_fma_f32 v154, v6, v175, -v140
	s_waitcnt vmcnt(38)
	v_fmac_f32_e32 v178, v9, v143
	v_fma_f32 v175, v8, v143, -v142
	ds_read2_b64 v[6:9], v1 offset0:107 offset1:108
	ds_read2_b64 v[140:143], v1 offset0:109 offset1:110
	s_waitcnt vmcnt(36) lgkmcnt(3)
	v_mul_f32_e32 v149, v5, v163
	v_mul_f32_e32 v177, v2, v158
	;; [unrolled: 1-line block ×4, first 2 shown]
	s_waitcnt vmcnt(35) lgkmcnt(2)
	v_mul_f32_e32 v163, v136, v164
	v_mul_f32_e32 v150, v137, v164
	v_fma_f32 v173, v4, v145, -v149
	v_add_f32_e32 v149, v147, v144
	v_fmac_f32_e32 v177, v3, v156
	v_fmac_f32_e32 v163, v137, v155
	v_fma_f32 v172, v136, v155, -v150
	v_fma_f32 v156, v2, v156, -v146
	v_add_f32_e32 v155, v149, v148
	v_fmac_f32_e32 v158, v5, v145
	s_waitcnt vmcnt(34)
	v_mul_f32_e32 v164, v138, v157
	v_mul_f32_e32 v157, v139, v157
	ds_read2_b64 v[2:5], v1 offset0:111 offset1:112
	ds_read2_b64 v[144:147], v1 offset0:113 offset1:114
	v_add_f32_e32 v152, v155, v152
	s_waitcnt vmcnt(29) lgkmcnt(3)
	v_mul_f32_e32 v181, v6, v184
	v_mul_f32_e32 v153, v7, v184
	v_fma_f32 v157, v138, v183, -v157
	v_fmac_f32_e32 v164, v139, v183
	s_waitcnt vmcnt(28)
	v_mul_f32_e32 v182, v8, v190
	v_fmac_f32_e32 v181, v7, v171
	v_add_f32_e32 v7, v10, v154
	v_add_f32_e32 v10, v152, v11
	v_fma_f32 v11, v6, v171, -v153
	v_mul_f32_e32 v155, v9, v190
	ds_read2_b64 v[136:139], v1 offset0:115 offset1:116
	ds_read2_b64 v[148:151], v1 offset0:117 offset1:118
	v_add_f32_e32 v171, v7, v175
	v_add_f32_e32 v10, v10, v178
	v_fmac_f32_e32 v182, v9, v170
	v_fma_f32 v170, v8, v170, -v155
	ds_read2_b64 v[6:9], v1 offset0:119 offset1:120
	ds_read2_b64 v[152:155], v1 offset0:121 offset1:122
	v_add_f32_e32 v156, v171, v156
	v_add_f32_e32 v10, v10, v177
	s_waitcnt vmcnt(27) lgkmcnt(6)
	v_mul_f32_e32 v1, v140, v191
	v_mul_f32_e32 v171, v141, v191
	v_add_f32_e32 v156, v156, v173
	v_add_f32_e32 v10, v10, v158
	v_fmac_f32_e32 v1, v141, v12
	s_waitcnt vmcnt(26)
	v_mul_f32_e32 v177, v143, v180
	v_fma_f32 v12, v140, v12, -v171
	v_add_f32_e32 v156, v156, v172
	v_add_f32_e32 v10, v10, v163
	v_mul_f32_e32 v175, v142, v180
	s_waitcnt vmcnt(25) lgkmcnt(5)
	v_mul_f32_e32 v173, v2, v185
	v_mul_f32_e32 v141, v3, v185
	v_add_f32_e32 v156, v156, v157
	v_add_f32_e32 v10, v10, v164
	s_waitcnt vmcnt(24)
	v_mul_f32_e32 v158, v4, v186
	s_waitcnt vmcnt(23) lgkmcnt(4)
	v_mul_f32_e32 v178, v144, v187
	s_waitcnt vmcnt(22)
	v_mul_f32_e32 v172, v146, v176
	v_add_f32_e32 v11, v156, v11
	v_add_f32_e32 v10, v10, v181
	s_waitcnt vmcnt(21) lgkmcnt(3)
	v_mul_f32_e32 v163, v136, v179
	s_waitcnt vmcnt(20)
	v_mul_f32_e32 v180, v138, v188
	s_waitcnt vmcnt(19) lgkmcnt(2)
	v_mul_f32_e32 v157, v148, v197
	v_add_f32_e32 v11, v11, v170
	v_add_f32_e32 v10, v10, v182
	s_waitcnt vmcnt(12)
	v_fmac_f32_e32 v158, v5, v174
	s_waitcnt vmcnt(11)
	v_fmac_f32_e32 v173, v3, v189
	s_waitcnt vmcnt(10)
	v_fma_f32 v142, v142, v202, -v177
	v_add_f32_e32 v11, v11, v12
	v_fmac_f32_e32 v175, v143, v202
	v_add_f32_e32 v1, v10, v1
	v_mul_f32_e32 v10, v5, v186
	v_fma_f32 v2, v2, v189, -v141
	v_add_f32_e32 v3, v11, v142
	v_mul_f32_e32 v11, v145, v187
	v_add_f32_e32 v1, v1, v175
	v_fma_f32 v4, v4, v174, -v10
	v_fmac_f32_e32 v178, v145, v167
	v_add_f32_e32 v2, v3, v2
	v_mul_f32_e32 v3, v147, v176
	v_add_f32_e32 v1, v1, v173
	v_fma_f32 v5, v144, v167, -v11
	s_waitcnt vmcnt(6)
	v_fmac_f32_e32 v172, v147, v203
	v_add_f32_e32 v2, v2, v4
	v_mul_f32_e32 v4, v137, v179
	v_add_f32_e32 v1, v1, v158
	v_fma_f32 v3, v146, v203, -v3
	v_fmac_f32_e32 v163, v137, v195
	v_add_f32_e32 v2, v2, v5
	v_mul_f32_e32 v5, v139, v188
	v_add_f32_e32 v1, v1, v178
	v_fma_f32 v4, v136, v195, -v4
	;; [unrolled: 5-line block ×3, first 2 shown]
	v_mul_f32_e32 v164, v150, v159
	v_add_f32_e32 v2, v2, v4
	v_mul_f32_e32 v4, v151, v159
	v_add_f32_e32 v1, v1, v163
	v_fma_f32 v3, v148, v168, -v3
	v_fmac_f32_e32 v157, v149, v168
	v_add_f32_e32 v2, v2, v5
	s_waitcnt lgkmcnt(1)
	v_mul_f32_e32 v5, v7, v165
	v_add_f32_e32 v1, v1, v180
	v_mul_f32_e32 v183, v6, v165
	s_waitcnt vmcnt(2)
	v_fma_f32 v4, v150, v194, -v4
	v_add_f32_e32 v2, v2, v3
	v_fmac_f32_e32 v164, v151, v194
	v_add_f32_e32 v1, v1, v157
	v_mul_f32_e32 v3, v9, v199
	v_fma_f32 v5, v6, v162, -v5
	v_add_f32_e32 v2, v2, v4
	v_mul_f32_e32 v156, v8, v199
	v_fmac_f32_e32 v183, v7, v162
	v_add_f32_e32 v1, v1, v164
	s_waitcnt lgkmcnt(0)
	v_mul_f32_e32 v4, v153, v200
	v_fma_f32 v3, v8, v161, -v3
	v_add_f32_e32 v2, v2, v5
	v_mul_f32_e32 v181, v152, v200
	v_fmac_f32_e32 v156, v9, v161
	v_add_f32_e32 v1, v1, v183
	v_mul_f32_e32 v5, v155, v166
	v_fma_f32 v4, v152, v160, -v4
	v_add_f32_e32 v2, v2, v3
	v_mul_f32_e32 v140, v154, v166
	v_fmac_f32_e32 v181, v153, v160
	v_add_f32_e32 v1, v1, v156
	s_waitcnt vmcnt(1)
	v_fma_f32 v3, v154, v196, -v5
	v_add_f32_e32 v2, v2, v4
	v_fmac_f32_e32 v140, v155, v196
	v_add_f32_e32 v1, v1, v181
	v_add_f32_e32 v2, v2, v3
	;; [unrolled: 1-line block ×3, first 2 shown]
	s_waitcnt vmcnt(0)
	v_sub_f32_e32 v2, v204, v2
	v_sub_f32_e32 v1, v198, v1
	buffer_store_dword v2, off, s[0:3], 0 offset:64
	buffer_store_dword v1, off, s[0:3], 0 offset:68
	v_cmpx_lt_u32_e32 7, v0
	s_cbranch_execz .LBB124_365
; %bb.364:
	s_clause 0x1
	buffer_load_dword v1, off, s[0:3], 0 offset:56
	buffer_load_dword v2, off, s[0:3], 0 offset:60
	v_mov_b32_e32 v3, 0
	buffer_store_dword v3, off, s[0:3], 0 offset:56
	buffer_store_dword v3, off, s[0:3], 0 offset:60
	s_waitcnt vmcnt(0)
	ds_write_b64 v135, v[1:2]
.LBB124_365:
	s_or_b32 exec_lo, exec_lo, s4
	s_waitcnt lgkmcnt(0)
	s_waitcnt_vscnt null, 0x0
	s_barrier
	buffer_gl0_inv
	s_clause 0x3b
	buffer_load_dword v9, off, s[0:3], 0 offset:68
	buffer_load_dword v2, off, s[0:3], 0 offset:80
	;; [unrolled: 1-line block ×60, first 2 shown]
	v_mov_b32_e32 v1, 0
	ds_read_b128 v[181:184], v1 offset:560
	ds_read_b128 v[185:188], v1 offset:576
	;; [unrolled: 1-line block ×3, first 2 shown]
	buffer_load_dword v198, off, s[0:3], 0 offset:60
	s_mov_b32 s4, exec_lo
	s_waitcnt vmcnt(60) lgkmcnt(2)
	v_mul_f32_e32 v197, v181, v9
	v_mul_f32_e32 v9, v182, v9
	s_waitcnt vmcnt(56)
	v_mul_f32_e32 v199, v183, v6
	v_mul_f32_e32 v6, v184, v6
	v_fmac_f32_e32 v197, v182, v7
	v_fma_f32 v9, v181, v7, -v9
	s_waitcnt vmcnt(55) lgkmcnt(1)
	v_mul_f32_e32 v201, v185, v5
	v_fmac_f32_e32 v199, v184, v4
	v_fma_f32 v200, v183, v4, -v6
	v_mul_f32_e32 v181, v186, v5
	ds_read_b128 v[4:7], v1 offset:608
	v_fmac_f32_e32 v201, v186, v2
	s_waitcnt vmcnt(54)
	v_mul_f32_e32 v203, v187, v3
	s_waitcnt vmcnt(49) lgkmcnt(1)
	v_mul_f32_e32 v204, v189, v170
	v_fma_f32 v202, v185, v2, -v181
	v_mul_f32_e32 v2, v188, v3
	ds_read_b128 v[181:184], v1 offset:624
	v_fmac_f32_e32 v203, v188, v171
	v_fmac_f32_e32 v204, v190, v166
	v_add_f32_e32 v9, 0, v9
	v_fma_f32 v171, v187, v171, -v2
	v_mul_f32_e32 v2, v190, v170
	ds_read_b128 v[185:188], v1 offset:640
	v_add_f32_e32 v9, v9, v200
	v_fma_f32 v170, v189, v166, -v2
	s_waitcnt vmcnt(48)
	v_mul_f32_e32 v189, v191, v167
	v_mul_f32_e32 v2, v192, v167
	v_add_f32_e32 v9, v9, v202
	s_waitcnt vmcnt(47) lgkmcnt(2)
	v_mul_f32_e32 v190, v4, v162
	v_fmac_f32_e32 v189, v192, v158
	v_fma_f32 v158, v191, v158, -v2
	v_mul_f32_e32 v2, v5, v162
	v_fmac_f32_e32 v190, v5, v146
	s_waitcnt vmcnt(46)
	v_mul_f32_e32 v191, v6, v155
	v_fma_f32 v146, v4, v146, -v2
	v_mul_f32_e32 v2, v7, v155
	s_waitcnt vmcnt(42)
	v_fmac_f32_e32 v191, v7, v169
	s_waitcnt vmcnt(41) lgkmcnt(1)
	v_mul_f32_e32 v155, v181, v168
	v_mul_f32_e32 v7, v182, v168
	v_fma_f32 v6, v6, v169, -v2
	ds_read_b128 v[2:5], v1 offset:656
	ds_read_b128 v[166:169], v1 offset:672
	v_fmac_f32_e32 v155, v182, v161
	v_fma_f32 v181, v181, v161, -v7
	s_waitcnt vmcnt(40)
	v_mul_f32_e32 v182, v183, v163
	v_mul_f32_e32 v7, v184, v163
	v_fmac_f32_e32 v182, v184, v153
	v_fma_f32 v183, v183, v153, -v7
	s_waitcnt vmcnt(39) lgkmcnt(2)
	v_mul_f32_e32 v184, v185, v159
	v_mul_f32_e32 v7, v186, v159
	s_waitcnt vmcnt(38)
	v_mul_f32_e32 v159, v187, v151
	v_fmac_f32_e32 v184, v186, v141
	v_fma_f32 v141, v185, v141, -v7
	v_mul_f32_e32 v7, v188, v151
	s_waitcnt vmcnt(34)
	v_fmac_f32_e32 v159, v188, v165
	s_waitcnt vmcnt(33) lgkmcnt(1)
	v_mul_f32_e32 v185, v2, v164
	s_waitcnt vmcnt(30) lgkmcnt(0)
	v_mul_f32_e32 v188, v168, v148
	v_fma_f32 v165, v187, v165, -v7
	v_mul_f32_e32 v7, v3, v164
	ds_read_b128 v[161:164], v1 offset:688
	v_mul_f32_e32 v187, v4, v156
	v_fmac_f32_e32 v185, v3, v154
	s_waitcnt vmcnt(26)
	v_fmac_f32_e32 v188, v169, v160
	v_fma_f32 v186, v2, v154, -v7
	v_mul_f32_e32 v2, v5, v156
	v_fmac_f32_e32 v187, v5, v144
	v_mul_f32_e32 v156, v166, v152
	v_mul_f32_e32 v7, v169, v148
	v_fma_f32 v144, v4, v144, -v2
	v_mul_f32_e32 v2, v167, v152
	v_fmac_f32_e32 v156, v167, v137
	v_fma_f32 v148, v168, v160, -v7
	ds_read_b128 v[151:154], v1 offset:720
	v_fma_f32 v137, v166, v137, -v2
	ds_read_b128 v[2:5], v1 offset:704
	s_waitcnt vmcnt(25) lgkmcnt(2)
	v_mul_f32_e32 v160, v161, v157
	v_mul_f32_e32 v7, v162, v157
	s_waitcnt vmcnt(24)
	v_mul_f32_e32 v157, v163, v149
	v_fmac_f32_e32 v160, v162, v147
	v_fma_f32 v147, v161, v147, -v7
	v_mul_f32_e32 v7, v164, v149
	v_fmac_f32_e32 v157, v164, v139
	s_clause 0x1
	buffer_load_dword v149, off, s[0:3], 0 offset:300
	buffer_load_dword v162, off, s[0:3], 0 offset:308
	v_fma_f32 v139, v163, v139, -v7
	buffer_load_dword v163, off, s[0:3], 0 offset:316
	s_waitcnt vmcnt(26) lgkmcnt(0)
	v_mul_f32_e32 v161, v2, v142
	v_mul_f32_e32 v7, v3, v142
	s_waitcnt vmcnt(25)
	v_mul_f32_e32 v142, v4, v140
	v_mul_f32_e32 v140, v5, v140
	v_fmac_f32_e32 v161, v3, v12
	v_fma_f32 v12, v2, v12, -v7
	s_waitcnt vmcnt(21)
	v_fmac_f32_e32 v142, v5, v150
	v_fma_f32 v140, v4, v150, -v140
	ds_read_b128 v[2:5], v1 offset:736
	s_waitcnt vmcnt(20)
	v_mul_f32_e32 v150, v151, v145
	v_mul_f32_e32 v7, v152, v145
	s_waitcnt vmcnt(19)
	v_mul_f32_e32 v145, v153, v143
	v_mul_f32_e32 v143, v154, v143
	v_fmac_f32_e32 v150, v152, v138
	v_fma_f32 v138, v151, v138, -v7
	v_add_f32_e32 v7, 0, v197
	v_fmac_f32_e32 v145, v154, v136
	v_fma_f32 v136, v153, v136, -v143
	s_clause 0x6
	buffer_load_dword v151, off, s[0:3], 0 offset:336
	buffer_load_dword v152, off, s[0:3], 0 offset:328
	;; [unrolled: 1-line block ×7, first 2 shown]
	v_add_f32_e32 v7, v7, v199
	buffer_load_dword v167, off, s[0:3], 0 offset:348
	v_add_f32_e32 v7, v7, v201
	s_waitcnt vmcnt(26) lgkmcnt(0)
	v_mul_f32_e32 v168, v2, v11
	v_mul_f32_e32 v11, v3, v11
	s_waitcnt vmcnt(25)
	v_mul_f32_e32 v169, v4, v10
	v_add_f32_e32 v7, v7, v203
	v_mul_f32_e32 v10, v5, v10
	v_fmac_f32_e32 v168, v3, v8
	v_fma_f32 v11, v2, v8, -v11
	v_add_f32_e32 v8, v9, v171
	v_add_f32_e32 v7, v7, v204
	s_waitcnt vmcnt(21)
	v_fmac_f32_e32 v169, v5, v193
	v_fma_f32 v10, v4, v193, -v10
	ds_read_b128 v[2:5], v1 offset:752
	v_add_f32_e32 v8, v8, v170
	v_add_f32_e32 v7, v7, v189
	s_clause 0x3
	buffer_load_dword v170, off, s[0:3], 0 offset:368
	buffer_load_dword v171, off, s[0:3], 0 offset:360
	;; [unrolled: 1-line block ×4, first 2 shown]
	v_add_f32_e32 v8, v8, v158
	v_add_f32_e32 v8, v8, v146
	;; [unrolled: 1-line block ×3, first 2 shown]
	s_clause 0x2
	buffer_load_dword v158, off, s[0:3], 0 offset:356
	buffer_load_dword v189, off, s[0:3], 0 offset:364
	;; [unrolled: 1-line block ×3, first 2 shown]
	v_add_f32_e32 v197, v8, v6
	v_add_f32_e32 v146, v146, v191
	ds_read_b128 v[6:9], v1 offset:768
	s_waitcnt vmcnt(27) lgkmcnt(1)
	v_mul_f32_e32 v191, v2, v180
	v_mul_f32_e32 v180, v3, v180
	v_add_f32_e32 v181, v197, v181
	s_waitcnt vmcnt(26)
	v_mul_f32_e32 v197, v4, v179
	v_mul_f32_e32 v179, v5, v179
	v_fmac_f32_e32 v191, v3, v178
	v_add_f32_e32 v3, v146, v155
	v_add_f32_e32 v146, v181, v183
	v_fma_f32 v155, v2, v178, -v180
	v_fmac_f32_e32 v197, v5, v176
	v_fma_f32 v176, v4, v176, -v179
	v_add_f32_e32 v2, v3, v182
	v_add_f32_e32 v3, v146, v141
	s_clause 0x7
	buffer_load_dword v178, off, s[0:3], 0 offset:380
	buffer_load_dword v179, off, s[0:3], 0 offset:388
	;; [unrolled: 1-line block ×8, first 2 shown]
	v_add_f32_e32 v2, v2, v184
	v_add_f32_e32 v3, v3, v165
	s_waitcnt vmcnt(33) lgkmcnt(0)
	v_mul_f32_e32 v146, v6, v175
	v_mul_f32_e32 v4, v7, v175
	s_clause 0x1
	buffer_load_dword v165, off, s[0:3], 0 offset:412
	buffer_load_dword v184, off, s[0:3], 0 offset:420
	v_add_f32_e32 v2, v2, v159
	v_add_f32_e32 v3, v3, v186
	v_fmac_f32_e32 v146, v7, v173
	v_fma_f32 v173, v6, v173, -v4
	s_clause 0x1
	buffer_load_dword v159, off, s[0:3], 0 offset:428
	buffer_load_dword v175, off, s[0:3], 0 offset:436
	v_add_f32_e32 v2, v2, v185
	v_add_f32_e32 v3, v3, v144
	s_clause 0x3
	buffer_load_dword v185, off, s[0:3], 0 offset:444
	buffer_load_dword v186, off, s[0:3], 0 offset:452
	;; [unrolled: 1-line block ×4, first 2 shown]
	s_waitcnt vmcnt(40)
	v_mul_f32_e32 v144, v8, v172
	v_add_f32_e32 v2, v2, v187
	v_add_f32_e32 v6, v3, v137
	v_mul_f32_e32 v3, v9, v172
	buffer_load_dword v187, off, s[0:3], 0 offset:476
	s_waitcnt vmcnt(37)
	v_fmac_f32_e32 v144, v9, v195
	v_add_f32_e32 v7, v2, v156
	v_add_f32_e32 v6, v6, v148
	v_fma_f32 v172, v8, v195, -v3
	ds_read_b128 v[2:5], v1 offset:784
	buffer_load_dword v156, off, s[0:3], 0 offset:484
	v_add_f32_e32 v7, v7, v188
	v_add_f32_e32 v6, v6, v147
	;; [unrolled: 1-line block ×3, first 2 shown]
	s_clause 0x3
	buffer_load_dword v160, off, s[0:3], 0 offset:432
	buffer_load_dword v188, off, s[0:3], 0 offset:424
	;; [unrolled: 1-line block ×4, first 2 shown]
	v_add_f32_e32 v6, v6, v139
	v_add_f32_e32 v137, v7, v157
	;; [unrolled: 1-line block ×3, first 2 shown]
	ds_read_b128 v[6:9], v1 offset:800
	v_add_f32_e32 v137, v137, v161
	v_add_f32_e32 v12, v12, v140
	s_waitcnt vmcnt(41) lgkmcnt(1)
	v_mul_f32_e32 v147, v2, v196
	v_mul_f32_e32 v139, v3, v196
	v_fmac_f32_e32 v147, v3, v194
	v_fma_f32 v148, v2, v194, -v139
	v_add_f32_e32 v3, v12, v138
	s_clause 0x6
	buffer_load_dword v12, off, s[0:3], 0 offset:464
	buffer_load_dword v157, off, s[0:3], 0 offset:456
	;; [unrolled: 1-line block ×7, first 2 shown]
	v_add_f32_e32 v2, v137, v142
	v_add_f32_e32 v3, v3, v136
	;; [unrolled: 1-line block ×18, first 2 shown]
	s_waitcnt vmcnt(46)
	v_mul_f32_e32 v11, v4, v149
	v_mul_f32_e32 v136, v5, v149
	s_waitcnt vmcnt(45) lgkmcnt(0)
	v_mul_f32_e32 v155, v6, v162
	v_mul_f32_e32 v141, v7, v162
	s_waitcnt vmcnt(44)
	v_mul_f32_e32 v162, v8, v163
	v_mul_f32_e32 v142, v9, v163
	v_fmac_f32_e32 v11, v5, v177
	v_fma_f32 v149, v4, v177, -v136
	ds_read_b128 v[2:5], v1 offset:816
	ds_read_b128 v[136:139], v1 offset:832
	v_fmac_f32_e32 v155, v7, v174
	v_fma_f32 v163, v6, v174, -v141
	v_add_f32_e32 v10, v10, v149
	v_add_f32_e32 v11, v148, v11
	;; [unrolled: 1-line block ×4, first 2 shown]
	s_waitcnt vmcnt(40)
	v_fmac_f32_e32 v162, v9, v143
	v_fma_f32 v168, v8, v143, -v142
	ds_read_b128 v[6:9], v1 offset:848
	ds_read_b128 v[140:143], v1 offset:864
	s_waitcnt vmcnt(39) lgkmcnt(3)
	v_mul_f32_e32 v169, v2, v154
	v_mul_f32_e32 v150, v3, v154
	s_waitcnt vmcnt(38)
	v_mul_f32_e32 v173, v4, v164
	v_mul_f32_e32 v146, v5, v164
	s_waitcnt vmcnt(37) lgkmcnt(2)
	v_mul_f32_e32 v164, v136, v166
	v_mul_f32_e32 v154, v137, v166
	v_fmac_f32_e32 v169, v3, v153
	v_fma_f32 v153, v2, v153, -v150
	v_fmac_f32_e32 v173, v5, v152
	v_fma_f32 v166, v4, v152, -v146
	s_waitcnt vmcnt(36)
	v_mul_f32_e32 v172, v138, v167
	v_mul_f32_e32 v150, v139, v167
	v_fma_f32 v167, v136, v151, -v154
	v_fmac_f32_e32 v164, v137, v151
	ds_read_b128 v[2:5], v1 offset:880
	ds_read_b128 v[144:147], v1 offset:896
	s_waitcnt vmcnt(32)
	v_fma_f32 v174, v138, v193, -v150
	v_fmac_f32_e32 v172, v139, v193
	ds_read_b128 v[136:139], v1 offset:912
	ds_read_b128 v[148:151], v1 offset:928
	s_waitcnt vmcnt(31) lgkmcnt(5)
	v_mul_f32_e32 v163, v6, v158
	v_mul_f32_e32 v152, v7, v158
	s_waitcnt vmcnt(30)
	v_mul_f32_e32 v154, v9, v189
	v_mul_f32_e32 v176, v8, v189
	v_fmac_f32_e32 v163, v7, v192
	v_add_f32_e32 v7, v10, v168
	v_add_f32_e32 v10, v11, v162
	v_fma_f32 v158, v6, v192, -v152
	v_fma_f32 v162, v8, v171, -v154
	v_fmac_f32_e32 v176, v9, v171
	v_add_f32_e32 v168, v7, v153
	v_add_f32_e32 v169, v10, v169
	ds_read_b128 v[6:9], v1 offset:944
	ds_read_b128 v[152:155], v1 offset:960
	ds_read_b64 v[10:11], v1 offset:976
	s_waitcnt vmcnt(28) lgkmcnt(7)
	v_mul_f32_e32 v177, v143, v178
	v_add_f32_e32 v166, v168, v166
	v_add_f32_e32 v169, v169, v173
	v_mul_f32_e32 v173, v141, v190
	v_mul_f32_e32 v168, v140, v190
	;; [unrolled: 1-line block ×3, first 2 shown]
	v_add_f32_e32 v166, v166, v167
	v_add_f32_e32 v164, v169, v164
	v_fma_f32 v140, v140, v170, -v173
	v_fmac_f32_e32 v168, v141, v170
	s_waitcnt vmcnt(27) lgkmcnt(6)
	v_mul_f32_e32 v167, v2, v179
	v_add_f32_e32 v166, v166, v174
	v_add_f32_e32 v164, v164, v172
	v_mul_f32_e32 v173, v3, v179
	s_waitcnt vmcnt(21)
	v_fma_f32 v142, v142, v200, -v177
	v_fmac_f32_e32 v171, v143, v200
	v_add_f32_e32 v158, v166, v158
	v_add_f32_e32 v163, v164, v163
	v_fmac_f32_e32 v167, v3, v199
	v_fma_f32 v2, v2, v199, -v173
	v_mul_f32_e32 v169, v4, v180
	v_add_f32_e32 v158, v158, v162
	v_add_f32_e32 v162, v163, v176
	v_mul_f32_e32 v163, v5, v180
	s_waitcnt lgkmcnt(5)
	v_mul_f32_e32 v141, v144, v181
	v_fmac_f32_e32 v169, v5, v183
	v_add_f32_e32 v140, v158, v140
	v_add_f32_e32 v158, v162, v168
	v_fma_f32 v4, v4, v183, -v163
	s_waitcnt vmcnt(20)
	v_mul_f32_e32 v5, v147, v165
	v_mul_f32_e32 v170, v146, v165
	v_add_f32_e32 v3, v140, v142
	v_add_f32_e32 v140, v158, v171
	v_mul_f32_e32 v142, v145, v181
	v_fmac_f32_e32 v141, v145, v182
	s_waitcnt vmcnt(19) lgkmcnt(4)
	v_mul_f32_e32 v172, v136, v184
	v_add_f32_e32 v2, v3, v2
	v_add_f32_e32 v3, v140, v167
	v_fma_f32 v140, v144, v182, -v142
	s_waitcnt vmcnt(18)
	v_mul_f32_e32 v143, v138, v159
	s_waitcnt vmcnt(8)
	v_fmac_f32_e32 v172, v137, v195
	v_add_f32_e32 v2, v2, v4
	v_add_f32_e32 v3, v3, v169
	v_mul_f32_e32 v4, v137, v184
	s_waitcnt vmcnt(7)
	v_fma_f32 v5, v146, v203, -v5
	v_fmac_f32_e32 v170, v147, v203
	v_add_f32_e32 v2, v2, v140
	v_add_f32_e32 v3, v3, v141
	v_mul_f32_e32 v140, v139, v159
	v_fma_f32 v4, v136, v195, -v4
	s_waitcnt lgkmcnt(3)
	v_mul_f32_e32 v174, v148, v175
	v_add_f32_e32 v2, v2, v5
	v_add_f32_e32 v3, v3, v170
	v_mul_f32_e32 v5, v149, v175
	v_fma_f32 v136, v138, v188, -v140
	v_fmac_f32_e32 v143, v139, v188
	v_add_f32_e32 v2, v2, v4
	v_add_f32_e32 v3, v3, v172
	v_mul_f32_e32 v4, v151, v185
	v_fma_f32 v5, v148, v160, -v5
	v_mul_f32_e32 v164, v150, v185
	v_add_f32_e32 v2, v2, v136
	v_fmac_f32_e32 v174, v149, v160
	v_add_f32_e32 v3, v3, v143
	s_waitcnt lgkmcnt(2)
	v_mul_f32_e32 v136, v7, v186
	s_waitcnt vmcnt(3)
	v_fma_f32 v4, v150, v194, -v4
	v_add_f32_e32 v2, v2, v5
	v_mul_f32_e32 v166, v6, v186
	v_fmac_f32_e32 v164, v151, v194
	v_add_f32_e32 v3, v3, v174
	v_mul_f32_e32 v5, v9, v201
	v_fma_f32 v6, v6, v161, -v136
	v_add_f32_e32 v2, v2, v4
	v_mul_f32_e32 v177, v8, v201
	v_fmac_f32_e32 v166, v7, v161
	v_add_f32_e32 v3, v3, v164
	s_waitcnt lgkmcnt(1)
	v_mul_f32_e32 v4, v153, v202
	v_fma_f32 v5, v8, v157, -v5
	v_add_f32_e32 v2, v2, v6
	v_mul_f32_e32 v176, v152, v202
	v_fmac_f32_e32 v177, v9, v157
	v_add_f32_e32 v3, v3, v166
	v_mul_f32_e32 v6, v155, v187
	v_fma_f32 v4, v152, v12, -v4
	v_add_f32_e32 v2, v2, v5
	v_mul_f32_e32 v178, v154, v187
	v_fmac_f32_e32 v176, v153, v12
	v_add_f32_e32 v3, v3, v177
	s_waitcnt lgkmcnt(0)
	v_mul_f32_e32 v5, v11, v156
	s_waitcnt vmcnt(1)
	v_fma_f32 v6, v154, v204, -v6
	v_add_f32_e32 v2, v2, v4
	v_mul_f32_e32 v162, v10, v156
	v_fmac_f32_e32 v178, v155, v204
	v_add_f32_e32 v3, v3, v176
	v_fma_f32 v4, v10, v196, -v5
	v_add_f32_e32 v2, v2, v6
	v_fmac_f32_e32 v162, v11, v196
	v_add_f32_e32 v3, v3, v178
	v_add_f32_e32 v2, v2, v4
	;; [unrolled: 1-line block ×3, first 2 shown]
	s_waitcnt vmcnt(0)
	v_sub_f32_e32 v2, v205, v2
	v_sub_f32_e32 v3, v198, v3
	buffer_store_dword v2, off, s[0:3], 0 offset:56
	buffer_store_dword v3, off, s[0:3], 0 offset:60
	v_cmpx_lt_u32_e32 6, v0
	s_cbranch_execz .LBB124_367
; %bb.366:
	s_clause 0x1
	buffer_load_dword v2, off, s[0:3], 0 offset:48
	buffer_load_dword v3, off, s[0:3], 0 offset:52
	buffer_store_dword v1, off, s[0:3], 0 offset:48
	buffer_store_dword v1, off, s[0:3], 0 offset:52
	s_waitcnt vmcnt(0)
	ds_write_b64 v135, v[2:3]
.LBB124_367:
	s_or_b32 exec_lo, exec_lo, s4
	s_waitcnt lgkmcnt(0)
	s_waitcnt_vscnt null, 0x0
	s_barrier
	buffer_gl0_inv
	s_clause 0x3c
	buffer_load_dword v9, off, s[0:3], 0 offset:60
	buffer_load_dword v10, off, s[0:3], 0 offset:68
	;; [unrolled: 1-line block ×61, first 2 shown]
	ds_read2_b64 v[181:184], v1 offset0:69 offset1:70
	ds_read2_b64 v[185:188], v1 offset0:71 offset1:72
	buffer_load_dword v196, off, s[0:3], 0 offset:52
	s_mov_b32 s4, exec_lo
	s_waitcnt vmcnt(61) lgkmcnt(1)
	v_mul_f32_e32 v194, v181, v9
	v_mul_f32_e32 v9, v182, v9
	s_waitcnt vmcnt(60)
	v_mul_f32_e32 v195, v183, v10
	v_mul_f32_e32 v10, v184, v10
	s_waitcnt vmcnt(57)
	v_fmac_f32_e32 v194, v182, v6
	v_fma_f32 v197, v181, v6, -v9
	v_fmac_f32_e32 v195, v184, v5
	v_fma_f32 v198, v183, v5, -v10
	ds_read2_b64 v[181:184], v1 offset0:73 offset1:74
	s_waitcnt vmcnt(56) lgkmcnt(1)
	v_mul_f32_e32 v199, v185, v4
	v_mul_f32_e32 v4, v186, v4
	s_waitcnt vmcnt(55)
	v_mul_f32_e32 v200, v187, v3
	v_mul_f32_e32 v3, v188, v3
	v_fmac_f32_e32 v199, v186, v2
	v_fma_f32 v185, v185, v2, -v4
	s_waitcnt vmcnt(51)
	v_fmac_f32_e32 v200, v188, v171
	v_fma_f32 v171, v187, v171, -v3
	ds_read2_b64 v[2:5], v1 offset0:75 offset1:76
	s_waitcnt vmcnt(50) lgkmcnt(1)
	v_mul_f32_e32 v186, v181, v170
	v_mul_f32_e32 v6, v182, v170
	s_waitcnt vmcnt(49)
	v_mul_f32_e32 v170, v183, v168
	v_mul_f32_e32 v9, v184, v168
	v_fmac_f32_e32 v186, v182, v164
	v_fma_f32 v164, v181, v164, -v6
	v_fmac_f32_e32 v170, v184, v157
	v_fma_f32 v157, v183, v157, -v9
	ds_read2_b64 v[181:184], v1 offset0:77 offset1:78
	s_waitcnt vmcnt(48) lgkmcnt(1)
	v_mul_f32_e32 v187, v2, v162
	v_mul_f32_e32 v6, v3, v162
	s_waitcnt vmcnt(47)
	v_mul_f32_e32 v188, v4, v160
	v_mul_f32_e32 v9, v5, v160
	v_fmac_f32_e32 v187, v3, v143
	v_fma_f32 v143, v2, v143, -v6
	s_waitcnt vmcnt(43)
	v_fmac_f32_e32 v188, v5, v169
	v_fma_f32 v201, v4, v169, -v9
	ds_read2_b64 v[2:5], v1 offset0:79 offset1:80
	s_waitcnt vmcnt(42) lgkmcnt(1)
	v_mul_f32_e32 v202, v181, v167
	v_mul_f32_e32 v6, v182, v167
	s_waitcnt vmcnt(41)
	v_mul_f32_e32 v203, v183, v166
	v_mul_f32_e32 v9, v184, v166
	ds_read2_b64 v[166:169], v1 offset0:81 offset1:82
	v_fmac_f32_e32 v202, v182, v158
	v_fma_f32 v158, v181, v158, -v6
	v_fmac_f32_e32 v203, v184, v152
	v_fma_f32 v181, v183, v152, -v9
	s_waitcnt vmcnt(40) lgkmcnt(1)
	v_mul_f32_e32 v182, v2, v156
	v_mul_f32_e32 v6, v3, v156
	s_waitcnt vmcnt(39)
	v_mul_f32_e32 v156, v4, v154
	v_mul_f32_e32 v9, v5, v154
	v_fmac_f32_e32 v182, v3, v139
	v_fma_f32 v139, v2, v139, -v6
	s_waitcnt vmcnt(35)
	v_fmac_f32_e32 v156, v5, v165
	v_fma_f32 v165, v4, v165, -v9
	ds_read2_b64 v[2:5], v1 offset0:83 offset1:84
	s_waitcnt vmcnt(34) lgkmcnt(1)
	v_mul_f32_e32 v183, v166, v163
	v_mul_f32_e32 v6, v167, v163
	s_waitcnt vmcnt(33)
	v_mul_f32_e32 v184, v168, v161
	v_mul_f32_e32 v9, v169, v161
	ds_read2_b64 v[160:163], v1 offset0:85 offset1:86
	v_fmac_f32_e32 v183, v167, v150
	v_fma_f32 v150, v166, v150, -v6
	v_fmac_f32_e32 v184, v169, v145
	v_fma_f32 v145, v168, v145, -v9
	;; [unrolled: 23-line block ×3, first 2 shown]
	s_waitcnt vmcnt(24) lgkmcnt(1)
	v_mul_f32_e32 v160, v2, v142
	v_mul_f32_e32 v6, v3, v142
	s_waitcnt vmcnt(23)
	v_mul_f32_e32 v142, v4, v141
	v_mul_f32_e32 v9, v5, v141
	v_fmac_f32_e32 v160, v3, v8
	v_fma_f32 v141, v2, v8, -v6
	s_waitcnt vmcnt(19)
	v_fmac_f32_e32 v142, v5, v151
	v_fma_f32 v151, v4, v151, -v9
	ds_read2_b64 v[2:5], v1 offset0:91 offset1:92
	s_waitcnt vmcnt(18) lgkmcnt(1)
	v_mul_f32_e32 v161, v152, v148
	v_mul_f32_e32 v6, v153, v148
	s_waitcnt vmcnt(17)
	v_mul_f32_e32 v148, v154, v146
	v_mul_f32_e32 v8, v155, v146
	v_fmac_f32_e32 v161, v153, v138
	v_fma_f32 v138, v152, v138, -v6
	v_fmac_f32_e32 v148, v155, v12
	v_fma_f32 v12, v154, v12, -v8
	ds_read2_b64 v[8:11], v1 offset0:93 offset1:94
	s_waitcnt vmcnt(16) lgkmcnt(1)
	v_mul_f32_e32 v146, v2, v137
	v_mul_f32_e32 v6, v3, v137
	s_waitcnt vmcnt(15)
	v_mul_f32_e32 v137, v4, v136
	v_mul_f32_e32 v136, v5, v136
	v_fmac_f32_e32 v146, v3, v7
	v_fma_f32 v152, v2, v7, -v6
	s_waitcnt vmcnt(11)
	v_fmac_f32_e32 v137, v5, v180
	v_fma_f32 v136, v4, v180, -v136
	ds_read2_b64 v[2:5], v1 offset0:95 offset1:96
	s_waitcnt vmcnt(10) lgkmcnt(1)
	v_mul_f32_e32 v153, v8, v179
	v_mul_f32_e32 v6, v9, v179
	s_waitcnt vmcnt(9)
	v_mul_f32_e32 v7, v11, v178
	v_mul_f32_e32 v154, v10, v178
	buffer_load_dword v178, off, s[0:3], 0 offset:308
	v_fmac_f32_e32 v153, v9, v177
	v_fma_f32 v155, v8, v177, -v6
	v_fma_f32 v10, v10, v174, -v7
	ds_read2_b64 v[6:9], v1 offset0:97 offset1:98
	v_fmac_f32_e32 v154, v11, v174
	buffer_load_dword v11, off, s[0:3], 0 offset:300
	s_waitcnt vmcnt(10) lgkmcnt(1)
	v_mul_f32_e32 v162, v2, v176
	v_mul_f32_e32 v163, v3, v176
	s_waitcnt vmcnt(9)
	v_mul_f32_e32 v169, v4, v175
	v_mul_f32_e32 v174, v5, v175
	v_fmac_f32_e32 v162, v3, v173
	v_fma_f32 v163, v2, v173, -v163
	s_waitcnt vmcnt(5)
	v_fmac_f32_e32 v169, v5, v191
	v_fma_f32 v173, v4, v191, -v174
	ds_read2_b64 v[2:5], v1 offset0:99 offset1:100
	s_waitcnt vmcnt(4) lgkmcnt(1)
	v_mul_f32_e32 v174, v6, v192
	v_mul_f32_e32 v175, v7, v192
	s_waitcnt vmcnt(3)
	v_mul_f32_e32 v176, v8, v193
	v_mul_f32_e32 v177, v9, v193
	v_fmac_f32_e32 v174, v7, v190
	v_fma_f32 v175, v6, v190, -v175
	v_fmac_f32_e32 v176, v9, v189
	v_fma_f32 v177, v8, v189, -v177
	s_clause 0x4
	buffer_load_dword v179, off, s[0:3], 0 offset:328
	buffer_load_dword v180, off, s[0:3], 0 offset:320
	;; [unrolled: 1-line block ×5, first 2 shown]
	v_add_f32_e32 v7, 0, v194
	v_add_f32_e32 v6, 0, v197
	s_clause 0x1
	buffer_load_dword v192, off, s[0:3], 0 offset:324
	buffer_load_dword v193, off, s[0:3], 0 offset:332
	v_add_f32_e32 v7, v7, v195
	v_add_f32_e32 v6, v6, v198
	;; [unrolled: 1-line block ×4, first 2 shown]
	s_clause 0x1
	buffer_load_dword v185, off, s[0:3], 0 offset:340
	buffer_load_dword v194, off, s[0:3], 0 offset:348
	v_add_f32_e32 v7, v7, v200
	v_add_f32_e32 v6, v6, v171
	v_add_f32_e32 v7, v7, v186
	v_add_f32_e32 v6, v6, v164
	s_clause 0x3
	buffer_load_dword v164, off, s[0:3], 0 offset:360
	buffer_load_dword v171, off, s[0:3], 0 offset:352
	;; [unrolled: 1-line block ×4, first 2 shown]
	v_add_f32_e32 v7, v7, v170
	v_add_f32_e32 v6, v6, v157
	s_clause 0x2
	buffer_load_dword v157, off, s[0:3], 0 offset:356
	buffer_load_dword v170, off, s[0:3], 0 offset:364
	;; [unrolled: 1-line block ×3, first 2 shown]
	v_add_f32_e32 v7, v7, v187
	v_add_f32_e32 v6, v6, v143
	;; [unrolled: 1-line block ×6, first 2 shown]
	s_clause 0x4
	buffer_load_dword v158, off, s[0:3], 0 offset:392
	buffer_load_dword v187, off, s[0:3], 0 offset:384
	;; [unrolled: 1-line block ×5, first 2 shown]
	v_add_f32_e32 v7, v7, v203
	v_add_f32_e32 v6, v6, v181
	buffer_load_dword v181, off, s[0:3], 0 offset:380
	v_add_f32_e32 v7, v7, v182
	v_add_f32_e32 v6, v6, v139
	buffer_load_dword v182, off, s[0:3], 0 offset:396
	v_add_f32_e32 v7, v7, v156
	v_add_f32_e32 v6, v6, v165
	s_clause 0x4
	buffer_load_dword v165, off, s[0:3], 0 offset:404
	buffer_load_dword v200, off, s[0:3], 0 offset:412
	;; [unrolled: 1-line block ×5, first 2 shown]
	v_add_f32_e32 v7, v7, v183
	v_add_f32_e32 v6, v6, v150
	s_clause 0x3
	buffer_load_dword v183, off, s[0:3], 0 offset:444
	buffer_load_dword v203, off, s[0:3], 0 offset:452
	;; [unrolled: 1-line block ×4, first 2 shown]
	v_add_f32_e32 v7, v7, v184
	v_add_f32_e32 v6, v6, v145
	buffer_load_dword v184, off, s[0:3], 0 offset:468
	v_add_f32_e32 v7, v7, v166
	v_add_f32_e32 v6, v6, v147
	buffer_load_dword v166, off, s[0:3], 0 offset:484
	v_add_f32_e32 v7, v7, v149
	v_add_f32_e32 v6, v6, v159
	;; [unrolled: 1-line block ×3, first 2 shown]
	s_clause 0x3
	buffer_load_dword v159, off, s[0:3], 0 offset:424
	buffer_load_dword v167, off, s[0:3], 0 offset:416
	;; [unrolled: 1-line block ×4, first 2 shown]
	v_add_f32_e32 v6, v6, v144
	v_add_f32_e32 v7, v7, v168
	;; [unrolled: 1-line block ×4, first 2 shown]
	s_clause 0x6
	buffer_load_dword v160, off, s[0:3], 0 offset:456
	buffer_load_dword v168, off, s[0:3], 0 offset:448
	;; [unrolled: 1-line block ×7, first 2 shown]
	v_add_f32_e32 v6, v6, v141
	v_add_f32_e32 v7, v7, v142
	;; [unrolled: 1-line block ×4, first 2 shown]
	buffer_load_dword v161, off, s[0:3], 0 offset:48
	v_add_f32_e32 v6, v6, v138
	v_add_f32_e32 v7, v7, v148
	;; [unrolled: 1-line block ×3, first 2 shown]
	s_waitcnt vmcnt(46) lgkmcnt(0)
	v_mul_f32_e32 v12, v2, v11
	v_mul_f32_e32 v8, v3, v11
	v_fmac_f32_e32 v12, v3, v172
	v_fma_f32 v11, v2, v172, -v8
	v_add_f32_e32 v2, v6, v152
	v_add_f32_e32 v3, v7, v146
	ds_read2_b64 v[6:9], v1 offset0:101 offset1:102
	v_mul_f32_e32 v152, v4, v178
	v_add_f32_e32 v136, v2, v136
	v_mul_f32_e32 v2, v5, v178
	v_add_f32_e32 v137, v3, v137
	v_add_f32_e32 v140, v136, v155
	;; [unrolled: 1-line block ×3, first 2 shown]
	ds_read2_b64 v[136:139], v1 offset0:105 offset1:106
	v_add_f32_e32 v10, v140, v10
	v_add_f32_e32 v141, v141, v154
	s_waitcnt vmcnt(42)
	v_fmac_f32_e32 v152, v5, v190
	v_fma_f32 v172, v4, v190, -v2
	ds_read2_b64 v[2:5], v1 offset0:103 offset1:104
	s_waitcnt vmcnt(41) lgkmcnt(2)
	v_mul_f32_e32 v140, v7, v191
	v_mul_f32_e32 v153, v6, v191
	v_add_f32_e32 v10, v10, v163
	s_waitcnt vmcnt(40)
	v_mul_f32_e32 v144, v9, v192
	v_fma_f32 v154, v6, v189, -v140
	v_add_f32_e32 v6, v141, v162
	v_fmac_f32_e32 v153, v7, v189
	v_add_f32_e32 v7, v10, v173
	v_mul_f32_e32 v10, v8, v192
	ds_read2_b64 v[140:143], v1 offset0:107 offset1:108
	v_add_f32_e32 v6, v6, v169
	v_fma_f32 v155, v8, v180, -v144
	v_add_f32_e32 v7, v7, v175
	v_fmac_f32_e32 v10, v9, v180
	s_waitcnt vmcnt(37) lgkmcnt(2)
	v_mul_f32_e32 v149, v137, v194
	v_add_f32_e32 v6, v6, v174
	v_mul_f32_e32 v169, v136, v194
	s_waitcnt lgkmcnt(1)
	v_mul_f32_e32 v145, v3, v193
	v_mul_f32_e32 v162, v2, v193
	;; [unrolled: 1-line block ×4, first 2 shown]
	s_waitcnt vmcnt(34)
	v_fma_f32 v175, v136, v195, -v149
	v_fma_f32 v173, v2, v179, -v145
	v_add_f32_e32 v2, v7, v177
	v_fmac_f32_e32 v162, v3, v179
	v_add_f32_e32 v3, v6, v176
	s_waitcnt vmcnt(33)
	v_fma_f32 v174, v4, v197, -v148
	ds_read2_b64 v[6:9], v1 offset0:109 offset1:110
	ds_read2_b64 v[144:147], v1 offset0:111 offset1:112
	v_add_f32_e32 v11, v2, v11
	v_fmac_f32_e32 v163, v5, v197
	v_add_f32_e32 v12, v3, v12
	s_waitcnt vmcnt(32)
	v_mul_f32_e32 v136, v139, v157
	v_fmac_f32_e32 v169, v137, v195
	v_add_f32_e32 v11, v11, v172
	v_mul_f32_e32 v172, v138, v157
	v_add_f32_e32 v12, v12, v152
	s_waitcnt vmcnt(31) lgkmcnt(2)
	v_mul_f32_e32 v157, v140, v170
	v_mul_f32_e32 v137, v141, v170
	v_add_f32_e32 v11, v11, v154
	v_fmac_f32_e32 v172, v139, v171
	v_add_f32_e32 v12, v12, v153
	v_fma_f32 v171, v138, v171, -v136
	s_waitcnt vmcnt(30)
	v_mul_f32_e32 v170, v143, v186
	v_add_f32_e32 v11, v11, v155
	v_fmac_f32_e32 v157, v141, v164
	v_add_f32_e32 v10, v12, v10
	v_fma_f32 v164, v140, v164, -v137
	v_mul_f32_e32 v176, v142, v186
	v_add_f32_e32 v11, v11, v173
	s_waitcnt vmcnt(26)
	v_fma_f32 v170, v142, v198, -v170
	v_add_f32_e32 v10, v10, v162
	s_waitcnt vmcnt(24) lgkmcnt(1)
	v_mul_f32_e32 v12, v7, v181
	ds_read2_b64 v[2:5], v1 offset0:113 offset1:114
	ds_read2_b64 v[148:151], v1 offset0:115 offset1:116
	v_add_f32_e32 v11, v11, v174
	ds_read2_b64 v[136:139], v1 offset0:117 offset1:118
	ds_read2_b64 v[152:155], v1 offset0:119 offset1:120
	v_add_f32_e32 v10, v10, v163
	v_fmac_f32_e32 v176, v143, v198
	ds_read2_b64 v[140:143], v1 offset0:121 offset1:122
	v_add_f32_e32 v11, v11, v175
	v_mul_f32_e32 v1, v6, v181
	v_add_f32_e32 v10, v10, v169
	v_mul_f32_e32 v173, v9, v199
	v_fma_f32 v6, v6, v188, -v12
	v_add_f32_e32 v11, v11, v171
	v_mul_f32_e32 v162, v8, v199
	v_add_f32_e32 v10, v10, v172
	v_fmac_f32_e32 v1, v7, v188
	s_waitcnt vmcnt(23) lgkmcnt(5)
	v_mul_f32_e32 v12, v145, v182
	v_add_f32_e32 v11, v11, v164
	v_fma_f32 v8, v8, v187, -v173
	v_add_f32_e32 v10, v10, v157
	v_mul_f32_e32 v174, v144, v182
	v_fmac_f32_e32 v162, v9, v187
	v_add_f32_e32 v11, v11, v170
	s_waitcnt vmcnt(22)
	v_mul_f32_e32 v9, v147, v165
	v_add_f32_e32 v10, v10, v176
	v_mul_f32_e32 v163, v146, v165
	v_fmac_f32_e32 v174, v145, v158
	v_add_f32_e32 v6, v11, v6
	s_waitcnt vmcnt(21) lgkmcnt(4)
	v_mul_f32_e32 v177, v2, v200
	v_add_f32_e32 v1, v10, v1
	v_fma_f32 v10, v144, v158, -v12
	s_waitcnt vmcnt(8)
	v_fma_f32 v9, v146, v207, -v9
	v_add_f32_e32 v6, v6, v8
	v_mul_f32_e32 v8, v3, v200
	v_add_f32_e32 v1, v1, v162
	v_fmac_f32_e32 v163, v147, v207
	v_fmac_f32_e32 v177, v3, v206
	v_add_f32_e32 v6, v6, v10
	v_mul_f32_e32 v10, v5, v156
	v_add_f32_e32 v1, v1, v174
	v_fma_f32 v2, v2, v206, -v8
	v_mul_f32_e32 v175, v4, v156
	v_add_f32_e32 v3, v6, v9
	s_waitcnt lgkmcnt(3)
	v_mul_f32_e32 v6, v149, v201
	v_add_f32_e32 v1, v1, v163
	v_fma_f32 v4, v4, v167, -v10
	v_mul_f32_e32 v169, v148, v201
	v_add_f32_e32 v2, v3, v2
	v_fmac_f32_e32 v175, v5, v167
	v_add_f32_e32 v1, v1, v177
	v_mul_f32_e32 v3, v151, v202
	v_fma_f32 v5, v148, v159, -v6
	v_add_f32_e32 v2, v2, v4
	v_mul_f32_e32 v178, v150, v202
	v_fmac_f32_e32 v169, v149, v159
	v_add_f32_e32 v1, v1, v175
	s_waitcnt lgkmcnt(2)
	v_mul_f32_e32 v4, v137, v183
	s_waitcnt vmcnt(4)
	v_fma_f32 v3, v150, v209, -v3
	v_add_f32_e32 v2, v2, v5
	v_mul_f32_e32 v171, v136, v183
	v_fmac_f32_e32 v178, v151, v209
	v_add_f32_e32 v1, v1, v169
	v_mul_f32_e32 v5, v139, v203
	v_fma_f32 v4, v136, v208, -v4
	v_add_f32_e32 v2, v2, v3
	v_mul_f32_e32 v172, v138, v203
	v_fmac_f32_e32 v171, v137, v208
	v_add_f32_e32 v1, v1, v178
	s_waitcnt lgkmcnt(1)
	v_mul_f32_e32 v3, v153, v204
	v_fma_f32 v5, v138, v168, -v5
	v_add_f32_e32 v2, v2, v4
	v_mul_f32_e32 v179, v152, v204
	v_fmac_f32_e32 v172, v139, v168
	v_add_f32_e32 v1, v1, v171
	v_mul_f32_e32 v4, v155, v184
	v_fma_f32 v3, v152, v160, -v3
	v_add_f32_e32 v2, v2, v5
	v_mul_f32_e32 v164, v154, v184
	v_fmac_f32_e32 v179, v153, v160
	v_add_f32_e32 v1, v1, v172
	s_waitcnt lgkmcnt(0)
	v_mul_f32_e32 v5, v141, v205
	s_waitcnt vmcnt(1)
	v_fma_f32 v4, v154, v212, -v4
	v_add_f32_e32 v2, v2, v3
	v_mul_f32_e32 v157, v140, v205
	v_fmac_f32_e32 v164, v155, v212
	v_add_f32_e32 v1, v1, v179
	v_mul_f32_e32 v3, v143, v166
	v_fma_f32 v5, v140, v211, -v5
	v_add_f32_e32 v2, v2, v4
	v_mul_f32_e32 v7, v142, v166
	v_fmac_f32_e32 v157, v141, v211
	v_add_f32_e32 v1, v1, v164
	v_fma_f32 v3, v142, v210, -v3
	v_add_f32_e32 v2, v2, v5
	v_fmac_f32_e32 v7, v143, v210
	v_add_f32_e32 v1, v1, v157
	v_add_f32_e32 v2, v2, v3
	;; [unrolled: 1-line block ×3, first 2 shown]
	s_waitcnt vmcnt(0)
	v_sub_f32_e32 v2, v161, v2
	v_sub_f32_e32 v1, v196, v1
	buffer_store_dword v2, off, s[0:3], 0 offset:48
	buffer_store_dword v1, off, s[0:3], 0 offset:52
	v_cmpx_lt_u32_e32 5, v0
	s_cbranch_execz .LBB124_369
; %bb.368:
	s_clause 0x1
	buffer_load_dword v1, off, s[0:3], 0 offset:40
	buffer_load_dword v2, off, s[0:3], 0 offset:44
	v_mov_b32_e32 v3, 0
	buffer_store_dword v3, off, s[0:3], 0 offset:40
	buffer_store_dword v3, off, s[0:3], 0 offset:44
	s_waitcnt vmcnt(0)
	ds_write_b64 v135, v[1:2]
.LBB124_369:
	s_or_b32 exec_lo, exec_lo, s4
	s_waitcnt lgkmcnt(0)
	s_waitcnt_vscnt null, 0x0
	s_barrier
	buffer_gl0_inv
	s_clause 0x3c
	buffer_load_dword v2, off, s[0:3], 0 offset:52
	buffer_load_dword v3, off, s[0:3], 0 offset:60
	;; [unrolled: 1-line block ×61, first 2 shown]
	v_mov_b32_e32 v1, 0
	ds_read_b128 v[184:187], v1 offset:544
	ds_read_b128 v[188:191], v1 offset:560
	buffer_load_dword v182, off, s[0:3], 0 offset:44
	s_mov_b32 s4, exec_lo
	s_waitcnt vmcnt(61) lgkmcnt(1)
	v_mul_f32_e32 v195, v184, v2
	v_mul_f32_e32 v2, v185, v2
	s_waitcnt vmcnt(60)
	v_mul_f32_e32 v196, v186, v3
	v_mul_f32_e32 v3, v187, v3
	s_waitcnt vmcnt(59) lgkmcnt(0)
	v_mul_f32_e32 v197, v188, v4
	v_mul_f32_e32 v198, v189, v4
	s_waitcnt vmcnt(58)
	v_mul_f32_e32 v199, v190, v5
	v_mul_f32_e32 v200, v191, v5
	s_waitcnt vmcnt(55)
	v_fmac_f32_e32 v195, v185, v8
	v_fma_f32 v8, v184, v8, -v2
	v_fmac_f32_e32 v196, v187, v7
	v_fma_f32 v7, v186, v7, -v3
	ds_read_b128 v[2:5], v1 offset:576
	ds_read_b128 v[184:187], v1 offset:592
	v_fmac_f32_e32 v197, v189, v6
	v_fma_f32 v6, v188, v6, -v198
	s_waitcnt vmcnt(51)
	v_fma_f32 v188, v190, v166, -v200
	v_fmac_f32_e32 v199, v191, v166
	v_add_f32_e32 v8, 0, v8
	v_add_f32_e32 v7, v8, v7
	;; [unrolled: 1-line block ×3, first 2 shown]
	s_waitcnt vmcnt(50) lgkmcnt(1)
	v_mul_f32_e32 v189, v2, v163
	v_mul_f32_e32 v163, v3, v163
	s_waitcnt vmcnt(49)
	v_mul_f32_e32 v190, v4, v161
	v_mul_f32_e32 v161, v5, v161
	s_waitcnt vmcnt(48) lgkmcnt(0)
	v_mul_f32_e32 v191, v184, v158
	v_fmac_f32_e32 v189, v3, v145
	v_fma_f32 v145, v2, v145, -v163
	v_fmac_f32_e32 v190, v5, v141
	v_fma_f32 v161, v4, v141, -v161
	ds_read_b128 v[2:5], v1 offset:608
	v_mul_f32_e32 v158, v185, v158
	s_waitcnt vmcnt(47)
	v_mul_f32_e32 v198, v186, v156
	v_mul_f32_e32 v156, v187, v156
	v_fmac_f32_e32 v191, v185, v136
	v_fma_f32 v136, v184, v136, -v158
	s_waitcnt vmcnt(43)
	v_fmac_f32_e32 v198, v187, v171
	v_fma_f32 v163, v186, v171, -v156
	ds_read_b128 v[184:187], v1 offset:624
	s_waitcnt vmcnt(42) lgkmcnt(1)
	v_mul_f32_e32 v171, v2, v170
	v_mul_f32_e32 v141, v3, v170
	s_waitcnt vmcnt(41)
	v_mul_f32_e32 v170, v4, v169
	v_mul_f32_e32 v156, v5, v169
	v_fmac_f32_e32 v171, v3, v151
	v_fma_f32 v151, v2, v151, -v141
	v_fmac_f32_e32 v170, v5, v148
	v_fma_f32 v148, v4, v148, -v156
	ds_read_b128 v[2:5], v1 offset:640
	s_waitcnt vmcnt(40) lgkmcnt(1)
	v_mul_f32_e32 v169, v184, v167
	s_waitcnt vmcnt(39)
	v_mul_f32_e32 v200, v186, v165
	v_mul_f32_e32 v165, v187, v165
	v_mul_f32_e32 v158, v185, v167
	v_fmac_f32_e32 v169, v185, v142
	s_waitcnt vmcnt(35)
	v_fmac_f32_e32 v200, v187, v168
	v_fma_f32 v185, v186, v168, -v165
	ds_read_b128 v[165:168], v1 offset:656
	v_fma_f32 v184, v184, v142, -v158
	s_waitcnt vmcnt(34) lgkmcnt(1)
	v_mul_f32_e32 v186, v2, v164
	v_mul_f32_e32 v141, v3, v164
	s_waitcnt vmcnt(33)
	v_mul_f32_e32 v164, v4, v162
	v_mul_f32_e32 v142, v5, v162
	v_fmac_f32_e32 v186, v3, v146
	v_fma_f32 v146, v2, v146, -v141
	v_fmac_f32_e32 v164, v5, v143
	v_fma_f32 v201, v4, v143, -v142
	ds_read_b128 v[2:5], v1 offset:672
	s_waitcnt vmcnt(32) lgkmcnt(1)
	v_mul_f32_e32 v162, v165, v159
	v_mul_f32_e32 v156, v166, v159
	s_waitcnt vmcnt(31)
	v_mul_f32_e32 v187, v167, v157
	v_mul_f32_e32 v157, v168, v157
	v_fmac_f32_e32 v162, v166, v137
	v_fma_f32 v137, v165, v137, -v156
	s_waitcnt vmcnt(27)
	v_fmac_f32_e32 v187, v168, v160
	v_fma_f32 v160, v167, v160, -v157
	ds_read_b128 v[156:159], v1 offset:688
	s_waitcnt vmcnt(26) lgkmcnt(1)
	v_mul_f32_e32 v165, v2, v155
	v_mul_f32_e32 v141, v3, v155
	s_waitcnt vmcnt(25)
	v_mul_f32_e32 v155, v4, v154
	v_mul_f32_e32 v142, v5, v154
	v_fmac_f32_e32 v165, v3, v140
	v_fma_f32 v166, v2, v140, -v141
	v_fmac_f32_e32 v155, v5, v138
	v_fma_f32 v138, v4, v138, -v142
	ds_read_b128 v[2:5], v1 offset:704
	s_waitcnt vmcnt(24) lgkmcnt(1)
	v_mul_f32_e32 v154, v156, v152
	v_mul_f32_e32 v143, v157, v152
	s_waitcnt vmcnt(23)
	v_mul_f32_e32 v152, v158, v150
	v_mul_f32_e32 v150, v159, v150
	v_fmac_f32_e32 v154, v157, v10
	v_fma_f32 v10, v156, v10, -v143
	ds_read_b128 v[140:143], v1 offset:720
	s_waitcnt vmcnt(19)
	v_fmac_f32_e32 v152, v159, v153
	v_fma_f32 v150, v158, v153, -v150
	buffer_load_dword v153, off, s[0:3], 0 offset:292
	s_waitcnt vmcnt(18) lgkmcnt(1)
	v_mul_f32_e32 v157, v4, v147
	v_mul_f32_e32 v147, v5, v147
	;; [unrolled: 1-line block ×4, first 2 shown]
	v_fmac_f32_e32 v157, v5, v11
	v_fma_f32 v11, v4, v11, -v147
	s_clause 0x4
	buffer_load_dword v147, off, s[0:3], 0 offset:300
	buffer_load_dword v159, off, s[0:3], 0 offset:320
	;; [unrolled: 1-line block ×5, first 2 shown]
	s_waitcnt vmcnt(22) lgkmcnt(0)
	v_mul_f32_e32 v158, v140, v144
	v_mul_f32_e32 v144, v141, v144
	v_fmac_f32_e32 v156, v3, v139
	v_fma_f32 v139, v2, v139, -v149
	s_waitcnt vmcnt(21)
	v_mul_f32_e32 v2, v143, v12
	v_mul_f32_e32 v149, v142, v12
	v_fmac_f32_e32 v158, v141, v9
	v_fma_f32 v12, v140, v9, -v144
	v_add_f32_e32 v9, 0, v195
	s_waitcnt vmcnt(17)
	v_fma_f32 v140, v142, v180, -v2
	ds_read_b128 v[2:5], v1 offset:736
	buffer_load_dword v141, off, s[0:3], 0 offset:308
	v_add_f32_e32 v142, v6, v188
	v_add_f32_e32 v8, v9, v196
	v_fmac_f32_e32 v149, v143, v180
	s_clause 0x2
	buffer_load_dword v144, off, s[0:3], 0 offset:316
	buffer_load_dword v180, off, s[0:3], 0 offset:324
	;; [unrolled: 1-line block ×3, first 2 shown]
	v_add_f32_e32 v142, v142, v145
	v_add_f32_e32 v7, v8, v197
	;; [unrolled: 1-line block ×4, first 2 shown]
	ds_read_b128 v[6:9], v1 offset:752
	buffer_load_dword v161, off, s[0:3], 0 offset:340
	v_add_f32_e32 v143, v143, v189
	s_waitcnt vmcnt(21) lgkmcnt(1)
	v_mul_f32_e32 v145, v2, v179
	v_mul_f32_e32 v179, v3, v179
	s_waitcnt vmcnt(20)
	v_mul_f32_e32 v189, v4, v178
	v_mul_f32_e32 v178, v5, v178
	v_fmac_f32_e32 v145, v3, v177
	v_fma_f32 v177, v2, v177, -v179
	v_add_f32_e32 v2, v143, v190
	v_fmac_f32_e32 v189, v5, v176
	v_fma_f32 v176, v4, v176, -v178
	s_clause 0x3
	buffer_load_dword v178, off, s[0:3], 0 offset:352
	buffer_load_dword v179, off, s[0:3], 0 offset:344
	;; [unrolled: 1-line block ×4, first 2 shown]
	v_add_f32_e32 v3, v142, v136
	v_add_f32_e32 v2, v2, v191
	s_waitcnt vmcnt(23) lgkmcnt(0)
	v_mul_f32_e32 v143, v6, v174
	v_add_f32_e32 v136, v3, v163
	s_clause 0x2
	buffer_load_dword v163, off, s[0:3], 0 offset:348
	buffer_load_dword v191, off, s[0:3], 0 offset:356
	;; [unrolled: 1-line block ×3, first 2 shown]
	v_add_f32_e32 v142, v2, v198
	ds_read_b128 v[2:5], v1 offset:768
	v_fmac_f32_e32 v143, v7, v172
	v_add_f32_e32 v136, v136, v151
	v_mul_f32_e32 v151, v7, v174
	v_add_f32_e32 v142, v142, v171
	s_waitcnt vmcnt(25)
	v_mul_f32_e32 v171, v8, v173
	v_mul_f32_e32 v173, v9, v173
	v_add_f32_e32 v7, v136, v148
	v_fma_f32 v148, v6, v172, -v151
	v_add_f32_e32 v6, v142, v170
	s_waitcnt vmcnt(21)
	v_fmac_f32_e32 v171, v9, v193
	v_fma_f32 v151, v8, v193, -v173
	v_add_f32_e32 v136, v7, v184
	s_clause 0x4
	buffer_load_dword v170, off, s[0:3], 0 offset:384
	buffer_load_dword v172, off, s[0:3], 0 offset:376
	;; [unrolled: 1-line block ×5, first 2 shown]
	v_add_f32_e32 v142, v6, v169
	ds_read_b128 v[6:9], v1 offset:784
	v_add_f32_e32 v136, v136, v185
	v_add_f32_e32 v142, v142, v200
	s_waitcnt vmcnt(25) lgkmcnt(1)
	v_mul_f32_e32 v185, v3, v194
	v_mul_f32_e32 v169, v2, v194
	v_add_f32_e32 v136, v136, v146
	s_clause 0x2
	buffer_load_dword v193, off, s[0:3], 0 offset:380
	buffer_load_dword v194, off, s[0:3], 0 offset:388
	;; [unrolled: 1-line block ×3, first 2 shown]
	v_fma_f32 v146, v2, v192, -v185
	v_add_f32_e32 v2, v142, v186
	v_fmac_f32_e32 v169, v3, v192
	v_add_f32_e32 v3, v136, v201
	s_waitcnt vmcnt(27)
	v_mul_f32_e32 v185, v4, v183
	s_clause 0x1
	buffer_load_dword v186, off, s[0:3], 0 offset:404
	buffer_load_dword v192, off, s[0:3], 0 offset:412
	v_add_f32_e32 v2, v2, v164
	v_mul_f32_e32 v136, v5, v183
	v_add_f32_e32 v3, v3, v137
	s_clause 0x2
	buffer_load_dword v164, off, s[0:3], 0 offset:420
	buffer_load_dword v183, off, s[0:3], 0 offset:428
	;; [unrolled: 1-line block ×3, first 2 shown]
	v_add_f32_e32 v2, v2, v162
	v_fmac_f32_e32 v185, v5, v181
	v_add_f32_e32 v3, v3, v160
	s_clause 0x2
	buffer_load_dword v160, off, s[0:3], 0 offset:444
	buffer_load_dword v162, off, s[0:3], 0 offset:452
	;; [unrolled: 1-line block ×3, first 2 shown]
	v_fma_f32 v181, v4, v181, -v136
	v_add_f32_e32 v2, v2, v187
	v_add_f32_e32 v3, v3, v166
	s_clause 0x2
	buffer_load_dword v166, off, s[0:3], 0 offset:468
	buffer_load_dword v187, off, s[0:3], 0 offset:476
	;; [unrolled: 1-line block ×3, first 2 shown]
	v_add_f32_e32 v2, v2, v165
	s_clause 0x7
	buffer_load_dword v165, off, s[0:3], 0 offset:416
	buffer_load_dword v201, off, s[0:3], 0 offset:408
	;; [unrolled: 1-line block ×8, first 2 shown]
	v_add_f32_e32 v3, v3, v138
	v_add_f32_e32 v2, v2, v155
	;; [unrolled: 1-line block ×8, first 2 shown]
	s_clause 0x3
	buffer_load_dword v156, off, s[0:3], 0 offset:480
	buffer_load_dword v209, off, s[0:3], 0 offset:472
	buffer_load_dword v210, off, s[0:3], 0 offset:464
	buffer_load_dword v211, off, s[0:3], 0 offset:456
	v_add_f32_e32 v3, v3, v11
	v_add_f32_e32 v2, v2, v157
	buffer_load_dword v157, off, s[0:3], 0 offset:40
	v_add_f32_e32 v3, v3, v12
	v_add_f32_e32 v2, v2, v158
	s_waitcnt vmcnt(49) lgkmcnt(0)
	v_mul_f32_e32 v10, v6, v153
	v_mul_f32_e32 v4, v7, v153
	v_fmac_f32_e32 v10, v7, v175
	v_fma_f32 v11, v6, v175, -v4
	v_add_f32_e32 v6, v3, v140
	v_add_f32_e32 v7, v2, v149
	ds_read_b128 v[2:5], v1 offset:800
	v_add_f32_e32 v12, v6, v177
	s_waitcnt vmcnt(48)
	v_mul_f32_e32 v149, v8, v147
	v_mul_f32_e32 v6, v9, v147
	v_add_f32_e32 v136, v7, v145
	v_add_f32_e32 v12, v12, v176
	s_waitcnt vmcnt(44)
	v_fmac_f32_e32 v149, v9, v202
	v_fma_f32 v150, v8, v202, -v6
	ds_read_b128 v[6:9], v1 offset:816
	v_add_f32_e32 v140, v136, v189
	v_add_f32_e32 v12, v12, v148
	ds_read_b128 v[136:139], v1 offset:832
	v_add_f32_e32 v140, v140, v143
	v_add_f32_e32 v12, v12, v151
	s_waitcnt vmcnt(43) lgkmcnt(2)
	v_mul_f32_e32 v152, v2, v141
	v_mul_f32_e32 v141, v3, v141
	v_fmac_f32_e32 v152, v3, v168
	v_fma_f32 v153, v2, v168, -v141
	v_add_f32_e32 v2, v140, v171
	v_add_f32_e32 v3, v12, v146
	ds_read_b128 v[140:143], v1 offset:848
	s_waitcnt vmcnt(42)
	v_mul_f32_e32 v12, v4, v144
	s_waitcnt vmcnt(41) lgkmcnt(2)
	v_mul_f32_e32 v145, v7, v180
	v_add_f32_e32 v2, v2, v169
	v_add_f32_e32 v3, v3, v181
	v_mul_f32_e32 v158, v6, v180
	v_mul_f32_e32 v144, v5, v144
	v_fma_f32 v155, v6, v159, -v145
	v_add_f32_e32 v2, v2, v185
	v_add_f32_e32 v6, v3, v11
	v_fmac_f32_e32 v158, v7, v159
	s_waitcnt vmcnt(39) lgkmcnt(1)
	v_mul_f32_e32 v169, v136, v161
	v_fma_f32 v154, v4, v167, -v144
	v_add_f32_e32 v7, v2, v10
	v_mul_f32_e32 v10, v137, v161
	v_add_f32_e32 v11, v6, v150
	v_fmac_f32_e32 v12, v5, v167
	v_mul_f32_e32 v148, v9, v188
	v_mul_f32_e32 v168, v8, v188
	s_waitcnt vmcnt(36)
	v_fma_f32 v161, v136, v190, -v10
	v_add_f32_e32 v10, v7, v149
	v_add_f32_e32 v11, v11, v153
	s_waitcnt vmcnt(35)
	v_fma_f32 v159, v8, v195, -v148
	ds_read_b128 v[2:5], v1 offset:864
	ds_read_b128 v[144:147], v1 offset:880
	v_fmac_f32_e32 v168, v9, v195
	v_add_f32_e32 v10, v10, v152
	v_add_f32_e32 v11, v11, v154
	s_waitcnt vmcnt(34)
	v_mul_f32_e32 v136, v139, v163
	v_fmac_f32_e32 v169, v137, v190
	v_mul_f32_e32 v167, v138, v163
	v_add_f32_e32 v10, v10, v12
	v_add_f32_e32 v12, v11, v155
	s_waitcnt vmcnt(33) lgkmcnt(2)
	v_mul_f32_e32 v137, v141, v191
	v_fma_f32 v176, v138, v179, -v136
	v_mul_f32_e32 v163, v140, v191
	v_add_f32_e32 v158, v10, v158
	v_add_f32_e32 v12, v12, v159
	v_fmac_f32_e32 v167, v139, v179
	s_waitcnt vmcnt(32)
	v_mul_f32_e32 v171, v142, v196
	v_mul_f32_e32 v175, v143, v196
	v_add_f32_e32 v158, v158, v168
	v_add_f32_e32 v12, v12, v161
	v_fma_f32 v177, v140, v178, -v137
	v_fmac_f32_e32 v163, v141, v178
	s_waitcnt vmcnt(28)
	v_fmac_f32_e32 v171, v143, v174
	v_add_f32_e32 v158, v158, v169
	v_add_f32_e32 v12, v12, v176
	v_fma_f32 v174, v142, v174, -v175
	s_waitcnt vmcnt(27) lgkmcnt(1)
	v_mul_f32_e32 v175, v3, v184
	ds_read_b128 v[6:9], v1 offset:896
	ds_read_b128 v[148:151], v1 offset:912
	v_add_f32_e32 v158, v158, v167
	v_add_f32_e32 v12, v12, v177
	v_mul_f32_e32 v159, v2, v184
	s_waitcnt vmcnt(26)
	v_mul_f32_e32 v178, v5, v193
	v_fma_f32 v2, v2, v173, -v175
	v_add_f32_e32 v158, v158, v163
	v_add_f32_e32 v12, v12, v174
	v_mul_f32_e32 v168, v4, v193
	v_fmac_f32_e32 v159, v3, v173
	s_waitcnt vmcnt(25) lgkmcnt(2)
	v_mul_f32_e32 v175, v145, v194
	v_add_f32_e32 v158, v158, v171
	v_fma_f32 v4, v4, v172, -v178
	v_add_f32_e32 v2, v12, v2
	v_mul_f32_e32 v161, v144, v194
	v_fmac_f32_e32 v168, v5, v172
	v_add_f32_e32 v12, v158, v159
	s_waitcnt vmcnt(24)
	v_mul_f32_e32 v171, v147, v197
	v_fma_f32 v144, v144, v170, -v175
	v_add_f32_e32 v2, v2, v4
	v_mul_f32_e32 v169, v146, v197
	v_fmac_f32_e32 v161, v145, v170
	v_add_f32_e32 v4, v12, v168
	s_waitcnt vmcnt(23) lgkmcnt(1)
	v_mul_f32_e32 v12, v7, v186
	v_add_f32_e32 v2, v2, v144
	ds_read_b128 v[136:139], v1 offset:928
	ds_read_b128 v[152:155], v1 offset:944
	s_waitcnt vmcnt(9)
	v_fma_f32 v145, v146, v204, -v171
	v_mul_f32_e32 v3, v6, v186
	v_fmac_f32_e32 v169, v147, v204
	v_add_f32_e32 v4, v4, v161
	v_mul_f32_e32 v144, v9, v192
	v_fma_f32 v6, v6, v203, -v12
	v_add_f32_e32 v2, v2, v145
	v_mul_f32_e32 v173, v8, v192
	v_fmac_f32_e32 v3, v7, v203
	v_add_f32_e32 v4, v4, v169
	s_waitcnt lgkmcnt(2)
	v_mul_f32_e32 v7, v149, v164
	v_fma_f32 v8, v8, v201, -v144
	v_add_f32_e32 v2, v2, v6
	v_mul_f32_e32 v167, v148, v164
	v_fmac_f32_e32 v173, v9, v201
	v_add_f32_e32 v3, v4, v3
	v_mul_f32_e32 v4, v151, v183
	v_fma_f32 v6, v148, v165, -v7
	v_add_f32_e32 v2, v2, v8
	v_mul_f32_e32 v5, v150, v183
	v_fmac_f32_e32 v167, v149, v165
	v_add_f32_e32 v3, v3, v173
	s_waitcnt lgkmcnt(1)
	v_mul_f32_e32 v7, v137, v198
	s_waitcnt vmcnt(5)
	v_fma_f32 v4, v150, v208, -v4
	v_add_f32_e32 v2, v2, v6
	ds_read_b128 v[140:143], v1 offset:960
	ds_read_b64 v[10:11], v1 offset:976
	v_mul_f32_e32 v172, v136, v198
	v_fmac_f32_e32 v5, v151, v208
	v_add_f32_e32 v3, v3, v167
	v_mul_f32_e32 v6, v139, v160
	v_fma_f32 v7, v136, v207, -v7
	v_add_f32_e32 v2, v2, v4
	v_mul_f32_e32 v163, v138, v160
	v_fmac_f32_e32 v172, v137, v207
	v_add_f32_e32 v3, v3, v5
	s_waitcnt lgkmcnt(2)
	v_mul_f32_e32 v4, v153, v162
	v_fma_f32 v5, v138, v206, -v6
	v_add_f32_e32 v2, v2, v7
	v_mul_f32_e32 v176, v152, v162
	v_fmac_f32_e32 v163, v139, v206
	v_add_f32_e32 v3, v3, v172
	v_mul_f32_e32 v6, v155, v199
	v_fma_f32 v4, v152, v205, -v4
	v_add_f32_e32 v2, v2, v5
	v_mul_f32_e32 v177, v154, v199
	v_fmac_f32_e32 v176, v153, v205
	v_add_f32_e32 v3, v3, v163
	s_waitcnt lgkmcnt(1)
	v_mul_f32_e32 v5, v141, v166
	s_waitcnt vmcnt(1)
	v_fma_f32 v6, v154, v211, -v6
	v_add_f32_e32 v2, v2, v4
	v_mul_f32_e32 v174, v140, v166
	v_fmac_f32_e32 v177, v155, v211
	v_add_f32_e32 v3, v3, v176
	v_mul_f32_e32 v4, v143, v187
	v_fma_f32 v5, v140, v210, -v5
	v_add_f32_e32 v2, v2, v6
	v_mul_f32_e32 v178, v142, v187
	v_fmac_f32_e32 v174, v141, v210
	v_add_f32_e32 v3, v3, v177
	s_waitcnt lgkmcnt(0)
	v_mul_f32_e32 v6, v11, v200
	v_fma_f32 v4, v142, v209, -v4
	v_add_f32_e32 v2, v2, v5
	v_mul_f32_e32 v158, v10, v200
	v_fmac_f32_e32 v178, v143, v209
	v_add_f32_e32 v3, v3, v174
	v_fma_f32 v5, v10, v156, -v6
	v_add_f32_e32 v2, v2, v4
	v_fmac_f32_e32 v158, v11, v156
	v_add_f32_e32 v3, v3, v178
	v_add_f32_e32 v2, v2, v5
	v_add_f32_e32 v3, v3, v158
	s_waitcnt vmcnt(0)
	v_sub_f32_e32 v2, v157, v2
	v_sub_f32_e32 v3, v182, v3
	buffer_store_dword v2, off, s[0:3], 0 offset:40
	buffer_store_dword v3, off, s[0:3], 0 offset:44
	v_cmpx_lt_u32_e32 4, v0
	s_cbranch_execz .LBB124_371
; %bb.370:
	s_clause 0x1
	buffer_load_dword v2, off, s[0:3], 0 offset:32
	buffer_load_dword v3, off, s[0:3], 0 offset:36
	buffer_store_dword v1, off, s[0:3], 0 offset:32
	buffer_store_dword v1, off, s[0:3], 0 offset:36
	s_waitcnt vmcnt(0)
	ds_write_b64 v135, v[2:3]
.LBB124_371:
	s_or_b32 exec_lo, exec_lo, s4
	s_waitcnt lgkmcnt(0)
	s_waitcnt_vscnt null, 0x0
	s_barrier
	buffer_gl0_inv
	s_clause 0x34
	buffer_load_dword v171, off, s[0:3], 0 offset:44
	buffer_load_dword v172, off, s[0:3], 0 offset:52
	;; [unrolled: 1-line block ×53, first 2 shown]
	ds_read2_b64 v[179:182], v1 offset0:67 offset1:68
	ds_read2_b64 v[183:186], v1 offset0:69 offset1:70
	;; [unrolled: 1-line block ×4, first 2 shown]
	s_mov_b32 s4, exec_lo
	s_waitcnt vmcnt(52) lgkmcnt(3)
	v_mul_f32_e32 v174, v179, v171
	v_mul_f32_e32 v195, v180, v171
	s_waitcnt vmcnt(51)
	v_mul_f32_e32 v171, v181, v172
	v_mul_f32_e32 v196, v182, v172
	buffer_load_dword v172, off, s[0:3], 0 offset:36
	s_waitcnt vmcnt(49)
	v_fmac_f32_e32 v174, v180, v6
	v_fma_f32 v195, v179, v6, -v195
	v_fmac_f32_e32 v171, v182, v5
	v_fma_f32 v196, v181, v5, -v196
	ds_read2_b64 v[179:182], v1 offset0:75 offset1:76
	s_waitcnt vmcnt(48) lgkmcnt(3)
	v_mul_f32_e32 v197, v183, v4
	v_mul_f32_e32 v4, v184, v4
	s_waitcnt vmcnt(47)
	v_mul_f32_e32 v198, v185, v3
	v_mul_f32_e32 v3, v186, v3
	s_waitcnt vmcnt(46) lgkmcnt(2)
	v_mul_f32_e32 v199, v187, v8
	v_fmac_f32_e32 v197, v184, v2
	v_fma_f32 v201, v183, v2, -v4
	s_waitcnt vmcnt(41)
	v_fmac_f32_e32 v198, v186, v137
	v_fma_f32 v137, v185, v137, -v3
	ds_read2_b64 v[2:5], v1 offset0:77 offset1:78
	ds_read2_b64 v[183:186], v1 offset0:79 offset1:80
	v_mul_f32_e32 v6, v188, v8
	v_mul_f32_e32 v200, v189, v7
	;; [unrolled: 1-line block ×3, first 2 shown]
	v_fmac_f32_e32 v199, v188, v136
	v_fma_f32 v136, v187, v136, -v6
	v_fmac_f32_e32 v200, v190, v11
	v_fma_f32 v11, v189, v11, -v7
	s_waitcnt vmcnt(40) lgkmcnt(3)
	v_mul_f32_e32 v187, v191, v12
	v_mul_f32_e32 v6, v192, v12
	s_waitcnt vmcnt(39)
	v_mul_f32_e32 v12, v193, v10
	v_mul_f32_e32 v7, v194, v10
	s_waitcnt vmcnt(34) lgkmcnt(2)
	v_mul_f32_e32 v189, v179, v168
	v_fmac_f32_e32 v187, v192, v9
	v_fma_f32 v188, v191, v9, -v6
	v_fmac_f32_e32 v12, v194, v169
	v_fma_f32 v169, v193, v169, -v7
	ds_read2_b64 v[6:9], v1 offset0:81 offset1:82
	v_mul_f32_e32 v168, v180, v168
	s_waitcnt vmcnt(33)
	v_mul_f32_e32 v190, v181, v167
	v_mul_f32_e32 v167, v182, v167
	s_waitcnt vmcnt(32) lgkmcnt(2)
	v_mul_f32_e32 v191, v2, v166
	v_mul_f32_e32 v166, v3, v166
	v_fmac_f32_e32 v189, v180, v161
	v_fma_f32 v168, v179, v161, -v168
	s_waitcnt vmcnt(31)
	v_mul_f32_e32 v179, v4, v165
	v_mul_f32_e32 v161, v5, v165
	v_fmac_f32_e32 v190, v182, v157
	v_fma_f32 v157, v181, v157, -v167
	s_waitcnt vmcnt(30) lgkmcnt(1)
	v_mul_f32_e32 v165, v183, v162
	v_mul_f32_e32 v167, v184, v162
	s_waitcnt vmcnt(29)
	v_mul_f32_e32 v180, v185, v163
	v_mul_f32_e32 v181, v186, v163
	buffer_load_dword v10, off, s[0:3], 0 offset:252
	v_fmac_f32_e32 v191, v3, v147
	v_fma_f32 v147, v2, v147, -v166
	s_waitcnt vmcnt(26)
	v_fmac_f32_e32 v179, v5, v164
	v_fma_f32 v166, v4, v164, -v161
	ds_read2_b64 v[2:5], v1 offset0:83 offset1:84
	ds_read2_b64 v[161:164], v1 offset0:85 offset1:86
	v_fmac_f32_e32 v165, v184, v160
	v_fma_f32 v160, v183, v160, -v167
	v_fmac_f32_e32 v180, v186, v158
	v_fma_f32 v158, v185, v158, -v181
	s_clause 0x4
	buffer_load_dword v167, off, s[0:3], 0 offset:260
	buffer_load_dword v181, off, s[0:3], 0 offset:280
	buffer_load_dword v182, off, s[0:3], 0 offset:272
	buffer_load_dword v183, off, s[0:3], 0 offset:264
	buffer_load_dword v184, off, s[0:3], 0 offset:256
	s_waitcnt vmcnt(30) lgkmcnt(2)
	v_mul_f32_e32 v185, v6, v153
	v_mul_f32_e32 v153, v7, v153
	s_waitcnt vmcnt(29)
	v_mul_f32_e32 v186, v8, v151
	v_mul_f32_e32 v151, v9, v151
	v_fmac_f32_e32 v185, v7, v143
	v_fma_f32 v143, v6, v143, -v153
	s_waitcnt vmcnt(25)
	v_fmac_f32_e32 v186, v9, v159
	v_fma_f32 v151, v8, v159, -v151
	ds_read2_b64 v[6:9], v1 offset0:87 offset1:88
	s_waitcnt vmcnt(24) lgkmcnt(2)
	v_mul_f32_e32 v153, v2, v156
	v_mul_f32_e32 v156, v3, v156
	s_waitcnt vmcnt(23)
	v_mul_f32_e32 v159, v4, v155
	v_mul_f32_e32 v155, v5, v155
	v_fmac_f32_e32 v153, v3, v148
	v_fma_f32 v148, v2, v148, -v156
	s_waitcnt vmcnt(22) lgkmcnt(1)
	v_mul_f32_e32 v156, v161, v152
	v_mul_f32_e32 v2, v162, v152
	v_fmac_f32_e32 v159, v5, v144
	v_fma_f32 v144, v4, v144, -v155
	s_waitcnt vmcnt(21)
	v_mul_f32_e32 v152, v163, v146
	v_mul_f32_e32 v3, v164, v146
	s_clause 0x1
	buffer_load_dword v146, off, s[0:3], 0 offset:268
	buffer_load_dword v155, off, s[0:3], 0 offset:276
	v_fmac_f32_e32 v156, v162, v139
	v_fma_f32 v139, v161, v139, -v2
	s_waitcnt vmcnt(19)
	v_fmac_f32_e32 v152, v164, v154
	v_fma_f32 v154, v163, v154, -v3
	ds_read2_b64 v[2:5], v1 offset0:89 offset1:90
	s_waitcnt vmcnt(18) lgkmcnt(1)
	v_mul_f32_e32 v161, v6, v150
	v_mul_f32_e32 v150, v7, v150
	s_waitcnt vmcnt(17)
	v_mul_f32_e32 v162, v8, v149
	v_mul_f32_e32 v149, v9, v149
	v_fmac_f32_e32 v161, v7, v145
	v_fma_f32 v145, v6, v145, -v150
	v_fmac_f32_e32 v162, v9, v140
	v_fma_f32 v140, v8, v140, -v149
	ds_read2_b64 v[6:9], v1 offset0:91 offset1:92
	buffer_load_dword v149, off, s[0:3], 0 offset:284
	s_waitcnt vmcnt(16) lgkmcnt(1)
	v_mul_f32_e32 v163, v4, v141
	v_mul_f32_e32 v141, v5, v141
	;; [unrolled: 1-line block ×4, first 2 shown]
	s_waitcnt vmcnt(12)
	v_fmac_f32_e32 v163, v5, v178
	v_fma_f32 v141, v4, v178, -v141
	buffer_load_dword v178, off, s[0:3], 0 offset:292
	v_fmac_f32_e32 v150, v3, v138
	v_fma_f32 v138, v2, v138, -v142
	s_waitcnt vmcnt(12) lgkmcnt(0)
	v_mul_f32_e32 v142, v6, v177
	v_mul_f32_e32 v164, v7, v177
	s_waitcnt vmcnt(11)
	v_mul_f32_e32 v177, v8, v176
	v_mul_f32_e32 v176, v9, v176
	ds_read2_b64 v[2:5], v1 offset0:93 offset1:94
	v_fmac_f32_e32 v142, v7, v175
	v_fma_f32 v164, v6, v175, -v164
	v_fmac_f32_e32 v177, v9, v173
	v_fma_f32 v173, v8, v173, -v176
	s_clause 0x4
	buffer_load_dword v175, off, s[0:3], 0 offset:312
	buffer_load_dword v176, off, s[0:3], 0 offset:304
	;; [unrolled: 1-line block ×5, first 2 shown]
	v_add_f32_e32 v6, 0, v195
	v_add_f32_e32 v7, 0, v174
	buffer_load_dword v195, off, s[0:3], 0 offset:308
	v_add_f32_e32 v6, v6, v196
	v_add_f32_e32 v7, v7, v171
	s_clause 0x1
	buffer_load_dword v171, off, s[0:3], 0 offset:316
	buffer_load_dword v174, off, s[0:3], 0 offset:324
	v_add_f32_e32 v6, v6, v201
	v_add_f32_e32 v7, v7, v197
	;; [unrolled: 1-line block ×4, first 2 shown]
	s_clause 0x3
	buffer_load_dword v196, off, s[0:3], 0 offset:344
	buffer_load_dword v197, off, s[0:3], 0 offset:336
	;; [unrolled: 1-line block ×4, first 2 shown]
	v_add_f32_e32 v6, v6, v136
	v_add_f32_e32 v7, v7, v199
	;; [unrolled: 1-line block ×4, first 2 shown]
	s_clause 0x3
	buffer_load_dword v11, off, s[0:3], 0 offset:332
	buffer_load_dword v199, off, s[0:3], 0 offset:340
	;; [unrolled: 1-line block ×4, first 2 shown]
	v_add_f32_e32 v6, v6, v188
	v_add_f32_e32 v7, v7, v187
	;; [unrolled: 1-line block ×14, first 2 shown]
	s_waitcnt vmcnt(25) lgkmcnt(0)
	v_mul_f32_e32 v136, v2, v10
	v_mul_f32_e32 v8, v3, v10
	v_fmac_f32_e32 v136, v3, v170
	s_waitcnt vmcnt(24)
	v_mul_f32_e32 v10, v4, v167
	v_mul_f32_e32 v9, v5, v167
	v_fma_f32 v137, v2, v170, -v8
	s_waitcnt vmcnt(20)
	v_fmac_f32_e32 v10, v5, v184
	v_fma_f32 v12, v4, v184, -v9
	ds_read2_b64 v[2:5], v1 offset0:95 offset1:96
	s_clause 0x6
	buffer_load_dword v167, off, s[0:3], 0 offset:376
	buffer_load_dword v168, off, s[0:3], 0 offset:368
	;; [unrolled: 1-line block ×7, first 2 shown]
	ds_read2_b64 v[6:9], v1 offset0:97 offset1:98
	s_waitcnt vmcnt(26) lgkmcnt(1)
	v_mul_f32_e32 v179, v2, v146
	v_mul_f32_e32 v146, v3, v146
	s_waitcnt vmcnt(25)
	v_mul_f32_e32 v166, v4, v155
	v_mul_f32_e32 v155, v5, v155
	v_fmac_f32_e32 v179, v3, v183
	v_add_f32_e32 v3, v147, v180
	v_fma_f32 v146, v2, v183, -v146
	v_add_f32_e32 v2, v160, v158
	v_fma_f32 v147, v4, v182, -v155
	s_clause 0x3
	buffer_load_dword v158, off, s[0:3], 0 offset:388
	buffer_load_dword v160, off, s[0:3], 0 offset:396
	;; [unrolled: 1-line block ×4, first 2 shown]
	v_add_f32_e32 v3, v3, v185
	v_fmac_f32_e32 v166, v5, v182
	v_add_f32_e32 v2, v2, v143
	s_clause 0x3
	buffer_load_dword v182, off, s[0:3], 0 offset:420
	buffer_load_dword v183, off, s[0:3], 0 offset:428
	;; [unrolled: 1-line block ×4, first 2 shown]
	v_add_f32_e32 v3, v3, v186
	s_waitcnt vmcnt(32) lgkmcnt(0)
	v_mul_f32_e32 v4, v7, v149
	v_add_f32_e32 v2, v2, v151
	v_mul_f32_e32 v151, v6, v149
	s_clause 0x3
	buffer_load_dword v186, off, s[0:3], 0 offset:452
	buffer_load_dword v189, off, s[0:3], 0 offset:460
	;; [unrolled: 1-line block ×4, first 2 shown]
	v_add_f32_e32 v3, v3, v153
	buffer_load_dword v203, off, s[0:3], 0 offset:484
	v_add_f32_e32 v2, v2, v148
	v_fmac_f32_e32 v151, v7, v181
	v_fma_f32 v148, v6, v181, -v4
	v_add_f32_e32 v6, v3, v159
	s_clause 0x3
	buffer_load_dword v159, off, s[0:3], 0 offset:408
	buffer_load_dword v181, off, s[0:3], 0 offset:400
	buffer_load_dword v204, off, s[0:3], 0 offset:392
	buffer_load_dword v205, off, s[0:3], 0 offset:384
	v_add_f32_e32 v2, v2, v144
	v_add_f32_e32 v6, v6, v156
	;; [unrolled: 1-line block ×3, first 2 shown]
	s_waitcnt vmcnt(40)
	v_mul_f32_e32 v2, v9, v178
	v_mul_f32_e32 v144, v8, v178
	v_add_f32_e32 v6, v6, v152
	v_add_f32_e32 v7, v7, v154
	;; [unrolled: 1-line block ×4, first 2 shown]
	s_waitcnt vmcnt(36)
	v_fma_f32 v149, v8, v193, -v2
	ds_read2_b64 v[2:5], v1 offset0:99 offset1:100
	v_fmac_f32_e32 v144, v9, v193
	s_clause 0x3
	buffer_load_dword v156, off, s[0:3], 0 offset:440
	buffer_load_dword v178, off, s[0:3], 0 offset:432
	;; [unrolled: 1-line block ×4, first 2 shown]
	v_add_f32_e32 v139, v7, v140
	v_add_f32_e32 v140, v6, v162
	ds_read2_b64 v[6:9], v1 offset0:101 offset1:102
	v_add_f32_e32 v138, v139, v138
	v_add_f32_e32 v140, v140, v150
	s_waitcnt vmcnt(39) lgkmcnt(1)
	v_mul_f32_e32 v152, v2, v194
	v_mul_f32_e32 v139, v3, v194
	s_waitcnt vmcnt(38)
	v_mul_f32_e32 v153, v4, v195
	v_fmac_f32_e32 v152, v3, v192
	v_fma_f32 v150, v2, v192, -v139
	v_add_f32_e32 v3, v140, v163
	s_clause 0x3
	buffer_load_dword v161, off, s[0:3], 0 offset:472
	buffer_load_dword v162, off, s[0:3], 0 offset:464
	;; [unrolled: 1-line block ×4, first 2 shown]
	v_add_f32_e32 v2, v138, v141
	buffer_load_dword v194, off, s[0:3], 0 offset:32
	v_mul_f32_e32 v138, v5, v195
	v_add_f32_e32 v3, v3, v142
	v_fmac_f32_e32 v153, v5, v176
	v_add_f32_e32 v2, v2, v164
	buffer_load_dword v164, off, s[0:3], 0 offset:480
	v_fma_f32 v154, v4, v176, -v138
	v_add_f32_e32 v139, v3, v177
	s_waitcnt vmcnt(43) lgkmcnt(0)
	v_mul_f32_e32 v155, v6, v171
	v_add_f32_e32 v2, v2, v173
	v_add_f32_e32 v141, v139, v136
	v_fmac_f32_e32 v155, v7, v175
	v_add_f32_e32 v140, v2, v137
	ds_read2_b64 v[2:5], v1 offset0:103 offset1:104
	ds_read2_b64 v[136:139], v1 offset0:105 offset1:106
	v_add_f32_e32 v10, v141, v10
	s_waitcnt vmcnt(42)
	v_mul_f32_e32 v141, v9, v174
	v_add_f32_e32 v12, v140, v12
	v_mul_f32_e32 v140, v7, v171
	v_mul_f32_e32 v171, v8, v174
	v_add_f32_e32 v10, v10, v179
	s_waitcnt vmcnt(38)
	v_fma_f32 v174, v8, v201, -v141
	v_add_f32_e32 v12, v12, v146
	v_fma_f32 v173, v6, v175, -v140
	v_fmac_f32_e32 v171, v9, v201
	ds_read2_b64 v[6:9], v1 offset0:107 offset1:108
	ds_read2_b64 v[140:143], v1 offset0:109 offset1:110
	v_add_f32_e32 v10, v10, v166
	v_add_f32_e32 v12, v12, v147
	;; [unrolled: 1-line block ×4, first 2 shown]
	s_waitcnt vmcnt(36) lgkmcnt(3)
	v_mul_f32_e32 v166, v4, v199
	s_waitcnt vmcnt(35) lgkmcnt(2)
	v_mul_f32_e32 v176, v136, v202
	v_mul_f32_e32 v148, v137, v202
	v_add_f32_e32 v10, v10, v144
	v_add_f32_e32 v12, v12, v149
	v_mul_f32_e32 v145, v5, v199
	v_fmac_f32_e32 v176, v137, v196
	v_fma_f32 v195, v136, v196, -v148
	v_add_f32_e32 v10, v10, v152
	v_add_f32_e32 v12, v12, v150
	v_mul_f32_e32 v175, v2, v11
	v_mul_f32_e32 v11, v3, v11
	v_fmac_f32_e32 v166, v5, v197
	v_add_f32_e32 v10, v10, v153
	v_add_f32_e32 v12, v12, v154
	v_fma_f32 v179, v4, v197, -v145
	v_fma_f32 v11, v2, v198, -v11
	v_fmac_f32_e32 v175, v3, v198
	v_add_f32_e32 v10, v10, v155
	s_waitcnt vmcnt(34)
	v_mul_f32_e32 v177, v138, v200
	v_mul_f32_e32 v149, v139, v200
	ds_read2_b64 v[2:5], v1 offset0:111 offset1:112
	ds_read2_b64 v[144:147], v1 offset0:113 offset1:114
	v_add_f32_e32 v10, v10, v171
	v_add_f32_e32 v10, v10, v175
	;; [unrolled: 1-line block ×4, first 2 shown]
	s_waitcnt vmcnt(29) lgkmcnt(3)
	v_mul_f32_e32 v196, v6, v157
	s_waitcnt vmcnt(28)
	v_mul_f32_e32 v197, v8, v184
	v_mul_f32_e32 v152, v7, v157
	;; [unrolled: 1-line block ×3, first 2 shown]
	v_fmac_f32_e32 v177, v139, v170
	v_fmac_f32_e32 v196, v7, v169
	v_add_f32_e32 v7, v12, v173
	v_fmac_f32_e32 v197, v9, v168
	v_fma_f32 v157, v8, v168, -v153
	v_fma_f32 v170, v138, v170, -v149
	;; [unrolled: 1-line block ×3, first 2 shown]
	v_add_f32_e32 v168, v7, v174
	v_add_f32_e32 v10, v10, v177
	ds_read2_b64 v[136:139], v1 offset0:115 offset1:116
	ds_read2_b64 v[148:151], v1 offset0:117 offset1:118
	;; [unrolled: 1-line block ×4, first 2 shown]
	s_waitcnt vmcnt(27) lgkmcnt(6)
	v_mul_f32_e32 v1, v140, v187
	v_add_f32_e32 v11, v168, v11
	v_mul_f32_e32 v168, v141, v187
	v_add_f32_e32 v10, v10, v196
	v_fmac_f32_e32 v1, v141, v167
	v_add_f32_e32 v11, v11, v179
	v_fma_f32 v140, v140, v167, -v168
	v_add_f32_e32 v10, v10, v197
	v_add_f32_e32 v11, v11, v195
	;; [unrolled: 1-line block ×3, first 2 shown]
	s_waitcnt vmcnt(26)
	v_mul_f32_e32 v169, v142, v158
	v_add_f32_e32 v11, v11, v170
	v_mul_f32_e32 v158, v143, v158
	s_waitcnt vmcnt(25) lgkmcnt(5)
	v_mul_f32_e32 v171, v2, v160
	s_waitcnt vmcnt(24)
	v_mul_f32_e32 v10, v5, v165
	v_mul_f32_e32 v166, v4, v165
	v_add_f32_e32 v11, v11, v12
	s_waitcnt vmcnt(23) lgkmcnt(4)
	v_mul_f32_e32 v173, v144, v180
	s_waitcnt vmcnt(22)
	v_mul_f32_e32 v174, v146, v182
	s_waitcnt vmcnt(21) lgkmcnt(3)
	v_mul_f32_e32 v175, v136, v183
	s_waitcnt vmcnt(20)
	v_mul_f32_e32 v176, v138, v185
	v_add_f32_e32 v11, v11, v157
	v_mul_f32_e32 v157, v3, v160
	s_waitcnt vmcnt(19) lgkmcnt(2)
	v_mul_f32_e32 v170, v148, v188
	s_waitcnt vmcnt(18)
	v_mul_f32_e32 v177, v150, v186
	s_waitcnt vmcnt(17) lgkmcnt(1)
	v_mul_f32_e32 v179, v6, v189
	v_add_f32_e32 v11, v11, v140
	s_waitcnt vmcnt(13)
	v_fmac_f32_e32 v173, v145, v159
	s_waitcnt vmcnt(12)
	v_fma_f32 v4, v4, v181, -v10
	s_waitcnt vmcnt(11)
	v_fmac_f32_e32 v171, v3, v204
	s_waitcnt vmcnt(10)
	v_fma_f32 v142, v142, v205, -v158
	v_fmac_f32_e32 v169, v143, v205
	v_fma_f32 v2, v2, v204, -v157
	v_fmac_f32_e32 v166, v5, v181
	v_mul_f32_e32 v12, v8, v190
	v_add_f32_e32 v3, v11, v142
	v_add_f32_e32 v1, v1, v169
	v_mul_f32_e32 v11, v145, v180
	s_waitcnt lgkmcnt(0)
	v_mul_f32_e32 v184, v152, v191
	v_mul_f32_e32 v141, v154, v203
	v_add_f32_e32 v2, v3, v2
	v_add_f32_e32 v1, v1, v171
	v_mul_f32_e32 v3, v147, v182
	v_fma_f32 v5, v144, v159, -v11
	v_add_f32_e32 v2, v2, v4
	v_add_f32_e32 v1, v1, v166
	v_mul_f32_e32 v4, v137, v183
	s_waitcnt vmcnt(8)
	v_fmac_f32_e32 v176, v139, v178
	s_waitcnt vmcnt(7)
	v_fmac_f32_e32 v175, v137, v193
	s_waitcnt vmcnt(6)
	v_fma_f32 v3, v146, v206, -v3
	v_add_f32_e32 v2, v2, v5
	v_fmac_f32_e32 v174, v147, v206
	v_add_f32_e32 v1, v1, v173
	v_mul_f32_e32 v5, v139, v185
	v_fma_f32 v4, v136, v193, -v4
	v_add_f32_e32 v2, v2, v3
	v_mul_f32_e32 v3, v149, v188
	v_add_f32_e32 v1, v1, v174
	v_fma_f32 v5, v138, v178, -v5
	v_fmac_f32_e32 v170, v149, v156
	v_add_f32_e32 v2, v2, v4
	v_mul_f32_e32 v4, v151, v186
	v_add_f32_e32 v1, v1, v175
	v_fma_f32 v3, v148, v156, -v3
	v_add_f32_e32 v2, v2, v5
	v_mul_f32_e32 v5, v7, v189
	v_add_f32_e32 v1, v1, v176
	v_add_f32_e32 v2, v2, v3
	v_mul_f32_e32 v3, v9, v190
	v_add_f32_e32 v1, v1, v170
	s_waitcnt vmcnt(4)
	v_fmac_f32_e32 v12, v9, v162
	s_waitcnt vmcnt(3)
	v_fma_f32 v5, v6, v163, -v5
	s_waitcnt vmcnt(2)
	v_fma_f32 v4, v150, v192, -v4
	v_fmac_f32_e32 v177, v151, v192
	v_fmac_f32_e32 v179, v7, v163
	v_fma_f32 v3, v8, v162, -v3
	v_fmac_f32_e32 v184, v153, v161
	v_add_f32_e32 v2, v2, v4
	v_add_f32_e32 v1, v1, v177
	v_mul_f32_e32 v4, v153, v191
	s_waitcnt vmcnt(0)
	v_fmac_f32_e32 v141, v155, v164
	v_add_f32_e32 v2, v2, v5
	v_add_f32_e32 v1, v1, v179
	v_mul_f32_e32 v5, v155, v203
	v_fma_f32 v4, v152, v161, -v4
	v_add_f32_e32 v2, v2, v3
	v_add_f32_e32 v1, v1, v12
	v_fma_f32 v3, v154, v164, -v5
	v_add_f32_e32 v2, v2, v4
	v_add_f32_e32 v1, v1, v184
	;; [unrolled: 1-line block ×4, first 2 shown]
	v_sub_f32_e32 v2, v194, v2
	v_sub_f32_e32 v1, v172, v1
	buffer_store_dword v2, off, s[0:3], 0 offset:32
	buffer_store_dword v1, off, s[0:3], 0 offset:36
	v_cmpx_lt_u32_e32 3, v0
	s_cbranch_execz .LBB124_373
; %bb.372:
	s_clause 0x1
	buffer_load_dword v1, off, s[0:3], 0 offset:24
	buffer_load_dword v2, off, s[0:3], 0 offset:28
	v_mov_b32_e32 v3, 0
	buffer_store_dword v3, off, s[0:3], 0 offset:24
	buffer_store_dword v3, off, s[0:3], 0 offset:28
	s_waitcnt vmcnt(0)
	ds_write_b64 v135, v[1:2]
.LBB124_373:
	s_or_b32 exec_lo, exec_lo, s4
	s_waitcnt lgkmcnt(0)
	s_waitcnt_vscnt null, 0x0
	s_barrier
	buffer_gl0_inv
	s_clause 0x34
	buffer_load_dword v2, off, s[0:3], 0 offset:36
	buffer_load_dword v3, off, s[0:3], 0 offset:44
	;; [unrolled: 1-line block ×53, first 2 shown]
	v_mov_b32_e32 v1, 0
	ds_read_b128 v[179:182], v1 offset:528
	ds_read_b128 v[183:186], v1 offset:544
	;; [unrolled: 1-line block ×4, first 2 shown]
	buffer_load_dword v178, off, s[0:3], 0 offset:28
	s_mov_b32 s4, exec_lo
	s_waitcnt vmcnt(53) lgkmcnt(3)
	v_mul_f32_e32 v195, v179, v2
	v_mul_f32_e32 v2, v180, v2
	s_waitcnt vmcnt(52)
	v_mul_f32_e32 v196, v181, v3
	v_mul_f32_e32 v3, v182, v3
	s_waitcnt vmcnt(49)
	v_fmac_f32_e32 v195, v180, v8
	v_fma_f32 v197, v179, v8, -v2
	v_fmac_f32_e32 v196, v182, v7
	v_fma_f32 v198, v181, v7, -v3
	ds_read_b128 v[179:182], v1 offset:592
	s_waitcnt vmcnt(48) lgkmcnt(3)
	v_mul_f32_e32 v199, v183, v6
	v_mul_f32_e32 v2, v184, v6
	s_waitcnt vmcnt(47)
	v_mul_f32_e32 v3, v186, v5
	v_mul_f32_e32 v200, v185, v5
	s_waitcnt vmcnt(46) lgkmcnt(2)
	v_mul_f32_e32 v6, v188, v10
	s_waitcnt vmcnt(45)
	v_mul_f32_e32 v7, v190, v9
	v_fmac_f32_e32 v199, v184, v4
	v_fma_f32 v183, v183, v4, -v2
	s_waitcnt vmcnt(41)
	v_fma_f32 v184, v185, v139, -v3
	ds_read_b128 v[2:5], v1 offset:608
	v_mul_f32_e32 v201, v187, v10
	v_mul_f32_e32 v10, v189, v9
	v_fmac_f32_e32 v200, v186, v139
	v_fma_f32 v185, v187, v138, -v6
	v_fma_f32 v186, v189, v136, -v7
	ds_read_b128 v[6:9], v1 offset:624
	v_fmac_f32_e32 v10, v190, v136
	s_waitcnt vmcnt(40) lgkmcnt(3)
	v_mul_f32_e32 v187, v191, v137
	v_mul_f32_e32 v136, v192, v137
	v_fmac_f32_e32 v201, v188, v138
	s_waitcnt vmcnt(39)
	v_mul_f32_e32 v188, v193, v12
	v_mul_f32_e32 v12, v194, v12
	v_fmac_f32_e32 v187, v192, v11
	v_fma_f32 v11, v191, v11, -v136
	ds_read_b128 v[136:139], v1 offset:640
	s_waitcnt vmcnt(35)
	v_fmac_f32_e32 v188, v194, v171
	v_fma_f32 v12, v193, v171, -v12
	s_waitcnt vmcnt(34) lgkmcnt(3)
	v_mul_f32_e32 v171, v179, v170
	v_mul_f32_e32 v170, v180, v170
	s_waitcnt vmcnt(33)
	v_mul_f32_e32 v190, v181, v169
	v_mul_f32_e32 v169, v182, v169
	s_waitcnt vmcnt(32) lgkmcnt(2)
	v_mul_f32_e32 v191, v2, v168
	v_mul_f32_e32 v168, v3, v168
	v_fmac_f32_e32 v171, v180, v163
	v_fma_f32 v170, v179, v163, -v170
	s_waitcnt vmcnt(31)
	v_mul_f32_e32 v179, v4, v167
	v_mul_f32_e32 v163, v5, v167
	v_fmac_f32_e32 v190, v182, v159
	v_fma_f32 v159, v181, v159, -v169
	s_waitcnt vmcnt(30) lgkmcnt(1)
	v_mul_f32_e32 v167, v6, v164
	v_mul_f32_e32 v169, v7, v164
	s_waitcnt vmcnt(29)
	v_mul_f32_e32 v180, v8, v165
	v_mul_f32_e32 v181, v9, v165
	buffer_load_dword v189, off, s[0:3], 0 offset:244
	v_fmac_f32_e32 v191, v3, v149
	v_fma_f32 v149, v2, v149, -v168
	s_waitcnt vmcnt(26)
	v_fmac_f32_e32 v179, v5, v166
	v_fma_f32 v168, v4, v166, -v163
	ds_read_b128 v[2:5], v1 offset:656
	ds_read_b128 v[163:166], v1 offset:672
	v_fmac_f32_e32 v167, v7, v162
	v_fma_f32 v162, v6, v162, -v169
	v_fmac_f32_e32 v180, v9, v160
	v_fma_f32 v160, v8, v160, -v181
	s_clause 0x4
	buffer_load_dword v169, off, s[0:3], 0 offset:252
	buffer_load_dword v181, off, s[0:3], 0 offset:272
	;; [unrolled: 1-line block ×5, first 2 shown]
	s_waitcnt vmcnt(30) lgkmcnt(2)
	v_mul_f32_e32 v194, v136, v155
	v_mul_f32_e32 v6, v137, v155
	s_waitcnt vmcnt(29)
	v_mul_f32_e32 v7, v139, v153
	v_mul_f32_e32 v155, v138, v153
	v_fmac_f32_e32 v194, v137, v145
	v_fma_f32 v136, v136, v145, -v6
	s_waitcnt vmcnt(25)
	v_fma_f32 v137, v138, v161, -v7
	ds_read_b128 v[6:9], v1 offset:688
	v_fmac_f32_e32 v155, v139, v161
	s_waitcnt vmcnt(24) lgkmcnt(2)
	v_mul_f32_e32 v138, v2, v158
	v_mul_f32_e32 v139, v3, v158
	s_waitcnt vmcnt(23)
	v_mul_f32_e32 v145, v4, v157
	v_mul_f32_e32 v153, v5, v157
	v_fmac_f32_e32 v138, v3, v150
	v_fma_f32 v139, v2, v150, -v139
	s_waitcnt vmcnt(22) lgkmcnt(1)
	v_mul_f32_e32 v150, v163, v154
	v_mul_f32_e32 v2, v164, v154
	v_fmac_f32_e32 v145, v5, v146
	v_fma_f32 v146, v4, v146, -v153
	s_waitcnt vmcnt(21)
	v_mul_f32_e32 v153, v165, v148
	v_mul_f32_e32 v3, v166, v148
	s_clause 0x1
	buffer_load_dword v148, off, s[0:3], 0 offset:260
	buffer_load_dword v154, off, s[0:3], 0 offset:268
	v_fmac_f32_e32 v150, v164, v141
	v_fma_f32 v141, v163, v141, -v2
	s_waitcnt vmcnt(19)
	v_fmac_f32_e32 v153, v166, v156
	v_fma_f32 v156, v165, v156, -v3
	ds_read_b128 v[2:5], v1 offset:704
	s_waitcnt vmcnt(18) lgkmcnt(1)
	v_mul_f32_e32 v157, v6, v152
	v_mul_f32_e32 v152, v7, v152
	s_waitcnt vmcnt(17)
	v_mul_f32_e32 v158, v8, v151
	v_mul_f32_e32 v151, v9, v151
	buffer_load_dword v166, off, s[0:3], 0 offset:284
	v_fmac_f32_e32 v157, v7, v147
	v_fma_f32 v147, v6, v147, -v152
	v_fmac_f32_e32 v158, v9, v142
	v_fma_f32 v142, v8, v142, -v151
	ds_read_b128 v[6:9], v1 offset:720
	buffer_load_dword v151, off, s[0:3], 0 offset:276
	s_waitcnt vmcnt(18) lgkmcnt(1)
	v_mul_f32_e32 v152, v2, v144
	v_mul_f32_e32 v144, v3, v144
	s_waitcnt vmcnt(17)
	v_mul_f32_e32 v161, v4, v143
	v_mul_f32_e32 v143, v5, v143
	v_fmac_f32_e32 v152, v3, v140
	v_fma_f32 v140, v2, v140, -v144
	s_waitcnt vmcnt(13)
	v_fmac_f32_e32 v161, v5, v177
	v_fma_f32 v143, v4, v177, -v143
	ds_read_b128 v[2:5], v1 offset:736
	s_waitcnt vmcnt(12) lgkmcnt(1)
	v_mul_f32_e32 v144, v6, v176
	v_mul_f32_e32 v163, v7, v176
	s_waitcnt vmcnt(11)
	v_mul_f32_e32 v164, v8, v175
	v_mul_f32_e32 v165, v9, v175
	v_fmac_f32_e32 v144, v7, v174
	v_fma_f32 v163, v6, v174, -v163
	v_fmac_f32_e32 v164, v9, v173
	v_fma_f32 v165, v8, v173, -v165
	s_clause 0x4
	buffer_load_dword v173, off, s[0:3], 0 offset:304
	buffer_load_dword v174, off, s[0:3], 0 offset:296
	;; [unrolled: 1-line block ×5, first 2 shown]
	v_add_f32_e32 v6, 0, v195
	v_add_f32_e32 v7, 0, v197
	buffer_load_dword v195, off, s[0:3], 0 offset:300
	v_add_f32_e32 v6, v6, v196
	v_add_f32_e32 v7, v7, v198
	;; [unrolled: 1-line block ×4, first 2 shown]
	s_clause 0x1
	buffer_load_dword v183, off, s[0:3], 0 offset:308
	buffer_load_dword v196, off, s[0:3], 0 offset:316
	v_add_f32_e32 v6, v6, v200
	v_add_f32_e32 v7, v7, v184
	s_clause 0x3
	buffer_load_dword v184, off, s[0:3], 0 offset:336
	buffer_load_dword v197, off, s[0:3], 0 offset:328
	;; [unrolled: 1-line block ×4, first 2 shown]
	v_add_f32_e32 v6, v6, v201
	v_add_f32_e32 v7, v7, v185
	;; [unrolled: 1-line block ×4, first 2 shown]
	s_clause 0x3
	buffer_load_dword v10, off, s[0:3], 0 offset:324
	buffer_load_dword v185, off, s[0:3], 0 offset:332
	buffer_load_dword v200, off, s[0:3], 0 offset:340
	buffer_load_dword v186, off, s[0:3], 0 offset:348
	v_add_f32_e32 v6, v6, v187
	v_add_f32_e32 v7, v7, v11
	v_add_f32_e32 v6, v6, v188
	v_add_f32_e32 v7, v7, v12
	v_add_f32_e32 v6, v6, v171
	v_add_f32_e32 v7, v7, v170
	v_add_f32_e32 v6, v6, v190
	v_add_f32_e32 v7, v7, v159
	v_add_f32_e32 v7, v7, v149
	v_add_f32_e32 v149, v6, v191
	v_add_f32_e32 v168, v7, v168
	v_add_f32_e32 v149, v149, v179
	v_add_f32_e32 v162, v168, v162
	s_waitcnt vmcnt(25) lgkmcnt(0)
	v_mul_f32_e32 v187, v2, v189
	v_mul_f32_e32 v8, v3, v189
	v_fmac_f32_e32 v187, v3, v172
	s_waitcnt vmcnt(24)
	v_mul_f32_e32 v11, v4, v169
	v_mul_f32_e32 v9, v5, v169
	v_fma_f32 v169, v2, v172, -v8
	s_waitcnt vmcnt(20)
	v_fmac_f32_e32 v11, v5, v193
	v_fma_f32 v12, v4, v193, -v9
	ds_read_b128 v[2:5], v1 offset:752
	s_clause 0x6
	buffer_load_dword v170, off, s[0:3], 0 offset:368
	buffer_load_dword v171, off, s[0:3], 0 offset:360
	;; [unrolled: 1-line block ×7, first 2 shown]
	ds_read_b128 v[6:9], v1 offset:768
	s_waitcnt vmcnt(26) lgkmcnt(1)
	v_mul_f32_e32 v179, v2, v148
	v_mul_f32_e32 v148, v3, v148
	s_waitcnt vmcnt(25)
	v_mul_f32_e32 v168, v4, v154
	v_mul_f32_e32 v154, v5, v154
	v_fmac_f32_e32 v179, v3, v192
	v_add_f32_e32 v3, v149, v167
	v_add_f32_e32 v149, v162, v160
	v_fma_f32 v148, v2, v192, -v148
	v_fmac_f32_e32 v168, v5, v182
	v_fma_f32 v154, v4, v182, -v154
	v_add_f32_e32 v2, v3, v180
	v_add_f32_e32 v3, v149, v136
	s_clause 0x7
	buffer_load_dword v160, off, s[0:3], 0 offset:380
	buffer_load_dword v162, off, s[0:3], 0 offset:388
	;; [unrolled: 1-line block ×8, first 2 shown]
	v_add_f32_e32 v2, v2, v194
	v_add_f32_e32 v3, v3, v137
	s_waitcnt vmcnt(31) lgkmcnt(0)
	v_mul_f32_e32 v149, v6, v151
	v_mul_f32_e32 v4, v7, v151
	s_clause 0x1
	buffer_load_dword v194, off, s[0:3], 0 offset:412
	buffer_load_dword v201, off, s[0:3], 0 offset:420
	v_add_f32_e32 v2, v2, v155
	v_add_f32_e32 v3, v3, v139
	v_fmac_f32_e32 v149, v7, v181
	v_fma_f32 v151, v6, v181, -v4
	s_clause 0x1
	buffer_load_dword v202, off, s[0:3], 0 offset:428
	buffer_load_dword v203, off, s[0:3], 0 offset:436
	v_add_f32_e32 v2, v2, v138
	v_add_f32_e32 v3, v3, v146
	s_clause 0x4
	buffer_load_dword v181, off, s[0:3], 0 offset:444
	buffer_load_dword v204, off, s[0:3], 0 offset:452
	;; [unrolled: 1-line block ×5, first 2 shown]
	v_add_f32_e32 v2, v2, v145
	v_add_f32_e32 v6, v3, v141
	v_mul_f32_e32 v3, v9, v166
	v_mul_f32_e32 v145, v8, v166
	buffer_load_dword v166, off, s[0:3], 0 offset:484
	v_add_f32_e32 v7, v2, v150
	v_add_f32_e32 v6, v6, v156
	;; [unrolled: 1-line block ×4, first 2 shown]
	s_waitcnt vmcnt(37)
	v_fma_f32 v146, v8, v176, -v3
	ds_read_b128 v[2:5], v1 offset:784
	v_fmac_f32_e32 v145, v9, v176
	v_add_f32_e32 v7, v7, v157
	s_clause 0x3
	buffer_load_dword v156, off, s[0:3], 0 offset:432
	buffer_load_dword v157, off, s[0:3], 0 offset:424
	buffer_load_dword v176, off, s[0:3], 0 offset:416
	buffer_load_dword v208, off, s[0:3], 0 offset:408
	v_add_f32_e32 v6, v6, v142
	v_add_f32_e32 v136, v7, v158
	;; [unrolled: 1-line block ×3, first 2 shown]
	ds_read_b128 v[6:9], v1 offset:800
	v_add_f32_e32 v136, v136, v152
	v_add_f32_e32 v137, v137, v143
	s_waitcnt vmcnt(40) lgkmcnt(1)
	v_mul_f32_e32 v147, v2, v177
	v_mul_f32_e32 v138, v3, v177
	s_waitcnt vmcnt(39)
	v_mul_f32_e32 v152, v4, v195
	v_fmac_f32_e32 v147, v3, v175
	v_fma_f32 v150, v2, v175, -v138
	v_add_f32_e32 v2, v136, v161
	v_add_f32_e32 v3, v137, v163
	s_clause 0x3
	buffer_load_dword v158, off, s[0:3], 0 offset:464
	buffer_load_dword v161, off, s[0:3], 0 offset:456
	;; [unrolled: 1-line block ×4, first 2 shown]
	v_mul_f32_e32 v136, v5, v195
	s_waitcnt vmcnt(42) lgkmcnt(0)
	v_mul_f32_e32 v155, v6, v183
	v_add_f32_e32 v2, v2, v144
	v_add_f32_e32 v3, v3, v165
	s_clause 0x1
	buffer_load_dword v165, off, s[0:3], 0 offset:480
	buffer_load_dword v177, off, s[0:3], 0 offset:472
	v_mul_f32_e32 v140, v7, v183
	s_waitcnt vmcnt(43)
	v_mul_f32_e32 v141, v9, v196
	v_add_f32_e32 v2, v2, v164
	buffer_load_dword v164, off, s[0:3], 0 offset:24
	v_add_f32_e32 v3, v3, v169
	v_mul_f32_e32 v169, v8, v196
	v_fmac_f32_e32 v152, v5, v174
	v_add_f32_e32 v137, v2, v187
	v_fma_f32 v153, v4, v174, -v136
	v_add_f32_e32 v12, v3, v12
	ds_read_b128 v[2:5], v1 offset:816
	v_fmac_f32_e32 v155, v7, v173
	v_add_f32_e32 v11, v137, v11
	ds_read_b128 v[136:139], v1 offset:832
	v_add_f32_e32 v12, v12, v148
	v_fma_f32 v173, v6, v173, -v140
	s_waitcnt vmcnt(40)
	v_fmac_f32_e32 v169, v9, v199
	v_add_f32_e32 v11, v11, v179
	v_add_f32_e32 v12, v12, v154
	v_fma_f32 v154, v8, v199, -v141
	ds_read_b128 v[6:9], v1 offset:848
	ds_read_b128 v[140:143], v1 offset:864
	v_add_f32_e32 v11, v11, v168
	v_add_f32_e32 v12, v12, v151
	;; [unrolled: 1-line block ×4, first 2 shown]
	s_waitcnt vmcnt(39) lgkmcnt(3)
	v_mul_f32_e32 v168, v2, v10
	v_mul_f32_e32 v10, v3, v10
	v_add_f32_e32 v11, v11, v145
	s_waitcnt vmcnt(38)
	v_mul_f32_e32 v144, v5, v185
	v_add_f32_e32 v12, v12, v150
	v_mul_f32_e32 v174, v4, v185
	v_fma_f32 v10, v2, v198, -v10
	v_add_f32_e32 v11, v11, v147
	v_fmac_f32_e32 v168, v3, v198
	v_add_f32_e32 v12, v12, v153
	s_waitcnt vmcnt(37) lgkmcnt(2)
	v_mul_f32_e32 v179, v136, v200
	v_mul_f32_e32 v148, v137, v200
	v_add_f32_e32 v11, v11, v152
	v_fma_f32 v185, v4, v197, -v144
	v_add_f32_e32 v12, v12, v173
	v_fmac_f32_e32 v174, v5, v197
	s_waitcnt vmcnt(36)
	v_mul_f32_e32 v149, v139, v186
	v_add_f32_e32 v11, v11, v155
	v_fmac_f32_e32 v179, v137, v184
	v_fma_f32 v184, v136, v184, -v148
	v_mul_f32_e32 v183, v138, v186
	ds_read_b128 v[2:5], v1 offset:880
	ds_read_b128 v[144:147], v1 offset:896
	v_add_f32_e32 v11, v11, v169
	v_add_f32_e32 v168, v11, v168
	;; [unrolled: 1-line block ×4, first 2 shown]
	s_waitcnt vmcnt(31) lgkmcnt(3)
	v_mul_f32_e32 v173, v6, v159
	v_mul_f32_e32 v152, v7, v159
	v_fma_f32 v186, v138, v188, -v149
	v_fmac_f32_e32 v183, v139, v188
	s_waitcnt vmcnt(30)
	v_mul_f32_e32 v153, v9, v189
	v_fmac_f32_e32 v173, v7, v172
	v_add_f32_e32 v7, v12, v154
	v_fma_f32 v12, v6, v172, -v152
	v_mul_f32_e32 v187, v8, v189
	v_add_f32_e32 v168, v168, v183
	v_fma_f32 v159, v8, v171, -v153
	v_add_f32_e32 v169, v7, v10
	s_waitcnt vmcnt(29) lgkmcnt(2)
	v_mul_f32_e32 v174, v141, v190
	v_fmac_f32_e32 v187, v9, v171
	v_mul_f32_e32 v171, v140, v190
	v_add_f32_e32 v168, v168, v173
	v_add_f32_e32 v169, v169, v185
	v_fma_f32 v140, v140, v170, -v174
	ds_read_b128 v[136:139], v1 offset:912
	ds_read_b128 v[148:151], v1 offset:928
	v_fmac_f32_e32 v171, v141, v170
	ds_read_b128 v[6:9], v1 offset:944
	ds_read_b128 v[152:155], v1 offset:960
	ds_read_b64 v[10:11], v1 offset:976
	v_add_f32_e32 v169, v169, v184
	v_add_f32_e32 v169, v169, v186
	s_waitcnt vmcnt(28)
	v_mul_f32_e32 v172, v142, v160
	v_mul_f32_e32 v160, v143, v160
	v_add_f32_e32 v12, v169, v12
	s_waitcnt vmcnt(27) lgkmcnt(6)
	v_mul_f32_e32 v184, v2, v162
	v_mul_f32_e32 v162, v3, v162
	s_waitcnt vmcnt(26)
	v_mul_f32_e32 v179, v4, v167
	v_mul_f32_e32 v167, v5, v167
	v_add_f32_e32 v12, v12, v159
	v_add_f32_e32 v159, v168, v187
	s_waitcnt vmcnt(21)
	v_fma_f32 v142, v142, v193, -v160
	v_fmac_f32_e32 v172, v143, v193
	v_fmac_f32_e32 v184, v3, v192
	v_add_f32_e32 v12, v12, v140
	v_add_f32_e32 v140, v159, v171
	v_fma_f32 v2, v2, v192, -v162
	v_fma_f32 v4, v4, v191, -v167
	s_waitcnt lgkmcnt(5)
	v_mul_f32_e32 v141, v144, v180
	v_add_f32_e32 v3, v12, v142
	v_add_f32_e32 v12, v140, v172
	v_mul_f32_e32 v140, v145, v180
	v_fmac_f32_e32 v179, v5, v191
	s_waitcnt vmcnt(20)
	v_mul_f32_e32 v5, v147, v194
	v_add_f32_e32 v2, v3, v2
	v_add_f32_e32 v3, v12, v184
	v_fma_f32 v12, v144, v182, -v140
	v_mul_f32_e32 v170, v146, v194
	v_fmac_f32_e32 v141, v145, v182
	v_add_f32_e32 v2, v2, v4
	v_add_f32_e32 v3, v3, v179
	s_waitcnt vmcnt(19) lgkmcnt(4)
	v_mul_f32_e32 v4, v137, v201
	v_mul_f32_e32 v174, v136, v201
	s_waitcnt vmcnt(18)
	v_mul_f32_e32 v143, v138, v202
	v_add_f32_e32 v2, v2, v12
	v_add_f32_e32 v3, v3, v141
	v_mul_f32_e32 v12, v139, v202
	s_waitcnt vmcnt(17) lgkmcnt(3)
	v_mul_f32_e32 v160, v148, v203
	s_waitcnt vmcnt(16)
	v_mul_f32_e32 v169, v150, v181
	s_waitcnt vmcnt(15) lgkmcnt(2)
	v_mul_f32_e32 v173, v6, v204
	s_waitcnt vmcnt(14)
	;; [unrolled: 4-line block ×3, first 2 shown]
	v_fma_f32 v12, v138, v157, -v12
	s_waitcnt vmcnt(8)
	v_fma_f32 v4, v136, v176, -v4
	s_waitcnt vmcnt(7)
	v_fma_f32 v5, v146, v208, -v5
	v_fmac_f32_e32 v170, v147, v208
	v_fmac_f32_e32 v174, v137, v176
	;; [unrolled: 1-line block ×4, first 2 shown]
	v_add_f32_e32 v2, v2, v5
	v_add_f32_e32 v3, v3, v170
	v_mul_f32_e32 v5, v149, v203
	v_mul_f32_e32 v185, v154, v207
	s_waitcnt lgkmcnt(0)
	v_mul_f32_e32 v159, v10, v166
	v_add_f32_e32 v2, v2, v4
	v_add_f32_e32 v3, v3, v174
	v_mul_f32_e32 v4, v151, v181
	v_fma_f32 v5, v148, v156, -v5
	v_add_f32_e32 v2, v2, v12
	v_add_f32_e32 v3, v3, v143
	v_mul_f32_e32 v12, v7, v204
	v_add_f32_e32 v2, v2, v5
	v_add_f32_e32 v3, v3, v160
	v_mul_f32_e32 v5, v9, v205
	s_waitcnt vmcnt(6)
	v_fmac_f32_e32 v168, v153, v158
	s_waitcnt vmcnt(5)
	v_fmac_f32_e32 v183, v9, v161
	s_waitcnt vmcnt(4)
	v_fma_f32 v6, v6, v163, -v12
	s_waitcnt vmcnt(3)
	v_fma_f32 v4, v150, v175, -v4
	v_fmac_f32_e32 v169, v151, v175
	v_fmac_f32_e32 v173, v7, v163
	v_fma_f32 v5, v8, v161, -v5
	s_waitcnt vmcnt(2)
	v_fmac_f32_e32 v159, v11, v165
	v_add_f32_e32 v2, v2, v4
	v_add_f32_e32 v3, v3, v169
	v_mul_f32_e32 v4, v153, v206
	s_waitcnt vmcnt(1)
	v_fmac_f32_e32 v185, v155, v177
	v_add_f32_e32 v2, v2, v6
	v_add_f32_e32 v3, v3, v173
	v_mul_f32_e32 v6, v155, v207
	v_fma_f32 v4, v152, v158, -v4
	v_add_f32_e32 v2, v2, v5
	v_add_f32_e32 v3, v3, v183
	v_mul_f32_e32 v5, v11, v166
	v_fma_f32 v6, v154, v177, -v6
	v_add_f32_e32 v2, v2, v4
	v_add_f32_e32 v3, v3, v168
	v_fma_f32 v4, v10, v165, -v5
	v_add_f32_e32 v2, v2, v6
	v_add_f32_e32 v3, v3, v185
	;; [unrolled: 1-line block ×4, first 2 shown]
	s_waitcnt vmcnt(0)
	v_sub_f32_e32 v2, v164, v2
	v_sub_f32_e32 v3, v178, v3
	buffer_store_dword v2, off, s[0:3], 0 offset:24
	buffer_store_dword v3, off, s[0:3], 0 offset:28
	v_cmpx_lt_u32_e32 2, v0
	s_cbranch_execz .LBB124_375
; %bb.374:
	s_clause 0x1
	buffer_load_dword v2, off, s[0:3], 0 offset:16
	buffer_load_dword v3, off, s[0:3], 0 offset:20
	buffer_store_dword v1, off, s[0:3], 0 offset:16
	buffer_store_dword v1, off, s[0:3], 0 offset:20
	s_waitcnt vmcnt(0)
	ds_write_b64 v135, v[2:3]
.LBB124_375:
	s_or_b32 exec_lo, exec_lo, s4
	s_waitcnt lgkmcnt(0)
	s_waitcnt_vscnt null, 0x0
	s_barrier
	buffer_gl0_inv
	s_clause 0x3c
	buffer_load_dword v170, off, s[0:3], 0 offset:28
	buffer_load_dword v171, off, s[0:3], 0 offset:36
	buffer_load_dword v2, off, s[0:3], 0 offset:40
	buffer_load_dword v5, off, s[0:3], 0 offset:32
	buffer_load_dword v6, off, s[0:3], 0 offset:24
	buffer_load_dword v4, off, s[0:3], 0 offset:44
	buffer_load_dword v3, off, s[0:3], 0 offset:52
	buffer_load_dword v7, off, s[0:3], 0 offset:72
	buffer_load_dword v8, off, s[0:3], 0 offset:64
	buffer_load_dword v11, off, s[0:3], 0 offset:56
	buffer_load_dword v137, off, s[0:3], 0 offset:48
	buffer_load_dword v136, off, s[0:3], 0 offset:60
	buffer_load_dword v12, off, s[0:3], 0 offset:68
	buffer_load_dword v10, off, s[0:3], 0 offset:76
	buffer_load_dword v9, off, s[0:3], 0 offset:84
	buffer_load_dword v145, off, s[0:3], 0 offset:104
	buffer_load_dword v157, off, s[0:3], 0 offset:96
	buffer_load_dword v162, off, s[0:3], 0 offset:88
	buffer_load_dword v169, off, s[0:3], 0 offset:80
	buffer_load_dword v168, off, s[0:3], 0 offset:92
	buffer_load_dword v167, off, s[0:3], 0 offset:100
	buffer_load_dword v161, off, s[0:3], 0 offset:108
	buffer_load_dword v159, off, s[0:3], 0 offset:116
	buffer_load_dword v140, off, s[0:3], 0 offset:136
	buffer_load_dword v150, off, s[0:3], 0 offset:128
	buffer_load_dword v155, off, s[0:3], 0 offset:120
	buffer_load_dword v166, off, s[0:3], 0 offset:112
	buffer_load_dword v165, off, s[0:3], 0 offset:124
	buffer_load_dword v164, off, s[0:3], 0 offset:132
	buffer_load_dword v154, off, s[0:3], 0 offset:140
	buffer_load_dword v152, off, s[0:3], 0 offset:148
	buffer_load_dword v139, off, s[0:3], 0 offset:168
	buffer_load_dword v146, off, s[0:3], 0 offset:160
	buffer_load_dword v149, off, s[0:3], 0 offset:152
	buffer_load_dword v163, off, s[0:3], 0 offset:144
	buffer_load_dword v160, off, s[0:3], 0 offset:156
	buffer_load_dword v158, off, s[0:3], 0 offset:164
	buffer_load_dword v148, off, s[0:3], 0 offset:172
	buffer_load_dword v147, off, s[0:3], 0 offset:180
	buffer_load_dword v138, off, s[0:3], 0 offset:200
	buffer_load_dword v141, off, s[0:3], 0 offset:192
	buffer_load_dword v144, off, s[0:3], 0 offset:184
	buffer_load_dword v156, off, s[0:3], 0 offset:176
	buffer_load_dword v153, off, s[0:3], 0 offset:188
	buffer_load_dword v151, off, s[0:3], 0 offset:196
	buffer_load_dword v143, off, s[0:3], 0 offset:204
	buffer_load_dword v142, off, s[0:3], 0 offset:212
	buffer_load_dword v172, off, s[0:3], 0 offset:232
	buffer_load_dword v173, off, s[0:3], 0 offset:224
	buffer_load_dword v176, off, s[0:3], 0 offset:216
	buffer_load_dword v179, off, s[0:3], 0 offset:208
	buffer_load_dword v178, off, s[0:3], 0 offset:220
	buffer_load_dword v177, off, s[0:3], 0 offset:228
	buffer_load_dword v175, off, s[0:3], 0 offset:236
	buffer_load_dword v174, off, s[0:3], 0 offset:244
	buffer_load_dword v181, off, s[0:3], 0 offset:264
	buffer_load_dword v182, off, s[0:3], 0 offset:256
	buffer_load_dword v183, off, s[0:3], 0 offset:248
	buffer_load_dword v192, off, s[0:3], 0 offset:240
	buffer_load_dword v193, off, s[0:3], 0 offset:252
	buffer_load_dword v194, off, s[0:3], 0 offset:260
	ds_read2_b64 v[184:187], v1 offset0:65 offset1:66
	ds_read2_b64 v[188:191], v1 offset0:67 offset1:68
	s_mov_b32 s4, exec_lo
	s_waitcnt vmcnt(60) lgkmcnt(1)
	v_mul_f32_e32 v180, v184, v170
	v_mul_f32_e32 v195, v185, v170
	s_waitcnt vmcnt(59)
	v_mul_f32_e32 v170, v186, v171
	v_mul_f32_e32 v196, v187, v171
	buffer_load_dword v171, off, s[0:3], 0 offset:20
	s_waitcnt vmcnt(57)
	v_fmac_f32_e32 v180, v185, v6
	v_fma_f32 v195, v184, v6, -v195
	v_fmac_f32_e32 v170, v187, v5
	v_fma_f32 v196, v186, v5, -v196
	ds_read2_b64 v[184:187], v1 offset0:69 offset1:70
	s_waitcnt vmcnt(56) lgkmcnt(1)
	v_mul_f32_e32 v197, v188, v4
	v_mul_f32_e32 v4, v189, v4
	s_waitcnt vmcnt(55)
	v_mul_f32_e32 v198, v190, v3
	v_mul_f32_e32 v3, v191, v3
	v_fmac_f32_e32 v197, v189, v2
	v_fma_f32 v188, v188, v2, -v4
	s_waitcnt vmcnt(51)
	v_fmac_f32_e32 v198, v191, v137
	v_fma_f32 v137, v190, v137, -v3
	ds_read2_b64 v[2:5], v1 offset0:71 offset1:72
	s_waitcnt vmcnt(50) lgkmcnt(1)
	v_mul_f32_e32 v189, v184, v136
	v_mul_f32_e32 v6, v185, v136
	s_waitcnt vmcnt(49)
	v_mul_f32_e32 v136, v186, v12
	v_mul_f32_e32 v12, v187, v12
	v_fmac_f32_e32 v189, v185, v11
	v_fma_f32 v11, v184, v11, -v6
	v_fmac_f32_e32 v136, v187, v8
	v_fma_f32 v12, v186, v8, -v12
	ds_read2_b64 v[184:187], v1 offset0:73 offset1:74
	s_waitcnt vmcnt(48) lgkmcnt(1)
	v_mul_f32_e32 v190, v2, v10
	v_mul_f32_e32 v6, v3, v10
	s_waitcnt vmcnt(47)
	v_mul_f32_e32 v10, v4, v9
	v_mul_f32_e32 v8, v5, v9
	v_fmac_f32_e32 v190, v3, v7
	v_fma_f32 v191, v2, v7, -v6
	s_waitcnt vmcnt(43)
	v_fmac_f32_e32 v10, v5, v169
	v_fma_f32 v169, v4, v169, -v8
	ds_read2_b64 v[2:5], v1 offset0:75 offset1:76
	s_waitcnt vmcnt(42) lgkmcnt(1)
	v_mul_f32_e32 v199, v184, v168
	v_mul_f32_e32 v6, v185, v168
	s_waitcnt vmcnt(41)
	v_mul_f32_e32 v168, v186, v167
	v_mul_f32_e32 v7, v187, v167
	v_fmac_f32_e32 v199, v185, v162
	v_fma_f32 v162, v184, v162, -v6
	v_fmac_f32_e32 v168, v187, v157
	v_fma_f32 v157, v186, v157, -v7
	ds_read2_b64 v[6:9], v1 offset0:77 offset1:78
	s_waitcnt vmcnt(40) lgkmcnt(1)
	v_mul_f32_e32 v167, v2, v161
	v_mul_f32_e32 v161, v3, v161
	s_waitcnt vmcnt(39)
	v_mul_f32_e32 v184, v4, v159
	v_mul_f32_e32 v159, v5, v159
	buffer_load_dword v185, off, s[0:3], 0 offset:268
	v_fmac_f32_e32 v167, v3, v145
	v_fma_f32 v145, v2, v145, -v161
	s_waitcnt vmcnt(36)
	v_fmac_f32_e32 v184, v5, v166
	v_fma_f32 v159, v4, v166, -v159
	ds_read2_b64 v[2:5], v1 offset0:79 offset1:80
	s_waitcnt vmcnt(35) lgkmcnt(1)
	v_mul_f32_e32 v161, v6, v165
	v_mul_f32_e32 v165, v7, v165
	s_waitcnt vmcnt(34)
	v_mul_f32_e32 v166, v8, v164
	v_mul_f32_e32 v164, v9, v164
	v_fmac_f32_e32 v161, v7, v155
	v_fma_f32 v155, v6, v155, -v165
	v_fmac_f32_e32 v166, v9, v150
	v_fma_f32 v150, v8, v150, -v164
	ds_read2_b64 v[6:9], v1 offset0:81 offset1:82
	s_waitcnt vmcnt(33) lgkmcnt(1)
	v_mul_f32_e32 v164, v2, v154
	v_mul_f32_e32 v154, v3, v154
	s_waitcnt vmcnt(32)
	v_mul_f32_e32 v165, v4, v152
	v_mul_f32_e32 v152, v5, v152
	v_fmac_f32_e32 v164, v3, v140
	v_fma_f32 v140, v2, v140, -v154
	s_waitcnt vmcnt(28)
	v_fmac_f32_e32 v165, v5, v163
	v_fma_f32 v152, v4, v163, -v152
	ds_read2_b64 v[2:5], v1 offset0:83 offset1:84
	s_waitcnt vmcnt(27) lgkmcnt(1)
	v_mul_f32_e32 v154, v6, v160
	v_mul_f32_e32 v160, v7, v160
	s_waitcnt vmcnt(26)
	v_mul_f32_e32 v163, v8, v158
	v_mul_f32_e32 v158, v9, v158
	v_fmac_f32_e32 v154, v7, v149
	v_fma_f32 v149, v6, v149, -v160
	v_fmac_f32_e32 v163, v9, v146
	v_fma_f32 v146, v8, v146, -v158
	ds_read2_b64 v[6:9], v1 offset0:85 offset1:86
	s_waitcnt vmcnt(25) lgkmcnt(1)
	v_mul_f32_e32 v158, v2, v148
	v_mul_f32_e32 v148, v3, v148
	s_waitcnt vmcnt(24)
	v_mul_f32_e32 v160, v4, v147
	v_mul_f32_e32 v147, v5, v147
	;; [unrolled: 23-line block ×4, first 2 shown]
	v_fmac_f32_e32 v177, v3, v172
	v_fma_f32 v172, v2, v172, -v175
	s_waitcnt vmcnt(4)
	v_fmac_f32_e32 v178, v5, v192
	v_fma_f32 v174, v4, v192, -v174
	ds_read2_b64 v[2:5], v1 offset0:95 offset1:96
	s_waitcnt vmcnt(3) lgkmcnt(1)
	v_mul_f32_e32 v175, v6, v193
	v_mul_f32_e32 v186, v7, v193
	buffer_load_dword v193, off, s[0:3], 0 offset:276
	s_waitcnt vmcnt(3)
	v_mul_f32_e32 v187, v8, v194
	v_mul_f32_e32 v192, v9, v194
	v_fmac_f32_e32 v175, v7, v183
	v_fma_f32 v183, v6, v183, -v186
	v_fmac_f32_e32 v187, v9, v182
	v_fma_f32 v182, v8, v182, -v192
	s_clause 0x4
	buffer_load_dword v186, off, s[0:3], 0 offset:296
	buffer_load_dword v192, off, s[0:3], 0 offset:288
	;; [unrolled: 1-line block ×5, first 2 shown]
	s_waitcnt vmcnt(6) lgkmcnt(0)
	v_mul_f32_e32 v201, v2, v185
	v_mul_f32_e32 v7, v3, v185
	v_fmac_f32_e32 v201, v3, v181
	v_fma_f32 v181, v2, v181, -v7
	s_waitcnt vmcnt(5)
	v_mul_f32_e32 v185, v4, v193
	v_mul_f32_e32 v2, v5, v193
	s_waitcnt vmcnt(1)
	v_fmac_f32_e32 v185, v5, v6
	v_fma_f32 v193, v4, v6, -v2
	ds_read2_b64 v[2:5], v1 offset0:97 offset1:98
	ds_read2_b64 v[6:9], v1 offset0:99 offset1:100
	s_waitcnt vmcnt(0) lgkmcnt(1)
	v_mul_f32_e32 v202, v2, v200
	v_mul_f32_e32 v200, v3, v200
	v_fmac_f32_e32 v202, v3, v194
	v_fma_f32 v194, v2, v194, -v200
	s_clause 0x1
	buffer_load_dword v2, off, s[0:3], 0 offset:292
	buffer_load_dword v3, off, s[0:3], 0 offset:300
	s_waitcnt vmcnt(1)
	v_mul_f32_e32 v200, v4, v2
	v_mul_f32_e32 v2, v5, v2
	v_fmac_f32_e32 v200, v5, v192
	v_fma_f32 v192, v4, v192, -v2
	v_add_f32_e32 v2, 0, v195
	v_add_f32_e32 v4, 0, v180
	;; [unrolled: 1-line block ×4, first 2 shown]
	buffer_load_dword v170, off, s[0:3], 0 offset:308
	v_add_f32_e32 v2, v2, v188
	v_add_f32_e32 v4, v4, v197
	;; [unrolled: 1-line block ×3, first 2 shown]
	s_clause 0x3
	buffer_load_dword v180, off, s[0:3], 0 offset:328
	buffer_load_dword v188, off, s[0:3], 0 offset:320
	;; [unrolled: 1-line block ×4, first 2 shown]
	v_add_f32_e32 v4, v4, v198
	v_add_f32_e32 v2, v2, v11
	buffer_load_dword v11, off, s[0:3], 0 offset:316
	v_add_f32_e32 v4, v4, v189
	v_add_f32_e32 v2, v2, v12
	s_clause 0x1
	buffer_load_dword v12, off, s[0:3], 0 offset:324
	buffer_load_dword v189, off, s[0:3], 0 offset:332
	v_add_f32_e32 v4, v4, v136
	v_add_f32_e32 v2, v2, v191
	s_clause 0x1
	buffer_load_dword v191, off, s[0:3], 0 offset:340
	buffer_load_dword v196, off, s[0:3], 0 offset:348
	v_add_f32_e32 v4, v4, v190
	v_add_f32_e32 v2, v2, v169
	;; [unrolled: 1-line block ×4, first 2 shown]
	s_clause 0x3
	buffer_load_dword v10, off, s[0:3], 0 offset:360
	buffer_load_dword v162, off, s[0:3], 0 offset:352
	;; [unrolled: 1-line block ×4, first 2 shown]
	v_add_f32_e32 v4, v4, v199
	v_add_f32_e32 v2, v2, v157
	buffer_load_dword v157, off, s[0:3], 0 offset:356
	v_add_f32_e32 v4, v4, v168
	s_clause 0x1
	buffer_load_dword v168, off, s[0:3], 0 offset:364
	buffer_load_dword v197, off, s[0:3], 0 offset:372
	v_add_f32_e32 v2, v2, v145
	v_add_f32_e32 v4, v4, v167
	;; [unrolled: 1-line block ×4, first 2 shown]
	s_clause 0x3
	buffer_load_dword v159, off, s[0:3], 0 offset:392
	buffer_load_dword v167, off, s[0:3], 0 offset:384
	;; [unrolled: 1-line block ×4, first 2 shown]
	v_add_f32_e32 v2, v2, v155
	v_add_f32_e32 v4, v4, v161
	buffer_load_dword v161, off, s[0:3], 0 offset:380
	v_add_f32_e32 v2, v2, v150
	v_add_f32_e32 v4, v4, v166
	buffer_load_dword v166, off, s[0:3], 0 offset:388
	v_add_f32_e32 v2, v2, v140
	v_add_f32_e32 v4, v4, v164
	s_clause 0x2
	buffer_load_dword v164, off, s[0:3], 0 offset:396
	buffer_load_dword v199, off, s[0:3], 0 offset:404
	;; [unrolled: 1-line block ×3, first 2 shown]
	v_add_f32_e32 v2, v2, v152
	v_add_f32_e32 v4, v4, v165
	s_clause 0x2
	buffer_load_dword v165, off, s[0:3], 0 offset:420
	buffer_load_dword v204, off, s[0:3], 0 offset:428
	;; [unrolled: 1-line block ×3, first 2 shown]
	v_add_f32_e32 v2, v2, v149
	buffer_load_dword v206, off, s[0:3], 0 offset:444
	v_add_f32_e32 v4, v4, v154
	s_clause 0x2
	buffer_load_dword v207, off, s[0:3], 0 offset:452
	buffer_load_dword v208, off, s[0:3], 0 offset:460
	;; [unrolled: 1-line block ×3, first 2 shown]
	v_add_f32_e32 v2, v2, v146
	v_add_f32_e32 v4, v4, v163
	buffer_load_dword v163, off, s[0:3], 0 offset:468
	v_add_f32_e32 v2, v2, v139
	v_add_f32_e32 v4, v4, v158
	buffer_load_dword v158, off, s[0:3], 0 offset:484
	v_add_f32_e32 v2, v2, v147
	v_add_f32_e32 v4, v4, v160
	s_clause 0x3
	buffer_load_dword v160, off, s[0:3], 0 offset:424
	buffer_load_dword v210, off, s[0:3], 0 offset:416
	;; [unrolled: 1-line block ×4, first 2 shown]
	v_add_f32_e32 v2, v2, v144
	v_add_f32_e32 v4, v4, v148
	s_waitcnt vmcnt(39) lgkmcnt(0)
	v_mul_f32_e32 v148, v6, v3
	v_mul_f32_e32 v3, v7, v3
	v_add_f32_e32 v2, v2, v141
	v_add_f32_e32 v4, v4, v156
	s_clause 0x3
	buffer_load_dword v156, off, s[0:3], 0 offset:456
	buffer_load_dword v213, off, s[0:3], 0 offset:448
	;; [unrolled: 1-line block ×4, first 2 shown]
	v_fmac_f32_e32 v148, v7, v186
	v_add_f32_e32 v2, v2, v138
	v_fma_f32 v149, v6, v186, -v3
	v_add_f32_e32 v4, v4, v151
	v_add_f32_e32 v2, v2, v142
	;; [unrolled: 1-line block ×4, first 2 shown]
	s_clause 0x3
	buffer_load_dword v176, off, s[0:3], 0 offset:480
	buffer_load_dword v216, off, s[0:3], 0 offset:472
	;; [unrolled: 1-line block ×4, first 2 shown]
	v_add_f32_e32 v4, v4, v143
	v_add_f32_e32 v2, v2, v173
	;; [unrolled: 1-line block ×5, first 2 shown]
	ds_read2_b64 v[2:5], v1 offset0:101 offset1:102
	v_add_f32_e32 v136, v6, v174
	v_add_f32_e32 v140, v136, v183
	;; [unrolled: 1-line block ×4, first 2 shown]
	s_waitcnt vmcnt(46)
	v_mul_f32_e32 v152, v8, v170
	v_mul_f32_e32 v6, v9, v170
	s_waitcnt vmcnt(42)
	v_fmac_f32_e32 v152, v9, v137
	v_fma_f32 v153, v8, v137, -v6
	v_add_f32_e32 v137, v7, v178
	ds_read2_b64 v[6:9], v1 offset0:103 offset1:104
	s_waitcnt vmcnt(41) lgkmcnt(1)
	v_mul_f32_e32 v154, v2, v11
	v_mul_f32_e32 v11, v3, v11
	v_add_f32_e32 v141, v137, v175
	ds_read2_b64 v[136:139], v1 offset0:105 offset1:106
	s_waitcnt vmcnt(40)
	v_mul_f32_e32 v170, v4, v12
	v_fmac_f32_e32 v154, v3, v195
	v_fma_f32 v11, v2, v195, -v11
	v_add_f32_e32 v141, v141, v187
	v_add_f32_e32 v3, v144, v193
	v_mul_f32_e32 v12, v5, v12
	v_fmac_f32_e32 v170, v5, v188
	v_add_f32_e32 v2, v141, v201
	ds_read2_b64 v[140:143], v1 offset0:107 offset1:108
	v_add_f32_e32 v3, v3, v194
	v_fma_f32 v12, v4, v188, -v12
	v_add_f32_e32 v2, v2, v185
	s_waitcnt vmcnt(39) lgkmcnt(2)
	v_mul_f32_e32 v144, v7, v189
	v_mul_f32_e32 v172, v6, v189
	s_waitcnt vmcnt(38)
	v_mul_f32_e32 v150, v9, v191
	v_mul_f32_e32 v173, v8, v191
	v_add_f32_e32 v2, v2, v202
	s_waitcnt vmcnt(37) lgkmcnt(1)
	v_mul_f32_e32 v174, v136, v196
	v_fma_f32 v175, v6, v180, -v144
	v_add_f32_e32 v6, v3, v192
	v_fmac_f32_e32 v172, v7, v180
	v_add_f32_e32 v7, v2, v200
	v_mul_f32_e32 v151, v137, v196
	s_waitcnt vmcnt(34)
	v_fmac_f32_e32 v174, v137, v169
	v_add_f32_e32 v137, v6, v149
	s_waitcnt vmcnt(32)
	v_mul_f32_e32 v178, v138, v157
	v_fma_f32 v177, v8, v190, -v150
	v_fma_f32 v169, v136, v169, -v151
	v_add_f32_e32 v136, v7, v148
	v_add_f32_e32 v137, v137, v153
	v_mul_f32_e32 v153, v139, v157
	s_waitcnt vmcnt(31) lgkmcnt(0)
	v_mul_f32_e32 v157, v140, v168
	ds_read2_b64 v[2:5], v1 offset0:109 offset1:110
	ds_read2_b64 v[144:147], v1 offset0:111 offset1:112
	v_add_f32_e32 v136, v136, v152
	v_add_f32_e32 v11, v137, v11
	v_mul_f32_e32 v137, v141, v168
	s_waitcnt vmcnt(30)
	v_mul_f32_e32 v168, v143, v197
	v_fmac_f32_e32 v157, v141, v10
	v_fmac_f32_e32 v173, v9, v190
	v_add_f32_e32 v11, v11, v12
	v_fma_f32 v10, v140, v10, -v137
	v_add_f32_e32 v140, v136, v154
	s_waitcnt vmcnt(26)
	v_fma_f32 v12, v142, v198, -v168
	v_fmac_f32_e32 v178, v139, v162
	v_add_f32_e32 v11, v11, v175
	v_fma_f32 v162, v138, v162, -v153
	v_add_f32_e32 v168, v140, v170
	v_mul_f32_e32 v179, v142, v197
	ds_read2_b64 v[6:9], v1 offset0:113 offset1:114
	ds_read2_b64 v[148:151], v1 offset0:115 offset1:116
	v_add_f32_e32 v11, v11, v177
	ds_read2_b64 v[136:139], v1 offset0:117 offset1:118
	ds_read2_b64 v[152:155], v1 offset0:119 offset1:120
	v_add_f32_e32 v168, v168, v172
	v_fmac_f32_e32 v179, v143, v198
	ds_read2_b64 v[140:143], v1 offset0:121 offset1:122
	v_add_f32_e32 v11, v11, v169
	s_waitcnt vmcnt(25) lgkmcnt(6)
	v_mul_f32_e32 v1, v2, v161
	v_add_f32_e32 v168, v168, v173
	v_mul_f32_e32 v161, v3, v161
	s_waitcnt vmcnt(24)
	v_mul_f32_e32 v170, v4, v166
	v_add_f32_e32 v11, v11, v162
	v_mul_f32_e32 v166, v5, v166
	v_add_f32_e32 v168, v168, v174
	v_fma_f32 v2, v2, v184, -v161
	v_fmac_f32_e32 v1, v3, v184
	v_add_f32_e32 v10, v11, v10
	v_fma_f32 v4, v4, v167, -v166
	v_add_f32_e32 v168, v168, v178
	s_waitcnt vmcnt(23) lgkmcnt(5)
	v_mul_f32_e32 v172, v144, v164
	v_fmac_f32_e32 v170, v5, v167
	v_add_f32_e32 v10, v10, v12
	s_waitcnt vmcnt(22)
	v_mul_f32_e32 v5, v147, v199
	v_add_f32_e32 v157, v168, v157
	v_mul_f32_e32 v173, v146, v199
	v_fmac_f32_e32 v172, v145, v159
	v_add_f32_e32 v2, v10, v2
	s_waitcnt vmcnt(8)
	v_fma_f32 v5, v146, v212, -v5
	v_add_f32_e32 v12, v157, v179
	v_mul_f32_e32 v157, v145, v164
	s_waitcnt lgkmcnt(4)
	v_mul_f32_e32 v175, v6, v203
	v_add_f32_e32 v2, v2, v4
	v_mul_f32_e32 v4, v7, v203
	v_add_f32_e32 v1, v12, v1
	v_fma_f32 v10, v144, v159, -v157
	v_fmac_f32_e32 v173, v147, v212
	v_mul_f32_e32 v169, v8, v165
	v_fma_f32 v4, v6, v211, -v4
	v_add_f32_e32 v1, v1, v170
	v_add_f32_e32 v2, v2, v10
	v_mul_f32_e32 v10, v9, v165
	v_fmac_f32_e32 v175, v7, v211
	s_waitcnt lgkmcnt(3)
	v_mul_f32_e32 v174, v148, v204
	v_add_f32_e32 v1, v1, v172
	v_add_f32_e32 v2, v2, v5
	v_mul_f32_e32 v5, v149, v204
	v_fma_f32 v6, v8, v210, -v10
	v_fmac_f32_e32 v169, v9, v210
	v_add_f32_e32 v1, v1, v173
	v_add_f32_e32 v2, v2, v4
	v_mul_f32_e32 v4, v151, v205
	v_fma_f32 v5, v148, v160, -v5
	v_mul_f32_e32 v177, v150, v205
	v_add_f32_e32 v1, v1, v175
	v_add_f32_e32 v2, v2, v6
	v_fmac_f32_e32 v174, v149, v160
	s_waitcnt lgkmcnt(2)
	v_mul_f32_e32 v6, v137, v206
	s_waitcnt vmcnt(4)
	v_fma_f32 v4, v150, v215, -v4
	v_add_f32_e32 v1, v1, v169
	v_add_f32_e32 v2, v2, v5
	v_mul_f32_e32 v162, v136, v206
	v_fmac_f32_e32 v177, v151, v215
	v_mul_f32_e32 v5, v139, v207
	v_add_f32_e32 v1, v1, v174
	v_fma_f32 v6, v136, v214, -v6
	v_add_f32_e32 v2, v2, v4
	v_mul_f32_e32 v178, v138, v207
	v_fmac_f32_e32 v162, v137, v214
	v_add_f32_e32 v1, v1, v177
	s_waitcnt lgkmcnt(1)
	v_mul_f32_e32 v4, v153, v208
	v_fma_f32 v5, v138, v213, -v5
	v_add_f32_e32 v2, v2, v6
	v_mul_f32_e32 v180, v152, v208
	v_fmac_f32_e32 v178, v139, v213
	v_add_f32_e32 v1, v1, v162
	v_mul_f32_e32 v6, v155, v163
	v_fma_f32 v4, v152, v156, -v4
	v_add_f32_e32 v2, v2, v5
	v_mul_f32_e32 v11, v154, v163
	v_fmac_f32_e32 v180, v153, v156
	v_add_f32_e32 v1, v1, v178
	s_waitcnt lgkmcnt(0)
	v_mul_f32_e32 v5, v141, v209
	s_waitcnt vmcnt(1)
	v_fma_f32 v6, v154, v217, -v6
	v_add_f32_e32 v2, v2, v4
	v_mul_f32_e32 v168, v140, v209
	v_fmac_f32_e32 v11, v155, v217
	v_add_f32_e32 v1, v1, v180
	v_mul_f32_e32 v4, v143, v158
	v_fma_f32 v5, v140, v216, -v5
	v_add_f32_e32 v2, v2, v6
	v_mul_f32_e32 v3, v142, v158
	v_fmac_f32_e32 v168, v141, v216
	v_add_f32_e32 v1, v1, v11
	v_fma_f32 v4, v142, v176, -v4
	v_add_f32_e32 v2, v2, v5
	v_fmac_f32_e32 v3, v143, v176
	v_add_f32_e32 v1, v1, v168
	v_add_f32_e32 v2, v2, v4
	;; [unrolled: 1-line block ×3, first 2 shown]
	s_waitcnt vmcnt(0)
	v_sub_f32_e32 v2, v218, v2
	v_sub_f32_e32 v1, v171, v1
	buffer_store_dword v2, off, s[0:3], 0 offset:16
	buffer_store_dword v1, off, s[0:3], 0 offset:20
	v_cmpx_lt_u32_e32 1, v0
	s_cbranch_execz .LBB124_377
; %bb.376:
	s_clause 0x1
	buffer_load_dword v1, off, s[0:3], 0 offset:8
	buffer_load_dword v2, off, s[0:3], 0 offset:12
	v_mov_b32_e32 v3, 0
	buffer_store_dword v3, off, s[0:3], 0 offset:8
	buffer_store_dword v3, off, s[0:3], 0 offset:12
	s_waitcnt vmcnt(0)
	ds_write_b64 v135, v[1:2]
.LBB124_377:
	s_or_b32 exec_lo, exec_lo, s4
	s_waitcnt lgkmcnt(0)
	s_waitcnt_vscnt null, 0x0
	s_barrier
	buffer_gl0_inv
	s_clause 0x34
	buffer_load_dword v11, off, s[0:3], 0 offset:20
	buffer_load_dword v10, off, s[0:3], 0 offset:28
	;; [unrolled: 1-line block ×53, first 2 shown]
	v_mov_b32_e32 v9, 0
	ds_read_b128 v[189:192], v9 offset:512
	ds_read_b128 v[5:8], v9 offset:528
	;; [unrolled: 1-line block ×3, first 2 shown]
	s_clause 0x2
	buffer_load_dword v182, off, s[0:3], 0 offset:228
	buffer_load_dword v181, off, s[0:3], 0 offset:236
	;; [unrolled: 1-line block ×3, first 2 shown]
	ds_read_b128 v[193:196], v9 offset:560
	s_mov_b32 s4, exec_lo
	s_waitcnt vmcnt(55) lgkmcnt(3)
	v_mul_f32_e32 v197, v189, v11
	v_mul_f32_e32 v11, v190, v11
	s_waitcnt vmcnt(54)
	v_mul_f32_e32 v198, v191, v10
	v_mul_f32_e32 v10, v192, v10
	s_waitcnt vmcnt(51)
	v_fmac_f32_e32 v197, v190, v139
	v_fma_f32 v11, v189, v139, -v11
	v_fmac_f32_e32 v198, v192, v136
	v_fma_f32 v10, v191, v136, -v10
	ds_read_b128 v[189:192], v9 offset:576
	s_waitcnt vmcnt(50) lgkmcnt(3)
	v_mul_f32_e32 v199, v5, v138
	v_mul_f32_e32 v138, v6, v138
	s_waitcnt vmcnt(49)
	v_mul_f32_e32 v200, v7, v137
	v_mul_f32_e32 v136, v8, v137
	s_waitcnt vmcnt(48) lgkmcnt(2)
	v_mul_f32_e32 v201, v1, v140
	v_fmac_f32_e32 v199, v6, v12
	v_fma_f32 v12, v5, v12, -v138
	v_mul_f32_e32 v137, v2, v140
	s_waitcnt vmcnt(44)
	v_fmac_f32_e32 v200, v8, v148
	v_fma_f32 v148, v7, v148, -v136
	ds_read_b128 v[5:8], v9 offset:592
	s_waitcnt vmcnt(43)
	v_mul_f32_e32 v202, v3, v147
	v_mul_f32_e32 v136, v4, v147
	v_fmac_f32_e32 v201, v2, v145
	v_fma_f32 v145, v1, v145, -v137
	s_waitcnt vmcnt(42) lgkmcnt(2)
	v_mul_f32_e32 v147, v193, v146
	v_mul_f32_e32 v137, v194, v146
	v_fmac_f32_e32 v202, v4, v143
	v_fma_f32 v146, v3, v143, -v136
	ds_read_b128 v[1:4], v9 offset:608
	s_waitcnt vmcnt(41)
	v_mul_f32_e32 v203, v195, v144
	v_mul_f32_e32 v136, v196, v144
	v_fmac_f32_e32 v147, v194, v141
	v_fma_f32 v144, v193, v141, -v137
	s_waitcnt vmcnt(40) lgkmcnt(2)
	v_mul_f32_e32 v193, v189, v142
	v_mul_f32_e32 v140, v190, v142
	s_waitcnt vmcnt(36)
	v_fmac_f32_e32 v203, v196, v177
	v_fma_f32 v177, v195, v177, -v136
	ds_read_b128 v[136:139], v9 offset:624
	s_waitcnt vmcnt(35)
	v_mul_f32_e32 v194, v191, v176
	v_mul_f32_e32 v141, v192, v176
	v_fmac_f32_e32 v193, v190, v170
	v_fma_f32 v170, v189, v170, -v140
	s_waitcnt vmcnt(34) lgkmcnt(2)
	v_mul_f32_e32 v176, v5, v171
	v_fmac_f32_e32 v194, v192, v162
	v_fma_f32 v162, v191, v162, -v141
	ds_read_b128 v[140:143], v9 offset:640
	v_mul_f32_e32 v171, v6, v171
	s_waitcnt vmcnt(33)
	v_mul_f32_e32 v189, v7, v165
	v_mul_f32_e32 v165, v8, v165
	v_fmac_f32_e32 v176, v6, v154
	v_fma_f32 v154, v5, v154, -v171
	s_waitcnt vmcnt(32) lgkmcnt(2)
	v_mul_f32_e32 v171, v1, v173
	v_mul_f32_e32 v173, v2, v173
	s_waitcnt vmcnt(28)
	v_fmac_f32_e32 v189, v8, v179
	v_fma_f32 v165, v7, v179, -v165
	s_waitcnt vmcnt(27)
	v_mul_f32_e32 v179, v3, v178
	v_mul_f32_e32 v178, v4, v178
	ds_read_b128 v[5:8], v9 offset:656
	v_fmac_f32_e32 v171, v2, v172
	v_fma_f32 v172, v1, v172, -v173
	s_waitcnt vmcnt(26) lgkmcnt(2)
	v_mul_f32_e32 v173, v136, v174
	v_mul_f32_e32 v174, v137, v174
	v_fmac_f32_e32 v179, v4, v166
	v_fma_f32 v166, v3, v166, -v178
	s_waitcnt vmcnt(25)
	v_mul_f32_e32 v178, v138, v169
	v_mul_f32_e32 v169, v139, v169
	ds_read_b128 v[1:4], v9 offset:672
	v_fmac_f32_e32 v173, v137, v158
	v_fma_f32 v158, v136, v158, -v174
	s_waitcnt vmcnt(24) lgkmcnt(2)
	v_mul_f32_e32 v174, v140, v167
	v_mul_f32_e32 v136, v141, v167
	s_waitcnt vmcnt(20)
	v_fmac_f32_e32 v178, v139, v175
	v_fma_f32 v167, v138, v175, -v169
	s_clause 0x3
	buffer_load_dword v169, off, s[0:3], 0 offset:256
	buffer_load_dword v175, off, s[0:3], 0 offset:248
	;; [unrolled: 1-line block ×4, first 2 shown]
	v_fmac_f32_e32 v174, v141, v161
	v_fma_f32 v140, v140, v161, -v136
	s_waitcnt vmcnt(23)
	v_mul_f32_e32 v192, v142, v168
	s_waitcnt vmcnt(22) lgkmcnt(1)
	v_mul_f32_e32 v141, v5, v163
	v_mul_f32_e32 v161, v6, v163
	;; [unrolled: 1-line block ×3, first 2 shown]
	buffer_load_dword v168, off, s[0:3], 0 offset:268
	v_fmac_f32_e32 v192, v143, v155
	v_fmac_f32_e32 v141, v6, v150
	v_fma_f32 v150, v5, v150, -v161
	v_fma_f32 v142, v142, v155, -v137
	ds_read_b128 v[136:139], v9 offset:688
	s_waitcnt vmcnt(16) lgkmcnt(1)
	v_mul_f32_e32 v161, v3, v160
	v_mul_f32_e32 v160, v4, v160
	;; [unrolled: 1-line block ×6, first 2 shown]
	buffer_load_dword v157, off, s[0:3], 0 offset:244
	v_fmac_f32_e32 v161, v4, v151
	v_fma_f32 v151, v3, v151, -v160
	buffer_load_dword v160, off, s[0:3], 0 offset:252
	v_fmac_f32_e32 v143, v8, v164
	v_fma_f32 v155, v7, v164, -v155
	v_fmac_f32_e32 v159, v2, v156
	v_fma_f32 v156, v1, v156, -v5
	ds_read_b128 v[5:8], v9 offset:704
	s_waitcnt vmcnt(17) lgkmcnt(1)
	v_mul_f32_e32 v163, v136, v153
	v_mul_f32_e32 v1, v137, v153
	s_waitcnt vmcnt(16)
	v_mul_f32_e32 v153, v138, v152
	v_mul_f32_e32 v2, v139, v152
	buffer_load_dword v152, off, s[0:3], 0 offset:260
	v_fmac_f32_e32 v163, v137, v149
	v_fma_f32 v136, v136, v149, -v1
	s_waitcnt vmcnt(13)
	v_fmac_f32_e32 v153, v139, v187
	v_fma_f32 v137, v138, v187, -v2
	ds_read_b128 v[1:4], v9 offset:720
	s_waitcnt vmcnt(12) lgkmcnt(1)
	v_mul_f32_e32 v138, v5, v186
	v_mul_f32_e32 v139, v6, v186
	s_waitcnt vmcnt(11)
	v_mul_f32_e32 v149, v7, v185
	v_mul_f32_e32 v164, v8, v185
	v_fmac_f32_e32 v138, v6, v184
	v_fma_f32 v139, v5, v184, -v139
	v_fmac_f32_e32 v149, v8, v183
	v_fma_f32 v164, v7, v183, -v164
	s_clause 0x5
	buffer_load_dword v183, off, s[0:3], 0 offset:288
	buffer_load_dword v184, off, s[0:3], 0 offset:280
	;; [unrolled: 1-line block ×6, first 2 shown]
	v_add_f32_e32 v5, 0, v11
	v_add_f32_e32 v6, 0, v197
	buffer_load_dword v11, off, s[0:3], 0 offset:300
	s_waitcnt vmcnt(17) lgkmcnt(0)
	v_mul_f32_e32 v7, v2, v182
	v_add_f32_e32 v5, v5, v10
	buffer_load_dword v10, off, s[0:3], 0 offset:292
	v_add_f32_e32 v6, v6, v198
	s_waitcnt vmcnt(17)
	v_mul_f32_e32 v8, v4, v181
	v_add_f32_e32 v5, v5, v12
	v_mul_f32_e32 v12, v1, v182
	v_add_f32_e32 v6, v6, v199
	;; [unrolled: 2-line block ×3, first 2 shown]
	v_fmac_f32_e32 v12, v2, v180
	v_fma_f32 v148, v1, v180, -v7
	v_add_f32_e32 v6, v6, v200
	v_add_f32_e32 v5, v5, v145
	s_clause 0x3
	buffer_load_dword v145, off, s[0:3], 0 offset:320
	buffer_load_dword v180, off, s[0:3], 0 offset:312
	;; [unrolled: 1-line block ×4, first 2 shown]
	v_add_f32_e32 v6, v6, v201
	v_add_f32_e32 v5, v5, v146
	buffer_load_dword v146, off, s[0:3], 0 offset:308
	v_add_f32_e32 v6, v6, v202
	v_add_f32_e32 v5, v5, v144
	;; [unrolled: 1-line block ×8, first 2 shown]
	s_waitcnt vmcnt(17)
	v_fmac_f32_e32 v182, v4, v191
	v_fma_f32 v191, v3, v191, -v8
	ds_read_b128 v[1:4], v9 offset:736
	s_clause 0x2
	buffer_load_dword v147, off, s[0:3], 0 offset:316
	buffer_load_dword v177, off, s[0:3], 0 offset:324
	;; [unrolled: 1-line block ×3, first 2 shown]
	ds_read_b128 v[5:8], v9 offset:752
	buffer_load_dword v162, off, s[0:3], 0 offset:340
	s_waitcnt vmcnt(19) lgkmcnt(1)
	v_mul_f32_e32 v170, v1, v157
	v_mul_f32_e32 v157, v2, v157
	s_waitcnt vmcnt(18)
	v_mul_f32_e32 v198, v3, v160
	v_mul_f32_e32 v160, v4, v160
	v_fmac_f32_e32 v170, v2, v190
	v_fma_f32 v157, v1, v190, -v157
	v_add_f32_e32 v1, v193, v194
	v_fmac_f32_e32 v198, v4, v175
	v_fma_f32 v160, v3, v175, -v160
	v_add_f32_e32 v2, v144, v154
	s_clause 0x3
	buffer_load_dword v154, off, s[0:3], 0 offset:352
	buffer_load_dword v175, off, s[0:3], 0 offset:344
	;; [unrolled: 1-line block ×4, first 2 shown]
	v_add_f32_e32 v1, v1, v176
	v_add_f32_e32 v144, v2, v165
	s_clause 0x2
	buffer_load_dword v165, off, s[0:3], 0 offset:348
	buffer_load_dword v176, off, s[0:3], 0 offset:356
	;; [unrolled: 1-line block ×3, first 2 shown]
	v_add_f32_e32 v189, v1, v189
	ds_read_b128 v[1:4], v9 offset:768
	v_add_f32_e32 v144, v144, v172
	s_waitcnt vmcnt(24) lgkmcnt(1)
	v_mul_f32_e32 v172, v5, v152
	v_mul_f32_e32 v152, v6, v152
	v_add_f32_e32 v171, v189, v171
	v_mul_f32_e32 v189, v7, v168
	v_mul_f32_e32 v168, v8, v168
	v_fmac_f32_e32 v172, v6, v169
	v_add_f32_e32 v6, v144, v166
	v_fma_f32 v144, v5, v169, -v152
	v_add_f32_e32 v5, v171, v179
	v_add_f32_e32 v158, v6, v158
	s_waitcnt vmcnt(20)
	v_fmac_f32_e32 v189, v8, v186
	v_add_f32_e32 v173, v5, v173
	v_fma_f32 v152, v7, v186, -v168
	s_clause 0x4
	buffer_load_dword v166, off, s[0:3], 0 offset:384
	buffer_load_dword v168, off, s[0:3], 0 offset:376
	;; [unrolled: 1-line block ×5, first 2 shown]
	v_add_f32_e32 v158, v158, v167
	s_waitcnt vmcnt(24) lgkmcnt(0)
	v_mul_f32_e32 v167, v2, v187
	v_add_f32_e32 v173, v173, v178
	v_mul_f32_e32 v186, v1, v187
	ds_read_b128 v[5:8], v9 offset:784
	v_add_f32_e32 v140, v158, v140
	v_fma_f32 v167, v1, v185, -v167
	v_add_f32_e32 v1, v173, v174
	v_fmac_f32_e32 v186, v2, v185
	s_clause 0x1
	buffer_load_dword v178, off, s[0:3], 0 offset:380
	buffer_load_dword v187, off, s[0:3], 0 offset:388
	v_add_f32_e32 v2, v140, v142
	buffer_load_dword v158, off, s[0:3], 0 offset:396
	v_add_f32_e32 v1, v1, v192
	s_waitcnt vmcnt(26)
	v_mul_f32_e32 v185, v3, v195
	v_mul_f32_e32 v140, v4, v195
	v_add_f32_e32 v2, v2, v150
	s_clause 0x1
	buffer_load_dword v173, off, s[0:3], 0 offset:404
	buffer_load_dword v174, off, s[0:3], 0 offset:412
	v_add_f32_e32 v1, v1, v141
	buffer_load_dword v192, off, s[0:3], 0 offset:420
	v_fmac_f32_e32 v185, v4, v184
	v_add_f32_e32 v2, v2, v155
	v_fma_f32 v150, v3, v184, -v140
	v_add_f32_e32 v1, v1, v143
	s_clause 0x4
	buffer_load_dword v184, off, s[0:3], 0 offset:428
	buffer_load_dword v195, off, s[0:3], 0 offset:436
	;; [unrolled: 1-line block ×5, first 2 shown]
	v_add_f32_e32 v2, v2, v156
	s_clause 0x2
	buffer_load_dword v156, off, s[0:3], 0 offset:468
	buffer_load_dword v202, off, s[0:3], 0 offset:476
	buffer_load_dword v203, off, s[0:3], 0 offset:484
	v_add_f32_e32 v1, v1, v159
	s_clause 0x3
	buffer_load_dword v159, off, s[0:3], 0 offset:416
	buffer_load_dword v204, off, s[0:3], 0 offset:408
	;; [unrolled: 1-line block ×4, first 2 shown]
	s_waitcnt vmcnt(39) lgkmcnt(0)
	v_mul_f32_e32 v3, v6, v10
	v_add_f32_e32 v2, v2, v151
	v_add_f32_e32 v1, v1, v161
	;; [unrolled: 1-line block ×4, first 2 shown]
	s_clause 0x3
	buffer_load_dword v161, off, s[0:3], 0 offset:448
	buffer_load_dword v163, off, s[0:3], 0 offset:440
	;; [unrolled: 1-line block ×4, first 2 shown]
	v_add_f32_e32 v2, v2, v137
	v_add_f32_e32 v1, v1, v153
	;; [unrolled: 1-line block ×5, first 2 shown]
	s_clause 0x4
	buffer_load_dword v164, off, s[0:3], 0 offset:480
	buffer_load_dword v209, off, s[0:3], 0 offset:472
	;; [unrolled: 1-line block ×5, first 2 shown]
	v_add_f32_e32 v1, v1, v149
	v_mul_f32_e32 v149, v7, v11
	v_add_f32_e32 v2, v2, v148
	v_mul_f32_e32 v148, v5, v10
	v_fma_f32 v10, v5, v183, -v3
	v_add_f32_e32 v1, v1, v12
	s_waitcnt vmcnt(44)
	v_fmac_f32_e32 v149, v8, v196
	v_add_f32_e32 v5, v2, v191
	v_fmac_f32_e32 v148, v6, v183
	v_add_f32_e32 v6, v1, v182
	ds_read_b128 v[1:4], v9 offset:800
	v_add_f32_e32 v12, v5, v157
	v_mul_f32_e32 v5, v8, v11
	v_add_f32_e32 v136, v6, v170
	v_add_f32_e32 v12, v12, v160
	v_fma_f32 v11, v7, v196, -v5
	ds_read_b128 v[5:8], v9 offset:816
	v_add_f32_e32 v140, v136, v198
	ds_read_b128 v[136:139], v9 offset:832
	v_add_f32_e32 v12, v12, v144
	v_add_f32_e32 v140, v140, v172
	;; [unrolled: 1-line block ×3, first 2 shown]
	s_waitcnt vmcnt(43) lgkmcnt(2)
	v_mul_f32_e32 v141, v2, v146
	v_mul_f32_e32 v153, v1, v146
	v_fma_f32 v152, v1, v181, -v141
	v_add_f32_e32 v1, v140, v189
	v_fmac_f32_e32 v153, v2, v181
	v_add_f32_e32 v2, v12, v167
	ds_read_b128 v[140:143], v9 offset:848
	v_add_f32_e32 v1, v1, v186
	v_add_f32_e32 v2, v2, v150
	;; [unrolled: 1-line block ×3, first 2 shown]
	s_waitcnt vmcnt(42)
	v_mul_f32_e32 v144, v4, v147
	s_waitcnt vmcnt(41) lgkmcnt(2)
	v_mul_f32_e32 v146, v6, v177
	v_mul_f32_e32 v157, v5, v177
	;; [unrolled: 1-line block ×3, first 2 shown]
	s_waitcnt vmcnt(40)
	v_mul_f32_e32 v150, v8, v197
	v_fma_f32 v155, v3, v180, -v144
	v_fma_f32 v170, v5, v145, -v146
	v_add_f32_e32 v5, v2, v10
	v_fmac_f32_e32 v157, v6, v145
	v_add_f32_e32 v6, v1, v148
	s_waitcnt vmcnt(39) lgkmcnt(1)
	v_mul_f32_e32 v10, v137, v162
	v_fmac_f32_e32 v12, v4, v180
	v_add_f32_e32 v11, v5, v11
	v_mul_f32_e32 v160, v7, v197
	v_mul_f32_e32 v167, v136, v162
	ds_read_b128 v[1:4], v9 offset:864
	ds_read_b128 v[144:147], v9 offset:880
	v_add_f32_e32 v11, v11, v152
	v_add_f32_e32 v11, v11, v155
	s_waitcnt vmcnt(36)
	v_fma_f32 v172, v136, v190, -v10
	v_add_f32_e32 v10, v6, v149
	s_waitcnt vmcnt(35)
	v_fma_f32 v162, v7, v193, -v150
	v_fmac_f32_e32 v160, v8, v193
	s_waitcnt vmcnt(34)
	v_mul_f32_e32 v177, v138, v165
	v_mul_f32_e32 v136, v139, v165
	v_add_f32_e32 v10, v10, v153
	v_fmac_f32_e32 v167, v137, v190
	s_waitcnt vmcnt(33) lgkmcnt(2)
	v_mul_f32_e32 v137, v141, v176
	v_fmac_f32_e32 v177, v139, v175
	v_fma_f32 v175, v138, v175, -v136
	v_add_f32_e32 v10, v10, v12
	v_add_f32_e32 v12, v11, v170
	v_mul_f32_e32 v165, v140, v176
	s_waitcnt vmcnt(32)
	v_mul_f32_e32 v180, v142, v194
	v_mul_f32_e32 v176, v143, v194
	v_add_f32_e32 v157, v10, v157
	v_add_f32_e32 v12, v12, v162
	v_fma_f32 v181, v140, v154, -v137
	v_fmac_f32_e32 v165, v141, v154
	ds_read_b128 v[5:8], v9 offset:896
	ds_read_b128 v[148:151], v9 offset:912
	v_add_f32_e32 v157, v157, v160
	v_add_f32_e32 v12, v12, v172
	ds_read_b128 v[136:139], v9 offset:928
	ds_read_b128 v[152:155], v9 offset:944
	s_waitcnt vmcnt(28)
	v_fmac_f32_e32 v180, v143, v171
	v_add_f32_e32 v157, v157, v167
	v_add_f32_e32 v12, v12, v175
	v_fma_f32 v170, v142, v171, -v176
	s_waitcnt vmcnt(27) lgkmcnt(5)
	v_mul_f32_e32 v171, v2, v179
	v_mul_f32_e32 v162, v1, v179
	v_add_f32_e32 v157, v157, v177
	v_add_f32_e32 v12, v12, v181
	ds_read_b128 v[140:143], v9 offset:960
	ds_read_b64 v[10:11], v9 offset:976
	v_fma_f32 v1, v1, v169, -v171
	s_waitcnt vmcnt(26)
	v_mul_f32_e32 v176, v4, v178
	v_add_f32_e32 v157, v157, v165
	v_add_f32_e32 v12, v12, v170
	v_mul_f32_e32 v160, v3, v178
	v_fmac_f32_e32 v162, v2, v169
	s_waitcnt vmcnt(25) lgkmcnt(6)
	v_mul_f32_e32 v175, v145, v187
	v_add_f32_e32 v157, v157, v180
	v_fma_f32 v3, v3, v168, -v176
	v_add_f32_e32 v1, v12, v1
	v_mul_f32_e32 v172, v144, v187
	v_fmac_f32_e32 v160, v4, v168
	v_add_f32_e32 v12, v157, v162
	s_waitcnt vmcnt(24)
	v_mul_f32_e32 v167, v146, v158
	v_mul_f32_e32 v158, v147, v158
	v_fma_f32 v144, v144, v166, -v175
	v_add_f32_e32 v1, v1, v3
	v_fmac_f32_e32 v172, v145, v166
	v_add_f32_e32 v3, v12, v160
	s_waitcnt vmcnt(23) lgkmcnt(5)
	v_mul_f32_e32 v12, v6, v173
	v_mul_f32_e32 v2, v5, v173
	s_waitcnt vmcnt(9)
	v_fma_f32 v145, v146, v206, -v158
	v_add_f32_e32 v1, v1, v144
	v_fmac_f32_e32 v167, v147, v206
	v_add_f32_e32 v3, v3, v172
	v_mul_f32_e32 v144, v8, v174
	v_fma_f32 v5, v5, v205, -v12
	v_add_f32_e32 v1, v1, v145
	v_mul_f32_e32 v169, v7, v174
	v_fmac_f32_e32 v2, v6, v205
	v_add_f32_e32 v3, v3, v167
	s_waitcnt lgkmcnt(4)
	v_mul_f32_e32 v6, v149, v192
	v_fma_f32 v7, v7, v204, -v144
	v_add_f32_e32 v1, v1, v5
	v_mul_f32_e32 v171, v148, v192
	v_fmac_f32_e32 v169, v8, v204
	v_add_f32_e32 v2, v3, v2
	v_mul_f32_e32 v3, v151, v184
	v_fma_f32 v5, v148, v159, -v6
	v_add_f32_e32 v1, v1, v7
	v_mul_f32_e32 v4, v150, v184
	v_fmac_f32_e32 v171, v149, v159
	v_add_f32_e32 v2, v2, v169
	s_waitcnt lgkmcnt(3)
	v_mul_f32_e32 v6, v137, v195
	s_waitcnt vmcnt(5)
	v_fma_f32 v3, v150, v208, -v3
	v_add_f32_e32 v1, v1, v5
	v_mul_f32_e32 v168, v136, v195
	v_fmac_f32_e32 v4, v151, v208
	v_add_f32_e32 v2, v2, v171
	v_mul_f32_e32 v5, v139, v199
	v_fma_f32 v6, v136, v207, -v6
	v_add_f32_e32 v1, v1, v3
	v_mul_f32_e32 v165, v138, v199
	v_fmac_f32_e32 v168, v137, v207
	v_add_f32_e32 v2, v2, v4
	s_waitcnt lgkmcnt(2)
	v_mul_f32_e32 v3, v153, v200
	v_fma_f32 v4, v138, v163, -v5
	v_add_f32_e32 v1, v1, v6
	v_mul_f32_e32 v176, v152, v200
	v_fmac_f32_e32 v165, v139, v163
	v_add_f32_e32 v2, v2, v168
	v_mul_f32_e32 v5, v155, v201
	v_fma_f32 v3, v152, v161, -v3
	v_add_f32_e32 v1, v1, v4
	v_mul_f32_e32 v177, v154, v201
	v_fmac_f32_e32 v176, v153, v161
	v_add_f32_e32 v2, v2, v165
	s_waitcnt lgkmcnt(1)
	v_mul_f32_e32 v4, v141, v156
	s_waitcnt vmcnt(1)
	v_fma_f32 v5, v154, v211, -v5
	v_add_f32_e32 v1, v1, v3
	v_mul_f32_e32 v170, v140, v156
	v_fmac_f32_e32 v177, v155, v211
	v_add_f32_e32 v2, v2, v176
	v_mul_f32_e32 v3, v143, v202
	v_fma_f32 v4, v140, v210, -v4
	v_add_f32_e32 v1, v1, v5
	v_mul_f32_e32 v178, v142, v202
	v_fmac_f32_e32 v170, v141, v210
	v_add_f32_e32 v2, v2, v177
	s_waitcnt lgkmcnt(0)
	v_mul_f32_e32 v5, v11, v203
	v_fma_f32 v3, v142, v209, -v3
	v_add_f32_e32 v1, v1, v4
	v_mul_f32_e32 v157, v10, v203
	v_fmac_f32_e32 v178, v143, v209
	v_add_f32_e32 v2, v2, v170
	v_fma_f32 v4, v10, v164, -v5
	v_add_f32_e32 v1, v1, v3
	v_fmac_f32_e32 v157, v11, v164
	v_add_f32_e32 v2, v2, v178
	v_add_f32_e32 v1, v1, v4
	;; [unrolled: 1-line block ×3, first 2 shown]
	s_waitcnt vmcnt(0)
	v_sub_f32_e32 v1, v212, v1
	v_sub_f32_e32 v2, v188, v2
	buffer_store_dword v1, off, s[0:3], 0 offset:8
	buffer_store_dword v2, off, s[0:3], 0 offset:12
	v_cmpx_ne_u32_e32 0, v0
	s_cbranch_execz .LBB124_379
; %bb.378:
	s_clause 0x1
	buffer_load_dword v0, off, s[0:3], 0
	buffer_load_dword v1, off, s[0:3], 0 offset:4
	buffer_store_dword v9, off, s[0:3], 0
	buffer_store_dword v9, off, s[0:3], 0 offset:4
	s_waitcnt vmcnt(0)
	ds_write_b64 v135, v[0:1]
.LBB124_379:
	s_or_b32 exec_lo, exec_lo, s4
	s_waitcnt lgkmcnt(0)
	s_waitcnt_vscnt null, 0x0
	s_barrier
	buffer_gl0_inv
	s_clause 0x3c
	buffer_load_dword v169, off, s[0:3], 0 offset:12
	buffer_load_dword v0, off, s[0:3], 0 offset:24
	;; [unrolled: 1-line block ×61, first 2 shown]
	ds_read2_b64 v[185:188], v9 offset0:63 offset1:64
	ds_read2_b64 v[189:192], v9 offset0:65 offset1:66
	;; [unrolled: 1-line block ×3, first 2 shown]
	s_and_b32 vcc_lo, exec_lo, s16
	s_waitcnt vmcnt(60) lgkmcnt(2)
	v_mul_f32_e32 v179, v185, v169
	v_mul_f32_e32 v197, v186, v169
	buffer_load_dword v169, off, s[0:3], 0 offset:4
	s_waitcnt vmcnt(57)
	v_mul_f32_e32 v198, v187, v4
	v_mul_f32_e32 v4, v188, v4
	v_fmac_f32_e32 v179, v186, v5
	v_fma_f32 v197, v185, v5, -v197
	s_waitcnt vmcnt(56) lgkmcnt(1)
	v_mul_f32_e32 v200, v189, v3
	v_fmac_f32_e32 v198, v188, v2
	v_fma_f32 v199, v187, v2, -v4
	v_mul_f32_e32 v185, v190, v3
	ds_read2_b64 v[2:5], v9 offset0:69 offset1:70
	v_fmac_f32_e32 v200, v190, v0
	s_waitcnt vmcnt(50) lgkmcnt(1)
	v_mul_f32_e32 v204, v193, v135
	v_mul_f32_e32 v202, v191, v1
	v_fma_f32 v201, v189, v0, -v185
	v_mul_f32_e32 v0, v192, v1
	ds_read2_b64 v[185:188], v9 offset0:71 offset1:72
	v_fmac_f32_e32 v204, v194, v11
	v_fmac_f32_e32 v202, v192, v136
	v_fma_f32 v203, v191, v136, -v0
	v_mul_f32_e32 v0, v194, v135
	ds_read2_b64 v[189:192], v9 offset0:73 offset1:74
	v_fma_f32 v11, v193, v11, -v0
	s_waitcnt vmcnt(49)
	v_mul_f32_e32 v193, v195, v12
	v_mul_f32_e32 v0, v196, v12
	s_waitcnt vmcnt(48) lgkmcnt(2)
	v_mul_f32_e32 v12, v2, v10
	s_waitcnt vmcnt(47)
	v_mul_f32_e32 v194, v4, v7
	v_fmac_f32_e32 v193, v196, v8
	v_fma_f32 v8, v195, v8, -v0
	v_mul_f32_e32 v0, v3, v10
	v_fmac_f32_e32 v12, v3, v6
	s_waitcnt vmcnt(43)
	v_fmac_f32_e32 v194, v5, v144
	s_waitcnt vmcnt(42) lgkmcnt(1)
	v_mul_f32_e32 v195, v185, v143
	v_fma_f32 v10, v2, v6, -v0
	v_mul_f32_e32 v0, v5, v7
	v_fmac_f32_e32 v195, v186, v141
	s_waitcnt vmcnt(40) lgkmcnt(0)
	v_mul_f32_e32 v135, v190, v140
	v_fma_f32 v144, v4, v144, -v0
	v_mul_f32_e32 v4, v186, v143
	ds_read2_b64 v[0:3], v9 offset0:75 offset1:76
	v_mul_f32_e32 v143, v187, v142
	v_fma_f32 v141, v185, v141, -v4
	v_mul_f32_e32 v4, v188, v142
	v_fmac_f32_e32 v143, v188, v139
	v_mul_f32_e32 v142, v189, v140
	v_fma_f32 v140, v189, v137, -v135
	s_waitcnt vmcnt(39)
	v_mul_f32_e32 v185, v191, v138
	v_fma_f32 v139, v187, v139, -v4
	ds_read2_b64 v[4:7], v9 offset0:77 offset1:78
	v_mul_f32_e32 v135, v192, v138
	v_fmac_f32_e32 v142, v190, v137
	s_waitcnt vmcnt(35)
	v_fmac_f32_e32 v185, v192, v168
	v_fma_f32 v168, v191, v168, -v135
	ds_read2_b64 v[135:138], v9 offset0:79 offset1:80
	s_waitcnt vmcnt(34) lgkmcnt(2)
	v_mul_f32_e32 v186, v0, v167
	v_mul_f32_e32 v167, v1, v167
	v_fmac_f32_e32 v186, v1, v163
	v_fma_f32 v163, v0, v163, -v167
	s_waitcnt vmcnt(33)
	v_mul_f32_e32 v167, v2, v164
	v_mul_f32_e32 v0, v3, v164
	s_waitcnt vmcnt(32) lgkmcnt(1)
	v_mul_f32_e32 v164, v4, v161
	v_mul_f32_e32 v161, v5, v161
	v_fmac_f32_e32 v167, v3, v157
	v_fma_f32 v157, v2, v157, -v0
	ds_read2_b64 v[0:3], v9 offset0:81 offset1:82
	v_fmac_f32_e32 v164, v5, v149
	v_fma_f32 v149, v4, v149, -v161
	s_waitcnt vmcnt(31)
	v_mul_f32_e32 v161, v6, v155
	v_mul_f32_e32 v4, v7, v155
	s_waitcnt vmcnt(27)
	v_fmac_f32_e32 v161, v7, v166
	v_fma_f32 v155, v6, v166, -v4
	s_waitcnt vmcnt(26) lgkmcnt(1)
	v_mul_f32_e32 v166, v135, v165
	v_mul_f32_e32 v165, v136, v165
	ds_read2_b64 v[4:7], v9 offset0:83 offset1:84
	v_fmac_f32_e32 v166, v136, v158
	v_fma_f32 v158, v135, v158, -v165
	s_waitcnt vmcnt(25)
	v_mul_f32_e32 v165, v137, v159
	v_mul_f32_e32 v135, v138, v159
	s_waitcnt vmcnt(24) lgkmcnt(1)
	v_mul_f32_e32 v159, v0, v156
	v_mul_f32_e32 v156, v1, v156
	v_fmac_f32_e32 v165, v138, v152
	v_fma_f32 v152, v137, v152, -v135
	ds_read2_b64 v[135:138], v9 offset0:85 offset1:86
	v_fmac_f32_e32 v159, v1, v146
	v_fma_f32 v146, v0, v146, -v156
	s_waitcnt vmcnt(23)
	v_mul_f32_e32 v156, v2, v150
	v_mul_f32_e32 v0, v3, v150
	s_waitcnt vmcnt(19)
	v_fmac_f32_e32 v156, v3, v162
	v_fma_f32 v150, v2, v162, -v0
	s_waitcnt vmcnt(18) lgkmcnt(1)
	v_mul_f32_e32 v162, v4, v160
	v_mul_f32_e32 v160, v5, v160
	ds_read2_b64 v[0:3], v9 offset0:87 offset1:88
	v_fmac_f32_e32 v162, v5, v153
	v_fma_f32 v153, v4, v153, -v160
	s_waitcnt vmcnt(17)
	v_mul_f32_e32 v160, v6, v154
	v_mul_f32_e32 v4, v7, v154
	s_waitcnt vmcnt(16) lgkmcnt(1)
	v_mul_f32_e32 v154, v135, v151
	v_mul_f32_e32 v151, v136, v151
	v_fmac_f32_e32 v160, v7, v148
	v_fma_f32 v148, v6, v148, -v4
	ds_read2_b64 v[4:7], v9 offset0:89 offset1:90
	v_fmac_f32_e32 v154, v136, v145
	v_fma_f32 v145, v135, v145, -v151
	s_waitcnt vmcnt(15)
	v_mul_f32_e32 v151, v137, v147
	v_mul_f32_e32 v135, v138, v147
	s_waitcnt vmcnt(11)
	v_fmac_f32_e32 v151, v138, v177
	v_fma_f32 v147, v137, v177, -v135
	ds_read2_b64 v[135:138], v9 offset0:91 offset1:92
	s_waitcnt vmcnt(10) lgkmcnt(2)
	v_mul_f32_e32 v177, v0, v176
	v_mul_f32_e32 v176, v1, v176
	v_fmac_f32_e32 v177, v1, v174
	v_fma_f32 v174, v0, v174, -v176
	s_waitcnt vmcnt(9)
	v_mul_f32_e32 v176, v2, v175
	v_mul_f32_e32 v0, v3, v175
	s_waitcnt vmcnt(8) lgkmcnt(1)
	v_mul_f32_e32 v175, v4, v173
	s_waitcnt vmcnt(7)
	v_mul_f32_e32 v1, v7, v172
	v_fmac_f32_e32 v176, v3, v171
	v_fma_f32 v171, v2, v171, -v0
	v_mul_f32_e32 v0, v5, v173
	v_mul_f32_e32 v173, v6, v172
	buffer_load_dword v172, off, s[0:3], 0 offset:252
	v_fmac_f32_e32 v175, v5, v170
	v_fma_f32 v170, v4, v170, -v0
	s_waitcnt vmcnt(4)
	v_fmac_f32_e32 v173, v7, v184
	v_fma_f32 v184, v6, v184, -v1
	buffer_load_dword v6, off, s[0:3], 0 offset:260
	ds_read2_b64 v[0:3], v9 offset0:93 offset1:94
	s_waitcnt vmcnt(4) lgkmcnt(1)
	v_mul_f32_e32 v187, v135, v183
	v_mul_f32_e32 v4, v136, v183
	s_waitcnt vmcnt(3)
	v_mul_f32_e32 v183, v137, v182
	v_mul_f32_e32 v5, v138, v182
	v_add_f32_e32 v7, 0, v197
	v_fmac_f32_e32 v187, v136, v181
	v_fma_f32 v135, v135, v181, -v4
	v_fmac_f32_e32 v183, v138, v180
	v_fma_f32 v136, v137, v180, -v5
	s_clause 0x6
	buffer_load_dword v137, off, s[0:3], 0 offset:280
	buffer_load_dword v138, off, s[0:3], 0 offset:272
	;; [unrolled: 1-line block ×7, first 2 shown]
	v_add_f32_e32 v5, 0, v179
	s_clause 0x6
	buffer_load_dword v179, off, s[0:3], 0 offset:292
	buffer_load_dword v189, off, s[0:3], 0 offset:312
	;; [unrolled: 1-line block ×7, first 2 shown]
	v_add_f32_e32 v5, v5, v198
	v_add_f32_e32 v7, v7, v199
	;; [unrolled: 1-line block ×12, first 2 shown]
	s_clause 0x1
	buffer_load_dword v8, off, s[0:3], 0 offset:316
	buffer_load_dword v10, off, s[0:3], 0 offset:324
	v_add_f32_e32 v5, v5, v194
	v_add_f32_e32 v7, v7, v144
	s_clause 0x3
	buffer_load_dword v11, off, s[0:3], 0 offset:344
	buffer_load_dword v12, off, s[0:3], 0 offset:336
	;; [unrolled: 1-line block ×4, first 2 shown]
	v_add_f32_e32 v5, v5, v195
	v_add_f32_e32 v7, v7, v141
	s_clause 0x3
	buffer_load_dword v194, off, s[0:3], 0 offset:332
	buffer_load_dword v195, off, s[0:3], 0 offset:340
	;; [unrolled: 1-line block ×4, first 2 shown]
	v_add_f32_e32 v5, v5, v143
	v_add_f32_e32 v7, v7, v139
	;; [unrolled: 1-line block ×5, first 2 shown]
	s_waitcnt vmcnt(25) lgkmcnt(0)
	v_mul_f32_e32 v139, v0, v172
	v_mul_f32_e32 v141, v1, v172
	v_fmac_f32_e32 v139, v1, v178
	s_waitcnt vmcnt(24)
	v_mul_f32_e32 v140, v2, v6
	v_mul_f32_e32 v6, v3, v6
	v_fma_f32 v141, v0, v178, -v141
	s_waitcnt vmcnt(20)
	v_fmac_f32_e32 v140, v3, v4
	v_fma_f32 v142, v2, v4, -v6
	v_add_f32_e32 v4, v5, v185
	v_add_f32_e32 v5, v7, v163
	ds_read2_b64 v[0:3], v9 offset0:95 offset1:96
	s_clause 0x3
	buffer_load_dword v163, off, s[0:3], 0 offset:376
	buffer_load_dword v168, off, s[0:3], 0 offset:368
	;; [unrolled: 1-line block ×4, first 2 shown]
	v_add_f32_e32 v4, v4, v186
	v_add_f32_e32 v5, v5, v157
	;; [unrolled: 1-line block ×3, first 2 shown]
	s_clause 0x2
	buffer_load_dword v157, off, s[0:3], 0 offset:364
	buffer_load_dword v167, off, s[0:3], 0 offset:372
	;; [unrolled: 1-line block ×3, first 2 shown]
	v_add_f32_e32 v143, v5, v149
	v_add_f32_e32 v149, v4, v164
	ds_read2_b64 v[4:7], v9 offset0:97 offset1:98
	v_add_f32_e32 v143, v143, v155
	v_add_f32_e32 v149, v149, v161
	s_waitcnt vmcnt(26) lgkmcnt(1)
	v_mul_f32_e32 v164, v1, v181
	v_mul_f32_e32 v155, v0, v181
	v_add_f32_e32 v143, v143, v158
	s_waitcnt vmcnt(25)
	v_mul_f32_e32 v158, v3, v182
	v_mul_f32_e32 v161, v2, v182
	v_fma_f32 v164, v0, v180, -v164
	v_add_f32_e32 v0, v149, v166
	v_fmac_f32_e32 v155, v1, v180
	v_add_f32_e32 v1, v143, v152
	s_clause 0x3
	buffer_load_dword v152, off, s[0:3], 0 offset:388
	buffer_load_dword v166, off, s[0:3], 0 offset:396
	;; [unrolled: 1-line block ×4, first 2 shown]
	v_fma_f32 v143, v2, v138, -v158
	v_add_f32_e32 v0, v0, v165
	s_clause 0x3
	buffer_load_dword v158, off, s[0:3], 0 offset:420
	buffer_load_dword v165, off, s[0:3], 0 offset:428
	;; [unrolled: 1-line block ×4, first 2 shown]
	v_add_f32_e32 v1, v1, v146
	s_waitcnt vmcnt(32) lgkmcnt(0)
	v_mul_f32_e32 v146, v4, v188
	v_mul_f32_e32 v2, v5, v188
	v_add_f32_e32 v0, v0, v159
	s_clause 0x3
	buffer_load_dword v159, off, s[0:3], 0 offset:452
	buffer_load_dword v200, off, s[0:3], 0 offset:460
	;; [unrolled: 1-line block ×4, first 2 shown]
	v_add_f32_e32 v1, v1, v150
	v_fmac_f32_e32 v146, v5, v137
	v_fmac_f32_e32 v161, v3, v138
	v_add_f32_e32 v0, v0, v156
	v_fma_f32 v149, v4, v137, -v2
	v_add_f32_e32 v1, v1, v153
	buffer_load_dword v153, off, s[0:3], 0 offset:484
	v_add_f32_e32 v0, v0, v162
	s_clause 0x3
	buffer_load_dword v156, off, s[0:3], 0 offset:408
	buffer_load_dword v162, off, s[0:3], 0 offset:400
	;; [unrolled: 1-line block ×4, first 2 shown]
	v_add_f32_e32 v4, v1, v148
	s_waitcnt vmcnt(40)
	v_mul_f32_e32 v148, v6, v179
	v_add_f32_e32 v5, v0, v160
	v_mul_f32_e32 v0, v7, v179
	v_add_f32_e32 v4, v4, v145
	s_waitcnt vmcnt(36)
	v_fmac_f32_e32 v148, v7, v192
	v_add_f32_e32 v5, v5, v154
	v_fma_f32 v150, v6, v192, -v0
	ds_read2_b64 v[0:3], v9 offset0:99 offset1:100
	v_add_f32_e32 v4, v4, v147
	v_add_f32_e32 v5, v5, v151
	s_clause 0x3
	buffer_load_dword v151, off, s[0:3], 0 offset:440
	buffer_load_dword v154, off, s[0:3], 0 offset:432
	;; [unrolled: 1-line block ×4, first 2 shown]
	v_add_f32_e32 v4, v4, v174
	v_add_f32_e32 v137, v5, v177
	;; [unrolled: 1-line block ×3, first 2 shown]
	ds_read2_b64 v[4:7], v9 offset0:101 offset1:102
	v_add_f32_e32 v137, v137, v176
	v_add_f32_e32 v138, v138, v170
	s_waitcnt vmcnt(39) lgkmcnt(1)
	v_mul_f32_e32 v145, v1, v196
	v_mul_f32_e32 v171, v0, v196
	v_fma_f32 v147, v0, v191, -v145
	v_add_f32_e32 v0, v137, v175
	s_clause 0x4
	buffer_load_dword v170, off, s[0:3], 0 offset:472
	buffer_load_dword v174, off, s[0:3], 0 offset:464
	;; [unrolled: 1-line block ×4, first 2 shown]
	buffer_load_dword v177, off, s[0:3], 0
	v_fmac_f32_e32 v171, v1, v191
	v_add_f32_e32 v1, v138, v184
	v_add_f32_e32 v0, v0, v173
	buffer_load_dword v173, off, s[0:3], 0 offset:480
	s_waitcnt vmcnt(44)
	v_mul_f32_e32 v184, v2, v197
	v_add_f32_e32 v1, v1, v135
	v_add_f32_e32 v0, v0, v187
	v_mul_f32_e32 v135, v3, v197
	v_fmac_f32_e32 v184, v3, v190
	v_add_f32_e32 v136, v1, v136
	v_add_f32_e32 v145, v0, v183
	v_fma_f32 v187, v2, v190, -v135
	ds_read2_b64 v[0:3], v9 offset0:103 offset1:104
	s_waitcnt vmcnt(43) lgkmcnt(1)
	v_mul_f32_e32 v183, v4, v8
	v_add_f32_e32 v141, v136, v141
	ds_read2_b64 v[135:138], v9 offset0:105 offset1:106
	v_add_f32_e32 v139, v145, v139
	v_mul_f32_e32 v8, v5, v8
	s_waitcnt vmcnt(42)
	v_mul_f32_e32 v190, v6, v10
	v_add_f32_e32 v141, v141, v142
	v_mul_f32_e32 v10, v7, v10
	v_add_f32_e32 v145, v139, v140
	v_fmac_f32_e32 v183, v5, v189
	v_fma_f32 v8, v4, v189, -v8
	v_add_f32_e32 v164, v141, v164
	s_waitcnt vmcnt(38)
	v_fmac_f32_e32 v190, v7, v193
	v_add_f32_e32 v145, v145, v155
	v_fma_f32 v10, v6, v193, -v10
	ds_read2_b64 v[4:7], v9 offset0:107 offset1:108
	ds_read2_b64 v[139:142], v9 offset0:109 offset1:110
	v_add_f32_e32 v143, v164, v143
	v_add_f32_e32 v145, v145, v161
	s_waitcnt vmcnt(36) lgkmcnt(3)
	v_mul_f32_e32 v164, v2, v195
	v_mul_f32_e32 v191, v3, v195
	v_add_f32_e32 v143, v143, v149
	s_waitcnt vmcnt(35) lgkmcnt(2)
	v_mul_f32_e32 v161, v135, v198
	v_mul_f32_e32 v149, v136, v198
	v_fmac_f32_e32 v164, v3, v12
	v_fma_f32 v12, v2, v12, -v191
	v_add_f32_e32 v191, v145, v146
	v_add_f32_e32 v150, v143, v150
	v_mul_f32_e32 v155, v0, v194
	v_mul_f32_e32 v189, v1, v194
	v_fmac_f32_e32 v161, v136, v11
	v_fma_f32 v194, v135, v11, -v149
	v_add_f32_e32 v11, v191, v148
	v_add_f32_e32 v191, v150, v147
	v_fma_f32 v189, v0, v144, -v189
	v_fmac_f32_e32 v155, v1, v144
	s_waitcnt vmcnt(34)
	v_mul_f32_e32 v192, v137, v199
	v_add_f32_e32 v11, v11, v171
	v_add_f32_e32 v187, v191, v187
	v_mul_f32_e32 v193, v138, v199
	ds_read2_b64 v[0:3], v9 offset0:111 offset1:112
	ds_read2_b64 v[143:146], v9 offset0:113 offset1:114
	v_add_f32_e32 v11, v11, v184
	s_waitcnt vmcnt(30)
	v_fmac_f32_e32 v192, v138, v178
	v_fma_f32 v178, v137, v178, -v193
	ds_read2_b64 v[135:138], v9 offset0:115 offset1:116
	ds_read2_b64 v[147:150], v9 offset0:117 offset1:118
	s_waitcnt vmcnt(29) lgkmcnt(5)
	v_mul_f32_e32 v171, v4, v157
	v_mul_f32_e32 v157, v5, v157
	s_waitcnt vmcnt(28)
	v_mul_f32_e32 v191, v6, v167
	v_mul_f32_e32 v167, v7, v167
	s_waitcnt vmcnt(27) lgkmcnt(4)
	v_mul_f32_e32 v184, v140, v185
	v_fmac_f32_e32 v171, v5, v172
	v_add_f32_e32 v5, v187, v8
	v_fma_f32 v157, v4, v172, -v157
	v_add_f32_e32 v172, v11, v183
	v_fmac_f32_e32 v191, v7, v168
	v_fma_f32 v167, v6, v168, -v167
	v_add_f32_e32 v168, v5, v10
	v_mul_f32_e32 v183, v139, v185
	v_add_f32_e32 v172, v172, v190
	v_fma_f32 v139, v139, v163, -v184
	ds_read2_b64 v[4:7], v9 offset0:119 offset1:120
	ds_read2_b64 v[8:11], v9 offset0:121 offset1:122
	v_add_f32_e32 v168, v168, v189
	v_fmac_f32_e32 v183, v140, v163
	v_add_f32_e32 v155, v172, v155
	s_waitcnt vmcnt(26)
	v_mul_f32_e32 v185, v141, v152
	v_mul_f32_e32 v152, v142, v152
	v_add_f32_e32 v12, v168, v12
	s_waitcnt vmcnt(25) lgkmcnt(5)
	v_mul_f32_e32 v172, v0, v166
	v_add_f32_e32 v155, v155, v164
	s_waitcnt vmcnt(24)
	v_mul_f32_e32 v168, v2, v180
	s_waitcnt vmcnt(23) lgkmcnt(4)
	v_mul_f32_e32 v164, v143, v181
	v_add_f32_e32 v12, v12, v194
	s_waitcnt vmcnt(22)
	v_mul_f32_e32 v187, v145, v158
	v_add_f32_e32 v155, v155, v161
	s_waitcnt vmcnt(21) lgkmcnt(3)
	v_mul_f32_e32 v189, v135, v165
	s_waitcnt vmcnt(20)
	v_mul_f32_e32 v161, v137, v182
	v_add_f32_e32 v12, v12, v178
	s_waitcnt vmcnt(19) lgkmcnt(2)
	v_mul_f32_e32 v190, v147, v186
	v_add_f32_e32 v155, v155, v192
	s_waitcnt vmcnt(18)
	v_mul_f32_e32 v178, v149, v159
	s_waitcnt vmcnt(17) lgkmcnt(1)
	v_mul_f32_e32 v192, v4, v200
	v_add_f32_e32 v12, v12, v157
	s_waitcnt vmcnt(13)
	v_fmac_f32_e32 v164, v144, v156
	v_add_f32_e32 v155, v155, v171
	s_waitcnt vmcnt(11)
	v_fmac_f32_e32 v172, v1, v188
	s_waitcnt vmcnt(10)
	v_fma_f32 v141, v141, v203, -v152
	v_add_f32_e32 v12, v12, v167
	v_fmac_f32_e32 v185, v142, v203
	v_add_f32_e32 v140, v155, v191
	v_mul_f32_e32 v155, v1, v166
	v_fmac_f32_e32 v168, v3, v162
	v_add_f32_e32 v12, v12, v139
	v_mul_f32_e32 v193, v6, v201
	v_add_f32_e32 v139, v140, v183
	v_mul_f32_e32 v140, v3, v180
	v_fma_f32 v0, v0, v188, -v155
	v_add_f32_e32 v1, v12, v141
	v_mul_f32_e32 v3, v146, v158
	v_add_f32_e32 v12, v139, v185
	v_mul_f32_e32 v139, v144, v181
	v_fma_f32 v2, v2, v162, -v140
	v_add_f32_e32 v0, v1, v0
	s_waitcnt vmcnt(6)
	v_fma_f32 v3, v145, v179, -v3
	v_add_f32_e32 v1, v12, v172
	v_fma_f32 v12, v143, v156, -v139
	v_fmac_f32_e32 v187, v146, v179
	v_add_f32_e32 v0, v0, v2
	v_mul_f32_e32 v2, v136, v165
	v_add_f32_e32 v1, v1, v168
	v_fmac_f32_e32 v189, v136, v160
	v_fmac_f32_e32 v161, v138, v154
	v_add_f32_e32 v0, v0, v12
	v_mul_f32_e32 v12, v138, v182
	v_add_f32_e32 v1, v1, v164
	v_fma_f32 v2, v135, v160, -v2
	v_fmac_f32_e32 v190, v148, v151
	v_add_f32_e32 v0, v0, v3
	v_mul_f32_e32 v3, v148, v186
	v_add_f32_e32 v1, v1, v187
	v_fma_f32 v12, v137, v154, -v12
	s_waitcnt lgkmcnt(0)
	v_mul_f32_e32 v157, v8, v202
	v_add_f32_e32 v0, v0, v2
	v_mul_f32_e32 v2, v150, v159
	v_add_f32_e32 v1, v1, v189
	v_fma_f32 v3, v147, v151, -v3
	s_waitcnt vmcnt(2)
	v_fmac_f32_e32 v178, v150, v176
	v_add_f32_e32 v0, v0, v12
	v_mul_f32_e32 v12, v5, v200
	v_add_f32_e32 v1, v1, v161
	v_fma_f32 v2, v149, v176, -v2
	v_fmac_f32_e32 v192, v5, v175
	v_add_f32_e32 v0, v0, v3
	v_mul_f32_e32 v3, v7, v201
	v_add_f32_e32 v1, v1, v190
	v_fma_f32 v4, v4, v175, -v12
	;; [unrolled: 5-line block ×3, first 2 shown]
	v_mul_f32_e32 v171, v10, v153
	v_add_f32_e32 v0, v0, v4
	v_mul_f32_e32 v4, v11, v153
	v_add_f32_e32 v1, v1, v192
	v_fma_f32 v2, v8, v170, -v2
	v_fmac_f32_e32 v157, v9, v170
	v_add_f32_e32 v0, v0, v3
	s_waitcnt vmcnt(0)
	v_fma_f32 v3, v10, v173, -v4
	v_add_f32_e32 v1, v1, v193
	v_fmac_f32_e32 v171, v11, v173
	v_add_f32_e32 v0, v0, v2
	v_add_f32_e32 v1, v1, v157
	;; [unrolled: 1-line block ×4, first 2 shown]
	v_sub_f32_e32 v0, v177, v0
	v_sub_f32_e32 v1, v169, v1
	buffer_store_dword v0, off, s[0:3], 0
	buffer_store_dword v1, off, s[0:3], 0 offset:4
	s_cbranch_vccz .LBB124_500
; %bb.380:
	v_mov_b32_e32 v0, 0
	global_load_dword v1, v0, s[12:13] offset:236
	s_waitcnt vmcnt(0)
	v_add_nc_u32_e32 v1, -1, v1
	v_cmp_ne_u32_e32 vcc_lo, 59, v1
	s_cbranch_vccz .LBB124_382
; %bb.381:
	v_lshlrev_b32_e32 v1, 3, v1
	s_clause 0x3
	buffer_load_dword v2, v1, s[0:3], 0 offen
	buffer_load_dword v3, v1, s[0:3], 0 offen offset:4
	buffer_load_dword v4, off, s[0:3], 0 offset:472
	buffer_load_dword v5, off, s[0:3], 0 offset:476
	s_waitcnt vmcnt(3)
	buffer_store_dword v2, off, s[0:3], 0 offset:472
	s_waitcnt vmcnt(2)
	buffer_store_dword v3, off, s[0:3], 0 offset:476
	s_waitcnt vmcnt(1)
	buffer_store_dword v4, v1, s[0:3], 0 offen
	s_waitcnt vmcnt(0)
	buffer_store_dword v5, v1, s[0:3], 0 offen offset:4
.LBB124_382:
	global_load_dword v0, v0, s[12:13] offset:232
	s_waitcnt vmcnt(0)
	v_add_nc_u32_e32 v0, -1, v0
	v_cmp_eq_u32_e32 vcc_lo, 58, v0
	s_cbranch_vccnz .LBB124_384
; %bb.383:
	v_lshlrev_b32_e32 v0, 3, v0
	s_clause 0x3
	buffer_load_dword v1, v0, s[0:3], 0 offen
	buffer_load_dword v2, v0, s[0:3], 0 offen offset:4
	buffer_load_dword v3, off, s[0:3], 0 offset:468
	buffer_load_dword v4, off, s[0:3], 0 offset:464
	s_waitcnt vmcnt(3)
	buffer_store_dword v1, off, s[0:3], 0 offset:464
	s_waitcnt vmcnt(2)
	buffer_store_dword v2, off, s[0:3], 0 offset:468
	s_waitcnt vmcnt(1)
	buffer_store_dword v3, v0, s[0:3], 0 offen offset:4
	s_waitcnt vmcnt(0)
	buffer_store_dword v4, v0, s[0:3], 0 offen
.LBB124_384:
	v_mov_b32_e32 v0, 0
	global_load_dword v1, v0, s[12:13] offset:228
	s_waitcnt vmcnt(0)
	v_add_nc_u32_e32 v1, -1, v1
	v_cmp_eq_u32_e32 vcc_lo, 57, v1
	s_cbranch_vccnz .LBB124_386
; %bb.385:
	v_lshlrev_b32_e32 v1, 3, v1
	s_clause 0x3
	buffer_load_dword v2, v1, s[0:3], 0 offen
	buffer_load_dword v3, v1, s[0:3], 0 offen offset:4
	buffer_load_dword v4, off, s[0:3], 0 offset:456
	buffer_load_dword v5, off, s[0:3], 0 offset:460
	s_waitcnt vmcnt(3)
	buffer_store_dword v2, off, s[0:3], 0 offset:456
	s_waitcnt vmcnt(2)
	buffer_store_dword v3, off, s[0:3], 0 offset:460
	s_waitcnt vmcnt(1)
	buffer_store_dword v4, v1, s[0:3], 0 offen
	s_waitcnt vmcnt(0)
	buffer_store_dword v5, v1, s[0:3], 0 offen offset:4
.LBB124_386:
	global_load_dword v0, v0, s[12:13] offset:224
	s_waitcnt vmcnt(0)
	v_add_nc_u32_e32 v0, -1, v0
	v_cmp_eq_u32_e32 vcc_lo, 56, v0
	s_cbranch_vccnz .LBB124_388
; %bb.387:
	v_lshlrev_b32_e32 v0, 3, v0
	s_clause 0x3
	buffer_load_dword v1, v0, s[0:3], 0 offen
	buffer_load_dword v2, v0, s[0:3], 0 offen offset:4
	buffer_load_dword v3, off, s[0:3], 0 offset:452
	buffer_load_dword v4, off, s[0:3], 0 offset:448
	s_waitcnt vmcnt(3)
	buffer_store_dword v1, off, s[0:3], 0 offset:448
	s_waitcnt vmcnt(2)
	buffer_store_dword v2, off, s[0:3], 0 offset:452
	s_waitcnt vmcnt(1)
	buffer_store_dword v3, v0, s[0:3], 0 offen offset:4
	s_waitcnt vmcnt(0)
	buffer_store_dword v4, v0, s[0:3], 0 offen
.LBB124_388:
	v_mov_b32_e32 v0, 0
	global_load_dword v1, v0, s[12:13] offset:220
	s_waitcnt vmcnt(0)
	v_add_nc_u32_e32 v1, -1, v1
	v_cmp_eq_u32_e32 vcc_lo, 55, v1
	s_cbranch_vccnz .LBB124_390
; %bb.389:
	v_lshlrev_b32_e32 v1, 3, v1
	s_clause 0x3
	buffer_load_dword v2, v1, s[0:3], 0 offen
	buffer_load_dword v3, v1, s[0:3], 0 offen offset:4
	buffer_load_dword v4, off, s[0:3], 0 offset:440
	buffer_load_dword v5, off, s[0:3], 0 offset:444
	s_waitcnt vmcnt(3)
	buffer_store_dword v2, off, s[0:3], 0 offset:440
	s_waitcnt vmcnt(2)
	buffer_store_dword v3, off, s[0:3], 0 offset:444
	s_waitcnt vmcnt(1)
	buffer_store_dword v4, v1, s[0:3], 0 offen
	s_waitcnt vmcnt(0)
	buffer_store_dword v5, v1, s[0:3], 0 offen offset:4
.LBB124_390:
	global_load_dword v0, v0, s[12:13] offset:216
	s_waitcnt vmcnt(0)
	v_add_nc_u32_e32 v0, -1, v0
	v_cmp_eq_u32_e32 vcc_lo, 54, v0
	s_cbranch_vccnz .LBB124_392
; %bb.391:
	v_lshlrev_b32_e32 v0, 3, v0
	s_clause 0x3
	buffer_load_dword v1, v0, s[0:3], 0 offen
	buffer_load_dword v2, v0, s[0:3], 0 offen offset:4
	buffer_load_dword v3, off, s[0:3], 0 offset:436
	buffer_load_dword v4, off, s[0:3], 0 offset:432
	s_waitcnt vmcnt(3)
	buffer_store_dword v1, off, s[0:3], 0 offset:432
	s_waitcnt vmcnt(2)
	buffer_store_dword v2, off, s[0:3], 0 offset:436
	s_waitcnt vmcnt(1)
	buffer_store_dword v3, v0, s[0:3], 0 offen offset:4
	s_waitcnt vmcnt(0)
	buffer_store_dword v4, v0, s[0:3], 0 offen
.LBB124_392:
	v_mov_b32_e32 v0, 0
	global_load_dword v1, v0, s[12:13] offset:212
	s_waitcnt vmcnt(0)
	v_add_nc_u32_e32 v1, -1, v1
	v_cmp_eq_u32_e32 vcc_lo, 53, v1
	s_cbranch_vccnz .LBB124_394
; %bb.393:
	v_lshlrev_b32_e32 v1, 3, v1
	s_clause 0x3
	buffer_load_dword v2, v1, s[0:3], 0 offen
	buffer_load_dword v3, v1, s[0:3], 0 offen offset:4
	buffer_load_dword v4, off, s[0:3], 0 offset:424
	buffer_load_dword v5, off, s[0:3], 0 offset:428
	s_waitcnt vmcnt(3)
	buffer_store_dword v2, off, s[0:3], 0 offset:424
	s_waitcnt vmcnt(2)
	buffer_store_dword v3, off, s[0:3], 0 offset:428
	s_waitcnt vmcnt(1)
	buffer_store_dword v4, v1, s[0:3], 0 offen
	s_waitcnt vmcnt(0)
	buffer_store_dword v5, v1, s[0:3], 0 offen offset:4
.LBB124_394:
	global_load_dword v0, v0, s[12:13] offset:208
	s_waitcnt vmcnt(0)
	v_add_nc_u32_e32 v0, -1, v0
	v_cmp_eq_u32_e32 vcc_lo, 52, v0
	s_cbranch_vccnz .LBB124_396
; %bb.395:
	v_lshlrev_b32_e32 v0, 3, v0
	s_clause 0x3
	buffer_load_dword v1, v0, s[0:3], 0 offen
	buffer_load_dword v2, v0, s[0:3], 0 offen offset:4
	buffer_load_dword v3, off, s[0:3], 0 offset:420
	buffer_load_dword v4, off, s[0:3], 0 offset:416
	s_waitcnt vmcnt(3)
	buffer_store_dword v1, off, s[0:3], 0 offset:416
	s_waitcnt vmcnt(2)
	buffer_store_dword v2, off, s[0:3], 0 offset:420
	s_waitcnt vmcnt(1)
	buffer_store_dword v3, v0, s[0:3], 0 offen offset:4
	s_waitcnt vmcnt(0)
	buffer_store_dword v4, v0, s[0:3], 0 offen
.LBB124_396:
	v_mov_b32_e32 v0, 0
	global_load_dword v1, v0, s[12:13] offset:204
	s_waitcnt vmcnt(0)
	v_add_nc_u32_e32 v1, -1, v1
	v_cmp_eq_u32_e32 vcc_lo, 51, v1
	s_cbranch_vccnz .LBB124_398
; %bb.397:
	v_lshlrev_b32_e32 v1, 3, v1
	s_clause 0x3
	buffer_load_dword v2, v1, s[0:3], 0 offen
	buffer_load_dword v3, v1, s[0:3], 0 offen offset:4
	buffer_load_dword v4, off, s[0:3], 0 offset:408
	buffer_load_dword v5, off, s[0:3], 0 offset:412
	s_waitcnt vmcnt(3)
	buffer_store_dword v2, off, s[0:3], 0 offset:408
	s_waitcnt vmcnt(2)
	buffer_store_dword v3, off, s[0:3], 0 offset:412
	s_waitcnt vmcnt(1)
	buffer_store_dword v4, v1, s[0:3], 0 offen
	s_waitcnt vmcnt(0)
	buffer_store_dword v5, v1, s[0:3], 0 offen offset:4
.LBB124_398:
	global_load_dword v0, v0, s[12:13] offset:200
	s_waitcnt vmcnt(0)
	v_add_nc_u32_e32 v0, -1, v0
	v_cmp_eq_u32_e32 vcc_lo, 50, v0
	s_cbranch_vccnz .LBB124_400
; %bb.399:
	v_lshlrev_b32_e32 v0, 3, v0
	s_clause 0x3
	buffer_load_dword v1, v0, s[0:3], 0 offen
	buffer_load_dword v2, v0, s[0:3], 0 offen offset:4
	buffer_load_dword v3, off, s[0:3], 0 offset:404
	buffer_load_dword v4, off, s[0:3], 0 offset:400
	s_waitcnt vmcnt(3)
	buffer_store_dword v1, off, s[0:3], 0 offset:400
	s_waitcnt vmcnt(2)
	buffer_store_dword v2, off, s[0:3], 0 offset:404
	s_waitcnt vmcnt(1)
	buffer_store_dword v3, v0, s[0:3], 0 offen offset:4
	s_waitcnt vmcnt(0)
	buffer_store_dword v4, v0, s[0:3], 0 offen
.LBB124_400:
	v_mov_b32_e32 v0, 0
	global_load_dword v1, v0, s[12:13] offset:196
	s_waitcnt vmcnt(0)
	v_add_nc_u32_e32 v1, -1, v1
	v_cmp_eq_u32_e32 vcc_lo, 49, v1
	s_cbranch_vccnz .LBB124_402
; %bb.401:
	v_lshlrev_b32_e32 v1, 3, v1
	s_clause 0x3
	buffer_load_dword v2, v1, s[0:3], 0 offen
	buffer_load_dword v3, v1, s[0:3], 0 offen offset:4
	buffer_load_dword v4, off, s[0:3], 0 offset:392
	buffer_load_dword v5, off, s[0:3], 0 offset:396
	s_waitcnt vmcnt(3)
	buffer_store_dword v2, off, s[0:3], 0 offset:392
	s_waitcnt vmcnt(2)
	buffer_store_dword v3, off, s[0:3], 0 offset:396
	s_waitcnt vmcnt(1)
	buffer_store_dword v4, v1, s[0:3], 0 offen
	s_waitcnt vmcnt(0)
	buffer_store_dword v5, v1, s[0:3], 0 offen offset:4
.LBB124_402:
	global_load_dword v0, v0, s[12:13] offset:192
	s_waitcnt vmcnt(0)
	v_add_nc_u32_e32 v0, -1, v0
	v_cmp_eq_u32_e32 vcc_lo, 48, v0
	s_cbranch_vccnz .LBB124_404
; %bb.403:
	v_lshlrev_b32_e32 v0, 3, v0
	s_clause 0x3
	buffer_load_dword v1, v0, s[0:3], 0 offen
	buffer_load_dword v2, v0, s[0:3], 0 offen offset:4
	buffer_load_dword v3, off, s[0:3], 0 offset:388
	buffer_load_dword v4, off, s[0:3], 0 offset:384
	s_waitcnt vmcnt(3)
	buffer_store_dword v1, off, s[0:3], 0 offset:384
	s_waitcnt vmcnt(2)
	buffer_store_dword v2, off, s[0:3], 0 offset:388
	s_waitcnt vmcnt(1)
	buffer_store_dword v3, v0, s[0:3], 0 offen offset:4
	s_waitcnt vmcnt(0)
	buffer_store_dword v4, v0, s[0:3], 0 offen
.LBB124_404:
	v_mov_b32_e32 v0, 0
	global_load_dword v1, v0, s[12:13] offset:188
	s_waitcnt vmcnt(0)
	v_add_nc_u32_e32 v1, -1, v1
	v_cmp_eq_u32_e32 vcc_lo, 47, v1
	s_cbranch_vccnz .LBB124_406
; %bb.405:
	v_lshlrev_b32_e32 v1, 3, v1
	s_clause 0x3
	buffer_load_dword v2, v1, s[0:3], 0 offen
	buffer_load_dword v3, v1, s[0:3], 0 offen offset:4
	buffer_load_dword v4, off, s[0:3], 0 offset:376
	buffer_load_dword v5, off, s[0:3], 0 offset:380
	s_waitcnt vmcnt(3)
	buffer_store_dword v2, off, s[0:3], 0 offset:376
	s_waitcnt vmcnt(2)
	buffer_store_dword v3, off, s[0:3], 0 offset:380
	s_waitcnt vmcnt(1)
	buffer_store_dword v4, v1, s[0:3], 0 offen
	s_waitcnt vmcnt(0)
	buffer_store_dword v5, v1, s[0:3], 0 offen offset:4
.LBB124_406:
	global_load_dword v0, v0, s[12:13] offset:184
	s_waitcnt vmcnt(0)
	v_add_nc_u32_e32 v0, -1, v0
	v_cmp_eq_u32_e32 vcc_lo, 46, v0
	s_cbranch_vccnz .LBB124_408
; %bb.407:
	v_lshlrev_b32_e32 v0, 3, v0
	s_clause 0x3
	buffer_load_dword v1, v0, s[0:3], 0 offen
	buffer_load_dword v2, v0, s[0:3], 0 offen offset:4
	buffer_load_dword v3, off, s[0:3], 0 offset:372
	buffer_load_dword v4, off, s[0:3], 0 offset:368
	s_waitcnt vmcnt(3)
	buffer_store_dword v1, off, s[0:3], 0 offset:368
	s_waitcnt vmcnt(2)
	buffer_store_dword v2, off, s[0:3], 0 offset:372
	s_waitcnt vmcnt(1)
	buffer_store_dword v3, v0, s[0:3], 0 offen offset:4
	s_waitcnt vmcnt(0)
	buffer_store_dword v4, v0, s[0:3], 0 offen
.LBB124_408:
	v_mov_b32_e32 v0, 0
	global_load_dword v1, v0, s[12:13] offset:180
	s_waitcnt vmcnt(0)
	v_add_nc_u32_e32 v1, -1, v1
	v_cmp_eq_u32_e32 vcc_lo, 45, v1
	s_cbranch_vccnz .LBB124_410
; %bb.409:
	v_lshlrev_b32_e32 v1, 3, v1
	s_clause 0x3
	buffer_load_dword v2, v1, s[0:3], 0 offen
	buffer_load_dword v3, v1, s[0:3], 0 offen offset:4
	buffer_load_dword v4, off, s[0:3], 0 offset:360
	buffer_load_dword v5, off, s[0:3], 0 offset:364
	s_waitcnt vmcnt(3)
	buffer_store_dword v2, off, s[0:3], 0 offset:360
	s_waitcnt vmcnt(2)
	buffer_store_dword v3, off, s[0:3], 0 offset:364
	s_waitcnt vmcnt(1)
	buffer_store_dword v4, v1, s[0:3], 0 offen
	s_waitcnt vmcnt(0)
	buffer_store_dword v5, v1, s[0:3], 0 offen offset:4
.LBB124_410:
	global_load_dword v0, v0, s[12:13] offset:176
	s_waitcnt vmcnt(0)
	v_add_nc_u32_e32 v0, -1, v0
	v_cmp_eq_u32_e32 vcc_lo, 44, v0
	s_cbranch_vccnz .LBB124_412
; %bb.411:
	v_lshlrev_b32_e32 v0, 3, v0
	s_clause 0x3
	buffer_load_dword v1, v0, s[0:3], 0 offen
	buffer_load_dword v2, v0, s[0:3], 0 offen offset:4
	buffer_load_dword v3, off, s[0:3], 0 offset:356
	buffer_load_dword v4, off, s[0:3], 0 offset:352
	s_waitcnt vmcnt(3)
	buffer_store_dword v1, off, s[0:3], 0 offset:352
	s_waitcnt vmcnt(2)
	buffer_store_dword v2, off, s[0:3], 0 offset:356
	s_waitcnt vmcnt(1)
	buffer_store_dword v3, v0, s[0:3], 0 offen offset:4
	s_waitcnt vmcnt(0)
	buffer_store_dword v4, v0, s[0:3], 0 offen
.LBB124_412:
	v_mov_b32_e32 v0, 0
	global_load_dword v1, v0, s[12:13] offset:172
	s_waitcnt vmcnt(0)
	v_add_nc_u32_e32 v1, -1, v1
	v_cmp_eq_u32_e32 vcc_lo, 43, v1
	s_cbranch_vccnz .LBB124_414
; %bb.413:
	v_lshlrev_b32_e32 v1, 3, v1
	s_clause 0x3
	buffer_load_dword v2, v1, s[0:3], 0 offen
	buffer_load_dword v3, v1, s[0:3], 0 offen offset:4
	buffer_load_dword v4, off, s[0:3], 0 offset:344
	buffer_load_dword v5, off, s[0:3], 0 offset:348
	s_waitcnt vmcnt(3)
	buffer_store_dword v2, off, s[0:3], 0 offset:344
	s_waitcnt vmcnt(2)
	buffer_store_dword v3, off, s[0:3], 0 offset:348
	s_waitcnt vmcnt(1)
	buffer_store_dword v4, v1, s[0:3], 0 offen
	s_waitcnt vmcnt(0)
	buffer_store_dword v5, v1, s[0:3], 0 offen offset:4
.LBB124_414:
	global_load_dword v0, v0, s[12:13] offset:168
	s_waitcnt vmcnt(0)
	v_add_nc_u32_e32 v0, -1, v0
	v_cmp_eq_u32_e32 vcc_lo, 42, v0
	s_cbranch_vccnz .LBB124_416
; %bb.415:
	v_lshlrev_b32_e32 v0, 3, v0
	s_clause 0x3
	buffer_load_dword v1, v0, s[0:3], 0 offen
	buffer_load_dword v2, v0, s[0:3], 0 offen offset:4
	buffer_load_dword v3, off, s[0:3], 0 offset:340
	buffer_load_dword v4, off, s[0:3], 0 offset:336
	s_waitcnt vmcnt(3)
	buffer_store_dword v1, off, s[0:3], 0 offset:336
	s_waitcnt vmcnt(2)
	buffer_store_dword v2, off, s[0:3], 0 offset:340
	s_waitcnt vmcnt(1)
	buffer_store_dword v3, v0, s[0:3], 0 offen offset:4
	s_waitcnt vmcnt(0)
	buffer_store_dword v4, v0, s[0:3], 0 offen
.LBB124_416:
	v_mov_b32_e32 v0, 0
	global_load_dword v1, v0, s[12:13] offset:164
	s_waitcnt vmcnt(0)
	v_add_nc_u32_e32 v1, -1, v1
	v_cmp_eq_u32_e32 vcc_lo, 41, v1
	s_cbranch_vccnz .LBB124_418
; %bb.417:
	v_lshlrev_b32_e32 v1, 3, v1
	s_clause 0x3
	buffer_load_dword v2, v1, s[0:3], 0 offen
	buffer_load_dword v3, v1, s[0:3], 0 offen offset:4
	buffer_load_dword v4, off, s[0:3], 0 offset:328
	buffer_load_dword v5, off, s[0:3], 0 offset:332
	s_waitcnt vmcnt(3)
	buffer_store_dword v2, off, s[0:3], 0 offset:328
	s_waitcnt vmcnt(2)
	buffer_store_dword v3, off, s[0:3], 0 offset:332
	s_waitcnt vmcnt(1)
	buffer_store_dword v4, v1, s[0:3], 0 offen
	s_waitcnt vmcnt(0)
	buffer_store_dword v5, v1, s[0:3], 0 offen offset:4
.LBB124_418:
	global_load_dword v0, v0, s[12:13] offset:160
	s_waitcnt vmcnt(0)
	v_add_nc_u32_e32 v0, -1, v0
	v_cmp_eq_u32_e32 vcc_lo, 40, v0
	s_cbranch_vccnz .LBB124_420
; %bb.419:
	v_lshlrev_b32_e32 v0, 3, v0
	s_clause 0x3
	buffer_load_dword v1, v0, s[0:3], 0 offen
	buffer_load_dword v2, v0, s[0:3], 0 offen offset:4
	buffer_load_dword v3, off, s[0:3], 0 offset:324
	buffer_load_dword v4, off, s[0:3], 0 offset:320
	s_waitcnt vmcnt(3)
	buffer_store_dword v1, off, s[0:3], 0 offset:320
	s_waitcnt vmcnt(2)
	buffer_store_dword v2, off, s[0:3], 0 offset:324
	s_waitcnt vmcnt(1)
	buffer_store_dword v3, v0, s[0:3], 0 offen offset:4
	s_waitcnt vmcnt(0)
	buffer_store_dword v4, v0, s[0:3], 0 offen
.LBB124_420:
	v_mov_b32_e32 v0, 0
	global_load_dword v1, v0, s[12:13] offset:156
	s_waitcnt vmcnt(0)
	v_add_nc_u32_e32 v1, -1, v1
	v_cmp_eq_u32_e32 vcc_lo, 39, v1
	s_cbranch_vccnz .LBB124_422
; %bb.421:
	v_lshlrev_b32_e32 v1, 3, v1
	s_clause 0x3
	buffer_load_dword v2, v1, s[0:3], 0 offen
	buffer_load_dword v3, v1, s[0:3], 0 offen offset:4
	buffer_load_dword v4, off, s[0:3], 0 offset:312
	buffer_load_dword v5, off, s[0:3], 0 offset:316
	s_waitcnt vmcnt(3)
	buffer_store_dword v2, off, s[0:3], 0 offset:312
	s_waitcnt vmcnt(2)
	buffer_store_dword v3, off, s[0:3], 0 offset:316
	s_waitcnt vmcnt(1)
	buffer_store_dword v4, v1, s[0:3], 0 offen
	s_waitcnt vmcnt(0)
	buffer_store_dword v5, v1, s[0:3], 0 offen offset:4
.LBB124_422:
	global_load_dword v0, v0, s[12:13] offset:152
	s_waitcnt vmcnt(0)
	v_add_nc_u32_e32 v0, -1, v0
	v_cmp_eq_u32_e32 vcc_lo, 38, v0
	s_cbranch_vccnz .LBB124_424
; %bb.423:
	v_lshlrev_b32_e32 v0, 3, v0
	s_clause 0x3
	buffer_load_dword v1, v0, s[0:3], 0 offen
	buffer_load_dword v2, v0, s[0:3], 0 offen offset:4
	buffer_load_dword v3, off, s[0:3], 0 offset:308
	buffer_load_dword v4, off, s[0:3], 0 offset:304
	s_waitcnt vmcnt(3)
	buffer_store_dword v1, off, s[0:3], 0 offset:304
	s_waitcnt vmcnt(2)
	buffer_store_dword v2, off, s[0:3], 0 offset:308
	s_waitcnt vmcnt(1)
	buffer_store_dword v3, v0, s[0:3], 0 offen offset:4
	s_waitcnt vmcnt(0)
	buffer_store_dword v4, v0, s[0:3], 0 offen
.LBB124_424:
	v_mov_b32_e32 v0, 0
	global_load_dword v1, v0, s[12:13] offset:148
	s_waitcnt vmcnt(0)
	v_add_nc_u32_e32 v1, -1, v1
	v_cmp_eq_u32_e32 vcc_lo, 37, v1
	s_cbranch_vccnz .LBB124_426
; %bb.425:
	v_lshlrev_b32_e32 v1, 3, v1
	s_clause 0x3
	buffer_load_dword v2, v1, s[0:3], 0 offen
	buffer_load_dword v3, v1, s[0:3], 0 offen offset:4
	buffer_load_dword v4, off, s[0:3], 0 offset:296
	buffer_load_dword v5, off, s[0:3], 0 offset:300
	s_waitcnt vmcnt(3)
	buffer_store_dword v2, off, s[0:3], 0 offset:296
	s_waitcnt vmcnt(2)
	buffer_store_dword v3, off, s[0:3], 0 offset:300
	s_waitcnt vmcnt(1)
	buffer_store_dword v4, v1, s[0:3], 0 offen
	s_waitcnt vmcnt(0)
	buffer_store_dword v5, v1, s[0:3], 0 offen offset:4
.LBB124_426:
	global_load_dword v0, v0, s[12:13] offset:144
	s_waitcnt vmcnt(0)
	v_add_nc_u32_e32 v0, -1, v0
	v_cmp_eq_u32_e32 vcc_lo, 36, v0
	s_cbranch_vccnz .LBB124_428
; %bb.427:
	v_lshlrev_b32_e32 v0, 3, v0
	s_clause 0x3
	buffer_load_dword v1, v0, s[0:3], 0 offen
	buffer_load_dword v2, v0, s[0:3], 0 offen offset:4
	buffer_load_dword v3, off, s[0:3], 0 offset:292
	buffer_load_dword v4, off, s[0:3], 0 offset:288
	s_waitcnt vmcnt(3)
	buffer_store_dword v1, off, s[0:3], 0 offset:288
	s_waitcnt vmcnt(2)
	buffer_store_dword v2, off, s[0:3], 0 offset:292
	s_waitcnt vmcnt(1)
	buffer_store_dword v3, v0, s[0:3], 0 offen offset:4
	s_waitcnt vmcnt(0)
	buffer_store_dword v4, v0, s[0:3], 0 offen
.LBB124_428:
	v_mov_b32_e32 v0, 0
	global_load_dword v1, v0, s[12:13] offset:140
	s_waitcnt vmcnt(0)
	v_add_nc_u32_e32 v1, -1, v1
	v_cmp_eq_u32_e32 vcc_lo, 35, v1
	s_cbranch_vccnz .LBB124_430
; %bb.429:
	v_lshlrev_b32_e32 v1, 3, v1
	s_clause 0x3
	buffer_load_dword v2, v1, s[0:3], 0 offen
	buffer_load_dword v3, v1, s[0:3], 0 offen offset:4
	buffer_load_dword v4, off, s[0:3], 0 offset:280
	buffer_load_dword v5, off, s[0:3], 0 offset:284
	s_waitcnt vmcnt(3)
	buffer_store_dword v2, off, s[0:3], 0 offset:280
	s_waitcnt vmcnt(2)
	buffer_store_dword v3, off, s[0:3], 0 offset:284
	s_waitcnt vmcnt(1)
	buffer_store_dword v4, v1, s[0:3], 0 offen
	s_waitcnt vmcnt(0)
	buffer_store_dword v5, v1, s[0:3], 0 offen offset:4
.LBB124_430:
	global_load_dword v0, v0, s[12:13] offset:136
	s_waitcnt vmcnt(0)
	v_add_nc_u32_e32 v0, -1, v0
	v_cmp_eq_u32_e32 vcc_lo, 34, v0
	s_cbranch_vccnz .LBB124_432
; %bb.431:
	v_lshlrev_b32_e32 v0, 3, v0
	s_clause 0x3
	buffer_load_dword v1, v0, s[0:3], 0 offen
	buffer_load_dword v2, v0, s[0:3], 0 offen offset:4
	buffer_load_dword v3, off, s[0:3], 0 offset:276
	buffer_load_dword v4, off, s[0:3], 0 offset:272
	s_waitcnt vmcnt(3)
	buffer_store_dword v1, off, s[0:3], 0 offset:272
	s_waitcnt vmcnt(2)
	buffer_store_dword v2, off, s[0:3], 0 offset:276
	s_waitcnt vmcnt(1)
	buffer_store_dword v3, v0, s[0:3], 0 offen offset:4
	s_waitcnt vmcnt(0)
	buffer_store_dword v4, v0, s[0:3], 0 offen
.LBB124_432:
	v_mov_b32_e32 v0, 0
	global_load_dword v1, v0, s[12:13] offset:132
	s_waitcnt vmcnt(0)
	v_add_nc_u32_e32 v1, -1, v1
	v_cmp_eq_u32_e32 vcc_lo, 33, v1
	s_cbranch_vccnz .LBB124_434
; %bb.433:
	v_lshlrev_b32_e32 v1, 3, v1
	s_clause 0x3
	buffer_load_dword v2, v1, s[0:3], 0 offen
	buffer_load_dword v3, v1, s[0:3], 0 offen offset:4
	buffer_load_dword v4, off, s[0:3], 0 offset:264
	buffer_load_dword v5, off, s[0:3], 0 offset:268
	s_waitcnt vmcnt(3)
	buffer_store_dword v2, off, s[0:3], 0 offset:264
	s_waitcnt vmcnt(2)
	buffer_store_dword v3, off, s[0:3], 0 offset:268
	s_waitcnt vmcnt(1)
	buffer_store_dword v4, v1, s[0:3], 0 offen
	s_waitcnt vmcnt(0)
	buffer_store_dword v5, v1, s[0:3], 0 offen offset:4
.LBB124_434:
	global_load_dword v0, v0, s[12:13] offset:128
	s_waitcnt vmcnt(0)
	v_add_nc_u32_e32 v0, -1, v0
	v_cmp_eq_u32_e32 vcc_lo, 32, v0
	s_cbranch_vccnz .LBB124_436
; %bb.435:
	v_lshlrev_b32_e32 v0, 3, v0
	s_clause 0x3
	buffer_load_dword v1, v0, s[0:3], 0 offen
	buffer_load_dword v2, v0, s[0:3], 0 offen offset:4
	buffer_load_dword v3, off, s[0:3], 0 offset:260
	buffer_load_dword v4, off, s[0:3], 0 offset:256
	s_waitcnt vmcnt(3)
	buffer_store_dword v1, off, s[0:3], 0 offset:256
	s_waitcnt vmcnt(2)
	buffer_store_dword v2, off, s[0:3], 0 offset:260
	s_waitcnt vmcnt(1)
	buffer_store_dword v3, v0, s[0:3], 0 offen offset:4
	s_waitcnt vmcnt(0)
	buffer_store_dword v4, v0, s[0:3], 0 offen
.LBB124_436:
	v_mov_b32_e32 v0, 0
	global_load_dword v1, v0, s[12:13] offset:124
	s_waitcnt vmcnt(0)
	v_add_nc_u32_e32 v1, -1, v1
	v_cmp_eq_u32_e32 vcc_lo, 31, v1
	s_cbranch_vccnz .LBB124_438
; %bb.437:
	v_lshlrev_b32_e32 v1, 3, v1
	s_clause 0x3
	buffer_load_dword v2, v1, s[0:3], 0 offen
	buffer_load_dword v3, v1, s[0:3], 0 offen offset:4
	buffer_load_dword v4, off, s[0:3], 0 offset:248
	buffer_load_dword v5, off, s[0:3], 0 offset:252
	s_waitcnt vmcnt(3)
	buffer_store_dword v2, off, s[0:3], 0 offset:248
	s_waitcnt vmcnt(2)
	buffer_store_dword v3, off, s[0:3], 0 offset:252
	s_waitcnt vmcnt(1)
	buffer_store_dword v4, v1, s[0:3], 0 offen
	s_waitcnt vmcnt(0)
	buffer_store_dword v5, v1, s[0:3], 0 offen offset:4
.LBB124_438:
	global_load_dword v0, v0, s[12:13] offset:120
	s_waitcnt vmcnt(0)
	v_add_nc_u32_e32 v0, -1, v0
	v_cmp_eq_u32_e32 vcc_lo, 30, v0
	s_cbranch_vccnz .LBB124_440
; %bb.439:
	v_lshlrev_b32_e32 v0, 3, v0
	s_clause 0x3
	buffer_load_dword v1, v0, s[0:3], 0 offen
	buffer_load_dword v2, v0, s[0:3], 0 offen offset:4
	buffer_load_dword v3, off, s[0:3], 0 offset:244
	buffer_load_dword v4, off, s[0:3], 0 offset:240
	s_waitcnt vmcnt(3)
	buffer_store_dword v1, off, s[0:3], 0 offset:240
	s_waitcnt vmcnt(2)
	buffer_store_dword v2, off, s[0:3], 0 offset:244
	s_waitcnt vmcnt(1)
	buffer_store_dword v3, v0, s[0:3], 0 offen offset:4
	s_waitcnt vmcnt(0)
	buffer_store_dword v4, v0, s[0:3], 0 offen
.LBB124_440:
	v_mov_b32_e32 v0, 0
	global_load_dword v1, v0, s[12:13] offset:116
	s_waitcnt vmcnt(0)
	v_add_nc_u32_e32 v1, -1, v1
	v_cmp_eq_u32_e32 vcc_lo, 29, v1
	s_cbranch_vccnz .LBB124_442
; %bb.441:
	v_lshlrev_b32_e32 v1, 3, v1
	s_clause 0x3
	buffer_load_dword v2, v1, s[0:3], 0 offen
	buffer_load_dword v3, v1, s[0:3], 0 offen offset:4
	buffer_load_dword v4, off, s[0:3], 0 offset:232
	buffer_load_dword v5, off, s[0:3], 0 offset:236
	s_waitcnt vmcnt(3)
	buffer_store_dword v2, off, s[0:3], 0 offset:232
	s_waitcnt vmcnt(2)
	buffer_store_dword v3, off, s[0:3], 0 offset:236
	s_waitcnt vmcnt(1)
	buffer_store_dword v4, v1, s[0:3], 0 offen
	s_waitcnt vmcnt(0)
	buffer_store_dword v5, v1, s[0:3], 0 offen offset:4
.LBB124_442:
	global_load_dword v0, v0, s[12:13] offset:112
	s_waitcnt vmcnt(0)
	v_add_nc_u32_e32 v0, -1, v0
	v_cmp_eq_u32_e32 vcc_lo, 28, v0
	s_cbranch_vccnz .LBB124_444
; %bb.443:
	v_lshlrev_b32_e32 v0, 3, v0
	s_clause 0x3
	buffer_load_dword v1, v0, s[0:3], 0 offen
	buffer_load_dword v2, v0, s[0:3], 0 offen offset:4
	buffer_load_dword v3, off, s[0:3], 0 offset:228
	buffer_load_dword v4, off, s[0:3], 0 offset:224
	s_waitcnt vmcnt(3)
	buffer_store_dword v1, off, s[0:3], 0 offset:224
	s_waitcnt vmcnt(2)
	buffer_store_dword v2, off, s[0:3], 0 offset:228
	s_waitcnt vmcnt(1)
	buffer_store_dword v3, v0, s[0:3], 0 offen offset:4
	s_waitcnt vmcnt(0)
	buffer_store_dword v4, v0, s[0:3], 0 offen
.LBB124_444:
	v_mov_b32_e32 v0, 0
	global_load_dword v1, v0, s[12:13] offset:108
	s_waitcnt vmcnt(0)
	v_add_nc_u32_e32 v1, -1, v1
	v_cmp_eq_u32_e32 vcc_lo, 27, v1
	s_cbranch_vccnz .LBB124_446
; %bb.445:
	v_lshlrev_b32_e32 v1, 3, v1
	s_clause 0x3
	buffer_load_dword v2, v1, s[0:3], 0 offen
	buffer_load_dword v3, v1, s[0:3], 0 offen offset:4
	buffer_load_dword v4, off, s[0:3], 0 offset:216
	buffer_load_dword v5, off, s[0:3], 0 offset:220
	s_waitcnt vmcnt(3)
	buffer_store_dword v2, off, s[0:3], 0 offset:216
	s_waitcnt vmcnt(2)
	buffer_store_dword v3, off, s[0:3], 0 offset:220
	s_waitcnt vmcnt(1)
	buffer_store_dword v4, v1, s[0:3], 0 offen
	s_waitcnt vmcnt(0)
	buffer_store_dword v5, v1, s[0:3], 0 offen offset:4
.LBB124_446:
	global_load_dword v0, v0, s[12:13] offset:104
	s_waitcnt vmcnt(0)
	v_add_nc_u32_e32 v0, -1, v0
	v_cmp_eq_u32_e32 vcc_lo, 26, v0
	s_cbranch_vccnz .LBB124_448
; %bb.447:
	v_lshlrev_b32_e32 v0, 3, v0
	s_clause 0x3
	buffer_load_dword v1, v0, s[0:3], 0 offen
	buffer_load_dword v2, v0, s[0:3], 0 offen offset:4
	buffer_load_dword v3, off, s[0:3], 0 offset:212
	buffer_load_dword v4, off, s[0:3], 0 offset:208
	s_waitcnt vmcnt(3)
	buffer_store_dword v1, off, s[0:3], 0 offset:208
	s_waitcnt vmcnt(2)
	buffer_store_dword v2, off, s[0:3], 0 offset:212
	s_waitcnt vmcnt(1)
	buffer_store_dword v3, v0, s[0:3], 0 offen offset:4
	s_waitcnt vmcnt(0)
	buffer_store_dword v4, v0, s[0:3], 0 offen
.LBB124_448:
	v_mov_b32_e32 v0, 0
	global_load_dword v1, v0, s[12:13] offset:100
	s_waitcnt vmcnt(0)
	v_add_nc_u32_e32 v1, -1, v1
	v_cmp_eq_u32_e32 vcc_lo, 25, v1
	s_cbranch_vccnz .LBB124_450
; %bb.449:
	v_lshlrev_b32_e32 v1, 3, v1
	s_clause 0x3
	buffer_load_dword v2, v1, s[0:3], 0 offen
	buffer_load_dword v3, v1, s[0:3], 0 offen offset:4
	buffer_load_dword v4, off, s[0:3], 0 offset:200
	buffer_load_dword v5, off, s[0:3], 0 offset:204
	s_waitcnt vmcnt(3)
	buffer_store_dword v2, off, s[0:3], 0 offset:200
	s_waitcnt vmcnt(2)
	buffer_store_dword v3, off, s[0:3], 0 offset:204
	s_waitcnt vmcnt(1)
	buffer_store_dword v4, v1, s[0:3], 0 offen
	s_waitcnt vmcnt(0)
	buffer_store_dword v5, v1, s[0:3], 0 offen offset:4
.LBB124_450:
	global_load_dword v0, v0, s[12:13] offset:96
	s_waitcnt vmcnt(0)
	v_add_nc_u32_e32 v0, -1, v0
	v_cmp_eq_u32_e32 vcc_lo, 24, v0
	s_cbranch_vccnz .LBB124_452
; %bb.451:
	v_lshlrev_b32_e32 v0, 3, v0
	s_clause 0x3
	buffer_load_dword v1, v0, s[0:3], 0 offen
	buffer_load_dword v2, v0, s[0:3], 0 offen offset:4
	buffer_load_dword v3, off, s[0:3], 0 offset:196
	buffer_load_dword v4, off, s[0:3], 0 offset:192
	s_waitcnt vmcnt(3)
	buffer_store_dword v1, off, s[0:3], 0 offset:192
	s_waitcnt vmcnt(2)
	buffer_store_dword v2, off, s[0:3], 0 offset:196
	s_waitcnt vmcnt(1)
	buffer_store_dword v3, v0, s[0:3], 0 offen offset:4
	s_waitcnt vmcnt(0)
	buffer_store_dword v4, v0, s[0:3], 0 offen
.LBB124_452:
	v_mov_b32_e32 v0, 0
	global_load_dword v1, v0, s[12:13] offset:92
	s_waitcnt vmcnt(0)
	v_add_nc_u32_e32 v1, -1, v1
	v_cmp_eq_u32_e32 vcc_lo, 23, v1
	s_cbranch_vccnz .LBB124_454
; %bb.453:
	v_lshlrev_b32_e32 v1, 3, v1
	s_clause 0x3
	buffer_load_dword v2, v1, s[0:3], 0 offen
	buffer_load_dword v3, v1, s[0:3], 0 offen offset:4
	buffer_load_dword v4, off, s[0:3], 0 offset:184
	buffer_load_dword v5, off, s[0:3], 0 offset:188
	s_waitcnt vmcnt(3)
	buffer_store_dword v2, off, s[0:3], 0 offset:184
	s_waitcnt vmcnt(2)
	buffer_store_dword v3, off, s[0:3], 0 offset:188
	s_waitcnt vmcnt(1)
	buffer_store_dword v4, v1, s[0:3], 0 offen
	s_waitcnt vmcnt(0)
	buffer_store_dword v5, v1, s[0:3], 0 offen offset:4
.LBB124_454:
	global_load_dword v0, v0, s[12:13] offset:88
	s_waitcnt vmcnt(0)
	v_add_nc_u32_e32 v0, -1, v0
	v_cmp_eq_u32_e32 vcc_lo, 22, v0
	s_cbranch_vccnz .LBB124_456
; %bb.455:
	v_lshlrev_b32_e32 v0, 3, v0
	s_clause 0x3
	buffer_load_dword v1, v0, s[0:3], 0 offen
	buffer_load_dword v2, v0, s[0:3], 0 offen offset:4
	buffer_load_dword v3, off, s[0:3], 0 offset:180
	buffer_load_dword v4, off, s[0:3], 0 offset:176
	s_waitcnt vmcnt(3)
	buffer_store_dword v1, off, s[0:3], 0 offset:176
	s_waitcnt vmcnt(2)
	buffer_store_dword v2, off, s[0:3], 0 offset:180
	s_waitcnt vmcnt(1)
	buffer_store_dword v3, v0, s[0:3], 0 offen offset:4
	s_waitcnt vmcnt(0)
	buffer_store_dword v4, v0, s[0:3], 0 offen
.LBB124_456:
	v_mov_b32_e32 v0, 0
	global_load_dword v1, v0, s[12:13] offset:84
	s_waitcnt vmcnt(0)
	v_add_nc_u32_e32 v1, -1, v1
	v_cmp_eq_u32_e32 vcc_lo, 21, v1
	s_cbranch_vccnz .LBB124_458
; %bb.457:
	v_lshlrev_b32_e32 v1, 3, v1
	s_clause 0x3
	buffer_load_dword v2, v1, s[0:3], 0 offen
	buffer_load_dword v3, v1, s[0:3], 0 offen offset:4
	buffer_load_dword v4, off, s[0:3], 0 offset:168
	buffer_load_dword v5, off, s[0:3], 0 offset:172
	s_waitcnt vmcnt(3)
	buffer_store_dword v2, off, s[0:3], 0 offset:168
	s_waitcnt vmcnt(2)
	buffer_store_dword v3, off, s[0:3], 0 offset:172
	s_waitcnt vmcnt(1)
	buffer_store_dword v4, v1, s[0:3], 0 offen
	s_waitcnt vmcnt(0)
	buffer_store_dword v5, v1, s[0:3], 0 offen offset:4
.LBB124_458:
	global_load_dword v0, v0, s[12:13] offset:80
	s_waitcnt vmcnt(0)
	v_add_nc_u32_e32 v0, -1, v0
	v_cmp_eq_u32_e32 vcc_lo, 20, v0
	s_cbranch_vccnz .LBB124_460
; %bb.459:
	v_lshlrev_b32_e32 v0, 3, v0
	s_clause 0x3
	buffer_load_dword v1, v0, s[0:3], 0 offen
	buffer_load_dword v2, v0, s[0:3], 0 offen offset:4
	buffer_load_dword v3, off, s[0:3], 0 offset:164
	buffer_load_dword v4, off, s[0:3], 0 offset:160
	s_waitcnt vmcnt(3)
	buffer_store_dword v1, off, s[0:3], 0 offset:160
	s_waitcnt vmcnt(2)
	buffer_store_dword v2, off, s[0:3], 0 offset:164
	s_waitcnt vmcnt(1)
	buffer_store_dword v3, v0, s[0:3], 0 offen offset:4
	s_waitcnt vmcnt(0)
	buffer_store_dword v4, v0, s[0:3], 0 offen
.LBB124_460:
	v_mov_b32_e32 v0, 0
	global_load_dword v1, v0, s[12:13] offset:76
	s_waitcnt vmcnt(0)
	v_add_nc_u32_e32 v1, -1, v1
	v_cmp_eq_u32_e32 vcc_lo, 19, v1
	s_cbranch_vccnz .LBB124_462
; %bb.461:
	v_lshlrev_b32_e32 v1, 3, v1
	s_clause 0x3
	buffer_load_dword v2, v1, s[0:3], 0 offen
	buffer_load_dword v3, v1, s[0:3], 0 offen offset:4
	buffer_load_dword v4, off, s[0:3], 0 offset:152
	buffer_load_dword v5, off, s[0:3], 0 offset:156
	s_waitcnt vmcnt(3)
	buffer_store_dword v2, off, s[0:3], 0 offset:152
	s_waitcnt vmcnt(2)
	buffer_store_dword v3, off, s[0:3], 0 offset:156
	s_waitcnt vmcnt(1)
	buffer_store_dword v4, v1, s[0:3], 0 offen
	s_waitcnt vmcnt(0)
	buffer_store_dword v5, v1, s[0:3], 0 offen offset:4
.LBB124_462:
	global_load_dword v0, v0, s[12:13] offset:72
	s_waitcnt vmcnt(0)
	v_add_nc_u32_e32 v0, -1, v0
	v_cmp_eq_u32_e32 vcc_lo, 18, v0
	s_cbranch_vccnz .LBB124_464
; %bb.463:
	v_lshlrev_b32_e32 v0, 3, v0
	s_clause 0x3
	buffer_load_dword v1, v0, s[0:3], 0 offen
	buffer_load_dword v2, v0, s[0:3], 0 offen offset:4
	buffer_load_dword v3, off, s[0:3], 0 offset:148
	buffer_load_dword v4, off, s[0:3], 0 offset:144
	s_waitcnt vmcnt(3)
	buffer_store_dword v1, off, s[0:3], 0 offset:144
	s_waitcnt vmcnt(2)
	buffer_store_dword v2, off, s[0:3], 0 offset:148
	s_waitcnt vmcnt(1)
	buffer_store_dword v3, v0, s[0:3], 0 offen offset:4
	s_waitcnt vmcnt(0)
	buffer_store_dword v4, v0, s[0:3], 0 offen
.LBB124_464:
	v_mov_b32_e32 v0, 0
	global_load_dword v1, v0, s[12:13] offset:68
	s_waitcnt vmcnt(0)
	v_add_nc_u32_e32 v1, -1, v1
	v_cmp_eq_u32_e32 vcc_lo, 17, v1
	s_cbranch_vccnz .LBB124_466
; %bb.465:
	v_lshlrev_b32_e32 v1, 3, v1
	s_clause 0x3
	buffer_load_dword v2, v1, s[0:3], 0 offen
	buffer_load_dword v3, v1, s[0:3], 0 offen offset:4
	buffer_load_dword v4, off, s[0:3], 0 offset:136
	buffer_load_dword v5, off, s[0:3], 0 offset:140
	s_waitcnt vmcnt(3)
	buffer_store_dword v2, off, s[0:3], 0 offset:136
	s_waitcnt vmcnt(2)
	buffer_store_dword v3, off, s[0:3], 0 offset:140
	s_waitcnt vmcnt(1)
	buffer_store_dword v4, v1, s[0:3], 0 offen
	s_waitcnt vmcnt(0)
	buffer_store_dword v5, v1, s[0:3], 0 offen offset:4
.LBB124_466:
	global_load_dword v0, v0, s[12:13] offset:64
	s_waitcnt vmcnt(0)
	v_add_nc_u32_e32 v0, -1, v0
	v_cmp_eq_u32_e32 vcc_lo, 16, v0
	s_cbranch_vccnz .LBB124_468
; %bb.467:
	v_lshlrev_b32_e32 v0, 3, v0
	s_clause 0x3
	buffer_load_dword v1, v0, s[0:3], 0 offen
	buffer_load_dword v2, v0, s[0:3], 0 offen offset:4
	buffer_load_dword v3, off, s[0:3], 0 offset:132
	buffer_load_dword v4, off, s[0:3], 0 offset:128
	s_waitcnt vmcnt(3)
	buffer_store_dword v1, off, s[0:3], 0 offset:128
	s_waitcnt vmcnt(2)
	buffer_store_dword v2, off, s[0:3], 0 offset:132
	s_waitcnt vmcnt(1)
	buffer_store_dword v3, v0, s[0:3], 0 offen offset:4
	s_waitcnt vmcnt(0)
	buffer_store_dword v4, v0, s[0:3], 0 offen
.LBB124_468:
	v_mov_b32_e32 v0, 0
	global_load_dword v1, v0, s[12:13] offset:60
	s_waitcnt vmcnt(0)
	v_add_nc_u32_e32 v1, -1, v1
	v_cmp_eq_u32_e32 vcc_lo, 15, v1
	s_cbranch_vccnz .LBB124_470
; %bb.469:
	v_lshlrev_b32_e32 v1, 3, v1
	s_clause 0x3
	buffer_load_dword v2, v1, s[0:3], 0 offen
	buffer_load_dword v3, v1, s[0:3], 0 offen offset:4
	buffer_load_dword v4, off, s[0:3], 0 offset:120
	buffer_load_dword v5, off, s[0:3], 0 offset:124
	s_waitcnt vmcnt(3)
	buffer_store_dword v2, off, s[0:3], 0 offset:120
	s_waitcnt vmcnt(2)
	buffer_store_dword v3, off, s[0:3], 0 offset:124
	s_waitcnt vmcnt(1)
	buffer_store_dword v4, v1, s[0:3], 0 offen
	s_waitcnt vmcnt(0)
	buffer_store_dword v5, v1, s[0:3], 0 offen offset:4
.LBB124_470:
	global_load_dword v0, v0, s[12:13] offset:56
	s_waitcnt vmcnt(0)
	v_add_nc_u32_e32 v0, -1, v0
	v_cmp_eq_u32_e32 vcc_lo, 14, v0
	s_cbranch_vccnz .LBB124_472
; %bb.471:
	v_lshlrev_b32_e32 v0, 3, v0
	s_clause 0x3
	buffer_load_dword v1, v0, s[0:3], 0 offen
	buffer_load_dword v2, v0, s[0:3], 0 offen offset:4
	buffer_load_dword v3, off, s[0:3], 0 offset:116
	buffer_load_dword v4, off, s[0:3], 0 offset:112
	s_waitcnt vmcnt(3)
	buffer_store_dword v1, off, s[0:3], 0 offset:112
	s_waitcnt vmcnt(2)
	buffer_store_dword v2, off, s[0:3], 0 offset:116
	s_waitcnt vmcnt(1)
	buffer_store_dword v3, v0, s[0:3], 0 offen offset:4
	s_waitcnt vmcnt(0)
	buffer_store_dword v4, v0, s[0:3], 0 offen
.LBB124_472:
	v_mov_b32_e32 v0, 0
	global_load_dword v1, v0, s[12:13] offset:52
	s_waitcnt vmcnt(0)
	v_add_nc_u32_e32 v1, -1, v1
	v_cmp_eq_u32_e32 vcc_lo, 13, v1
	s_cbranch_vccnz .LBB124_474
; %bb.473:
	v_lshlrev_b32_e32 v1, 3, v1
	s_clause 0x3
	buffer_load_dword v2, v1, s[0:3], 0 offen
	buffer_load_dword v3, v1, s[0:3], 0 offen offset:4
	buffer_load_dword v4, off, s[0:3], 0 offset:104
	buffer_load_dword v5, off, s[0:3], 0 offset:108
	s_waitcnt vmcnt(3)
	buffer_store_dword v2, off, s[0:3], 0 offset:104
	s_waitcnt vmcnt(2)
	buffer_store_dword v3, off, s[0:3], 0 offset:108
	s_waitcnt vmcnt(1)
	buffer_store_dword v4, v1, s[0:3], 0 offen
	s_waitcnt vmcnt(0)
	buffer_store_dword v5, v1, s[0:3], 0 offen offset:4
.LBB124_474:
	global_load_dword v0, v0, s[12:13] offset:48
	s_waitcnt vmcnt(0)
	v_add_nc_u32_e32 v0, -1, v0
	v_cmp_eq_u32_e32 vcc_lo, 12, v0
	s_cbranch_vccnz .LBB124_476
; %bb.475:
	v_lshlrev_b32_e32 v0, 3, v0
	s_clause 0x3
	buffer_load_dword v1, v0, s[0:3], 0 offen
	buffer_load_dword v2, v0, s[0:3], 0 offen offset:4
	buffer_load_dword v3, off, s[0:3], 0 offset:100
	buffer_load_dword v4, off, s[0:3], 0 offset:96
	s_waitcnt vmcnt(3)
	buffer_store_dword v1, off, s[0:3], 0 offset:96
	s_waitcnt vmcnt(2)
	buffer_store_dword v2, off, s[0:3], 0 offset:100
	s_waitcnt vmcnt(1)
	buffer_store_dword v3, v0, s[0:3], 0 offen offset:4
	s_waitcnt vmcnt(0)
	buffer_store_dword v4, v0, s[0:3], 0 offen
.LBB124_476:
	v_mov_b32_e32 v0, 0
	global_load_dword v1, v0, s[12:13] offset:44
	s_waitcnt vmcnt(0)
	v_add_nc_u32_e32 v1, -1, v1
	v_cmp_eq_u32_e32 vcc_lo, 11, v1
	s_cbranch_vccnz .LBB124_478
; %bb.477:
	v_lshlrev_b32_e32 v1, 3, v1
	s_clause 0x3
	buffer_load_dword v2, v1, s[0:3], 0 offen
	buffer_load_dword v3, v1, s[0:3], 0 offen offset:4
	buffer_load_dword v4, off, s[0:3], 0 offset:88
	buffer_load_dword v5, off, s[0:3], 0 offset:92
	s_waitcnt vmcnt(3)
	buffer_store_dword v2, off, s[0:3], 0 offset:88
	s_waitcnt vmcnt(2)
	buffer_store_dword v3, off, s[0:3], 0 offset:92
	s_waitcnt vmcnt(1)
	buffer_store_dword v4, v1, s[0:3], 0 offen
	s_waitcnt vmcnt(0)
	buffer_store_dword v5, v1, s[0:3], 0 offen offset:4
.LBB124_478:
	global_load_dword v0, v0, s[12:13] offset:40
	s_waitcnt vmcnt(0)
	v_add_nc_u32_e32 v0, -1, v0
	v_cmp_eq_u32_e32 vcc_lo, 10, v0
	s_cbranch_vccnz .LBB124_480
; %bb.479:
	v_lshlrev_b32_e32 v0, 3, v0
	s_clause 0x3
	buffer_load_dword v1, v0, s[0:3], 0 offen
	buffer_load_dword v2, v0, s[0:3], 0 offen offset:4
	buffer_load_dword v3, off, s[0:3], 0 offset:84
	buffer_load_dword v4, off, s[0:3], 0 offset:80
	s_waitcnt vmcnt(3)
	buffer_store_dword v1, off, s[0:3], 0 offset:80
	s_waitcnt vmcnt(2)
	buffer_store_dword v2, off, s[0:3], 0 offset:84
	s_waitcnt vmcnt(1)
	buffer_store_dword v3, v0, s[0:3], 0 offen offset:4
	s_waitcnt vmcnt(0)
	buffer_store_dword v4, v0, s[0:3], 0 offen
.LBB124_480:
	v_mov_b32_e32 v0, 0
	global_load_dword v1, v0, s[12:13] offset:36
	s_waitcnt vmcnt(0)
	v_add_nc_u32_e32 v1, -1, v1
	v_cmp_eq_u32_e32 vcc_lo, 9, v1
	s_cbranch_vccnz .LBB124_482
; %bb.481:
	v_lshlrev_b32_e32 v1, 3, v1
	s_clause 0x3
	buffer_load_dword v2, v1, s[0:3], 0 offen
	buffer_load_dword v3, v1, s[0:3], 0 offen offset:4
	buffer_load_dword v4, off, s[0:3], 0 offset:72
	buffer_load_dword v5, off, s[0:3], 0 offset:76
	s_waitcnt vmcnt(3)
	buffer_store_dword v2, off, s[0:3], 0 offset:72
	s_waitcnt vmcnt(2)
	buffer_store_dword v3, off, s[0:3], 0 offset:76
	s_waitcnt vmcnt(1)
	buffer_store_dword v4, v1, s[0:3], 0 offen
	s_waitcnt vmcnt(0)
	buffer_store_dword v5, v1, s[0:3], 0 offen offset:4
.LBB124_482:
	global_load_dword v0, v0, s[12:13] offset:32
	s_waitcnt vmcnt(0)
	v_add_nc_u32_e32 v0, -1, v0
	v_cmp_eq_u32_e32 vcc_lo, 8, v0
	s_cbranch_vccnz .LBB124_484
; %bb.483:
	v_lshlrev_b32_e32 v0, 3, v0
	s_clause 0x3
	buffer_load_dword v1, v0, s[0:3], 0 offen
	buffer_load_dword v2, v0, s[0:3], 0 offen offset:4
	buffer_load_dword v3, off, s[0:3], 0 offset:68
	buffer_load_dword v4, off, s[0:3], 0 offset:64
	s_waitcnt vmcnt(3)
	buffer_store_dword v1, off, s[0:3], 0 offset:64
	s_waitcnt vmcnt(2)
	buffer_store_dword v2, off, s[0:3], 0 offset:68
	s_waitcnt vmcnt(1)
	buffer_store_dword v3, v0, s[0:3], 0 offen offset:4
	s_waitcnt vmcnt(0)
	buffer_store_dword v4, v0, s[0:3], 0 offen
.LBB124_484:
	v_mov_b32_e32 v0, 0
	global_load_dword v1, v0, s[12:13] offset:28
	s_waitcnt vmcnt(0)
	v_add_nc_u32_e32 v1, -1, v1
	v_cmp_eq_u32_e32 vcc_lo, 7, v1
	s_cbranch_vccnz .LBB124_486
; %bb.485:
	v_lshlrev_b32_e32 v1, 3, v1
	s_clause 0x3
	buffer_load_dword v2, v1, s[0:3], 0 offen
	buffer_load_dword v3, v1, s[0:3], 0 offen offset:4
	buffer_load_dword v4, off, s[0:3], 0 offset:56
	buffer_load_dword v5, off, s[0:3], 0 offset:60
	s_waitcnt vmcnt(3)
	buffer_store_dword v2, off, s[0:3], 0 offset:56
	s_waitcnt vmcnt(2)
	buffer_store_dword v3, off, s[0:3], 0 offset:60
	s_waitcnt vmcnt(1)
	buffer_store_dword v4, v1, s[0:3], 0 offen
	s_waitcnt vmcnt(0)
	buffer_store_dword v5, v1, s[0:3], 0 offen offset:4
.LBB124_486:
	global_load_dword v0, v0, s[12:13] offset:24
	s_waitcnt vmcnt(0)
	v_add_nc_u32_e32 v0, -1, v0
	v_cmp_eq_u32_e32 vcc_lo, 6, v0
	s_cbranch_vccnz .LBB124_488
; %bb.487:
	v_lshlrev_b32_e32 v0, 3, v0
	s_clause 0x3
	buffer_load_dword v1, v0, s[0:3], 0 offen
	buffer_load_dword v2, v0, s[0:3], 0 offen offset:4
	buffer_load_dword v3, off, s[0:3], 0 offset:52
	buffer_load_dword v4, off, s[0:3], 0 offset:48
	s_waitcnt vmcnt(3)
	buffer_store_dword v1, off, s[0:3], 0 offset:48
	s_waitcnt vmcnt(2)
	buffer_store_dword v2, off, s[0:3], 0 offset:52
	s_waitcnt vmcnt(1)
	buffer_store_dword v3, v0, s[0:3], 0 offen offset:4
	s_waitcnt vmcnt(0)
	buffer_store_dword v4, v0, s[0:3], 0 offen
.LBB124_488:
	v_mov_b32_e32 v0, 0
	global_load_dword v1, v0, s[12:13] offset:20
	s_waitcnt vmcnt(0)
	v_add_nc_u32_e32 v1, -1, v1
	v_cmp_eq_u32_e32 vcc_lo, 5, v1
	s_cbranch_vccnz .LBB124_490
; %bb.489:
	v_lshlrev_b32_e32 v1, 3, v1
	s_clause 0x3
	buffer_load_dword v2, v1, s[0:3], 0 offen
	buffer_load_dword v3, v1, s[0:3], 0 offen offset:4
	buffer_load_dword v4, off, s[0:3], 0 offset:40
	buffer_load_dword v5, off, s[0:3], 0 offset:44
	s_waitcnt vmcnt(3)
	buffer_store_dword v2, off, s[0:3], 0 offset:40
	s_waitcnt vmcnt(2)
	buffer_store_dword v3, off, s[0:3], 0 offset:44
	s_waitcnt vmcnt(1)
	buffer_store_dword v4, v1, s[0:3], 0 offen
	s_waitcnt vmcnt(0)
	buffer_store_dword v5, v1, s[0:3], 0 offen offset:4
.LBB124_490:
	global_load_dword v0, v0, s[12:13] offset:16
	s_waitcnt vmcnt(0)
	v_add_nc_u32_e32 v0, -1, v0
	v_cmp_eq_u32_e32 vcc_lo, 4, v0
	s_cbranch_vccnz .LBB124_492
; %bb.491:
	v_lshlrev_b32_e32 v0, 3, v0
	s_clause 0x3
	buffer_load_dword v1, v0, s[0:3], 0 offen
	buffer_load_dword v2, v0, s[0:3], 0 offen offset:4
	buffer_load_dword v3, off, s[0:3], 0 offset:36
	buffer_load_dword v4, off, s[0:3], 0 offset:32
	s_waitcnt vmcnt(3)
	buffer_store_dword v1, off, s[0:3], 0 offset:32
	s_waitcnt vmcnt(2)
	buffer_store_dword v2, off, s[0:3], 0 offset:36
	s_waitcnt vmcnt(1)
	buffer_store_dword v3, v0, s[0:3], 0 offen offset:4
	s_waitcnt vmcnt(0)
	buffer_store_dword v4, v0, s[0:3], 0 offen
.LBB124_492:
	v_mov_b32_e32 v0, 0
	global_load_dword v1, v0, s[12:13] offset:12
	s_waitcnt vmcnt(0)
	v_add_nc_u32_e32 v1, -1, v1
	v_cmp_eq_u32_e32 vcc_lo, 3, v1
	s_cbranch_vccnz .LBB124_494
; %bb.493:
	v_lshlrev_b32_e32 v1, 3, v1
	s_clause 0x3
	buffer_load_dword v2, v1, s[0:3], 0 offen
	buffer_load_dword v3, v1, s[0:3], 0 offen offset:4
	buffer_load_dword v4, off, s[0:3], 0 offset:24
	buffer_load_dword v5, off, s[0:3], 0 offset:28
	s_waitcnt vmcnt(3)
	buffer_store_dword v2, off, s[0:3], 0 offset:24
	s_waitcnt vmcnt(2)
	buffer_store_dword v3, off, s[0:3], 0 offset:28
	s_waitcnt vmcnt(1)
	buffer_store_dword v4, v1, s[0:3], 0 offen
	s_waitcnt vmcnt(0)
	buffer_store_dword v5, v1, s[0:3], 0 offen offset:4
.LBB124_494:
	global_load_dword v0, v0, s[12:13] offset:8
	s_waitcnt vmcnt(0)
	v_add_nc_u32_e32 v0, -1, v0
	v_cmp_eq_u32_e32 vcc_lo, 2, v0
	s_cbranch_vccnz .LBB124_496
; %bb.495:
	v_lshlrev_b32_e32 v0, 3, v0
	s_clause 0x3
	buffer_load_dword v1, v0, s[0:3], 0 offen
	buffer_load_dword v2, v0, s[0:3], 0 offen offset:4
	buffer_load_dword v3, off, s[0:3], 0 offset:20
	buffer_load_dword v4, off, s[0:3], 0 offset:16
	s_waitcnt vmcnt(3)
	buffer_store_dword v1, off, s[0:3], 0 offset:16
	s_waitcnt vmcnt(2)
	buffer_store_dword v2, off, s[0:3], 0 offset:20
	s_waitcnt vmcnt(1)
	buffer_store_dword v3, v0, s[0:3], 0 offen offset:4
	s_waitcnt vmcnt(0)
	buffer_store_dword v4, v0, s[0:3], 0 offen
.LBB124_496:
	v_mov_b32_e32 v0, 0
	global_load_dword v1, v0, s[12:13] offset:4
	s_waitcnt vmcnt(0)
	v_add_nc_u32_e32 v1, -1, v1
	v_cmp_eq_u32_e32 vcc_lo, 1, v1
	s_cbranch_vccnz .LBB124_498
; %bb.497:
	v_lshlrev_b32_e32 v1, 3, v1
	s_clause 0x3
	buffer_load_dword v2, v1, s[0:3], 0 offen
	buffer_load_dword v3, v1, s[0:3], 0 offen offset:4
	buffer_load_dword v4, off, s[0:3], 0 offset:8
	buffer_load_dword v5, off, s[0:3], 0 offset:12
	s_waitcnt vmcnt(3)
	buffer_store_dword v2, off, s[0:3], 0 offset:8
	s_waitcnt vmcnt(2)
	buffer_store_dword v3, off, s[0:3], 0 offset:12
	s_waitcnt vmcnt(1)
	buffer_store_dword v4, v1, s[0:3], 0 offen
	s_waitcnt vmcnt(0)
	buffer_store_dword v5, v1, s[0:3], 0 offen offset:4
.LBB124_498:
	global_load_dword v0, v0, s[12:13]
	s_waitcnt vmcnt(0)
	v_add_nc_u32_e32 v0, -1, v0
	v_cmp_eq_u32_e32 vcc_lo, 0, v0
	s_cbranch_vccnz .LBB124_500
; %bb.499:
	v_lshlrev_b32_e32 v0, 3, v0
	s_clause 0x3
	buffer_load_dword v1, v0, s[0:3], 0 offen
	buffer_load_dword v2, v0, s[0:3], 0 offen offset:4
	buffer_load_dword v3, off, s[0:3], 0 offset:4
	buffer_load_dword v4, off, s[0:3], 0
	s_waitcnt vmcnt(3)
	buffer_store_dword v1, off, s[0:3], 0
	s_waitcnt vmcnt(2)
	buffer_store_dword v2, off, s[0:3], 0 offset:4
	s_waitcnt vmcnt(1)
	buffer_store_dword v3, v0, s[0:3], 0 offen offset:4
	s_waitcnt vmcnt(0)
	buffer_store_dword v4, v0, s[0:3], 0 offen
.LBB124_500:
	s_clause 0x1
	buffer_load_dword v0, off, s[0:3], 0
	buffer_load_dword v1, off, s[0:3], 0 offset:4
	s_waitcnt vmcnt(0)
	flat_store_dwordx2 v[13:14], v[0:1]
	s_clause 0x1
	buffer_load_dword v0, off, s[0:3], 0 offset:8
	buffer_load_dword v1, off, s[0:3], 0 offset:12
	s_waitcnt vmcnt(0)
	flat_store_dwordx2 v[15:16], v[0:1]
	s_clause 0x1
	buffer_load_dword v0, off, s[0:3], 0 offset:16
	;; [unrolled: 5-line block ×60, first 2 shown]
	buffer_load_dword v1, off, s[0:3], 0 offset:484
	s_waitcnt vmcnt(0)
	flat_store_dwordx2 v[133:134], v[0:1]
	s_endpgm
	.section	.rodata,"a",@progbits
	.p2align	6, 0x0
	.amdhsa_kernel _ZN9rocsolver6v33100L18getri_kernel_smallILi61E19rocblas_complex_numIfEPKPS3_EEvT1_iilPiilS8_bb
		.amdhsa_group_segment_fixed_size 984
		.amdhsa_private_segment_fixed_size 496
		.amdhsa_kernarg_size 60
		.amdhsa_user_sgpr_count 6
		.amdhsa_user_sgpr_private_segment_buffer 1
		.amdhsa_user_sgpr_dispatch_ptr 0
		.amdhsa_user_sgpr_queue_ptr 0
		.amdhsa_user_sgpr_kernarg_segment_ptr 1
		.amdhsa_user_sgpr_dispatch_id 0
		.amdhsa_user_sgpr_flat_scratch_init 0
		.amdhsa_user_sgpr_private_segment_size 0
		.amdhsa_wavefront_size32 1
		.amdhsa_uses_dynamic_stack 0
		.amdhsa_system_sgpr_private_segment_wavefront_offset 1
		.amdhsa_system_sgpr_workgroup_id_x 1
		.amdhsa_system_sgpr_workgroup_id_y 0
		.amdhsa_system_sgpr_workgroup_id_z 0
		.amdhsa_system_sgpr_workgroup_info 0
		.amdhsa_system_vgpr_workitem_id 0
		.amdhsa_next_free_vgpr 252
		.amdhsa_next_free_sgpr 20
		.amdhsa_reserve_vcc 1
		.amdhsa_reserve_flat_scratch 0
		.amdhsa_float_round_mode_32 0
		.amdhsa_float_round_mode_16_64 0
		.amdhsa_float_denorm_mode_32 3
		.amdhsa_float_denorm_mode_16_64 3
		.amdhsa_dx10_clamp 1
		.amdhsa_ieee_mode 1
		.amdhsa_fp16_overflow 0
		.amdhsa_workgroup_processor_mode 1
		.amdhsa_memory_ordered 1
		.amdhsa_forward_progress 1
		.amdhsa_shared_vgpr_count 0
		.amdhsa_exception_fp_ieee_invalid_op 0
		.amdhsa_exception_fp_denorm_src 0
		.amdhsa_exception_fp_ieee_div_zero 0
		.amdhsa_exception_fp_ieee_overflow 0
		.amdhsa_exception_fp_ieee_underflow 0
		.amdhsa_exception_fp_ieee_inexact 0
		.amdhsa_exception_int_div_zero 0
	.end_amdhsa_kernel
	.section	.text._ZN9rocsolver6v33100L18getri_kernel_smallILi61E19rocblas_complex_numIfEPKPS3_EEvT1_iilPiilS8_bb,"axG",@progbits,_ZN9rocsolver6v33100L18getri_kernel_smallILi61E19rocblas_complex_numIfEPKPS3_EEvT1_iilPiilS8_bb,comdat
.Lfunc_end124:
	.size	_ZN9rocsolver6v33100L18getri_kernel_smallILi61E19rocblas_complex_numIfEPKPS3_EEvT1_iilPiilS8_bb, .Lfunc_end124-_ZN9rocsolver6v33100L18getri_kernel_smallILi61E19rocblas_complex_numIfEPKPS3_EEvT1_iilPiilS8_bb
                                        ; -- End function
	.set _ZN9rocsolver6v33100L18getri_kernel_smallILi61E19rocblas_complex_numIfEPKPS3_EEvT1_iilPiilS8_bb.num_vgpr, 252
	.set _ZN9rocsolver6v33100L18getri_kernel_smallILi61E19rocblas_complex_numIfEPKPS3_EEvT1_iilPiilS8_bb.num_agpr, 0
	.set _ZN9rocsolver6v33100L18getri_kernel_smallILi61E19rocblas_complex_numIfEPKPS3_EEvT1_iilPiilS8_bb.numbered_sgpr, 20
	.set _ZN9rocsolver6v33100L18getri_kernel_smallILi61E19rocblas_complex_numIfEPKPS3_EEvT1_iilPiilS8_bb.num_named_barrier, 0
	.set _ZN9rocsolver6v33100L18getri_kernel_smallILi61E19rocblas_complex_numIfEPKPS3_EEvT1_iilPiilS8_bb.private_seg_size, 496
	.set _ZN9rocsolver6v33100L18getri_kernel_smallILi61E19rocblas_complex_numIfEPKPS3_EEvT1_iilPiilS8_bb.uses_vcc, 1
	.set _ZN9rocsolver6v33100L18getri_kernel_smallILi61E19rocblas_complex_numIfEPKPS3_EEvT1_iilPiilS8_bb.uses_flat_scratch, 0
	.set _ZN9rocsolver6v33100L18getri_kernel_smallILi61E19rocblas_complex_numIfEPKPS3_EEvT1_iilPiilS8_bb.has_dyn_sized_stack, 0
	.set _ZN9rocsolver6v33100L18getri_kernel_smallILi61E19rocblas_complex_numIfEPKPS3_EEvT1_iilPiilS8_bb.has_recursion, 0
	.set _ZN9rocsolver6v33100L18getri_kernel_smallILi61E19rocblas_complex_numIfEPKPS3_EEvT1_iilPiilS8_bb.has_indirect_call, 0
	.section	.AMDGPU.csdata,"",@progbits
; Kernel info:
; codeLenInByte = 135600
; TotalNumSgprs: 22
; NumVgprs: 252
; ScratchSize: 496
; MemoryBound: 0
; FloatMode: 240
; IeeeMode: 1
; LDSByteSize: 984 bytes/workgroup (compile time only)
; SGPRBlocks: 0
; VGPRBlocks: 31
; NumSGPRsForWavesPerEU: 22
; NumVGPRsForWavesPerEU: 252
; Occupancy: 4
; WaveLimiterHint : 1
; COMPUTE_PGM_RSRC2:SCRATCH_EN: 1
; COMPUTE_PGM_RSRC2:USER_SGPR: 6
; COMPUTE_PGM_RSRC2:TRAP_HANDLER: 0
; COMPUTE_PGM_RSRC2:TGID_X_EN: 1
; COMPUTE_PGM_RSRC2:TGID_Y_EN: 0
; COMPUTE_PGM_RSRC2:TGID_Z_EN: 0
; COMPUTE_PGM_RSRC2:TIDIG_COMP_CNT: 0
	.section	.text._ZN9rocsolver6v33100L18getri_kernel_smallILi62E19rocblas_complex_numIfEPKPS3_EEvT1_iilPiilS8_bb,"axG",@progbits,_ZN9rocsolver6v33100L18getri_kernel_smallILi62E19rocblas_complex_numIfEPKPS3_EEvT1_iilPiilS8_bb,comdat
	.globl	_ZN9rocsolver6v33100L18getri_kernel_smallILi62E19rocblas_complex_numIfEPKPS3_EEvT1_iilPiilS8_bb ; -- Begin function _ZN9rocsolver6v33100L18getri_kernel_smallILi62E19rocblas_complex_numIfEPKPS3_EEvT1_iilPiilS8_bb
	.p2align	8
	.type	_ZN9rocsolver6v33100L18getri_kernel_smallILi62E19rocblas_complex_numIfEPKPS3_EEvT1_iilPiilS8_bb,@function
_ZN9rocsolver6v33100L18getri_kernel_smallILi62E19rocblas_complex_numIfEPKPS3_EEvT1_iilPiilS8_bb: ; @_ZN9rocsolver6v33100L18getri_kernel_smallILi62E19rocblas_complex_numIfEPKPS3_EEvT1_iilPiilS8_bb
; %bb.0:
	s_add_u32 s0, s0, s7
	s_addc_u32 s1, s1, 0
	s_mov_b32 s7, exec_lo
	v_cmpx_gt_u32_e32 62, v0
	s_cbranch_execz .LBB125_262
; %bb.1:
	s_clause 0x2
	s_load_dword s17, s[4:5], 0x38
	s_load_dwordx2 s[12:13], s[4:5], 0x0
	s_load_dwordx4 s[8:11], s[4:5], 0x28
	s_waitcnt lgkmcnt(0)
	s_bitcmp1_b32 s17, 8
	s_cselect_b32 s16, -1, 0
	s_ashr_i32 s7, s6, 31
	s_lshl_b64 s[14:15], s[6:7], 3
	s_add_u32 s12, s12, s14
	s_addc_u32 s13, s13, s15
	s_load_dwordx2 s[14:15], s[12:13], 0x0
	s_bfe_u32 s12, s17, 0x10008
	s_cmp_eq_u32 s12, 0
                                        ; implicit-def: $sgpr12_sgpr13
	s_cbranch_scc1 .LBB125_3
; %bb.2:
	s_clause 0x1
	s_load_dword s12, s[4:5], 0x20
	s_load_dwordx2 s[18:19], s[4:5], 0x18
	s_mul_i32 s13, s8, s7
	s_mul_hi_u32 s17, s8, s6
	s_mul_i32 s9, s9, s6
	s_add_i32 s13, s17, s13
	s_mul_i32 s8, s8, s6
	s_add_i32 s9, s13, s9
	s_lshl_b64 s[8:9], s[8:9], 2
	s_waitcnt lgkmcnt(0)
	s_ashr_i32 s13, s12, 31
	s_add_u32 s17, s18, s8
	s_addc_u32 s18, s19, s9
	s_lshl_b64 s[8:9], s[12:13], 2
	s_add_u32 s12, s17, s8
	s_addc_u32 s13, s18, s9
.LBB125_3:
	s_clause 0x1
	s_load_dwordx2 s[8:9], s[4:5], 0x8
	s_load_dword s17, s[4:5], 0x38
	v_lshlrev_b32_e32 v3, 3, v0
	s_waitcnt lgkmcnt(0)
	s_ashr_i32 s5, s8, 31
	s_mov_b32 s4, s8
	v_add3_u32 v4, s9, s9, v0
	s_lshl_b64 s[4:5], s[4:5], 3
	s_add_u32 s4, s14, s4
	s_addc_u32 s5, s15, s5
	v_add_co_u32 v13, s8, s4, v3
	v_add_co_ci_u32_e64 v14, null, s5, 0, s8
	s_mov_b32 s14, s9
	s_ashr_i32 s15, s9, 31
	v_ashrrev_i32_e32 v5, 31, v4
	flat_load_dwordx2 v[1:2], v[13:14]
	s_lshl_b64 s[14:15], s[14:15], 3
	s_bitcmp0_b32 s17, 0
	v_add_co_u32 v15, vcc_lo, v13, s14
	v_add_co_ci_u32_e64 v16, null, s15, v14, vcc_lo
	v_lshlrev_b64 v[5:6], 3, v[4:5]
	v_add_nc_u32_e32 v4, s9, v4
	s_waitcnt vmcnt(0) lgkmcnt(0)
	buffer_store_dword v2, off, s[0:3], 0 offset:4
	buffer_store_dword v1, off, s[0:3], 0
	flat_load_dwordx2 v[1:2], v[15:16]
	v_add_co_u32 v17, vcc_lo, s4, v5
	v_add_co_ci_u32_e64 v18, null, s5, v6, vcc_lo
	v_ashrrev_i32_e32 v5, 31, v4
	s_waitcnt vmcnt(0) lgkmcnt(0)
	buffer_store_dword v2, off, s[0:3], 0 offset:12
	buffer_store_dword v1, off, s[0:3], 0 offset:8
	flat_load_dwordx2 v[1:2], v[17:18]
	v_lshlrev_b64 v[5:6], 3, v[4:5]
	v_add_nc_u32_e32 v4, s9, v4
	s_waitcnt vmcnt(0) lgkmcnt(0)
	buffer_store_dword v2, off, s[0:3], 0 offset:20
	buffer_store_dword v1, off, s[0:3], 0 offset:16
	v_add_co_u32 v19, vcc_lo, s4, v5
	v_add_co_ci_u32_e64 v20, null, s5, v6, vcc_lo
	v_ashrrev_i32_e32 v5, 31, v4
	flat_load_dwordx2 v[1:2], v[19:20]
	s_waitcnt vmcnt(0) lgkmcnt(0)
	buffer_store_dword v2, off, s[0:3], 0 offset:28
	buffer_store_dword v1, off, s[0:3], 0 offset:24
	v_lshlrev_b64 v[5:6], 3, v[4:5]
	v_add_nc_u32_e32 v4, s9, v4
	v_add_co_u32 v21, vcc_lo, s4, v5
	v_add_co_ci_u32_e64 v22, null, s5, v6, vcc_lo
	v_ashrrev_i32_e32 v5, 31, v4
	flat_load_dwordx2 v[1:2], v[21:22]
	s_waitcnt vmcnt(0) lgkmcnt(0)
	buffer_store_dword v2, off, s[0:3], 0 offset:36
	buffer_store_dword v1, off, s[0:3], 0 offset:32
	v_lshlrev_b64 v[5:6], 3, v[4:5]
	v_add_nc_u32_e32 v4, s9, v4
	;; [unrolled: 9-line block ×57, first 2 shown]
	v_add_co_u32 v133, vcc_lo, s4, v5
	v_add_co_ci_u32_e64 v134, null, s5, v6, vcc_lo
	v_ashrrev_i32_e32 v5, 31, v4
	flat_load_dwordx2 v[1:2], v[133:134]
	s_waitcnt vmcnt(0) lgkmcnt(0)
	buffer_store_dword v2, off, s[0:3], 0 offset:484
	buffer_store_dword v1, off, s[0:3], 0 offset:480
	v_lshlrev_b64 v[4:5], 3, v[4:5]
	v_add_co_u32 v135, vcc_lo, s4, v4
	v_add_co_ci_u32_e64 v136, null, s5, v5, vcc_lo
	s_mov_b32 s5, -1
	flat_load_dwordx2 v[1:2], v[135:136]
	s_waitcnt vmcnt(0) lgkmcnt(0)
	buffer_store_dword v2, off, s[0:3], 0 offset:492
	buffer_store_dword v1, off, s[0:3], 0 offset:488
	s_cbranch_scc1 .LBB125_260
; %bb.4:
	v_cmp_eq_u32_e64 s4, 0, v0
	s_and_saveexec_b32 s5, s4
; %bb.5:
	v_mov_b32_e32 v1, 0
	ds_write_b32 v1, v1 offset:992
; %bb.6:
	s_or_b32 exec_lo, exec_lo, s5
	v_lshl_add_u32 v5, v0, 3, 0
	s_waitcnt lgkmcnt(0)
	s_waitcnt_vscnt null, 0x0
	s_barrier
	buffer_gl0_inv
	s_clause 0x1
	buffer_load_dword v1, v5, s[0:3], 0 offen
	buffer_load_dword v2, v5, s[0:3], 0 offen offset:4
	s_waitcnt vmcnt(1)
	v_cmp_eq_f32_e32 vcc_lo, 0, v1
	s_waitcnt vmcnt(0)
	v_cmp_eq_f32_e64 s5, 0, v2
	s_and_b32 s5, vcc_lo, s5
	s_and_saveexec_b32 s8, s5
	s_cbranch_execz .LBB125_10
; %bb.7:
	v_mov_b32_e32 v1, 0
	s_mov_b32 s9, 0
	ds_read_b32 v2, v1 offset:992
	s_waitcnt lgkmcnt(0)
	v_readfirstlane_b32 s5, v2
	v_add_nc_u32_e32 v2, 1, v0
	s_cmp_eq_u32 s5, 0
	v_cmp_gt_i32_e32 vcc_lo, s5, v2
	s_cselect_b32 s14, -1, 0
	s_or_b32 s14, s14, vcc_lo
	s_and_b32 exec_lo, exec_lo, s14
	s_cbranch_execz .LBB125_10
; %bb.8:
	v_mov_b32_e32 v4, s5
.LBB125_9:                              ; =>This Inner Loop Header: Depth=1
	ds_cmpst_rtn_b32 v4, v1, v4, v2 offset:992
	s_waitcnt lgkmcnt(0)
	v_cmp_ne_u32_e32 vcc_lo, 0, v4
	v_cmp_le_i32_e64 s5, v4, v2
	s_and_b32 s5, vcc_lo, s5
	s_and_b32 s5, exec_lo, s5
	s_or_b32 s9, s5, s9
	s_andn2_b32 exec_lo, exec_lo, s9
	s_cbranch_execnz .LBB125_9
.LBB125_10:
	s_or_b32 exec_lo, exec_lo, s8
	v_mov_b32_e32 v1, 0
	s_barrier
	buffer_gl0_inv
	ds_read_b32 v2, v1 offset:992
	s_and_saveexec_b32 s5, s4
	s_cbranch_execz .LBB125_12
; %bb.11:
	s_lshl_b64 s[8:9], s[6:7], 2
	s_add_u32 s8, s10, s8
	s_addc_u32 s9, s11, s9
	s_waitcnt lgkmcnt(0)
	global_store_dword v1, v2, s[8:9]
.LBB125_12:
	s_or_b32 exec_lo, exec_lo, s5
	s_waitcnt lgkmcnt(0)
	v_cmp_ne_u32_e32 vcc_lo, 0, v2
	s_mov_b32 s5, 0
	s_cbranch_vccnz .LBB125_260
; %bb.13:
	s_clause 0x1
	buffer_load_dword v2, v5, s[0:3], 0 offen
	buffer_load_dword v4, v5, s[0:3], 0 offen offset:4
                                        ; implicit-def: $vgpr7
                                        ; implicit-def: $vgpr6
                                        ; implicit-def: $vgpr1
	s_waitcnt vmcnt(0)
	v_cmp_ngt_f32_e64 s5, |v2|, |v4|
	s_and_saveexec_b32 s8, s5
	s_xor_b32 s5, exec_lo, s8
	s_cbranch_execz .LBB125_15
; %bb.14:
	v_div_scale_f32 v1, null, v4, v4, v2
	v_div_scale_f32 v8, vcc_lo, v2, v4, v2
	v_rcp_f32_e32 v6, v1
	v_fma_f32 v7, -v1, v6, 1.0
	v_fmac_f32_e32 v6, v7, v6
	v_mul_f32_e32 v7, v8, v6
	v_fma_f32 v9, -v1, v7, v8
	v_fmac_f32_e32 v7, v9, v6
	v_fma_f32 v1, -v1, v7, v8
	v_div_fmas_f32 v1, v1, v6, v7
	v_div_fixup_f32 v1, v1, v4, v2
	v_fmac_f32_e32 v4, v2, v1
	v_div_scale_f32 v2, null, v4, v4, 1.0
	v_rcp_f32_e32 v6, v2
	v_fma_f32 v7, -v2, v6, 1.0
	v_fmac_f32_e32 v6, v7, v6
	v_div_scale_f32 v7, vcc_lo, 1.0, v4, 1.0
	v_mul_f32_e32 v8, v7, v6
	v_fma_f32 v9, -v2, v8, v7
	v_fmac_f32_e32 v8, v9, v6
	v_fma_f32 v2, -v2, v8, v7
	v_div_fmas_f32 v2, v2, v6, v8
	v_div_fixup_f32 v2, v2, v4, 1.0
                                        ; implicit-def: $vgpr4
	v_mul_f32_e32 v7, v1, v2
	v_xor_b32_e32 v6, 0x80000000, v2
                                        ; implicit-def: $vgpr2
	v_xor_b32_e32 v1, 0x80000000, v7
.LBB125_15:
	s_andn2_saveexec_b32 s5, s5
	s_cbranch_execz .LBB125_17
; %bb.16:
	v_div_scale_f32 v1, null, v2, v2, v4
	v_div_scale_f32 v8, vcc_lo, v4, v2, v4
	v_rcp_f32_e32 v6, v1
	v_fma_f32 v7, -v1, v6, 1.0
	v_fmac_f32_e32 v6, v7, v6
	v_mul_f32_e32 v7, v8, v6
	v_fma_f32 v9, -v1, v7, v8
	v_fmac_f32_e32 v7, v9, v6
	v_fma_f32 v1, -v1, v7, v8
	v_div_fmas_f32 v1, v1, v6, v7
	v_div_fixup_f32 v6, v1, v2, v4
	v_fmac_f32_e32 v2, v4, v6
	v_div_scale_f32 v1, null, v2, v2, 1.0
	v_div_scale_f32 v8, vcc_lo, 1.0, v2, 1.0
	v_rcp_f32_e32 v4, v1
	v_fma_f32 v7, -v1, v4, 1.0
	v_fmac_f32_e32 v4, v7, v4
	v_mul_f32_e32 v7, v8, v4
	v_fma_f32 v9, -v1, v7, v8
	v_fmac_f32_e32 v7, v9, v4
	v_fma_f32 v1, -v1, v7, v8
	v_div_fmas_f32 v1, v1, v4, v7
	v_div_fixup_f32 v7, v1, v2, 1.0
	v_xor_b32_e32 v1, 0x80000000, v7
	v_mul_f32_e64 v6, v6, -v7
.LBB125_17:
	s_or_b32 exec_lo, exec_lo, s5
	buffer_store_dword v7, v5, s[0:3], 0 offen
	buffer_store_dword v6, v5, s[0:3], 0 offen offset:4
	s_clause 0x1
	buffer_load_dword v8, off, s[0:3], 0 offset:12
	buffer_load_dword v7, off, s[0:3], 0 offset:8
	v_xor_b32_e32 v2, 0x80000000, v6
	v_add_nc_u32_e32 v4, 0x1f0, v3
	s_waitcnt vmcnt(0)
	ds_write2_b64 v3, v[1:2], v[7:8] offset1:62
	s_waitcnt lgkmcnt(0)
	s_waitcnt_vscnt null, 0x0
	s_barrier
	buffer_gl0_inv
	s_and_saveexec_b32 s5, s4
	s_cbranch_execz .LBB125_19
; %bb.18:
	s_clause 0x1
	buffer_load_dword v8, v5, s[0:3], 0 offen offset:4
	buffer_load_dword v9, v5, s[0:3], 0 offen
	ds_read_b64 v[1:2], v4
	v_mov_b32_e32 v6, 0
	ds_read_b64 v[6:7], v6 offset:8
	s_waitcnt vmcnt(1) lgkmcnt(1)
	v_mul_f32_e32 v10, v1, v8
	v_mul_f32_e32 v8, v2, v8
	s_waitcnt vmcnt(0)
	v_fmac_f32_e32 v10, v2, v9
	v_fma_f32 v1, v1, v9, -v8
	v_add_f32_e32 v2, 0, v10
	v_add_f32_e32 v1, 0, v1
	s_waitcnt lgkmcnt(0)
	v_mul_f32_e32 v8, v2, v7
	v_mul_f32_e32 v7, v1, v7
	v_fma_f32 v1, v1, v6, -v8
	v_fmac_f32_e32 v7, v2, v6
	buffer_store_dword v1, off, s[0:3], 0 offset:8
	buffer_store_dword v7, off, s[0:3], 0 offset:12
.LBB125_19:
	s_or_b32 exec_lo, exec_lo, s5
	s_waitcnt_vscnt null, 0x0
	s_barrier
	buffer_gl0_inv
	s_clause 0x1
	buffer_load_dword v1, off, s[0:3], 0 offset:16
	buffer_load_dword v2, off, s[0:3], 0 offset:20
	s_mov_b32 s5, exec_lo
	s_waitcnt vmcnt(0)
	ds_write_b64 v4, v[1:2]
	s_waitcnt lgkmcnt(0)
	s_barrier
	buffer_gl0_inv
	v_cmpx_gt_u32_e32 2, v0
	s_cbranch_execz .LBB125_23
; %bb.20:
	s_clause 0x1
	buffer_load_dword v6, v5, s[0:3], 0 offen offset:4
	buffer_load_dword v5, v5, s[0:3], 0 offen
	ds_read_b64 v[1:2], v4
	s_waitcnt vmcnt(1) lgkmcnt(0)
	v_mul_f32_e32 v7, v2, v6
	v_mul_f32_e32 v6, v1, v6
	s_waitcnt vmcnt(0)
	v_fma_f32 v1, v1, v5, -v7
	v_fmac_f32_e32 v6, v2, v5
	v_add_f32_e32 v2, 0, v1
	v_add_f32_e32 v1, 0, v6
	s_and_saveexec_b32 s8, s4
	s_cbranch_execz .LBB125_22
; %bb.21:
	s_clause 0x1
	buffer_load_dword v7, off, s[0:3], 0 offset:12
	buffer_load_dword v8, off, s[0:3], 0 offset:8
	v_mov_b32_e32 v5, 0
	ds_read_b64 v[5:6], v5 offset:504
	s_waitcnt vmcnt(1) lgkmcnt(0)
	v_mul_f32_e32 v9, v5, v7
	v_mul_f32_e32 v7, v6, v7
	s_waitcnt vmcnt(0)
	v_fmac_f32_e32 v9, v6, v8
	v_fma_f32 v5, v5, v8, -v7
	v_add_f32_e32 v1, v1, v9
	v_add_f32_e32 v2, v2, v5
.LBB125_22:
	s_or_b32 exec_lo, exec_lo, s8
	v_mov_b32_e32 v5, 0
	ds_read_b64 v[5:6], v5 offset:16
	s_waitcnt lgkmcnt(0)
	v_mul_f32_e32 v7, v1, v6
	v_mul_f32_e32 v6, v2, v6
	v_fma_f32 v2, v2, v5, -v7
	v_fmac_f32_e32 v6, v1, v5
	buffer_store_dword v2, off, s[0:3], 0 offset:16
	buffer_store_dword v6, off, s[0:3], 0 offset:20
.LBB125_23:
	s_or_b32 exec_lo, exec_lo, s5
	s_waitcnt_vscnt null, 0x0
	s_barrier
	buffer_gl0_inv
	s_clause 0x1
	buffer_load_dword v5, off, s[0:3], 0 offset:24
	buffer_load_dword v6, off, s[0:3], 0 offset:28
	v_add_nc_u32_e32 v1, -1, v0
	s_mov_b32 s4, exec_lo
	s_waitcnt vmcnt(0)
	ds_write_b64 v4, v[5:6]
	s_waitcnt lgkmcnt(0)
	s_barrier
	buffer_gl0_inv
	v_cmpx_gt_u32_e32 3, v0
	s_cbranch_execz .LBB125_27
; %bb.24:
	v_add_nc_u32_e32 v5, -1, v0
	v_add_nc_u32_e32 v6, 0x1f0, v3
	v_mov_b32_e32 v7, v3
	v_mov_b32_e32 v2, 0
	;; [unrolled: 1-line block ×3, first 2 shown]
	s_mov_b32 s5, 0
	.p2align	6
.LBB125_25:                             ; =>This Inner Loop Header: Depth=1
	s_clause 0x1
	buffer_load_dword v11, v7, s[0:3], 0 offen offset:4
	buffer_load_dword v12, v7, s[0:3], 0 offen
	ds_read_b64 v[9:10], v6
	v_add_nc_u32_e32 v5, 1, v5
	v_add_nc_u32_e32 v6, 8, v6
	v_add_nc_u32_e32 v7, 8, v7
	v_cmp_lt_u32_e32 vcc_lo, 1, v5
	s_or_b32 s5, vcc_lo, s5
	s_waitcnt vmcnt(1) lgkmcnt(0)
	v_mul_f32_e32 v137, v10, v11
	v_mul_f32_e32 v11, v9, v11
	s_waitcnt vmcnt(0)
	v_fma_f32 v9, v9, v12, -v137
	v_fmac_f32_e32 v11, v10, v12
	v_add_f32_e32 v8, v8, v9
	v_add_f32_e32 v2, v2, v11
	s_andn2_b32 exec_lo, exec_lo, s5
	s_cbranch_execnz .LBB125_25
; %bb.26:
	s_or_b32 exec_lo, exec_lo, s5
	v_mov_b32_e32 v5, 0
	ds_read_b64 v[5:6], v5 offset:24
	s_waitcnt lgkmcnt(0)
	v_mul_f32_e32 v7, v2, v6
	v_mul_f32_e32 v6, v8, v6
	v_fma_f32 v7, v8, v5, -v7
	v_fmac_f32_e32 v6, v2, v5
	buffer_store_dword v7, off, s[0:3], 0 offset:24
	buffer_store_dword v6, off, s[0:3], 0 offset:28
.LBB125_27:
	s_or_b32 exec_lo, exec_lo, s4
	s_waitcnt_vscnt null, 0x0
	s_barrier
	buffer_gl0_inv
	s_clause 0x1
	buffer_load_dword v5, off, s[0:3], 0 offset:32
	buffer_load_dword v6, off, s[0:3], 0 offset:36
	s_mov_b32 s4, exec_lo
	s_waitcnt vmcnt(0)
	ds_write_b64 v4, v[5:6]
	s_waitcnt lgkmcnt(0)
	s_barrier
	buffer_gl0_inv
	v_cmpx_gt_u32_e32 4, v0
	s_cbranch_execz .LBB125_31
; %bb.28:
	v_add_nc_u32_e32 v5, -1, v0
	v_add_nc_u32_e32 v6, 0x1f0, v3
	v_mov_b32_e32 v7, v3
	v_mov_b32_e32 v2, 0
	;; [unrolled: 1-line block ×3, first 2 shown]
	s_mov_b32 s5, 0
	.p2align	6
.LBB125_29:                             ; =>This Inner Loop Header: Depth=1
	s_clause 0x1
	buffer_load_dword v11, v7, s[0:3], 0 offen offset:4
	buffer_load_dword v12, v7, s[0:3], 0 offen
	ds_read_b64 v[9:10], v6
	v_add_nc_u32_e32 v5, 1, v5
	v_add_nc_u32_e32 v6, 8, v6
	;; [unrolled: 1-line block ×3, first 2 shown]
	v_cmp_lt_u32_e32 vcc_lo, 2, v5
	s_or_b32 s5, vcc_lo, s5
	s_waitcnt vmcnt(1) lgkmcnt(0)
	v_mul_f32_e32 v137, v10, v11
	v_mul_f32_e32 v11, v9, v11
	s_waitcnt vmcnt(0)
	v_fma_f32 v9, v9, v12, -v137
	v_fmac_f32_e32 v11, v10, v12
	v_add_f32_e32 v8, v8, v9
	v_add_f32_e32 v2, v2, v11
	s_andn2_b32 exec_lo, exec_lo, s5
	s_cbranch_execnz .LBB125_29
; %bb.30:
	s_or_b32 exec_lo, exec_lo, s5
	v_mov_b32_e32 v5, 0
	ds_read_b64 v[5:6], v5 offset:32
	s_waitcnt lgkmcnt(0)
	v_mul_f32_e32 v7, v2, v6
	v_mul_f32_e32 v6, v8, v6
	v_fma_f32 v7, v8, v5, -v7
	v_fmac_f32_e32 v6, v2, v5
	buffer_store_dword v7, off, s[0:3], 0 offset:32
	buffer_store_dword v6, off, s[0:3], 0 offset:36
.LBB125_31:
	s_or_b32 exec_lo, exec_lo, s4
	s_waitcnt_vscnt null, 0x0
	s_barrier
	buffer_gl0_inv
	s_clause 0x1
	buffer_load_dword v5, off, s[0:3], 0 offset:40
	buffer_load_dword v6, off, s[0:3], 0 offset:44
	s_mov_b32 s4, exec_lo
	s_waitcnt vmcnt(0)
	ds_write_b64 v4, v[5:6]
	s_waitcnt lgkmcnt(0)
	s_barrier
	buffer_gl0_inv
	v_cmpx_gt_u32_e32 5, v0
	s_cbranch_execz .LBB125_35
; %bb.32:
	v_add_nc_u32_e32 v5, -1, v0
	v_add_nc_u32_e32 v6, 0x1f0, v3
	v_mov_b32_e32 v7, v3
	v_mov_b32_e32 v2, 0
	;; [unrolled: 1-line block ×3, first 2 shown]
	s_mov_b32 s5, 0
	.p2align	6
.LBB125_33:                             ; =>This Inner Loop Header: Depth=1
	s_clause 0x1
	buffer_load_dword v11, v7, s[0:3], 0 offen offset:4
	buffer_load_dword v12, v7, s[0:3], 0 offen
	ds_read_b64 v[9:10], v6
	v_add_nc_u32_e32 v5, 1, v5
	v_add_nc_u32_e32 v6, 8, v6
	;; [unrolled: 1-line block ×3, first 2 shown]
	v_cmp_lt_u32_e32 vcc_lo, 3, v5
	s_or_b32 s5, vcc_lo, s5
	s_waitcnt vmcnt(1) lgkmcnt(0)
	v_mul_f32_e32 v137, v10, v11
	v_mul_f32_e32 v11, v9, v11
	s_waitcnt vmcnt(0)
	v_fma_f32 v9, v9, v12, -v137
	v_fmac_f32_e32 v11, v10, v12
	v_add_f32_e32 v8, v8, v9
	v_add_f32_e32 v2, v2, v11
	s_andn2_b32 exec_lo, exec_lo, s5
	s_cbranch_execnz .LBB125_33
; %bb.34:
	s_or_b32 exec_lo, exec_lo, s5
	v_mov_b32_e32 v5, 0
	ds_read_b64 v[5:6], v5 offset:40
	s_waitcnt lgkmcnt(0)
	v_mul_f32_e32 v7, v2, v6
	v_mul_f32_e32 v6, v8, v6
	v_fma_f32 v7, v8, v5, -v7
	v_fmac_f32_e32 v6, v2, v5
	buffer_store_dword v7, off, s[0:3], 0 offset:40
	buffer_store_dword v6, off, s[0:3], 0 offset:44
.LBB125_35:
	s_or_b32 exec_lo, exec_lo, s4
	s_waitcnt_vscnt null, 0x0
	s_barrier
	buffer_gl0_inv
	s_clause 0x1
	buffer_load_dword v5, off, s[0:3], 0 offset:48
	buffer_load_dword v6, off, s[0:3], 0 offset:52
	s_mov_b32 s4, exec_lo
	s_waitcnt vmcnt(0)
	ds_write_b64 v4, v[5:6]
	s_waitcnt lgkmcnt(0)
	s_barrier
	buffer_gl0_inv
	v_cmpx_gt_u32_e32 6, v0
	s_cbranch_execz .LBB125_39
; %bb.36:
	v_add_nc_u32_e32 v5, -1, v0
	v_add_nc_u32_e32 v6, 0x1f0, v3
	v_mov_b32_e32 v7, v3
	v_mov_b32_e32 v2, 0
	;; [unrolled: 1-line block ×3, first 2 shown]
	s_mov_b32 s5, 0
	.p2align	6
.LBB125_37:                             ; =>This Inner Loop Header: Depth=1
	s_clause 0x1
	buffer_load_dword v11, v7, s[0:3], 0 offen offset:4
	buffer_load_dword v12, v7, s[0:3], 0 offen
	ds_read_b64 v[9:10], v6
	v_add_nc_u32_e32 v5, 1, v5
	v_add_nc_u32_e32 v6, 8, v6
	;; [unrolled: 1-line block ×3, first 2 shown]
	v_cmp_lt_u32_e32 vcc_lo, 4, v5
	s_or_b32 s5, vcc_lo, s5
	s_waitcnt vmcnt(1) lgkmcnt(0)
	v_mul_f32_e32 v137, v10, v11
	v_mul_f32_e32 v11, v9, v11
	s_waitcnt vmcnt(0)
	v_fma_f32 v9, v9, v12, -v137
	v_fmac_f32_e32 v11, v10, v12
	v_add_f32_e32 v8, v8, v9
	v_add_f32_e32 v2, v2, v11
	s_andn2_b32 exec_lo, exec_lo, s5
	s_cbranch_execnz .LBB125_37
; %bb.38:
	s_or_b32 exec_lo, exec_lo, s5
	v_mov_b32_e32 v5, 0
	ds_read_b64 v[5:6], v5 offset:48
	s_waitcnt lgkmcnt(0)
	v_mul_f32_e32 v7, v2, v6
	v_mul_f32_e32 v6, v8, v6
	v_fma_f32 v7, v8, v5, -v7
	v_fmac_f32_e32 v6, v2, v5
	buffer_store_dword v7, off, s[0:3], 0 offset:48
	buffer_store_dword v6, off, s[0:3], 0 offset:52
.LBB125_39:
	s_or_b32 exec_lo, exec_lo, s4
	s_waitcnt_vscnt null, 0x0
	s_barrier
	buffer_gl0_inv
	s_clause 0x1
	buffer_load_dword v5, off, s[0:3], 0 offset:56
	buffer_load_dword v6, off, s[0:3], 0 offset:60
	s_mov_b32 s4, exec_lo
	s_waitcnt vmcnt(0)
	ds_write_b64 v4, v[5:6]
	s_waitcnt lgkmcnt(0)
	s_barrier
	buffer_gl0_inv
	v_cmpx_gt_u32_e32 7, v0
	s_cbranch_execz .LBB125_43
; %bb.40:
	v_add_nc_u32_e32 v5, -1, v0
	v_add_nc_u32_e32 v6, 0x1f0, v3
	v_mov_b32_e32 v7, v3
	v_mov_b32_e32 v2, 0
	;; [unrolled: 1-line block ×3, first 2 shown]
	s_mov_b32 s5, 0
	.p2align	6
.LBB125_41:                             ; =>This Inner Loop Header: Depth=1
	s_clause 0x1
	buffer_load_dword v11, v7, s[0:3], 0 offen offset:4
	buffer_load_dword v12, v7, s[0:3], 0 offen
	ds_read_b64 v[9:10], v6
	v_add_nc_u32_e32 v5, 1, v5
	v_add_nc_u32_e32 v6, 8, v6
	;; [unrolled: 1-line block ×3, first 2 shown]
	v_cmp_lt_u32_e32 vcc_lo, 5, v5
	s_or_b32 s5, vcc_lo, s5
	s_waitcnt vmcnt(1) lgkmcnt(0)
	v_mul_f32_e32 v137, v10, v11
	v_mul_f32_e32 v11, v9, v11
	s_waitcnt vmcnt(0)
	v_fma_f32 v9, v9, v12, -v137
	v_fmac_f32_e32 v11, v10, v12
	v_add_f32_e32 v8, v8, v9
	v_add_f32_e32 v2, v2, v11
	s_andn2_b32 exec_lo, exec_lo, s5
	s_cbranch_execnz .LBB125_41
; %bb.42:
	s_or_b32 exec_lo, exec_lo, s5
	v_mov_b32_e32 v5, 0
	ds_read_b64 v[5:6], v5 offset:56
	s_waitcnt lgkmcnt(0)
	v_mul_f32_e32 v7, v2, v6
	v_mul_f32_e32 v6, v8, v6
	v_fma_f32 v7, v8, v5, -v7
	v_fmac_f32_e32 v6, v2, v5
	buffer_store_dword v7, off, s[0:3], 0 offset:56
	buffer_store_dword v6, off, s[0:3], 0 offset:60
.LBB125_43:
	s_or_b32 exec_lo, exec_lo, s4
	s_waitcnt_vscnt null, 0x0
	s_barrier
	buffer_gl0_inv
	s_clause 0x1
	buffer_load_dword v5, off, s[0:3], 0 offset:64
	buffer_load_dword v6, off, s[0:3], 0 offset:68
	s_mov_b32 s4, exec_lo
	s_waitcnt vmcnt(0)
	ds_write_b64 v4, v[5:6]
	s_waitcnt lgkmcnt(0)
	s_barrier
	buffer_gl0_inv
	v_cmpx_gt_u32_e32 8, v0
	s_cbranch_execz .LBB125_47
; %bb.44:
	v_add_nc_u32_e32 v5, -1, v0
	v_add_nc_u32_e32 v6, 0x1f0, v3
	v_mov_b32_e32 v7, v3
	v_mov_b32_e32 v2, 0
	;; [unrolled: 1-line block ×3, first 2 shown]
	s_mov_b32 s5, 0
	.p2align	6
.LBB125_45:                             ; =>This Inner Loop Header: Depth=1
	s_clause 0x1
	buffer_load_dword v11, v7, s[0:3], 0 offen offset:4
	buffer_load_dword v12, v7, s[0:3], 0 offen
	ds_read_b64 v[9:10], v6
	v_add_nc_u32_e32 v5, 1, v5
	v_add_nc_u32_e32 v6, 8, v6
	;; [unrolled: 1-line block ×3, first 2 shown]
	v_cmp_lt_u32_e32 vcc_lo, 6, v5
	s_or_b32 s5, vcc_lo, s5
	s_waitcnt vmcnt(1) lgkmcnt(0)
	v_mul_f32_e32 v137, v10, v11
	v_mul_f32_e32 v11, v9, v11
	s_waitcnt vmcnt(0)
	v_fma_f32 v9, v9, v12, -v137
	v_fmac_f32_e32 v11, v10, v12
	v_add_f32_e32 v8, v8, v9
	v_add_f32_e32 v2, v2, v11
	s_andn2_b32 exec_lo, exec_lo, s5
	s_cbranch_execnz .LBB125_45
; %bb.46:
	s_or_b32 exec_lo, exec_lo, s5
	v_mov_b32_e32 v5, 0
	ds_read_b64 v[5:6], v5 offset:64
	s_waitcnt lgkmcnt(0)
	v_mul_f32_e32 v7, v2, v6
	v_mul_f32_e32 v6, v8, v6
	v_fma_f32 v7, v8, v5, -v7
	v_fmac_f32_e32 v6, v2, v5
	buffer_store_dword v7, off, s[0:3], 0 offset:64
	buffer_store_dword v6, off, s[0:3], 0 offset:68
.LBB125_47:
	s_or_b32 exec_lo, exec_lo, s4
	s_waitcnt_vscnt null, 0x0
	s_barrier
	buffer_gl0_inv
	s_clause 0x1
	buffer_load_dword v5, off, s[0:3], 0 offset:72
	buffer_load_dword v6, off, s[0:3], 0 offset:76
	s_mov_b32 s4, exec_lo
	s_waitcnt vmcnt(0)
	ds_write_b64 v4, v[5:6]
	s_waitcnt lgkmcnt(0)
	s_barrier
	buffer_gl0_inv
	v_cmpx_gt_u32_e32 9, v0
	s_cbranch_execz .LBB125_51
; %bb.48:
	v_add_nc_u32_e32 v5, -1, v0
	v_add_nc_u32_e32 v6, 0x1f0, v3
	v_mov_b32_e32 v7, v3
	v_mov_b32_e32 v2, 0
	;; [unrolled: 1-line block ×3, first 2 shown]
	s_mov_b32 s5, 0
	.p2align	6
.LBB125_49:                             ; =>This Inner Loop Header: Depth=1
	s_clause 0x1
	buffer_load_dword v11, v7, s[0:3], 0 offen offset:4
	buffer_load_dword v12, v7, s[0:3], 0 offen
	ds_read_b64 v[9:10], v6
	v_add_nc_u32_e32 v5, 1, v5
	v_add_nc_u32_e32 v6, 8, v6
	;; [unrolled: 1-line block ×3, first 2 shown]
	v_cmp_lt_u32_e32 vcc_lo, 7, v5
	s_or_b32 s5, vcc_lo, s5
	s_waitcnt vmcnt(1) lgkmcnt(0)
	v_mul_f32_e32 v137, v10, v11
	v_mul_f32_e32 v11, v9, v11
	s_waitcnt vmcnt(0)
	v_fma_f32 v9, v9, v12, -v137
	v_fmac_f32_e32 v11, v10, v12
	v_add_f32_e32 v8, v8, v9
	v_add_f32_e32 v2, v2, v11
	s_andn2_b32 exec_lo, exec_lo, s5
	s_cbranch_execnz .LBB125_49
; %bb.50:
	s_or_b32 exec_lo, exec_lo, s5
	v_mov_b32_e32 v5, 0
	ds_read_b64 v[5:6], v5 offset:72
	s_waitcnt lgkmcnt(0)
	v_mul_f32_e32 v7, v2, v6
	v_mul_f32_e32 v6, v8, v6
	v_fma_f32 v7, v8, v5, -v7
	v_fmac_f32_e32 v6, v2, v5
	buffer_store_dword v7, off, s[0:3], 0 offset:72
	buffer_store_dword v6, off, s[0:3], 0 offset:76
.LBB125_51:
	s_or_b32 exec_lo, exec_lo, s4
	s_waitcnt_vscnt null, 0x0
	s_barrier
	buffer_gl0_inv
	s_clause 0x1
	buffer_load_dword v5, off, s[0:3], 0 offset:80
	buffer_load_dword v6, off, s[0:3], 0 offset:84
	s_mov_b32 s4, exec_lo
	s_waitcnt vmcnt(0)
	ds_write_b64 v4, v[5:6]
	s_waitcnt lgkmcnt(0)
	s_barrier
	buffer_gl0_inv
	v_cmpx_gt_u32_e32 10, v0
	s_cbranch_execz .LBB125_55
; %bb.52:
	v_add_nc_u32_e32 v5, -1, v0
	v_add_nc_u32_e32 v6, 0x1f0, v3
	v_mov_b32_e32 v7, v3
	v_mov_b32_e32 v2, 0
	;; [unrolled: 1-line block ×3, first 2 shown]
	s_mov_b32 s5, 0
	.p2align	6
.LBB125_53:                             ; =>This Inner Loop Header: Depth=1
	s_clause 0x1
	buffer_load_dword v11, v7, s[0:3], 0 offen offset:4
	buffer_load_dword v12, v7, s[0:3], 0 offen
	ds_read_b64 v[9:10], v6
	v_add_nc_u32_e32 v5, 1, v5
	v_add_nc_u32_e32 v6, 8, v6
	;; [unrolled: 1-line block ×3, first 2 shown]
	v_cmp_lt_u32_e32 vcc_lo, 8, v5
	s_or_b32 s5, vcc_lo, s5
	s_waitcnt vmcnt(1) lgkmcnt(0)
	v_mul_f32_e32 v137, v10, v11
	v_mul_f32_e32 v11, v9, v11
	s_waitcnt vmcnt(0)
	v_fma_f32 v9, v9, v12, -v137
	v_fmac_f32_e32 v11, v10, v12
	v_add_f32_e32 v8, v8, v9
	v_add_f32_e32 v2, v2, v11
	s_andn2_b32 exec_lo, exec_lo, s5
	s_cbranch_execnz .LBB125_53
; %bb.54:
	s_or_b32 exec_lo, exec_lo, s5
	v_mov_b32_e32 v5, 0
	ds_read_b64 v[5:6], v5 offset:80
	s_waitcnt lgkmcnt(0)
	v_mul_f32_e32 v7, v2, v6
	v_mul_f32_e32 v6, v8, v6
	v_fma_f32 v7, v8, v5, -v7
	v_fmac_f32_e32 v6, v2, v5
	buffer_store_dword v7, off, s[0:3], 0 offset:80
	buffer_store_dword v6, off, s[0:3], 0 offset:84
.LBB125_55:
	s_or_b32 exec_lo, exec_lo, s4
	s_waitcnt_vscnt null, 0x0
	s_barrier
	buffer_gl0_inv
	s_clause 0x1
	buffer_load_dword v5, off, s[0:3], 0 offset:88
	buffer_load_dword v6, off, s[0:3], 0 offset:92
	s_mov_b32 s4, exec_lo
	s_waitcnt vmcnt(0)
	ds_write_b64 v4, v[5:6]
	s_waitcnt lgkmcnt(0)
	s_barrier
	buffer_gl0_inv
	v_cmpx_gt_u32_e32 11, v0
	s_cbranch_execz .LBB125_59
; %bb.56:
	v_add_nc_u32_e32 v5, -1, v0
	v_add_nc_u32_e32 v6, 0x1f0, v3
	v_mov_b32_e32 v7, v3
	v_mov_b32_e32 v2, 0
	;; [unrolled: 1-line block ×3, first 2 shown]
	s_mov_b32 s5, 0
	.p2align	6
.LBB125_57:                             ; =>This Inner Loop Header: Depth=1
	s_clause 0x1
	buffer_load_dword v11, v7, s[0:3], 0 offen offset:4
	buffer_load_dword v12, v7, s[0:3], 0 offen
	ds_read_b64 v[9:10], v6
	v_add_nc_u32_e32 v5, 1, v5
	v_add_nc_u32_e32 v6, 8, v6
	v_add_nc_u32_e32 v7, 8, v7
	v_cmp_lt_u32_e32 vcc_lo, 9, v5
	s_or_b32 s5, vcc_lo, s5
	s_waitcnt vmcnt(1) lgkmcnt(0)
	v_mul_f32_e32 v137, v10, v11
	v_mul_f32_e32 v11, v9, v11
	s_waitcnt vmcnt(0)
	v_fma_f32 v9, v9, v12, -v137
	v_fmac_f32_e32 v11, v10, v12
	v_add_f32_e32 v8, v8, v9
	v_add_f32_e32 v2, v2, v11
	s_andn2_b32 exec_lo, exec_lo, s5
	s_cbranch_execnz .LBB125_57
; %bb.58:
	s_or_b32 exec_lo, exec_lo, s5
	v_mov_b32_e32 v5, 0
	ds_read_b64 v[5:6], v5 offset:88
	s_waitcnt lgkmcnt(0)
	v_mul_f32_e32 v7, v2, v6
	v_mul_f32_e32 v6, v8, v6
	v_fma_f32 v7, v8, v5, -v7
	v_fmac_f32_e32 v6, v2, v5
	buffer_store_dword v7, off, s[0:3], 0 offset:88
	buffer_store_dword v6, off, s[0:3], 0 offset:92
.LBB125_59:
	s_or_b32 exec_lo, exec_lo, s4
	s_waitcnt_vscnt null, 0x0
	s_barrier
	buffer_gl0_inv
	s_clause 0x1
	buffer_load_dword v5, off, s[0:3], 0 offset:96
	buffer_load_dword v6, off, s[0:3], 0 offset:100
	s_mov_b32 s4, exec_lo
	s_waitcnt vmcnt(0)
	ds_write_b64 v4, v[5:6]
	s_waitcnt lgkmcnt(0)
	s_barrier
	buffer_gl0_inv
	v_cmpx_gt_u32_e32 12, v0
	s_cbranch_execz .LBB125_63
; %bb.60:
	v_add_nc_u32_e32 v5, -1, v0
	v_add_nc_u32_e32 v6, 0x1f0, v3
	v_mov_b32_e32 v7, v3
	v_mov_b32_e32 v2, 0
	;; [unrolled: 1-line block ×3, first 2 shown]
	s_mov_b32 s5, 0
	.p2align	6
.LBB125_61:                             ; =>This Inner Loop Header: Depth=1
	s_clause 0x1
	buffer_load_dword v11, v7, s[0:3], 0 offen offset:4
	buffer_load_dword v12, v7, s[0:3], 0 offen
	ds_read_b64 v[9:10], v6
	v_add_nc_u32_e32 v5, 1, v5
	v_add_nc_u32_e32 v6, 8, v6
	v_add_nc_u32_e32 v7, 8, v7
	v_cmp_lt_u32_e32 vcc_lo, 10, v5
	s_or_b32 s5, vcc_lo, s5
	s_waitcnt vmcnt(1) lgkmcnt(0)
	v_mul_f32_e32 v137, v10, v11
	v_mul_f32_e32 v11, v9, v11
	s_waitcnt vmcnt(0)
	v_fma_f32 v9, v9, v12, -v137
	v_fmac_f32_e32 v11, v10, v12
	v_add_f32_e32 v8, v8, v9
	v_add_f32_e32 v2, v2, v11
	s_andn2_b32 exec_lo, exec_lo, s5
	s_cbranch_execnz .LBB125_61
; %bb.62:
	s_or_b32 exec_lo, exec_lo, s5
	v_mov_b32_e32 v5, 0
	ds_read_b64 v[5:6], v5 offset:96
	s_waitcnt lgkmcnt(0)
	v_mul_f32_e32 v7, v2, v6
	v_mul_f32_e32 v6, v8, v6
	v_fma_f32 v7, v8, v5, -v7
	v_fmac_f32_e32 v6, v2, v5
	buffer_store_dword v7, off, s[0:3], 0 offset:96
	buffer_store_dword v6, off, s[0:3], 0 offset:100
.LBB125_63:
	s_or_b32 exec_lo, exec_lo, s4
	s_waitcnt_vscnt null, 0x0
	s_barrier
	buffer_gl0_inv
	s_clause 0x1
	buffer_load_dword v5, off, s[0:3], 0 offset:104
	buffer_load_dword v6, off, s[0:3], 0 offset:108
	s_mov_b32 s4, exec_lo
	s_waitcnt vmcnt(0)
	ds_write_b64 v4, v[5:6]
	s_waitcnt lgkmcnt(0)
	s_barrier
	buffer_gl0_inv
	v_cmpx_gt_u32_e32 13, v0
	s_cbranch_execz .LBB125_67
; %bb.64:
	v_add_nc_u32_e32 v5, -1, v0
	v_add_nc_u32_e32 v6, 0x1f0, v3
	v_mov_b32_e32 v7, v3
	v_mov_b32_e32 v2, 0
	v_mov_b32_e32 v8, 0
	s_mov_b32 s5, 0
	.p2align	6
.LBB125_65:                             ; =>This Inner Loop Header: Depth=1
	s_clause 0x1
	buffer_load_dword v11, v7, s[0:3], 0 offen offset:4
	buffer_load_dword v12, v7, s[0:3], 0 offen
	ds_read_b64 v[9:10], v6
	v_add_nc_u32_e32 v5, 1, v5
	v_add_nc_u32_e32 v6, 8, v6
	;; [unrolled: 1-line block ×3, first 2 shown]
	v_cmp_lt_u32_e32 vcc_lo, 11, v5
	s_or_b32 s5, vcc_lo, s5
	s_waitcnt vmcnt(1) lgkmcnt(0)
	v_mul_f32_e32 v137, v10, v11
	v_mul_f32_e32 v11, v9, v11
	s_waitcnt vmcnt(0)
	v_fma_f32 v9, v9, v12, -v137
	v_fmac_f32_e32 v11, v10, v12
	v_add_f32_e32 v8, v8, v9
	v_add_f32_e32 v2, v2, v11
	s_andn2_b32 exec_lo, exec_lo, s5
	s_cbranch_execnz .LBB125_65
; %bb.66:
	s_or_b32 exec_lo, exec_lo, s5
	v_mov_b32_e32 v5, 0
	ds_read_b64 v[5:6], v5 offset:104
	s_waitcnt lgkmcnt(0)
	v_mul_f32_e32 v7, v2, v6
	v_mul_f32_e32 v6, v8, v6
	v_fma_f32 v7, v8, v5, -v7
	v_fmac_f32_e32 v6, v2, v5
	buffer_store_dword v7, off, s[0:3], 0 offset:104
	buffer_store_dword v6, off, s[0:3], 0 offset:108
.LBB125_67:
	s_or_b32 exec_lo, exec_lo, s4
	s_waitcnt_vscnt null, 0x0
	s_barrier
	buffer_gl0_inv
	s_clause 0x1
	buffer_load_dword v5, off, s[0:3], 0 offset:112
	buffer_load_dword v6, off, s[0:3], 0 offset:116
	s_mov_b32 s4, exec_lo
	s_waitcnt vmcnt(0)
	ds_write_b64 v4, v[5:6]
	s_waitcnt lgkmcnt(0)
	s_barrier
	buffer_gl0_inv
	v_cmpx_gt_u32_e32 14, v0
	s_cbranch_execz .LBB125_71
; %bb.68:
	v_add_nc_u32_e32 v5, -1, v0
	v_add_nc_u32_e32 v6, 0x1f0, v3
	v_mov_b32_e32 v7, v3
	v_mov_b32_e32 v2, 0
	;; [unrolled: 1-line block ×3, first 2 shown]
	s_mov_b32 s5, 0
	.p2align	6
.LBB125_69:                             ; =>This Inner Loop Header: Depth=1
	s_clause 0x1
	buffer_load_dword v11, v7, s[0:3], 0 offen offset:4
	buffer_load_dword v12, v7, s[0:3], 0 offen
	ds_read_b64 v[9:10], v6
	v_add_nc_u32_e32 v5, 1, v5
	v_add_nc_u32_e32 v6, 8, v6
	v_add_nc_u32_e32 v7, 8, v7
	v_cmp_lt_u32_e32 vcc_lo, 12, v5
	s_or_b32 s5, vcc_lo, s5
	s_waitcnt vmcnt(1) lgkmcnt(0)
	v_mul_f32_e32 v137, v10, v11
	v_mul_f32_e32 v11, v9, v11
	s_waitcnt vmcnt(0)
	v_fma_f32 v9, v9, v12, -v137
	v_fmac_f32_e32 v11, v10, v12
	v_add_f32_e32 v8, v8, v9
	v_add_f32_e32 v2, v2, v11
	s_andn2_b32 exec_lo, exec_lo, s5
	s_cbranch_execnz .LBB125_69
; %bb.70:
	s_or_b32 exec_lo, exec_lo, s5
	v_mov_b32_e32 v5, 0
	ds_read_b64 v[5:6], v5 offset:112
	s_waitcnt lgkmcnt(0)
	v_mul_f32_e32 v7, v2, v6
	v_mul_f32_e32 v6, v8, v6
	v_fma_f32 v7, v8, v5, -v7
	v_fmac_f32_e32 v6, v2, v5
	buffer_store_dword v7, off, s[0:3], 0 offset:112
	buffer_store_dword v6, off, s[0:3], 0 offset:116
.LBB125_71:
	s_or_b32 exec_lo, exec_lo, s4
	s_waitcnt_vscnt null, 0x0
	s_barrier
	buffer_gl0_inv
	s_clause 0x1
	buffer_load_dword v5, off, s[0:3], 0 offset:120
	buffer_load_dword v6, off, s[0:3], 0 offset:124
	s_mov_b32 s4, exec_lo
	s_waitcnt vmcnt(0)
	ds_write_b64 v4, v[5:6]
	s_waitcnt lgkmcnt(0)
	s_barrier
	buffer_gl0_inv
	v_cmpx_gt_u32_e32 15, v0
	s_cbranch_execz .LBB125_75
; %bb.72:
	v_add_nc_u32_e32 v5, -1, v0
	v_add_nc_u32_e32 v6, 0x1f0, v3
	v_mov_b32_e32 v7, v3
	v_mov_b32_e32 v2, 0
	;; [unrolled: 1-line block ×3, first 2 shown]
	s_mov_b32 s5, 0
	.p2align	6
.LBB125_73:                             ; =>This Inner Loop Header: Depth=1
	s_clause 0x1
	buffer_load_dword v11, v7, s[0:3], 0 offen offset:4
	buffer_load_dword v12, v7, s[0:3], 0 offen
	ds_read_b64 v[9:10], v6
	v_add_nc_u32_e32 v5, 1, v5
	v_add_nc_u32_e32 v6, 8, v6
	;; [unrolled: 1-line block ×3, first 2 shown]
	v_cmp_lt_u32_e32 vcc_lo, 13, v5
	s_or_b32 s5, vcc_lo, s5
	s_waitcnt vmcnt(1) lgkmcnt(0)
	v_mul_f32_e32 v137, v10, v11
	v_mul_f32_e32 v11, v9, v11
	s_waitcnt vmcnt(0)
	v_fma_f32 v9, v9, v12, -v137
	v_fmac_f32_e32 v11, v10, v12
	v_add_f32_e32 v8, v8, v9
	v_add_f32_e32 v2, v2, v11
	s_andn2_b32 exec_lo, exec_lo, s5
	s_cbranch_execnz .LBB125_73
; %bb.74:
	s_or_b32 exec_lo, exec_lo, s5
	v_mov_b32_e32 v5, 0
	ds_read_b64 v[5:6], v5 offset:120
	s_waitcnt lgkmcnt(0)
	v_mul_f32_e32 v7, v2, v6
	v_mul_f32_e32 v6, v8, v6
	v_fma_f32 v7, v8, v5, -v7
	v_fmac_f32_e32 v6, v2, v5
	buffer_store_dword v7, off, s[0:3], 0 offset:120
	buffer_store_dword v6, off, s[0:3], 0 offset:124
.LBB125_75:
	s_or_b32 exec_lo, exec_lo, s4
	s_waitcnt_vscnt null, 0x0
	s_barrier
	buffer_gl0_inv
	s_clause 0x1
	buffer_load_dword v5, off, s[0:3], 0 offset:128
	buffer_load_dword v6, off, s[0:3], 0 offset:132
	s_mov_b32 s4, exec_lo
	s_waitcnt vmcnt(0)
	ds_write_b64 v4, v[5:6]
	s_waitcnt lgkmcnt(0)
	s_barrier
	buffer_gl0_inv
	v_cmpx_gt_u32_e32 16, v0
	s_cbranch_execz .LBB125_79
; %bb.76:
	v_add_nc_u32_e32 v5, -1, v0
	v_add_nc_u32_e32 v6, 0x1f0, v3
	v_mov_b32_e32 v7, v3
	v_mov_b32_e32 v2, 0
	;; [unrolled: 1-line block ×3, first 2 shown]
	s_mov_b32 s5, 0
	.p2align	6
.LBB125_77:                             ; =>This Inner Loop Header: Depth=1
	s_clause 0x1
	buffer_load_dword v11, v7, s[0:3], 0 offen offset:4
	buffer_load_dword v12, v7, s[0:3], 0 offen
	ds_read_b64 v[9:10], v6
	v_add_nc_u32_e32 v5, 1, v5
	v_add_nc_u32_e32 v6, 8, v6
	;; [unrolled: 1-line block ×3, first 2 shown]
	v_cmp_lt_u32_e32 vcc_lo, 14, v5
	s_or_b32 s5, vcc_lo, s5
	s_waitcnt vmcnt(1) lgkmcnt(0)
	v_mul_f32_e32 v137, v10, v11
	v_mul_f32_e32 v11, v9, v11
	s_waitcnt vmcnt(0)
	v_fma_f32 v9, v9, v12, -v137
	v_fmac_f32_e32 v11, v10, v12
	v_add_f32_e32 v8, v8, v9
	v_add_f32_e32 v2, v2, v11
	s_andn2_b32 exec_lo, exec_lo, s5
	s_cbranch_execnz .LBB125_77
; %bb.78:
	s_or_b32 exec_lo, exec_lo, s5
	v_mov_b32_e32 v5, 0
	ds_read_b64 v[5:6], v5 offset:128
	s_waitcnt lgkmcnt(0)
	v_mul_f32_e32 v7, v2, v6
	v_mul_f32_e32 v6, v8, v6
	v_fma_f32 v7, v8, v5, -v7
	v_fmac_f32_e32 v6, v2, v5
	buffer_store_dword v7, off, s[0:3], 0 offset:128
	buffer_store_dword v6, off, s[0:3], 0 offset:132
.LBB125_79:
	s_or_b32 exec_lo, exec_lo, s4
	s_waitcnt_vscnt null, 0x0
	s_barrier
	buffer_gl0_inv
	s_clause 0x1
	buffer_load_dword v5, off, s[0:3], 0 offset:136
	buffer_load_dword v6, off, s[0:3], 0 offset:140
	s_mov_b32 s4, exec_lo
	s_waitcnt vmcnt(0)
	ds_write_b64 v4, v[5:6]
	s_waitcnt lgkmcnt(0)
	s_barrier
	buffer_gl0_inv
	v_cmpx_gt_u32_e32 17, v0
	s_cbranch_execz .LBB125_83
; %bb.80:
	v_add_nc_u32_e32 v5, -1, v0
	v_add_nc_u32_e32 v6, 0x1f0, v3
	v_mov_b32_e32 v7, v3
	v_mov_b32_e32 v2, 0
	;; [unrolled: 1-line block ×3, first 2 shown]
	s_mov_b32 s5, 0
	.p2align	6
.LBB125_81:                             ; =>This Inner Loop Header: Depth=1
	s_clause 0x1
	buffer_load_dword v11, v7, s[0:3], 0 offen offset:4
	buffer_load_dword v12, v7, s[0:3], 0 offen
	ds_read_b64 v[9:10], v6
	v_add_nc_u32_e32 v5, 1, v5
	v_add_nc_u32_e32 v6, 8, v6
	;; [unrolled: 1-line block ×3, first 2 shown]
	v_cmp_lt_u32_e32 vcc_lo, 15, v5
	s_or_b32 s5, vcc_lo, s5
	s_waitcnt vmcnt(1) lgkmcnt(0)
	v_mul_f32_e32 v137, v10, v11
	v_mul_f32_e32 v11, v9, v11
	s_waitcnt vmcnt(0)
	v_fma_f32 v9, v9, v12, -v137
	v_fmac_f32_e32 v11, v10, v12
	v_add_f32_e32 v8, v8, v9
	v_add_f32_e32 v2, v2, v11
	s_andn2_b32 exec_lo, exec_lo, s5
	s_cbranch_execnz .LBB125_81
; %bb.82:
	s_or_b32 exec_lo, exec_lo, s5
	v_mov_b32_e32 v5, 0
	ds_read_b64 v[5:6], v5 offset:136
	s_waitcnt lgkmcnt(0)
	v_mul_f32_e32 v7, v2, v6
	v_mul_f32_e32 v6, v8, v6
	v_fma_f32 v7, v8, v5, -v7
	v_fmac_f32_e32 v6, v2, v5
	buffer_store_dword v7, off, s[0:3], 0 offset:136
	buffer_store_dword v6, off, s[0:3], 0 offset:140
.LBB125_83:
	s_or_b32 exec_lo, exec_lo, s4
	s_waitcnt_vscnt null, 0x0
	s_barrier
	buffer_gl0_inv
	s_clause 0x1
	buffer_load_dword v5, off, s[0:3], 0 offset:144
	buffer_load_dword v6, off, s[0:3], 0 offset:148
	s_mov_b32 s4, exec_lo
	s_waitcnt vmcnt(0)
	ds_write_b64 v4, v[5:6]
	s_waitcnt lgkmcnt(0)
	s_barrier
	buffer_gl0_inv
	v_cmpx_gt_u32_e32 18, v0
	s_cbranch_execz .LBB125_87
; %bb.84:
	v_add_nc_u32_e32 v5, -1, v0
	v_add_nc_u32_e32 v6, 0x1f0, v3
	v_mov_b32_e32 v7, v3
	v_mov_b32_e32 v2, 0
	;; [unrolled: 1-line block ×3, first 2 shown]
	s_mov_b32 s5, 0
	.p2align	6
.LBB125_85:                             ; =>This Inner Loop Header: Depth=1
	s_clause 0x1
	buffer_load_dword v11, v7, s[0:3], 0 offen offset:4
	buffer_load_dword v12, v7, s[0:3], 0 offen
	ds_read_b64 v[9:10], v6
	v_add_nc_u32_e32 v5, 1, v5
	v_add_nc_u32_e32 v6, 8, v6
	v_add_nc_u32_e32 v7, 8, v7
	v_cmp_lt_u32_e32 vcc_lo, 16, v5
	s_or_b32 s5, vcc_lo, s5
	s_waitcnt vmcnt(1) lgkmcnt(0)
	v_mul_f32_e32 v137, v10, v11
	v_mul_f32_e32 v11, v9, v11
	s_waitcnt vmcnt(0)
	v_fma_f32 v9, v9, v12, -v137
	v_fmac_f32_e32 v11, v10, v12
	v_add_f32_e32 v8, v8, v9
	v_add_f32_e32 v2, v2, v11
	s_andn2_b32 exec_lo, exec_lo, s5
	s_cbranch_execnz .LBB125_85
; %bb.86:
	s_or_b32 exec_lo, exec_lo, s5
	v_mov_b32_e32 v5, 0
	ds_read_b64 v[5:6], v5 offset:144
	s_waitcnt lgkmcnt(0)
	v_mul_f32_e32 v7, v2, v6
	v_mul_f32_e32 v6, v8, v6
	v_fma_f32 v7, v8, v5, -v7
	v_fmac_f32_e32 v6, v2, v5
	buffer_store_dword v7, off, s[0:3], 0 offset:144
	buffer_store_dword v6, off, s[0:3], 0 offset:148
.LBB125_87:
	s_or_b32 exec_lo, exec_lo, s4
	s_waitcnt_vscnt null, 0x0
	s_barrier
	buffer_gl0_inv
	s_clause 0x1
	buffer_load_dword v5, off, s[0:3], 0 offset:152
	buffer_load_dword v6, off, s[0:3], 0 offset:156
	s_mov_b32 s4, exec_lo
	s_waitcnt vmcnt(0)
	ds_write_b64 v4, v[5:6]
	s_waitcnt lgkmcnt(0)
	s_barrier
	buffer_gl0_inv
	v_cmpx_gt_u32_e32 19, v0
	s_cbranch_execz .LBB125_91
; %bb.88:
	v_add_nc_u32_e32 v5, -1, v0
	v_add_nc_u32_e32 v6, 0x1f0, v3
	v_mov_b32_e32 v7, v3
	v_mov_b32_e32 v2, 0
	v_mov_b32_e32 v8, 0
	s_mov_b32 s5, 0
	.p2align	6
.LBB125_89:                             ; =>This Inner Loop Header: Depth=1
	s_clause 0x1
	buffer_load_dword v11, v7, s[0:3], 0 offen offset:4
	buffer_load_dword v12, v7, s[0:3], 0 offen
	ds_read_b64 v[9:10], v6
	v_add_nc_u32_e32 v5, 1, v5
	v_add_nc_u32_e32 v6, 8, v6
	v_add_nc_u32_e32 v7, 8, v7
	v_cmp_lt_u32_e32 vcc_lo, 17, v5
	s_or_b32 s5, vcc_lo, s5
	s_waitcnt vmcnt(1) lgkmcnt(0)
	v_mul_f32_e32 v137, v10, v11
	v_mul_f32_e32 v11, v9, v11
	s_waitcnt vmcnt(0)
	v_fma_f32 v9, v9, v12, -v137
	v_fmac_f32_e32 v11, v10, v12
	v_add_f32_e32 v8, v8, v9
	v_add_f32_e32 v2, v2, v11
	s_andn2_b32 exec_lo, exec_lo, s5
	s_cbranch_execnz .LBB125_89
; %bb.90:
	s_or_b32 exec_lo, exec_lo, s5
	v_mov_b32_e32 v5, 0
	ds_read_b64 v[5:6], v5 offset:152
	s_waitcnt lgkmcnt(0)
	v_mul_f32_e32 v7, v2, v6
	v_mul_f32_e32 v6, v8, v6
	v_fma_f32 v7, v8, v5, -v7
	v_fmac_f32_e32 v6, v2, v5
	buffer_store_dword v7, off, s[0:3], 0 offset:152
	buffer_store_dword v6, off, s[0:3], 0 offset:156
.LBB125_91:
	s_or_b32 exec_lo, exec_lo, s4
	s_waitcnt_vscnt null, 0x0
	s_barrier
	buffer_gl0_inv
	s_clause 0x1
	buffer_load_dword v5, off, s[0:3], 0 offset:160
	buffer_load_dword v6, off, s[0:3], 0 offset:164
	s_mov_b32 s4, exec_lo
	s_waitcnt vmcnt(0)
	ds_write_b64 v4, v[5:6]
	s_waitcnt lgkmcnt(0)
	s_barrier
	buffer_gl0_inv
	v_cmpx_gt_u32_e32 20, v0
	s_cbranch_execz .LBB125_95
; %bb.92:
	v_add_nc_u32_e32 v5, -1, v0
	v_add_nc_u32_e32 v6, 0x1f0, v3
	v_mov_b32_e32 v7, v3
	v_mov_b32_e32 v2, 0
	;; [unrolled: 1-line block ×3, first 2 shown]
	s_mov_b32 s5, 0
	.p2align	6
.LBB125_93:                             ; =>This Inner Loop Header: Depth=1
	s_clause 0x1
	buffer_load_dword v11, v7, s[0:3], 0 offen offset:4
	buffer_load_dword v12, v7, s[0:3], 0 offen
	ds_read_b64 v[9:10], v6
	v_add_nc_u32_e32 v5, 1, v5
	v_add_nc_u32_e32 v6, 8, v6
	;; [unrolled: 1-line block ×3, first 2 shown]
	v_cmp_lt_u32_e32 vcc_lo, 18, v5
	s_or_b32 s5, vcc_lo, s5
	s_waitcnt vmcnt(1) lgkmcnt(0)
	v_mul_f32_e32 v137, v10, v11
	v_mul_f32_e32 v11, v9, v11
	s_waitcnt vmcnt(0)
	v_fma_f32 v9, v9, v12, -v137
	v_fmac_f32_e32 v11, v10, v12
	v_add_f32_e32 v8, v8, v9
	v_add_f32_e32 v2, v2, v11
	s_andn2_b32 exec_lo, exec_lo, s5
	s_cbranch_execnz .LBB125_93
; %bb.94:
	s_or_b32 exec_lo, exec_lo, s5
	v_mov_b32_e32 v5, 0
	ds_read_b64 v[5:6], v5 offset:160
	s_waitcnt lgkmcnt(0)
	v_mul_f32_e32 v7, v2, v6
	v_mul_f32_e32 v6, v8, v6
	v_fma_f32 v7, v8, v5, -v7
	v_fmac_f32_e32 v6, v2, v5
	buffer_store_dword v7, off, s[0:3], 0 offset:160
	buffer_store_dword v6, off, s[0:3], 0 offset:164
.LBB125_95:
	s_or_b32 exec_lo, exec_lo, s4
	s_waitcnt_vscnt null, 0x0
	s_barrier
	buffer_gl0_inv
	s_clause 0x1
	buffer_load_dword v5, off, s[0:3], 0 offset:168
	buffer_load_dword v6, off, s[0:3], 0 offset:172
	s_mov_b32 s4, exec_lo
	s_waitcnt vmcnt(0)
	ds_write_b64 v4, v[5:6]
	s_waitcnt lgkmcnt(0)
	s_barrier
	buffer_gl0_inv
	v_cmpx_gt_u32_e32 21, v0
	s_cbranch_execz .LBB125_99
; %bb.96:
	v_add_nc_u32_e32 v5, -1, v0
	v_add_nc_u32_e32 v6, 0x1f0, v3
	v_mov_b32_e32 v7, v3
	v_mov_b32_e32 v2, 0
	;; [unrolled: 1-line block ×3, first 2 shown]
	s_mov_b32 s5, 0
	.p2align	6
.LBB125_97:                             ; =>This Inner Loop Header: Depth=1
	s_clause 0x1
	buffer_load_dword v11, v7, s[0:3], 0 offen offset:4
	buffer_load_dword v12, v7, s[0:3], 0 offen
	ds_read_b64 v[9:10], v6
	v_add_nc_u32_e32 v5, 1, v5
	v_add_nc_u32_e32 v6, 8, v6
	;; [unrolled: 1-line block ×3, first 2 shown]
	v_cmp_lt_u32_e32 vcc_lo, 19, v5
	s_or_b32 s5, vcc_lo, s5
	s_waitcnt vmcnt(1) lgkmcnt(0)
	v_mul_f32_e32 v137, v10, v11
	v_mul_f32_e32 v11, v9, v11
	s_waitcnt vmcnt(0)
	v_fma_f32 v9, v9, v12, -v137
	v_fmac_f32_e32 v11, v10, v12
	v_add_f32_e32 v8, v8, v9
	v_add_f32_e32 v2, v2, v11
	s_andn2_b32 exec_lo, exec_lo, s5
	s_cbranch_execnz .LBB125_97
; %bb.98:
	s_or_b32 exec_lo, exec_lo, s5
	v_mov_b32_e32 v5, 0
	ds_read_b64 v[5:6], v5 offset:168
	s_waitcnt lgkmcnt(0)
	v_mul_f32_e32 v7, v2, v6
	v_mul_f32_e32 v6, v8, v6
	v_fma_f32 v7, v8, v5, -v7
	v_fmac_f32_e32 v6, v2, v5
	buffer_store_dword v7, off, s[0:3], 0 offset:168
	buffer_store_dword v6, off, s[0:3], 0 offset:172
.LBB125_99:
	s_or_b32 exec_lo, exec_lo, s4
	s_waitcnt_vscnt null, 0x0
	s_barrier
	buffer_gl0_inv
	s_clause 0x1
	buffer_load_dword v5, off, s[0:3], 0 offset:176
	buffer_load_dword v6, off, s[0:3], 0 offset:180
	s_mov_b32 s4, exec_lo
	s_waitcnt vmcnt(0)
	ds_write_b64 v4, v[5:6]
	s_waitcnt lgkmcnt(0)
	s_barrier
	buffer_gl0_inv
	v_cmpx_gt_u32_e32 22, v0
	s_cbranch_execz .LBB125_103
; %bb.100:
	v_add_nc_u32_e32 v5, -1, v0
	v_add_nc_u32_e32 v6, 0x1f0, v3
	v_mov_b32_e32 v7, v3
	v_mov_b32_e32 v2, 0
	;; [unrolled: 1-line block ×3, first 2 shown]
	s_mov_b32 s5, 0
	.p2align	6
.LBB125_101:                            ; =>This Inner Loop Header: Depth=1
	s_clause 0x1
	buffer_load_dword v11, v7, s[0:3], 0 offen offset:4
	buffer_load_dword v12, v7, s[0:3], 0 offen
	ds_read_b64 v[9:10], v6
	v_add_nc_u32_e32 v5, 1, v5
	v_add_nc_u32_e32 v6, 8, v6
	;; [unrolled: 1-line block ×3, first 2 shown]
	v_cmp_lt_u32_e32 vcc_lo, 20, v5
	s_or_b32 s5, vcc_lo, s5
	s_waitcnt vmcnt(1) lgkmcnt(0)
	v_mul_f32_e32 v137, v10, v11
	v_mul_f32_e32 v11, v9, v11
	s_waitcnt vmcnt(0)
	v_fma_f32 v9, v9, v12, -v137
	v_fmac_f32_e32 v11, v10, v12
	v_add_f32_e32 v8, v8, v9
	v_add_f32_e32 v2, v2, v11
	s_andn2_b32 exec_lo, exec_lo, s5
	s_cbranch_execnz .LBB125_101
; %bb.102:
	s_or_b32 exec_lo, exec_lo, s5
	v_mov_b32_e32 v5, 0
	ds_read_b64 v[5:6], v5 offset:176
	s_waitcnt lgkmcnt(0)
	v_mul_f32_e32 v7, v2, v6
	v_mul_f32_e32 v6, v8, v6
	v_fma_f32 v7, v8, v5, -v7
	v_fmac_f32_e32 v6, v2, v5
	buffer_store_dword v7, off, s[0:3], 0 offset:176
	buffer_store_dword v6, off, s[0:3], 0 offset:180
.LBB125_103:
	s_or_b32 exec_lo, exec_lo, s4
	s_waitcnt_vscnt null, 0x0
	s_barrier
	buffer_gl0_inv
	s_clause 0x1
	buffer_load_dword v5, off, s[0:3], 0 offset:184
	buffer_load_dword v6, off, s[0:3], 0 offset:188
	s_mov_b32 s4, exec_lo
	s_waitcnt vmcnt(0)
	ds_write_b64 v4, v[5:6]
	s_waitcnt lgkmcnt(0)
	s_barrier
	buffer_gl0_inv
	v_cmpx_gt_u32_e32 23, v0
	s_cbranch_execz .LBB125_107
; %bb.104:
	v_add_nc_u32_e32 v5, -1, v0
	v_add_nc_u32_e32 v6, 0x1f0, v3
	v_mov_b32_e32 v7, v3
	v_mov_b32_e32 v2, 0
	;; [unrolled: 1-line block ×3, first 2 shown]
	s_mov_b32 s5, 0
	.p2align	6
.LBB125_105:                            ; =>This Inner Loop Header: Depth=1
	s_clause 0x1
	buffer_load_dword v11, v7, s[0:3], 0 offen offset:4
	buffer_load_dword v12, v7, s[0:3], 0 offen
	ds_read_b64 v[9:10], v6
	v_add_nc_u32_e32 v5, 1, v5
	v_add_nc_u32_e32 v6, 8, v6
	;; [unrolled: 1-line block ×3, first 2 shown]
	v_cmp_lt_u32_e32 vcc_lo, 21, v5
	s_or_b32 s5, vcc_lo, s5
	s_waitcnt vmcnt(1) lgkmcnt(0)
	v_mul_f32_e32 v137, v10, v11
	v_mul_f32_e32 v11, v9, v11
	s_waitcnt vmcnt(0)
	v_fma_f32 v9, v9, v12, -v137
	v_fmac_f32_e32 v11, v10, v12
	v_add_f32_e32 v8, v8, v9
	v_add_f32_e32 v2, v2, v11
	s_andn2_b32 exec_lo, exec_lo, s5
	s_cbranch_execnz .LBB125_105
; %bb.106:
	s_or_b32 exec_lo, exec_lo, s5
	v_mov_b32_e32 v5, 0
	ds_read_b64 v[5:6], v5 offset:184
	s_waitcnt lgkmcnt(0)
	v_mul_f32_e32 v7, v2, v6
	v_mul_f32_e32 v6, v8, v6
	v_fma_f32 v7, v8, v5, -v7
	v_fmac_f32_e32 v6, v2, v5
	buffer_store_dword v7, off, s[0:3], 0 offset:184
	buffer_store_dword v6, off, s[0:3], 0 offset:188
.LBB125_107:
	s_or_b32 exec_lo, exec_lo, s4
	s_waitcnt_vscnt null, 0x0
	s_barrier
	buffer_gl0_inv
	s_clause 0x1
	buffer_load_dword v5, off, s[0:3], 0 offset:192
	buffer_load_dword v6, off, s[0:3], 0 offset:196
	s_mov_b32 s4, exec_lo
	s_waitcnt vmcnt(0)
	ds_write_b64 v4, v[5:6]
	s_waitcnt lgkmcnt(0)
	s_barrier
	buffer_gl0_inv
	v_cmpx_gt_u32_e32 24, v0
	s_cbranch_execz .LBB125_111
; %bb.108:
	v_add_nc_u32_e32 v5, -1, v0
	v_add_nc_u32_e32 v6, 0x1f0, v3
	v_mov_b32_e32 v7, v3
	v_mov_b32_e32 v2, 0
	;; [unrolled: 1-line block ×3, first 2 shown]
	s_mov_b32 s5, 0
	.p2align	6
.LBB125_109:                            ; =>This Inner Loop Header: Depth=1
	s_clause 0x1
	buffer_load_dword v11, v7, s[0:3], 0 offen offset:4
	buffer_load_dword v12, v7, s[0:3], 0 offen
	ds_read_b64 v[9:10], v6
	v_add_nc_u32_e32 v5, 1, v5
	v_add_nc_u32_e32 v6, 8, v6
	;; [unrolled: 1-line block ×3, first 2 shown]
	v_cmp_lt_u32_e32 vcc_lo, 22, v5
	s_or_b32 s5, vcc_lo, s5
	s_waitcnt vmcnt(1) lgkmcnt(0)
	v_mul_f32_e32 v137, v10, v11
	v_mul_f32_e32 v11, v9, v11
	s_waitcnt vmcnt(0)
	v_fma_f32 v9, v9, v12, -v137
	v_fmac_f32_e32 v11, v10, v12
	v_add_f32_e32 v8, v8, v9
	v_add_f32_e32 v2, v2, v11
	s_andn2_b32 exec_lo, exec_lo, s5
	s_cbranch_execnz .LBB125_109
; %bb.110:
	s_or_b32 exec_lo, exec_lo, s5
	v_mov_b32_e32 v5, 0
	ds_read_b64 v[5:6], v5 offset:192
	s_waitcnt lgkmcnt(0)
	v_mul_f32_e32 v7, v2, v6
	v_mul_f32_e32 v6, v8, v6
	v_fma_f32 v7, v8, v5, -v7
	v_fmac_f32_e32 v6, v2, v5
	buffer_store_dword v7, off, s[0:3], 0 offset:192
	buffer_store_dword v6, off, s[0:3], 0 offset:196
.LBB125_111:
	s_or_b32 exec_lo, exec_lo, s4
	s_waitcnt_vscnt null, 0x0
	s_barrier
	buffer_gl0_inv
	s_clause 0x1
	buffer_load_dword v5, off, s[0:3], 0 offset:200
	buffer_load_dword v6, off, s[0:3], 0 offset:204
	s_mov_b32 s4, exec_lo
	s_waitcnt vmcnt(0)
	ds_write_b64 v4, v[5:6]
	s_waitcnt lgkmcnt(0)
	s_barrier
	buffer_gl0_inv
	v_cmpx_gt_u32_e32 25, v0
	s_cbranch_execz .LBB125_115
; %bb.112:
	v_add_nc_u32_e32 v5, -1, v0
	v_add_nc_u32_e32 v6, 0x1f0, v3
	v_mov_b32_e32 v7, v3
	v_mov_b32_e32 v2, 0
	v_mov_b32_e32 v8, 0
	s_mov_b32 s5, 0
	.p2align	6
.LBB125_113:                            ; =>This Inner Loop Header: Depth=1
	s_clause 0x1
	buffer_load_dword v11, v7, s[0:3], 0 offen offset:4
	buffer_load_dword v12, v7, s[0:3], 0 offen
	ds_read_b64 v[9:10], v6
	v_add_nc_u32_e32 v5, 1, v5
	v_add_nc_u32_e32 v6, 8, v6
	;; [unrolled: 1-line block ×3, first 2 shown]
	v_cmp_lt_u32_e32 vcc_lo, 23, v5
	s_or_b32 s5, vcc_lo, s5
	s_waitcnt vmcnt(1) lgkmcnt(0)
	v_mul_f32_e32 v137, v10, v11
	v_mul_f32_e32 v11, v9, v11
	s_waitcnt vmcnt(0)
	v_fma_f32 v9, v9, v12, -v137
	v_fmac_f32_e32 v11, v10, v12
	v_add_f32_e32 v8, v8, v9
	v_add_f32_e32 v2, v2, v11
	s_andn2_b32 exec_lo, exec_lo, s5
	s_cbranch_execnz .LBB125_113
; %bb.114:
	s_or_b32 exec_lo, exec_lo, s5
	v_mov_b32_e32 v5, 0
	ds_read_b64 v[5:6], v5 offset:200
	s_waitcnt lgkmcnt(0)
	v_mul_f32_e32 v7, v2, v6
	v_mul_f32_e32 v6, v8, v6
	v_fma_f32 v7, v8, v5, -v7
	v_fmac_f32_e32 v6, v2, v5
	buffer_store_dword v7, off, s[0:3], 0 offset:200
	buffer_store_dword v6, off, s[0:3], 0 offset:204
.LBB125_115:
	s_or_b32 exec_lo, exec_lo, s4
	s_waitcnt_vscnt null, 0x0
	s_barrier
	buffer_gl0_inv
	s_clause 0x1
	buffer_load_dword v5, off, s[0:3], 0 offset:208
	buffer_load_dword v6, off, s[0:3], 0 offset:212
	s_mov_b32 s4, exec_lo
	s_waitcnt vmcnt(0)
	ds_write_b64 v4, v[5:6]
	s_waitcnt lgkmcnt(0)
	s_barrier
	buffer_gl0_inv
	v_cmpx_gt_u32_e32 26, v0
	s_cbranch_execz .LBB125_119
; %bb.116:
	v_add_nc_u32_e32 v5, -1, v0
	v_add_nc_u32_e32 v6, 0x1f0, v3
	v_mov_b32_e32 v7, v3
	v_mov_b32_e32 v2, 0
	;; [unrolled: 1-line block ×3, first 2 shown]
	s_mov_b32 s5, 0
	.p2align	6
.LBB125_117:                            ; =>This Inner Loop Header: Depth=1
	s_clause 0x1
	buffer_load_dword v11, v7, s[0:3], 0 offen offset:4
	buffer_load_dword v12, v7, s[0:3], 0 offen
	ds_read_b64 v[9:10], v6
	v_add_nc_u32_e32 v5, 1, v5
	v_add_nc_u32_e32 v6, 8, v6
	;; [unrolled: 1-line block ×3, first 2 shown]
	v_cmp_lt_u32_e32 vcc_lo, 24, v5
	s_or_b32 s5, vcc_lo, s5
	s_waitcnt vmcnt(1) lgkmcnt(0)
	v_mul_f32_e32 v137, v10, v11
	v_mul_f32_e32 v11, v9, v11
	s_waitcnt vmcnt(0)
	v_fma_f32 v9, v9, v12, -v137
	v_fmac_f32_e32 v11, v10, v12
	v_add_f32_e32 v8, v8, v9
	v_add_f32_e32 v2, v2, v11
	s_andn2_b32 exec_lo, exec_lo, s5
	s_cbranch_execnz .LBB125_117
; %bb.118:
	s_or_b32 exec_lo, exec_lo, s5
	v_mov_b32_e32 v5, 0
	ds_read_b64 v[5:6], v5 offset:208
	s_waitcnt lgkmcnt(0)
	v_mul_f32_e32 v7, v2, v6
	v_mul_f32_e32 v6, v8, v6
	v_fma_f32 v7, v8, v5, -v7
	v_fmac_f32_e32 v6, v2, v5
	buffer_store_dword v7, off, s[0:3], 0 offset:208
	buffer_store_dword v6, off, s[0:3], 0 offset:212
.LBB125_119:
	s_or_b32 exec_lo, exec_lo, s4
	s_waitcnt_vscnt null, 0x0
	s_barrier
	buffer_gl0_inv
	s_clause 0x1
	buffer_load_dword v5, off, s[0:3], 0 offset:216
	buffer_load_dword v6, off, s[0:3], 0 offset:220
	s_mov_b32 s4, exec_lo
	s_waitcnt vmcnt(0)
	ds_write_b64 v4, v[5:6]
	s_waitcnt lgkmcnt(0)
	s_barrier
	buffer_gl0_inv
	v_cmpx_gt_u32_e32 27, v0
	s_cbranch_execz .LBB125_123
; %bb.120:
	v_add_nc_u32_e32 v5, -1, v0
	v_add_nc_u32_e32 v6, 0x1f0, v3
	v_mov_b32_e32 v7, v3
	v_mov_b32_e32 v2, 0
	;; [unrolled: 1-line block ×3, first 2 shown]
	s_mov_b32 s5, 0
	.p2align	6
.LBB125_121:                            ; =>This Inner Loop Header: Depth=1
	s_clause 0x1
	buffer_load_dword v11, v7, s[0:3], 0 offen offset:4
	buffer_load_dword v12, v7, s[0:3], 0 offen
	ds_read_b64 v[9:10], v6
	v_add_nc_u32_e32 v5, 1, v5
	v_add_nc_u32_e32 v6, 8, v6
	;; [unrolled: 1-line block ×3, first 2 shown]
	v_cmp_lt_u32_e32 vcc_lo, 25, v5
	s_or_b32 s5, vcc_lo, s5
	s_waitcnt vmcnt(1) lgkmcnt(0)
	v_mul_f32_e32 v137, v10, v11
	v_mul_f32_e32 v11, v9, v11
	s_waitcnt vmcnt(0)
	v_fma_f32 v9, v9, v12, -v137
	v_fmac_f32_e32 v11, v10, v12
	v_add_f32_e32 v8, v8, v9
	v_add_f32_e32 v2, v2, v11
	s_andn2_b32 exec_lo, exec_lo, s5
	s_cbranch_execnz .LBB125_121
; %bb.122:
	s_or_b32 exec_lo, exec_lo, s5
	v_mov_b32_e32 v5, 0
	ds_read_b64 v[5:6], v5 offset:216
	s_waitcnt lgkmcnt(0)
	v_mul_f32_e32 v7, v2, v6
	v_mul_f32_e32 v6, v8, v6
	v_fma_f32 v7, v8, v5, -v7
	v_fmac_f32_e32 v6, v2, v5
	buffer_store_dword v7, off, s[0:3], 0 offset:216
	buffer_store_dword v6, off, s[0:3], 0 offset:220
.LBB125_123:
	s_or_b32 exec_lo, exec_lo, s4
	s_waitcnt_vscnt null, 0x0
	s_barrier
	buffer_gl0_inv
	s_clause 0x1
	buffer_load_dword v5, off, s[0:3], 0 offset:224
	buffer_load_dword v6, off, s[0:3], 0 offset:228
	s_mov_b32 s4, exec_lo
	s_waitcnt vmcnt(0)
	ds_write_b64 v4, v[5:6]
	s_waitcnt lgkmcnt(0)
	s_barrier
	buffer_gl0_inv
	v_cmpx_gt_u32_e32 28, v0
	s_cbranch_execz .LBB125_127
; %bb.124:
	v_add_nc_u32_e32 v5, -1, v0
	v_add_nc_u32_e32 v6, 0x1f0, v3
	v_mov_b32_e32 v7, v3
	v_mov_b32_e32 v2, 0
	;; [unrolled: 1-line block ×3, first 2 shown]
	s_mov_b32 s5, 0
	.p2align	6
.LBB125_125:                            ; =>This Inner Loop Header: Depth=1
	s_clause 0x1
	buffer_load_dword v11, v7, s[0:3], 0 offen offset:4
	buffer_load_dword v12, v7, s[0:3], 0 offen
	ds_read_b64 v[9:10], v6
	v_add_nc_u32_e32 v5, 1, v5
	v_add_nc_u32_e32 v6, 8, v6
	;; [unrolled: 1-line block ×3, first 2 shown]
	v_cmp_lt_u32_e32 vcc_lo, 26, v5
	s_or_b32 s5, vcc_lo, s5
	s_waitcnt vmcnt(1) lgkmcnt(0)
	v_mul_f32_e32 v137, v10, v11
	v_mul_f32_e32 v11, v9, v11
	s_waitcnt vmcnt(0)
	v_fma_f32 v9, v9, v12, -v137
	v_fmac_f32_e32 v11, v10, v12
	v_add_f32_e32 v8, v8, v9
	v_add_f32_e32 v2, v2, v11
	s_andn2_b32 exec_lo, exec_lo, s5
	s_cbranch_execnz .LBB125_125
; %bb.126:
	s_or_b32 exec_lo, exec_lo, s5
	v_mov_b32_e32 v5, 0
	ds_read_b64 v[5:6], v5 offset:224
	s_waitcnt lgkmcnt(0)
	v_mul_f32_e32 v7, v2, v6
	v_mul_f32_e32 v6, v8, v6
	v_fma_f32 v7, v8, v5, -v7
	v_fmac_f32_e32 v6, v2, v5
	buffer_store_dword v7, off, s[0:3], 0 offset:224
	buffer_store_dword v6, off, s[0:3], 0 offset:228
.LBB125_127:
	s_or_b32 exec_lo, exec_lo, s4
	s_waitcnt_vscnt null, 0x0
	s_barrier
	buffer_gl0_inv
	s_clause 0x1
	buffer_load_dword v5, off, s[0:3], 0 offset:232
	buffer_load_dword v6, off, s[0:3], 0 offset:236
	s_mov_b32 s4, exec_lo
	s_waitcnt vmcnt(0)
	ds_write_b64 v4, v[5:6]
	s_waitcnt lgkmcnt(0)
	s_barrier
	buffer_gl0_inv
	v_cmpx_gt_u32_e32 29, v0
	s_cbranch_execz .LBB125_131
; %bb.128:
	v_add_nc_u32_e32 v5, -1, v0
	v_add_nc_u32_e32 v6, 0x1f0, v3
	v_mov_b32_e32 v7, v3
	v_mov_b32_e32 v2, 0
	;; [unrolled: 1-line block ×3, first 2 shown]
	s_mov_b32 s5, 0
	.p2align	6
.LBB125_129:                            ; =>This Inner Loop Header: Depth=1
	s_clause 0x1
	buffer_load_dword v11, v7, s[0:3], 0 offen offset:4
	buffer_load_dword v12, v7, s[0:3], 0 offen
	ds_read_b64 v[9:10], v6
	v_add_nc_u32_e32 v5, 1, v5
	v_add_nc_u32_e32 v6, 8, v6
	;; [unrolled: 1-line block ×3, first 2 shown]
	v_cmp_lt_u32_e32 vcc_lo, 27, v5
	s_or_b32 s5, vcc_lo, s5
	s_waitcnt vmcnt(1) lgkmcnt(0)
	v_mul_f32_e32 v137, v10, v11
	v_mul_f32_e32 v11, v9, v11
	s_waitcnt vmcnt(0)
	v_fma_f32 v9, v9, v12, -v137
	v_fmac_f32_e32 v11, v10, v12
	v_add_f32_e32 v8, v8, v9
	v_add_f32_e32 v2, v2, v11
	s_andn2_b32 exec_lo, exec_lo, s5
	s_cbranch_execnz .LBB125_129
; %bb.130:
	s_or_b32 exec_lo, exec_lo, s5
	v_mov_b32_e32 v5, 0
	ds_read_b64 v[5:6], v5 offset:232
	s_waitcnt lgkmcnt(0)
	v_mul_f32_e32 v7, v2, v6
	v_mul_f32_e32 v6, v8, v6
	v_fma_f32 v7, v8, v5, -v7
	v_fmac_f32_e32 v6, v2, v5
	buffer_store_dword v7, off, s[0:3], 0 offset:232
	buffer_store_dword v6, off, s[0:3], 0 offset:236
.LBB125_131:
	s_or_b32 exec_lo, exec_lo, s4
	s_waitcnt_vscnt null, 0x0
	s_barrier
	buffer_gl0_inv
	s_clause 0x1
	buffer_load_dword v5, off, s[0:3], 0 offset:240
	buffer_load_dword v6, off, s[0:3], 0 offset:244
	s_mov_b32 s4, exec_lo
	s_waitcnt vmcnt(0)
	ds_write_b64 v4, v[5:6]
	s_waitcnt lgkmcnt(0)
	s_barrier
	buffer_gl0_inv
	v_cmpx_gt_u32_e32 30, v0
	s_cbranch_execz .LBB125_135
; %bb.132:
	v_add_nc_u32_e32 v5, -1, v0
	v_add_nc_u32_e32 v6, 0x1f0, v3
	v_mov_b32_e32 v7, v3
	v_mov_b32_e32 v2, 0
	;; [unrolled: 1-line block ×3, first 2 shown]
	s_mov_b32 s5, 0
	.p2align	6
.LBB125_133:                            ; =>This Inner Loop Header: Depth=1
	s_clause 0x1
	buffer_load_dword v11, v7, s[0:3], 0 offen offset:4
	buffer_load_dword v12, v7, s[0:3], 0 offen
	ds_read_b64 v[9:10], v6
	v_add_nc_u32_e32 v5, 1, v5
	v_add_nc_u32_e32 v6, 8, v6
	;; [unrolled: 1-line block ×3, first 2 shown]
	v_cmp_lt_u32_e32 vcc_lo, 28, v5
	s_or_b32 s5, vcc_lo, s5
	s_waitcnt vmcnt(1) lgkmcnt(0)
	v_mul_f32_e32 v137, v10, v11
	v_mul_f32_e32 v11, v9, v11
	s_waitcnt vmcnt(0)
	v_fma_f32 v9, v9, v12, -v137
	v_fmac_f32_e32 v11, v10, v12
	v_add_f32_e32 v8, v8, v9
	v_add_f32_e32 v2, v2, v11
	s_andn2_b32 exec_lo, exec_lo, s5
	s_cbranch_execnz .LBB125_133
; %bb.134:
	s_or_b32 exec_lo, exec_lo, s5
	v_mov_b32_e32 v5, 0
	ds_read_b64 v[5:6], v5 offset:240
	s_waitcnt lgkmcnt(0)
	v_mul_f32_e32 v7, v2, v6
	v_mul_f32_e32 v6, v8, v6
	v_fma_f32 v7, v8, v5, -v7
	v_fmac_f32_e32 v6, v2, v5
	buffer_store_dword v7, off, s[0:3], 0 offset:240
	buffer_store_dword v6, off, s[0:3], 0 offset:244
.LBB125_135:
	s_or_b32 exec_lo, exec_lo, s4
	s_waitcnt_vscnt null, 0x0
	s_barrier
	buffer_gl0_inv
	s_clause 0x1
	buffer_load_dword v5, off, s[0:3], 0 offset:248
	buffer_load_dword v6, off, s[0:3], 0 offset:252
	s_mov_b32 s4, exec_lo
	s_waitcnt vmcnt(0)
	ds_write_b64 v4, v[5:6]
	s_waitcnt lgkmcnt(0)
	s_barrier
	buffer_gl0_inv
	v_cmpx_gt_u32_e32 31, v0
	s_cbranch_execz .LBB125_139
; %bb.136:
	v_add_nc_u32_e32 v5, -1, v0
	v_add_nc_u32_e32 v6, 0x1f0, v3
	v_mov_b32_e32 v7, v3
	v_mov_b32_e32 v2, 0
	;; [unrolled: 1-line block ×3, first 2 shown]
	s_mov_b32 s5, 0
	.p2align	6
.LBB125_137:                            ; =>This Inner Loop Header: Depth=1
	s_clause 0x1
	buffer_load_dword v11, v7, s[0:3], 0 offen offset:4
	buffer_load_dword v12, v7, s[0:3], 0 offen
	ds_read_b64 v[9:10], v6
	v_add_nc_u32_e32 v5, 1, v5
	v_add_nc_u32_e32 v6, 8, v6
	;; [unrolled: 1-line block ×3, first 2 shown]
	v_cmp_lt_u32_e32 vcc_lo, 29, v5
	s_or_b32 s5, vcc_lo, s5
	s_waitcnt vmcnt(1) lgkmcnt(0)
	v_mul_f32_e32 v137, v10, v11
	v_mul_f32_e32 v11, v9, v11
	s_waitcnt vmcnt(0)
	v_fma_f32 v9, v9, v12, -v137
	v_fmac_f32_e32 v11, v10, v12
	v_add_f32_e32 v8, v8, v9
	v_add_f32_e32 v2, v2, v11
	s_andn2_b32 exec_lo, exec_lo, s5
	s_cbranch_execnz .LBB125_137
; %bb.138:
	s_or_b32 exec_lo, exec_lo, s5
	v_mov_b32_e32 v5, 0
	ds_read_b64 v[5:6], v5 offset:248
	s_waitcnt lgkmcnt(0)
	v_mul_f32_e32 v7, v2, v6
	v_mul_f32_e32 v6, v8, v6
	v_fma_f32 v7, v8, v5, -v7
	v_fmac_f32_e32 v6, v2, v5
	buffer_store_dword v7, off, s[0:3], 0 offset:248
	buffer_store_dword v6, off, s[0:3], 0 offset:252
.LBB125_139:
	s_or_b32 exec_lo, exec_lo, s4
	s_waitcnt_vscnt null, 0x0
	s_barrier
	buffer_gl0_inv
	s_clause 0x1
	buffer_load_dword v5, off, s[0:3], 0 offset:256
	buffer_load_dword v6, off, s[0:3], 0 offset:260
	s_mov_b32 s4, exec_lo
	s_waitcnt vmcnt(0)
	ds_write_b64 v4, v[5:6]
	s_waitcnt lgkmcnt(0)
	s_barrier
	buffer_gl0_inv
	v_cmpx_gt_u32_e32 32, v0
	s_cbranch_execz .LBB125_143
; %bb.140:
	v_add_nc_u32_e32 v5, -1, v0
	v_add_nc_u32_e32 v6, 0x1f0, v3
	v_mov_b32_e32 v7, v3
	v_mov_b32_e32 v2, 0
	;; [unrolled: 1-line block ×3, first 2 shown]
	s_mov_b32 s5, 0
	.p2align	6
.LBB125_141:                            ; =>This Inner Loop Header: Depth=1
	s_clause 0x1
	buffer_load_dword v11, v7, s[0:3], 0 offen offset:4
	buffer_load_dword v12, v7, s[0:3], 0 offen
	ds_read_b64 v[9:10], v6
	v_add_nc_u32_e32 v5, 1, v5
	v_add_nc_u32_e32 v6, 8, v6
	;; [unrolled: 1-line block ×3, first 2 shown]
	v_cmp_lt_u32_e32 vcc_lo, 30, v5
	s_or_b32 s5, vcc_lo, s5
	s_waitcnt vmcnt(1) lgkmcnt(0)
	v_mul_f32_e32 v137, v10, v11
	v_mul_f32_e32 v11, v9, v11
	s_waitcnt vmcnt(0)
	v_fma_f32 v9, v9, v12, -v137
	v_fmac_f32_e32 v11, v10, v12
	v_add_f32_e32 v8, v8, v9
	v_add_f32_e32 v2, v2, v11
	s_andn2_b32 exec_lo, exec_lo, s5
	s_cbranch_execnz .LBB125_141
; %bb.142:
	s_or_b32 exec_lo, exec_lo, s5
	v_mov_b32_e32 v5, 0
	ds_read_b64 v[5:6], v5 offset:256
	s_waitcnt lgkmcnt(0)
	v_mul_f32_e32 v7, v2, v6
	v_mul_f32_e32 v6, v8, v6
	v_fma_f32 v7, v8, v5, -v7
	v_fmac_f32_e32 v6, v2, v5
	buffer_store_dword v7, off, s[0:3], 0 offset:256
	buffer_store_dword v6, off, s[0:3], 0 offset:260
.LBB125_143:
	s_or_b32 exec_lo, exec_lo, s4
	s_waitcnt_vscnt null, 0x0
	s_barrier
	buffer_gl0_inv
	s_clause 0x1
	buffer_load_dword v5, off, s[0:3], 0 offset:264
	buffer_load_dword v6, off, s[0:3], 0 offset:268
	s_mov_b32 s4, exec_lo
	s_waitcnt vmcnt(0)
	ds_write_b64 v4, v[5:6]
	s_waitcnt lgkmcnt(0)
	s_barrier
	buffer_gl0_inv
	v_cmpx_gt_u32_e32 33, v0
	s_cbranch_execz .LBB125_147
; %bb.144:
	v_add_nc_u32_e32 v5, -1, v0
	v_add_nc_u32_e32 v6, 0x1f0, v3
	v_mov_b32_e32 v7, v3
	v_mov_b32_e32 v2, 0
	;; [unrolled: 1-line block ×3, first 2 shown]
	s_mov_b32 s5, 0
	.p2align	6
.LBB125_145:                            ; =>This Inner Loop Header: Depth=1
	s_clause 0x1
	buffer_load_dword v11, v7, s[0:3], 0 offen offset:4
	buffer_load_dword v12, v7, s[0:3], 0 offen
	ds_read_b64 v[9:10], v6
	v_add_nc_u32_e32 v5, 1, v5
	v_add_nc_u32_e32 v6, 8, v6
	;; [unrolled: 1-line block ×3, first 2 shown]
	v_cmp_lt_u32_e32 vcc_lo, 31, v5
	s_or_b32 s5, vcc_lo, s5
	s_waitcnt vmcnt(1) lgkmcnt(0)
	v_mul_f32_e32 v137, v10, v11
	v_mul_f32_e32 v11, v9, v11
	s_waitcnt vmcnt(0)
	v_fma_f32 v9, v9, v12, -v137
	v_fmac_f32_e32 v11, v10, v12
	v_add_f32_e32 v8, v8, v9
	v_add_f32_e32 v2, v2, v11
	s_andn2_b32 exec_lo, exec_lo, s5
	s_cbranch_execnz .LBB125_145
; %bb.146:
	s_or_b32 exec_lo, exec_lo, s5
	v_mov_b32_e32 v5, 0
	ds_read_b64 v[5:6], v5 offset:264
	s_waitcnt lgkmcnt(0)
	v_mul_f32_e32 v7, v2, v6
	v_mul_f32_e32 v6, v8, v6
	v_fma_f32 v7, v8, v5, -v7
	v_fmac_f32_e32 v6, v2, v5
	buffer_store_dword v7, off, s[0:3], 0 offset:264
	buffer_store_dword v6, off, s[0:3], 0 offset:268
.LBB125_147:
	s_or_b32 exec_lo, exec_lo, s4
	s_waitcnt_vscnt null, 0x0
	s_barrier
	buffer_gl0_inv
	s_clause 0x1
	buffer_load_dword v5, off, s[0:3], 0 offset:272
	buffer_load_dword v6, off, s[0:3], 0 offset:276
	s_mov_b32 s4, exec_lo
	s_waitcnt vmcnt(0)
	ds_write_b64 v4, v[5:6]
	s_waitcnt lgkmcnt(0)
	s_barrier
	buffer_gl0_inv
	v_cmpx_gt_u32_e32 34, v0
	s_cbranch_execz .LBB125_151
; %bb.148:
	v_add_nc_u32_e32 v5, -1, v0
	v_add_nc_u32_e32 v6, 0x1f0, v3
	v_mov_b32_e32 v7, v3
	v_mov_b32_e32 v2, 0
	v_mov_b32_e32 v8, 0
	s_mov_b32 s5, 0
	.p2align	6
.LBB125_149:                            ; =>This Inner Loop Header: Depth=1
	s_clause 0x1
	buffer_load_dword v11, v7, s[0:3], 0 offen offset:4
	buffer_load_dword v12, v7, s[0:3], 0 offen
	ds_read_b64 v[9:10], v6
	v_add_nc_u32_e32 v5, 1, v5
	v_add_nc_u32_e32 v6, 8, v6
	;; [unrolled: 1-line block ×3, first 2 shown]
	v_cmp_lt_u32_e32 vcc_lo, 32, v5
	s_or_b32 s5, vcc_lo, s5
	s_waitcnt vmcnt(1) lgkmcnt(0)
	v_mul_f32_e32 v137, v10, v11
	v_mul_f32_e32 v11, v9, v11
	s_waitcnt vmcnt(0)
	v_fma_f32 v9, v9, v12, -v137
	v_fmac_f32_e32 v11, v10, v12
	v_add_f32_e32 v8, v8, v9
	v_add_f32_e32 v2, v2, v11
	s_andn2_b32 exec_lo, exec_lo, s5
	s_cbranch_execnz .LBB125_149
; %bb.150:
	s_or_b32 exec_lo, exec_lo, s5
	v_mov_b32_e32 v5, 0
	ds_read_b64 v[5:6], v5 offset:272
	s_waitcnt lgkmcnt(0)
	v_mul_f32_e32 v7, v2, v6
	v_mul_f32_e32 v6, v8, v6
	v_fma_f32 v7, v8, v5, -v7
	v_fmac_f32_e32 v6, v2, v5
	buffer_store_dword v7, off, s[0:3], 0 offset:272
	buffer_store_dword v6, off, s[0:3], 0 offset:276
.LBB125_151:
	s_or_b32 exec_lo, exec_lo, s4
	s_waitcnt_vscnt null, 0x0
	s_barrier
	buffer_gl0_inv
	s_clause 0x1
	buffer_load_dword v5, off, s[0:3], 0 offset:280
	buffer_load_dword v6, off, s[0:3], 0 offset:284
	s_mov_b32 s4, exec_lo
	s_waitcnt vmcnt(0)
	ds_write_b64 v4, v[5:6]
	s_waitcnt lgkmcnt(0)
	s_barrier
	buffer_gl0_inv
	v_cmpx_gt_u32_e32 35, v0
	s_cbranch_execz .LBB125_155
; %bb.152:
	v_add_nc_u32_e32 v5, -1, v0
	v_add_nc_u32_e32 v6, 0x1f0, v3
	v_mov_b32_e32 v7, v3
	v_mov_b32_e32 v2, 0
	;; [unrolled: 1-line block ×3, first 2 shown]
	s_mov_b32 s5, 0
	.p2align	6
.LBB125_153:                            ; =>This Inner Loop Header: Depth=1
	s_clause 0x1
	buffer_load_dword v11, v7, s[0:3], 0 offen offset:4
	buffer_load_dword v12, v7, s[0:3], 0 offen
	ds_read_b64 v[9:10], v6
	v_add_nc_u32_e32 v5, 1, v5
	v_add_nc_u32_e32 v6, 8, v6
	;; [unrolled: 1-line block ×3, first 2 shown]
	v_cmp_lt_u32_e32 vcc_lo, 33, v5
	s_or_b32 s5, vcc_lo, s5
	s_waitcnt vmcnt(1) lgkmcnt(0)
	v_mul_f32_e32 v137, v10, v11
	v_mul_f32_e32 v11, v9, v11
	s_waitcnt vmcnt(0)
	v_fma_f32 v9, v9, v12, -v137
	v_fmac_f32_e32 v11, v10, v12
	v_add_f32_e32 v8, v8, v9
	v_add_f32_e32 v2, v2, v11
	s_andn2_b32 exec_lo, exec_lo, s5
	s_cbranch_execnz .LBB125_153
; %bb.154:
	s_or_b32 exec_lo, exec_lo, s5
	v_mov_b32_e32 v5, 0
	ds_read_b64 v[5:6], v5 offset:280
	s_waitcnt lgkmcnt(0)
	v_mul_f32_e32 v7, v2, v6
	v_mul_f32_e32 v6, v8, v6
	v_fma_f32 v7, v8, v5, -v7
	v_fmac_f32_e32 v6, v2, v5
	buffer_store_dword v7, off, s[0:3], 0 offset:280
	buffer_store_dword v6, off, s[0:3], 0 offset:284
.LBB125_155:
	s_or_b32 exec_lo, exec_lo, s4
	s_waitcnt_vscnt null, 0x0
	s_barrier
	buffer_gl0_inv
	s_clause 0x1
	buffer_load_dword v5, off, s[0:3], 0 offset:288
	buffer_load_dword v6, off, s[0:3], 0 offset:292
	s_mov_b32 s4, exec_lo
	s_waitcnt vmcnt(0)
	ds_write_b64 v4, v[5:6]
	s_waitcnt lgkmcnt(0)
	s_barrier
	buffer_gl0_inv
	v_cmpx_gt_u32_e32 36, v0
	s_cbranch_execz .LBB125_159
; %bb.156:
	v_add_nc_u32_e32 v5, -1, v0
	v_add_nc_u32_e32 v6, 0x1f0, v3
	v_mov_b32_e32 v7, v3
	v_mov_b32_e32 v2, 0
	;; [unrolled: 1-line block ×3, first 2 shown]
	s_mov_b32 s5, 0
	.p2align	6
.LBB125_157:                            ; =>This Inner Loop Header: Depth=1
	s_clause 0x1
	buffer_load_dword v11, v7, s[0:3], 0 offen offset:4
	buffer_load_dword v12, v7, s[0:3], 0 offen
	ds_read_b64 v[9:10], v6
	v_add_nc_u32_e32 v5, 1, v5
	v_add_nc_u32_e32 v6, 8, v6
	;; [unrolled: 1-line block ×3, first 2 shown]
	v_cmp_lt_u32_e32 vcc_lo, 34, v5
	s_or_b32 s5, vcc_lo, s5
	s_waitcnt vmcnt(1) lgkmcnt(0)
	v_mul_f32_e32 v137, v10, v11
	v_mul_f32_e32 v11, v9, v11
	s_waitcnt vmcnt(0)
	v_fma_f32 v9, v9, v12, -v137
	v_fmac_f32_e32 v11, v10, v12
	v_add_f32_e32 v8, v8, v9
	v_add_f32_e32 v2, v2, v11
	s_andn2_b32 exec_lo, exec_lo, s5
	s_cbranch_execnz .LBB125_157
; %bb.158:
	s_or_b32 exec_lo, exec_lo, s5
	v_mov_b32_e32 v5, 0
	ds_read_b64 v[5:6], v5 offset:288
	s_waitcnt lgkmcnt(0)
	v_mul_f32_e32 v7, v2, v6
	v_mul_f32_e32 v6, v8, v6
	v_fma_f32 v7, v8, v5, -v7
	v_fmac_f32_e32 v6, v2, v5
	buffer_store_dword v7, off, s[0:3], 0 offset:288
	buffer_store_dword v6, off, s[0:3], 0 offset:292
.LBB125_159:
	s_or_b32 exec_lo, exec_lo, s4
	s_waitcnt_vscnt null, 0x0
	s_barrier
	buffer_gl0_inv
	s_clause 0x1
	buffer_load_dword v5, off, s[0:3], 0 offset:296
	buffer_load_dword v6, off, s[0:3], 0 offset:300
	s_mov_b32 s4, exec_lo
	s_waitcnt vmcnt(0)
	ds_write_b64 v4, v[5:6]
	s_waitcnt lgkmcnt(0)
	s_barrier
	buffer_gl0_inv
	v_cmpx_gt_u32_e32 37, v0
	s_cbranch_execz .LBB125_163
; %bb.160:
	v_add_nc_u32_e32 v5, -1, v0
	v_add_nc_u32_e32 v6, 0x1f0, v3
	v_mov_b32_e32 v7, v3
	v_mov_b32_e32 v2, 0
	;; [unrolled: 1-line block ×3, first 2 shown]
	s_mov_b32 s5, 0
	.p2align	6
.LBB125_161:                            ; =>This Inner Loop Header: Depth=1
	s_clause 0x1
	buffer_load_dword v11, v7, s[0:3], 0 offen offset:4
	buffer_load_dword v12, v7, s[0:3], 0 offen
	ds_read_b64 v[9:10], v6
	v_add_nc_u32_e32 v5, 1, v5
	v_add_nc_u32_e32 v6, 8, v6
	;; [unrolled: 1-line block ×3, first 2 shown]
	v_cmp_lt_u32_e32 vcc_lo, 35, v5
	s_or_b32 s5, vcc_lo, s5
	s_waitcnt vmcnt(1) lgkmcnt(0)
	v_mul_f32_e32 v137, v10, v11
	v_mul_f32_e32 v11, v9, v11
	s_waitcnt vmcnt(0)
	v_fma_f32 v9, v9, v12, -v137
	v_fmac_f32_e32 v11, v10, v12
	v_add_f32_e32 v8, v8, v9
	v_add_f32_e32 v2, v2, v11
	s_andn2_b32 exec_lo, exec_lo, s5
	s_cbranch_execnz .LBB125_161
; %bb.162:
	s_or_b32 exec_lo, exec_lo, s5
	v_mov_b32_e32 v5, 0
	ds_read_b64 v[5:6], v5 offset:296
	s_waitcnt lgkmcnt(0)
	v_mul_f32_e32 v7, v2, v6
	v_mul_f32_e32 v6, v8, v6
	v_fma_f32 v7, v8, v5, -v7
	v_fmac_f32_e32 v6, v2, v5
	buffer_store_dword v7, off, s[0:3], 0 offset:296
	buffer_store_dword v6, off, s[0:3], 0 offset:300
.LBB125_163:
	s_or_b32 exec_lo, exec_lo, s4
	s_waitcnt_vscnt null, 0x0
	s_barrier
	buffer_gl0_inv
	s_clause 0x1
	buffer_load_dword v5, off, s[0:3], 0 offset:304
	buffer_load_dword v6, off, s[0:3], 0 offset:308
	s_mov_b32 s4, exec_lo
	s_waitcnt vmcnt(0)
	ds_write_b64 v4, v[5:6]
	s_waitcnt lgkmcnt(0)
	s_barrier
	buffer_gl0_inv
	v_cmpx_gt_u32_e32 38, v0
	s_cbranch_execz .LBB125_167
; %bb.164:
	v_add_nc_u32_e32 v5, -1, v0
	v_add_nc_u32_e32 v6, 0x1f0, v3
	v_mov_b32_e32 v7, v3
	v_mov_b32_e32 v2, 0
	;; [unrolled: 1-line block ×3, first 2 shown]
	s_mov_b32 s5, 0
	.p2align	6
.LBB125_165:                            ; =>This Inner Loop Header: Depth=1
	s_clause 0x1
	buffer_load_dword v11, v7, s[0:3], 0 offen offset:4
	buffer_load_dword v12, v7, s[0:3], 0 offen
	ds_read_b64 v[9:10], v6
	v_add_nc_u32_e32 v5, 1, v5
	v_add_nc_u32_e32 v6, 8, v6
	;; [unrolled: 1-line block ×3, first 2 shown]
	v_cmp_lt_u32_e32 vcc_lo, 36, v5
	s_or_b32 s5, vcc_lo, s5
	s_waitcnt vmcnt(1) lgkmcnt(0)
	v_mul_f32_e32 v137, v10, v11
	v_mul_f32_e32 v11, v9, v11
	s_waitcnt vmcnt(0)
	v_fma_f32 v9, v9, v12, -v137
	v_fmac_f32_e32 v11, v10, v12
	v_add_f32_e32 v8, v8, v9
	v_add_f32_e32 v2, v2, v11
	s_andn2_b32 exec_lo, exec_lo, s5
	s_cbranch_execnz .LBB125_165
; %bb.166:
	s_or_b32 exec_lo, exec_lo, s5
	v_mov_b32_e32 v5, 0
	ds_read_b64 v[5:6], v5 offset:304
	s_waitcnt lgkmcnt(0)
	v_mul_f32_e32 v7, v2, v6
	v_mul_f32_e32 v6, v8, v6
	v_fma_f32 v7, v8, v5, -v7
	v_fmac_f32_e32 v6, v2, v5
	buffer_store_dword v7, off, s[0:3], 0 offset:304
	buffer_store_dword v6, off, s[0:3], 0 offset:308
.LBB125_167:
	s_or_b32 exec_lo, exec_lo, s4
	s_waitcnt_vscnt null, 0x0
	s_barrier
	buffer_gl0_inv
	s_clause 0x1
	buffer_load_dword v5, off, s[0:3], 0 offset:312
	buffer_load_dword v6, off, s[0:3], 0 offset:316
	s_mov_b32 s4, exec_lo
	s_waitcnt vmcnt(0)
	ds_write_b64 v4, v[5:6]
	s_waitcnt lgkmcnt(0)
	s_barrier
	buffer_gl0_inv
	v_cmpx_gt_u32_e32 39, v0
	s_cbranch_execz .LBB125_171
; %bb.168:
	v_add_nc_u32_e32 v5, -1, v0
	v_add_nc_u32_e32 v6, 0x1f0, v3
	v_mov_b32_e32 v7, v3
	v_mov_b32_e32 v2, 0
	;; [unrolled: 1-line block ×3, first 2 shown]
	s_mov_b32 s5, 0
	.p2align	6
.LBB125_169:                            ; =>This Inner Loop Header: Depth=1
	s_clause 0x1
	buffer_load_dword v11, v7, s[0:3], 0 offen offset:4
	buffer_load_dword v12, v7, s[0:3], 0 offen
	ds_read_b64 v[9:10], v6
	v_add_nc_u32_e32 v5, 1, v5
	v_add_nc_u32_e32 v6, 8, v6
	;; [unrolled: 1-line block ×3, first 2 shown]
	v_cmp_lt_u32_e32 vcc_lo, 37, v5
	s_or_b32 s5, vcc_lo, s5
	s_waitcnt vmcnt(1) lgkmcnt(0)
	v_mul_f32_e32 v137, v10, v11
	v_mul_f32_e32 v11, v9, v11
	s_waitcnt vmcnt(0)
	v_fma_f32 v9, v9, v12, -v137
	v_fmac_f32_e32 v11, v10, v12
	v_add_f32_e32 v8, v8, v9
	v_add_f32_e32 v2, v2, v11
	s_andn2_b32 exec_lo, exec_lo, s5
	s_cbranch_execnz .LBB125_169
; %bb.170:
	s_or_b32 exec_lo, exec_lo, s5
	v_mov_b32_e32 v5, 0
	ds_read_b64 v[5:6], v5 offset:312
	s_waitcnt lgkmcnt(0)
	v_mul_f32_e32 v7, v2, v6
	v_mul_f32_e32 v6, v8, v6
	v_fma_f32 v7, v8, v5, -v7
	v_fmac_f32_e32 v6, v2, v5
	buffer_store_dword v7, off, s[0:3], 0 offset:312
	buffer_store_dword v6, off, s[0:3], 0 offset:316
.LBB125_171:
	s_or_b32 exec_lo, exec_lo, s4
	s_waitcnt_vscnt null, 0x0
	s_barrier
	buffer_gl0_inv
	s_clause 0x1
	buffer_load_dword v5, off, s[0:3], 0 offset:320
	buffer_load_dword v6, off, s[0:3], 0 offset:324
	s_mov_b32 s4, exec_lo
	s_waitcnt vmcnt(0)
	ds_write_b64 v4, v[5:6]
	s_waitcnt lgkmcnt(0)
	s_barrier
	buffer_gl0_inv
	v_cmpx_gt_u32_e32 40, v0
	s_cbranch_execz .LBB125_175
; %bb.172:
	v_add_nc_u32_e32 v5, -1, v0
	v_add_nc_u32_e32 v6, 0x1f0, v3
	v_mov_b32_e32 v7, v3
	v_mov_b32_e32 v2, 0
	;; [unrolled: 1-line block ×3, first 2 shown]
	s_mov_b32 s5, 0
	.p2align	6
.LBB125_173:                            ; =>This Inner Loop Header: Depth=1
	s_clause 0x1
	buffer_load_dword v11, v7, s[0:3], 0 offen offset:4
	buffer_load_dword v12, v7, s[0:3], 0 offen
	ds_read_b64 v[9:10], v6
	v_add_nc_u32_e32 v5, 1, v5
	v_add_nc_u32_e32 v6, 8, v6
	;; [unrolled: 1-line block ×3, first 2 shown]
	v_cmp_lt_u32_e32 vcc_lo, 38, v5
	s_or_b32 s5, vcc_lo, s5
	s_waitcnt vmcnt(1) lgkmcnt(0)
	v_mul_f32_e32 v137, v10, v11
	v_mul_f32_e32 v11, v9, v11
	s_waitcnt vmcnt(0)
	v_fma_f32 v9, v9, v12, -v137
	v_fmac_f32_e32 v11, v10, v12
	v_add_f32_e32 v8, v8, v9
	v_add_f32_e32 v2, v2, v11
	s_andn2_b32 exec_lo, exec_lo, s5
	s_cbranch_execnz .LBB125_173
; %bb.174:
	s_or_b32 exec_lo, exec_lo, s5
	v_mov_b32_e32 v5, 0
	ds_read_b64 v[5:6], v5 offset:320
	s_waitcnt lgkmcnt(0)
	v_mul_f32_e32 v7, v2, v6
	v_mul_f32_e32 v6, v8, v6
	v_fma_f32 v7, v8, v5, -v7
	v_fmac_f32_e32 v6, v2, v5
	buffer_store_dword v7, off, s[0:3], 0 offset:320
	buffer_store_dword v6, off, s[0:3], 0 offset:324
.LBB125_175:
	s_or_b32 exec_lo, exec_lo, s4
	s_waitcnt_vscnt null, 0x0
	s_barrier
	buffer_gl0_inv
	s_clause 0x1
	buffer_load_dword v5, off, s[0:3], 0 offset:328
	buffer_load_dword v6, off, s[0:3], 0 offset:332
	s_mov_b32 s4, exec_lo
	s_waitcnt vmcnt(0)
	ds_write_b64 v4, v[5:6]
	s_waitcnt lgkmcnt(0)
	s_barrier
	buffer_gl0_inv
	v_cmpx_gt_u32_e32 41, v0
	s_cbranch_execz .LBB125_179
; %bb.176:
	v_add_nc_u32_e32 v5, -1, v0
	v_add_nc_u32_e32 v6, 0x1f0, v3
	v_mov_b32_e32 v7, v3
	v_mov_b32_e32 v2, 0
	;; [unrolled: 1-line block ×3, first 2 shown]
	s_mov_b32 s5, 0
	.p2align	6
.LBB125_177:                            ; =>This Inner Loop Header: Depth=1
	s_clause 0x1
	buffer_load_dword v11, v7, s[0:3], 0 offen offset:4
	buffer_load_dword v12, v7, s[0:3], 0 offen
	ds_read_b64 v[9:10], v6
	v_add_nc_u32_e32 v5, 1, v5
	v_add_nc_u32_e32 v6, 8, v6
	;; [unrolled: 1-line block ×3, first 2 shown]
	v_cmp_lt_u32_e32 vcc_lo, 39, v5
	s_or_b32 s5, vcc_lo, s5
	s_waitcnt vmcnt(1) lgkmcnt(0)
	v_mul_f32_e32 v137, v10, v11
	v_mul_f32_e32 v11, v9, v11
	s_waitcnt vmcnt(0)
	v_fma_f32 v9, v9, v12, -v137
	v_fmac_f32_e32 v11, v10, v12
	v_add_f32_e32 v8, v8, v9
	v_add_f32_e32 v2, v2, v11
	s_andn2_b32 exec_lo, exec_lo, s5
	s_cbranch_execnz .LBB125_177
; %bb.178:
	s_or_b32 exec_lo, exec_lo, s5
	v_mov_b32_e32 v5, 0
	ds_read_b64 v[5:6], v5 offset:328
	s_waitcnt lgkmcnt(0)
	v_mul_f32_e32 v7, v2, v6
	v_mul_f32_e32 v6, v8, v6
	v_fma_f32 v7, v8, v5, -v7
	v_fmac_f32_e32 v6, v2, v5
	buffer_store_dword v7, off, s[0:3], 0 offset:328
	buffer_store_dword v6, off, s[0:3], 0 offset:332
.LBB125_179:
	s_or_b32 exec_lo, exec_lo, s4
	s_waitcnt_vscnt null, 0x0
	s_barrier
	buffer_gl0_inv
	s_clause 0x1
	buffer_load_dword v5, off, s[0:3], 0 offset:336
	buffer_load_dword v6, off, s[0:3], 0 offset:340
	s_mov_b32 s4, exec_lo
	s_waitcnt vmcnt(0)
	ds_write_b64 v4, v[5:6]
	s_waitcnt lgkmcnt(0)
	s_barrier
	buffer_gl0_inv
	v_cmpx_gt_u32_e32 42, v0
	s_cbranch_execz .LBB125_183
; %bb.180:
	v_add_nc_u32_e32 v5, -1, v0
	v_add_nc_u32_e32 v6, 0x1f0, v3
	v_mov_b32_e32 v7, v3
	v_mov_b32_e32 v2, 0
	;; [unrolled: 1-line block ×3, first 2 shown]
	s_mov_b32 s5, 0
	.p2align	6
.LBB125_181:                            ; =>This Inner Loop Header: Depth=1
	s_clause 0x1
	buffer_load_dword v11, v7, s[0:3], 0 offen offset:4
	buffer_load_dword v12, v7, s[0:3], 0 offen
	ds_read_b64 v[9:10], v6
	v_add_nc_u32_e32 v5, 1, v5
	v_add_nc_u32_e32 v6, 8, v6
	;; [unrolled: 1-line block ×3, first 2 shown]
	v_cmp_lt_u32_e32 vcc_lo, 40, v5
	s_or_b32 s5, vcc_lo, s5
	s_waitcnt vmcnt(1) lgkmcnt(0)
	v_mul_f32_e32 v137, v10, v11
	v_mul_f32_e32 v11, v9, v11
	s_waitcnt vmcnt(0)
	v_fma_f32 v9, v9, v12, -v137
	v_fmac_f32_e32 v11, v10, v12
	v_add_f32_e32 v8, v8, v9
	v_add_f32_e32 v2, v2, v11
	s_andn2_b32 exec_lo, exec_lo, s5
	s_cbranch_execnz .LBB125_181
; %bb.182:
	s_or_b32 exec_lo, exec_lo, s5
	v_mov_b32_e32 v5, 0
	ds_read_b64 v[5:6], v5 offset:336
	s_waitcnt lgkmcnt(0)
	v_mul_f32_e32 v7, v2, v6
	v_mul_f32_e32 v6, v8, v6
	v_fma_f32 v7, v8, v5, -v7
	v_fmac_f32_e32 v6, v2, v5
	buffer_store_dword v7, off, s[0:3], 0 offset:336
	buffer_store_dword v6, off, s[0:3], 0 offset:340
.LBB125_183:
	s_or_b32 exec_lo, exec_lo, s4
	s_waitcnt_vscnt null, 0x0
	s_barrier
	buffer_gl0_inv
	s_clause 0x1
	buffer_load_dword v5, off, s[0:3], 0 offset:344
	buffer_load_dword v6, off, s[0:3], 0 offset:348
	s_mov_b32 s4, exec_lo
	s_waitcnt vmcnt(0)
	ds_write_b64 v4, v[5:6]
	s_waitcnt lgkmcnt(0)
	s_barrier
	buffer_gl0_inv
	v_cmpx_gt_u32_e32 43, v0
	s_cbranch_execz .LBB125_187
; %bb.184:
	v_add_nc_u32_e32 v5, -1, v0
	v_add_nc_u32_e32 v6, 0x1f0, v3
	v_mov_b32_e32 v7, v3
	v_mov_b32_e32 v2, 0
	;; [unrolled: 1-line block ×3, first 2 shown]
	s_mov_b32 s5, 0
	.p2align	6
.LBB125_185:                            ; =>This Inner Loop Header: Depth=1
	s_clause 0x1
	buffer_load_dword v11, v7, s[0:3], 0 offen offset:4
	buffer_load_dword v12, v7, s[0:3], 0 offen
	ds_read_b64 v[9:10], v6
	v_add_nc_u32_e32 v5, 1, v5
	v_add_nc_u32_e32 v6, 8, v6
	;; [unrolled: 1-line block ×3, first 2 shown]
	v_cmp_lt_u32_e32 vcc_lo, 41, v5
	s_or_b32 s5, vcc_lo, s5
	s_waitcnt vmcnt(1) lgkmcnt(0)
	v_mul_f32_e32 v137, v10, v11
	v_mul_f32_e32 v11, v9, v11
	s_waitcnt vmcnt(0)
	v_fma_f32 v9, v9, v12, -v137
	v_fmac_f32_e32 v11, v10, v12
	v_add_f32_e32 v8, v8, v9
	v_add_f32_e32 v2, v2, v11
	s_andn2_b32 exec_lo, exec_lo, s5
	s_cbranch_execnz .LBB125_185
; %bb.186:
	s_or_b32 exec_lo, exec_lo, s5
	v_mov_b32_e32 v5, 0
	ds_read_b64 v[5:6], v5 offset:344
	s_waitcnt lgkmcnt(0)
	v_mul_f32_e32 v7, v2, v6
	v_mul_f32_e32 v6, v8, v6
	v_fma_f32 v7, v8, v5, -v7
	v_fmac_f32_e32 v6, v2, v5
	buffer_store_dword v7, off, s[0:3], 0 offset:344
	buffer_store_dword v6, off, s[0:3], 0 offset:348
.LBB125_187:
	s_or_b32 exec_lo, exec_lo, s4
	s_waitcnt_vscnt null, 0x0
	s_barrier
	buffer_gl0_inv
	s_clause 0x1
	buffer_load_dword v5, off, s[0:3], 0 offset:352
	buffer_load_dword v6, off, s[0:3], 0 offset:356
	s_mov_b32 s4, exec_lo
	s_waitcnt vmcnt(0)
	ds_write_b64 v4, v[5:6]
	s_waitcnt lgkmcnt(0)
	s_barrier
	buffer_gl0_inv
	v_cmpx_gt_u32_e32 44, v0
	s_cbranch_execz .LBB125_191
; %bb.188:
	v_add_nc_u32_e32 v5, -1, v0
	v_add_nc_u32_e32 v6, 0x1f0, v3
	v_mov_b32_e32 v7, v3
	v_mov_b32_e32 v2, 0
	;; [unrolled: 1-line block ×3, first 2 shown]
	s_mov_b32 s5, 0
	.p2align	6
.LBB125_189:                            ; =>This Inner Loop Header: Depth=1
	s_clause 0x1
	buffer_load_dword v11, v7, s[0:3], 0 offen offset:4
	buffer_load_dword v12, v7, s[0:3], 0 offen
	ds_read_b64 v[9:10], v6
	v_add_nc_u32_e32 v5, 1, v5
	v_add_nc_u32_e32 v6, 8, v6
	;; [unrolled: 1-line block ×3, first 2 shown]
	v_cmp_lt_u32_e32 vcc_lo, 42, v5
	s_or_b32 s5, vcc_lo, s5
	s_waitcnt vmcnt(1) lgkmcnt(0)
	v_mul_f32_e32 v137, v10, v11
	v_mul_f32_e32 v11, v9, v11
	s_waitcnt vmcnt(0)
	v_fma_f32 v9, v9, v12, -v137
	v_fmac_f32_e32 v11, v10, v12
	v_add_f32_e32 v8, v8, v9
	v_add_f32_e32 v2, v2, v11
	s_andn2_b32 exec_lo, exec_lo, s5
	s_cbranch_execnz .LBB125_189
; %bb.190:
	s_or_b32 exec_lo, exec_lo, s5
	v_mov_b32_e32 v5, 0
	ds_read_b64 v[5:6], v5 offset:352
	s_waitcnt lgkmcnt(0)
	v_mul_f32_e32 v7, v2, v6
	v_mul_f32_e32 v6, v8, v6
	v_fma_f32 v7, v8, v5, -v7
	v_fmac_f32_e32 v6, v2, v5
	buffer_store_dword v7, off, s[0:3], 0 offset:352
	buffer_store_dword v6, off, s[0:3], 0 offset:356
.LBB125_191:
	s_or_b32 exec_lo, exec_lo, s4
	s_waitcnt_vscnt null, 0x0
	s_barrier
	buffer_gl0_inv
	s_clause 0x1
	buffer_load_dword v5, off, s[0:3], 0 offset:360
	buffer_load_dword v6, off, s[0:3], 0 offset:364
	s_mov_b32 s4, exec_lo
	s_waitcnt vmcnt(0)
	ds_write_b64 v4, v[5:6]
	s_waitcnt lgkmcnt(0)
	s_barrier
	buffer_gl0_inv
	v_cmpx_gt_u32_e32 45, v0
	s_cbranch_execz .LBB125_195
; %bb.192:
	v_add_nc_u32_e32 v5, -1, v0
	v_add_nc_u32_e32 v6, 0x1f0, v3
	v_mov_b32_e32 v7, v3
	v_mov_b32_e32 v2, 0
	;; [unrolled: 1-line block ×3, first 2 shown]
	s_mov_b32 s5, 0
	.p2align	6
.LBB125_193:                            ; =>This Inner Loop Header: Depth=1
	s_clause 0x1
	buffer_load_dword v11, v7, s[0:3], 0 offen offset:4
	buffer_load_dword v12, v7, s[0:3], 0 offen
	ds_read_b64 v[9:10], v6
	v_add_nc_u32_e32 v5, 1, v5
	v_add_nc_u32_e32 v6, 8, v6
	;; [unrolled: 1-line block ×3, first 2 shown]
	v_cmp_lt_u32_e32 vcc_lo, 43, v5
	s_or_b32 s5, vcc_lo, s5
	s_waitcnt vmcnt(1) lgkmcnt(0)
	v_mul_f32_e32 v137, v10, v11
	v_mul_f32_e32 v11, v9, v11
	s_waitcnt vmcnt(0)
	v_fma_f32 v9, v9, v12, -v137
	v_fmac_f32_e32 v11, v10, v12
	v_add_f32_e32 v8, v8, v9
	v_add_f32_e32 v2, v2, v11
	s_andn2_b32 exec_lo, exec_lo, s5
	s_cbranch_execnz .LBB125_193
; %bb.194:
	s_or_b32 exec_lo, exec_lo, s5
	v_mov_b32_e32 v5, 0
	ds_read_b64 v[5:6], v5 offset:360
	s_waitcnt lgkmcnt(0)
	v_mul_f32_e32 v7, v2, v6
	v_mul_f32_e32 v6, v8, v6
	v_fma_f32 v7, v8, v5, -v7
	v_fmac_f32_e32 v6, v2, v5
	buffer_store_dword v7, off, s[0:3], 0 offset:360
	buffer_store_dword v6, off, s[0:3], 0 offset:364
.LBB125_195:
	s_or_b32 exec_lo, exec_lo, s4
	s_waitcnt_vscnt null, 0x0
	s_barrier
	buffer_gl0_inv
	s_clause 0x1
	buffer_load_dword v5, off, s[0:3], 0 offset:368
	buffer_load_dword v6, off, s[0:3], 0 offset:372
	s_mov_b32 s4, exec_lo
	s_waitcnt vmcnt(0)
	ds_write_b64 v4, v[5:6]
	s_waitcnt lgkmcnt(0)
	s_barrier
	buffer_gl0_inv
	v_cmpx_gt_u32_e32 46, v0
	s_cbranch_execz .LBB125_199
; %bb.196:
	v_add_nc_u32_e32 v5, -1, v0
	v_add_nc_u32_e32 v6, 0x1f0, v3
	v_mov_b32_e32 v7, v3
	v_mov_b32_e32 v2, 0
	;; [unrolled: 1-line block ×3, first 2 shown]
	s_mov_b32 s5, 0
	.p2align	6
.LBB125_197:                            ; =>This Inner Loop Header: Depth=1
	s_clause 0x1
	buffer_load_dword v11, v7, s[0:3], 0 offen offset:4
	buffer_load_dword v12, v7, s[0:3], 0 offen
	ds_read_b64 v[9:10], v6
	v_add_nc_u32_e32 v5, 1, v5
	v_add_nc_u32_e32 v6, 8, v6
	;; [unrolled: 1-line block ×3, first 2 shown]
	v_cmp_lt_u32_e32 vcc_lo, 44, v5
	s_or_b32 s5, vcc_lo, s5
	s_waitcnt vmcnt(1) lgkmcnt(0)
	v_mul_f32_e32 v137, v10, v11
	v_mul_f32_e32 v11, v9, v11
	s_waitcnt vmcnt(0)
	v_fma_f32 v9, v9, v12, -v137
	v_fmac_f32_e32 v11, v10, v12
	v_add_f32_e32 v8, v8, v9
	v_add_f32_e32 v2, v2, v11
	s_andn2_b32 exec_lo, exec_lo, s5
	s_cbranch_execnz .LBB125_197
; %bb.198:
	s_or_b32 exec_lo, exec_lo, s5
	v_mov_b32_e32 v5, 0
	ds_read_b64 v[5:6], v5 offset:368
	s_waitcnt lgkmcnt(0)
	v_mul_f32_e32 v7, v2, v6
	v_mul_f32_e32 v6, v8, v6
	v_fma_f32 v7, v8, v5, -v7
	v_fmac_f32_e32 v6, v2, v5
	buffer_store_dword v7, off, s[0:3], 0 offset:368
	buffer_store_dword v6, off, s[0:3], 0 offset:372
.LBB125_199:
	s_or_b32 exec_lo, exec_lo, s4
	s_waitcnt_vscnt null, 0x0
	s_barrier
	buffer_gl0_inv
	s_clause 0x1
	buffer_load_dword v5, off, s[0:3], 0 offset:376
	buffer_load_dword v6, off, s[0:3], 0 offset:380
	s_mov_b32 s4, exec_lo
	s_waitcnt vmcnt(0)
	ds_write_b64 v4, v[5:6]
	s_waitcnt lgkmcnt(0)
	s_barrier
	buffer_gl0_inv
	v_cmpx_gt_u32_e32 47, v0
	s_cbranch_execz .LBB125_203
; %bb.200:
	v_add_nc_u32_e32 v5, -1, v0
	v_add_nc_u32_e32 v6, 0x1f0, v3
	v_mov_b32_e32 v7, v3
	v_mov_b32_e32 v2, 0
	;; [unrolled: 1-line block ×3, first 2 shown]
	s_mov_b32 s5, 0
	.p2align	6
.LBB125_201:                            ; =>This Inner Loop Header: Depth=1
	s_clause 0x1
	buffer_load_dword v11, v7, s[0:3], 0 offen offset:4
	buffer_load_dword v12, v7, s[0:3], 0 offen
	ds_read_b64 v[9:10], v6
	v_add_nc_u32_e32 v5, 1, v5
	v_add_nc_u32_e32 v6, 8, v6
	;; [unrolled: 1-line block ×3, first 2 shown]
	v_cmp_lt_u32_e32 vcc_lo, 45, v5
	s_or_b32 s5, vcc_lo, s5
	s_waitcnt vmcnt(1) lgkmcnt(0)
	v_mul_f32_e32 v137, v10, v11
	v_mul_f32_e32 v11, v9, v11
	s_waitcnt vmcnt(0)
	v_fma_f32 v9, v9, v12, -v137
	v_fmac_f32_e32 v11, v10, v12
	v_add_f32_e32 v8, v8, v9
	v_add_f32_e32 v2, v2, v11
	s_andn2_b32 exec_lo, exec_lo, s5
	s_cbranch_execnz .LBB125_201
; %bb.202:
	s_or_b32 exec_lo, exec_lo, s5
	v_mov_b32_e32 v5, 0
	ds_read_b64 v[5:6], v5 offset:376
	s_waitcnt lgkmcnt(0)
	v_mul_f32_e32 v7, v2, v6
	v_mul_f32_e32 v6, v8, v6
	v_fma_f32 v7, v8, v5, -v7
	v_fmac_f32_e32 v6, v2, v5
	buffer_store_dword v7, off, s[0:3], 0 offset:376
	buffer_store_dword v6, off, s[0:3], 0 offset:380
.LBB125_203:
	s_or_b32 exec_lo, exec_lo, s4
	s_waitcnt_vscnt null, 0x0
	s_barrier
	buffer_gl0_inv
	s_clause 0x1
	buffer_load_dword v5, off, s[0:3], 0 offset:384
	buffer_load_dword v6, off, s[0:3], 0 offset:388
	s_mov_b32 s4, exec_lo
	s_waitcnt vmcnt(0)
	ds_write_b64 v4, v[5:6]
	s_waitcnt lgkmcnt(0)
	s_barrier
	buffer_gl0_inv
	v_cmpx_gt_u32_e32 48, v0
	s_cbranch_execz .LBB125_207
; %bb.204:
	v_add_nc_u32_e32 v5, -1, v0
	v_add_nc_u32_e32 v6, 0x1f0, v3
	v_mov_b32_e32 v7, v3
	v_mov_b32_e32 v2, 0
	;; [unrolled: 1-line block ×3, first 2 shown]
	s_mov_b32 s5, 0
	.p2align	6
.LBB125_205:                            ; =>This Inner Loop Header: Depth=1
	s_clause 0x1
	buffer_load_dword v11, v7, s[0:3], 0 offen offset:4
	buffer_load_dword v12, v7, s[0:3], 0 offen
	ds_read_b64 v[9:10], v6
	v_add_nc_u32_e32 v5, 1, v5
	v_add_nc_u32_e32 v6, 8, v6
	;; [unrolled: 1-line block ×3, first 2 shown]
	v_cmp_lt_u32_e32 vcc_lo, 46, v5
	s_or_b32 s5, vcc_lo, s5
	s_waitcnt vmcnt(1) lgkmcnt(0)
	v_mul_f32_e32 v137, v10, v11
	v_mul_f32_e32 v11, v9, v11
	s_waitcnt vmcnt(0)
	v_fma_f32 v9, v9, v12, -v137
	v_fmac_f32_e32 v11, v10, v12
	v_add_f32_e32 v8, v8, v9
	v_add_f32_e32 v2, v2, v11
	s_andn2_b32 exec_lo, exec_lo, s5
	s_cbranch_execnz .LBB125_205
; %bb.206:
	s_or_b32 exec_lo, exec_lo, s5
	v_mov_b32_e32 v5, 0
	ds_read_b64 v[5:6], v5 offset:384
	s_waitcnt lgkmcnt(0)
	v_mul_f32_e32 v7, v2, v6
	v_mul_f32_e32 v6, v8, v6
	v_fma_f32 v7, v8, v5, -v7
	v_fmac_f32_e32 v6, v2, v5
	buffer_store_dword v7, off, s[0:3], 0 offset:384
	buffer_store_dword v6, off, s[0:3], 0 offset:388
.LBB125_207:
	s_or_b32 exec_lo, exec_lo, s4
	s_waitcnt_vscnt null, 0x0
	s_barrier
	buffer_gl0_inv
	s_clause 0x1
	buffer_load_dword v5, off, s[0:3], 0 offset:392
	buffer_load_dword v6, off, s[0:3], 0 offset:396
	s_mov_b32 s4, exec_lo
	s_waitcnt vmcnt(0)
	ds_write_b64 v4, v[5:6]
	s_waitcnt lgkmcnt(0)
	s_barrier
	buffer_gl0_inv
	v_cmpx_gt_u32_e32 49, v0
	s_cbranch_execz .LBB125_211
; %bb.208:
	v_add_nc_u32_e32 v5, -1, v0
	v_add_nc_u32_e32 v6, 0x1f0, v3
	v_mov_b32_e32 v7, v3
	v_mov_b32_e32 v2, 0
	;; [unrolled: 1-line block ×3, first 2 shown]
	s_mov_b32 s5, 0
	.p2align	6
.LBB125_209:                            ; =>This Inner Loop Header: Depth=1
	s_clause 0x1
	buffer_load_dword v11, v7, s[0:3], 0 offen offset:4
	buffer_load_dword v12, v7, s[0:3], 0 offen
	ds_read_b64 v[9:10], v6
	v_add_nc_u32_e32 v5, 1, v5
	v_add_nc_u32_e32 v6, 8, v6
	;; [unrolled: 1-line block ×3, first 2 shown]
	v_cmp_lt_u32_e32 vcc_lo, 47, v5
	s_or_b32 s5, vcc_lo, s5
	s_waitcnt vmcnt(1) lgkmcnt(0)
	v_mul_f32_e32 v137, v10, v11
	v_mul_f32_e32 v11, v9, v11
	s_waitcnt vmcnt(0)
	v_fma_f32 v9, v9, v12, -v137
	v_fmac_f32_e32 v11, v10, v12
	v_add_f32_e32 v8, v8, v9
	v_add_f32_e32 v2, v2, v11
	s_andn2_b32 exec_lo, exec_lo, s5
	s_cbranch_execnz .LBB125_209
; %bb.210:
	s_or_b32 exec_lo, exec_lo, s5
	v_mov_b32_e32 v5, 0
	ds_read_b64 v[5:6], v5 offset:392
	s_waitcnt lgkmcnt(0)
	v_mul_f32_e32 v7, v2, v6
	v_mul_f32_e32 v6, v8, v6
	v_fma_f32 v7, v8, v5, -v7
	v_fmac_f32_e32 v6, v2, v5
	buffer_store_dword v7, off, s[0:3], 0 offset:392
	buffer_store_dword v6, off, s[0:3], 0 offset:396
.LBB125_211:
	s_or_b32 exec_lo, exec_lo, s4
	s_waitcnt_vscnt null, 0x0
	s_barrier
	buffer_gl0_inv
	s_clause 0x1
	buffer_load_dword v5, off, s[0:3], 0 offset:400
	buffer_load_dword v6, off, s[0:3], 0 offset:404
	s_mov_b32 s4, exec_lo
	s_waitcnt vmcnt(0)
	ds_write_b64 v4, v[5:6]
	s_waitcnt lgkmcnt(0)
	s_barrier
	buffer_gl0_inv
	v_cmpx_gt_u32_e32 50, v0
	s_cbranch_execz .LBB125_215
; %bb.212:
	v_add_nc_u32_e32 v5, -1, v0
	v_add_nc_u32_e32 v6, 0x1f0, v3
	v_mov_b32_e32 v7, v3
	v_mov_b32_e32 v2, 0
	;; [unrolled: 1-line block ×3, first 2 shown]
	s_mov_b32 s5, 0
	.p2align	6
.LBB125_213:                            ; =>This Inner Loop Header: Depth=1
	s_clause 0x1
	buffer_load_dword v11, v7, s[0:3], 0 offen offset:4
	buffer_load_dword v12, v7, s[0:3], 0 offen
	ds_read_b64 v[9:10], v6
	v_add_nc_u32_e32 v5, 1, v5
	v_add_nc_u32_e32 v6, 8, v6
	;; [unrolled: 1-line block ×3, first 2 shown]
	v_cmp_lt_u32_e32 vcc_lo, 48, v5
	s_or_b32 s5, vcc_lo, s5
	s_waitcnt vmcnt(1) lgkmcnt(0)
	v_mul_f32_e32 v137, v10, v11
	v_mul_f32_e32 v11, v9, v11
	s_waitcnt vmcnt(0)
	v_fma_f32 v9, v9, v12, -v137
	v_fmac_f32_e32 v11, v10, v12
	v_add_f32_e32 v8, v8, v9
	v_add_f32_e32 v2, v2, v11
	s_andn2_b32 exec_lo, exec_lo, s5
	s_cbranch_execnz .LBB125_213
; %bb.214:
	s_or_b32 exec_lo, exec_lo, s5
	v_mov_b32_e32 v5, 0
	ds_read_b64 v[5:6], v5 offset:400
	s_waitcnt lgkmcnt(0)
	v_mul_f32_e32 v7, v2, v6
	v_mul_f32_e32 v6, v8, v6
	v_fma_f32 v7, v8, v5, -v7
	v_fmac_f32_e32 v6, v2, v5
	buffer_store_dword v7, off, s[0:3], 0 offset:400
	buffer_store_dword v6, off, s[0:3], 0 offset:404
.LBB125_215:
	s_or_b32 exec_lo, exec_lo, s4
	s_waitcnt_vscnt null, 0x0
	s_barrier
	buffer_gl0_inv
	s_clause 0x1
	buffer_load_dword v5, off, s[0:3], 0 offset:408
	buffer_load_dword v6, off, s[0:3], 0 offset:412
	s_mov_b32 s4, exec_lo
	s_waitcnt vmcnt(0)
	ds_write_b64 v4, v[5:6]
	s_waitcnt lgkmcnt(0)
	s_barrier
	buffer_gl0_inv
	v_cmpx_gt_u32_e32 51, v0
	s_cbranch_execz .LBB125_219
; %bb.216:
	v_add_nc_u32_e32 v5, -1, v0
	v_add_nc_u32_e32 v6, 0x1f0, v3
	v_mov_b32_e32 v7, v3
	v_mov_b32_e32 v2, 0
	;; [unrolled: 1-line block ×3, first 2 shown]
	s_mov_b32 s5, 0
	.p2align	6
.LBB125_217:                            ; =>This Inner Loop Header: Depth=1
	s_clause 0x1
	buffer_load_dword v11, v7, s[0:3], 0 offen offset:4
	buffer_load_dword v12, v7, s[0:3], 0 offen
	ds_read_b64 v[9:10], v6
	v_add_nc_u32_e32 v5, 1, v5
	v_add_nc_u32_e32 v6, 8, v6
	;; [unrolled: 1-line block ×3, first 2 shown]
	v_cmp_lt_u32_e32 vcc_lo, 49, v5
	s_or_b32 s5, vcc_lo, s5
	s_waitcnt vmcnt(1) lgkmcnt(0)
	v_mul_f32_e32 v137, v10, v11
	v_mul_f32_e32 v11, v9, v11
	s_waitcnt vmcnt(0)
	v_fma_f32 v9, v9, v12, -v137
	v_fmac_f32_e32 v11, v10, v12
	v_add_f32_e32 v8, v8, v9
	v_add_f32_e32 v2, v2, v11
	s_andn2_b32 exec_lo, exec_lo, s5
	s_cbranch_execnz .LBB125_217
; %bb.218:
	s_or_b32 exec_lo, exec_lo, s5
	v_mov_b32_e32 v5, 0
	ds_read_b64 v[5:6], v5 offset:408
	s_waitcnt lgkmcnt(0)
	v_mul_f32_e32 v7, v2, v6
	v_mul_f32_e32 v6, v8, v6
	v_fma_f32 v7, v8, v5, -v7
	v_fmac_f32_e32 v6, v2, v5
	buffer_store_dword v7, off, s[0:3], 0 offset:408
	buffer_store_dword v6, off, s[0:3], 0 offset:412
.LBB125_219:
	s_or_b32 exec_lo, exec_lo, s4
	s_waitcnt_vscnt null, 0x0
	s_barrier
	buffer_gl0_inv
	s_clause 0x1
	buffer_load_dword v5, off, s[0:3], 0 offset:416
	buffer_load_dword v6, off, s[0:3], 0 offset:420
	s_mov_b32 s4, exec_lo
	s_waitcnt vmcnt(0)
	ds_write_b64 v4, v[5:6]
	s_waitcnt lgkmcnt(0)
	s_barrier
	buffer_gl0_inv
	v_cmpx_gt_u32_e32 52, v0
	s_cbranch_execz .LBB125_223
; %bb.220:
	v_add_nc_u32_e32 v5, -1, v0
	v_add_nc_u32_e32 v6, 0x1f0, v3
	v_mov_b32_e32 v7, v3
	v_mov_b32_e32 v2, 0
	;; [unrolled: 1-line block ×3, first 2 shown]
	s_mov_b32 s5, 0
	.p2align	6
.LBB125_221:                            ; =>This Inner Loop Header: Depth=1
	s_clause 0x1
	buffer_load_dword v11, v7, s[0:3], 0 offen offset:4
	buffer_load_dword v12, v7, s[0:3], 0 offen
	ds_read_b64 v[9:10], v6
	v_add_nc_u32_e32 v5, 1, v5
	v_add_nc_u32_e32 v6, 8, v6
	;; [unrolled: 1-line block ×3, first 2 shown]
	v_cmp_lt_u32_e32 vcc_lo, 50, v5
	s_or_b32 s5, vcc_lo, s5
	s_waitcnt vmcnt(1) lgkmcnt(0)
	v_mul_f32_e32 v137, v10, v11
	v_mul_f32_e32 v11, v9, v11
	s_waitcnt vmcnt(0)
	v_fma_f32 v9, v9, v12, -v137
	v_fmac_f32_e32 v11, v10, v12
	v_add_f32_e32 v8, v8, v9
	v_add_f32_e32 v2, v2, v11
	s_andn2_b32 exec_lo, exec_lo, s5
	s_cbranch_execnz .LBB125_221
; %bb.222:
	s_or_b32 exec_lo, exec_lo, s5
	v_mov_b32_e32 v5, 0
	ds_read_b64 v[5:6], v5 offset:416
	s_waitcnt lgkmcnt(0)
	v_mul_f32_e32 v7, v2, v6
	v_mul_f32_e32 v6, v8, v6
	v_fma_f32 v7, v8, v5, -v7
	v_fmac_f32_e32 v6, v2, v5
	buffer_store_dword v7, off, s[0:3], 0 offset:416
	buffer_store_dword v6, off, s[0:3], 0 offset:420
.LBB125_223:
	s_or_b32 exec_lo, exec_lo, s4
	s_waitcnt_vscnt null, 0x0
	s_barrier
	buffer_gl0_inv
	s_clause 0x1
	buffer_load_dword v5, off, s[0:3], 0 offset:424
	buffer_load_dword v6, off, s[0:3], 0 offset:428
	s_mov_b32 s4, exec_lo
	s_waitcnt vmcnt(0)
	ds_write_b64 v4, v[5:6]
	s_waitcnt lgkmcnt(0)
	s_barrier
	buffer_gl0_inv
	v_cmpx_gt_u32_e32 53, v0
	s_cbranch_execz .LBB125_227
; %bb.224:
	v_add_nc_u32_e32 v5, -1, v0
	v_add_nc_u32_e32 v6, 0x1f0, v3
	v_mov_b32_e32 v7, v3
	v_mov_b32_e32 v2, 0
	;; [unrolled: 1-line block ×3, first 2 shown]
	s_mov_b32 s5, 0
	.p2align	6
.LBB125_225:                            ; =>This Inner Loop Header: Depth=1
	s_clause 0x1
	buffer_load_dword v11, v7, s[0:3], 0 offen offset:4
	buffer_load_dword v12, v7, s[0:3], 0 offen
	ds_read_b64 v[9:10], v6
	v_add_nc_u32_e32 v5, 1, v5
	v_add_nc_u32_e32 v6, 8, v6
	;; [unrolled: 1-line block ×3, first 2 shown]
	v_cmp_lt_u32_e32 vcc_lo, 51, v5
	s_or_b32 s5, vcc_lo, s5
	s_waitcnt vmcnt(1) lgkmcnt(0)
	v_mul_f32_e32 v137, v10, v11
	v_mul_f32_e32 v11, v9, v11
	s_waitcnt vmcnt(0)
	v_fma_f32 v9, v9, v12, -v137
	v_fmac_f32_e32 v11, v10, v12
	v_add_f32_e32 v8, v8, v9
	v_add_f32_e32 v2, v2, v11
	s_andn2_b32 exec_lo, exec_lo, s5
	s_cbranch_execnz .LBB125_225
; %bb.226:
	s_or_b32 exec_lo, exec_lo, s5
	v_mov_b32_e32 v5, 0
	ds_read_b64 v[5:6], v5 offset:424
	s_waitcnt lgkmcnt(0)
	v_mul_f32_e32 v7, v2, v6
	v_mul_f32_e32 v6, v8, v6
	v_fma_f32 v7, v8, v5, -v7
	v_fmac_f32_e32 v6, v2, v5
	buffer_store_dword v7, off, s[0:3], 0 offset:424
	buffer_store_dword v6, off, s[0:3], 0 offset:428
.LBB125_227:
	s_or_b32 exec_lo, exec_lo, s4
	s_waitcnt_vscnt null, 0x0
	s_barrier
	buffer_gl0_inv
	s_clause 0x1
	buffer_load_dword v5, off, s[0:3], 0 offset:432
	buffer_load_dword v6, off, s[0:3], 0 offset:436
	s_mov_b32 s4, exec_lo
	s_waitcnt vmcnt(0)
	ds_write_b64 v4, v[5:6]
	s_waitcnt lgkmcnt(0)
	s_barrier
	buffer_gl0_inv
	v_cmpx_gt_u32_e32 54, v0
	s_cbranch_execz .LBB125_231
; %bb.228:
	v_add_nc_u32_e32 v5, -1, v0
	v_add_nc_u32_e32 v6, 0x1f0, v3
	v_mov_b32_e32 v7, v3
	v_mov_b32_e32 v2, 0
	v_mov_b32_e32 v8, 0
	s_mov_b32 s5, 0
	.p2align	6
.LBB125_229:                            ; =>This Inner Loop Header: Depth=1
	s_clause 0x1
	buffer_load_dword v11, v7, s[0:3], 0 offen offset:4
	buffer_load_dword v12, v7, s[0:3], 0 offen
	ds_read_b64 v[9:10], v6
	v_add_nc_u32_e32 v5, 1, v5
	v_add_nc_u32_e32 v6, 8, v6
	;; [unrolled: 1-line block ×3, first 2 shown]
	v_cmp_lt_u32_e32 vcc_lo, 52, v5
	s_or_b32 s5, vcc_lo, s5
	s_waitcnt vmcnt(1) lgkmcnt(0)
	v_mul_f32_e32 v137, v10, v11
	v_mul_f32_e32 v11, v9, v11
	s_waitcnt vmcnt(0)
	v_fma_f32 v9, v9, v12, -v137
	v_fmac_f32_e32 v11, v10, v12
	v_add_f32_e32 v8, v8, v9
	v_add_f32_e32 v2, v2, v11
	s_andn2_b32 exec_lo, exec_lo, s5
	s_cbranch_execnz .LBB125_229
; %bb.230:
	s_or_b32 exec_lo, exec_lo, s5
	v_mov_b32_e32 v5, 0
	ds_read_b64 v[5:6], v5 offset:432
	s_waitcnt lgkmcnt(0)
	v_mul_f32_e32 v7, v2, v6
	v_mul_f32_e32 v6, v8, v6
	v_fma_f32 v7, v8, v5, -v7
	v_fmac_f32_e32 v6, v2, v5
	buffer_store_dword v7, off, s[0:3], 0 offset:432
	buffer_store_dword v6, off, s[0:3], 0 offset:436
.LBB125_231:
	s_or_b32 exec_lo, exec_lo, s4
	s_waitcnt_vscnt null, 0x0
	s_barrier
	buffer_gl0_inv
	s_clause 0x1
	buffer_load_dword v5, off, s[0:3], 0 offset:440
	buffer_load_dword v6, off, s[0:3], 0 offset:444
	s_mov_b32 s4, exec_lo
	s_waitcnt vmcnt(0)
	ds_write_b64 v4, v[5:6]
	s_waitcnt lgkmcnt(0)
	s_barrier
	buffer_gl0_inv
	v_cmpx_gt_u32_e32 55, v0
	s_cbranch_execz .LBB125_235
; %bb.232:
	v_add_nc_u32_e32 v5, -1, v0
	v_add_nc_u32_e32 v6, 0x1f0, v3
	v_mov_b32_e32 v7, v3
	v_mov_b32_e32 v2, 0
	;; [unrolled: 1-line block ×3, first 2 shown]
	s_mov_b32 s5, 0
	.p2align	6
.LBB125_233:                            ; =>This Inner Loop Header: Depth=1
	s_clause 0x1
	buffer_load_dword v11, v7, s[0:3], 0 offen offset:4
	buffer_load_dword v12, v7, s[0:3], 0 offen
	ds_read_b64 v[9:10], v6
	v_add_nc_u32_e32 v5, 1, v5
	v_add_nc_u32_e32 v6, 8, v6
	;; [unrolled: 1-line block ×3, first 2 shown]
	v_cmp_lt_u32_e32 vcc_lo, 53, v5
	s_or_b32 s5, vcc_lo, s5
	s_waitcnt vmcnt(1) lgkmcnt(0)
	v_mul_f32_e32 v137, v10, v11
	v_mul_f32_e32 v11, v9, v11
	s_waitcnt vmcnt(0)
	v_fma_f32 v9, v9, v12, -v137
	v_fmac_f32_e32 v11, v10, v12
	v_add_f32_e32 v8, v8, v9
	v_add_f32_e32 v2, v2, v11
	s_andn2_b32 exec_lo, exec_lo, s5
	s_cbranch_execnz .LBB125_233
; %bb.234:
	s_or_b32 exec_lo, exec_lo, s5
	v_mov_b32_e32 v5, 0
	ds_read_b64 v[5:6], v5 offset:440
	s_waitcnt lgkmcnt(0)
	v_mul_f32_e32 v7, v2, v6
	v_mul_f32_e32 v6, v8, v6
	v_fma_f32 v7, v8, v5, -v7
	v_fmac_f32_e32 v6, v2, v5
	buffer_store_dword v7, off, s[0:3], 0 offset:440
	buffer_store_dword v6, off, s[0:3], 0 offset:444
.LBB125_235:
	s_or_b32 exec_lo, exec_lo, s4
	s_waitcnt_vscnt null, 0x0
	s_barrier
	buffer_gl0_inv
	s_clause 0x1
	buffer_load_dword v5, off, s[0:3], 0 offset:448
	buffer_load_dword v6, off, s[0:3], 0 offset:452
	s_mov_b32 s4, exec_lo
	s_waitcnt vmcnt(0)
	ds_write_b64 v4, v[5:6]
	s_waitcnt lgkmcnt(0)
	s_barrier
	buffer_gl0_inv
	v_cmpx_gt_u32_e32 56, v0
	s_cbranch_execz .LBB125_239
; %bb.236:
	v_add_nc_u32_e32 v5, -1, v0
	v_add_nc_u32_e32 v6, 0x1f0, v3
	v_mov_b32_e32 v7, v3
	v_mov_b32_e32 v2, 0
	;; [unrolled: 1-line block ×3, first 2 shown]
	s_mov_b32 s5, 0
	.p2align	6
.LBB125_237:                            ; =>This Inner Loop Header: Depth=1
	s_clause 0x1
	buffer_load_dword v11, v7, s[0:3], 0 offen offset:4
	buffer_load_dword v12, v7, s[0:3], 0 offen
	ds_read_b64 v[9:10], v6
	v_add_nc_u32_e32 v5, 1, v5
	v_add_nc_u32_e32 v6, 8, v6
	;; [unrolled: 1-line block ×3, first 2 shown]
	v_cmp_lt_u32_e32 vcc_lo, 54, v5
	s_or_b32 s5, vcc_lo, s5
	s_waitcnt vmcnt(1) lgkmcnt(0)
	v_mul_f32_e32 v137, v10, v11
	v_mul_f32_e32 v11, v9, v11
	s_waitcnt vmcnt(0)
	v_fma_f32 v9, v9, v12, -v137
	v_fmac_f32_e32 v11, v10, v12
	v_add_f32_e32 v8, v8, v9
	v_add_f32_e32 v2, v2, v11
	s_andn2_b32 exec_lo, exec_lo, s5
	s_cbranch_execnz .LBB125_237
; %bb.238:
	s_or_b32 exec_lo, exec_lo, s5
	v_mov_b32_e32 v5, 0
	ds_read_b64 v[5:6], v5 offset:448
	s_waitcnt lgkmcnt(0)
	v_mul_f32_e32 v7, v2, v6
	v_mul_f32_e32 v6, v8, v6
	v_fma_f32 v7, v8, v5, -v7
	v_fmac_f32_e32 v6, v2, v5
	buffer_store_dword v7, off, s[0:3], 0 offset:448
	buffer_store_dword v6, off, s[0:3], 0 offset:452
.LBB125_239:
	s_or_b32 exec_lo, exec_lo, s4
	s_waitcnt_vscnt null, 0x0
	s_barrier
	buffer_gl0_inv
	s_clause 0x1
	buffer_load_dword v5, off, s[0:3], 0 offset:456
	buffer_load_dword v6, off, s[0:3], 0 offset:460
	s_mov_b32 s4, exec_lo
	s_waitcnt vmcnt(0)
	ds_write_b64 v4, v[5:6]
	s_waitcnt lgkmcnt(0)
	s_barrier
	buffer_gl0_inv
	v_cmpx_gt_u32_e32 57, v0
	s_cbranch_execz .LBB125_243
; %bb.240:
	v_add_nc_u32_e32 v5, -1, v0
	v_add_nc_u32_e32 v6, 0x1f0, v3
	v_mov_b32_e32 v7, v3
	v_mov_b32_e32 v2, 0
	;; [unrolled: 1-line block ×3, first 2 shown]
	s_mov_b32 s5, 0
	.p2align	6
.LBB125_241:                            ; =>This Inner Loop Header: Depth=1
	s_clause 0x1
	buffer_load_dword v11, v7, s[0:3], 0 offen offset:4
	buffer_load_dword v12, v7, s[0:3], 0 offen
	ds_read_b64 v[9:10], v6
	v_add_nc_u32_e32 v5, 1, v5
	v_add_nc_u32_e32 v6, 8, v6
	;; [unrolled: 1-line block ×3, first 2 shown]
	v_cmp_lt_u32_e32 vcc_lo, 55, v5
	s_or_b32 s5, vcc_lo, s5
	s_waitcnt vmcnt(1) lgkmcnt(0)
	v_mul_f32_e32 v137, v10, v11
	v_mul_f32_e32 v11, v9, v11
	s_waitcnt vmcnt(0)
	v_fma_f32 v9, v9, v12, -v137
	v_fmac_f32_e32 v11, v10, v12
	v_add_f32_e32 v8, v8, v9
	v_add_f32_e32 v2, v2, v11
	s_andn2_b32 exec_lo, exec_lo, s5
	s_cbranch_execnz .LBB125_241
; %bb.242:
	s_or_b32 exec_lo, exec_lo, s5
	v_mov_b32_e32 v5, 0
	ds_read_b64 v[5:6], v5 offset:456
	s_waitcnt lgkmcnt(0)
	v_mul_f32_e32 v7, v2, v6
	v_mul_f32_e32 v6, v8, v6
	v_fma_f32 v7, v8, v5, -v7
	v_fmac_f32_e32 v6, v2, v5
	buffer_store_dword v7, off, s[0:3], 0 offset:456
	buffer_store_dword v6, off, s[0:3], 0 offset:460
.LBB125_243:
	s_or_b32 exec_lo, exec_lo, s4
	s_waitcnt_vscnt null, 0x0
	s_barrier
	buffer_gl0_inv
	s_clause 0x1
	buffer_load_dword v5, off, s[0:3], 0 offset:464
	buffer_load_dword v6, off, s[0:3], 0 offset:468
	s_mov_b32 s4, exec_lo
	s_waitcnt vmcnt(0)
	ds_write_b64 v4, v[5:6]
	s_waitcnt lgkmcnt(0)
	s_barrier
	buffer_gl0_inv
	v_cmpx_gt_u32_e32 58, v0
	s_cbranch_execz .LBB125_247
; %bb.244:
	v_add_nc_u32_e32 v5, -1, v0
	v_add_nc_u32_e32 v6, 0x1f0, v3
	v_mov_b32_e32 v7, v3
	v_mov_b32_e32 v2, 0
	;; [unrolled: 1-line block ×3, first 2 shown]
	s_mov_b32 s5, 0
	.p2align	6
.LBB125_245:                            ; =>This Inner Loop Header: Depth=1
	s_clause 0x1
	buffer_load_dword v11, v7, s[0:3], 0 offen offset:4
	buffer_load_dword v12, v7, s[0:3], 0 offen
	ds_read_b64 v[9:10], v6
	v_add_nc_u32_e32 v5, 1, v5
	v_add_nc_u32_e32 v6, 8, v6
	;; [unrolled: 1-line block ×3, first 2 shown]
	v_cmp_lt_u32_e32 vcc_lo, 56, v5
	s_or_b32 s5, vcc_lo, s5
	s_waitcnt vmcnt(1) lgkmcnt(0)
	v_mul_f32_e32 v137, v10, v11
	v_mul_f32_e32 v11, v9, v11
	s_waitcnt vmcnt(0)
	v_fma_f32 v9, v9, v12, -v137
	v_fmac_f32_e32 v11, v10, v12
	v_add_f32_e32 v8, v8, v9
	v_add_f32_e32 v2, v2, v11
	s_andn2_b32 exec_lo, exec_lo, s5
	s_cbranch_execnz .LBB125_245
; %bb.246:
	s_or_b32 exec_lo, exec_lo, s5
	v_mov_b32_e32 v5, 0
	ds_read_b64 v[5:6], v5 offset:464
	s_waitcnt lgkmcnt(0)
	v_mul_f32_e32 v7, v2, v6
	v_mul_f32_e32 v6, v8, v6
	v_fma_f32 v7, v8, v5, -v7
	v_fmac_f32_e32 v6, v2, v5
	buffer_store_dword v7, off, s[0:3], 0 offset:464
	buffer_store_dword v6, off, s[0:3], 0 offset:468
.LBB125_247:
	s_or_b32 exec_lo, exec_lo, s4
	s_waitcnt_vscnt null, 0x0
	s_barrier
	buffer_gl0_inv
	s_clause 0x1
	buffer_load_dword v5, off, s[0:3], 0 offset:472
	buffer_load_dword v6, off, s[0:3], 0 offset:476
	s_mov_b32 s4, exec_lo
	s_waitcnt vmcnt(0)
	ds_write_b64 v4, v[5:6]
	s_waitcnt lgkmcnt(0)
	s_barrier
	buffer_gl0_inv
	v_cmpx_gt_u32_e32 59, v0
	s_cbranch_execz .LBB125_251
; %bb.248:
	v_add_nc_u32_e32 v5, -1, v0
	v_add_nc_u32_e32 v6, 0x1f0, v3
	v_mov_b32_e32 v7, v3
	v_mov_b32_e32 v2, 0
	;; [unrolled: 1-line block ×3, first 2 shown]
	s_mov_b32 s5, 0
	.p2align	6
.LBB125_249:                            ; =>This Inner Loop Header: Depth=1
	s_clause 0x1
	buffer_load_dword v11, v7, s[0:3], 0 offen offset:4
	buffer_load_dword v12, v7, s[0:3], 0 offen
	ds_read_b64 v[9:10], v6
	v_add_nc_u32_e32 v5, 1, v5
	v_add_nc_u32_e32 v6, 8, v6
	;; [unrolled: 1-line block ×3, first 2 shown]
	v_cmp_lt_u32_e32 vcc_lo, 57, v5
	s_or_b32 s5, vcc_lo, s5
	s_waitcnt vmcnt(1) lgkmcnt(0)
	v_mul_f32_e32 v137, v10, v11
	v_mul_f32_e32 v11, v9, v11
	s_waitcnt vmcnt(0)
	v_fma_f32 v9, v9, v12, -v137
	v_fmac_f32_e32 v11, v10, v12
	v_add_f32_e32 v8, v8, v9
	v_add_f32_e32 v2, v2, v11
	s_andn2_b32 exec_lo, exec_lo, s5
	s_cbranch_execnz .LBB125_249
; %bb.250:
	s_or_b32 exec_lo, exec_lo, s5
	v_mov_b32_e32 v5, 0
	ds_read_b64 v[5:6], v5 offset:472
	s_waitcnt lgkmcnt(0)
	v_mul_f32_e32 v7, v2, v6
	v_mul_f32_e32 v6, v8, v6
	v_fma_f32 v7, v8, v5, -v7
	v_fmac_f32_e32 v6, v2, v5
	buffer_store_dword v7, off, s[0:3], 0 offset:472
	buffer_store_dword v6, off, s[0:3], 0 offset:476
.LBB125_251:
	s_or_b32 exec_lo, exec_lo, s4
	s_waitcnt_vscnt null, 0x0
	s_barrier
	buffer_gl0_inv
	s_clause 0x1
	buffer_load_dword v5, off, s[0:3], 0 offset:480
	buffer_load_dword v6, off, s[0:3], 0 offset:484
	s_mov_b32 s4, exec_lo
	s_waitcnt vmcnt(0)
	ds_write_b64 v4, v[5:6]
	s_waitcnt lgkmcnt(0)
	s_barrier
	buffer_gl0_inv
	v_cmpx_gt_u32_e32 60, v0
	s_cbranch_execz .LBB125_255
; %bb.252:
	v_add_nc_u32_e32 v5, -1, v0
	v_add_nc_u32_e32 v6, 0x1f0, v3
	v_mov_b32_e32 v7, v3
	v_mov_b32_e32 v2, 0
	;; [unrolled: 1-line block ×3, first 2 shown]
	s_mov_b32 s5, 0
	.p2align	6
.LBB125_253:                            ; =>This Inner Loop Header: Depth=1
	s_clause 0x1
	buffer_load_dword v11, v7, s[0:3], 0 offen offset:4
	buffer_load_dword v12, v7, s[0:3], 0 offen
	ds_read_b64 v[9:10], v6
	v_add_nc_u32_e32 v5, 1, v5
	v_add_nc_u32_e32 v6, 8, v6
	;; [unrolled: 1-line block ×3, first 2 shown]
	v_cmp_lt_u32_e32 vcc_lo, 58, v5
	s_or_b32 s5, vcc_lo, s5
	s_waitcnt vmcnt(1) lgkmcnt(0)
	v_mul_f32_e32 v137, v10, v11
	v_mul_f32_e32 v11, v9, v11
	s_waitcnt vmcnt(0)
	v_fma_f32 v9, v9, v12, -v137
	v_fmac_f32_e32 v11, v10, v12
	v_add_f32_e32 v8, v8, v9
	v_add_f32_e32 v2, v2, v11
	s_andn2_b32 exec_lo, exec_lo, s5
	s_cbranch_execnz .LBB125_253
; %bb.254:
	s_or_b32 exec_lo, exec_lo, s5
	v_mov_b32_e32 v5, 0
	ds_read_b64 v[5:6], v5 offset:480
	s_waitcnt lgkmcnt(0)
	v_mul_f32_e32 v7, v2, v6
	v_mul_f32_e32 v6, v8, v6
	v_fma_f32 v7, v8, v5, -v7
	v_fmac_f32_e32 v6, v2, v5
	buffer_store_dword v7, off, s[0:3], 0 offset:480
	buffer_store_dword v6, off, s[0:3], 0 offset:484
.LBB125_255:
	s_or_b32 exec_lo, exec_lo, s4
	s_waitcnt_vscnt null, 0x0
	s_barrier
	buffer_gl0_inv
	s_clause 0x1
	buffer_load_dword v5, off, s[0:3], 0 offset:488
	buffer_load_dword v6, off, s[0:3], 0 offset:492
	s_mov_b32 s4, exec_lo
	s_waitcnt vmcnt(0)
	ds_write_b64 v4, v[5:6]
	s_waitcnt lgkmcnt(0)
	s_barrier
	buffer_gl0_inv
	v_cmpx_ne_u32_e32 61, v0
	s_cbranch_execz .LBB125_259
; %bb.256:
	v_mov_b32_e32 v2, 0
	v_mov_b32_e32 v5, 0
	s_mov_b32 s5, 0
	.p2align	6
.LBB125_257:                            ; =>This Inner Loop Header: Depth=1
	s_clause 0x1
	buffer_load_dword v8, v3, s[0:3], 0 offen offset:4
	buffer_load_dword v9, v3, s[0:3], 0 offen
	ds_read_b64 v[6:7], v4
	v_add_nc_u32_e32 v1, 1, v1
	v_add_nc_u32_e32 v4, 8, v4
	;; [unrolled: 1-line block ×3, first 2 shown]
	v_cmp_lt_u32_e32 vcc_lo, 59, v1
	s_or_b32 s5, vcc_lo, s5
	s_waitcnt vmcnt(1) lgkmcnt(0)
	v_mul_f32_e32 v10, v7, v8
	v_mul_f32_e32 v8, v6, v8
	s_waitcnt vmcnt(0)
	v_fma_f32 v6, v6, v9, -v10
	v_fmac_f32_e32 v8, v7, v9
	v_add_f32_e32 v5, v5, v6
	v_add_f32_e32 v2, v2, v8
	s_andn2_b32 exec_lo, exec_lo, s5
	s_cbranch_execnz .LBB125_257
; %bb.258:
	s_or_b32 exec_lo, exec_lo, s5
	v_mov_b32_e32 v1, 0
	ds_read_b64 v[3:4], v1 offset:488
	s_waitcnt lgkmcnt(0)
	v_mul_f32_e32 v1, v2, v4
	v_mul_f32_e32 v4, v5, v4
	v_fma_f32 v1, v5, v3, -v1
	v_fmac_f32_e32 v4, v2, v3
	buffer_store_dword v1, off, s[0:3], 0 offset:488
	buffer_store_dword v4, off, s[0:3], 0 offset:492
.LBB125_259:
	s_or_b32 exec_lo, exec_lo, s4
	s_mov_b32 s5, -1
	s_waitcnt_vscnt null, 0x0
	s_barrier
	buffer_gl0_inv
.LBB125_260:
	s_and_b32 vcc_lo, exec_lo, s5
	s_cbranch_vccz .LBB125_262
; %bb.261:
	s_lshl_b64 s[4:5], s[6:7], 2
	v_mov_b32_e32 v1, 0
	s_add_u32 s4, s10, s4
	s_addc_u32 s5, s11, s5
	global_load_dword v1, v1, s[4:5]
	s_waitcnt vmcnt(0)
	v_cmp_ne_u32_e32 vcc_lo, 0, v1
	s_cbranch_vccz .LBB125_263
.LBB125_262:
	s_endpgm
.LBB125_263:
	v_lshl_add_u32 v137, v0, 3, 0x1f0
	s_mov_b32 s4, exec_lo
	v_cmpx_eq_u32_e32 61, v0
	s_cbranch_execz .LBB125_265
; %bb.264:
	s_clause 0x1
	buffer_load_dword v1, off, s[0:3], 0 offset:480
	buffer_load_dword v2, off, s[0:3], 0 offset:484
	v_mov_b32_e32 v3, 0
	buffer_store_dword v3, off, s[0:3], 0 offset:480
	buffer_store_dword v3, off, s[0:3], 0 offset:484
	s_waitcnt vmcnt(0)
	ds_write_b64 v137, v[1:2]
.LBB125_265:
	s_or_b32 exec_lo, exec_lo, s4
	s_waitcnt lgkmcnt(0)
	s_waitcnt_vscnt null, 0x0
	s_barrier
	buffer_gl0_inv
	s_clause 0x3
	buffer_load_dword v4, off, s[0:3], 0 offset:492
	buffer_load_dword v5, off, s[0:3], 0 offset:488
	;; [unrolled: 1-line block ×4, first 2 shown]
	v_mov_b32_e32 v1, 0
	s_mov_b32 s4, exec_lo
	ds_read_b64 v[2:3], v1 offset:984
	s_waitcnt vmcnt(3) lgkmcnt(0)
	v_mul_f32_e32 v8, v3, v4
	v_mul_f32_e32 v4, v2, v4
	s_waitcnt vmcnt(2)
	v_fma_f32 v2, v2, v5, -v8
	v_fmac_f32_e32 v4, v3, v5
	v_add_f32_e32 v2, 0, v2
	v_add_f32_e32 v3, 0, v4
	s_waitcnt vmcnt(1)
	v_sub_f32_e32 v2, v6, v2
	s_waitcnt vmcnt(0)
	v_sub_f32_e32 v3, v7, v3
	buffer_store_dword v2, off, s[0:3], 0 offset:480
	buffer_store_dword v3, off, s[0:3], 0 offset:484
	v_cmpx_lt_u32_e32 59, v0
	s_cbranch_execz .LBB125_267
; %bb.266:
	s_clause 0x1
	buffer_load_dword v2, off, s[0:3], 0 offset:472
	buffer_load_dword v3, off, s[0:3], 0 offset:476
	buffer_store_dword v1, off, s[0:3], 0 offset:472
	buffer_store_dword v1, off, s[0:3], 0 offset:476
	s_waitcnt vmcnt(0)
	ds_write_b64 v137, v[2:3]
.LBB125_267:
	s_or_b32 exec_lo, exec_lo, s4
	s_waitcnt lgkmcnt(0)
	s_waitcnt_vscnt null, 0x0
	s_barrier
	buffer_gl0_inv
	s_clause 0x5
	buffer_load_dword v5, off, s[0:3], 0 offset:484
	buffer_load_dword v6, off, s[0:3], 0 offset:492
	;; [unrolled: 1-line block ×6, first 2 shown]
	ds_read_b128 v[1:4], v1 offset:976
	s_mov_b32 s4, exec_lo
	s_waitcnt vmcnt(5) lgkmcnt(0)
	v_mul_f32_e32 v11, v2, v5
	v_mul_f32_e32 v5, v1, v5
	s_waitcnt vmcnt(4)
	v_mul_f32_e32 v12, v3, v6
	v_mul_f32_e32 v6, v4, v6
	s_waitcnt vmcnt(3)
	v_fma_f32 v1, v1, v7, -v11
	v_fmac_f32_e32 v5, v2, v7
	s_waitcnt vmcnt(2)
	v_fmac_f32_e32 v12, v4, v8
	v_fma_f32 v2, v3, v8, -v6
	v_add_f32_e32 v1, 0, v1
	v_add_f32_e32 v3, 0, v5
	;; [unrolled: 1-line block ×4, first 2 shown]
	s_waitcnt vmcnt(1)
	v_sub_f32_e32 v1, v9, v1
	s_waitcnt vmcnt(0)
	v_sub_f32_e32 v2, v10, v2
	buffer_store_dword v1, off, s[0:3], 0 offset:472
	buffer_store_dword v2, off, s[0:3], 0 offset:476
	v_cmpx_lt_u32_e32 58, v0
	s_cbranch_execz .LBB125_269
; %bb.268:
	s_clause 0x1
	buffer_load_dword v1, off, s[0:3], 0 offset:464
	buffer_load_dword v2, off, s[0:3], 0 offset:468
	v_mov_b32_e32 v3, 0
	buffer_store_dword v3, off, s[0:3], 0 offset:464
	buffer_store_dword v3, off, s[0:3], 0 offset:468
	s_waitcnt vmcnt(0)
	ds_write_b64 v137, v[1:2]
.LBB125_269:
	s_or_b32 exec_lo, exec_lo, s4
	s_waitcnt lgkmcnt(0)
	s_waitcnt_vscnt null, 0x0
	s_barrier
	buffer_gl0_inv
	s_clause 0x7
	buffer_load_dword v8, off, s[0:3], 0 offset:476
	buffer_load_dword v9, off, s[0:3], 0 offset:484
	;; [unrolled: 1-line block ×8, first 2 shown]
	v_mov_b32_e32 v1, 0
	ds_read2_b64 v[2:5], v1 offset0:121 offset1:122
	ds_read_b64 v[6:7], v1 offset:984
	s_mov_b32 s4, exec_lo
	s_waitcnt vmcnt(7) lgkmcnt(1)
	v_mul_f32_e32 v141, v3, v8
	v_mul_f32_e32 v8, v2, v8
	s_waitcnt vmcnt(6)
	v_mul_f32_e32 v142, v4, v9
	v_mul_f32_e32 v9, v5, v9
	s_waitcnt vmcnt(5) lgkmcnt(0)
	v_mul_f32_e32 v143, v6, v10
	s_waitcnt vmcnt(4)
	v_fma_f32 v2, v2, v11, -v141
	v_fmac_f32_e32 v8, v3, v11
	v_mul_f32_e32 v3, v7, v10
	s_waitcnt vmcnt(3)
	v_fma_f32 v4, v4, v12, -v9
	v_fmac_f32_e32 v142, v5, v12
	v_add_f32_e32 v2, 0, v2
	v_add_f32_e32 v5, 0, v8
	s_waitcnt vmcnt(2)
	v_fma_f32 v3, v6, v138, -v3
	v_fmac_f32_e32 v143, v7, v138
	v_add_f32_e32 v2, v2, v4
	v_add_f32_e32 v4, v5, v142
	v_add_f32_e32 v2, v2, v3
	v_add_f32_e32 v3, v4, v143
	s_waitcnt vmcnt(1)
	v_sub_f32_e32 v2, v139, v2
	s_waitcnt vmcnt(0)
	v_sub_f32_e32 v3, v140, v3
	buffer_store_dword v2, off, s[0:3], 0 offset:464
	buffer_store_dword v3, off, s[0:3], 0 offset:468
	v_cmpx_lt_u32_e32 57, v0
	s_cbranch_execz .LBB125_271
; %bb.270:
	s_clause 0x1
	buffer_load_dword v2, off, s[0:3], 0 offset:456
	buffer_load_dword v3, off, s[0:3], 0 offset:460
	buffer_store_dword v1, off, s[0:3], 0 offset:456
	buffer_store_dword v1, off, s[0:3], 0 offset:460
	s_waitcnt vmcnt(0)
	ds_write_b64 v137, v[2:3]
.LBB125_271:
	s_or_b32 exec_lo, exec_lo, s4
	s_waitcnt lgkmcnt(0)
	s_waitcnt_vscnt null, 0x0
	s_barrier
	buffer_gl0_inv
	s_clause 0x9
	buffer_load_dword v10, off, s[0:3], 0 offset:468
	buffer_load_dword v11, off, s[0:3], 0 offset:476
	;; [unrolled: 1-line block ×10, first 2 shown]
	ds_read_b128 v[2:5], v1 offset:960
	ds_read_b128 v[6:9], v1 offset:976
	s_mov_b32 s4, exec_lo
	s_waitcnt vmcnt(9) lgkmcnt(1)
	v_mul_f32_e32 v1, v2, v10
	v_mul_f32_e32 v10, v3, v10
	s_waitcnt vmcnt(8)
	v_mul_f32_e32 v145, v4, v11
	v_mul_f32_e32 v11, v5, v11
	s_waitcnt vmcnt(7) lgkmcnt(0)
	v_mul_f32_e32 v146, v6, v12
	s_waitcnt vmcnt(5)
	v_fmac_f32_e32 v1, v3, v139
	v_fma_f32 v2, v2, v139, -v10
	v_mul_f32_e32 v3, v7, v12
	s_waitcnt vmcnt(4)
	v_fma_f32 v4, v4, v140, -v11
	v_fmac_f32_e32 v145, v5, v140
	v_add_f32_e32 v1, 0, v1
	v_add_f32_e32 v2, 0, v2
	v_mul_f32_e32 v5, v9, v138
	s_waitcnt vmcnt(3)
	v_fma_f32 v3, v6, v141, -v3
	v_mul_f32_e32 v147, v8, v138
	v_fmac_f32_e32 v146, v7, v141
	v_add_f32_e32 v2, v2, v4
	v_add_f32_e32 v1, v1, v145
	s_waitcnt vmcnt(2)
	v_fma_f32 v4, v8, v142, -v5
	v_fmac_f32_e32 v147, v9, v142
	v_add_f32_e32 v2, v2, v3
	v_add_f32_e32 v1, v1, v146
	;; [unrolled: 1-line block ×4, first 2 shown]
	s_waitcnt vmcnt(1)
	v_sub_f32_e32 v2, v143, v2
	s_waitcnt vmcnt(0)
	v_sub_f32_e32 v1, v144, v1
	buffer_store_dword v2, off, s[0:3], 0 offset:456
	buffer_store_dword v1, off, s[0:3], 0 offset:460
	v_cmpx_lt_u32_e32 56, v0
	s_cbranch_execz .LBB125_273
; %bb.272:
	s_clause 0x1
	buffer_load_dword v1, off, s[0:3], 0 offset:448
	buffer_load_dword v2, off, s[0:3], 0 offset:452
	v_mov_b32_e32 v3, 0
	buffer_store_dword v3, off, s[0:3], 0 offset:448
	buffer_store_dword v3, off, s[0:3], 0 offset:452
	s_waitcnt vmcnt(0)
	ds_write_b64 v137, v[1:2]
.LBB125_273:
	s_or_b32 exec_lo, exec_lo, s4
	s_waitcnt lgkmcnt(0)
	s_waitcnt_vscnt null, 0x0
	s_barrier
	buffer_gl0_inv
	s_clause 0xb
	buffer_load_dword v12, off, s[0:3], 0 offset:460
	buffer_load_dword v138, off, s[0:3], 0 offset:468
	;; [unrolled: 1-line block ×12, first 2 shown]
	v_mov_b32_e32 v1, 0
	ds_read2_b64 v[2:5], v1 offset0:119 offset1:120
	ds_read2_b64 v[6:9], v1 offset0:121 offset1:122
	ds_read_b64 v[10:11], v1 offset:984
	s_mov_b32 s4, exec_lo
	s_waitcnt vmcnt(11) lgkmcnt(2)
	v_mul_f32_e32 v149, v2, v12
	v_mul_f32_e32 v12, v3, v12
	s_waitcnt vmcnt(10)
	v_mul_f32_e32 v150, v4, v138
	v_mul_f32_e32 v138, v5, v138
	s_waitcnt vmcnt(9) lgkmcnt(1)
	v_mul_f32_e32 v151, v6, v139
	s_waitcnt vmcnt(6)
	v_fmac_f32_e32 v149, v3, v142
	v_fma_f32 v2, v2, v142, -v12
	v_mul_f32_e32 v3, v7, v139
	s_waitcnt vmcnt(5)
	v_fma_f32 v4, v4, v143, -v138
	v_fmac_f32_e32 v150, v5, v143
	v_add_f32_e32 v5, 0, v149
	v_add_f32_e32 v2, 0, v2
	v_mul_f32_e32 v12, v9, v140
	s_waitcnt vmcnt(4)
	v_fma_f32 v3, v6, v144, -v3
	v_mul_f32_e32 v152, v8, v140
	v_fmac_f32_e32 v151, v7, v144
	v_add_f32_e32 v2, v2, v4
	v_add_f32_e32 v4, v5, v150
	s_waitcnt lgkmcnt(0)
	v_mul_f32_e32 v5, v11, v141
	s_waitcnt vmcnt(3)
	v_fma_f32 v6, v8, v145, -v12
	v_mul_f32_e32 v153, v10, v141
	v_add_f32_e32 v2, v2, v3
	v_fmac_f32_e32 v152, v9, v145
	v_add_f32_e32 v3, v4, v151
	s_waitcnt vmcnt(2)
	v_fma_f32 v4, v10, v146, -v5
	v_fmac_f32_e32 v153, v11, v146
	v_add_f32_e32 v2, v2, v6
	v_add_f32_e32 v3, v3, v152
	;; [unrolled: 1-line block ×4, first 2 shown]
	s_waitcnt vmcnt(1)
	v_sub_f32_e32 v2, v147, v2
	s_waitcnt vmcnt(0)
	v_sub_f32_e32 v3, v148, v3
	buffer_store_dword v2, off, s[0:3], 0 offset:448
	buffer_store_dword v3, off, s[0:3], 0 offset:452
	v_cmpx_lt_u32_e32 55, v0
	s_cbranch_execz .LBB125_275
; %bb.274:
	s_clause 0x1
	buffer_load_dword v2, off, s[0:3], 0 offset:440
	buffer_load_dword v3, off, s[0:3], 0 offset:444
	buffer_store_dword v1, off, s[0:3], 0 offset:440
	buffer_store_dword v1, off, s[0:3], 0 offset:444
	s_waitcnt vmcnt(0)
	ds_write_b64 v137, v[2:3]
.LBB125_275:
	s_or_b32 exec_lo, exec_lo, s4
	s_waitcnt lgkmcnt(0)
	s_waitcnt_vscnt null, 0x0
	s_barrier
	buffer_gl0_inv
	s_clause 0xd
	buffer_load_dword v10, off, s[0:3], 0 offset:452
	buffer_load_dword v11, off, s[0:3], 0 offset:460
	;; [unrolled: 1-line block ×14, first 2 shown]
	ds_read_b128 v[2:5], v1 offset:944
	ds_read_b128 v[6:9], v1 offset:960
	;; [unrolled: 1-line block ×3, first 2 shown]
	s_mov_b32 s4, exec_lo
	s_waitcnt vmcnt(13) lgkmcnt(2)
	v_mul_f32_e32 v1, v2, v10
	v_mul_f32_e32 v10, v3, v10
	s_waitcnt vmcnt(12)
	v_mul_f32_e32 v153, v4, v11
	v_mul_f32_e32 v11, v5, v11
	s_waitcnt vmcnt(11) lgkmcnt(1)
	v_mul_f32_e32 v154, v6, v12
	s_waitcnt vmcnt(10)
	v_mul_f32_e32 v155, v8, v142
	s_waitcnt vmcnt(7)
	v_fma_f32 v2, v2, v145, -v10
	v_fmac_f32_e32 v1, v3, v145
	v_mul_f32_e32 v3, v7, v12
	s_waitcnt vmcnt(6)
	v_fma_f32 v4, v4, v146, -v11
	v_fmac_f32_e32 v153, v5, v146
	v_add_f32_e32 v2, 0, v2
	v_add_f32_e32 v1, 0, v1
	v_mul_f32_e32 v5, v9, v142
	s_waitcnt vmcnt(5)
	v_fma_f32 v3, v6, v147, -v3
	v_fmac_f32_e32 v154, v7, v147
	v_add_f32_e32 v2, v2, v4
	v_add_f32_e32 v1, v1, v153
	s_waitcnt lgkmcnt(0)
	v_mul_f32_e32 v4, v139, v143
	s_waitcnt vmcnt(4)
	v_fma_f32 v5, v8, v148, -v5
	v_mul_f32_e32 v156, v138, v143
	v_add_f32_e32 v2, v2, v3
	v_fmac_f32_e32 v155, v9, v148
	v_add_f32_e32 v1, v1, v154
	v_mul_f32_e32 v3, v141, v144
	s_waitcnt vmcnt(3)
	v_fma_f32 v4, v138, v149, -v4
	v_add_f32_e32 v2, v2, v5
	v_mul_f32_e32 v157, v140, v144
	v_fmac_f32_e32 v156, v139, v149
	v_add_f32_e32 v1, v1, v155
	s_waitcnt vmcnt(2)
	v_fma_f32 v3, v140, v150, -v3
	v_add_f32_e32 v2, v2, v4
	v_fmac_f32_e32 v157, v141, v150
	v_add_f32_e32 v1, v1, v156
	v_add_f32_e32 v2, v2, v3
	;; [unrolled: 1-line block ×3, first 2 shown]
	s_waitcnt vmcnt(1)
	v_sub_f32_e32 v2, v151, v2
	s_waitcnt vmcnt(0)
	v_sub_f32_e32 v1, v152, v1
	buffer_store_dword v2, off, s[0:3], 0 offset:440
	buffer_store_dword v1, off, s[0:3], 0 offset:444
	v_cmpx_lt_u32_e32 54, v0
	s_cbranch_execz .LBB125_277
; %bb.276:
	s_clause 0x1
	buffer_load_dword v1, off, s[0:3], 0 offset:432
	buffer_load_dword v2, off, s[0:3], 0 offset:436
	v_mov_b32_e32 v3, 0
	buffer_store_dword v3, off, s[0:3], 0 offset:432
	buffer_store_dword v3, off, s[0:3], 0 offset:436
	s_waitcnt vmcnt(0)
	ds_write_b64 v137, v[1:2]
.LBB125_277:
	s_or_b32 exec_lo, exec_lo, s4
	s_waitcnt lgkmcnt(0)
	s_waitcnt_vscnt null, 0x0
	s_barrier
	buffer_gl0_inv
	s_clause 0xf
	buffer_load_dword v12, off, s[0:3], 0 offset:444
	buffer_load_dword v142, off, s[0:3], 0 offset:452
	buffer_load_dword v143, off, s[0:3], 0 offset:460
	buffer_load_dword v144, off, s[0:3], 0 offset:468
	buffer_load_dword v145, off, s[0:3], 0 offset:476
	buffer_load_dword v146, off, s[0:3], 0 offset:484
	buffer_load_dword v147, off, s[0:3], 0 offset:492
	buffer_load_dword v148, off, s[0:3], 0 offset:440
	buffer_load_dword v149, off, s[0:3], 0 offset:448
	buffer_load_dword v150, off, s[0:3], 0 offset:456
	buffer_load_dword v151, off, s[0:3], 0 offset:464
	buffer_load_dword v152, off, s[0:3], 0 offset:472
	buffer_load_dword v153, off, s[0:3], 0 offset:480
	buffer_load_dword v154, off, s[0:3], 0 offset:488
	buffer_load_dword v155, off, s[0:3], 0 offset:432
	buffer_load_dword v156, off, s[0:3], 0 offset:436
	v_mov_b32_e32 v1, 0
	ds_read2_b64 v[2:5], v1 offset0:117 offset1:118
	ds_read2_b64 v[6:9], v1 offset0:119 offset1:120
	;; [unrolled: 1-line block ×3, first 2 shown]
	ds_read_b64 v[10:11], v1 offset:984
	s_mov_b32 s4, exec_lo
	s_waitcnt vmcnt(15) lgkmcnt(3)
	v_mul_f32_e32 v157, v2, v12
	v_mul_f32_e32 v12, v3, v12
	s_waitcnt vmcnt(14)
	v_mul_f32_e32 v158, v4, v142
	v_mul_f32_e32 v142, v5, v142
	s_waitcnt vmcnt(13) lgkmcnt(2)
	v_mul_f32_e32 v159, v6, v143
	s_waitcnt vmcnt(12)
	v_mul_f32_e32 v160, v8, v144
	s_waitcnt vmcnt(11) lgkmcnt(1)
	v_mul_f32_e32 v161, v138, v145
	s_waitcnt vmcnt(8)
	v_fma_f32 v2, v2, v148, -v12
	v_fmac_f32_e32 v157, v3, v148
	v_mul_f32_e32 v3, v7, v143
	s_waitcnt vmcnt(7)
	v_fma_f32 v4, v4, v149, -v142
	v_fmac_f32_e32 v158, v5, v149
	v_add_f32_e32 v2, 0, v2
	v_add_f32_e32 v5, 0, v157
	v_mul_f32_e32 v12, v9, v144
	s_waitcnt vmcnt(6)
	v_fma_f32 v3, v6, v150, -v3
	v_fmac_f32_e32 v159, v7, v150
	v_add_f32_e32 v2, v2, v4
	v_add_f32_e32 v4, v5, v158
	v_mul_f32_e32 v5, v139, v145
	s_waitcnt vmcnt(5)
	v_fma_f32 v6, v8, v151, -v12
	v_fmac_f32_e32 v160, v9, v151
	v_add_f32_e32 v2, v2, v3
	v_add_f32_e32 v3, v4, v159
	v_mul_f32_e32 v4, v141, v146
	s_waitcnt vmcnt(4)
	v_fma_f32 v5, v138, v152, -v5
	v_mul_f32_e32 v162, v140, v146
	v_add_f32_e32 v2, v2, v6
	v_fmac_f32_e32 v161, v139, v152
	v_add_f32_e32 v3, v3, v160
	s_waitcnt lgkmcnt(0)
	v_mul_f32_e32 v6, v11, v147
	s_waitcnt vmcnt(3)
	v_fma_f32 v4, v140, v153, -v4
	v_add_f32_e32 v2, v2, v5
	v_mul_f32_e32 v163, v10, v147
	v_fmac_f32_e32 v162, v141, v153
	v_add_f32_e32 v3, v3, v161
	s_waitcnt vmcnt(2)
	v_fma_f32 v5, v10, v154, -v6
	v_add_f32_e32 v2, v2, v4
	v_fmac_f32_e32 v163, v11, v154
	v_add_f32_e32 v3, v3, v162
	v_add_f32_e32 v2, v2, v5
	;; [unrolled: 1-line block ×3, first 2 shown]
	s_waitcnt vmcnt(1)
	v_sub_f32_e32 v2, v155, v2
	s_waitcnt vmcnt(0)
	v_sub_f32_e32 v3, v156, v3
	buffer_store_dword v2, off, s[0:3], 0 offset:432
	buffer_store_dword v3, off, s[0:3], 0 offset:436
	v_cmpx_lt_u32_e32 53, v0
	s_cbranch_execz .LBB125_279
; %bb.278:
	s_clause 0x1
	buffer_load_dword v2, off, s[0:3], 0 offset:424
	buffer_load_dword v3, off, s[0:3], 0 offset:428
	buffer_store_dword v1, off, s[0:3], 0 offset:424
	buffer_store_dword v1, off, s[0:3], 0 offset:428
	s_waitcnt vmcnt(0)
	ds_write_b64 v137, v[2:3]
.LBB125_279:
	s_or_b32 exec_lo, exec_lo, s4
	s_waitcnt lgkmcnt(0)
	s_waitcnt_vscnt null, 0x0
	s_barrier
	buffer_gl0_inv
	s_clause 0x11
	buffer_load_dword v10, off, s[0:3], 0 offset:436
	buffer_load_dword v11, off, s[0:3], 0 offset:444
	;; [unrolled: 1-line block ×18, first 2 shown]
	ds_read_b128 v[2:5], v1 offset:928
	ds_read_b128 v[6:9], v1 offset:944
	;; [unrolled: 1-line block ×4, first 2 shown]
	s_mov_b32 s4, exec_lo
	s_waitcnt vmcnt(17) lgkmcnt(3)
	v_mul_f32_e32 v1, v2, v10
	v_mul_f32_e32 v10, v3, v10
	s_waitcnt vmcnt(16)
	v_mul_f32_e32 v161, v4, v11
	v_mul_f32_e32 v11, v5, v11
	s_waitcnt vmcnt(15) lgkmcnt(2)
	v_mul_f32_e32 v162, v6, v12
	s_waitcnt vmcnt(14)
	v_mul_f32_e32 v163, v8, v146
	s_waitcnt vmcnt(13) lgkmcnt(1)
	v_mul_f32_e32 v164, v138, v147
	s_waitcnt vmcnt(12)
	v_mul_f32_e32 v165, v140, v148
	s_waitcnt vmcnt(9)
	v_fma_f32 v2, v2, v151, -v10
	v_fmac_f32_e32 v1, v3, v151
	v_mul_f32_e32 v3, v7, v12
	s_waitcnt vmcnt(8)
	v_fma_f32 v4, v4, v152, -v11
	v_fmac_f32_e32 v161, v5, v152
	v_add_f32_e32 v2, 0, v2
	v_add_f32_e32 v1, 0, v1
	v_mul_f32_e32 v5, v9, v146
	s_waitcnt vmcnt(7)
	v_fma_f32 v3, v6, v153, -v3
	v_fmac_f32_e32 v162, v7, v153
	v_add_f32_e32 v2, v2, v4
	v_add_f32_e32 v1, v1, v161
	;; [unrolled: 6-line block ×4, first 2 shown]
	s_waitcnt lgkmcnt(0)
	v_mul_f32_e32 v5, v143, v149
	s_waitcnt vmcnt(4)
	v_fma_f32 v3, v140, v156, -v3
	v_mul_f32_e32 v166, v142, v149
	v_add_f32_e32 v2, v2, v4
	v_fmac_f32_e32 v165, v141, v156
	v_add_f32_e32 v1, v1, v164
	v_mul_f32_e32 v4, v145, v150
	s_waitcnt vmcnt(3)
	v_fma_f32 v5, v142, v157, -v5
	v_add_f32_e32 v2, v2, v3
	v_mul_f32_e32 v167, v144, v150
	v_fmac_f32_e32 v166, v143, v157
	v_add_f32_e32 v1, v1, v165
	s_waitcnt vmcnt(2)
	v_fma_f32 v3, v144, v158, -v4
	v_add_f32_e32 v2, v2, v5
	v_fmac_f32_e32 v167, v145, v158
	v_add_f32_e32 v1, v1, v166
	v_add_f32_e32 v2, v2, v3
	;; [unrolled: 1-line block ×3, first 2 shown]
	s_waitcnt vmcnt(1)
	v_sub_f32_e32 v2, v159, v2
	s_waitcnt vmcnt(0)
	v_sub_f32_e32 v1, v160, v1
	buffer_store_dword v2, off, s[0:3], 0 offset:424
	buffer_store_dword v1, off, s[0:3], 0 offset:428
	v_cmpx_lt_u32_e32 52, v0
	s_cbranch_execz .LBB125_281
; %bb.280:
	s_clause 0x1
	buffer_load_dword v1, off, s[0:3], 0 offset:416
	buffer_load_dword v2, off, s[0:3], 0 offset:420
	v_mov_b32_e32 v3, 0
	buffer_store_dword v3, off, s[0:3], 0 offset:416
	buffer_store_dword v3, off, s[0:3], 0 offset:420
	s_waitcnt vmcnt(0)
	ds_write_b64 v137, v[1:2]
.LBB125_281:
	s_or_b32 exec_lo, exec_lo, s4
	s_waitcnt lgkmcnt(0)
	s_waitcnt_vscnt null, 0x0
	s_barrier
	buffer_gl0_inv
	s_clause 0x13
	buffer_load_dword v12, off, s[0:3], 0 offset:428
	buffer_load_dword v146, off, s[0:3], 0 offset:436
	buffer_load_dword v147, off, s[0:3], 0 offset:444
	buffer_load_dword v148, off, s[0:3], 0 offset:452
	buffer_load_dword v149, off, s[0:3], 0 offset:460
	buffer_load_dword v150, off, s[0:3], 0 offset:468
	buffer_load_dword v151, off, s[0:3], 0 offset:476
	buffer_load_dword v152, off, s[0:3], 0 offset:484
	buffer_load_dword v153, off, s[0:3], 0 offset:492
	buffer_load_dword v154, off, s[0:3], 0 offset:424
	buffer_load_dword v155, off, s[0:3], 0 offset:432
	buffer_load_dword v156, off, s[0:3], 0 offset:440
	buffer_load_dword v157, off, s[0:3], 0 offset:448
	buffer_load_dword v158, off, s[0:3], 0 offset:456
	buffer_load_dword v159, off, s[0:3], 0 offset:464
	buffer_load_dword v160, off, s[0:3], 0 offset:472
	buffer_load_dword v161, off, s[0:3], 0 offset:480
	buffer_load_dword v162, off, s[0:3], 0 offset:488
	buffer_load_dword v163, off, s[0:3], 0 offset:416
	buffer_load_dword v164, off, s[0:3], 0 offset:420
	v_mov_b32_e32 v1, 0
	ds_read2_b64 v[2:5], v1 offset0:115 offset1:116
	ds_read2_b64 v[6:9], v1 offset0:117 offset1:118
	;; [unrolled: 1-line block ×4, first 2 shown]
	ds_read_b64 v[10:11], v1 offset:984
	s_mov_b32 s4, exec_lo
	s_waitcnt vmcnt(19) lgkmcnt(4)
	v_mul_f32_e32 v165, v2, v12
	v_mul_f32_e32 v12, v3, v12
	s_waitcnt vmcnt(18)
	v_mul_f32_e32 v166, v4, v146
	v_mul_f32_e32 v146, v5, v146
	s_waitcnt vmcnt(17) lgkmcnt(3)
	v_mul_f32_e32 v167, v6, v147
	s_waitcnt vmcnt(16)
	v_mul_f32_e32 v168, v8, v148
	s_waitcnt vmcnt(15) lgkmcnt(2)
	v_mul_f32_e32 v169, v138, v149
	s_waitcnt vmcnt(14)
	;; [unrolled: 4-line block ×3, first 2 shown]
	v_fma_f32 v2, v2, v154, -v12
	v_fmac_f32_e32 v165, v3, v154
	v_mul_f32_e32 v3, v7, v147
	s_waitcnt vmcnt(9)
	v_fma_f32 v4, v4, v155, -v146
	v_fmac_f32_e32 v166, v5, v155
	v_add_f32_e32 v2, 0, v2
	v_add_f32_e32 v5, 0, v165
	v_mul_f32_e32 v12, v9, v148
	s_waitcnt vmcnt(8)
	v_fma_f32 v3, v6, v156, -v3
	v_fmac_f32_e32 v167, v7, v156
	v_add_f32_e32 v2, v2, v4
	v_add_f32_e32 v4, v5, v166
	;; [unrolled: 6-line block ×5, first 2 shown]
	v_mul_f32_e32 v5, v145, v152
	s_waitcnt vmcnt(4)
	v_fma_f32 v6, v142, v160, -v6
	v_mul_f32_e32 v172, v144, v152
	v_add_f32_e32 v2, v2, v4
	v_fmac_f32_e32 v171, v143, v160
	v_add_f32_e32 v3, v3, v170
	s_waitcnt lgkmcnt(0)
	v_mul_f32_e32 v4, v11, v153
	s_waitcnt vmcnt(3)
	v_fma_f32 v5, v144, v161, -v5
	v_add_f32_e32 v2, v2, v6
	v_mul_f32_e32 v173, v10, v153
	v_fmac_f32_e32 v172, v145, v161
	v_add_f32_e32 v3, v3, v171
	s_waitcnt vmcnt(2)
	v_fma_f32 v4, v10, v162, -v4
	v_add_f32_e32 v2, v2, v5
	v_fmac_f32_e32 v173, v11, v162
	v_add_f32_e32 v3, v3, v172
	v_add_f32_e32 v2, v2, v4
	v_add_f32_e32 v3, v3, v173
	s_waitcnt vmcnt(1)
	v_sub_f32_e32 v2, v163, v2
	s_waitcnt vmcnt(0)
	v_sub_f32_e32 v3, v164, v3
	buffer_store_dword v2, off, s[0:3], 0 offset:416
	buffer_store_dword v3, off, s[0:3], 0 offset:420
	v_cmpx_lt_u32_e32 51, v0
	s_cbranch_execz .LBB125_283
; %bb.282:
	s_clause 0x1
	buffer_load_dword v2, off, s[0:3], 0 offset:408
	buffer_load_dword v3, off, s[0:3], 0 offset:412
	buffer_store_dword v1, off, s[0:3], 0 offset:408
	buffer_store_dword v1, off, s[0:3], 0 offset:412
	s_waitcnt vmcnt(0)
	ds_write_b64 v137, v[2:3]
.LBB125_283:
	s_or_b32 exec_lo, exec_lo, s4
	s_waitcnt lgkmcnt(0)
	s_waitcnt_vscnt null, 0x0
	s_barrier
	buffer_gl0_inv
	s_clause 0x15
	buffer_load_dword v10, off, s[0:3], 0 offset:420
	buffer_load_dword v11, off, s[0:3], 0 offset:428
	buffer_load_dword v12, off, s[0:3], 0 offset:436
	buffer_load_dword v150, off, s[0:3], 0 offset:444
	buffer_load_dword v151, off, s[0:3], 0 offset:452
	buffer_load_dword v152, off, s[0:3], 0 offset:460
	buffer_load_dword v153, off, s[0:3], 0 offset:468
	buffer_load_dword v154, off, s[0:3], 0 offset:476
	buffer_load_dword v155, off, s[0:3], 0 offset:484
	buffer_load_dword v156, off, s[0:3], 0 offset:492
	buffer_load_dword v157, off, s[0:3], 0 offset:416
	buffer_load_dword v158, off, s[0:3], 0 offset:424
	buffer_load_dword v159, off, s[0:3], 0 offset:432
	buffer_load_dword v160, off, s[0:3], 0 offset:440
	buffer_load_dword v161, off, s[0:3], 0 offset:448
	buffer_load_dword v162, off, s[0:3], 0 offset:456
	buffer_load_dword v163, off, s[0:3], 0 offset:464
	buffer_load_dword v164, off, s[0:3], 0 offset:472
	buffer_load_dword v165, off, s[0:3], 0 offset:480
	buffer_load_dword v166, off, s[0:3], 0 offset:488
	buffer_load_dword v167, off, s[0:3], 0 offset:408
	buffer_load_dword v168, off, s[0:3], 0 offset:412
	ds_read_b128 v[2:5], v1 offset:912
	ds_read_b128 v[6:9], v1 offset:928
	;; [unrolled: 1-line block ×5, first 2 shown]
	s_mov_b32 s4, exec_lo
	s_waitcnt vmcnt(21) lgkmcnt(4)
	v_mul_f32_e32 v1, v2, v10
	v_mul_f32_e32 v10, v3, v10
	s_waitcnt vmcnt(20)
	v_mul_f32_e32 v169, v4, v11
	v_mul_f32_e32 v11, v5, v11
	s_waitcnt vmcnt(19) lgkmcnt(3)
	v_mul_f32_e32 v170, v6, v12
	s_waitcnt vmcnt(18)
	v_mul_f32_e32 v171, v8, v150
	s_waitcnt vmcnt(17) lgkmcnt(2)
	v_mul_f32_e32 v172, v138, v151
	s_waitcnt vmcnt(16)
	;; [unrolled: 4-line block ×3, first 2 shown]
	v_mul_f32_e32 v175, v144, v154
	s_waitcnt vmcnt(11)
	v_fma_f32 v2, v2, v157, -v10
	v_fmac_f32_e32 v1, v3, v157
	v_mul_f32_e32 v3, v7, v12
	s_waitcnt vmcnt(10)
	v_fma_f32 v4, v4, v158, -v11
	v_fmac_f32_e32 v169, v5, v158
	v_add_f32_e32 v2, 0, v2
	v_add_f32_e32 v1, 0, v1
	v_mul_f32_e32 v5, v9, v150
	s_waitcnt vmcnt(9)
	v_fma_f32 v3, v6, v159, -v3
	v_fmac_f32_e32 v170, v7, v159
	v_add_f32_e32 v2, v2, v4
	v_add_f32_e32 v1, v1, v169
	;; [unrolled: 6-line block ×6, first 2 shown]
	s_waitcnt lgkmcnt(0)
	v_mul_f32_e32 v3, v147, v155
	s_waitcnt vmcnt(4)
	v_fma_f32 v4, v144, v164, -v4
	v_mul_f32_e32 v176, v146, v155
	v_add_f32_e32 v2, v2, v5
	v_fmac_f32_e32 v175, v145, v164
	v_add_f32_e32 v1, v1, v174
	v_mul_f32_e32 v5, v149, v156
	s_waitcnt vmcnt(3)
	v_fma_f32 v3, v146, v165, -v3
	v_add_f32_e32 v2, v2, v4
	v_mul_f32_e32 v177, v148, v156
	v_fmac_f32_e32 v176, v147, v165
	v_add_f32_e32 v1, v1, v175
	s_waitcnt vmcnt(2)
	v_fma_f32 v4, v148, v166, -v5
	v_add_f32_e32 v2, v2, v3
	v_fmac_f32_e32 v177, v149, v166
	v_add_f32_e32 v1, v1, v176
	v_add_f32_e32 v2, v2, v4
	;; [unrolled: 1-line block ×3, first 2 shown]
	s_waitcnt vmcnt(1)
	v_sub_f32_e32 v2, v167, v2
	s_waitcnt vmcnt(0)
	v_sub_f32_e32 v1, v168, v1
	buffer_store_dword v2, off, s[0:3], 0 offset:408
	buffer_store_dword v1, off, s[0:3], 0 offset:412
	v_cmpx_lt_u32_e32 50, v0
	s_cbranch_execz .LBB125_285
; %bb.284:
	s_clause 0x1
	buffer_load_dword v1, off, s[0:3], 0 offset:400
	buffer_load_dword v2, off, s[0:3], 0 offset:404
	v_mov_b32_e32 v3, 0
	buffer_store_dword v3, off, s[0:3], 0 offset:400
	buffer_store_dword v3, off, s[0:3], 0 offset:404
	s_waitcnt vmcnt(0)
	ds_write_b64 v137, v[1:2]
.LBB125_285:
	s_or_b32 exec_lo, exec_lo, s4
	s_waitcnt lgkmcnt(0)
	s_waitcnt_vscnt null, 0x0
	s_barrier
	buffer_gl0_inv
	s_clause 0x17
	buffer_load_dword v12, off, s[0:3], 0 offset:412
	buffer_load_dword v150, off, s[0:3], 0 offset:420
	;; [unrolled: 1-line block ×24, first 2 shown]
	v_mov_b32_e32 v1, 0
	ds_read2_b64 v[2:5], v1 offset0:113 offset1:114
	ds_read2_b64 v[6:9], v1 offset0:115 offset1:116
	;; [unrolled: 1-line block ×5, first 2 shown]
	ds_read_b64 v[10:11], v1 offset:984
	s_mov_b32 s4, exec_lo
	s_waitcnt vmcnt(23) lgkmcnt(5)
	v_mul_f32_e32 v173, v2, v12
	v_mul_f32_e32 v12, v3, v12
	s_waitcnt vmcnt(22)
	v_mul_f32_e32 v174, v4, v150
	v_mul_f32_e32 v150, v5, v150
	s_waitcnt vmcnt(21) lgkmcnt(4)
	v_mul_f32_e32 v175, v6, v151
	s_waitcnt vmcnt(20)
	v_mul_f32_e32 v176, v8, v152
	s_waitcnt vmcnt(19) lgkmcnt(3)
	v_mul_f32_e32 v177, v138, v153
	s_waitcnt vmcnt(18)
	;; [unrolled: 4-line block ×4, first 2 shown]
	v_fma_f32 v2, v2, v160, -v12
	v_fmac_f32_e32 v173, v3, v160
	v_mul_f32_e32 v3, v7, v151
	s_waitcnt vmcnt(11)
	v_fma_f32 v4, v4, v161, -v150
	v_fmac_f32_e32 v174, v5, v161
	v_add_f32_e32 v2, 0, v2
	v_add_f32_e32 v5, 0, v173
	v_mul_f32_e32 v12, v9, v152
	s_waitcnt vmcnt(10)
	v_fma_f32 v3, v6, v162, -v3
	v_fmac_f32_e32 v175, v7, v162
	v_add_f32_e32 v2, v2, v4
	v_add_f32_e32 v4, v5, v174
	;; [unrolled: 6-line block ×7, first 2 shown]
	v_mul_f32_e32 v6, v149, v158
	s_waitcnt vmcnt(4)
	v_fma_f32 v4, v146, v168, -v4
	v_mul_f32_e32 v182, v148, v158
	v_add_f32_e32 v2, v2, v5
	v_fmac_f32_e32 v181, v147, v168
	v_add_f32_e32 v3, v3, v180
	s_waitcnt lgkmcnt(0)
	v_mul_f32_e32 v5, v11, v159
	s_waitcnt vmcnt(3)
	v_fma_f32 v6, v148, v169, -v6
	v_add_f32_e32 v2, v2, v4
	v_mul_f32_e32 v183, v10, v159
	v_fmac_f32_e32 v182, v149, v169
	v_add_f32_e32 v3, v3, v181
	s_waitcnt vmcnt(2)
	v_fma_f32 v4, v10, v170, -v5
	v_add_f32_e32 v2, v2, v6
	v_fmac_f32_e32 v183, v11, v170
	v_add_f32_e32 v3, v3, v182
	v_add_f32_e32 v2, v2, v4
	;; [unrolled: 1-line block ×3, first 2 shown]
	s_waitcnt vmcnt(1)
	v_sub_f32_e32 v2, v171, v2
	s_waitcnt vmcnt(0)
	v_sub_f32_e32 v3, v172, v3
	buffer_store_dword v2, off, s[0:3], 0 offset:400
	buffer_store_dword v3, off, s[0:3], 0 offset:404
	v_cmpx_lt_u32_e32 49, v0
	s_cbranch_execz .LBB125_287
; %bb.286:
	s_clause 0x1
	buffer_load_dword v2, off, s[0:3], 0 offset:392
	buffer_load_dword v3, off, s[0:3], 0 offset:396
	buffer_store_dword v1, off, s[0:3], 0 offset:392
	buffer_store_dword v1, off, s[0:3], 0 offset:396
	s_waitcnt vmcnt(0)
	ds_write_b64 v137, v[2:3]
.LBB125_287:
	s_or_b32 exec_lo, exec_lo, s4
	s_waitcnt lgkmcnt(0)
	s_waitcnt_vscnt null, 0x0
	s_barrier
	buffer_gl0_inv
	s_clause 0x19
	buffer_load_dword v10, off, s[0:3], 0 offset:404
	buffer_load_dword v11, off, s[0:3], 0 offset:412
	;; [unrolled: 1-line block ×26, first 2 shown]
	ds_read_b128 v[2:5], v1 offset:896
	ds_read_b128 v[6:9], v1 offset:912
	;; [unrolled: 1-line block ×6, first 2 shown]
	s_mov_b32 s4, exec_lo
	s_waitcnt vmcnt(25) lgkmcnt(5)
	v_mul_f32_e32 v1, v2, v10
	v_mul_f32_e32 v10, v3, v10
	s_waitcnt vmcnt(24)
	v_mul_f32_e32 v177, v4, v11
	v_mul_f32_e32 v11, v5, v11
	s_waitcnt vmcnt(23) lgkmcnt(4)
	v_mul_f32_e32 v178, v6, v12
	s_waitcnt vmcnt(22)
	v_mul_f32_e32 v179, v8, v154
	s_waitcnt vmcnt(21) lgkmcnt(3)
	v_mul_f32_e32 v180, v138, v155
	s_waitcnt vmcnt(20)
	v_mul_f32_e32 v181, v140, v156
	s_waitcnt vmcnt(19) lgkmcnt(2)
	v_mul_f32_e32 v182, v142, v157
	s_waitcnt vmcnt(18)
	v_mul_f32_e32 v183, v144, v158
	s_waitcnt vmcnt(17) lgkmcnt(1)
	v_mul_f32_e32 v184, v146, v159
	s_waitcnt vmcnt(16)
	v_mul_f32_e32 v185, v148, v160
	s_waitcnt vmcnt(13)
	v_fma_f32 v2, v2, v163, -v10
	v_fmac_f32_e32 v1, v3, v163
	v_mul_f32_e32 v3, v7, v12
	s_waitcnt vmcnt(12)
	v_fma_f32 v4, v4, v164, -v11
	v_fmac_f32_e32 v177, v5, v164
	v_add_f32_e32 v2, 0, v2
	v_add_f32_e32 v1, 0, v1
	v_mul_f32_e32 v5, v9, v154
	s_waitcnt vmcnt(11)
	v_fma_f32 v3, v6, v165, -v3
	v_fmac_f32_e32 v178, v7, v165
	v_add_f32_e32 v2, v2, v4
	v_add_f32_e32 v1, v1, v177
	;; [unrolled: 6-line block ×8, first 2 shown]
	s_waitcnt lgkmcnt(0)
	v_mul_f32_e32 v4, v151, v161
	s_waitcnt vmcnt(4)
	v_fma_f32 v5, v148, v172, -v5
	v_mul_f32_e32 v186, v150, v161
	v_add_f32_e32 v2, v2, v3
	v_fmac_f32_e32 v185, v149, v172
	v_add_f32_e32 v1, v1, v184
	v_mul_f32_e32 v3, v153, v162
	s_waitcnt vmcnt(3)
	v_fma_f32 v4, v150, v173, -v4
	v_add_f32_e32 v2, v2, v5
	v_mul_f32_e32 v187, v152, v162
	v_fmac_f32_e32 v186, v151, v173
	v_add_f32_e32 v1, v1, v185
	s_waitcnt vmcnt(2)
	v_fma_f32 v3, v152, v174, -v3
	v_add_f32_e32 v2, v2, v4
	v_fmac_f32_e32 v187, v153, v174
	v_add_f32_e32 v1, v1, v186
	v_add_f32_e32 v2, v2, v3
	;; [unrolled: 1-line block ×3, first 2 shown]
	s_waitcnt vmcnt(1)
	v_sub_f32_e32 v2, v175, v2
	s_waitcnt vmcnt(0)
	v_sub_f32_e32 v1, v176, v1
	buffer_store_dword v2, off, s[0:3], 0 offset:392
	buffer_store_dword v1, off, s[0:3], 0 offset:396
	v_cmpx_lt_u32_e32 48, v0
	s_cbranch_execz .LBB125_289
; %bb.288:
	s_clause 0x1
	buffer_load_dword v1, off, s[0:3], 0 offset:384
	buffer_load_dword v2, off, s[0:3], 0 offset:388
	v_mov_b32_e32 v3, 0
	buffer_store_dword v3, off, s[0:3], 0 offset:384
	buffer_store_dword v3, off, s[0:3], 0 offset:388
	s_waitcnt vmcnt(0)
	ds_write_b64 v137, v[1:2]
.LBB125_289:
	s_or_b32 exec_lo, exec_lo, s4
	s_waitcnt lgkmcnt(0)
	s_waitcnt_vscnt null, 0x0
	s_barrier
	buffer_gl0_inv
	s_clause 0x1b
	buffer_load_dword v12, off, s[0:3], 0 offset:396
	buffer_load_dword v154, off, s[0:3], 0 offset:404
	;; [unrolled: 1-line block ×28, first 2 shown]
	v_mov_b32_e32 v1, 0
	ds_read2_b64 v[2:5], v1 offset0:111 offset1:112
	ds_read2_b64 v[6:9], v1 offset0:113 offset1:114
	;; [unrolled: 1-line block ×6, first 2 shown]
	ds_read_b64 v[10:11], v1 offset:984
	s_mov_b32 s4, exec_lo
	s_waitcnt vmcnt(27) lgkmcnt(6)
	v_mul_f32_e32 v181, v2, v12
	v_mul_f32_e32 v12, v3, v12
	s_waitcnt vmcnt(26)
	v_mul_f32_e32 v182, v4, v154
	v_mul_f32_e32 v154, v5, v154
	s_waitcnt vmcnt(25) lgkmcnt(5)
	v_mul_f32_e32 v183, v6, v155
	s_waitcnt vmcnt(24)
	v_mul_f32_e32 v184, v8, v156
	s_waitcnt vmcnt(23) lgkmcnt(4)
	v_mul_f32_e32 v185, v138, v157
	s_waitcnt vmcnt(22)
	;; [unrolled: 4-line block ×5, first 2 shown]
	v_fma_f32 v2, v2, v166, -v12
	v_fmac_f32_e32 v181, v3, v166
	v_mul_f32_e32 v3, v7, v155
	s_waitcnt vmcnt(13)
	v_fma_f32 v4, v4, v167, -v154
	v_fmac_f32_e32 v182, v5, v167
	v_add_f32_e32 v2, 0, v2
	v_add_f32_e32 v5, 0, v181
	v_mul_f32_e32 v12, v9, v156
	s_waitcnt vmcnt(12)
	v_fma_f32 v3, v6, v168, -v3
	v_fmac_f32_e32 v183, v7, v168
	v_add_f32_e32 v2, v2, v4
	v_add_f32_e32 v4, v5, v182
	;; [unrolled: 6-line block ×9, first 2 shown]
	v_mul_f32_e32 v4, v153, v164
	s_waitcnt vmcnt(4)
	v_fma_f32 v5, v150, v176, -v5
	v_mul_f32_e32 v192, v152, v164
	v_add_f32_e32 v2, v2, v6
	v_fmac_f32_e32 v191, v151, v176
	v_add_f32_e32 v3, v3, v190
	s_waitcnt lgkmcnt(0)
	v_mul_f32_e32 v6, v11, v165
	s_waitcnt vmcnt(3)
	v_fma_f32 v4, v152, v177, -v4
	v_add_f32_e32 v2, v2, v5
	v_mul_f32_e32 v193, v10, v165
	v_fmac_f32_e32 v192, v153, v177
	v_add_f32_e32 v3, v3, v191
	s_waitcnt vmcnt(2)
	v_fma_f32 v5, v10, v178, -v6
	v_add_f32_e32 v2, v2, v4
	v_fmac_f32_e32 v193, v11, v178
	v_add_f32_e32 v3, v3, v192
	v_add_f32_e32 v2, v2, v5
	;; [unrolled: 1-line block ×3, first 2 shown]
	s_waitcnt vmcnt(1)
	v_sub_f32_e32 v2, v179, v2
	s_waitcnt vmcnt(0)
	v_sub_f32_e32 v3, v180, v3
	buffer_store_dword v2, off, s[0:3], 0 offset:384
	buffer_store_dword v3, off, s[0:3], 0 offset:388
	v_cmpx_lt_u32_e32 47, v0
	s_cbranch_execz .LBB125_291
; %bb.290:
	s_clause 0x1
	buffer_load_dword v2, off, s[0:3], 0 offset:376
	buffer_load_dword v3, off, s[0:3], 0 offset:380
	buffer_store_dword v1, off, s[0:3], 0 offset:376
	buffer_store_dword v1, off, s[0:3], 0 offset:380
	s_waitcnt vmcnt(0)
	ds_write_b64 v137, v[2:3]
.LBB125_291:
	s_or_b32 exec_lo, exec_lo, s4
	s_waitcnt lgkmcnt(0)
	s_waitcnt_vscnt null, 0x0
	s_barrier
	buffer_gl0_inv
	s_clause 0x1d
	buffer_load_dword v10, off, s[0:3], 0 offset:388
	buffer_load_dword v11, off, s[0:3], 0 offset:396
	;; [unrolled: 1-line block ×30, first 2 shown]
	ds_read_b128 v[2:5], v1 offset:880
	ds_read_b128 v[6:9], v1 offset:896
	;; [unrolled: 1-line block ×7, first 2 shown]
	s_mov_b32 s4, exec_lo
	s_waitcnt vmcnt(29) lgkmcnt(6)
	v_mul_f32_e32 v1, v2, v10
	v_mul_f32_e32 v10, v3, v10
	s_waitcnt vmcnt(28)
	v_mul_f32_e32 v185, v4, v11
	v_mul_f32_e32 v11, v5, v11
	s_waitcnt vmcnt(27) lgkmcnt(5)
	v_mul_f32_e32 v186, v6, v12
	s_waitcnt vmcnt(26)
	v_mul_f32_e32 v187, v8, v158
	s_waitcnt vmcnt(25) lgkmcnt(4)
	v_mul_f32_e32 v188, v138, v159
	s_waitcnt vmcnt(24)
	;; [unrolled: 4-line block ×5, first 2 shown]
	v_mul_f32_e32 v195, v152, v166
	s_waitcnt vmcnt(15)
	v_fma_f32 v2, v2, v169, -v10
	v_fmac_f32_e32 v1, v3, v169
	v_mul_f32_e32 v3, v7, v12
	s_waitcnt vmcnt(14)
	v_fma_f32 v4, v4, v170, -v11
	v_fmac_f32_e32 v185, v5, v170
	v_add_f32_e32 v2, 0, v2
	v_add_f32_e32 v1, 0, v1
	v_mul_f32_e32 v5, v9, v158
	s_waitcnt vmcnt(13)
	v_fma_f32 v3, v6, v171, -v3
	v_fmac_f32_e32 v186, v7, v171
	v_add_f32_e32 v2, v2, v4
	v_add_f32_e32 v1, v1, v185
	;; [unrolled: 6-line block ×10, first 2 shown]
	s_waitcnt lgkmcnt(0)
	v_mul_f32_e32 v5, v155, v167
	s_waitcnt vmcnt(4)
	v_fma_f32 v3, v152, v180, -v3
	v_mul_f32_e32 v196, v154, v167
	v_add_f32_e32 v2, v2, v4
	v_fmac_f32_e32 v195, v153, v180
	v_add_f32_e32 v1, v1, v194
	v_mul_f32_e32 v4, v157, v168
	s_waitcnt vmcnt(3)
	v_fma_f32 v5, v154, v181, -v5
	v_add_f32_e32 v2, v2, v3
	v_mul_f32_e32 v197, v156, v168
	v_fmac_f32_e32 v196, v155, v181
	v_add_f32_e32 v1, v1, v195
	s_waitcnt vmcnt(2)
	v_fma_f32 v3, v156, v182, -v4
	v_add_f32_e32 v2, v2, v5
	v_fmac_f32_e32 v197, v157, v182
	v_add_f32_e32 v1, v1, v196
	v_add_f32_e32 v2, v2, v3
	v_add_f32_e32 v1, v1, v197
	s_waitcnt vmcnt(1)
	v_sub_f32_e32 v2, v183, v2
	s_waitcnt vmcnt(0)
	v_sub_f32_e32 v1, v184, v1
	buffer_store_dword v2, off, s[0:3], 0 offset:376
	buffer_store_dword v1, off, s[0:3], 0 offset:380
	v_cmpx_lt_u32_e32 46, v0
	s_cbranch_execz .LBB125_293
; %bb.292:
	s_clause 0x1
	buffer_load_dword v1, off, s[0:3], 0 offset:368
	buffer_load_dword v2, off, s[0:3], 0 offset:372
	v_mov_b32_e32 v3, 0
	buffer_store_dword v3, off, s[0:3], 0 offset:368
	buffer_store_dword v3, off, s[0:3], 0 offset:372
	s_waitcnt vmcnt(0)
	ds_write_b64 v137, v[1:2]
.LBB125_293:
	s_or_b32 exec_lo, exec_lo, s4
	s_waitcnt lgkmcnt(0)
	s_waitcnt_vscnt null, 0x0
	s_barrier
	buffer_gl0_inv
	s_clause 0x1f
	buffer_load_dword v12, off, s[0:3], 0 offset:380
	buffer_load_dword v158, off, s[0:3], 0 offset:388
	;; [unrolled: 1-line block ×32, first 2 shown]
	v_mov_b32_e32 v1, 0
	ds_read2_b64 v[2:5], v1 offset0:109 offset1:110
	ds_read2_b64 v[6:9], v1 offset0:111 offset1:112
	;; [unrolled: 1-line block ×7, first 2 shown]
	ds_read_b64 v[10:11], v1 offset:984
	s_mov_b32 s4, exec_lo
	s_waitcnt vmcnt(31) lgkmcnt(7)
	v_mul_f32_e32 v189, v2, v12
	v_mul_f32_e32 v12, v3, v12
	s_waitcnt vmcnt(30)
	v_mul_f32_e32 v190, v4, v158
	v_mul_f32_e32 v158, v5, v158
	s_waitcnt vmcnt(29) lgkmcnt(6)
	v_mul_f32_e32 v191, v6, v159
	s_waitcnt vmcnt(28)
	v_mul_f32_e32 v192, v8, v160
	s_waitcnt vmcnt(27) lgkmcnt(5)
	v_mul_f32_e32 v193, v138, v161
	s_waitcnt vmcnt(26)
	;; [unrolled: 4-line block ×6, first 2 shown]
	v_fma_f32 v2, v2, v172, -v12
	v_fmac_f32_e32 v189, v3, v172
	v_mul_f32_e32 v3, v7, v159
	s_waitcnt vmcnt(15)
	v_fma_f32 v4, v4, v173, -v158
	v_fmac_f32_e32 v190, v5, v173
	v_add_f32_e32 v2, 0, v2
	v_add_f32_e32 v5, 0, v189
	v_mul_f32_e32 v12, v9, v160
	s_waitcnt vmcnt(14)
	v_fma_f32 v3, v6, v174, -v3
	v_fmac_f32_e32 v191, v7, v174
	v_add_f32_e32 v2, v2, v4
	v_add_f32_e32 v4, v5, v190
	;; [unrolled: 6-line block ×11, first 2 shown]
	v_mul_f32_e32 v5, v157, v170
	s_waitcnt vmcnt(4)
	v_fma_f32 v6, v154, v184, -v6
	v_mul_f32_e32 v202, v156, v170
	v_add_f32_e32 v2, v2, v4
	v_fmac_f32_e32 v201, v155, v184
	v_add_f32_e32 v3, v3, v200
	s_waitcnt lgkmcnt(0)
	v_mul_f32_e32 v4, v11, v171
	s_waitcnt vmcnt(3)
	v_fma_f32 v5, v156, v185, -v5
	v_add_f32_e32 v2, v2, v6
	v_mul_f32_e32 v203, v10, v171
	v_fmac_f32_e32 v202, v157, v185
	v_add_f32_e32 v3, v3, v201
	s_waitcnt vmcnt(2)
	v_fma_f32 v4, v10, v186, -v4
	v_add_f32_e32 v2, v2, v5
	v_fmac_f32_e32 v203, v11, v186
	v_add_f32_e32 v3, v3, v202
	v_add_f32_e32 v2, v2, v4
	;; [unrolled: 1-line block ×3, first 2 shown]
	s_waitcnt vmcnt(1)
	v_sub_f32_e32 v2, v187, v2
	s_waitcnt vmcnt(0)
	v_sub_f32_e32 v3, v188, v3
	buffer_store_dword v2, off, s[0:3], 0 offset:368
	buffer_store_dword v3, off, s[0:3], 0 offset:372
	v_cmpx_lt_u32_e32 45, v0
	s_cbranch_execz .LBB125_295
; %bb.294:
	s_clause 0x1
	buffer_load_dword v2, off, s[0:3], 0 offset:360
	buffer_load_dword v3, off, s[0:3], 0 offset:364
	buffer_store_dword v1, off, s[0:3], 0 offset:360
	buffer_store_dword v1, off, s[0:3], 0 offset:364
	s_waitcnt vmcnt(0)
	ds_write_b64 v137, v[2:3]
.LBB125_295:
	s_or_b32 exec_lo, exec_lo, s4
	s_waitcnt lgkmcnt(0)
	s_waitcnt_vscnt null, 0x0
	s_barrier
	buffer_gl0_inv
	s_clause 0x21
	buffer_load_dword v10, off, s[0:3], 0 offset:372
	buffer_load_dword v11, off, s[0:3], 0 offset:380
	;; [unrolled: 1-line block ×34, first 2 shown]
	ds_read_b128 v[2:5], v1 offset:864
	ds_read_b128 v[6:9], v1 offset:880
	;; [unrolled: 1-line block ×8, first 2 shown]
	s_mov_b32 s4, exec_lo
	s_waitcnt vmcnt(33) lgkmcnt(7)
	v_mul_f32_e32 v1, v2, v10
	v_mul_f32_e32 v10, v3, v10
	s_waitcnt vmcnt(32)
	v_mul_f32_e32 v193, v4, v11
	v_mul_f32_e32 v11, v5, v11
	s_waitcnt vmcnt(31) lgkmcnt(6)
	v_mul_f32_e32 v194, v6, v12
	s_waitcnt vmcnt(30)
	v_mul_f32_e32 v195, v8, v162
	s_waitcnt vmcnt(29) lgkmcnt(5)
	v_mul_f32_e32 v196, v138, v163
	s_waitcnt vmcnt(28)
	;; [unrolled: 4-line block ×6, first 2 shown]
	v_mul_f32_e32 v205, v156, v172
	s_waitcnt vmcnt(17)
	v_fma_f32 v2, v2, v175, -v10
	v_fmac_f32_e32 v1, v3, v175
	v_mul_f32_e32 v3, v7, v12
	s_waitcnt vmcnt(16)
	v_fma_f32 v4, v4, v176, -v11
	v_fmac_f32_e32 v193, v5, v176
	v_add_f32_e32 v2, 0, v2
	v_add_f32_e32 v1, 0, v1
	v_mul_f32_e32 v5, v9, v162
	s_waitcnt vmcnt(15)
	v_fma_f32 v3, v6, v177, -v3
	v_fmac_f32_e32 v194, v7, v177
	v_add_f32_e32 v2, v2, v4
	v_add_f32_e32 v1, v1, v193
	;; [unrolled: 6-line block ×12, first 2 shown]
	s_waitcnt lgkmcnt(0)
	v_mul_f32_e32 v3, v159, v173
	s_waitcnt vmcnt(4)
	v_fma_f32 v4, v156, v188, -v4
	v_mul_f32_e32 v206, v158, v173
	v_add_f32_e32 v2, v2, v5
	v_fmac_f32_e32 v205, v157, v188
	v_add_f32_e32 v1, v1, v204
	v_mul_f32_e32 v5, v161, v174
	s_waitcnt vmcnt(3)
	v_fma_f32 v3, v158, v189, -v3
	v_add_f32_e32 v2, v2, v4
	v_mul_f32_e32 v207, v160, v174
	v_fmac_f32_e32 v206, v159, v189
	v_add_f32_e32 v1, v1, v205
	s_waitcnt vmcnt(2)
	v_fma_f32 v4, v160, v190, -v5
	v_add_f32_e32 v2, v2, v3
	v_fmac_f32_e32 v207, v161, v190
	v_add_f32_e32 v1, v1, v206
	v_add_f32_e32 v2, v2, v4
	;; [unrolled: 1-line block ×3, first 2 shown]
	s_waitcnt vmcnt(1)
	v_sub_f32_e32 v2, v191, v2
	s_waitcnt vmcnt(0)
	v_sub_f32_e32 v1, v192, v1
	buffer_store_dword v2, off, s[0:3], 0 offset:360
	buffer_store_dword v1, off, s[0:3], 0 offset:364
	v_cmpx_lt_u32_e32 44, v0
	s_cbranch_execz .LBB125_297
; %bb.296:
	s_clause 0x1
	buffer_load_dword v1, off, s[0:3], 0 offset:352
	buffer_load_dword v2, off, s[0:3], 0 offset:356
	v_mov_b32_e32 v3, 0
	buffer_store_dword v3, off, s[0:3], 0 offset:352
	buffer_store_dword v3, off, s[0:3], 0 offset:356
	s_waitcnt vmcnt(0)
	ds_write_b64 v137, v[1:2]
.LBB125_297:
	s_or_b32 exec_lo, exec_lo, s4
	s_waitcnt lgkmcnt(0)
	s_waitcnt_vscnt null, 0x0
	s_barrier
	buffer_gl0_inv
	s_clause 0x23
	buffer_load_dword v12, off, s[0:3], 0 offset:364
	buffer_load_dword v162, off, s[0:3], 0 offset:372
	;; [unrolled: 1-line block ×36, first 2 shown]
	v_mov_b32_e32 v1, 0
	ds_read2_b64 v[2:5], v1 offset0:107 offset1:108
	ds_read2_b64 v[6:9], v1 offset0:109 offset1:110
	;; [unrolled: 1-line block ×8, first 2 shown]
	ds_read_b64 v[10:11], v1 offset:984
	s_mov_b32 s4, exec_lo
	s_waitcnt vmcnt(35) lgkmcnt(8)
	v_mul_f32_e32 v197, v2, v12
	v_mul_f32_e32 v12, v3, v12
	s_waitcnt vmcnt(34)
	v_mul_f32_e32 v198, v4, v162
	v_mul_f32_e32 v162, v5, v162
	s_waitcnt vmcnt(33) lgkmcnt(7)
	v_mul_f32_e32 v199, v6, v163
	s_waitcnt vmcnt(32)
	v_mul_f32_e32 v200, v8, v164
	s_waitcnt vmcnt(31) lgkmcnt(6)
	v_mul_f32_e32 v201, v138, v165
	s_waitcnt vmcnt(30)
	;; [unrolled: 4-line block ×7, first 2 shown]
	v_fma_f32 v2, v2, v178, -v12
	v_fmac_f32_e32 v197, v3, v178
	v_mul_f32_e32 v3, v7, v163
	s_waitcnt vmcnt(17)
	v_fma_f32 v4, v4, v179, -v162
	v_fmac_f32_e32 v198, v5, v179
	v_add_f32_e32 v2, 0, v2
	v_add_f32_e32 v5, 0, v197
	v_mul_f32_e32 v12, v9, v164
	s_waitcnt vmcnt(16)
	v_fma_f32 v3, v6, v180, -v3
	v_fmac_f32_e32 v199, v7, v180
	v_add_f32_e32 v2, v2, v4
	v_add_f32_e32 v4, v5, v198
	;; [unrolled: 6-line block ×13, first 2 shown]
	v_mul_f32_e32 v6, v161, v176
	s_waitcnt vmcnt(4)
	v_fma_f32 v4, v158, v192, -v4
	v_mul_f32_e32 v212, v160, v176
	v_add_f32_e32 v2, v2, v5
	v_fmac_f32_e32 v211, v159, v192
	v_add_f32_e32 v3, v3, v210
	s_waitcnt lgkmcnt(0)
	v_mul_f32_e32 v5, v11, v177
	s_waitcnt vmcnt(3)
	v_fma_f32 v6, v160, v193, -v6
	v_add_f32_e32 v2, v2, v4
	v_mul_f32_e32 v213, v10, v177
	v_fmac_f32_e32 v212, v161, v193
	v_add_f32_e32 v3, v3, v211
	s_waitcnt vmcnt(2)
	v_fma_f32 v4, v10, v194, -v5
	v_add_f32_e32 v2, v2, v6
	v_fmac_f32_e32 v213, v11, v194
	v_add_f32_e32 v3, v3, v212
	v_add_f32_e32 v2, v2, v4
	;; [unrolled: 1-line block ×3, first 2 shown]
	s_waitcnt vmcnt(1)
	v_sub_f32_e32 v2, v195, v2
	s_waitcnt vmcnt(0)
	v_sub_f32_e32 v3, v196, v3
	buffer_store_dword v2, off, s[0:3], 0 offset:352
	buffer_store_dword v3, off, s[0:3], 0 offset:356
	v_cmpx_lt_u32_e32 43, v0
	s_cbranch_execz .LBB125_299
; %bb.298:
	s_clause 0x1
	buffer_load_dword v2, off, s[0:3], 0 offset:344
	buffer_load_dword v3, off, s[0:3], 0 offset:348
	buffer_store_dword v1, off, s[0:3], 0 offset:344
	buffer_store_dword v1, off, s[0:3], 0 offset:348
	s_waitcnt vmcnt(0)
	ds_write_b64 v137, v[2:3]
.LBB125_299:
	s_or_b32 exec_lo, exec_lo, s4
	s_waitcnt lgkmcnt(0)
	s_waitcnt_vscnt null, 0x0
	s_barrier
	buffer_gl0_inv
	s_clause 0x25
	buffer_load_dword v10, off, s[0:3], 0 offset:356
	buffer_load_dword v11, off, s[0:3], 0 offset:364
	;; [unrolled: 1-line block ×38, first 2 shown]
	ds_read_b128 v[2:5], v1 offset:848
	ds_read_b128 v[6:9], v1 offset:864
	;; [unrolled: 1-line block ×9, first 2 shown]
	s_mov_b32 s4, exec_lo
	s_waitcnt vmcnt(37) lgkmcnt(8)
	v_mul_f32_e32 v1, v2, v10
	v_mul_f32_e32 v10, v3, v10
	s_waitcnt vmcnt(36)
	v_mul_f32_e32 v201, v4, v11
	v_mul_f32_e32 v11, v5, v11
	s_waitcnt vmcnt(35) lgkmcnt(7)
	v_mul_f32_e32 v202, v6, v12
	s_waitcnt vmcnt(34)
	v_mul_f32_e32 v203, v8, v166
	s_waitcnt vmcnt(33) lgkmcnt(6)
	v_mul_f32_e32 v204, v138, v167
	s_waitcnt vmcnt(32)
	;; [unrolled: 4-line block ×7, first 2 shown]
	v_mul_f32_e32 v215, v160, v178
	s_waitcnt vmcnt(19)
	v_fma_f32 v2, v2, v181, -v10
	v_fmac_f32_e32 v1, v3, v181
	v_mul_f32_e32 v3, v7, v12
	s_waitcnt vmcnt(18)
	v_fma_f32 v4, v4, v182, -v11
	v_fmac_f32_e32 v201, v5, v182
	v_add_f32_e32 v2, 0, v2
	v_add_f32_e32 v1, 0, v1
	v_mul_f32_e32 v5, v9, v166
	s_waitcnt vmcnt(17)
	v_fma_f32 v3, v6, v183, -v3
	v_fmac_f32_e32 v202, v7, v183
	v_add_f32_e32 v2, v2, v4
	v_add_f32_e32 v1, v1, v201
	;; [unrolled: 6-line block ×14, first 2 shown]
	s_waitcnt lgkmcnt(0)
	v_mul_f32_e32 v4, v163, v179
	s_waitcnt vmcnt(4)
	v_fma_f32 v5, v160, v196, -v5
	v_mul_f32_e32 v216, v162, v179
	v_add_f32_e32 v2, v2, v3
	v_fmac_f32_e32 v215, v161, v196
	v_add_f32_e32 v1, v1, v214
	v_mul_f32_e32 v3, v165, v180
	s_waitcnt vmcnt(3)
	v_fma_f32 v4, v162, v197, -v4
	v_add_f32_e32 v2, v2, v5
	v_mul_f32_e32 v217, v164, v180
	v_fmac_f32_e32 v216, v163, v197
	v_add_f32_e32 v1, v1, v215
	s_waitcnt vmcnt(2)
	v_fma_f32 v3, v164, v198, -v3
	v_add_f32_e32 v2, v2, v4
	v_fmac_f32_e32 v217, v165, v198
	v_add_f32_e32 v1, v1, v216
	v_add_f32_e32 v2, v2, v3
	v_add_f32_e32 v1, v1, v217
	s_waitcnt vmcnt(1)
	v_sub_f32_e32 v2, v199, v2
	s_waitcnt vmcnt(0)
	v_sub_f32_e32 v1, v200, v1
	buffer_store_dword v2, off, s[0:3], 0 offset:344
	buffer_store_dword v1, off, s[0:3], 0 offset:348
	v_cmpx_lt_u32_e32 42, v0
	s_cbranch_execz .LBB125_301
; %bb.300:
	s_clause 0x1
	buffer_load_dword v1, off, s[0:3], 0 offset:336
	buffer_load_dword v2, off, s[0:3], 0 offset:340
	v_mov_b32_e32 v3, 0
	buffer_store_dword v3, off, s[0:3], 0 offset:336
	buffer_store_dword v3, off, s[0:3], 0 offset:340
	s_waitcnt vmcnt(0)
	ds_write_b64 v137, v[1:2]
.LBB125_301:
	s_or_b32 exec_lo, exec_lo, s4
	s_waitcnt lgkmcnt(0)
	s_waitcnt_vscnt null, 0x0
	s_barrier
	buffer_gl0_inv
	s_clause 0x27
	buffer_load_dword v12, off, s[0:3], 0 offset:348
	buffer_load_dword v166, off, s[0:3], 0 offset:356
	;; [unrolled: 1-line block ×40, first 2 shown]
	v_mov_b32_e32 v1, 0
	ds_read2_b64 v[2:5], v1 offset0:105 offset1:106
	ds_read2_b64 v[6:9], v1 offset0:107 offset1:108
	;; [unrolled: 1-line block ×9, first 2 shown]
	ds_read_b64 v[10:11], v1 offset:984
	s_mov_b32 s4, exec_lo
	s_waitcnt vmcnt(39) lgkmcnt(9)
	v_mul_f32_e32 v205, v2, v12
	v_mul_f32_e32 v12, v3, v12
	s_waitcnt vmcnt(38)
	v_mul_f32_e32 v206, v4, v166
	v_mul_f32_e32 v166, v5, v166
	s_waitcnt vmcnt(37) lgkmcnt(8)
	v_mul_f32_e32 v207, v6, v167
	s_waitcnt vmcnt(36)
	v_mul_f32_e32 v208, v8, v168
	s_waitcnt vmcnt(35) lgkmcnt(7)
	v_mul_f32_e32 v209, v138, v169
	s_waitcnt vmcnt(34)
	;; [unrolled: 4-line block ×8, first 2 shown]
	v_fma_f32 v2, v2, v184, -v12
	v_fmac_f32_e32 v205, v3, v184
	v_mul_f32_e32 v3, v7, v167
	s_waitcnt vmcnt(19)
	v_fma_f32 v4, v4, v185, -v166
	v_fmac_f32_e32 v206, v5, v185
	v_add_f32_e32 v2, 0, v2
	v_add_f32_e32 v5, 0, v205
	v_mul_f32_e32 v12, v9, v168
	s_waitcnt vmcnt(18)
	v_fma_f32 v3, v6, v186, -v3
	v_fmac_f32_e32 v207, v7, v186
	v_add_f32_e32 v2, v2, v4
	v_add_f32_e32 v4, v5, v206
	;; [unrolled: 6-line block ×15, first 2 shown]
	v_mul_f32_e32 v4, v165, v182
	s_waitcnt vmcnt(4)
	v_fma_f32 v5, v162, v200, -v5
	v_mul_f32_e32 v222, v164, v182
	v_add_f32_e32 v2, v2, v6
	v_fmac_f32_e32 v221, v163, v200
	v_add_f32_e32 v3, v3, v220
	s_waitcnt lgkmcnt(0)
	v_mul_f32_e32 v6, v11, v183
	s_waitcnt vmcnt(3)
	v_fma_f32 v4, v164, v201, -v4
	v_add_f32_e32 v2, v2, v5
	v_mul_f32_e32 v223, v10, v183
	v_fmac_f32_e32 v222, v165, v201
	v_add_f32_e32 v3, v3, v221
	s_waitcnt vmcnt(2)
	v_fma_f32 v5, v10, v202, -v6
	v_add_f32_e32 v2, v2, v4
	v_fmac_f32_e32 v223, v11, v202
	v_add_f32_e32 v3, v3, v222
	v_add_f32_e32 v2, v2, v5
	;; [unrolled: 1-line block ×3, first 2 shown]
	s_waitcnt vmcnt(1)
	v_sub_f32_e32 v2, v203, v2
	s_waitcnt vmcnt(0)
	v_sub_f32_e32 v3, v204, v3
	buffer_store_dword v2, off, s[0:3], 0 offset:336
	buffer_store_dword v3, off, s[0:3], 0 offset:340
	v_cmpx_lt_u32_e32 41, v0
	s_cbranch_execz .LBB125_303
; %bb.302:
	s_clause 0x1
	buffer_load_dword v2, off, s[0:3], 0 offset:328
	buffer_load_dword v3, off, s[0:3], 0 offset:332
	buffer_store_dword v1, off, s[0:3], 0 offset:328
	buffer_store_dword v1, off, s[0:3], 0 offset:332
	s_waitcnt vmcnt(0)
	ds_write_b64 v137, v[2:3]
.LBB125_303:
	s_or_b32 exec_lo, exec_lo, s4
	s_waitcnt lgkmcnt(0)
	s_waitcnt_vscnt null, 0x0
	s_barrier
	buffer_gl0_inv
	s_clause 0x29
	buffer_load_dword v10, off, s[0:3], 0 offset:340
	buffer_load_dword v11, off, s[0:3], 0 offset:348
	;; [unrolled: 1-line block ×42, first 2 shown]
	ds_read_b128 v[2:5], v1 offset:832
	ds_read_b128 v[6:9], v1 offset:848
	;; [unrolled: 1-line block ×10, first 2 shown]
	s_mov_b32 s4, exec_lo
	s_waitcnt vmcnt(41) lgkmcnt(9)
	v_mul_f32_e32 v1, v2, v10
	v_mul_f32_e32 v10, v3, v10
	s_waitcnt vmcnt(40)
	v_mul_f32_e32 v209, v4, v11
	v_mul_f32_e32 v11, v5, v11
	s_waitcnt vmcnt(39) lgkmcnt(8)
	v_mul_f32_e32 v210, v6, v12
	s_waitcnt vmcnt(38)
	v_mul_f32_e32 v211, v8, v170
	s_waitcnt vmcnt(37) lgkmcnt(7)
	v_mul_f32_e32 v212, v138, v171
	s_waitcnt vmcnt(36)
	v_mul_f32_e32 v213, v140, v172
	s_waitcnt vmcnt(35) lgkmcnt(6)
	v_mul_f32_e32 v214, v142, v173
	s_waitcnt vmcnt(34)
	v_mul_f32_e32 v215, v144, v174
	s_waitcnt vmcnt(33) lgkmcnt(5)
	v_mul_f32_e32 v216, v146, v175
	s_waitcnt vmcnt(32)
	v_mul_f32_e32 v217, v148, v176
	s_waitcnt vmcnt(31) lgkmcnt(4)
	v_mul_f32_e32 v218, v150, v177
	s_waitcnt vmcnt(30)
	v_mul_f32_e32 v219, v152, v178
	s_waitcnt vmcnt(29) lgkmcnt(3)
	v_mul_f32_e32 v220, v154, v179
	s_waitcnt vmcnt(28)
	v_mul_f32_e32 v221, v156, v180
	s_waitcnt vmcnt(27) lgkmcnt(2)
	v_mul_f32_e32 v222, v158, v181
	s_waitcnt vmcnt(26)
	v_mul_f32_e32 v223, v160, v182
	s_waitcnt vmcnt(25) lgkmcnt(1)
	v_mul_f32_e32 v224, v162, v183
	s_waitcnt vmcnt(24)
	v_mul_f32_e32 v225, v164, v184
	s_waitcnt vmcnt(21)
	v_fma_f32 v2, v2, v187, -v10
	v_fmac_f32_e32 v1, v3, v187
	v_mul_f32_e32 v3, v7, v12
	s_waitcnt vmcnt(20)
	v_fma_f32 v4, v4, v188, -v11
	v_fmac_f32_e32 v209, v5, v188
	v_add_f32_e32 v2, 0, v2
	v_add_f32_e32 v1, 0, v1
	v_mul_f32_e32 v5, v9, v170
	s_waitcnt vmcnt(19)
	v_fma_f32 v3, v6, v189, -v3
	v_fmac_f32_e32 v210, v7, v189
	v_add_f32_e32 v2, v2, v4
	v_add_f32_e32 v1, v1, v209
	;; [unrolled: 6-line block ×16, first 2 shown]
	s_waitcnt lgkmcnt(0)
	v_mul_f32_e32 v5, v167, v185
	s_waitcnt vmcnt(4)
	v_fma_f32 v3, v164, v204, -v3
	v_mul_f32_e32 v226, v166, v185
	v_add_f32_e32 v2, v2, v4
	v_fmac_f32_e32 v225, v165, v204
	v_add_f32_e32 v1, v1, v224
	v_mul_f32_e32 v4, v169, v186
	s_waitcnt vmcnt(3)
	v_fma_f32 v5, v166, v205, -v5
	v_add_f32_e32 v2, v2, v3
	v_mul_f32_e32 v227, v168, v186
	v_fmac_f32_e32 v226, v167, v205
	v_add_f32_e32 v1, v1, v225
	s_waitcnt vmcnt(2)
	v_fma_f32 v3, v168, v206, -v4
	v_add_f32_e32 v2, v2, v5
	v_fmac_f32_e32 v227, v169, v206
	v_add_f32_e32 v1, v1, v226
	v_add_f32_e32 v2, v2, v3
	;; [unrolled: 1-line block ×3, first 2 shown]
	s_waitcnt vmcnt(1)
	v_sub_f32_e32 v2, v207, v2
	s_waitcnt vmcnt(0)
	v_sub_f32_e32 v1, v208, v1
	buffer_store_dword v2, off, s[0:3], 0 offset:328
	buffer_store_dword v1, off, s[0:3], 0 offset:332
	v_cmpx_lt_u32_e32 40, v0
	s_cbranch_execz .LBB125_305
; %bb.304:
	s_clause 0x1
	buffer_load_dword v1, off, s[0:3], 0 offset:320
	buffer_load_dword v2, off, s[0:3], 0 offset:324
	v_mov_b32_e32 v3, 0
	buffer_store_dword v3, off, s[0:3], 0 offset:320
	buffer_store_dword v3, off, s[0:3], 0 offset:324
	s_waitcnt vmcnt(0)
	ds_write_b64 v137, v[1:2]
.LBB125_305:
	s_or_b32 exec_lo, exec_lo, s4
	s_waitcnt lgkmcnt(0)
	s_waitcnt_vscnt null, 0x0
	s_barrier
	buffer_gl0_inv
	s_clause 0x2b
	buffer_load_dword v12, off, s[0:3], 0 offset:332
	buffer_load_dword v170, off, s[0:3], 0 offset:340
	;; [unrolled: 1-line block ×44, first 2 shown]
	v_mov_b32_e32 v1, 0
	ds_read2_b64 v[2:5], v1 offset0:103 offset1:104
	ds_read2_b64 v[6:9], v1 offset0:105 offset1:106
	;; [unrolled: 1-line block ×10, first 2 shown]
	ds_read_b64 v[10:11], v1 offset:984
	s_mov_b32 s4, exec_lo
	s_waitcnt vmcnt(43) lgkmcnt(10)
	v_mul_f32_e32 v213, v2, v12
	v_mul_f32_e32 v12, v3, v12
	s_waitcnt vmcnt(42)
	v_mul_f32_e32 v214, v4, v170
	v_mul_f32_e32 v170, v5, v170
	s_waitcnt vmcnt(41) lgkmcnt(9)
	v_mul_f32_e32 v215, v6, v171
	s_waitcnt vmcnt(40)
	v_mul_f32_e32 v216, v8, v172
	s_waitcnt vmcnt(39) lgkmcnt(8)
	v_mul_f32_e32 v217, v138, v173
	s_waitcnt vmcnt(38)
	v_mul_f32_e32 v218, v140, v174
	s_waitcnt vmcnt(37) lgkmcnt(7)
	v_mul_f32_e32 v219, v142, v175
	s_waitcnt vmcnt(36)
	v_mul_f32_e32 v220, v144, v176
	s_waitcnt vmcnt(35) lgkmcnt(6)
	v_mul_f32_e32 v221, v146, v177
	s_waitcnt vmcnt(34)
	v_mul_f32_e32 v222, v148, v178
	s_waitcnt vmcnt(33) lgkmcnt(5)
	v_mul_f32_e32 v223, v150, v179
	s_waitcnt vmcnt(32)
	v_mul_f32_e32 v224, v152, v180
	s_waitcnt vmcnt(31) lgkmcnt(4)
	v_mul_f32_e32 v225, v154, v181
	s_waitcnt vmcnt(30)
	v_mul_f32_e32 v226, v156, v182
	s_waitcnt vmcnt(29) lgkmcnt(3)
	v_mul_f32_e32 v227, v158, v183
	s_waitcnt vmcnt(28)
	v_mul_f32_e32 v228, v160, v184
	s_waitcnt vmcnt(27) lgkmcnt(2)
	v_mul_f32_e32 v229, v162, v185
	s_waitcnt vmcnt(26)
	v_mul_f32_e32 v230, v164, v186
	s_waitcnt vmcnt(25) lgkmcnt(1)
	v_mul_f32_e32 v231, v166, v187
	s_waitcnt vmcnt(22)
	v_fma_f32 v2, v2, v190, -v12
	v_fmac_f32_e32 v213, v3, v190
	v_mul_f32_e32 v3, v7, v171
	s_waitcnt vmcnt(21)
	v_fma_f32 v4, v4, v191, -v170
	v_fmac_f32_e32 v214, v5, v191
	v_add_f32_e32 v2, 0, v2
	v_add_f32_e32 v5, 0, v213
	v_mul_f32_e32 v12, v9, v172
	s_waitcnt vmcnt(20)
	v_fma_f32 v3, v6, v192, -v3
	v_fmac_f32_e32 v215, v7, v192
	v_add_f32_e32 v2, v2, v4
	v_add_f32_e32 v4, v5, v214
	;; [unrolled: 6-line block ×17, first 2 shown]
	v_mul_f32_e32 v5, v169, v188
	s_waitcnt vmcnt(4)
	v_fma_f32 v6, v166, v208, -v6
	v_mul_f32_e32 v232, v168, v188
	v_add_f32_e32 v2, v2, v4
	v_fmac_f32_e32 v231, v167, v208
	v_add_f32_e32 v3, v3, v230
	s_waitcnt lgkmcnt(0)
	v_mul_f32_e32 v4, v11, v189
	s_waitcnt vmcnt(3)
	v_fma_f32 v5, v168, v209, -v5
	v_add_f32_e32 v2, v2, v6
	v_mul_f32_e32 v233, v10, v189
	v_fmac_f32_e32 v232, v169, v209
	v_add_f32_e32 v3, v3, v231
	s_waitcnt vmcnt(2)
	v_fma_f32 v4, v10, v210, -v4
	v_add_f32_e32 v2, v2, v5
	v_fmac_f32_e32 v233, v11, v210
	v_add_f32_e32 v3, v3, v232
	v_add_f32_e32 v2, v2, v4
	;; [unrolled: 1-line block ×3, first 2 shown]
	s_waitcnt vmcnt(1)
	v_sub_f32_e32 v2, v211, v2
	s_waitcnt vmcnt(0)
	v_sub_f32_e32 v3, v212, v3
	buffer_store_dword v2, off, s[0:3], 0 offset:320
	buffer_store_dword v3, off, s[0:3], 0 offset:324
	v_cmpx_lt_u32_e32 39, v0
	s_cbranch_execz .LBB125_307
; %bb.306:
	s_clause 0x1
	buffer_load_dword v2, off, s[0:3], 0 offset:312
	buffer_load_dword v3, off, s[0:3], 0 offset:316
	buffer_store_dword v1, off, s[0:3], 0 offset:312
	buffer_store_dword v1, off, s[0:3], 0 offset:316
	s_waitcnt vmcnt(0)
	ds_write_b64 v137, v[2:3]
.LBB125_307:
	s_or_b32 exec_lo, exec_lo, s4
	s_waitcnt lgkmcnt(0)
	s_waitcnt_vscnt null, 0x0
	s_barrier
	buffer_gl0_inv
	s_clause 0x2d
	buffer_load_dword v10, off, s[0:3], 0 offset:324
	buffer_load_dword v11, off, s[0:3], 0 offset:332
	;; [unrolled: 1-line block ×46, first 2 shown]
	ds_read_b128 v[2:5], v1 offset:816
	ds_read_b128 v[6:9], v1 offset:832
	;; [unrolled: 1-line block ×11, first 2 shown]
	s_mov_b32 s4, exec_lo
	s_waitcnt vmcnt(45) lgkmcnt(10)
	v_mul_f32_e32 v1, v2, v10
	v_mul_f32_e32 v10, v3, v10
	s_waitcnt vmcnt(44)
	v_mul_f32_e32 v217, v4, v11
	v_mul_f32_e32 v11, v5, v11
	s_waitcnt vmcnt(43) lgkmcnt(9)
	v_mul_f32_e32 v218, v6, v12
	s_waitcnt vmcnt(42)
	v_mul_f32_e32 v219, v8, v174
	s_waitcnt vmcnt(41) lgkmcnt(8)
	v_mul_f32_e32 v220, v138, v175
	s_waitcnt vmcnt(40)
	;; [unrolled: 4-line block ×9, first 2 shown]
	v_mul_f32_e32 v235, v168, v190
	s_waitcnt vmcnt(23)
	v_fma_f32 v2, v2, v193, -v10
	v_fmac_f32_e32 v1, v3, v193
	v_mul_f32_e32 v3, v7, v12
	s_waitcnt vmcnt(22)
	v_fma_f32 v4, v4, v194, -v11
	v_fmac_f32_e32 v217, v5, v194
	v_add_f32_e32 v2, 0, v2
	v_add_f32_e32 v1, 0, v1
	v_mul_f32_e32 v5, v9, v174
	s_waitcnt vmcnt(21)
	v_fma_f32 v3, v6, v195, -v3
	v_fmac_f32_e32 v218, v7, v195
	v_add_f32_e32 v2, v2, v4
	v_add_f32_e32 v1, v1, v217
	;; [unrolled: 6-line block ×18, first 2 shown]
	s_waitcnt lgkmcnt(0)
	v_mul_f32_e32 v3, v171, v191
	s_waitcnt vmcnt(4)
	v_fma_f32 v4, v168, v212, -v4
	v_mul_f32_e32 v236, v170, v191
	v_add_f32_e32 v2, v2, v5
	v_fmac_f32_e32 v235, v169, v212
	v_add_f32_e32 v1, v1, v234
	v_mul_f32_e32 v5, v173, v192
	s_waitcnt vmcnt(3)
	v_fma_f32 v3, v170, v213, -v3
	v_add_f32_e32 v2, v2, v4
	v_mul_f32_e32 v237, v172, v192
	v_fmac_f32_e32 v236, v171, v213
	v_add_f32_e32 v1, v1, v235
	s_waitcnt vmcnt(2)
	v_fma_f32 v4, v172, v214, -v5
	v_add_f32_e32 v2, v2, v3
	v_fmac_f32_e32 v237, v173, v214
	v_add_f32_e32 v1, v1, v236
	v_add_f32_e32 v2, v2, v4
	;; [unrolled: 1-line block ×3, first 2 shown]
	s_waitcnt vmcnt(1)
	v_sub_f32_e32 v2, v215, v2
	s_waitcnt vmcnt(0)
	v_sub_f32_e32 v1, v216, v1
	buffer_store_dword v2, off, s[0:3], 0 offset:312
	buffer_store_dword v1, off, s[0:3], 0 offset:316
	v_cmpx_lt_u32_e32 38, v0
	s_cbranch_execz .LBB125_309
; %bb.308:
	s_clause 0x1
	buffer_load_dword v1, off, s[0:3], 0 offset:304
	buffer_load_dword v2, off, s[0:3], 0 offset:308
	v_mov_b32_e32 v3, 0
	buffer_store_dword v3, off, s[0:3], 0 offset:304
	buffer_store_dword v3, off, s[0:3], 0 offset:308
	s_waitcnt vmcnt(0)
	ds_write_b64 v137, v[1:2]
.LBB125_309:
	s_or_b32 exec_lo, exec_lo, s4
	s_waitcnt lgkmcnt(0)
	s_waitcnt_vscnt null, 0x0
	s_barrier
	buffer_gl0_inv
	s_clause 0x2f
	buffer_load_dword v12, off, s[0:3], 0 offset:316
	buffer_load_dword v174, off, s[0:3], 0 offset:324
	;; [unrolled: 1-line block ×48, first 2 shown]
	v_mov_b32_e32 v1, 0
	ds_read2_b64 v[2:5], v1 offset0:101 offset1:102
	ds_read2_b64 v[6:9], v1 offset0:103 offset1:104
	ds_read2_b64 v[138:141], v1 offset0:105 offset1:106
	ds_read2_b64 v[142:145], v1 offset0:107 offset1:108
	ds_read2_b64 v[146:149], v1 offset0:109 offset1:110
	ds_read2_b64 v[150:153], v1 offset0:111 offset1:112
	ds_read2_b64 v[154:157], v1 offset0:113 offset1:114
	ds_read2_b64 v[158:161], v1 offset0:115 offset1:116
	ds_read2_b64 v[162:165], v1 offset0:117 offset1:118
	ds_read2_b64 v[166:169], v1 offset0:119 offset1:120
	ds_read2_b64 v[170:173], v1 offset0:121 offset1:122
	ds_read_b64 v[10:11], v1 offset:984
	s_mov_b32 s4, exec_lo
	s_waitcnt vmcnt(47) lgkmcnt(11)
	v_mul_f32_e32 v221, v2, v12
	v_mul_f32_e32 v12, v3, v12
	s_waitcnt vmcnt(46)
	v_mul_f32_e32 v222, v4, v174
	v_mul_f32_e32 v174, v5, v174
	s_waitcnt vmcnt(45) lgkmcnt(10)
	v_mul_f32_e32 v223, v6, v175
	s_waitcnt vmcnt(44)
	v_mul_f32_e32 v224, v8, v176
	s_waitcnt vmcnt(43) lgkmcnt(9)
	v_mul_f32_e32 v225, v138, v177
	s_waitcnt vmcnt(42)
	;; [unrolled: 4-line block ×10, first 2 shown]
	v_fma_f32 v2, v2, v196, -v12
	v_fmac_f32_e32 v221, v3, v196
	v_mul_f32_e32 v3, v7, v175
	s_waitcnt vmcnt(23)
	v_fma_f32 v4, v4, v197, -v174
	v_fmac_f32_e32 v222, v5, v197
	v_add_f32_e32 v2, 0, v2
	v_add_f32_e32 v5, 0, v221
	v_mul_f32_e32 v12, v9, v176
	s_waitcnt vmcnt(22)
	v_fma_f32 v3, v6, v198, -v3
	v_fmac_f32_e32 v223, v7, v198
	v_add_f32_e32 v2, v2, v4
	v_add_f32_e32 v4, v5, v222
	;; [unrolled: 6-line block ×19, first 2 shown]
	v_mul_f32_e32 v6, v173, v194
	s_waitcnt vmcnt(4)
	v_fma_f32 v4, v170, v216, -v4
	v_mul_f32_e32 v242, v172, v194
	v_add_f32_e32 v2, v2, v5
	v_fmac_f32_e32 v241, v171, v216
	v_add_f32_e32 v3, v3, v240
	s_waitcnt lgkmcnt(0)
	v_mul_f32_e32 v5, v11, v195
	s_waitcnt vmcnt(3)
	v_fma_f32 v6, v172, v217, -v6
	v_add_f32_e32 v2, v2, v4
	v_mul_f32_e32 v243, v10, v195
	v_fmac_f32_e32 v242, v173, v217
	v_add_f32_e32 v3, v3, v241
	s_waitcnt vmcnt(2)
	v_fma_f32 v4, v10, v218, -v5
	v_add_f32_e32 v2, v2, v6
	v_fmac_f32_e32 v243, v11, v218
	v_add_f32_e32 v3, v3, v242
	v_add_f32_e32 v2, v2, v4
	;; [unrolled: 1-line block ×3, first 2 shown]
	s_waitcnt vmcnt(1)
	v_sub_f32_e32 v2, v219, v2
	s_waitcnt vmcnt(0)
	v_sub_f32_e32 v3, v220, v3
	buffer_store_dword v2, off, s[0:3], 0 offset:304
	buffer_store_dword v3, off, s[0:3], 0 offset:308
	v_cmpx_lt_u32_e32 37, v0
	s_cbranch_execz .LBB125_311
; %bb.310:
	s_clause 0x1
	buffer_load_dword v2, off, s[0:3], 0 offset:296
	buffer_load_dword v3, off, s[0:3], 0 offset:300
	buffer_store_dword v1, off, s[0:3], 0 offset:296
	buffer_store_dword v1, off, s[0:3], 0 offset:300
	s_waitcnt vmcnt(0)
	ds_write_b64 v137, v[2:3]
.LBB125_311:
	s_or_b32 exec_lo, exec_lo, s4
	s_waitcnt lgkmcnt(0)
	s_waitcnt_vscnt null, 0x0
	s_barrier
	buffer_gl0_inv
	s_clause 0x31
	buffer_load_dword v10, off, s[0:3], 0 offset:308
	buffer_load_dword v11, off, s[0:3], 0 offset:316
	;; [unrolled: 1-line block ×50, first 2 shown]
	ds_read_b128 v[2:5], v1 offset:800
	ds_read_b128 v[6:9], v1 offset:816
	;; [unrolled: 1-line block ×12, first 2 shown]
	s_mov_b32 s4, exec_lo
	s_waitcnt vmcnt(49) lgkmcnt(11)
	v_mul_f32_e32 v1, v2, v10
	v_mul_f32_e32 v10, v3, v10
	s_waitcnt vmcnt(48)
	v_mul_f32_e32 v225, v4, v11
	v_mul_f32_e32 v11, v5, v11
	s_waitcnt vmcnt(47) lgkmcnt(10)
	v_mul_f32_e32 v226, v6, v12
	s_waitcnt vmcnt(46)
	v_mul_f32_e32 v227, v8, v178
	s_waitcnt vmcnt(45) lgkmcnt(9)
	v_mul_f32_e32 v228, v138, v179
	s_waitcnt vmcnt(44)
	;; [unrolled: 4-line block ×10, first 2 shown]
	v_mul_f32_e32 v245, v172, v196
	s_waitcnt vmcnt(25)
	v_fma_f32 v2, v2, v199, -v10
	v_fmac_f32_e32 v1, v3, v199
	v_mul_f32_e32 v3, v7, v12
	s_waitcnt vmcnt(24)
	v_fma_f32 v4, v4, v200, -v11
	v_fmac_f32_e32 v225, v5, v200
	v_add_f32_e32 v2, 0, v2
	v_add_f32_e32 v1, 0, v1
	v_mul_f32_e32 v5, v9, v178
	s_waitcnt vmcnt(23)
	v_fma_f32 v3, v6, v201, -v3
	v_fmac_f32_e32 v226, v7, v201
	v_add_f32_e32 v2, v2, v4
	v_add_f32_e32 v1, v1, v225
	;; [unrolled: 6-line block ×20, first 2 shown]
	s_waitcnt lgkmcnt(0)
	v_mul_f32_e32 v4, v175, v197
	s_waitcnt vmcnt(4)
	v_fma_f32 v5, v172, v220, -v5
	v_mul_f32_e32 v246, v174, v197
	v_add_f32_e32 v2, v2, v3
	v_fmac_f32_e32 v245, v173, v220
	v_add_f32_e32 v1, v1, v244
	v_mul_f32_e32 v3, v177, v198
	s_waitcnt vmcnt(3)
	v_fma_f32 v4, v174, v221, -v4
	v_add_f32_e32 v2, v2, v5
	v_mul_f32_e32 v247, v176, v198
	v_fmac_f32_e32 v246, v175, v221
	v_add_f32_e32 v1, v1, v245
	s_waitcnt vmcnt(2)
	v_fma_f32 v3, v176, v222, -v3
	v_add_f32_e32 v2, v2, v4
	v_fmac_f32_e32 v247, v177, v222
	v_add_f32_e32 v1, v1, v246
	v_add_f32_e32 v2, v2, v3
	;; [unrolled: 1-line block ×3, first 2 shown]
	s_waitcnt vmcnt(1)
	v_sub_f32_e32 v2, v223, v2
	s_waitcnt vmcnt(0)
	v_sub_f32_e32 v1, v224, v1
	buffer_store_dword v2, off, s[0:3], 0 offset:296
	buffer_store_dword v1, off, s[0:3], 0 offset:300
	v_cmpx_lt_u32_e32 36, v0
	s_cbranch_execz .LBB125_313
; %bb.312:
	s_clause 0x1
	buffer_load_dword v1, off, s[0:3], 0 offset:288
	buffer_load_dword v2, off, s[0:3], 0 offset:292
	v_mov_b32_e32 v3, 0
	buffer_store_dword v3, off, s[0:3], 0 offset:288
	buffer_store_dword v3, off, s[0:3], 0 offset:292
	s_waitcnt vmcnt(0)
	ds_write_b64 v137, v[1:2]
.LBB125_313:
	s_or_b32 exec_lo, exec_lo, s4
	s_waitcnt lgkmcnt(0)
	s_waitcnt_vscnt null, 0x0
	s_barrier
	buffer_gl0_inv
	s_clause 0x33
	buffer_load_dword v12, off, s[0:3], 0 offset:300
	buffer_load_dword v178, off, s[0:3], 0 offset:308
	;; [unrolled: 1-line block ×52, first 2 shown]
	v_mov_b32_e32 v1, 0
	ds_read2_b64 v[2:5], v1 offset0:99 offset1:100
	ds_read2_b64 v[6:9], v1 offset0:101 offset1:102
	;; [unrolled: 1-line block ×12, first 2 shown]
	ds_read_b64 v[10:11], v1 offset:984
	s_mov_b32 s4, exec_lo
	s_waitcnt vmcnt(51) lgkmcnt(12)
	v_mul_f32_e32 v229, v2, v12
	v_mul_f32_e32 v12, v3, v12
	s_waitcnt vmcnt(50)
	v_mul_f32_e32 v230, v4, v178
	v_mul_f32_e32 v178, v5, v178
	s_waitcnt vmcnt(49) lgkmcnt(11)
	v_mul_f32_e32 v231, v6, v179
	s_waitcnt vmcnt(48)
	v_mul_f32_e32 v232, v8, v180
	s_waitcnt vmcnt(47) lgkmcnt(10)
	v_mul_f32_e32 v233, v138, v181
	s_waitcnt vmcnt(46)
	;; [unrolled: 4-line block ×11, first 2 shown]
	v_fma_f32 v2, v2, v202, -v12
	v_fmac_f32_e32 v229, v3, v202
	v_mul_f32_e32 v3, v7, v179
	s_waitcnt vmcnt(25)
	v_fma_f32 v4, v4, v203, -v178
	v_fmac_f32_e32 v230, v5, v203
	v_add_f32_e32 v2, 0, v2
	v_add_f32_e32 v5, 0, v229
	v_mul_f32_e32 v12, v9, v180
	s_waitcnt vmcnt(24)
	v_fma_f32 v3, v6, v204, -v3
	v_fmac_f32_e32 v231, v7, v204
	v_add_f32_e32 v2, v2, v4
	v_add_f32_e32 v4, v5, v230
	;; [unrolled: 6-line block ×21, first 2 shown]
	v_mul_f32_e32 v4, v177, v200
	s_waitcnt vmcnt(4)
	v_fma_f32 v5, v174, v224, -v5
	v_mul_f32_e32 v252, v176, v200
	v_add_f32_e32 v2, v2, v6
	v_fmac_f32_e32 v251, v175, v224
	v_add_f32_e32 v3, v3, v250
	s_waitcnt lgkmcnt(0)
	v_mul_f32_e32 v6, v11, v201
	s_waitcnt vmcnt(3)
	v_fma_f32 v4, v176, v225, -v4
	v_add_f32_e32 v2, v2, v5
	v_mul_f32_e32 v253, v10, v201
	v_fmac_f32_e32 v252, v177, v225
	v_add_f32_e32 v3, v3, v251
	s_waitcnt vmcnt(2)
	v_fma_f32 v5, v10, v226, -v6
	v_add_f32_e32 v2, v2, v4
	v_fmac_f32_e32 v253, v11, v226
	v_add_f32_e32 v3, v3, v252
	v_add_f32_e32 v2, v2, v5
	;; [unrolled: 1-line block ×3, first 2 shown]
	s_waitcnt vmcnt(1)
	v_sub_f32_e32 v2, v227, v2
	s_waitcnt vmcnt(0)
	v_sub_f32_e32 v3, v228, v3
	buffer_store_dword v2, off, s[0:3], 0 offset:288
	buffer_store_dword v3, off, s[0:3], 0 offset:292
	v_cmpx_lt_u32_e32 35, v0
	s_cbranch_execz .LBB125_315
; %bb.314:
	s_clause 0x1
	buffer_load_dword v2, off, s[0:3], 0 offset:280
	buffer_load_dword v3, off, s[0:3], 0 offset:284
	buffer_store_dword v1, off, s[0:3], 0 offset:280
	buffer_store_dword v1, off, s[0:3], 0 offset:284
	s_waitcnt vmcnt(0)
	ds_write_b64 v137, v[2:3]
.LBB125_315:
	s_or_b32 exec_lo, exec_lo, s4
	s_waitcnt lgkmcnt(0)
	s_waitcnt_vscnt null, 0x0
	s_barrier
	buffer_gl0_inv
	s_clause 0x35
	buffer_load_dword v11, off, s[0:3], 0 offset:292
	buffer_load_dword v12, off, s[0:3], 0 offset:300
	;; [unrolled: 1-line block ×54, first 2 shown]
	ds_read_b128 v[3:6], v1 offset:784
	ds_read_b128 v[7:10], v1 offset:800
	;; [unrolled: 1-line block ×4, first 2 shown]
	s_mov_b32 s4, exec_lo
	s_waitcnt vmcnt(53) lgkmcnt(3)
	v_mul_f32_e32 v197, v3, v11
	v_mul_f32_e32 v11, v4, v11
	s_waitcnt vmcnt(52)
	v_mul_f32_e32 v198, v5, v12
	v_mul_f32_e32 v12, v6, v12
	s_waitcnt vmcnt(49)
	v_fmac_f32_e32 v197, v4, v148
	v_fma_f32 v11, v3, v148, -v11
	v_fmac_f32_e32 v198, v6, v147
	v_fma_f32 v12, v5, v147, -v12
	ds_read_b128 v[3:6], v1 offset:848
	s_waitcnt vmcnt(48) lgkmcnt(3)
	v_mul_f32_e32 v199, v7, v149
	v_mul_f32_e32 v147, v8, v149
	s_waitcnt vmcnt(47)
	v_mul_f32_e32 v148, v10, v150
	v_mul_f32_e32 v200, v9, v150
	s_waitcnt vmcnt(40) lgkmcnt(1)
	v_mul_f32_e32 v204, v142, v156
	v_fmac_f32_e32 v199, v8, v146
	v_fma_f32 v150, v7, v146, -v147
	v_mul_f32_e32 v146, v139, v154
	v_fma_f32 v201, v9, v153, -v148
	v_mul_f32_e32 v148, v143, v156
	v_add_f32_e32 v11, 0, v11
	v_fmac_f32_e32 v200, v10, v153
	ds_read_b128 v[7:10], v1 offset:864
	v_mul_f32_e32 v202, v138, v154
	v_fma_f32 v154, v138, v152, -v146
	v_add_f32_e32 v138, 0, v197
	v_fmac_f32_e32 v204, v143, v2
	v_fma_f32 v197, v142, v2, -v148
	v_add_f32_e32 v2, v11, v12
	s_waitcnt vmcnt(38) lgkmcnt(1)
	v_mul_f32_e32 v12, v4, v158
	v_add_f32_e32 v11, v138, v198
	v_mul_f32_e32 v206, v3, v158
	v_mul_f32_e32 v147, v141, v155
	v_add_f32_e32 v2, v2, v150
	s_waitcnt vmcnt(35)
	v_fma_f32 v12, v3, v161, -v12
	v_add_f32_e32 v3, v11, v199
	v_mul_f32_e32 v203, v140, v155
	v_mul_f32_e32 v205, v144, v157
	v_add_f32_e32 v2, v2, v201
	v_mul_f32_e32 v153, v145, v157
	v_fmac_f32_e32 v202, v139, v152
	s_waitcnt vmcnt(33)
	v_mul_f32_e32 v11, v5, v163
	v_add_f32_e32 v3, v3, v200
	v_fma_f32 v155, v140, v151, -v147
	v_add_f32_e32 v2, v2, v154
	v_fmac_f32_e32 v203, v141, v151
	v_fmac_f32_e32 v205, v145, v162
	v_fma_f32 v158, v144, v162, -v153
	v_fmac_f32_e32 v206, v4, v161
	v_mul_f32_e32 v4, v6, v163
	s_waitcnt vmcnt(31) lgkmcnt(0)
	v_mul_f32_e32 v162, v9, v165
	v_mul_f32_e32 v163, v10, v165
	v_fmac_f32_e32 v11, v6, v160
	v_add_f32_e32 v6, v3, v202
	v_mul_f32_e32 v161, v7, v164
	v_mul_f32_e32 v154, v8, v164
	v_add_f32_e32 v164, v2, v155
	s_waitcnt vmcnt(27)
	v_fmac_f32_e32 v162, v10, v169
	v_fma_f32 v10, v9, v169, -v163
	v_add_f32_e32 v163, v6, v203
	ds_read_b128 v[138:141], v1 offset:880
	ds_read_b128 v[146:149], v1 offset:896
	v_add_f32_e32 v164, v164, v197
	v_fma_f32 v160, v5, v160, -v4
	v_fmac_f32_e32 v161, v8, v159
	v_add_f32_e32 v163, v163, v204
	v_fma_f32 v159, v7, v159, -v154
	v_add_f32_e32 v158, v164, v158
	ds_read_b128 v[142:145], v1 offset:912
	ds_read_b128 v[150:153], v1 offset:928
	;; [unrolled: 1-line block ×4, first 2 shown]
	v_add_f32_e32 v163, v163, v205
	ds_read_b128 v[6:9], v1 offset:976
	v_add_f32_e32 v12, v158, v12
	v_add_f32_e32 v163, v163, v206
	;; [unrolled: 1-line block ×4, first 2 shown]
	s_waitcnt vmcnt(26) lgkmcnt(6)
	v_mul_f32_e32 v165, v139, v170
	v_add_f32_e32 v12, v12, v159
	v_mul_f32_e32 v1, v138, v170
	s_waitcnt vmcnt(25)
	v_mul_f32_e32 v170, v141, v171
	v_add_f32_e32 v11, v11, v161
	v_fma_f32 v138, v138, v168, -v165
	v_add_f32_e32 v10, v12, v10
	v_mul_f32_e32 v169, v140, v171
	v_fmac_f32_e32 v1, v139, v168
	v_add_f32_e32 v11, v11, v162
	s_waitcnt vmcnt(24) lgkmcnt(5)
	v_mul_f32_e32 v12, v147, v172
	v_fma_f32 v140, v140, v167, -v170
	v_add_f32_e32 v10, v10, v138
	v_mul_f32_e32 v164, v146, v172
	v_fmac_f32_e32 v169, v141, v167
	v_add_f32_e32 v1, v11, v1
	s_waitcnt vmcnt(23)
	v_mul_f32_e32 v11, v149, v173
	v_fma_f32 v12, v146, v166, -v12
	v_add_f32_e32 v10, v10, v140
	v_mul_f32_e32 v171, v148, v173
	v_fmac_f32_e32 v164, v147, v166
	v_add_f32_e32 v1, v1, v169
	s_waitcnt vmcnt(22) lgkmcnt(4)
	v_mul_f32_e32 v138, v143, v174
	s_waitcnt vmcnt(9)
	v_fma_f32 v11, v148, v187, -v11
	v_add_f32_e32 v10, v10, v12
	v_mul_f32_e32 v197, v142, v174
	v_fmac_f32_e32 v171, v149, v187
	v_add_f32_e32 v1, v1, v164
	v_mul_f32_e32 v12, v145, v175
	v_fma_f32 v138, v142, v186, -v138
	v_add_f32_e32 v10, v10, v11
	v_mul_f32_e32 v158, v144, v175
	v_fmac_f32_e32 v197, v143, v186
	v_add_f32_e32 v1, v1, v171
	s_waitcnt lgkmcnt(3)
	v_mul_f32_e32 v11, v151, v176
	v_fma_f32 v12, v144, v185, -v12
	v_add_f32_e32 v10, v10, v138
	v_mul_f32_e32 v198, v150, v176
	v_fmac_f32_e32 v158, v145, v185
	v_add_f32_e32 v1, v1, v197
	v_mul_f32_e32 v138, v153, v177
	v_fma_f32 v11, v150, v184, -v11
	v_add_f32_e32 v10, v10, v12
	v_mul_f32_e32 v199, v152, v177
	v_fmac_f32_e32 v198, v151, v184
	v_add_f32_e32 v1, v1, v158
	s_waitcnt lgkmcnt(2)
	v_mul_f32_e32 v160, v2, v178
	v_mul_f32_e32 v12, v3, v178
	s_waitcnt vmcnt(5)
	v_fma_f32 v138, v152, v191, -v138
	v_add_f32_e32 v10, v10, v11
	v_fmac_f32_e32 v199, v153, v191
	v_add_f32_e32 v1, v1, v198
	v_mul_f32_e32 v11, v5, v179
	v_fmac_f32_e32 v160, v3, v190
	v_fma_f32 v2, v2, v190, -v12
	v_add_f32_e32 v3, v10, v138
	v_mul_f32_e32 v163, v4, v179
	v_add_f32_e32 v1, v1, v199
	s_waitcnt lgkmcnt(1)
	v_mul_f32_e32 v10, v155, v180
	v_fma_f32 v4, v4, v189, -v11
	v_add_f32_e32 v2, v3, v2
	v_mul_f32_e32 v200, v154, v180
	v_fmac_f32_e32 v163, v5, v189
	v_add_f32_e32 v1, v1, v160
	v_mul_f32_e32 v3, v157, v181
	v_fma_f32 v5, v154, v188, -v10
	v_add_f32_e32 v2, v2, v4
	v_mul_f32_e32 v159, v156, v181
	v_fmac_f32_e32 v200, v155, v188
	v_add_f32_e32 v1, v1, v163
	s_waitcnt lgkmcnt(0)
	v_mul_f32_e32 v4, v7, v182
	s_waitcnt vmcnt(2)
	v_fma_f32 v3, v156, v194, -v3
	v_add_f32_e32 v2, v2, v5
	v_mul_f32_e32 v161, v6, v182
	v_fmac_f32_e32 v159, v157, v194
	v_add_f32_e32 v1, v1, v200
	v_mul_f32_e32 v5, v9, v183
	v_fma_f32 v4, v6, v193, -v4
	v_add_f32_e32 v2, v2, v3
	v_mul_f32_e32 v139, v8, v183
	v_fmac_f32_e32 v161, v7, v193
	v_add_f32_e32 v1, v1, v159
	v_fma_f32 v3, v8, v192, -v5
	v_add_f32_e32 v2, v2, v4
	v_fmac_f32_e32 v139, v9, v192
	v_add_f32_e32 v1, v1, v161
	v_add_f32_e32 v2, v2, v3
	v_add_f32_e32 v1, v1, v139
	s_waitcnt vmcnt(1)
	v_sub_f32_e32 v2, v195, v2
	s_waitcnt vmcnt(0)
	v_sub_f32_e32 v1, v196, v1
	buffer_store_dword v2, off, s[0:3], 0 offset:280
	buffer_store_dword v1, off, s[0:3], 0 offset:284
	v_cmpx_lt_u32_e32 34, v0
	s_cbranch_execz .LBB125_317
; %bb.316:
	s_clause 0x1
	buffer_load_dword v1, off, s[0:3], 0 offset:272
	buffer_load_dword v2, off, s[0:3], 0 offset:276
	v_mov_b32_e32 v3, 0
	buffer_store_dword v3, off, s[0:3], 0 offset:272
	buffer_store_dword v3, off, s[0:3], 0 offset:276
	s_waitcnt vmcnt(0)
	ds_write_b64 v137, v[1:2]
.LBB125_317:
	s_or_b32 exec_lo, exec_lo, s4
	s_waitcnt lgkmcnt(0)
	s_waitcnt_vscnt null, 0x0
	s_barrier
	buffer_gl0_inv
	s_clause 0x37
	buffer_load_dword v151, off, s[0:3], 0 offset:284
	buffer_load_dword v155, off, s[0:3], 0 offset:292
	;; [unrolled: 1-line block ×56, first 2 shown]
	v_mov_b32_e32 v1, 0
	ds_read2_b64 v[139:142], v1 offset0:97 offset1:98
	ds_read2_b64 v[143:146], v1 offset0:99 offset1:100
	ds_read2_b64 v[147:150], v1 offset0:101 offset1:102
	s_mov_b32 s4, exec_lo
	s_waitcnt vmcnt(55) lgkmcnt(2)
	v_mul_f32_e32 v198, v139, v151
	v_mul_f32_e32 v199, v140, v151
	ds_read2_b64 v[151:154], v1 offset0:103 offset1:104
	s_waitcnt vmcnt(54)
	v_mul_f32_e32 v200, v141, v155
	v_mul_f32_e32 v155, v142, v155
	s_waitcnt vmcnt(51)
	v_fmac_f32_e32 v198, v140, v158
	v_fma_f32 v158, v139, v158, -v199
	s_waitcnt vmcnt(50) lgkmcnt(2)
	v_mul_f32_e32 v199, v143, v159
	v_fmac_f32_e32 v200, v142, v157
	v_fma_f32 v155, v141, v157, -v155
	s_waitcnt vmcnt(49)
	v_mul_f32_e32 v201, v145, v160
	v_mul_f32_e32 v157, v144, v159
	;; [unrolled: 1-line block ×3, first 2 shown]
	ds_read2_b64 v[139:142], v1 offset0:105 offset1:106
	v_fmac_f32_e32 v199, v144, v156
	s_waitcnt vmcnt(45)
	v_fmac_f32_e32 v201, v146, v164
	v_fma_f32 v156, v143, v156, -v157
	v_fma_f32 v159, v145, v164, -v159
	s_waitcnt vmcnt(44) lgkmcnt(2)
	v_mul_f32_e32 v164, v147, v165
	v_mul_f32_e32 v157, v148, v165
	ds_read2_b64 v[143:146], v1 offset0:107 offset1:108
	s_waitcnt vmcnt(43)
	v_mul_f32_e32 v165, v149, v166
	v_mul_f32_e32 v160, v150, v166
	v_add_f32_e32 v166, 0, v198
	v_fmac_f32_e32 v164, v148, v163
	v_fma_f32 v163, v147, v163, -v157
	v_add_f32_e32 v147, 0, v158
	s_waitcnt vmcnt(42) lgkmcnt(2)
	v_mul_f32_e32 v198, v151, v167
	v_add_f32_e32 v148, v166, v200
	v_mul_f32_e32 v157, v152, v167
	s_waitcnt vmcnt(41)
	v_mul_f32_e32 v200, v153, v168
	v_add_f32_e32 v147, v147, v155
	v_mul_f32_e32 v166, v154, v168
	s_waitcnt vmcnt(40) lgkmcnt(1)
	v_mul_f32_e32 v202, v139, v169
	v_fma_f32 v167, v149, v162, -v160
	v_fmac_f32_e32 v198, v152, v161
	v_fma_f32 v168, v151, v161, -v157
	v_add_f32_e32 v151, v148, v199
	v_add_f32_e32 v152, v147, v156
	v_mul_f32_e32 v160, v140, v169
	s_waitcnt vmcnt(37)
	v_fmac_f32_e32 v202, v140, v172
	s_waitcnt vmcnt(36)
	v_fmac_f32_e32 v200, v154, v173
	v_add_f32_e32 v140, v151, v201
	v_fma_f32 v169, v153, v173, -v166
	v_fma_f32 v172, v139, v172, -v160
	v_add_f32_e32 v139, v152, v159
	s_waitcnt vmcnt(35)
	v_mul_f32_e32 v173, v141, v174
	v_add_f32_e32 v140, v140, v164
	v_mul_f32_e32 v164, v142, v174
	s_waitcnt vmcnt(34) lgkmcnt(0)
	v_mul_f32_e32 v174, v143, v175
	v_add_f32_e32 v139, v139, v163
	v_mul_f32_e32 v163, v144, v175
	v_fmac_f32_e32 v165, v150, v162
	s_waitcnt vmcnt(33)
	v_mul_f32_e32 v199, v145, v176
	v_mul_f32_e32 v175, v146, v176
	v_fmac_f32_e32 v174, v144, v170
	v_fma_f32 v170, v143, v170, -v163
	v_add_f32_e32 v143, v139, v167
	v_add_f32_e32 v140, v140, v165
	s_waitcnt vmcnt(29)
	v_fmac_f32_e32 v199, v146, v180
	v_fma_f32 v175, v145, v180, -v175
	ds_read2_b64 v[147:150], v1 offset0:109 offset1:110
	ds_read2_b64 v[155:158], v1 offset0:111 offset1:112
	v_add_f32_e32 v180, v143, v168
	v_add_f32_e32 v176, v140, v198
	v_fmac_f32_e32 v173, v142, v171
	v_fma_f32 v171, v141, v171, -v164
	ds_read2_b64 v[151:154], v1 offset0:113 offset1:114
	ds_read2_b64 v[159:162], v1 offset0:115 offset1:116
	v_add_f32_e32 v169, v180, v169
	v_add_f32_e32 v176, v176, v200
	ds_read2_b64 v[139:142], v1 offset0:117 offset1:118
	ds_read2_b64 v[163:166], v1 offset0:119 offset1:120
	;; [unrolled: 1-line block ×3, first 2 shown]
	ds_read_b64 v[167:168], v1 offset:984
	v_add_f32_e32 v169, v169, v172
	v_add_f32_e32 v176, v176, v202
	;; [unrolled: 1-line block ×4, first 2 shown]
	s_waitcnt vmcnt(28) lgkmcnt(7)
	v_mul_f32_e32 v198, v147, v181
	v_mul_f32_e32 v181, v148, v181
	v_add_f32_e32 v169, v169, v170
	v_add_f32_e32 v170, v173, v174
	s_waitcnt vmcnt(27)
	v_mul_f32_e32 v180, v149, v182
	v_mul_f32_e32 v182, v150, v182
	v_fma_f32 v147, v147, v179, -v181
	v_add_f32_e32 v169, v169, v175
	v_fmac_f32_e32 v198, v148, v179
	v_add_f32_e32 v170, v170, v199
	s_waitcnt vmcnt(26) lgkmcnt(6)
	v_mul_f32_e32 v179, v156, v183
	v_fma_f32 v149, v149, v178, -v182
	v_add_f32_e32 v147, v169, v147
	v_mul_f32_e32 v200, v155, v183
	v_fmac_f32_e32 v180, v150, v178
	v_add_f32_e32 v169, v170, v198
	s_waitcnt vmcnt(25)
	v_mul_f32_e32 v175, v158, v184
	v_fma_f32 v155, v155, v177, -v179
	v_add_f32_e32 v147, v147, v149
	v_mul_f32_e32 v172, v157, v184
	v_fmac_f32_e32 v200, v156, v177
	v_add_f32_e32 v149, v169, v180
	s_waitcnt vmcnt(24) lgkmcnt(5)
	v_mul_f32_e32 v156, v152, v185
	s_waitcnt vmcnt(10)
	v_fma_f32 v157, v157, v191, -v175
	v_add_f32_e32 v147, v147, v155
	v_mul_f32_e32 v148, v151, v185
	v_fmac_f32_e32 v172, v158, v191
	v_add_f32_e32 v149, v149, v200
	v_mul_f32_e32 v155, v154, v186
	v_fma_f32 v151, v151, v190, -v156
	v_add_f32_e32 v147, v147, v157
	v_mul_f32_e32 v176, v153, v186
	v_fmac_f32_e32 v148, v152, v190
	v_add_f32_e32 v149, v149, v172
	s_waitcnt lgkmcnt(4)
	v_mul_f32_e32 v152, v160, v187
	v_fma_f32 v153, v153, v189, -v155
	v_add_f32_e32 v147, v147, v151
	v_mul_f32_e32 v171, v159, v187
	v_fmac_f32_e32 v176, v154, v189
	v_add_f32_e32 v148, v149, v148
	v_mul_f32_e32 v150, v161, v138
	v_mul_f32_e32 v138, v162, v138
	v_fma_f32 v149, v159, v188, -v152
	v_add_f32_e32 v147, v147, v153
	v_fmac_f32_e32 v171, v160, v188
	v_add_f32_e32 v148, v148, v176
	s_waitcnt lgkmcnt(3)
	v_mul_f32_e32 v178, v139, v11
	v_mul_f32_e32 v11, v140, v11
	s_waitcnt vmcnt(6)
	v_fma_f32 v138, v161, v195, -v138
	v_add_f32_e32 v147, v147, v149
	v_fmac_f32_e32 v150, v162, v195
	v_add_f32_e32 v148, v148, v171
	v_mul_f32_e32 v173, v141, v10
	v_mul_f32_e32 v10, v142, v10
	v_fma_f32 v11, v139, v194, -v11
	v_add_f32_e32 v138, v147, v138
	v_fmac_f32_e32 v178, v140, v194
	v_add_f32_e32 v139, v148, v150
	s_waitcnt lgkmcnt(2)
	v_mul_f32_e32 v174, v163, v9
	v_mul_f32_e32 v9, v164, v9
	v_fma_f32 v10, v141, v193, -v10
	v_add_f32_e32 v11, v138, v11
	v_fmac_f32_e32 v173, v142, v193
	v_add_f32_e32 v138, v139, v178
	v_mul_f32_e32 v181, v165, v7
	v_mul_f32_e32 v7, v166, v7
	v_fma_f32 v9, v163, v192, -v9
	v_add_f32_e32 v10, v11, v10
	v_fmac_f32_e32 v174, v164, v192
	v_add_f32_e32 v11, v138, v173
	s_waitcnt lgkmcnt(1)
	v_mul_f32_e32 v182, v143, v6
	v_mul_f32_e32 v6, v144, v6
	s_waitcnt vmcnt(2)
	v_fma_f32 v7, v165, v197, -v7
	v_add_f32_e32 v9, v10, v9
	v_fmac_f32_e32 v181, v166, v197
	v_add_f32_e32 v10, v11, v174
	v_mul_f32_e32 v183, v145, v2
	v_mul_f32_e32 v2, v146, v2
	v_fma_f32 v6, v143, v196, -v6
	v_add_f32_e32 v7, v9, v7
	v_fmac_f32_e32 v182, v144, v196
	v_add_f32_e32 v9, v10, v181
	s_waitcnt lgkmcnt(0)
	v_mul_f32_e32 v170, v167, v3
	v_mul_f32_e32 v3, v168, v3
	v_fma_f32 v2, v145, v12, -v2
	v_add_f32_e32 v6, v7, v6
	v_fmac_f32_e32 v183, v146, v12
	v_add_f32_e32 v7, v9, v182
	v_fma_f32 v3, v167, v8, -v3
	v_fmac_f32_e32 v170, v168, v8
	v_add_f32_e32 v2, v6, v2
	v_add_f32_e32 v6, v7, v183
	;; [unrolled: 1-line block ×4, first 2 shown]
	s_waitcnt vmcnt(1)
	v_sub_f32_e32 v2, v4, v2
	s_waitcnt vmcnt(0)
	v_sub_f32_e32 v3, v5, v3
	buffer_store_dword v2, off, s[0:3], 0 offset:272
	buffer_store_dword v3, off, s[0:3], 0 offset:276
	v_cmpx_lt_u32_e32 33, v0
	s_cbranch_execz .LBB125_319
; %bb.318:
	s_clause 0x1
	buffer_load_dword v2, off, s[0:3], 0 offset:264
	buffer_load_dword v3, off, s[0:3], 0 offset:268
	buffer_store_dword v1, off, s[0:3], 0 offset:264
	buffer_store_dword v1, off, s[0:3], 0 offset:268
	s_waitcnt vmcnt(0)
	ds_write_b64 v137, v[2:3]
.LBB125_319:
	s_or_b32 exec_lo, exec_lo, s4
	s_waitcnt lgkmcnt(0)
	s_waitcnt_vscnt null, 0x0
	s_barrier
	buffer_gl0_inv
	s_clause 0x39
	buffer_load_dword v157, off, s[0:3], 0 offset:276
	buffer_load_dword v158, off, s[0:3], 0 offset:284
	;; [unrolled: 1-line block ×58, first 2 shown]
	ds_read_b128 v[145:148], v1 offset:768
	ds_read_b128 v[149:152], v1 offset:784
	ds_read_b128 v[153:156], v1 offset:800
	s_mov_b32 s4, exec_lo
	s_waitcnt vmcnt(57) lgkmcnt(2)
	v_mul_f32_e32 v197, v145, v157
	v_mul_f32_e32 v157, v146, v157
	s_waitcnt vmcnt(56)
	v_mul_f32_e32 v198, v147, v158
	v_mul_f32_e32 v158, v148, v158
	s_waitcnt vmcnt(53)
	v_fmac_f32_e32 v197, v146, v161
	v_fma_f32 v157, v145, v161, -v157
	v_fmac_f32_e32 v198, v148, v160
	v_fma_f32 v161, v147, v160, -v158
	ds_read_b128 v[145:148], v1 offset:816
	s_waitcnt vmcnt(52) lgkmcnt(2)
	v_mul_f32_e32 v199, v149, v162
	v_mul_f32_e32 v158, v150, v162
	s_waitcnt vmcnt(51)
	v_mul_f32_e32 v162, v151, v163
	v_mul_f32_e32 v160, v152, v163
	s_waitcnt vmcnt(50) lgkmcnt(1)
	v_mul_f32_e32 v200, v153, v164
	v_mul_f32_e32 v163, v154, v164
	s_waitcnt vmcnt(49)
	v_mul_f32_e32 v201, v155, v165
	v_mul_f32_e32 v164, v156, v165
	v_fmac_f32_e32 v199, v150, v159
	v_fma_f32 v165, v149, v159, -v158
	s_waitcnt vmcnt(45)
	v_fmac_f32_e32 v162, v152, v169
	v_fma_f32 v169, v151, v169, -v160
	ds_read_b128 v[149:152], v1 offset:832
	v_fmac_f32_e32 v200, v154, v168
	v_fma_f32 v168, v153, v168, -v163
	v_fmac_f32_e32 v201, v156, v167
	v_fma_f32 v202, v155, v167, -v164
	ds_read_b128 v[153:156], v1 offset:848
	v_add_f32_e32 v163, 0, v157
	s_waitcnt vmcnt(44) lgkmcnt(2)
	v_mul_f32_e32 v203, v145, v170
	v_mul_f32_e32 v158, v146, v170
	s_waitcnt vmcnt(43)
	v_mul_f32_e32 v170, v147, v171
	v_mul_f32_e32 v159, v148, v171
	v_add_f32_e32 v164, 0, v197
	v_add_f32_e32 v161, v163, v161
	v_fmac_f32_e32 v203, v146, v166
	v_fma_f32 v171, v145, v166, -v158
	s_waitcnt vmcnt(39)
	v_fmac_f32_e32 v170, v148, v175
	v_fma_f32 v175, v147, v175, -v159
	ds_read_b128 v[145:148], v1 offset:864
	ds_read_b128 v[157:160], v1 offset:880
	v_add_f32_e32 v164, v164, v198
	v_add_f32_e32 v161, v161, v165
	s_waitcnt vmcnt(38) lgkmcnt(3)
	v_mul_f32_e32 v197, v149, v176
	v_mul_f32_e32 v163, v150, v176
	s_waitcnt vmcnt(37)
	v_mul_f32_e32 v176, v151, v177
	v_mul_f32_e32 v166, v152, v177
	v_add_f32_e32 v164, v164, v199
	s_waitcnt vmcnt(36) lgkmcnt(2)
	v_mul_f32_e32 v177, v153, v178
	v_mul_f32_e32 v165, v154, v178
	v_fmac_f32_e32 v176, v152, v173
	v_fma_f32 v173, v151, v173, -v166
	v_add_f32_e32 v166, v161, v169
	v_add_f32_e32 v167, v164, v162
	s_waitcnt vmcnt(35)
	v_mul_f32_e32 v169, v156, v179
	v_mul_f32_e32 v198, v155, v179
	v_fmac_f32_e32 v177, v154, v172
	v_fma_f32 v178, v153, v172, -v165
	v_add_f32_e32 v172, v166, v168
	s_waitcnt vmcnt(31)
	v_fma_f32 v179, v155, v182, -v169
	v_add_f32_e32 v169, v167, v200
	v_fmac_f32_e32 v198, v156, v182
	s_waitcnt vmcnt(30) lgkmcnt(1)
	v_mul_f32_e32 v182, v145, v183
	v_add_f32_e32 v172, v172, v202
	v_mul_f32_e32 v183, v146, v183
	v_add_f32_e32 v169, v169, v201
	v_fmac_f32_e32 v197, v150, v174
	v_fmac_f32_e32 v182, v146, v181
	v_add_f32_e32 v146, v172, v171
	v_fma_f32 v174, v149, v174, -v163
	v_add_f32_e32 v169, v169, v203
	v_fma_f32 v181, v145, v181, -v183
	ds_read_b128 v[149:152], v1 offset:896
	ds_read_b128 v[161:164], v1 offset:912
	v_add_f32_e32 v175, v146, v175
	s_waitcnt vmcnt(29)
	v_mul_f32_e32 v199, v147, v184
	v_add_f32_e32 v183, v169, v170
	v_mul_f32_e32 v184, v148, v184
	ds_read_b128 v[153:156], v1 offset:928
	ds_read_b128 v[165:168], v1 offset:944
	v_add_f32_e32 v174, v175, v174
	v_fmac_f32_e32 v199, v148, v180
	v_add_f32_e32 v183, v183, v197
	v_fma_f32 v180, v147, v180, -v184
	ds_read_b128 v[145:148], v1 offset:960
	ds_read_b128 v[169:172], v1 offset:976
	v_add_f32_e32 v173, v174, v173
	s_waitcnt vmcnt(28) lgkmcnt(6)
	v_mul_f32_e32 v1, v157, v185
	v_add_f32_e32 v176, v183, v176
	v_mul_f32_e32 v175, v158, v185
	s_waitcnt vmcnt(27)
	v_mul_f32_e32 v185, v160, v186
	v_add_f32_e32 v173, v173, v178
	v_fmac_f32_e32 v1, v158, v12
	v_add_f32_e32 v176, v176, v177
	v_fma_f32 v12, v157, v12, -v175
	v_mul_f32_e32 v184, v159, v186
	v_add_f32_e32 v173, v173, v179
	s_waitcnt vmcnt(26) lgkmcnt(5)
	v_mul_f32_e32 v174, v149, v143
	v_add_f32_e32 v176, v176, v198
	v_mul_f32_e32 v143, v150, v143
	s_waitcnt vmcnt(11)
	v_fma_f32 v159, v159, v190, -v185
	v_add_f32_e32 v173, v173, v181
	v_fmac_f32_e32 v184, v160, v190
	v_add_f32_e32 v176, v176, v182
	v_mul_f32_e32 v183, v151, v142
	v_mul_f32_e32 v142, v152, v142
	v_add_f32_e32 v158, v173, v180
	v_fma_f32 v143, v149, v189, -v143
	v_add_f32_e32 v173, v176, v199
	v_fmac_f32_e32 v174, v150, v189
	s_waitcnt lgkmcnt(4)
	v_mul_f32_e32 v186, v161, v141
	v_add_f32_e32 v12, v158, v12
	v_mul_f32_e32 v141, v162, v141
	v_add_f32_e32 v1, v173, v1
	v_fma_f32 v142, v151, v188, -v142
	v_fmac_f32_e32 v183, v152, v188
	v_add_f32_e32 v12, v12, v159
	v_mul_f32_e32 v178, v163, v140
	v_add_f32_e32 v1, v1, v184
	v_mul_f32_e32 v140, v164, v140
	v_fma_f32 v141, v161, v187, -v141
	v_add_f32_e32 v12, v12, v143
	v_fmac_f32_e32 v186, v162, v187
	v_add_f32_e32 v1, v1, v174
	s_waitcnt lgkmcnt(3)
	v_mul_f32_e32 v177, v153, v138
	v_mul_f32_e32 v138, v154, v138
	v_add_f32_e32 v12, v12, v142
	s_waitcnt vmcnt(7)
	v_fma_f32 v140, v163, v194, -v140
	v_add_f32_e32 v1, v1, v183
	v_fmac_f32_e32 v178, v164, v194
	v_mul_f32_e32 v197, v155, v11
	v_add_f32_e32 v12, v12, v141
	v_mul_f32_e32 v11, v156, v11
	v_add_f32_e32 v1, v1, v186
	v_fma_f32 v138, v153, v193, -v138
	v_fmac_f32_e32 v177, v154, v193
	v_add_f32_e32 v12, v12, v140
	s_waitcnt lgkmcnt(2)
	v_mul_f32_e32 v179, v165, v10
	v_add_f32_e32 v1, v1, v178
	v_mul_f32_e32 v10, v166, v10
	v_fma_f32 v11, v155, v192, -v11
	v_add_f32_e32 v12, v12, v138
	v_fmac_f32_e32 v197, v156, v192
	v_add_f32_e32 v1, v1, v177
	v_mul_f32_e32 v198, v167, v8
	v_mul_f32_e32 v8, v168, v8
	v_fma_f32 v10, v165, v191, -v10
	v_add_f32_e32 v11, v12, v11
	v_fmac_f32_e32 v179, v166, v191
	v_add_f32_e32 v1, v1, v197
	s_waitcnt lgkmcnt(1)
	v_mul_f32_e32 v200, v145, v7
	v_mul_f32_e32 v7, v146, v7
	s_waitcnt vmcnt(3)
	v_fma_f32 v8, v167, v196, -v8
	v_add_f32_e32 v10, v11, v10
	v_fmac_f32_e32 v198, v168, v196
	v_add_f32_e32 v1, v1, v179
	v_mul_f32_e32 v181, v147, v6
	v_mul_f32_e32 v6, v148, v6
	v_fma_f32 v7, v145, v195, -v7
	v_add_f32_e32 v8, v10, v8
	v_fmac_f32_e32 v200, v146, v195
	v_add_f32_e32 v1, v1, v198
	s_waitcnt lgkmcnt(0)
	v_mul_f32_e32 v182, v169, v5
	v_mul_f32_e32 v5, v170, v5
	v_fma_f32 v6, v147, v144, -v6
	v_add_f32_e32 v7, v8, v7
	v_fmac_f32_e32 v181, v148, v144
	v_add_f32_e32 v1, v1, v200
	v_mul_f32_e32 v157, v171, v2
	v_mul_f32_e32 v2, v172, v2
	v_fma_f32 v5, v169, v139, -v5
	v_add_f32_e32 v6, v7, v6
	v_fmac_f32_e32 v182, v170, v139
	v_add_f32_e32 v1, v1, v181
	s_waitcnt vmcnt(2)
	v_fma_f32 v2, v171, v9, -v2
	v_fmac_f32_e32 v157, v172, v9
	v_add_f32_e32 v5, v6, v5
	v_add_f32_e32 v1, v1, v182
	;; [unrolled: 1-line block ×4, first 2 shown]
	s_waitcnt vmcnt(1)
	v_sub_f32_e32 v2, v3, v2
	s_waitcnt vmcnt(0)
	v_sub_f32_e32 v1, v4, v1
	buffer_store_dword v2, off, s[0:3], 0 offset:264
	buffer_store_dword v1, off, s[0:3], 0 offset:268
	v_cmpx_lt_u32_e32 32, v0
	s_cbranch_execz .LBB125_321
; %bb.320:
	s_clause 0x1
	buffer_load_dword v1, off, s[0:3], 0 offset:256
	buffer_load_dword v2, off, s[0:3], 0 offset:260
	v_mov_b32_e32 v3, 0
	buffer_store_dword v3, off, s[0:3], 0 offset:256
	buffer_store_dword v3, off, s[0:3], 0 offset:260
	s_waitcnt vmcnt(0)
	ds_write_b64 v137, v[1:2]
.LBB125_321:
	s_or_b32 exec_lo, exec_lo, s4
	s_waitcnt lgkmcnt(0)
	s_waitcnt_vscnt null, 0x0
	s_barrier
	buffer_gl0_inv
	s_clause 0x3b
	buffer_load_dword v169, off, s[0:3], 0 offset:268
	buffer_load_dword v170, off, s[0:3], 0 offset:276
	;; [unrolled: 1-line block ×60, first 2 shown]
	v_mov_b32_e32 v1, 0
	ds_read2_b64 v[157:160], v1 offset0:95 offset1:96
	ds_read2_b64 v[161:164], v1 offset0:97 offset1:98
	;; [unrolled: 1-line block ×3, first 2 shown]
	s_mov_b32 s4, exec_lo
	s_waitcnt vmcnt(59) lgkmcnt(2)
	v_mul_f32_e32 v199, v157, v169
	s_waitcnt vmcnt(58)
	v_mul_f32_e32 v200, v159, v170
	v_mul_f32_e32 v169, v158, v169
	;; [unrolled: 1-line block ×3, first 2 shown]
	s_waitcnt vmcnt(55)
	v_fmac_f32_e32 v199, v158, v172
	v_fmac_f32_e32 v200, v160, v171
	v_fma_f32 v169, v157, v172, -v169
	v_fma_f32 v170, v159, v171, -v170
	ds_read2_b64 v[157:160], v1 offset0:101 offset1:102
	s_waitcnt vmcnt(54) lgkmcnt(2)
	v_mul_f32_e32 v201, v161, v153
	v_mul_f32_e32 v153, v162, v153
	s_waitcnt vmcnt(53)
	v_mul_f32_e32 v202, v163, v152
	v_mul_f32_e32 v152, v164, v152
	s_waitcnt vmcnt(47) lgkmcnt(1)
	v_mul_f32_e32 v171, v168, v176
	v_fmac_f32_e32 v201, v162, v148
	v_fma_f32 v148, v161, v148, -v153
	v_fmac_f32_e32 v202, v164, v175
	v_fma_f32 v152, v163, v175, -v152
	ds_read2_b64 v[161:164], v1 offset0:103 offset1:104
	v_mul_f32_e32 v203, v167, v176
	v_mul_f32_e32 v153, v165, v150
	;; [unrolled: 1-line block ×3, first 2 shown]
	v_fma_f32 v204, v167, v173, -v171
	v_fmac_f32_e32 v203, v168, v173
	v_add_f32_e32 v173, 0, v199
	v_fmac_f32_e32 v153, v166, v174
	v_fma_f32 v150, v165, v174, -v150
	s_waitcnt vmcnt(46) lgkmcnt(1)
	v_mul_f32_e32 v205, v157, v177
	v_mul_f32_e32 v171, v158, v177
	ds_read2_b64 v[165:168], v1 offset0:105 offset1:106
	v_add_f32_e32 v173, v173, v200
	s_waitcnt vmcnt(45)
	v_mul_f32_e32 v206, v159, v178
	v_fmac_f32_e32 v205, v158, v155
	v_add_f32_e32 v158, 0, v169
	v_mul_f32_e32 v172, v160, v178
	v_add_f32_e32 v173, v173, v201
	s_waitcnt vmcnt(41)
	v_fmac_f32_e32 v206, v160, v181
	v_fma_f32 v155, v157, v155, -v171
	v_add_f32_e32 v174, v158, v170
	v_fma_f32 v181, v159, v181, -v172
	v_add_f32_e32 v173, v173, v202
	ds_read2_b64 v[157:160], v1 offset0:107 offset1:108
	ds_read2_b64 v[169:172], v1 offset0:109 offset1:110
	s_waitcnt vmcnt(40) lgkmcnt(3)
	v_mul_f32_e32 v199, v161, v182
	v_add_f32_e32 v148, v174, v148
	v_mul_f32_e32 v174, v162, v182
	v_add_f32_e32 v153, v173, v153
	s_waitcnt vmcnt(39)
	v_mul_f32_e32 v175, v164, v183
	v_mul_f32_e32 v200, v163, v183
	v_add_f32_e32 v148, v148, v152
	s_waitcnt vmcnt(37) lgkmcnt(2)
	v_mul_f32_e32 v152, v167, v149
	v_mul_f32_e32 v149, v168, v149
	v_fma_f32 v182, v161, v180, -v174
	v_fmac_f32_e32 v199, v162, v180
	v_add_f32_e32 v148, v148, v150
	v_add_f32_e32 v150, v153, v203
	s_waitcnt vmcnt(33)
	v_fma_f32 v153, v167, v187, -v149
	v_mul_f32_e32 v201, v165, v184
	v_mul_f32_e32 v177, v166, v184
	v_add_f32_e32 v148, v148, v204
	v_add_f32_e32 v149, v150, v205
	v_fma_f32 v202, v163, v179, -v175
	s_waitcnt vmcnt(32) lgkmcnt(1)
	v_mul_f32_e32 v150, v157, v188
	v_mul_f32_e32 v183, v158, v188
	v_add_f32_e32 v148, v148, v155
	v_add_f32_e32 v149, v149, v206
	v_fmac_f32_e32 v200, v164, v179
	v_fmac_f32_e32 v152, v168, v187
	;; [unrolled: 1-line block ×3, first 2 shown]
	v_add_f32_e32 v148, v148, v181
	v_add_f32_e32 v187, v149, v199
	v_fma_f32 v145, v165, v145, -v177
	ds_read2_b64 v[161:164], v1 offset0:111 offset1:112
	ds_read2_b64 v[173:176], v1 offset0:113 offset1:114
	s_waitcnt vmcnt(31)
	v_mul_f32_e32 v155, v159, v189
	v_add_f32_e32 v188, v148, v182
	v_add_f32_e32 v187, v187, v200
	v_mul_f32_e32 v184, v160, v189
	v_fmac_f32_e32 v150, v158, v186
	v_fma_f32 v186, v157, v186, -v183
	v_add_f32_e32 v188, v188, v202
	v_add_f32_e32 v187, v187, v201
	v_fmac_f32_e32 v155, v160, v185
	v_fma_f32 v185, v159, v185, -v184
	s_waitcnt vmcnt(30) lgkmcnt(2)
	v_mul_f32_e32 v189, v169, v143
	v_add_f32_e32 v145, v188, v145
	v_add_f32_e32 v152, v187, v152
	v_mul_f32_e32 v143, v170, v143
	s_waitcnt vmcnt(29)
	v_mul_f32_e32 v199, v171, v144
	v_mul_f32_e32 v144, v172, v144
	v_add_f32_e32 v145, v145, v153
	v_add_f32_e32 v150, v152, v150
	v_fmac_f32_e32 v189, v170, v139
	v_fma_f32 v139, v169, v139, -v143
	s_waitcnt vmcnt(28) lgkmcnt(1)
	v_mul_f32_e32 v200, v161, v140
	v_add_f32_e32 v145, v145, v186
	v_add_f32_e32 v150, v150, v155
	v_mul_f32_e32 v140, v162, v140
	s_waitcnt vmcnt(20)
	v_fma_f32 v144, v171, v193, -v144
	ds_read2_b64 v[165:168], v1 offset0:115 offset1:116
	ds_read2_b64 v[177:180], v1 offset0:117 offset1:118
	v_add_f32_e32 v145, v145, v185
	v_fmac_f32_e32 v199, v172, v193
	v_mul_f32_e32 v188, v163, v10
	v_mul_f32_e32 v10, v164, v10
	v_fma_f32 v140, v161, v192, -v140
	v_add_f32_e32 v139, v145, v139
	v_add_f32_e32 v145, v150, v189
	v_fmac_f32_e32 v200, v162, v192
	s_waitcnt lgkmcnt(2)
	v_mul_f32_e32 v143, v173, v8
	v_mul_f32_e32 v8, v174, v8
	v_add_f32_e32 v139, v139, v144
	v_add_f32_e32 v144, v145, v199
	v_fma_f32 v10, v163, v191, -v10
	v_fmac_f32_e32 v188, v164, v191
	v_mul_f32_e32 v169, v175, v6
	v_add_f32_e32 v139, v139, v140
	v_add_f32_e32 v140, v144, v200
	v_mul_f32_e32 v6, v176, v6
	v_fma_f32 v8, v173, v190, -v8
	v_fmac_f32_e32 v143, v174, v190
	v_add_f32_e32 v10, v139, v10
	v_add_f32_e32 v139, v140, v188
	s_waitcnt lgkmcnt(1)
	v_mul_f32_e32 v153, v165, v5
	v_mul_f32_e32 v5, v166, v5
	s_waitcnt vmcnt(8)
	v_fma_f32 v6, v175, v198, -v6
	v_add_f32_e32 v8, v10, v8
	v_fmac_f32_e32 v169, v176, v198
	v_add_f32_e32 v10, v139, v143
	ds_read2_b64 v[157:160], v1 offset0:119 offset1:120
	ds_read2_b64 v[181:184], v1 offset0:121 offset1:122
	ds_read_b64 v[148:149], v1 offset:984
	v_mul_f32_e32 v139, v168, v194
	v_fma_f32 v5, v165, v197, -v5
	v_add_f32_e32 v6, v8, v6
	v_mul_f32_e32 v170, v167, v194
	v_fmac_f32_e32 v153, v166, v197
	v_add_f32_e32 v8, v10, v169
	s_waitcnt lgkmcnt(3)
	v_mul_f32_e32 v10, v178, v195
	v_fma_f32 v139, v167, v196, -v139
	v_add_f32_e32 v5, v6, v5
	v_mul_f32_e32 v171, v177, v195
	v_fmac_f32_e32 v170, v168, v196
	v_add_f32_e32 v6, v8, v153
	v_mul_f32_e32 v8, v180, v151
	v_fma_f32 v10, v177, v156, -v10
	v_add_f32_e32 v5, v5, v139
	v_mul_f32_e32 v152, v179, v151
	v_fmac_f32_e32 v171, v178, v156
	v_add_f32_e32 v6, v6, v170
	s_waitcnt lgkmcnt(2)
	v_mul_f32_e32 v139, v158, v146
	s_waitcnt vmcnt(4)
	v_fma_f32 v8, v179, v154, -v8
	v_add_f32_e32 v5, v5, v10
	v_mul_f32_e32 v172, v157, v146
	v_fmac_f32_e32 v152, v180, v154
	v_add_f32_e32 v6, v6, v171
	v_mul_f32_e32 v10, v160, v142
	v_fma_f32 v139, v157, v147, -v139
	v_add_f32_e32 v5, v5, v8
	v_mul_f32_e32 v186, v159, v142
	v_fmac_f32_e32 v172, v158, v147
	v_add_f32_e32 v6, v6, v152
	s_waitcnt lgkmcnt(1)
	v_mul_f32_e32 v8, v182, v138
	v_fma_f32 v10, v159, v141, -v10
	v_add_f32_e32 v5, v5, v139
	v_mul_f32_e32 v155, v181, v138
	v_fmac_f32_e32 v186, v160, v141
	v_add_f32_e32 v6, v6, v172
	v_mul_f32_e32 v185, v183, v9
	v_mul_f32_e32 v9, v184, v9
	v_fma_f32 v8, v181, v12, -v8
	v_add_f32_e32 v5, v5, v10
	v_fmac_f32_e32 v155, v182, v12
	v_add_f32_e32 v6, v6, v186
	s_waitcnt lgkmcnt(0)
	v_mul_f32_e32 v150, v148, v4
	v_mul_f32_e32 v4, v149, v4
	s_waitcnt vmcnt(2)
	v_fma_f32 v9, v183, v11, -v9
	v_add_f32_e32 v5, v5, v8
	v_fmac_f32_e32 v185, v184, v11
	v_add_f32_e32 v6, v6, v155
	v_fma_f32 v4, v148, v7, -v4
	v_fmac_f32_e32 v150, v149, v7
	v_add_f32_e32 v5, v5, v9
	v_add_f32_e32 v6, v6, v185
	;; [unrolled: 1-line block ×4, first 2 shown]
	s_waitcnt vmcnt(1)
	v_sub_f32_e32 v2, v2, v4
	s_waitcnt vmcnt(0)
	v_sub_f32_e32 v3, v3, v5
	buffer_store_dword v2, off, s[0:3], 0 offset:256
	buffer_store_dword v3, off, s[0:3], 0 offset:260
	v_cmpx_lt_u32_e32 31, v0
	s_cbranch_execz .LBB125_323
; %bb.322:
	s_clause 0x1
	buffer_load_dword v2, off, s[0:3], 0 offset:248
	buffer_load_dword v3, off, s[0:3], 0 offset:252
	buffer_store_dword v1, off, s[0:3], 0 offset:248
	buffer_store_dword v1, off, s[0:3], 0 offset:252
	s_waitcnt vmcnt(0)
	ds_write_b64 v137, v[2:3]
.LBB125_323:
	s_or_b32 exec_lo, exec_lo, s4
	s_waitcnt lgkmcnt(0)
	s_waitcnt_vscnt null, 0x0
	s_barrier
	buffer_gl0_inv
	s_clause 0x3d
	buffer_load_dword v167, off, s[0:3], 0 offset:260
	buffer_load_dword v168, off, s[0:3], 0 offset:268
	;; [unrolled: 1-line block ×62, first 2 shown]
	ds_read_b128 v[159:162], v1 offset:752
	ds_read_b128 v[163:166], v1 offset:768
	s_mov_b32 s4, exec_lo
	s_waitcnt vmcnt(61) lgkmcnt(1)
	v_mul_f32_e32 v178, v159, v167
	s_waitcnt vmcnt(60)
	v_mul_f32_e32 v198, v161, v168
	v_mul_f32_e32 v167, v160, v167
	;; [unrolled: 1-line block ×3, first 2 shown]
	s_waitcnt vmcnt(57)
	v_fmac_f32_e32 v178, v160, v170
	v_fmac_f32_e32 v198, v162, v169
	v_fma_f32 v167, v159, v170, -v167
	v_fma_f32 v199, v161, v169, -v168
	ds_read_b128 v[159:162], v1 offset:784
	s_waitcnt vmcnt(56) lgkmcnt(1)
	v_mul_f32_e32 v200, v163, v171
	v_mul_f32_e32 v168, v164, v171
	s_waitcnt vmcnt(55)
	v_mul_f32_e32 v201, v165, v172
	v_mul_f32_e32 v169, v166, v172
	v_fmac_f32_e32 v200, v164, v156
	v_fma_f32 v156, v163, v156, -v168
	s_waitcnt vmcnt(51)
	v_fmac_f32_e32 v201, v166, v173
	v_fma_f32 v202, v165, v173, -v169
	ds_read_b128 v[163:166], v1 offset:800
	s_waitcnt vmcnt(49) lgkmcnt(1)
	v_mul_f32_e32 v204, v161, v151
	v_mul_f32_e32 v151, v162, v151
	;; [unrolled: 1-line block ×4, first 2 shown]
	v_fmac_f32_e32 v204, v162, v146
	v_fma_f32 v146, v161, v146, -v151
	v_fmac_f32_e32 v203, v160, v147
	v_fma_f32 v147, v159, v147, -v152
	ds_read_b128 v[159:162], v1 offset:816
	s_waitcnt vmcnt(48) lgkmcnt(1)
	v_mul_f32_e32 v205, v163, v11
	v_mul_f32_e32 v11, v164, v11
	s_waitcnt vmcnt(47)
	v_mul_f32_e32 v206, v165, v174
	v_mul_f32_e32 v151, v166, v174
	v_add_f32_e32 v152, 0, v178
	v_fmac_f32_e32 v205, v164, v7
	v_fma_f32 v7, v163, v7, -v11
	s_waitcnt vmcnt(43)
	v_fmac_f32_e32 v206, v166, v175
	v_fma_f32 v11, v165, v175, -v151
	ds_read_b128 v[163:166], v1 offset:832
	v_add_f32_e32 v151, 0, v167
	v_add_f32_e32 v152, v152, v198
	ds_read_b128 v[167:170], v1 offset:848
	ds_read_b128 v[171:174], v1 offset:864
	v_add_f32_e32 v151, v151, v199
	v_add_f32_e32 v152, v152, v200
	s_waitcnt vmcnt(42) lgkmcnt(3)
	v_mul_f32_e32 v199, v159, v158
	v_add_f32_e32 v151, v151, v156
	v_add_f32_e32 v152, v152, v201
	v_mul_f32_e32 v158, v160, v158
	s_waitcnt vmcnt(41)
	v_mul_f32_e32 v198, v161, v150
	v_mul_f32_e32 v150, v162, v150
	v_add_f32_e32 v151, v151, v202
	v_fmac_f32_e32 v199, v160, v153
	v_fma_f32 v156, v159, v153, -v158
	v_fmac_f32_e32 v198, v162, v9
	s_waitcnt vmcnt(40) lgkmcnt(2)
	v_mul_f32_e32 v200, v163, v148
	v_mul_f32_e32 v148, v164, v148
	v_add_f32_e32 v147, v151, v147
	v_add_f32_e32 v151, v152, v203
	s_waitcnt vmcnt(39)
	v_mul_f32_e32 v201, v165, v154
	v_fmac_f32_e32 v200, v164, v8
	v_fma_f32 v148, v163, v8, -v148
	v_add_f32_e32 v8, v147, v146
	v_add_f32_e32 v146, v151, v204
	v_mul_f32_e32 v154, v166, v154
	s_waitcnt vmcnt(38) lgkmcnt(1)
	v_mul_f32_e32 v202, v167, v142
	v_mul_f32_e32 v142, v168, v142
	v_add_f32_e32 v7, v8, v7
	v_add_f32_e32 v8, v146, v205
	v_fma_f32 v9, v161, v9, -v150
	s_waitcnt vmcnt(32) lgkmcnt(0)
	v_mul_f32_e32 v146, v171, v140
	v_mul_f32_e32 v140, v172, v140
	v_add_f32_e32 v7, v7, v11
	v_add_f32_e32 v8, v8, v206
	v_mul_f32_e32 v11, v169, v143
	v_fmac_f32_e32 v201, v166, v177
	v_fma_f32 v147, v165, v177, -v154
	v_add_f32_e32 v7, v7, v156
	v_fma_f32 v154, v167, v176, -v142
	s_waitcnt vmcnt(31)
	v_mul_f32_e32 v166, v174, v141
	v_add_f32_e32 v167, v8, v199
	v_mul_f32_e32 v142, v170, v143
	v_fmac_f32_e32 v11, v170, v12
	v_fma_f32 v170, v171, v10, -v140
	v_add_f32_e32 v171, v7, v9
	v_mul_f32_e32 v156, v173, v141
	v_fmac_f32_e32 v146, v172, v10
	s_waitcnt vmcnt(27)
	v_fma_f32 v172, v173, v182, -v166
	v_add_f32_e32 v173, v167, v198
	v_add_f32_e32 v148, v171, v148
	ds_read_b128 v[150:153], v1 offset:880
	ds_read_b128 v[158:161], v1 offset:896
	v_fmac_f32_e32 v202, v168, v176
	v_fma_f32 v12, v169, v12, -v142
	v_add_f32_e32 v173, v173, v200
	v_add_f32_e32 v147, v148, v147
	ds_read_b128 v[162:165], v1 offset:912
	ds_read_b128 v[175:178], v1 offset:928
	ds_read_b128 v[7:10], v1 offset:944
	ds_read_b128 v[140:143], v1 offset:960
	v_fmac_f32_e32 v156, v174, v182
	v_add_f32_e32 v173, v173, v201
	v_add_f32_e32 v147, v147, v154
	ds_read_b128 v[166:169], v1 offset:976
	v_add_f32_e32 v173, v173, v202
	v_add_f32_e32 v12, v147, v12
	;; [unrolled: 1-line block ×3, first 2 shown]
	s_waitcnt vmcnt(26) lgkmcnt(6)
	v_mul_f32_e32 v171, v151, v183
	v_add_f32_e32 v12, v12, v170
	v_mul_f32_e32 v1, v150, v183
	s_waitcnt vmcnt(25)
	v_mul_f32_e32 v182, v153, v184
	v_add_f32_e32 v11, v11, v146
	v_fma_f32 v150, v150, v181, -v171
	v_add_f32_e32 v12, v12, v172
	v_mul_f32_e32 v174, v152, v184
	v_fmac_f32_e32 v1, v151, v181
	v_add_f32_e32 v11, v11, v156
	s_waitcnt vmcnt(24) lgkmcnt(5)
	v_mul_f32_e32 v156, v159, v185
	v_fma_f32 v152, v152, v180, -v182
	v_add_f32_e32 v12, v12, v150
	v_mul_f32_e32 v148, v158, v185
	v_fmac_f32_e32 v174, v153, v180
	v_add_f32_e32 v1, v11, v1
	s_waitcnt vmcnt(23)
	v_mul_f32_e32 v11, v161, v186
	v_fma_f32 v150, v158, v179, -v156
	v_add_f32_e32 v12, v12, v152
	v_mul_f32_e32 v183, v160, v186
	v_fmac_f32_e32 v148, v159, v179
	v_add_f32_e32 v1, v1, v174
	s_waitcnt vmcnt(22) lgkmcnt(4)
	v_mul_f32_e32 v152, v163, v187
	s_waitcnt vmcnt(9)
	v_fma_f32 v11, v160, v192, -v11
	v_add_f32_e32 v12, v12, v150
	v_mul_f32_e32 v184, v162, v187
	v_fmac_f32_e32 v183, v161, v192
	v_add_f32_e32 v1, v1, v148
	v_mul_f32_e32 v148, v165, v188
	v_fma_f32 v150, v162, v191, -v152
	v_add_f32_e32 v11, v12, v11
	v_mul_f32_e32 v154, v164, v188
	v_fmac_f32_e32 v184, v163, v191
	v_add_f32_e32 v1, v1, v183
	s_waitcnt lgkmcnt(3)
	v_mul_f32_e32 v12, v176, v189
	v_fma_f32 v148, v164, v190, -v148
	v_add_f32_e32 v11, v11, v150
	v_mul_f32_e32 v198, v175, v189
	v_fmac_f32_e32 v154, v165, v190
	v_add_f32_e32 v1, v1, v184
	v_mul_f32_e32 v199, v177, v149
	v_mul_f32_e32 v149, v178, v149
	v_fma_f32 v12, v175, v157, -v12
	v_add_f32_e32 v11, v11, v148
	v_fmac_f32_e32 v198, v176, v157
	v_add_f32_e32 v1, v1, v154
	s_waitcnt lgkmcnt(2)
	v_mul_f32_e32 v147, v7, v144
	v_mul_f32_e32 v144, v8, v144
	s_waitcnt vmcnt(5)
	v_fma_f32 v148, v177, v155, -v149
	v_add_f32_e32 v11, v11, v12
	v_fmac_f32_e32 v199, v178, v155
	v_add_f32_e32 v1, v1, v198
	v_mul_f32_e32 v12, v10, v138
	v_fmac_f32_e32 v147, v8, v145
	v_fma_f32 v7, v7, v145, -v144
	v_add_f32_e32 v8, v11, v148
	v_mul_f32_e32 v173, v9, v138
	v_add_f32_e32 v1, v1, v199
	s_waitcnt lgkmcnt(1)
	v_mul_f32_e32 v200, v140, v6
	v_mul_f32_e32 v6, v141, v6
	v_fma_f32 v9, v9, v139, -v12
	v_add_f32_e32 v7, v8, v7
	v_fmac_f32_e32 v173, v10, v139
	v_add_f32_e32 v1, v1, v147
	v_mul_f32_e32 v170, v142, v4
	v_mul_f32_e32 v4, v143, v4
	v_fmac_f32_e32 v200, v141, v5
	v_fma_f32 v5, v140, v5, -v6
	v_add_f32_e32 v6, v7, v9
	v_add_f32_e32 v1, v1, v173
	s_waitcnt lgkmcnt(0)
	v_mul_f32_e32 v146, v166, v3
	v_mul_f32_e32 v3, v167, v3
	s_waitcnt vmcnt(2)
	v_fma_f32 v4, v142, v195, -v4
	v_add_f32_e32 v5, v6, v5
	v_fmac_f32_e32 v170, v143, v195
	v_add_f32_e32 v1, v1, v200
	v_mul_f32_e32 v151, v168, v2
	v_mul_f32_e32 v2, v169, v2
	v_fma_f32 v3, v166, v194, -v3
	v_add_f32_e32 v4, v5, v4
	v_fmac_f32_e32 v146, v167, v194
	v_add_f32_e32 v1, v1, v170
	v_fma_f32 v2, v168, v193, -v2
	v_fmac_f32_e32 v151, v169, v193
	v_add_f32_e32 v3, v4, v3
	v_add_f32_e32 v1, v1, v146
	;; [unrolled: 1-line block ×4, first 2 shown]
	s_waitcnt vmcnt(1)
	v_sub_f32_e32 v2, v196, v2
	s_waitcnt vmcnt(0)
	v_sub_f32_e32 v1, v197, v1
	buffer_store_dword v2, off, s[0:3], 0 offset:248
	buffer_store_dword v1, off, s[0:3], 0 offset:252
	v_cmpx_lt_u32_e32 30, v0
	s_cbranch_execz .LBB125_325
; %bb.324:
	s_clause 0x1
	buffer_load_dword v1, off, s[0:3], 0 offset:240
	buffer_load_dword v2, off, s[0:3], 0 offset:244
	v_mov_b32_e32 v3, 0
	buffer_store_dword v3, off, s[0:3], 0 offset:240
	buffer_store_dword v3, off, s[0:3], 0 offset:244
	s_waitcnt vmcnt(0)
	ds_write_b64 v137, v[1:2]
.LBB125_325:
	s_or_b32 exec_lo, exec_lo, s4
	s_waitcnt lgkmcnt(0)
	s_waitcnt_vscnt null, 0x0
	s_barrier
	buffer_gl0_inv
	s_clause 0x3e
	buffer_load_dword v7, off, s[0:3], 0 offset:252
	buffer_load_dword v8, off, s[0:3], 0 offset:260
	;; [unrolled: 1-line block ×64, first 2 shown]
	v_mov_b32_e32 v1, 0
	ds_read2_b64 v[177:180], v1 offset0:93 offset1:94
	ds_read2_b64 v[181:184], v1 offset0:95 offset1:96
	s_mov_b32 s4, exec_lo
	ds_read2_b64 v[189:192], v1 offset0:107 offset1:108
	s_waitcnt vmcnt(62) lgkmcnt(2)
	v_mul_f32_e32 v185, v177, v7
	v_mul_f32_e32 v186, v179, v8
	;; [unrolled: 1-line block ×4, first 2 shown]
	s_waitcnt vmcnt(59)
	v_fmac_f32_e32 v185, v178, v141
	v_fmac_f32_e32 v186, v180, v140
	v_fma_f32 v7, v177, v141, -v7
	v_fma_f32 v8, v179, v140, -v8
	ds_read2_b64 v[177:180], v1 offset0:97 offset1:98
	s_waitcnt vmcnt(58) lgkmcnt(2)
	v_mul_f32_e32 v140, v181, v11
	s_waitcnt vmcnt(57)
	v_mul_f32_e32 v141, v183, v12
	v_mul_f32_e32 v11, v182, v11
	v_mul_f32_e32 v12, v184, v12
	v_add_f32_e32 v7, 0, v7
	v_fmac_f32_e32 v140, v182, v5
	s_waitcnt vmcnt(53)
	v_fmac_f32_e32 v141, v184, v167
	v_fma_f32 v5, v181, v5, -v11
	v_fma_f32 v11, v183, v167, -v12
	ds_read2_b64 v[181:184], v1 offset0:99 offset1:100
	v_add_f32_e32 v7, v7, v8
	v_add_f32_e32 v5, v7, v5
	s_waitcnt vmcnt(51) lgkmcnt(1)
	v_mul_f32_e32 v167, v179, v165
	v_mul_f32_e32 v165, v180, v165
	v_mul_f32_e32 v12, v177, v166
	v_mul_f32_e32 v166, v178, v166
	v_add_f32_e32 v5, v5, v11
	v_fmac_f32_e32 v167, v180, v158
	v_fma_f32 v158, v179, v158, -v165
	v_fmac_f32_e32 v12, v178, v162
	v_fma_f32 v162, v177, v162, -v166
	ds_read2_b64 v[177:180], v1 offset0:101 offset1:102
	s_waitcnt vmcnt(50) lgkmcnt(1)
	v_mul_f32_e32 v165, v181, v161
	v_mul_f32_e32 v161, v182, v161
	s_waitcnt vmcnt(49)
	v_mul_f32_e32 v207, v183, v159
	v_mul_f32_e32 v159, v184, v159
	v_add_f32_e32 v5, v5, v162
	v_fmac_f32_e32 v165, v182, v152
	v_fma_f32 v152, v181, v152, -v161
	v_add_f32_e32 v161, 0, v185
	s_waitcnt vmcnt(45)
	v_fmac_f32_e32 v207, v184, v175
	v_fma_f32 v159, v183, v175, -v159
	ds_read2_b64 v[181:184], v1 offset0:103 offset1:104
	v_add_f32_e32 v5, v5, v158
	v_add_f32_e32 v161, v161, v186
	ds_read2_b64 v[185:188], v1 offset0:105 offset1:106
	v_add_f32_e32 v5, v5, v152
	v_add_f32_e32 v8, v161, v140
	s_waitcnt vmcnt(44) lgkmcnt(2)
	v_mul_f32_e32 v161, v178, v173
	v_mul_f32_e32 v140, v177, v173
	v_add_f32_e32 v5, v5, v159
	v_add_f32_e32 v7, v8, v141
	s_waitcnt vmcnt(43)
	v_mul_f32_e32 v11, v179, v169
	v_fma_f32 v8, v177, v170, -v161
	v_fmac_f32_e32 v140, v178, v170
	v_add_f32_e32 v7, v7, v12
	v_mul_f32_e32 v12, v180, v169
	v_add_f32_e32 v5, v5, v8
	s_waitcnt vmcnt(42) lgkmcnt(1)
	v_mul_f32_e32 v141, v181, v168
	v_mul_f32_e32 v161, v182, v168
	v_add_f32_e32 v7, v7, v167
	v_fma_f32 v12, v179, v150, -v12
	v_fmac_f32_e32 v11, v180, v150
	s_waitcnt vmcnt(41)
	v_mul_f32_e32 v169, v184, v171
	v_fmac_f32_e32 v141, v182, v148
	v_add_f32_e32 v7, v7, v165
	v_fma_f32 v148, v181, v148, -v161
	v_add_f32_e32 v5, v5, v12
	v_mul_f32_e32 v162, v183, v171
	s_waitcnt vmcnt(40) lgkmcnt(0)
	v_mul_f32_e32 v150, v186, v160
	v_add_f32_e32 v7, v7, v207
	s_waitcnt vmcnt(36)
	v_fma_f32 v169, v183, v176, -v169
	v_add_f32_e32 v5, v5, v148
	v_mul_f32_e32 v170, v185, v160
	ds_read2_b64 v[165:168], v1 offset0:109 offset1:110
	ds_read2_b64 v[177:180], v1 offset0:111 offset1:112
	v_add_f32_e32 v7, v7, v140
	v_fmac_f32_e32 v162, v184, v176
	v_fma_f32 v171, v185, v174, -v150
	s_waitcnt vmcnt(35)
	v_mul_f32_e32 v150, v188, v163
	v_add_f32_e32 v5, v5, v169
	v_add_f32_e32 v7, v7, v11
	v_fmac_f32_e32 v170, v186, v174
	v_mul_f32_e32 v140, v187, v163
	s_waitcnt vmcnt(34)
	v_mul_f32_e32 v163, v189, v156
	s_waitcnt vmcnt(33)
	v_mul_f32_e32 v11, v191, v157
	v_add_f32_e32 v12, v7, v141
	v_mul_f32_e32 v8, v190, v156
	v_mul_f32_e32 v156, v192, v157
	v_fma_f32 v157, v187, v153, -v150
	v_add_f32_e32 v5, v5, v171
	v_add_f32_e32 v12, v12, v162
	v_fmac_f32_e32 v140, v188, v153
	v_fma_f32 v189, v189, v151, -v8
	v_fmac_f32_e32 v163, v190, v151
	v_add_f32_e32 v5, v5, v157
	v_add_f32_e32 v12, v12, v170
	s_waitcnt vmcnt(28)
	v_fma_f32 v141, v191, v164, -v156
	s_waitcnt vmcnt(27) lgkmcnt(1)
	v_mul_f32_e32 v148, v165, v154
	v_mul_f32_e32 v154, v166, v154
	v_add_f32_e32 v5, v5, v189
	v_add_f32_e32 v12, v12, v140
	ds_read2_b64 v[158:161], v1 offset0:113 offset1:114
	ds_read2_b64 v[173:176], v1 offset0:115 offset1:116
	v_fmac_f32_e32 v11, v192, v164
	s_waitcnt vmcnt(26)
	v_mul_f32_e32 v156, v167, v155
	v_mul_f32_e32 v155, v168, v155
	v_add_f32_e32 v12, v12, v163
	v_fmac_f32_e32 v148, v166, v149
	v_fma_f32 v149, v165, v149, -v154
	v_add_f32_e32 v5, v5, v141
	s_waitcnt lgkmcnt(2)
	v_mul_f32_e32 v162, v177, v147
	v_add_f32_e32 v11, v12, v11
	v_mul_f32_e32 v147, v178, v147
	v_fmac_f32_e32 v156, v168, v146
	v_fma_f32 v146, v167, v146, -v155
	v_add_f32_e32 v5, v5, v149
	v_add_f32_e32 v11, v11, v148
	s_waitcnt vmcnt(25)
	v_mul_f32_e32 v12, v180, v145
	v_fmac_f32_e32 v162, v178, v2
	v_fma_f32 v2, v177, v2, -v147
	v_add_f32_e32 v5, v5, v146
	v_mul_f32_e32 v164, v179, v145
	v_add_f32_e32 v11, v11, v156
	s_waitcnt vmcnt(24) lgkmcnt(1)
	v_mul_f32_e32 v154, v158, v144
	v_mul_f32_e32 v144, v159, v144
	s_waitcnt vmcnt(13)
	v_fma_f32 v12, v179, v193, -v12
	v_add_f32_e32 v2, v5, v2
	ds_read2_b64 v[150:153], v1 offset0:117 offset1:118
	ds_read2_b64 v[181:184], v1 offset0:119 offset1:120
	v_fmac_f32_e32 v164, v180, v193
	v_add_f32_e32 v5, v11, v162
	v_mul_f32_e32 v140, v160, v142
	v_mul_f32_e32 v11, v161, v142
	s_waitcnt vmcnt(10)
	v_fma_f32 v142, v158, v196, -v144
	v_add_f32_e32 v2, v2, v12
	v_fmac_f32_e32 v154, v159, v196
	v_add_f32_e32 v5, v5, v164
	s_waitcnt lgkmcnt(2)
	v_mul_f32_e32 v12, v174, v143
	v_fma_f32 v11, v160, v195, -v11
	v_add_f32_e32 v2, v2, v142
	v_mul_f32_e32 v157, v173, v143
	v_fmac_f32_e32 v140, v161, v195
	v_add_f32_e32 v5, v5, v154
	v_mul_f32_e32 v155, v175, v139
	v_mul_f32_e32 v139, v176, v139
	v_fma_f32 v12, v173, v194, -v12
	v_add_f32_e32 v2, v2, v11
	v_fmac_f32_e32 v157, v174, v194
	v_add_f32_e32 v5, v5, v140
	s_waitcnt lgkmcnt(1)
	v_mul_f32_e32 v165, v150, v138
	v_mul_f32_e32 v11, v151, v138
	s_waitcnt vmcnt(6)
	v_fma_f32 v138, v175, v200, -v139
	v_add_f32_e32 v2, v2, v12
	ds_read2_b64 v[185:188], v1 offset0:121 offset1:122
	ds_read_b64 v[7:8], v1 offset:984
	v_fmac_f32_e32 v155, v176, v200
	v_add_f32_e32 v5, v5, v157
	v_mul_f32_e32 v163, v152, v10
	v_mul_f32_e32 v10, v153, v10
	v_fma_f32 v11, v150, v199, -v11
	v_add_f32_e32 v2, v2, v138
	v_fmac_f32_e32 v165, v151, v199
	v_add_f32_e32 v5, v5, v155
	s_waitcnt lgkmcnt(2)
	v_mul_f32_e32 v166, v181, v9
	v_mul_f32_e32 v9, v182, v9
	v_fma_f32 v10, v152, v198, -v10
	v_add_f32_e32 v2, v2, v11
	v_fmac_f32_e32 v163, v153, v198
	v_add_f32_e32 v5, v5, v165
	v_mul_f32_e32 v167, v183, v6
	v_mul_f32_e32 v6, v184, v6
	v_fma_f32 v9, v181, v197, -v9
	v_add_f32_e32 v2, v2, v10
	v_fmac_f32_e32 v166, v182, v197
	v_add_f32_e32 v5, v5, v163
	s_waitcnt lgkmcnt(1)
	v_mul_f32_e32 v141, v185, v4
	v_mul_f32_e32 v4, v186, v4
	s_waitcnt vmcnt(2)
	v_fma_f32 v6, v183, v204, -v6
	v_add_f32_e32 v2, v2, v9
	v_fmac_f32_e32 v167, v184, v204
	v_add_f32_e32 v5, v5, v166
	v_mul_f32_e32 v145, v187, v3
	v_mul_f32_e32 v3, v188, v3
	v_fma_f32 v4, v185, v203, -v4
	v_add_f32_e32 v2, v2, v6
	v_fmac_f32_e32 v141, v186, v203
	v_add_f32_e32 v5, v5, v167
	s_waitcnt lgkmcnt(0)
	v_mul_f32_e32 v6, v8, v172
	v_fma_f32 v3, v187, v202, -v3
	v_add_f32_e32 v2, v2, v4
	v_mul_f32_e32 v148, v7, v172
	v_fmac_f32_e32 v145, v188, v202
	v_add_f32_e32 v4, v5, v141
	v_fma_f32 v5, v7, v201, -v6
	v_add_f32_e32 v2, v2, v3
	v_fmac_f32_e32 v148, v8, v201
	v_add_f32_e32 v3, v4, v145
	v_add_f32_e32 v2, v2, v5
	;; [unrolled: 1-line block ×3, first 2 shown]
	s_waitcnt vmcnt(1)
	v_sub_f32_e32 v2, v205, v2
	s_waitcnt vmcnt(0)
	v_sub_f32_e32 v3, v206, v3
	buffer_store_dword v2, off, s[0:3], 0 offset:240
	buffer_store_dword v3, off, s[0:3], 0 offset:244
	v_cmpx_lt_u32_e32 29, v0
	s_cbranch_execz .LBB125_327
; %bb.326:
	s_clause 0x1
	buffer_load_dword v2, off, s[0:3], 0 offset:232
	buffer_load_dword v3, off, s[0:3], 0 offset:236
	buffer_store_dword v1, off, s[0:3], 0 offset:232
	buffer_store_dword v1, off, s[0:3], 0 offset:236
	s_waitcnt vmcnt(0)
	ds_write_b64 v137, v[2:3]
.LBB125_327:
	s_or_b32 exec_lo, exec_lo, s4
	s_waitcnt lgkmcnt(0)
	s_waitcnt_vscnt null, 0x0
	s_barrier
	buffer_gl0_inv
	s_clause 0x31
	buffer_load_dword v10, off, s[0:3], 0 offset:244
	buffer_load_dword v11, off, s[0:3], 0 offset:252
	;; [unrolled: 1-line block ×50, first 2 shown]
	ds_read_b128 v[2:5], v1 offset:736
	s_clause 0x4
	buffer_load_dword v189, off, s[0:3], 0 offset:492
	buffer_load_dword v190, off, s[0:3], 0 offset:416
	;; [unrolled: 1-line block ×5, first 2 shown]
	ds_read_b128 v[6:9], v1 offset:752
	ds_read_b128 v[138:141], v1 offset:768
	s_clause 0x4
	buffer_load_dword v194, off, s[0:3], 0 offset:448
	buffer_load_dword v195, off, s[0:3], 0 offset:440
	;; [unrolled: 1-line block ×5, first 2 shown]
	s_mov_b32 s4, exec_lo
	s_waitcnt vmcnt(59) lgkmcnt(2)
	v_mul_f32_e32 v198, v3, v10
	v_mul_f32_e32 v10, v2, v10
	s_waitcnt vmcnt(58)
	v_mul_f32_e32 v200, v4, v11
	v_mul_f32_e32 v11, v5, v11
	s_waitcnt vmcnt(55)
	v_fma_f32 v198, v2, v143, -v198
	v_fmac_f32_e32 v10, v3, v143
	s_waitcnt vmcnt(54) lgkmcnt(1)
	v_mul_f32_e32 v143, v6, v144
	v_mul_f32_e32 v144, v7, v144
	v_fmac_f32_e32 v200, v5, v142
	v_fma_f32 v11, v4, v142, -v11
	ds_read_b128 v[2:5], v1 offset:784
	s_clause 0x3
	buffer_load_dword v201, off, s[0:3], 0 offset:480
	buffer_load_dword v202, off, s[0:3], 0 offset:472
	;; [unrolled: 1-line block ×4, first 2 shown]
	s_waitcnt vmcnt(57)
	v_mul_f32_e32 v142, v8, v145
	v_mul_f32_e32 v145, v9, v145
	v_fmac_f32_e32 v143, v7, v12
	v_fma_f32 v12, v6, v12, -v144
	s_waitcnt vmcnt(56) lgkmcnt(1)
	v_mul_f32_e32 v144, v138, v146
	v_mul_f32_e32 v6, v139, v146
	s_waitcnt vmcnt(51)
	v_mul_f32_e32 v146, v140, v151
	v_mul_f32_e32 v7, v141, v151
	v_fmac_f32_e32 v142, v9, v150
	v_fma_f32 v145, v8, v150, -v145
	v_fmac_f32_e32 v144, v139, v149
	v_fma_f32 v149, v138, v149, -v6
	;; [unrolled: 2-line block ×3, first 2 shown]
	ds_read_b128 v[6:9], v1 offset:800
	buffer_load_dword v205, off, s[0:3], 0 offset:488
	s_waitcnt vmcnt(51) lgkmcnt(1)
	v_mul_f32_e32 v150, v2, v152
	v_mul_f32_e32 v138, v3, v152
	s_waitcnt vmcnt(50)
	v_mul_f32_e32 v151, v4, v153
	v_mul_f32_e32 v139, v5, v153
	v_fmac_f32_e32 v150, v3, v147
	v_fma_f32 v147, v2, v147, -v138
	s_waitcnt vmcnt(46)
	v_fmac_f32_e32 v151, v5, v157
	v_fma_f32 v152, v4, v157, -v139
	ds_read_b128 v[2:5], v1 offset:816
	s_waitcnt vmcnt(45) lgkmcnt(1)
	v_mul_f32_e32 v153, v6, v158
	v_mul_f32_e32 v138, v7, v158
	buffer_load_dword v158, off, s[0:3], 0 offset:232
	v_fmac_f32_e32 v153, v7, v156
	v_fma_f32 v156, v6, v156, -v138
	v_add_f32_e32 v6, 0, v198
	v_add_f32_e32 v7, 0, v10
	s_waitcnt vmcnt(45)
	v_mul_f32_e32 v10, v9, v159
	v_add_f32_e32 v6, v6, v11
	v_add_f32_e32 v138, v7, v200
	v_mul_f32_e32 v11, v8, v159
	v_fma_f32 v10, v8, v155, -v10
	s_waitcnt vmcnt(43) lgkmcnt(0)
	v_mul_f32_e32 v157, v4, v161
	v_add_f32_e32 v12, v6, v12
	v_add_f32_e32 v143, v138, v143
	v_fmac_f32_e32 v11, v9, v155
	v_mul_f32_e32 v155, v2, v160
	ds_read_b128 v[6:9], v1 offset:832
	ds_read_b128 v[138:141], v1 offset:848
	v_add_f32_e32 v12, v12, v145
	v_add_f32_e32 v142, v143, v142
	v_mul_f32_e32 v145, v3, v160
	v_mul_f32_e32 v143, v5, v161
	v_fmac_f32_e32 v155, v3, v154
	v_add_f32_e32 v12, v12, v149
	v_add_f32_e32 v149, v142, v144
	v_fma_f32 v154, v2, v154, -v145
	s_waitcnt vmcnt(39)
	v_fmac_f32_e32 v157, v5, v165
	v_fma_f32 v159, v4, v165, -v143
	v_add_f32_e32 v12, v12, v148
	ds_read_b128 v[2:5], v1 offset:864
	ds_read_b128 v[142:145], v1 offset:880
	v_add_f32_e32 v146, v149, v146
	v_add_f32_e32 v12, v12, v147
	;; [unrolled: 1-line block ×3, first 2 shown]
	s_waitcnt vmcnt(38) lgkmcnt(3)
	v_mul_f32_e32 v160, v6, v166
	v_mul_f32_e32 v148, v7, v166
	v_add_f32_e32 v12, v12, v152
	s_waitcnt vmcnt(37)
	v_mul_f32_e32 v161, v8, v167
	v_add_f32_e32 v150, v146, v151
	v_mul_f32_e32 v149, v9, v167
	v_fmac_f32_e32 v160, v7, v164
	v_add_f32_e32 v12, v12, v156
	v_fma_f32 v164, v6, v164, -v148
	v_add_f32_e32 v156, v150, v153
	s_waitcnt vmcnt(36) lgkmcnt(2)
	v_mul_f32_e32 v165, v138, v168
	v_mul_f32_e32 v166, v139, v168
	v_add_f32_e32 v10, v12, v10
	s_waitcnt vmcnt(30) lgkmcnt(1)
	v_mul_f32_e32 v12, v2, v174
	v_add_f32_e32 v11, v156, v11
	v_mul_f32_e32 v156, v3, v174
	v_fmac_f32_e32 v161, v9, v163
	v_fma_f32 v163, v8, v163, -v149
	v_fmac_f32_e32 v12, v3, v172
	v_add_f32_e32 v3, v10, v154
	v_add_f32_e32 v10, v11, v155
	v_mul_f32_e32 v151, v141, v169
	v_fmac_f32_e32 v165, v139, v162
	v_fma_f32 v162, v138, v162, -v166
	v_add_f32_e32 v159, v3, v159
	v_add_f32_e32 v10, v10, v157
	v_mul_f32_e32 v167, v140, v169
	v_fma_f32 v166, v140, v173, -v151
	ds_read_b128 v[6:9], v1 offset:896
	ds_read_b128 v[146:149], v1 offset:912
	v_add_f32_e32 v159, v159, v164
	v_add_f32_e32 v10, v10, v160
	v_fmac_f32_e32 v167, v141, v173
	s_waitcnt vmcnt(29)
	v_mul_f32_e32 v169, v5, v175
	v_fma_f32 v11, v2, v172, -v156
	v_add_f32_e32 v159, v159, v163
	v_add_f32_e32 v10, v10, v161
	v_mul_f32_e32 v168, v4, v175
	v_fma_f32 v169, v4, v171, -v169
	s_waitcnt vmcnt(28) lgkmcnt(2)
	v_mul_f32_e32 v164, v143, v176
	v_add_f32_e32 v159, v159, v162
	v_add_f32_e32 v10, v10, v165
	ds_read_b128 v[138:141], v1 offset:928
	ds_read_b128 v[150:153], v1 offset:944
	v_fmac_f32_e32 v168, v5, v171
	ds_read_b128 v[2:5], v1 offset:960
	ds_read_b128 v[154:157], v1 offset:976
	v_add_f32_e32 v159, v159, v166
	v_add_f32_e32 v10, v10, v167
	v_mul_f32_e32 v1, v142, v176
	s_waitcnt vmcnt(27)
	v_mul_f32_e32 v171, v145, v177
	v_fma_f32 v142, v142, v170, -v164
	v_add_f32_e32 v11, v159, v11
	v_add_f32_e32 v10, v10, v12
	v_mul_f32_e32 v160, v144, v177
	v_fmac_f32_e32 v1, v143, v170
	s_waitcnt vmcnt(26) lgkmcnt(5)
	v_mul_f32_e32 v163, v6, v178
	v_add_f32_e32 v11, v11, v169
	v_add_f32_e32 v10, v10, v168
	v_mul_f32_e32 v164, v7, v178
	s_waitcnt vmcnt(11)
	v_fma_f32 v144, v144, v193, -v171
	v_fmac_f32_e32 v160, v145, v193
	v_add_f32_e32 v11, v11, v142
	v_add_f32_e32 v1, v10, v1
	v_mul_f32_e32 v10, v9, v179
	v_fmac_f32_e32 v163, v7, v192
	v_fma_f32 v6, v6, v192, -v164
	v_add_f32_e32 v7, v11, v144
	v_mul_f32_e32 v161, v8, v179
	v_add_f32_e32 v1, v1, v160
	s_waitcnt lgkmcnt(4)
	v_mul_f32_e32 v11, v147, v180
	v_fma_f32 v8, v8, v191, -v10
	v_add_f32_e32 v6, v7, v6
	v_mul_f32_e32 v172, v146, v180
	v_fmac_f32_e32 v161, v9, v191
	v_add_f32_e32 v1, v1, v163
	v_mul_f32_e32 v7, v149, v181
	v_fma_f32 v9, v146, v190, -v11
	v_add_f32_e32 v6, v6, v8
	v_mul_f32_e32 v162, v148, v181
	v_fmac_f32_e32 v172, v147, v190
	v_add_f32_e32 v1, v1, v161
	s_waitcnt lgkmcnt(3)
	v_mul_f32_e32 v8, v139, v182
	s_waitcnt vmcnt(7)
	v_fma_f32 v7, v148, v197, -v7
	v_add_f32_e32 v6, v6, v9
	v_mul_f32_e32 v165, v138, v182
	v_fmac_f32_e32 v162, v149, v197
	v_add_f32_e32 v1, v1, v172
	v_mul_f32_e32 v9, v141, v183
	v_fma_f32 v8, v138, v196, -v8
	v_add_f32_e32 v6, v6, v7
	v_mul_f32_e32 v173, v140, v183
	v_fmac_f32_e32 v165, v139, v196
	v_add_f32_e32 v1, v1, v162
	s_waitcnt lgkmcnt(2)
	v_mul_f32_e32 v7, v151, v184
	v_fma_f32 v9, v140, v195, -v9
	v_add_f32_e32 v6, v6, v8
	v_mul_f32_e32 v166, v150, v184
	v_fmac_f32_e32 v173, v141, v195
	v_add_f32_e32 v1, v1, v165
	v_mul_f32_e32 v8, v153, v185
	v_fma_f32 v7, v150, v194, -v7
	v_add_f32_e32 v6, v6, v9
	v_mul_f32_e32 v167, v152, v185
	v_fmac_f32_e32 v166, v151, v194
	v_add_f32_e32 v1, v1, v173
	s_waitcnt lgkmcnt(1)
	v_mul_f32_e32 v174, v2, v186
	v_mul_f32_e32 v9, v3, v186
	v_add_f32_e32 v6, v6, v7
	v_mul_f32_e32 v7, v5, v187
	v_add_f32_e32 v1, v1, v166
	v_mul_f32_e32 v159, v4, v187
	s_waitcnt lgkmcnt(0)
	v_mul_f32_e32 v12, v154, v188
	v_mul_f32_e32 v143, v156, v189
	s_waitcnt vmcnt(5)
	v_fmac_f32_e32 v12, v155, v201
	s_waitcnt vmcnt(4)
	v_fma_f32 v4, v4, v202, -v7
	s_waitcnt vmcnt(3)
	v_fmac_f32_e32 v174, v3, v203
	s_waitcnt vmcnt(2)
	v_fma_f32 v8, v152, v204, -v8
	v_fmac_f32_e32 v167, v153, v204
	v_fma_f32 v2, v2, v203, -v9
	v_fmac_f32_e32 v159, v5, v202
	v_add_f32_e32 v3, v6, v8
	v_add_f32_e32 v1, v1, v167
	v_mul_f32_e32 v6, v155, v188
	v_add_f32_e32 v2, v3, v2
	v_add_f32_e32 v1, v1, v174
	v_mul_f32_e32 v3, v157, v189
	v_fma_f32 v5, v154, v201, -v6
	v_add_f32_e32 v2, v2, v4
	v_add_f32_e32 v1, v1, v159
	s_waitcnt vmcnt(1)
	v_fma_f32 v3, v156, v205, -v3
	v_fmac_f32_e32 v143, v157, v205
	v_add_f32_e32 v2, v2, v5
	v_add_f32_e32 v1, v1, v12
	v_add_f32_e32 v2, v2, v3
	v_add_f32_e32 v1, v1, v143
	v_sub_f32_e32 v1, v199, v1
	s_waitcnt vmcnt(0)
	v_sub_f32_e32 v2, v158, v2
	buffer_store_dword v2, off, s[0:3], 0 offset:232
	buffer_store_dword v1, off, s[0:3], 0 offset:236
	v_cmpx_lt_u32_e32 28, v0
	s_cbranch_execz .LBB125_329
; %bb.328:
	s_clause 0x1
	buffer_load_dword v1, off, s[0:3], 0 offset:224
	buffer_load_dword v2, off, s[0:3], 0 offset:228
	v_mov_b32_e32 v3, 0
	buffer_store_dword v3, off, s[0:3], 0 offset:224
	buffer_store_dword v3, off, s[0:3], 0 offset:228
	s_waitcnt vmcnt(0)
	ds_write_b64 v137, v[1:2]
.LBB125_329:
	s_or_b32 exec_lo, exec_lo, s4
	s_waitcnt lgkmcnt(0)
	s_waitcnt_vscnt null, 0x0
	s_barrier
	buffer_gl0_inv
	s_clause 0x26
	buffer_load_dword v2, off, s[0:3], 0 offset:236
	buffer_load_dword v3, off, s[0:3], 0 offset:244
	;; [unrolled: 1-line block ×39, first 2 shown]
	v_mov_b32_e32 v1, 0
	s_clause 0x2
	buffer_load_dword v178, off, s[0:3], 0 offset:396
	buffer_load_dword v179, off, s[0:3], 0 offset:404
	;; [unrolled: 1-line block ×3, first 2 shown]
	s_mov_b32 s4, exec_lo
	ds_read2_b64 v[4:7], v1 offset0:91 offset1:92
	s_clause 0x1
	buffer_load_dword v181, off, s[0:3], 0 offset:420
	buffer_load_dword v182, off, s[0:3], 0 offset:428
	ds_read2_b64 v[8:11], v1 offset0:93 offset1:94
	s_clause 0xc
	buffer_load_dword v183, off, s[0:3], 0 offset:408
	buffer_load_dword v184, off, s[0:3], 0 offset:400
	;; [unrolled: 1-line block ×13, first 2 shown]
	ds_read2_b64 v[138:141], v1 offset0:95 offset1:96
	s_waitcnt vmcnt(56) lgkmcnt(2)
	v_mul_f32_e32 v196, v5, v2
	v_mul_f32_e32 v197, v4, v2
	s_waitcnt vmcnt(55)
	v_mul_f32_e32 v198, v6, v3
	v_mul_f32_e32 v2, v7, v3
	s_waitcnt vmcnt(54) lgkmcnt(1)
	v_mul_f32_e32 v199, v8, v12
	s_waitcnt vmcnt(51)
	v_fma_f32 v196, v4, v144, -v196
	v_fmac_f32_e32 v197, v5, v144
	v_fmac_f32_e32 v198, v7, v143
	v_fma_f32 v143, v6, v143, -v2
	ds_read2_b64 v[2:5], v1 offset0:97 offset1:98
	s_clause 0x3
	buffer_load_dword v200, off, s[0:3], 0 offset:440
	buffer_load_dword v201, off, s[0:3], 0 offset:432
	;; [unrolled: 1-line block ×4, first 2 shown]
	s_waitcnt vmcnt(54)
	v_mul_f32_e32 v144, v10, v145
	v_mul_f32_e32 v6, v11, v145
	;; [unrolled: 1-line block ×3, first 2 shown]
	v_fmac_f32_e32 v199, v9, v142
	s_waitcnt vmcnt(48) lgkmcnt(1)
	v_mul_f32_e32 v145, v141, v151
	v_fmac_f32_e32 v144, v11, v149
	v_fma_f32 v10, v10, v149, -v6
	v_mul_f32_e32 v11, v138, v150
	v_mul_f32_e32 v6, v139, v150
	v_fma_f32 v12, v8, v142, -v12
	v_mul_f32_e32 v142, v140, v151
	v_fma_f32 v145, v140, v147, -v145
	v_fmac_f32_e32 v11, v139, v148
	v_fma_f32 v148, v138, v148, -v6
	ds_read2_b64 v[6:9], v1 offset0:99 offset1:100
	s_clause 0x3
	buffer_load_dword v204, off, s[0:3], 0 offset:472
	buffer_load_dword v205, off, s[0:3], 0 offset:464
	;; [unrolled: 1-line block ×4, first 2 shown]
	v_fmac_f32_e32 v142, v141, v147
	v_add_f32_e32 v139, 0, v196
	s_waitcnt vmcnt(51) lgkmcnt(1)
	v_mul_f32_e32 v147, v2, v152
	v_mul_f32_e32 v138, v3, v152
	s_waitcnt vmcnt(50)
	v_mul_f32_e32 v149, v4, v153
	v_fmac_f32_e32 v147, v3, v146
	v_fma_f32 v146, v2, v146, -v138
	v_mul_f32_e32 v2, v5, v153
	s_waitcnt vmcnt(46)
	v_fmac_f32_e32 v149, v5, v157
	v_fma_f32 v150, v4, v157, -v2
	ds_read2_b64 v[2:5], v1 offset0:101 offset1:102
	s_waitcnt vmcnt(45) lgkmcnt(1)
	v_mul_f32_e32 v151, v6, v158
	v_mul_f32_e32 v138, v7, v158
	s_clause 0x1
	buffer_load_dword v158, off, s[0:3], 0 offset:488
	buffer_load_dword v196, off, s[0:3], 0 offset:480
	v_fmac_f32_e32 v151, v7, v156
	v_add_f32_e32 v7, 0, v197
	buffer_load_dword v197, off, s[0:3], 0 offset:224
	v_fma_f32 v152, v6, v156, -v138
	v_add_f32_e32 v6, v139, v143
	s_waitcnt vmcnt(47)
	v_mul_f32_e32 v138, v9, v159
	v_add_f32_e32 v7, v7, v198
	v_add_f32_e32 v6, v6, v12
	v_mul_f32_e32 v12, v8, v159
	v_add_f32_e32 v139, v7, v199
	v_fma_f32 v153, v8, v155, -v138
	s_waitcnt vmcnt(45) lgkmcnt(0)
	v_mul_f32_e32 v156, v4, v161
	v_add_f32_e32 v10, v6, v10
	v_fmac_f32_e32 v12, v9, v155
	v_add_f32_e32 v143, v139, v144
	v_mul_f32_e32 v155, v2, v160
	v_mul_f32_e32 v144, v3, v160
	v_add_f32_e32 v10, v10, v148
	ds_read2_b64 v[6:9], v1 offset0:103 offset1:104
	ds_read2_b64 v[138:141], v1 offset0:105 offset1:106
	v_add_f32_e32 v11, v143, v11
	v_mul_f32_e32 v143, v5, v161
	v_add_f32_e32 v10, v10, v145
	v_fmac_f32_e32 v155, v3, v154
	v_fma_f32 v154, v2, v154, -v144
	v_add_f32_e32 v11, v11, v142
	s_waitcnt vmcnt(41)
	v_fmac_f32_e32 v156, v5, v165
	v_add_f32_e32 v10, v10, v146
	v_fma_f32 v157, v4, v165, -v143
	ds_read2_b64 v[2:5], v1 offset0:107 offset1:108
	ds_read2_b64 v[142:145], v1 offset0:109 offset1:110
	v_add_f32_e32 v11, v11, v147
	v_add_f32_e32 v10, v10, v150
	;; [unrolled: 1-line block ×4, first 2 shown]
	s_waitcnt vmcnt(40) lgkmcnt(3)
	v_mul_f32_e32 v159, v6, v166
	v_mul_f32_e32 v146, v7, v166
	v_add_f32_e32 v11, v11, v151
	s_waitcnt vmcnt(39)
	v_mul_f32_e32 v160, v8, v167
	v_add_f32_e32 v10, v10, v153
	v_mul_f32_e32 v147, v9, v167
	v_fmac_f32_e32 v159, v7, v164
	v_add_f32_e32 v11, v11, v12
	v_fma_f32 v164, v6, v164, -v146
	v_add_f32_e32 v10, v10, v154
	s_waitcnt vmcnt(32) lgkmcnt(1)
	v_mul_f32_e32 v12, v2, v174
	v_mul_f32_e32 v154, v3, v174
	v_add_f32_e32 v11, v11, v155
	v_mul_f32_e32 v161, v138, v168
	v_mul_f32_e32 v150, v139, v168
	v_fmac_f32_e32 v12, v3, v172
	v_add_f32_e32 v3, v10, v157
	v_add_f32_e32 v10, v11, v156
	v_fmac_f32_e32 v160, v9, v163
	v_fma_f32 v163, v8, v163, -v147
	v_mul_f32_e32 v151, v141, v169
	v_add_f32_e32 v164, v3, v164
	v_add_f32_e32 v159, v10, v159
	v_fmac_f32_e32 v161, v139, v162
	v_fma_f32 v162, v138, v162, -v150
	v_mul_f32_e32 v165, v140, v169
	v_add_f32_e32 v163, v164, v163
	v_add_f32_e32 v159, v159, v160
	v_fma_f32 v166, v140, v173, -v151
	ds_read2_b64 v[6:9], v1 offset0:111 offset1:112
	ds_read2_b64 v[146:149], v1 offset0:113 offset1:114
	v_fmac_f32_e32 v165, v141, v173
	v_add_f32_e32 v162, v163, v162
	v_add_f32_e32 v159, v159, v161
	s_waitcnt vmcnt(31)
	v_mul_f32_e32 v167, v4, v175
	v_mul_f32_e32 v155, v5, v175
	v_fma_f32 v168, v2, v172, -v154
	v_add_f32_e32 v162, v162, v166
	v_add_f32_e32 v159, v159, v165
	v_fmac_f32_e32 v167, v5, v171
	v_fma_f32 v169, v4, v171, -v155
	s_waitcnt vmcnt(30) lgkmcnt(2)
	v_mul_f32_e32 v171, v143, v176
	v_add_f32_e32 v162, v162, v168
	v_mul_f32_e32 v164, v142, v176
	v_add_f32_e32 v12, v159, v12
	s_waitcnt vmcnt(29)
	v_mul_f32_e32 v172, v145, v177
	v_fma_f32 v142, v142, v170, -v171
	v_add_f32_e32 v162, v162, v169
	v_mul_f32_e32 v160, v144, v177
	v_fmac_f32_e32 v164, v143, v170
	v_add_f32_e32 v12, v12, v167
	s_waitcnt vmcnt(28) lgkmcnt(1)
	v_mul_f32_e32 v163, v6, v178
	v_mul_f32_e32 v170, v7, v178
	s_waitcnt vmcnt(20)
	v_fma_f32 v144, v144, v186, -v172
	v_add_f32_e32 v142, v162, v142
	ds_read2_b64 v[138:141], v1 offset0:115 offset1:116
	ds_read2_b64 v[150:153], v1 offset0:117 offset1:118
	v_fmac_f32_e32 v160, v145, v186
	v_add_f32_e32 v12, v12, v164
	v_mul_f32_e32 v167, v9, v179
	v_fmac_f32_e32 v163, v7, v185
	v_fma_f32 v6, v6, v185, -v170
	v_add_f32_e32 v7, v142, v144
	v_mul_f32_e32 v161, v8, v179
	v_add_f32_e32 v12, v12, v160
	s_waitcnt lgkmcnt(2)
	v_mul_f32_e32 v142, v147, v180
	v_fma_f32 v8, v8, v184, -v167
	v_add_f32_e32 v6, v7, v6
	v_mul_f32_e32 v143, v146, v180
	v_fmac_f32_e32 v161, v9, v184
	v_add_f32_e32 v7, v12, v163
	v_mul_f32_e32 v9, v149, v181
	v_fma_f32 v12, v146, v183, -v142
	v_add_f32_e32 v6, v6, v8
	v_mul_f32_e32 v166, v148, v181
	v_fmac_f32_e32 v143, v147, v183
	v_add_f32_e32 v7, v7, v161
	s_waitcnt lgkmcnt(1)
	v_mul_f32_e32 v8, v139, v182
	v_add_f32_e32 v6, v6, v12
	v_mul_f32_e32 v165, v138, v182
	ds_read2_b64 v[2:5], v1 offset0:119 offset1:120
	ds_read2_b64 v[154:157], v1 offset0:121 offset1:122
	ds_read_b64 v[10:11], v1 offset:984
	v_add_f32_e32 v7, v7, v143
	s_waitcnt vmcnt(19)
	v_mul_f32_e32 v12, v141, v187
	v_mul_f32_e32 v145, v140, v187
	s_waitcnt vmcnt(18) lgkmcnt(3)
	v_mul_f32_e32 v171, v150, v188
	s_waitcnt vmcnt(17)
	v_mul_f32_e32 v159, v152, v189
	s_waitcnt vmcnt(16) lgkmcnt(2)
	v_mul_f32_e32 v168, v2, v190
	s_waitcnt vmcnt(15)
	;; [unrolled: 4-line block ×4, first 2 shown]
	v_fmac_f32_e32 v171, v151, v200
	s_waitcnt vmcnt(9)
	v_fma_f32 v12, v140, v201, -v12
	s_waitcnt vmcnt(8)
	v_fma_f32 v8, v138, v202, -v8
	;; [unrolled: 2-line block ×3, first 2 shown]
	v_fmac_f32_e32 v166, v149, v203
	v_fmac_f32_e32 v165, v139, v202
	;; [unrolled: 1-line block ×3, first 2 shown]
	v_add_f32_e32 v6, v6, v9
	v_add_f32_e32 v7, v7, v166
	v_mul_f32_e32 v9, v151, v188
	v_add_f32_e32 v6, v6, v8
	v_add_f32_e32 v7, v7, v165
	v_mul_f32_e32 v8, v153, v189
	v_fma_f32 v9, v150, v200, -v9
	s_waitcnt vmcnt(5)
	v_fmac_f32_e32 v172, v5, v205
	v_add_f32_e32 v6, v6, v12
	v_add_f32_e32 v7, v7, v145
	v_mul_f32_e32 v12, v3, v190
	s_waitcnt vmcnt(3)
	v_fma_f32 v8, v152, v207, -v8
	v_fmac_f32_e32 v159, v153, v207
	v_add_f32_e32 v6, v6, v9
	v_add_f32_e32 v7, v7, v171
	v_mul_f32_e32 v9, v5, v191
	v_fmac_f32_e32 v168, v3, v206
	v_fma_f32 v2, v2, v206, -v12
	v_add_f32_e32 v3, v6, v8
	v_add_f32_e32 v6, v7, v159
	v_mul_f32_e32 v7, v155, v192
	v_fma_f32 v4, v4, v205, -v9
	v_mul_f32_e32 v5, v157, v193
	v_add_f32_e32 v2, v3, v2
	v_add_f32_e32 v3, v6, v168
	v_fma_f32 v6, v154, v204, -v7
	v_fmac_f32_e32 v169, v155, v204
	v_add_f32_e32 v2, v2, v4
	v_add_f32_e32 v3, v3, v172
	v_mul_f32_e32 v4, v11, v194
	s_waitcnt vmcnt(1)
	v_fma_f32 v5, v156, v196, -v5
	v_fmac_f32_e32 v173, v157, v196
	v_add_f32_e32 v2, v2, v6
	v_add_f32_e32 v3, v3, v169
	v_fma_f32 v4, v10, v158, -v4
	v_fmac_f32_e32 v162, v11, v158
	v_add_f32_e32 v2, v2, v5
	v_add_f32_e32 v3, v3, v173
	;; [unrolled: 1-line block ×4, first 2 shown]
	s_waitcnt vmcnt(0)
	v_sub_f32_e32 v2, v197, v2
	v_sub_f32_e32 v3, v195, v3
	buffer_store_dword v2, off, s[0:3], 0 offset:224
	buffer_store_dword v3, off, s[0:3], 0 offset:228
	v_cmpx_lt_u32_e32 27, v0
	s_cbranch_execz .LBB125_331
; %bb.330:
	s_clause 0x1
	buffer_load_dword v2, off, s[0:3], 0 offset:216
	buffer_load_dword v3, off, s[0:3], 0 offset:220
	buffer_store_dword v1, off, s[0:3], 0 offset:216
	buffer_store_dword v1, off, s[0:3], 0 offset:220
	s_waitcnt vmcnt(0)
	ds_write_b64 v137, v[2:3]
.LBB125_331:
	s_or_b32 exec_lo, exec_lo, s4
	s_waitcnt lgkmcnt(0)
	s_waitcnt_vscnt null, 0x0
	s_barrier
	buffer_gl0_inv
	s_clause 0x24
	buffer_load_dword v10, off, s[0:3], 0 offset:228
	buffer_load_dword v11, off, s[0:3], 0 offset:236
	;; [unrolled: 1-line block ×37, first 2 shown]
	ds_read_b128 v[2:5], v1 offset:720
	s_clause 0x1
	buffer_load_dword v184, off, s[0:3], 0 offset:372
	buffer_load_dword v185, off, s[0:3], 0 offset:380
	ds_read_b128 v[6:9], v1 offset:736
	s_clause 0xa
	buffer_load_dword v186, off, s[0:3], 0 offset:388
	buffer_load_dword v187, off, s[0:3], 0 offset:396
	;; [unrolled: 1-line block ×11, first 2 shown]
	ds_read_b128 v[138:141], v1 offset:752
	ds_read_b128 v[142:145], v1 offset:768
	;; [unrolled: 1-line block ×3, first 2 shown]
	s_clause 0x7
	buffer_load_dword v199, off, s[0:3], 0 offset:220
	buffer_load_dword v200, off, s[0:3], 0 offset:444
	;; [unrolled: 1-line block ×8, first 2 shown]
	s_mov_b32 s4, exec_lo
	s_waitcnt vmcnt(57) lgkmcnt(4)
	v_mul_f32_e32 v197, v3, v10
	v_mul_f32_e32 v10, v2, v10
	s_waitcnt vmcnt(56)
	v_mul_f32_e32 v198, v4, v11
	v_mul_f32_e32 v11, v5, v11
	s_waitcnt vmcnt(53)
	v_fma_f32 v197, v2, v151, -v197
	v_fmac_f32_e32 v10, v3, v151
	v_fmac_f32_e32 v198, v5, v150
	v_fma_f32 v11, v4, v150, -v11
	s_waitcnt vmcnt(52) lgkmcnt(3)
	v_mul_f32_e32 v150, v6, v152
	v_mul_f32_e32 v2, v7, v152
	s_waitcnt vmcnt(51)
	v_mul_f32_e32 v3, v9, v153
	v_mul_f32_e32 v151, v8, v153
	s_waitcnt vmcnt(46) lgkmcnt(2)
	v_mul_f32_e32 v152, v138, v158
	v_fmac_f32_e32 v150, v7, v12
	v_fma_f32 v6, v6, v12, -v2
	v_fma_f32 v12, v8, v157, -v3
	v_mul_f32_e32 v2, v139, v158
	s_waitcnt vmcnt(45)
	v_mul_f32_e32 v153, v140, v159
	v_mul_f32_e32 v3, v141, v159
	s_clause 0x3
	buffer_load_dword v158, off, s[0:3], 0 offset:432
	buffer_load_dword v159, off, s[0:3], 0 offset:424
	;; [unrolled: 1-line block ×4, first 2 shown]
	v_fmac_f32_e32 v151, v9, v157
	v_fmac_f32_e32 v152, v139, v156
	v_fma_f32 v138, v138, v156, -v2
	v_fmac_f32_e32 v153, v141, v155
	v_fma_f32 v155, v140, v155, -v3
	s_waitcnt vmcnt(48) lgkmcnt(1)
	v_mul_f32_e32 v156, v142, v160
	v_mul_f32_e32 v2, v143, v160
	s_waitcnt vmcnt(47)
	v_mul_f32_e32 v157, v144, v161
	v_mul_f32_e32 v3, v145, v161
	s_waitcnt vmcnt(42) lgkmcnt(0)
	v_mul_f32_e32 v160, v146, v166
	v_mul_f32_e32 v7, v147, v166
	s_waitcnt vmcnt(41)
	v_mul_f32_e32 v161, v148, v167
	v_mul_f32_e32 v8, v149, v167
	v_fmac_f32_e32 v156, v143, v154
	v_fma_f32 v142, v142, v154, -v2
	v_fmac_f32_e32 v157, v145, v165
	v_fma_f32 v154, v144, v165, -v3
	ds_read_b128 v[2:5], v1 offset:800
	v_fmac_f32_e32 v160, v147, v164
	v_fma_f32 v146, v146, v164, -v7
	v_fmac_f32_e32 v161, v149, v163
	v_fma_f32 v147, v148, v163, -v8
	s_clause 0x7
	buffer_load_dword v163, off, s[0:3], 0 offset:464
	buffer_load_dword v164, off, s[0:3], 0 offset:456
	;; [unrolled: 1-line block ×8, first 2 shown]
	v_add_f32_e32 v7, 0, v197
	v_add_f32_e32 v8, 0, v10
	;; [unrolled: 1-line block ×4, first 2 shown]
	s_waitcnt vmcnt(48) lgkmcnt(0)
	v_mul_f32_e32 v10, v2, v168
	v_mul_f32_e32 v9, v3, v168
	v_fmac_f32_e32 v10, v3, v162
	v_fma_f32 v11, v2, v162, -v9
	v_add_f32_e32 v2, v7, v6
	v_add_f32_e32 v3, v8, v150
	ds_read_b128 v[6:9], v1 offset:816
	s_waitcnt vmcnt(47)
	v_mul_f32_e32 v162, v4, v169
	v_add_f32_e32 v12, v2, v12
	v_mul_f32_e32 v2, v5, v169
	v_add_f32_e32 v139, v3, v151
	s_waitcnt vmcnt(43)
	v_fmac_f32_e32 v162, v5, v173
	v_add_f32_e32 v12, v12, v138
	v_fma_f32 v168, v4, v173, -v2
	ds_read_b128 v[2:5], v1 offset:832
	v_add_f32_e32 v143, v139, v152
	ds_read_b128 v[138:141], v1 offset:848
	v_add_f32_e32 v12, v12, v155
	v_add_f32_e32 v143, v143, v153
	;; [unrolled: 1-line block ×3, first 2 shown]
	s_waitcnt vmcnt(42) lgkmcnt(2)
	v_mul_f32_e32 v144, v7, v174
	v_mul_f32_e32 v155, v6, v174
	s_waitcnt vmcnt(41)
	v_mul_f32_e32 v148, v9, v175
	v_fma_f32 v169, v6, v172, -v144
	v_add_f32_e32 v6, v143, v156
	v_fmac_f32_e32 v155, v7, v172
	v_add_f32_e32 v7, v12, v154
	v_mul_f32_e32 v12, v8, v175
	s_waitcnt vmcnt(40) lgkmcnt(1)
	v_mul_f32_e32 v172, v2, v176
	v_add_f32_e32 v6, v6, v157
	v_mul_f32_e32 v149, v3, v176
	v_add_f32_e32 v7, v7, v146
	ds_read_b128 v[142:145], v1 offset:864
	v_fmac_f32_e32 v172, v3, v170
	v_add_f32_e32 v6, v6, v160
	v_fma_f32 v170, v2, v170, -v149
	v_add_f32_e32 v2, v7, v147
	v_fma_f32 v154, v8, v171, -v148
	v_fmac_f32_e32 v12, v9, v171
	v_add_f32_e32 v3, v6, v161
	s_waitcnt vmcnt(39)
	v_mul_f32_e32 v150, v5, v177
	v_add_f32_e32 v11, v2, v11
	v_mul_f32_e32 v173, v4, v177
	s_waitcnt vmcnt(38) lgkmcnt(1)
	v_mul_f32_e32 v151, v139, v178
	v_add_f32_e32 v10, v3, v10
	s_waitcnt vmcnt(34)
	v_fma_f32 v161, v4, v182, -v150
	v_add_f32_e32 v11, v11, v168
	v_mul_f32_e32 v160, v138, v178
	ds_read_b128 v[6:9], v1 offset:880
	ds_read_b128 v[146:149], v1 offset:896
	v_add_f32_e32 v10, v10, v162
	v_fmac_f32_e32 v173, v5, v182
	v_add_f32_e32 v11, v11, v169
	v_fma_f32 v171, v138, v181, -v151
	s_waitcnt vmcnt(33)
	v_mul_f32_e32 v138, v141, v183
	v_add_f32_e32 v10, v10, v155
	v_fmac_f32_e32 v160, v139, v181
	v_add_f32_e32 v11, v11, v154
	v_mul_f32_e32 v168, v140, v183
	s_waitcnt vmcnt(32) lgkmcnt(2)
	v_mul_f32_e32 v139, v143, v184
	v_add_f32_e32 v10, v10, v12
	v_fma_f32 v175, v140, v180, -v138
	v_add_f32_e32 v11, v11, v170
	v_mul_f32_e32 v162, v142, v184
	v_fmac_f32_e32 v168, v141, v180
	v_add_f32_e32 v10, v10, v172
	s_waitcnt vmcnt(31)
	v_mul_f32_e32 v174, v145, v185
	v_add_f32_e32 v11, v11, v161
	v_fma_f32 v176, v142, v179, -v139
	v_mul_f32_e32 v169, v144, v185
	v_add_f32_e32 v10, v10, v173
	v_fmac_f32_e32 v162, v143, v179
	v_add_f32_e32 v11, v11, v171
	s_waitcnt vmcnt(24)
	v_fma_f32 v174, v144, v192, -v174
	s_waitcnt lgkmcnt(1)
	v_mul_f32_e32 v12, v7, v186
	v_add_f32_e32 v10, v10, v160
	ds_read_b128 v[2:5], v1 offset:912
	ds_read_b128 v[150:153], v1 offset:928
	v_add_f32_e32 v11, v11, v175
	ds_read_b128 v[138:141], v1 offset:944
	ds_read_b128 v[154:157], v1 offset:960
	v_fmac_f32_e32 v169, v145, v192
	v_add_f32_e32 v10, v10, v168
	ds_read_b128 v[142:145], v1 offset:976
	v_add_f32_e32 v11, v11, v176
	v_mul_f32_e32 v1, v6, v186
	v_mul_f32_e32 v172, v9, v187
	v_add_f32_e32 v10, v10, v162
	v_fma_f32 v6, v6, v191, -v12
	v_add_f32_e32 v11, v11, v174
	v_mul_f32_e32 v170, v8, v187
	v_fmac_f32_e32 v1, v7, v191
	v_add_f32_e32 v10, v10, v169
	s_waitcnt lgkmcnt(5)
	v_mul_f32_e32 v12, v147, v188
	v_fma_f32 v8, v8, v190, -v172
	v_add_f32_e32 v6, v11, v6
	v_mul_f32_e32 v161, v146, v188
	v_fmac_f32_e32 v170, v9, v190
	v_add_f32_e32 v1, v10, v1
	s_waitcnt vmcnt(23)
	v_mul_f32_e32 v9, v149, v193
	v_fma_f32 v10, v146, v189, -v12
	v_add_f32_e32 v6, v6, v8
	v_mul_f32_e32 v173, v148, v193
	v_fmac_f32_e32 v161, v147, v189
	v_add_f32_e32 v1, v1, v170
	s_waitcnt vmcnt(22) lgkmcnt(4)
	v_mul_f32_e32 v177, v2, v194
	v_mul_f32_e32 v8, v3, v194
	v_add_f32_e32 v6, v6, v10
	s_waitcnt vmcnt(21)
	v_mul_f32_e32 v10, v5, v195
	v_add_f32_e32 v1, v1, v161
	v_mul_f32_e32 v171, v4, v195
	s_waitcnt vmcnt(20) lgkmcnt(3)
	v_mul_f32_e32 v160, v150, v196
	s_waitcnt vmcnt(18)
	v_mul_f32_e32 v178, v152, v200
	s_waitcnt vmcnt(17) lgkmcnt(2)
	v_mul_f32_e32 v175, v138, v201
	s_waitcnt vmcnt(16)
	;; [unrolled: 4-line block ×4, first 2 shown]
	v_mul_f32_e32 v7, v144, v206
	s_waitcnt vmcnt(11)
	v_fmac_f32_e32 v160, v151, v158
	s_waitcnt vmcnt(10)
	v_fma_f32 v4, v4, v159, -v10
	s_waitcnt vmcnt(9)
	v_fmac_f32_e32 v177, v3, v207
	s_waitcnt vmcnt(8)
	v_fma_f32 v9, v148, v208, -v9
	v_fmac_f32_e32 v173, v149, v208
	v_fma_f32 v2, v2, v207, -v8
	v_fmac_f32_e32 v171, v5, v159
	v_add_f32_e32 v3, v6, v9
	v_add_f32_e32 v1, v1, v173
	v_mul_f32_e32 v6, v151, v196
	v_add_f32_e32 v2, v3, v2
	v_add_f32_e32 v1, v1, v177
	v_mul_f32_e32 v3, v153, v200
	v_fma_f32 v5, v150, v158, -v6
	v_add_f32_e32 v2, v2, v4
	v_add_f32_e32 v1, v1, v171
	v_mul_f32_e32 v4, v139, v201
	s_waitcnt vmcnt(5)
	v_fmac_f32_e32 v175, v139, v165
	s_waitcnt vmcnt(4)
	v_fma_f32 v3, v152, v166, -v3
	v_add_f32_e32 v2, v2, v5
	v_fmac_f32_e32 v178, v153, v166
	v_add_f32_e32 v1, v1, v160
	v_mul_f32_e32 v5, v141, v202
	v_fma_f32 v4, v138, v165, -v4
	v_add_f32_e32 v2, v2, v3
	v_mul_f32_e32 v3, v155, v203
	v_add_f32_e32 v1, v1, v178
	v_fma_f32 v5, v140, v164, -v5
	v_fmac_f32_e32 v168, v141, v164
	v_add_f32_e32 v2, v2, v4
	v_mul_f32_e32 v4, v157, v204
	v_add_f32_e32 v1, v1, v175
	v_fma_f32 v3, v154, v163, -v3
	v_fmac_f32_e32 v179, v155, v163
	v_add_f32_e32 v2, v2, v5
	v_mul_f32_e32 v5, v143, v205
	v_add_f32_e32 v1, v1, v168
	s_waitcnt vmcnt(1)
	v_fma_f32 v4, v156, v210, -v4
	v_fmac_f32_e32 v176, v157, v210
	v_add_f32_e32 v2, v2, v3
	v_mul_f32_e32 v3, v145, v206
	v_add_f32_e32 v1, v1, v179
	v_fma_f32 v5, v142, v209, -v5
	v_fmac_f32_e32 v162, v143, v209
	v_add_f32_e32 v2, v2, v4
	v_fma_f32 v3, v144, v167, -v3
	v_add_f32_e32 v1, v1, v176
	v_fmac_f32_e32 v7, v145, v167
	v_add_f32_e32 v2, v2, v5
	v_add_f32_e32 v1, v1, v162
	;; [unrolled: 1-line block ×4, first 2 shown]
	s_waitcnt vmcnt(0)
	v_sub_f32_e32 v2, v211, v2
	v_sub_f32_e32 v1, v199, v1
	buffer_store_dword v2, off, s[0:3], 0 offset:216
	buffer_store_dword v1, off, s[0:3], 0 offset:220
	v_cmpx_lt_u32_e32 26, v0
	s_cbranch_execz .LBB125_333
; %bb.332:
	s_clause 0x1
	buffer_load_dword v1, off, s[0:3], 0 offset:208
	buffer_load_dword v2, off, s[0:3], 0 offset:212
	v_mov_b32_e32 v3, 0
	buffer_store_dword v3, off, s[0:3], 0 offset:208
	buffer_store_dword v3, off, s[0:3], 0 offset:212
	s_waitcnt vmcnt(0)
	ds_write_b64 v137, v[1:2]
.LBB125_333:
	s_or_b32 exec_lo, exec_lo, s4
	s_waitcnt lgkmcnt(0)
	s_waitcnt_vscnt null, 0x0
	s_barrier
	buffer_gl0_inv
	s_clause 0x23
	buffer_load_dword v2, off, s[0:3], 0 offset:220
	buffer_load_dword v3, off, s[0:3], 0 offset:228
	;; [unrolled: 1-line block ×36, first 2 shown]
	v_mov_b32_e32 v1, 0
	s_clause 0x1
	buffer_load_dword v179, off, s[0:3], 0 offset:356
	buffer_load_dword v180, off, s[0:3], 0 offset:364
	s_mov_b32 s4, exec_lo
	ds_read2_b64 v[4:7], v1 offset0:89 offset1:90
	s_clause 0x7
	buffer_load_dword v181, off, s[0:3], 0 offset:372
	buffer_load_dword v182, off, s[0:3], 0 offset:380
	;; [unrolled: 1-line block ×8, first 2 shown]
	ds_read2_b64 v[8:11], v1 offset0:91 offset1:92
	s_clause 0x3
	buffer_load_dword v189, off, s[0:3], 0 offset:404
	buffer_load_dword v190, off, s[0:3], 0 offset:412
	;; [unrolled: 1-line block ×4, first 2 shown]
	ds_read2_b64 v[138:141], v1 offset0:93 offset1:94
	s_clause 0x4
	buffer_load_dword v193, off, s[0:3], 0 offset:436
	buffer_load_dword v194, off, s[0:3], 0 offset:444
	;; [unrolled: 1-line block ×5, first 2 shown]
	ds_read2_b64 v[142:145], v1 offset0:95 offset1:96
	s_waitcnt vmcnt(54) lgkmcnt(3)
	v_mul_f32_e32 v198, v5, v2
	v_mul_f32_e32 v199, v4, v2
	s_waitcnt vmcnt(53)
	v_mul_f32_e32 v200, v6, v3
	v_mul_f32_e32 v2, v7, v3
	s_waitcnt vmcnt(50)
	v_fma_f32 v198, v4, v147, -v198
	v_fmac_f32_e32 v199, v5, v147
	v_fmac_f32_e32 v200, v7, v146
	v_fma_f32 v146, v6, v146, -v2
	ds_read2_b64 v[2:5], v1 offset0:97 offset1:98
	s_waitcnt vmcnt(49) lgkmcnt(3)
	v_mul_f32_e32 v147, v8, v148
	v_mul_f32_e32 v6, v9, v148
	s_clause 0x7
	buffer_load_dword v202, off, s[0:3], 0 offset:468
	buffer_load_dword v203, off, s[0:3], 0 offset:476
	;; [unrolled: 1-line block ×8, first 2 shown]
	s_waitcnt vmcnt(56)
	v_mul_f32_e32 v148, v10, v149
	v_mul_f32_e32 v7, v11, v149
	s_waitcnt vmcnt(55) lgkmcnt(2)
	v_mul_f32_e32 v149, v138, v150
	v_mul_f32_e32 v150, v139, v150
	v_fmac_f32_e32 v147, v9, v12
	v_fma_f32 v12, v8, v12, -v6
	s_waitcnt vmcnt(54)
	v_mul_f32_e32 v6, v141, v151
	v_mul_f32_e32 v201, v140, v151
	s_waitcnt vmcnt(50)
	v_fmac_f32_e32 v148, v11, v155
	v_fma_f32 v11, v138, v154, -v150
	s_waitcnt vmcnt(49) lgkmcnt(1)
	v_mul_f32_e32 v150, v142, v156
	v_fma_f32 v138, v140, v153, -v6
	v_mul_f32_e32 v6, v143, v156
	v_fma_f32 v10, v10, v155, -v7
	v_fmac_f32_e32 v149, v139, v154
	v_fmac_f32_e32 v201, v141, v153
	s_waitcnt vmcnt(48)
	v_mul_f32_e32 v151, v144, v157
	v_mul_f32_e32 v7, v145, v157
	v_fmac_f32_e32 v150, v143, v152
	v_fma_f32 v142, v142, v152, -v6
	s_waitcnt vmcnt(43) lgkmcnt(0)
	v_mul_f32_e32 v152, v2, v162
	v_mul_f32_e32 v139, v3, v162
	s_waitcnt vmcnt(42)
	v_mul_f32_e32 v153, v4, v163
	v_mul_f32_e32 v140, v5, v163
	v_fmac_f32_e32 v151, v145, v161
	v_fma_f32 v143, v144, v161, -v7
	ds_read2_b64 v[6:9], v1 offset0:99 offset1:100
	v_fmac_f32_e32 v152, v3, v160
	v_fma_f32 v154, v2, v160, -v139
	v_fmac_f32_e32 v153, v5, v159
	v_fma_f32 v155, v4, v159, -v140
	s_clause 0x3
	buffer_load_dword v159, off, s[0:3], 0 offset:456
	buffer_load_dword v160, off, s[0:3], 0 offset:448
	;; [unrolled: 1-line block ×4, first 2 shown]
	v_add_f32_e32 v2, 0, v198
	s_clause 0x3
	buffer_load_dword v163, off, s[0:3], 0 offset:488
	buffer_load_dword v198, off, s[0:3], 0 offset:480
	;; [unrolled: 1-line block ×4, first 2 shown]
	v_add_f32_e32 v3, 0, v199
	buffer_load_dword v199, off, s[0:3], 0 offset:208
	v_add_f32_e32 v2, v2, v146
	v_add_f32_e32 v3, v3, v200
	;; [unrolled: 1-line block ×4, first 2 shown]
	s_waitcnt vmcnt(50) lgkmcnt(0)
	v_mul_f32_e32 v12, v6, v164
	v_mul_f32_e32 v4, v7, v164
	v_fmac_f32_e32 v12, v7, v158
	v_fma_f32 v146, v6, v158, -v4
	v_add_f32_e32 v6, v2, v10
	v_add_f32_e32 v7, v3, v148
	ds_read2_b64 v[2:5], v1 offset0:101 offset1:102
	v_add_f32_e32 v10, v6, v11
	s_waitcnt vmcnt(49)
	v_mul_f32_e32 v11, v8, v165
	v_mul_f32_e32 v6, v9, v165
	v_add_f32_e32 v139, v7, v149
	v_add_f32_e32 v10, v10, v138
	s_waitcnt vmcnt(45)
	v_fmac_f32_e32 v11, v9, v169
	v_fma_f32 v156, v8, v169, -v6
	ds_read2_b64 v[6:9], v1 offset0:103 offset1:104
	v_add_f32_e32 v144, v139, v201
	ds_read2_b64 v[138:141], v1 offset0:105 offset1:106
	v_add_f32_e32 v10, v10, v142
	v_add_f32_e32 v144, v144, v150
	;; [unrolled: 1-line block ×3, first 2 shown]
	s_waitcnt vmcnt(44) lgkmcnt(2)
	v_mul_f32_e32 v142, v3, v170
	v_mul_f32_e32 v157, v2, v170
	s_waitcnt vmcnt(43)
	v_mul_f32_e32 v147, v5, v171
	v_fma_f32 v158, v2, v168, -v142
	v_add_f32_e32 v2, v144, v151
	v_fmac_f32_e32 v157, v3, v168
	v_add_f32_e32 v3, v10, v154
	ds_read2_b64 v[142:145], v1 offset0:107 offset1:108
	v_mul_f32_e32 v10, v4, v171
	v_add_f32_e32 v2, v2, v152
	s_waitcnt vmcnt(42) lgkmcnt(2)
	v_mul_f32_e32 v148, v7, v172
	v_add_f32_e32 v3, v3, v155
	v_mul_f32_e32 v164, v6, v172
	s_waitcnt vmcnt(40) lgkmcnt(1)
	v_mul_f32_e32 v168, v138, v174
	v_add_f32_e32 v2, v2, v153
	v_fma_f32 v155, v6, v166, -v148
	v_add_f32_e32 v6, v3, v146
	v_fmac_f32_e32 v164, v7, v166
	s_waitcnt vmcnt(37)
	v_fmac_f32_e32 v168, v139, v177
	v_add_f32_e32 v7, v2, v12
	v_mul_f32_e32 v12, v139, v174
	v_add_f32_e32 v139, v6, v156
	v_fma_f32 v154, v4, v167, -v147
	v_fmac_f32_e32 v10, v5, v167
	v_add_f32_e32 v11, v7, v11
	v_fma_f32 v12, v138, v177, -v12
	v_add_f32_e32 v138, v139, v158
	v_mul_f32_e32 v150, v9, v173
	v_mul_f32_e32 v165, v8, v173
	v_add_f32_e32 v11, v11, v157
	ds_read2_b64 v[2:5], v1 offset0:109 offset1:110
	ds_read2_b64 v[146:149], v1 offset0:111 offset1:112
	v_add_f32_e32 v138, v138, v154
	s_waitcnt vmcnt(36)
	v_fma_f32 v166, v8, v178, -v150
	v_fmac_f32_e32 v165, v9, v178
	v_add_f32_e32 v10, v11, v10
	s_waitcnt vmcnt(35)
	v_mul_f32_e32 v139, v141, v179
	v_add_f32_e32 v173, v138, v155
	v_mul_f32_e32 v158, v140, v179
	s_waitcnt vmcnt(34) lgkmcnt(2)
	v_mul_f32_e32 v154, v143, v180
	v_add_f32_e32 v164, v10, v164
	v_fma_f32 v171, v140, v176, -v139
	v_add_f32_e32 v166, v173, v166
	v_mul_f32_e32 v167, v142, v180
	v_fmac_f32_e32 v158, v141, v176
	v_add_f32_e32 v164, v164, v165
	s_waitcnt vmcnt(33)
	v_mul_f32_e32 v170, v145, v181
	v_add_f32_e32 v12, v166, v12
	v_fma_f32 v172, v142, v175, -v154
	v_mul_f32_e32 v169, v144, v181
	v_add_f32_e32 v164, v164, v168
	v_fmac_f32_e32 v167, v143, v175
	v_add_f32_e32 v12, v12, v171
	s_waitcnt vmcnt(26)
	v_fma_f32 v170, v144, v188, -v170
	s_waitcnt lgkmcnt(1)
	v_mul_f32_e32 v174, v3, v182
	v_add_f32_e32 v158, v164, v158
	ds_read2_b64 v[6:9], v1 offset0:113 offset1:114
	ds_read2_b64 v[150:153], v1 offset0:115 offset1:116
	v_add_f32_e32 v12, v12, v172
	v_fmac_f32_e32 v169, v145, v188
	v_mul_f32_e32 v173, v2, v182
	v_add_f32_e32 v158, v158, v167
	v_mul_f32_e32 v175, v5, v183
	v_fma_f32 v2, v2, v187, -v174
	v_add_f32_e32 v12, v12, v170
	v_mul_f32_e32 v165, v4, v183
	v_fmac_f32_e32 v173, v3, v187
	v_add_f32_e32 v158, v158, v169
	s_waitcnt lgkmcnt(2)
	v_mul_f32_e32 v174, v147, v184
	v_fma_f32 v4, v4, v186, -v175
	v_add_f32_e32 v2, v12, v2
	v_mul_f32_e32 v166, v146, v184
	v_fmac_f32_e32 v165, v5, v186
	v_add_f32_e32 v12, v158, v173
	s_waitcnt vmcnt(25)
	v_mul_f32_e32 v169, v149, v189
	v_fma_f32 v146, v146, v185, -v174
	v_add_f32_e32 v2, v2, v4
	v_mul_f32_e32 v168, v148, v189
	v_fmac_f32_e32 v166, v147, v185
	v_add_f32_e32 v4, v12, v165
	s_waitcnt vmcnt(24) lgkmcnt(1)
	v_mul_f32_e32 v12, v7, v190
	v_add_f32_e32 v2, v2, v146
	ds_read2_b64 v[138:141], v1 offset0:117 offset1:118
	ds_read2_b64 v[154:157], v1 offset0:119 offset1:120
	v_mul_f32_e32 v3, v6, v190
	v_add_f32_e32 v4, v4, v166
	s_waitcnt vmcnt(23)
	v_mul_f32_e32 v146, v9, v191
	v_mul_f32_e32 v171, v8, v191
	s_waitcnt vmcnt(22) lgkmcnt(2)
	v_mul_f32_e32 v164, v150, v192
	s_waitcnt vmcnt(21)
	v_mul_f32_e32 v5, v152, v193
	ds_read2_b64 v[142:145], v1 offset0:121 offset1:122
	ds_read_b64 v[10:11], v1 offset:984
	s_waitcnt vmcnt(20) lgkmcnt(3)
	v_mul_f32_e32 v175, v138, v194
	s_waitcnt vmcnt(19)
	v_mul_f32_e32 v167, v140, v195
	s_waitcnt vmcnt(18) lgkmcnt(2)
	v_mul_f32_e32 v172, v154, v196
	s_waitcnt vmcnt(16)
	v_mul_f32_e32 v176, v156, v202
	s_waitcnt vmcnt(12)
	v_fmac_f32_e32 v164, v151, v206
	s_waitcnt vmcnt(11)
	v_fma_f32 v8, v8, v207, -v146
	s_waitcnt vmcnt(10)
	v_fma_f32 v6, v6, v208, -v12
	;; [unrolled: 2-line block ×3, first 2 shown]
	v_fmac_f32_e32 v168, v149, v209
	v_fmac_f32_e32 v3, v7, v208
	v_mul_f32_e32 v7, v151, v192
	v_fmac_f32_e32 v171, v9, v207
	v_add_f32_e32 v2, v2, v147
	v_add_f32_e32 v4, v4, v168
	s_waitcnt lgkmcnt(1)
	v_mul_f32_e32 v170, v142, v203
	v_mul_f32_e32 v177, v144, v204
	s_waitcnt lgkmcnt(0)
	v_mul_f32_e32 v158, v10, v205
	v_add_f32_e32 v2, v2, v6
	v_add_f32_e32 v3, v4, v3
	v_mul_f32_e32 v4, v153, v193
	v_fma_f32 v6, v150, v206, -v7
	v_mul_f32_e32 v7, v139, v194
	v_add_f32_e32 v2, v2, v8
	v_add_f32_e32 v3, v3, v171
	;; [unrolled: 1-line block ×4, first 2 shown]
	v_mul_f32_e32 v6, v141, v195
	s_waitcnt vmcnt(8)
	v_fmac_f32_e32 v172, v155, v159
	s_waitcnt vmcnt(7)
	v_fmac_f32_e32 v167, v141, v160
	s_waitcnt vmcnt(6)
	v_fma_f32 v7, v138, v161, -v7
	s_waitcnt vmcnt(5)
	v_fma_f32 v4, v152, v162, -v4
	v_fmac_f32_e32 v5, v153, v162
	v_fmac_f32_e32 v175, v139, v161
	s_waitcnt vmcnt(1)
	v_fmac_f32_e32 v176, v157, v211
	v_fmac_f32_e32 v170, v143, v210
	v_add_f32_e32 v2, v2, v4
	v_add_f32_e32 v3, v3, v5
	v_mul_f32_e32 v4, v155, v196
	v_fma_f32 v5, v140, v160, -v6
	v_mul_f32_e32 v6, v157, v202
	v_add_f32_e32 v2, v2, v7
	v_add_f32_e32 v3, v3, v175
	v_fma_f32 v4, v154, v159, -v4
	v_fmac_f32_e32 v177, v145, v198
	v_fma_f32 v6, v156, v211, -v6
	v_add_f32_e32 v2, v2, v5
	v_add_f32_e32 v3, v3, v167
	v_mul_f32_e32 v5, v143, v203
	v_fmac_f32_e32 v158, v11, v163
	v_add_f32_e32 v2, v2, v4
	v_add_f32_e32 v3, v3, v172
	v_mul_f32_e32 v4, v145, v204
	v_fma_f32 v5, v142, v210, -v5
	v_add_f32_e32 v2, v2, v6
	v_add_f32_e32 v3, v3, v176
	v_mul_f32_e32 v6, v11, v205
	v_fma_f32 v4, v144, v198, -v4
	v_add_f32_e32 v2, v2, v5
	v_add_f32_e32 v3, v3, v170
	v_fma_f32 v5, v10, v163, -v6
	v_add_f32_e32 v2, v2, v4
	v_add_f32_e32 v3, v3, v177
	;; [unrolled: 1-line block ×4, first 2 shown]
	s_waitcnt vmcnt(0)
	v_sub_f32_e32 v2, v199, v2
	v_sub_f32_e32 v3, v197, v3
	buffer_store_dword v2, off, s[0:3], 0 offset:208
	buffer_store_dword v3, off, s[0:3], 0 offset:212
	v_cmpx_lt_u32_e32 25, v0
	s_cbranch_execz .LBB125_335
; %bb.334:
	s_clause 0x1
	buffer_load_dword v2, off, s[0:3], 0 offset:200
	buffer_load_dword v3, off, s[0:3], 0 offset:204
	buffer_store_dword v1, off, s[0:3], 0 offset:200
	buffer_store_dword v1, off, s[0:3], 0 offset:204
	s_waitcnt vmcnt(0)
	ds_write_b64 v137, v[2:3]
.LBB125_335:
	s_or_b32 exec_lo, exec_lo, s4
	s_waitcnt lgkmcnt(0)
	s_waitcnt_vscnt null, 0x0
	s_barrier
	buffer_gl0_inv
	s_clause 0x23
	buffer_load_dword v146, off, s[0:3], 0 offset:212
	buffer_load_dword v147, off, s[0:3], 0 offset:220
	;; [unrolled: 1-line block ×36, first 2 shown]
	ds_read_b128 v[5:8], v1 offset:704
	s_clause 0x2
	buffer_load_dword v182, off, s[0:3], 0 offset:348
	buffer_load_dword v183, off, s[0:3], 0 offset:356
	;; [unrolled: 1-line block ×3, first 2 shown]
	ds_read_b128 v[9:12], v1 offset:720
	s_clause 0x3
	buffer_load_dword v185, off, s[0:3], 0 offset:396
	buffer_load_dword v4, off, s[0:3], 0 offset:404
	buffer_load_dword v3, off, s[0:3], 0 offset:412
	buffer_load_dword v2, off, s[0:3], 0 offset:420
	ds_read_b128 v[138:141], v1 offset:736
	s_clause 0x6
	buffer_load_dword v186, off, s[0:3], 0 offset:372
	buffer_load_dword v187, off, s[0:3], 0 offset:380
	;; [unrolled: 1-line block ×7, first 2 shown]
	ds_read_b128 v[142:145], v1 offset:752
	buffer_load_dword v196, off, s[0:3], 0 offset:204
	s_mov_b32 s4, exec_lo
	s_waitcnt vmcnt(50) lgkmcnt(3)
	v_mul_f32_e32 v193, v6, v146
	v_mul_f32_e32 v194, v5, v146
	s_waitcnt vmcnt(49)
	v_mul_f32_e32 v195, v7, v147
	v_mul_f32_e32 v146, v8, v147
	s_waitcnt vmcnt(46)
	v_fma_f32 v193, v5, v149, -v193
	v_fmac_f32_e32 v194, v6, v149
	v_fmac_f32_e32 v195, v8, v148
	v_fma_f32 v197, v7, v148, -v146
	ds_read_b128 v[5:8], v1 offset:768
	ds_read_b128 v[146:149], v1 offset:784
	s_waitcnt vmcnt(45) lgkmcnt(4)
	v_mul_f32_e32 v198, v9, v151
	v_mul_f32_e32 v151, v10, v151
	s_waitcnt vmcnt(43) lgkmcnt(3)
	v_mul_f32_e32 v200, v138, v153
	v_mul_f32_e32 v153, v139, v153
	;; [unrolled: 1-line block ×3, first 2 shown]
	v_fmac_f32_e32 v198, v10, v150
	v_fma_f32 v150, v9, v150, -v151
	s_waitcnt vmcnt(42)
	v_mul_f32_e32 v9, v141, v154
	v_mul_f32_e32 v152, v12, v152
	;; [unrolled: 1-line block ×3, first 2 shown]
	s_waitcnt vmcnt(39)
	v_fmac_f32_e32 v200, v139, v157
	v_fma_f32 v138, v138, v157, -v153
	v_fma_f32 v139, v140, v156, -v9
	s_waitcnt vmcnt(37) lgkmcnt(2)
	v_mul_f32_e32 v140, v142, v159
	v_mul_f32_e32 v9, v143, v159
	s_waitcnt vmcnt(36)
	v_mul_f32_e32 v153, v144, v160
	v_mul_f32_e32 v10, v145, v160
	v_fmac_f32_e32 v199, v12, v158
	v_fma_f32 v152, v11, v158, -v152
	s_clause 0x3
	buffer_load_dword v158, off, s[0:3], 0 offset:428
	buffer_load_dword v201, off, s[0:3], 0 offset:436
	;; [unrolled: 1-line block ×4, first 2 shown]
	v_fmac_f32_e32 v151, v141, v156
	s_clause 0x4
	buffer_load_dword v204, off, s[0:3], 0 offset:460
	buffer_load_dword v205, off, s[0:3], 0 offset:468
	buffer_load_dword v206, off, s[0:3], 0 offset:476
	buffer_load_dword v207, off, s[0:3], 0 offset:484
	buffer_load_dword v159, off, s[0:3], 0 offset:492
	v_fmac_f32_e32 v140, v143, v155
	v_fma_f32 v141, v142, v155, -v9
	s_waitcnt vmcnt(44) lgkmcnt(1)
	v_mul_f32_e32 v142, v5, v161
	v_mul_f32_e32 v9, v6, v161
	s_waitcnt vmcnt(40)
	v_fmac_f32_e32 v153, v145, v165
	v_fma_f32 v143, v144, v165, -v10
	s_waitcnt vmcnt(39)
	v_mul_f32_e32 v154, v7, v166
	v_mul_f32_e32 v10, v8, v166
	s_clause 0x3
	buffer_load_dword v160, off, s[0:3], 0 offset:416
	buffer_load_dword v161, off, s[0:3], 0 offset:408
	;; [unrolled: 1-line block ×4, first 2 shown]
	v_fmac_f32_e32 v142, v6, v164
	v_fma_f32 v144, v5, v164, -v9
	v_fmac_f32_e32 v154, v8, v163
	v_fma_f32 v155, v7, v163, -v10
	ds_read_b128 v[5:8], v1 offset:800
	s_waitcnt vmcnt(42) lgkmcnt(1)
	v_mul_f32_e32 v156, v146, v167
	v_mul_f32_e32 v9, v147, v167
	s_waitcnt vmcnt(41)
	v_mul_f32_e32 v157, v148, v168
	v_mul_f32_e32 v10, v149, v168
	v_fmac_f32_e32 v156, v147, v162
	v_fma_f32 v146, v146, v162, -v9
	s_clause 0x3
	buffer_load_dword v162, off, s[0:3], 0 offset:448
	buffer_load_dword v163, off, s[0:3], 0 offset:440
	;; [unrolled: 1-line block ×4, first 2 shown]
	v_add_f32_e32 v9, 0, v193
	s_waitcnt vmcnt(41)
	v_fmac_f32_e32 v157, v149, v172
	v_fma_f32 v147, v148, v172, -v10
	v_add_f32_e32 v10, 0, v194
	v_add_f32_e32 v145, v9, v197
	;; [unrolled: 1-line block ×3, first 2 shown]
	ds_read_b128 v[9:12], v1 offset:816
	v_add_f32_e32 v145, v145, v150
	s_waitcnt vmcnt(40) lgkmcnt(1)
	v_mul_f32_e32 v150, v5, v173
	v_mul_f32_e32 v149, v6, v173
	v_add_f32_e32 v148, v148, v198
	s_waitcnt vmcnt(39)
	v_mul_f32_e32 v197, v7, v174
	v_fmac_f32_e32 v150, v6, v171
	v_fma_f32 v168, v5, v171, -v149
	s_clause 0x5
	buffer_load_dword v171, off, s[0:3], 0 offset:480
	buffer_load_dword v172, off, s[0:3], 0 offset:472
	;; [unrolled: 1-line block ×6, first 2 shown]
	v_add_f32_e32 v5, v145, v152
	v_add_f32_e32 v6, v148, v199
	v_fmac_f32_e32 v197, v8, v170
	v_add_f32_e32 v5, v5, v138
	v_add_f32_e32 v6, v6, v200
	v_mul_f32_e32 v138, v8, v174
	s_waitcnt vmcnt(43) lgkmcnt(0)
	v_mul_f32_e32 v149, v12, v176
	v_mul_f32_e32 v174, v9, v175
	v_add_f32_e32 v5, v5, v139
	v_add_f32_e32 v139, v6, v151
	v_fma_f32 v170, v7, v170, -v138
	v_fmac_f32_e32 v174, v10, v169
	v_add_f32_e32 v145, v5, v141
	ds_read_b128 v[5:8], v1 offset:832
	v_add_f32_e32 v148, v139, v140
	ds_read_b128 v[138:141], v1 offset:848
	v_add_f32_e32 v143, v145, v143
	v_mul_f32_e32 v145, v10, v175
	v_add_f32_e32 v148, v148, v153
	v_mul_f32_e32 v175, v11, v176
	s_waitcnt vmcnt(39)
	v_fma_f32 v176, v11, v180, -v149
	v_add_f32_e32 v151, v143, v144
	v_fma_f32 v169, v9, v169, -v145
	v_add_f32_e32 v148, v148, v142
	v_fmac_f32_e32 v175, v12, v180
	ds_read_b128 v[9:12], v1 offset:864
	ds_read_b128 v[142:145], v1 offset:880
	v_add_f32_e32 v149, v151, v155
	v_add_f32_e32 v148, v148, v154
	;; [unrolled: 1-line block ×3, first 2 shown]
	s_waitcnt vmcnt(38) lgkmcnt(3)
	v_mul_f32_e32 v180, v5, v181
	v_mul_f32_e32 v151, v6, v181
	s_waitcnt vmcnt(37)
	v_mul_f32_e32 v181, v7, v182
	v_mul_f32_e32 v152, v8, v182
	v_add_f32_e32 v148, v148, v156
	v_fmac_f32_e32 v180, v6, v179
	v_fma_f32 v179, v5, v179, -v151
	v_add_f32_e32 v151, v146, v147
	v_fmac_f32_e32 v181, v8, v178
	v_fma_f32 v178, v7, v178, -v152
	v_add_f32_e32 v152, v148, v157
	s_waitcnt vmcnt(35) lgkmcnt(2)
	v_mul_f32_e32 v154, v141, v184
	v_add_f32_e32 v155, v151, v168
	s_waitcnt vmcnt(30) lgkmcnt(1)
	v_mul_f32_e32 v156, v10, v186
	v_mul_f32_e32 v182, v138, v183
	;; [unrolled: 1-line block ×3, first 2 shown]
	s_waitcnt vmcnt(24)
	v_fma_f32 v168, v140, v192, -v154
	v_add_f32_e32 v154, v152, v150
	v_add_f32_e32 v155, v155, v170
	v_mul_f32_e32 v170, v9, v186
	v_fmac_f32_e32 v182, v139, v177
	v_fma_f32 v177, v138, v177, -v153
	v_add_f32_e32 v154, v154, v197
	v_mul_f32_e32 v183, v140, v184
	v_fmac_f32_e32 v170, v10, v191
	v_add_f32_e32 v10, v155, v169
	ds_read_b128 v[5:8], v1 offset:896
	ds_read_b128 v[146:149], v1 offset:912
	v_add_f32_e32 v154, v154, v174
	v_fmac_f32_e32 v183, v141, v192
	v_mul_f32_e32 v157, v12, v187
	v_add_f32_e32 v176, v10, v176
	v_fma_f32 v169, v9, v191, -v156
	v_add_f32_e32 v175, v154, v175
	v_mul_f32_e32 v184, v11, v187
	v_fma_f32 v174, v11, v190, -v157
	v_add_f32_e32 v176, v176, v179
	s_waitcnt lgkmcnt(2)
	v_mul_f32_e32 v179, v143, v188
	v_add_f32_e32 v175, v175, v180
	ds_read_b128 v[138:141], v1 offset:928
	ds_read_b128 v[150:153], v1 offset:944
	v_fmac_f32_e32 v184, v12, v190
	v_add_f32_e32 v176, v176, v178
	ds_read_b128 v[9:12], v1 offset:960
	ds_read_b128 v[154:157], v1 offset:976
	v_add_f32_e32 v175, v175, v181
	v_mul_f32_e32 v1, v142, v188
	v_mul_f32_e32 v180, v144, v185
	v_add_f32_e32 v176, v176, v177
	v_mul_f32_e32 v185, v145, v185
	v_add_f32_e32 v175, v175, v182
	v_fma_f32 v142, v142, v189, -v179
	v_fmac_f32_e32 v1, v143, v189
	v_add_f32_e32 v168, v176, v168
	s_waitcnt lgkmcnt(5)
	v_mul_f32_e32 v178, v5, v4
	v_add_f32_e32 v175, v175, v183
	v_mul_f32_e32 v4, v6, v4
	v_mul_f32_e32 v181, v7, v3
	v_add_f32_e32 v168, v168, v169
	v_mul_f32_e32 v3, v8, v3
	v_add_f32_e32 v170, v175, v170
	s_waitcnt lgkmcnt(4)
	v_mul_f32_e32 v186, v146, v2
	v_mul_f32_e32 v2, v147, v2
	v_add_f32_e32 v168, v168, v174
	v_add_f32_e32 v170, v170, v184
	;; [unrolled: 1-line block ×4, first 2 shown]
	s_waitcnt vmcnt(22)
	v_mul_f32_e32 v177, v148, v158
	s_waitcnt vmcnt(21) lgkmcnt(3)
	v_mul_f32_e32 v182, v138, v201
	s_waitcnt vmcnt(20)
	v_mul_f32_e32 v187, v140, v202
	s_waitcnt vmcnt(19) lgkmcnt(2)
	v_mul_f32_e32 v176, v150, v203
	s_waitcnt vmcnt(18)
	v_mul_f32_e32 v183, v152, v204
	s_waitcnt vmcnt(17) lgkmcnt(1)
	v_mul_f32_e32 v188, v9, v205
	s_waitcnt vmcnt(16)
	v_mul_f32_e32 v169, v11, v206
	s_waitcnt vmcnt(15) lgkmcnt(0)
	v_mul_f32_e32 v175, v154, v207
	s_waitcnt vmcnt(14)
	v_mul_f32_e32 v143, v156, v159
	s_waitcnt vmcnt(13)
	v_fma_f32 v2, v146, v160, -v2
	s_waitcnt vmcnt(12)
	v_fma_f32 v3, v7, v161, -v3
	s_waitcnt vmcnt(11)
	v_fma_f32 v4, v5, v165, -v4
	s_waitcnt vmcnt(10)
	v_fma_f32 v144, v144, v166, -v185
	v_fmac_f32_e32 v180, v145, v166
	v_fmac_f32_e32 v178, v6, v165
	;; [unrolled: 1-line block ×4, first 2 shown]
	v_add_f32_e32 v5, v142, v144
	v_add_f32_e32 v1, v1, v180
	;; [unrolled: 1-line block ×4, first 2 shown]
	v_mul_f32_e32 v5, v149, v158
	s_waitcnt vmcnt(6)
	v_fmac_f32_e32 v177, v149, v167
	v_fmac_f32_e32 v182, v139, v164
	v_add_f32_e32 v3, v4, v3
	v_add_f32_e32 v1, v1, v181
	v_mul_f32_e32 v4, v139, v201
	v_fma_f32 v5, v148, v167, -v5
	v_fmac_f32_e32 v187, v141, v163
	v_add_f32_e32 v2, v3, v2
	v_add_f32_e32 v1, v1, v186
	v_mul_f32_e32 v3, v141, v202
	v_fma_f32 v4, v138, v164, -v4
	;; [unrolled: 5-line block ×3, first 2 shown]
	s_waitcnt vmcnt(5)
	v_fmac_f32_e32 v175, v155, v171
	v_add_f32_e32 v2, v2, v4
	v_add_f32_e32 v1, v1, v182
	v_mul_f32_e32 v4, v153, v204
	v_fma_f32 v5, v150, v162, -v5
	s_waitcnt vmcnt(2)
	v_fmac_f32_e32 v183, v153, v193
	v_add_f32_e32 v2, v2, v3
	v_add_f32_e32 v1, v1, v187
	v_mul_f32_e32 v3, v10, v205
	v_fma_f32 v4, v152, v193, -v4
	v_fmac_f32_e32 v188, v10, v173
	v_add_f32_e32 v2, v2, v5
	v_add_f32_e32 v1, v1, v176
	v_mul_f32_e32 v5, v12, v206
	v_fma_f32 v3, v9, v173, -v3
	;; [unrolled: 5-line block ×3, first 2 shown]
	s_waitcnt vmcnt(1)
	v_fmac_f32_e32 v143, v157, v194
	v_add_f32_e32 v2, v2, v3
	v_add_f32_e32 v1, v1, v188
	v_mul_f32_e32 v3, v157, v159
	v_fma_f32 v4, v154, v171, -v4
	v_add_f32_e32 v2, v2, v5
	v_add_f32_e32 v1, v1, v169
	v_fma_f32 v3, v156, v194, -v3
	v_add_f32_e32 v2, v2, v4
	v_add_f32_e32 v1, v1, v175
	;; [unrolled: 1-line block ×4, first 2 shown]
	s_waitcnt vmcnt(0)
	v_sub_f32_e32 v2, v195, v2
	v_sub_f32_e32 v1, v196, v1
	buffer_store_dword v2, off, s[0:3], 0 offset:200
	buffer_store_dword v1, off, s[0:3], 0 offset:204
	v_cmpx_lt_u32_e32 24, v0
	s_cbranch_execz .LBB125_337
; %bb.336:
	s_clause 0x1
	buffer_load_dword v1, off, s[0:3], 0 offset:192
	buffer_load_dword v2, off, s[0:3], 0 offset:196
	v_mov_b32_e32 v3, 0
	buffer_store_dword v3, off, s[0:3], 0 offset:192
	buffer_store_dword v3, off, s[0:3], 0 offset:196
	s_waitcnt vmcnt(0)
	ds_write_b64 v137, v[1:2]
.LBB125_337:
	s_or_b32 exec_lo, exec_lo, s4
	s_waitcnt lgkmcnt(0)
	s_waitcnt_vscnt null, 0x0
	s_barrier
	buffer_gl0_inv
	s_clause 0x25
	buffer_load_dword v2, off, s[0:3], 0 offset:204
	buffer_load_dword v3, off, s[0:3], 0 offset:212
	;; [unrolled: 1-line block ×38, first 2 shown]
	v_mov_b32_e32 v1, 0
	ds_read2_b64 v[4:7], v1 offset0:87 offset1:88
	ds_read2_b64 v[8:11], v1 offset0:89 offset1:90
	s_clause 0x10
	buffer_load_dword v181, off, s[0:3], 0 offset:356
	buffer_load_dword v182, off, s[0:3], 0 offset:364
	;; [unrolled: 1-line block ×17, first 2 shown]
	ds_read2_b64 v[138:141], v1 offset0:91 offset1:92
	ds_read2_b64 v[142:145], v1 offset0:93 offset1:94
	s_mov_b32 s4, exec_lo
	s_waitcnt vmcnt(54) lgkmcnt(3)
	v_mul_f32_e32 v198, v5, v2
	v_mul_f32_e32 v199, v4, v2
	s_waitcnt vmcnt(53)
	v_mul_f32_e32 v200, v6, v3
	v_mul_f32_e32 v2, v7, v3
	s_waitcnt vmcnt(52) lgkmcnt(2)
	v_mul_f32_e32 v201, v8, v12
	v_mul_f32_e32 v3, v9, v12
	s_waitcnt vmcnt(49)
	v_fma_f32 v12, v4, v148, -v198
	s_waitcnt vmcnt(48)
	v_mul_f32_e32 v4, v11, v149
	v_fmac_f32_e32 v199, v5, v148
	v_mul_f32_e32 v148, v10, v149
	v_fmac_f32_e32 v200, v7, v147
	v_fma_f32 v147, v6, v147, -v2
	v_fmac_f32_e32 v201, v9, v146
	v_fma_f32 v146, v8, v146, -v3
	s_waitcnt vmcnt(44)
	v_fma_f32 v10, v10, v153, -v4
	ds_read2_b64 v[2:5], v1 offset0:95 offset1:96
	ds_read2_b64 v[6:9], v1 offset0:97 offset1:98
	v_fmac_f32_e32 v148, v11, v153
	s_waitcnt vmcnt(43) lgkmcnt(3)
	v_mul_f32_e32 v11, v138, v154
	v_mul_f32_e32 v149, v139, v154
	s_waitcnt vmcnt(42)
	v_mul_f32_e32 v153, v140, v155
	v_mul_f32_e32 v154, v141, v155
	s_waitcnt vmcnt(41) lgkmcnt(2)
	v_mul_f32_e32 v155, v142, v156
	v_mul_f32_e32 v156, v143, v156
	v_fmac_f32_e32 v11, v139, v152
	v_fma_f32 v138, v138, v152, -v149
	s_waitcnt vmcnt(40)
	v_mul_f32_e32 v139, v144, v157
	v_mul_f32_e32 v149, v145, v157
	v_fmac_f32_e32 v153, v141, v151
	v_fma_f32 v140, v140, v151, -v154
	v_fmac_f32_e32 v155, v143, v150
	v_fma_f32 v141, v142, v150, -v156
	s_waitcnt vmcnt(36)
	v_fmac_f32_e32 v139, v145, v161
	v_fma_f32 v142, v144, v161, -v149
	s_clause 0x3
	buffer_load_dword v198, off, s[0:3], 0 offset:420
	buffer_load_dword v202, off, s[0:3], 0 offset:428
	;; [unrolled: 1-line block ×4, first 2 shown]
	s_waitcnt vmcnt(39) lgkmcnt(1)
	v_mul_f32_e32 v143, v2, v162
	v_mul_f32_e32 v144, v3, v162
	s_waitcnt vmcnt(38)
	v_mul_f32_e32 v145, v4, v163
	v_mul_f32_e32 v149, v5, v163
	s_waitcnt vmcnt(37) lgkmcnt(0)
	v_mul_f32_e32 v151, v7, v164
	s_clause 0x3
	buffer_load_dword v161, off, s[0:3], 0 offset:452
	buffer_load_dword v205, off, s[0:3], 0 offset:460
	buffer_load_dword v206, off, s[0:3], 0 offset:468
	buffer_load_dword v207, off, s[0:3], 0 offset:476
	v_fmac_f32_e32 v143, v3, v160
	v_fma_f32 v144, v2, v160, -v144
	v_mul_f32_e32 v150, v6, v164
	v_fmac_f32_e32 v145, v5, v159
	v_fma_f32 v149, v4, v159, -v149
	ds_read2_b64 v[2:5], v1 offset0:99 offset1:100
	v_fma_f32 v151, v6, v158, -v151
	s_waitcnt vmcnt(40)
	v_mul_f32_e32 v6, v9, v165
	s_clause 0x1
	buffer_load_dword v162, off, s[0:3], 0 offset:484
	buffer_load_dword v159, off, s[0:3], 0 offset:492
	v_fmac_f32_e32 v150, v7, v158
	v_mul_f32_e32 v152, v8, v165
	s_waitcnt vmcnt(38)
	v_fma_f32 v154, v8, v169, -v6
	v_add_f32_e32 v6, 0, v12
	s_clause 0x3
	buffer_load_dword v12, off, s[0:3], 0 offset:440
	buffer_load_dword v158, off, s[0:3], 0 offset:432
	;; [unrolled: 1-line block ×4, first 2 shown]
	v_add_f32_e32 v7, 0, v199
	v_fmac_f32_e32 v152, v9, v169
	v_add_f32_e32 v6, v6, v147
	v_add_f32_e32 v147, v7, v200
	;; [unrolled: 1-line block ×3, first 2 shown]
	ds_read2_b64 v[6:9], v1 offset0:101 offset1:102
	s_waitcnt vmcnt(41) lgkmcnt(1)
	v_mul_f32_e32 v156, v2, v170
	v_mul_f32_e32 v157, v3, v170
	v_add_f32_e32 v147, v147, v201
	v_add_f32_e32 v10, v146, v10
	v_fmac_f32_e32 v156, v3, v168
	v_fma_f32 v146, v2, v168, -v157
	s_clause 0x6
	buffer_load_dword v164, off, s[0:3], 0 offset:472
	buffer_load_dword v165, off, s[0:3], 0 offset:464
	;; [unrolled: 1-line block ×7, first 2 shown]
	v_add_f32_e32 v2, v147, v148
	v_add_f32_e32 v3, v10, v138
	s_waitcnt vmcnt(47)
	v_mul_f32_e32 v10, v4, v171
	v_add_f32_e32 v2, v2, v11
	v_add_f32_e32 v3, v3, v140
	v_mul_f32_e32 v11, v5, v171
	v_fmac_f32_e32 v10, v5, v167
	s_waitcnt vmcnt(45) lgkmcnt(0)
	v_mul_f32_e32 v157, v8, v173
	v_add_f32_e32 v2, v2, v153
	v_add_f32_e32 v3, v3, v141
	v_fma_f32 v11, v4, v167, -v11
	s_waitcnt vmcnt(41)
	v_fmac_f32_e32 v157, v9, v177
	v_add_f32_e32 v138, v2, v155
	v_add_f32_e32 v142, v3, v142
	ds_read2_b64 v[2:5], v1 offset0:103 offset1:104
	v_mul_f32_e32 v155, v6, v172
	v_add_f32_e32 v147, v138, v139
	v_add_f32_e32 v142, v142, v144
	v_mul_f32_e32 v144, v7, v172
	ds_read2_b64 v[138:141], v1 offset0:105 offset1:106
	v_fmac_f32_e32 v155, v7, v166
	v_add_f32_e32 v143, v147, v143
	v_mul_f32_e32 v147, v9, v173
	v_add_f32_e32 v148, v142, v149
	v_fma_f32 v166, v6, v166, -v144
	v_fma_f32 v167, v8, v177, -v147
	v_add_f32_e32 v147, v143, v145
	v_add_f32_e32 v148, v148, v151
	ds_read2_b64 v[6:9], v1 offset0:107 offset1:108
	ds_read2_b64 v[142:145], v1 offset0:109 offset1:110
	v_add_f32_e32 v147, v147, v150
	s_waitcnt vmcnt(39) lgkmcnt(3)
	v_mul_f32_e32 v172, v4, v179
	v_mul_f32_e32 v150, v5, v179
	v_add_f32_e32 v148, v148, v154
	v_mul_f32_e32 v149, v3, v178
	v_add_f32_e32 v147, v147, v152
	v_fmac_f32_e32 v172, v5, v175
	v_fma_f32 v175, v4, v175, -v150
	v_add_f32_e32 v150, v148, v146
	v_mul_f32_e32 v171, v2, v178
	v_add_f32_e32 v152, v147, v156
	v_fma_f32 v154, v2, v176, -v149
	s_waitcnt vmcnt(38) lgkmcnt(2)
	v_mul_f32_e32 v173, v138, v180
	v_add_f32_e32 v11, v150, v11
	v_fmac_f32_e32 v171, v3, v176
	v_add_f32_e32 v10, v152, v10
	v_mul_f32_e32 v151, v139, v180
	s_waitcnt vmcnt(37)
	v_mul_f32_e32 v153, v141, v181
	v_add_f32_e32 v11, v11, v166
	s_waitcnt vmcnt(36) lgkmcnt(1)
	v_mul_f32_e32 v166, v6, v182
	v_add_f32_e32 v10, v10, v155
	v_mul_f32_e32 v155, v7, v182
	v_fmac_f32_e32 v173, v139, v174
	v_fma_f32 v174, v138, v174, -v151
	s_waitcnt vmcnt(31)
	v_fmac_f32_e32 v166, v7, v187
	v_add_f32_e32 v7, v11, v167
	v_add_f32_e32 v10, v10, v157
	v_mul_f32_e32 v177, v140, v181
	s_waitcnt vmcnt(30)
	v_fma_f32 v176, v140, v188, -v153
	ds_read2_b64 v[2:5], v1 offset0:111 offset1:112
	ds_read2_b64 v[146:149], v1 offset0:113 offset1:114
	v_add_f32_e32 v180, v7, v154
	v_add_f32_e32 v171, v10, v171
	v_fmac_f32_e32 v177, v141, v188
	v_mul_f32_e32 v156, v9, v183
	v_fma_f32 v167, v6, v187, -v155
	v_add_f32_e32 v175, v180, v175
	v_add_f32_e32 v171, v171, v172
	v_mul_f32_e32 v178, v8, v183
	v_fma_f32 v179, v8, v186, -v156
	s_waitcnt lgkmcnt(2)
	v_mul_f32_e32 v181, v143, v184
	v_add_f32_e32 v174, v175, v174
	v_add_f32_e32 v171, v171, v173
	v_fmac_f32_e32 v178, v9, v186
	v_mul_f32_e32 v180, v142, v184
	s_waitcnt vmcnt(29)
	v_mul_f32_e32 v182, v145, v189
	v_add_f32_e32 v174, v174, v176
	v_add_f32_e32 v171, v171, v177
	v_fma_f32 v142, v142, v185, -v181
	v_mul_f32_e32 v172, v144, v189
	v_fmac_f32_e32 v180, v143, v185
	v_add_f32_e32 v167, v174, v167
	v_add_f32_e32 v166, v171, v166
	s_waitcnt vmcnt(28) lgkmcnt(1)
	v_mul_f32_e32 v175, v2, v190
	v_mul_f32_e32 v181, v3, v190
	s_waitcnt vmcnt(22)
	v_fma_f32 v144, v144, v196, -v182
	v_add_f32_e32 v167, v167, v179
	v_add_f32_e32 v166, v166, v178
	ds_read2_b64 v[138:141], v1 offset0:115 offset1:116
	ds_read2_b64 v[150:153], v1 offset0:117 offset1:118
	v_fmac_f32_e32 v172, v145, v196
	v_mul_f32_e32 v178, v5, v191
	v_add_f32_e32 v142, v167, v142
	v_add_f32_e32 v166, v166, v180
	v_fmac_f32_e32 v175, v3, v195
	v_fma_f32 v2, v2, v195, -v181
	v_mul_f32_e32 v173, v4, v191
	v_add_f32_e32 v3, v142, v144
	v_add_f32_e32 v142, v166, v172
	s_waitcnt lgkmcnt(2)
	v_mul_f32_e32 v144, v147, v192
	v_fma_f32 v4, v4, v194, -v178
	v_mul_f32_e32 v143, v146, v192
	v_add_f32_e32 v2, v3, v2
	v_fmac_f32_e32 v173, v5, v194
	v_add_f32_e32 v3, v142, v175
	v_fma_f32 v142, v146, v193, -v144
	v_fmac_f32_e32 v143, v147, v193
	v_add_f32_e32 v2, v2, v4
	ds_read2_b64 v[6:9], v1 offset0:119 offset1:120
	ds_read2_b64 v[154:157], v1 offset0:121 offset1:122
	ds_read_b64 v[10:11], v1 offset:984
	v_add_f32_e32 v3, v3, v173
	v_add_f32_e32 v2, v2, v142
	;; [unrolled: 1-line block ×3, first 2 shown]
	s_waitcnt vmcnt(20)
	v_mul_f32_e32 v5, v149, v198
	v_mul_f32_e32 v176, v148, v198
	s_waitcnt vmcnt(19) lgkmcnt(4)
	v_mul_f32_e32 v4, v139, v202
	v_mul_f32_e32 v177, v138, v202
	s_waitcnt vmcnt(18)
	v_mul_f32_e32 v142, v141, v203
	v_mul_f32_e32 v145, v140, v203
	s_waitcnt vmcnt(17) lgkmcnt(3)
	v_mul_f32_e32 v182, v150, v204
	s_waitcnt vmcnt(16)
	v_mul_f32_e32 v171, v152, v161
	s_waitcnt vmcnt(15) lgkmcnt(2)
	v_mul_f32_e32 v174, v6, v205
	s_waitcnt vmcnt(14)
	;; [unrolled: 4-line block ×4, first 2 shown]
	v_fmac_f32_e32 v182, v151, v12
	s_waitcnt vmcnt(9)
	v_fmac_f32_e32 v145, v141, v158
	s_waitcnt vmcnt(8)
	v_fma_f32 v4, v138, v160, -v4
	s_waitcnt vmcnt(7)
	v_fma_f32 v5, v148, v163, -v5
	v_fmac_f32_e32 v176, v149, v163
	v_fmac_f32_e32 v177, v139, v160
	v_fma_f32 v138, v140, v158, -v142
	v_add_f32_e32 v2, v2, v5
	v_add_f32_e32 v3, v3, v176
	v_mul_f32_e32 v5, v151, v204
	v_add_f32_e32 v2, v2, v4
	v_add_f32_e32 v3, v3, v177
	v_mul_f32_e32 v4, v153, v161
	v_fma_f32 v5, v150, v12, -v5
	v_mul_f32_e32 v12, v7, v205
	v_add_f32_e32 v2, v2, v138
	v_add_f32_e32 v3, v3, v145
	s_waitcnt vmcnt(4)
	v_fmac_f32_e32 v174, v7, v168
	s_waitcnt vmcnt(3)
	v_fma_f32 v4, v152, v169, -v4
	v_fmac_f32_e32 v171, v153, v169
	v_add_f32_e32 v2, v2, v5
	v_add_f32_e32 v3, v3, v182
	v_mul_f32_e32 v5, v9, v206
	v_fma_f32 v6, v6, v168, -v12
	v_fmac_f32_e32 v183, v9, v165
	v_add_f32_e32 v2, v2, v4
	v_add_f32_e32 v3, v3, v171
	v_mul_f32_e32 v4, v155, v207
	;; [unrolled: 5-line block ×3, first 2 shown]
	v_fma_f32 v4, v154, v164, -v4
	s_waitcnt vmcnt(1)
	v_fmac_f32_e32 v184, v157, v199
	v_add_f32_e32 v2, v2, v5
	v_add_f32_e32 v3, v3, v183
	v_mul_f32_e32 v5, v11, v159
	v_fma_f32 v6, v156, v199, -v6
	v_fmac_f32_e32 v167, v11, v170
	v_add_f32_e32 v2, v2, v4
	v_add_f32_e32 v3, v3, v179
	v_fma_f32 v4, v10, v170, -v5
	v_add_f32_e32 v2, v2, v6
	v_add_f32_e32 v3, v3, v184
	;; [unrolled: 1-line block ×4, first 2 shown]
	s_waitcnt vmcnt(0)
	v_sub_f32_e32 v2, v200, v2
	v_sub_f32_e32 v3, v197, v3
	buffer_store_dword v2, off, s[0:3], 0 offset:192
	buffer_store_dword v3, off, s[0:3], 0 offset:196
	v_cmpx_lt_u32_e32 23, v0
	s_cbranch_execz .LBB125_339
; %bb.338:
	s_clause 0x1
	buffer_load_dword v2, off, s[0:3], 0 offset:184
	buffer_load_dword v3, off, s[0:3], 0 offset:188
	buffer_store_dword v1, off, s[0:3], 0 offset:184
	buffer_store_dword v1, off, s[0:3], 0 offset:188
	s_waitcnt vmcnt(0)
	ds_write_b64 v137, v[2:3]
.LBB125_339:
	s_or_b32 exec_lo, exec_lo, s4
	s_waitcnt lgkmcnt(0)
	s_waitcnt_vscnt null, 0x0
	s_barrier
	buffer_gl0_inv
	s_clause 0x1e
	buffer_load_dword v2, off, s[0:3], 0 offset:196
	buffer_load_dword v3, off, s[0:3], 0 offset:204
	;; [unrolled: 1-line block ×31, first 2 shown]
	ds_read_b128 v[4:7], v1 offset:688
	s_clause 0x3
	buffer_load_dword v182, off, s[0:3], 0 offset:336
	buffer_load_dword v183, off, s[0:3], 0 offset:328
	buffer_load_dword v184, off, s[0:3], 0 offset:320
	buffer_load_dword v185, off, s[0:3], 0 offset:312
	ds_read_b128 v[8:11], v1 offset:704
	s_clause 0xa
	buffer_load_dword v186, off, s[0:3], 0 offset:324
	buffer_load_dword v187, off, s[0:3], 0 offset:332
	;; [unrolled: 1-line block ×11, first 2 shown]
	ds_read_b128 v[138:141], v1 offset:720
	ds_read_b128 v[142:145], v1 offset:736
	;; [unrolled: 1-line block ×4, first 2 shown]
	buffer_load_dword v197, off, s[0:3], 0 offset:188
	s_mov_b32 s4, exec_lo
	s_waitcnt vmcnt(46) lgkmcnt(5)
	v_mul_f32_e32 v198, v5, v2
	v_mul_f32_e32 v199, v4, v2
	s_waitcnt vmcnt(45)
	v_mul_f32_e32 v200, v6, v3
	v_mul_f32_e32 v2, v7, v3
	s_waitcnt vmcnt(44) lgkmcnt(4)
	v_mul_f32_e32 v201, v8, v12
	v_mul_f32_e32 v3, v9, v12
	s_waitcnt vmcnt(41)
	v_fma_f32 v12, v4, v156, -v198
	v_fmac_f32_e32 v199, v5, v156
	s_waitcnt vmcnt(40)
	v_mul_f32_e32 v156, v10, v157
	v_mul_f32_e32 v4, v11, v157
	v_fmac_f32_e32 v200, v7, v155
	s_waitcnt vmcnt(35) lgkmcnt(3)
	v_mul_f32_e32 v157, v139, v162
	v_fma_f32 v155, v6, v155, -v2
	v_fmac_f32_e32 v156, v11, v161
	v_mul_f32_e32 v11, v138, v162
	v_fma_f32 v10, v10, v161, -v4
	s_waitcnt vmcnt(34)
	v_mul_f32_e32 v161, v140, v163
	v_mul_f32_e32 v162, v141, v163
	s_waitcnt vmcnt(33) lgkmcnt(2)
	v_mul_f32_e32 v163, v142, v164
	v_mul_f32_e32 v164, v143, v164
	v_fmac_f32_e32 v11, v139, v160
	v_fma_f32 v138, v138, v160, -v157
	s_waitcnt vmcnt(32)
	v_mul_f32_e32 v139, v144, v165
	v_mul_f32_e32 v157, v145, v165
	v_fmac_f32_e32 v201, v9, v154
	v_fma_f32 v154, v8, v154, -v3
	ds_read_b128 v[2:5], v1 offset:784
	ds_read_b128 v[6:9], v1 offset:800
	v_fmac_f32_e32 v161, v141, v159
	v_fma_f32 v140, v140, v159, -v162
	v_fmac_f32_e32 v163, v143, v158
	v_fma_f32 v141, v142, v158, -v164
	s_waitcnt vmcnt(28)
	v_fmac_f32_e32 v139, v145, v169
	v_fma_f32 v142, v144, v169, -v157
	s_clause 0x7
	buffer_load_dword v157, off, s[0:3], 0 offset:380
	buffer_load_dword v158, off, s[0:3], 0 offset:388
	;; [unrolled: 1-line block ×8, first 2 shown]
	s_waitcnt vmcnt(35) lgkmcnt(3)
	v_mul_f32_e32 v143, v146, v170
	v_mul_f32_e32 v144, v147, v170
	s_waitcnt vmcnt(34)
	v_mul_f32_e32 v145, v148, v171
	v_mul_f32_e32 v170, v149, v171
	s_waitcnt vmcnt(33) lgkmcnt(2)
	v_mul_f32_e32 v171, v150, v172
	v_mul_f32_e32 v172, v151, v172
	v_fmac_f32_e32 v143, v147, v168
	v_fma_f32 v144, v146, v168, -v144
	s_waitcnt vmcnt(32)
	v_mul_f32_e32 v146, v152, v173
	v_mul_f32_e32 v147, v153, v173
	v_fmac_f32_e32 v145, v149, v167
	v_fmac_f32_e32 v171, v151, v166
	v_fma_f32 v149, v150, v166, -v172
	s_waitcnt vmcnt(28)
	v_fmac_f32_e32 v146, v153, v177
	v_fma_f32 v147, v152, v177, -v147
	s_waitcnt vmcnt(27) lgkmcnt(1)
	v_mul_f32_e32 v150, v2, v178
	v_mul_f32_e32 v151, v3, v178
	s_waitcnt vmcnt(26)
	v_mul_f32_e32 v152, v4, v179
	v_mul_f32_e32 v153, v5, v179
	v_fma_f32 v148, v148, v167, -v170
	s_clause 0x8
	buffer_load_dword v167, off, s[0:3], 0 offset:412
	buffer_load_dword v168, off, s[0:3], 0 offset:420
	;; [unrolled: 1-line block ×9, first 2 shown]
	v_fmac_f32_e32 v150, v3, v176
	v_fma_f32 v151, v2, v176, -v151
	buffer_load_dword v176, off, s[0:3], 0 offset:484
	v_fmac_f32_e32 v152, v5, v175
	v_fma_f32 v153, v4, v175, -v153
	s_clause 0x4
	buffer_load_dword v175, off, s[0:3], 0 offset:492
	buffer_load_dword v179, off, s[0:3], 0 offset:432
	;; [unrolled: 1-line block ×5, first 2 shown]
	v_add_f32_e32 v3, 0, v199
	v_add_f32_e32 v2, 0, v12
	s_waitcnt vmcnt(40) lgkmcnt(0)
	v_mul_f32_e32 v4, v7, v180
	v_add_f32_e32 v3, v3, v200
	v_add_f32_e32 v2, v2, v155
	v_fma_f32 v155, v6, v174, -v4
	v_add_f32_e32 v3, v3, v201
	s_clause 0x3
	buffer_load_dword v12, off, s[0:3], 0 offset:464
	buffer_load_dword v199, off, s[0:3], 0 offset:456
	;; [unrolled: 1-line block ×4, first 2 shown]
	v_add_f32_e32 v2, v2, v154
	v_mul_f32_e32 v154, v6, v180
	v_add_f32_e32 v3, v3, v156
	s_waitcnt vmcnt(43)
	v_mul_f32_e32 v156, v8, v181
	v_add_f32_e32 v2, v2, v10
	s_clause 0x2
	buffer_load_dword v10, off, s[0:3], 0 offset:488
	buffer_load_dword v205, off, s[0:3], 0 offset:480
	;; [unrolled: 1-line block ×3, first 2 shown]
	v_fmac_f32_e32 v154, v7, v174
	v_add_f32_e32 v3, v3, v11
	buffer_load_dword v11, off, s[0:3], 0 offset:184
	v_add_f32_e32 v2, v2, v138
	s_waitcnt vmcnt(43)
	v_fmac_f32_e32 v156, v9, v185
	v_add_f32_e32 v3, v3, v161
	v_add_f32_e32 v2, v2, v140
	;; [unrolled: 1-line block ×4, first 2 shown]
	ds_read_b128 v[2:5], v1 offset:816
	v_add_f32_e32 v139, v7, v139
	v_add_f32_e32 v138, v6, v142
	v_mul_f32_e32 v6, v9, v181
	v_add_f32_e32 v143, v139, v143
	v_add_f32_e32 v142, v138, v144
	v_fma_f32 v161, v8, v185, -v6
	ds_read_b128 v[6:9], v1 offset:832
	ds_read_b128 v[138:141], v1 offset:848
	v_add_f32_e32 v143, v143, v145
	v_add_f32_e32 v142, v142, v148
	;; [unrolled: 1-line block ×3, first 2 shown]
	s_waitcnt vmcnt(42) lgkmcnt(2)
	v_mul_f32_e32 v144, v3, v186
	v_mul_f32_e32 v163, v2, v186
	v_fma_f32 v174, v2, v184, -v144
	v_add_f32_e32 v2, v143, v171
	v_fmac_f32_e32 v163, v3, v184
	v_add_f32_e32 v3, v148, v147
	ds_read_b128 v[142:145], v1 offset:864
	s_waitcnt vmcnt(41)
	v_mul_f32_e32 v171, v4, v187
	v_add_f32_e32 v2, v2, v146
	s_waitcnt vmcnt(40) lgkmcnt(2)
	v_mul_f32_e32 v180, v6, v188
	v_mul_f32_e32 v146, v7, v188
	v_add_f32_e32 v3, v3, v151
	s_waitcnt vmcnt(38) lgkmcnt(1)
	v_mul_f32_e32 v184, v138, v190
	v_add_f32_e32 v2, v2, v150
	v_fmac_f32_e32 v180, v7, v182
	v_fma_f32 v182, v6, v182, -v146
	v_add_f32_e32 v6, v3, v153
	v_mul_f32_e32 v150, v139, v190
	v_add_f32_e32 v7, v2, v152
	s_waitcnt vmcnt(33)
	v_fmac_f32_e32 v184, v139, v195
	v_mul_f32_e32 v147, v5, v187
	v_add_f32_e32 v139, v6, v155
	v_fma_f32 v186, v138, v195, -v150
	v_add_f32_e32 v138, v7, v154
	v_fmac_f32_e32 v171, v5, v183
	v_fma_f32 v183, v4, v183, -v147
	v_add_f32_e32 v139, v139, v161
	s_waitcnt lgkmcnt(0)
	v_mul_f32_e32 v155, v143, v192
	v_add_f32_e32 v138, v138, v156
	v_mul_f32_e32 v187, v142, v192
	v_mul_f32_e32 v151, v9, v189
	v_add_f32_e32 v139, v139, v174
	v_fma_f32 v190, v142, v193, -v155
	v_add_f32_e32 v142, v138, v163
	v_mul_f32_e32 v181, v8, v189
	s_waitcnt vmcnt(32)
	v_fma_f32 v185, v8, v196, -v151
	v_add_f32_e32 v163, v139, v183
	ds_read_b128 v[2:5], v1 offset:880
	ds_read_b128 v[146:149], v1 offset:896
	v_add_f32_e32 v171, v142, v171
	v_fmac_f32_e32 v181, v9, v196
	v_mul_f32_e32 v154, v141, v191
	v_add_f32_e32 v163, v163, v182
	v_mul_f32_e32 v161, v140, v191
	v_add_f32_e32 v171, v171, v180
	v_fmac_f32_e32 v187, v143, v193
	v_fma_f32 v189, v140, v194, -v154
	v_add_f32_e32 v163, v163, v185
	v_fmac_f32_e32 v161, v141, v194
	v_add_f32_e32 v171, v171, v181
	ds_read_b128 v[6:9], v1 offset:912
	ds_read_b128 v[150:153], v1 offset:928
	v_add_f32_e32 v163, v163, v186
	v_add_f32_e32 v171, v171, v184
	;; [unrolled: 1-line block ×6, first 2 shown]
	s_waitcnt vmcnt(30)
	v_mul_f32_e32 v174, v144, v157
	v_mul_f32_e32 v188, v145, v157
	ds_read_b128 v[138:141], v1 offset:944
	ds_read_b128 v[154:157], v1 offset:960
	s_waitcnt vmcnt(28) lgkmcnt(5)
	v_mul_f32_e32 v180, v4, v159
	v_mul_f32_e32 v159, v5, v159
	s_waitcnt vmcnt(27) lgkmcnt(4)
	v_mul_f32_e32 v182, v146, v160
	v_mul_f32_e32 v160, v147, v160
	s_waitcnt vmcnt(23)
	v_fmac_f32_e32 v174, v145, v169
	v_fma_f32 v169, v144, v169, -v188
	ds_read_b128 v[142:145], v1 offset:976
	v_mul_f32_e32 v1, v2, v158
	v_mul_f32_e32 v158, v3, v158
	v_add_f32_e32 v161, v161, v174
	v_fma_f32 v4, v4, v164, -v159
	v_fmac_f32_e32 v180, v5, v164
	v_fmac_f32_e32 v1, v3, v165
	v_fma_f32 v2, v2, v165, -v158
	v_add_f32_e32 v158, v163, v169
	v_fma_f32 v146, v146, v162, -v160
	v_fmac_f32_e32 v182, v147, v162
	v_add_f32_e32 v1, v161, v1
	v_add_f32_e32 v2, v158, v2
	s_waitcnt vmcnt(22)
	v_mul_f32_e32 v5, v149, v167
	v_mul_f32_e32 v181, v148, v167
	v_add_f32_e32 v2, v2, v4
	v_add_f32_e32 v1, v1, v180
	s_waitcnt vmcnt(21) lgkmcnt(4)
	v_mul_f32_e32 v4, v7, v168
	v_mul_f32_e32 v183, v6, v168
	s_waitcnt vmcnt(20)
	v_mul_f32_e32 v185, v8, v170
	v_add_f32_e32 v2, v2, v146
	v_add_f32_e32 v1, v1, v182
	v_mul_f32_e32 v146, v9, v170
	s_waitcnt vmcnt(9)
	v_fma_f32 v4, v6, v203, -v4
	s_waitcnt vmcnt(8)
	v_fma_f32 v5, v148, v204, -v5
	v_fmac_f32_e32 v181, v149, v204
	v_fmac_f32_e32 v183, v7, v203
	v_fma_f32 v6, v8, v202, -v146
	s_waitcnt lgkmcnt(3)
	v_mul_f32_e32 v184, v150, v173
	v_add_f32_e32 v2, v2, v5
	v_add_f32_e32 v1, v1, v181
	v_mul_f32_e32 v5, v151, v173
	v_fmac_f32_e32 v185, v9, v202
	v_mul_f32_e32 v186, v152, v166
	v_add_f32_e32 v2, v2, v4
	v_add_f32_e32 v1, v1, v183
	v_mul_f32_e32 v4, v153, v166
	v_fma_f32 v5, v150, v179, -v5
	v_fmac_f32_e32 v184, v151, v179
	v_add_f32_e32 v2, v2, v6
	v_add_f32_e32 v1, v1, v185
	s_waitcnt lgkmcnt(2)
	v_mul_f32_e32 v6, v139, v172
	s_waitcnt vmcnt(4)
	v_fma_f32 v4, v152, v201, -v4
	v_mul_f32_e32 v188, v138, v172
	v_add_f32_e32 v2, v2, v5
	v_fmac_f32_e32 v186, v153, v201
	v_add_f32_e32 v1, v1, v184
	v_mul_f32_e32 v5, v141, v177
	v_fma_f32 v6, v138, v200, -v6
	v_add_f32_e32 v2, v2, v4
	v_mul_f32_e32 v171, v140, v177
	v_fmac_f32_e32 v188, v139, v200
	v_add_f32_e32 v1, v1, v186
	s_waitcnt lgkmcnt(1)
	v_mul_f32_e32 v4, v155, v198
	v_fma_f32 v5, v140, v199, -v5
	v_add_f32_e32 v2, v2, v6
	v_mul_f32_e32 v189, v154, v198
	v_fmac_f32_e32 v171, v141, v199
	v_add_f32_e32 v1, v1, v188
	v_mul_f32_e32 v6, v157, v178
	v_fma_f32 v4, v154, v12, -v4
	v_add_f32_e32 v2, v2, v5
	v_mul_f32_e32 v190, v156, v178
	v_fmac_f32_e32 v189, v155, v12
	v_add_f32_e32 v1, v1, v171
	s_waitcnt lgkmcnt(0)
	v_mul_f32_e32 v5, v143, v176
	s_waitcnt vmcnt(1)
	v_fma_f32 v6, v156, v206, -v6
	v_add_f32_e32 v2, v2, v4
	v_mul_f32_e32 v187, v142, v176
	v_fmac_f32_e32 v190, v157, v206
	v_add_f32_e32 v1, v1, v189
	v_mul_f32_e32 v4, v145, v175
	v_fma_f32 v5, v142, v205, -v5
	v_add_f32_e32 v2, v2, v6
	v_mul_f32_e32 v3, v144, v175
	v_fmac_f32_e32 v187, v143, v205
	v_add_f32_e32 v1, v1, v190
	v_fma_f32 v4, v144, v10, -v4
	v_add_f32_e32 v2, v2, v5
	v_fmac_f32_e32 v3, v145, v10
	v_add_f32_e32 v1, v1, v187
	v_add_f32_e32 v2, v2, v4
	;; [unrolled: 1-line block ×3, first 2 shown]
	s_waitcnt vmcnt(0)
	v_sub_f32_e32 v2, v11, v2
	v_sub_f32_e32 v1, v197, v1
	buffer_store_dword v2, off, s[0:3], 0 offset:184
	buffer_store_dword v1, off, s[0:3], 0 offset:188
	v_cmpx_lt_u32_e32 22, v0
	s_cbranch_execz .LBB125_341
; %bb.340:
	s_clause 0x1
	buffer_load_dword v1, off, s[0:3], 0 offset:176
	buffer_load_dword v2, off, s[0:3], 0 offset:180
	v_mov_b32_e32 v3, 0
	buffer_store_dword v3, off, s[0:3], 0 offset:176
	buffer_store_dword v3, off, s[0:3], 0 offset:180
	s_waitcnt vmcnt(0)
	ds_write_b64 v137, v[1:2]
.LBB125_341:
	s_or_b32 exec_lo, exec_lo, s4
	s_waitcnt lgkmcnt(0)
	s_waitcnt_vscnt null, 0x0
	s_barrier
	buffer_gl0_inv
	s_clause 0x25
	buffer_load_dword v2, off, s[0:3], 0 offset:188
	buffer_load_dword v3, off, s[0:3], 0 offset:196
	;; [unrolled: 1-line block ×38, first 2 shown]
	v_mov_b32_e32 v1, 0
	ds_read2_b64 v[4:7], v1 offset0:85 offset1:86
	ds_read2_b64 v[8:11], v1 offset0:87 offset1:88
	s_clause 0x10
	buffer_load_dword v181, off, s[0:3], 0 offset:340
	buffer_load_dword v182, off, s[0:3], 0 offset:348
	;; [unrolled: 1-line block ×17, first 2 shown]
	ds_read2_b64 v[138:141], v1 offset0:89 offset1:90
	ds_read2_b64 v[142:145], v1 offset0:91 offset1:92
	s_mov_b32 s4, exec_lo
	s_waitcnt vmcnt(54) lgkmcnt(3)
	v_mul_f32_e32 v198, v5, v2
	v_mul_f32_e32 v199, v4, v2
	s_waitcnt vmcnt(53)
	v_mul_f32_e32 v200, v6, v3
	v_mul_f32_e32 v2, v7, v3
	s_waitcnt vmcnt(52) lgkmcnt(2)
	v_mul_f32_e32 v201, v8, v12
	v_mul_f32_e32 v3, v9, v12
	s_waitcnt vmcnt(49)
	v_fma_f32 v12, v4, v148, -v198
	v_fmac_f32_e32 v199, v5, v148
	s_waitcnt vmcnt(48)
	v_mul_f32_e32 v148, v10, v149
	v_mul_f32_e32 v4, v11, v149
	v_fmac_f32_e32 v200, v7, v147
	s_waitcnt vmcnt(43) lgkmcnt(1)
	v_mul_f32_e32 v149, v139, v154
	v_fma_f32 v147, v6, v147, -v2
	v_fmac_f32_e32 v201, v9, v146
	v_fma_f32 v146, v8, v146, -v3
	v_fmac_f32_e32 v148, v11, v153
	v_fma_f32 v10, v10, v153, -v4
	ds_read2_b64 v[2:5], v1 offset0:93 offset1:94
	ds_read2_b64 v[6:9], v1 offset0:95 offset1:96
	v_mul_f32_e32 v11, v138, v154
	s_waitcnt vmcnt(42)
	v_mul_f32_e32 v153, v140, v155
	v_mul_f32_e32 v154, v141, v155
	s_waitcnt vmcnt(41) lgkmcnt(2)
	v_mul_f32_e32 v155, v142, v156
	v_fma_f32 v149, v138, v152, -v149
	s_waitcnt vmcnt(40)
	v_mul_f32_e32 v138, v145, v157
	v_mul_f32_e32 v156, v143, v156
	v_fmac_f32_e32 v11, v139, v152
	v_fmac_f32_e32 v153, v141, v151
	v_fma_f32 v151, v140, v151, -v154
	s_clause 0x3
	buffer_load_dword v198, off, s[0:3], 0 offset:404
	buffer_load_dword v202, off, s[0:3], 0 offset:412
	;; [unrolled: 1-line block ×4, first 2 shown]
	v_fmac_f32_e32 v155, v143, v150
	s_waitcnt vmcnt(40)
	v_fma_f32 v143, v144, v161, -v138
	ds_read2_b64 v[138:141], v1 offset0:97 offset1:98
	v_mul_f32_e32 v152, v144, v157
	v_fma_f32 v142, v142, v150, -v156
	s_waitcnt vmcnt(39) lgkmcnt(2)
	v_mul_f32_e32 v144, v2, v162
	v_fmac_f32_e32 v152, v145, v161
	v_mul_f32_e32 v145, v3, v162
	s_waitcnt vmcnt(37) lgkmcnt(1)
	v_mul_f32_e32 v157, v7, v164
	v_mul_f32_e32 v150, v4, v163
	;; [unrolled: 1-line block ×4, first 2 shown]
	v_fmac_f32_e32 v144, v3, v160
	v_fma_f32 v145, v2, v160, -v145
	s_waitcnt vmcnt(36)
	v_mul_f32_e32 v160, v8, v165
	v_mul_f32_e32 v2, v9, v165
	v_fma_f32 v157, v6, v158, -v157
	v_fmac_f32_e32 v150, v5, v159
	v_fma_f32 v154, v4, v159, -v154
	s_clause 0x3
	buffer_load_dword v159, off, s[0:3], 0 offset:436
	buffer_load_dword v161, off, s[0:3], 0 offset:444
	;; [unrolled: 1-line block ×4, first 2 shown]
	s_waitcnt vmcnt(35) lgkmcnt(0)
	v_mul_f32_e32 v164, v138, v170
	v_mul_f32_e32 v6, v139, v170
	v_fmac_f32_e32 v156, v7, v158
	v_fmac_f32_e32 v160, v9, v169
	v_fma_f32 v158, v8, v169, -v2
	ds_read2_b64 v[2:5], v1 offset0:99 offset1:100
	s_waitcnt vmcnt(34)
	v_mul_f32_e32 v165, v140, v171
	v_mul_f32_e32 v7, v141, v171
	buffer_load_dword v169, off, s[0:3], 0 offset:468
	v_fmac_f32_e32 v164, v139, v168
	v_fma_f32 v168, v138, v168, -v6
	v_add_f32_e32 v6, 0, v12
	s_clause 0x6
	buffer_load_dword v12, off, s[0:3], 0 offset:476
	buffer_load_dword v170, off, s[0:3], 0 offset:484
	;; [unrolled: 1-line block ×7, first 2 shown]
	v_fmac_f32_e32 v165, v141, v167
	v_fma_f32 v167, v140, v167, -v7
	v_add_f32_e32 v7, 0, v199
	v_add_f32_e32 v6, v6, v147
	;; [unrolled: 1-line block ×4, first 2 shown]
	s_waitcnt vmcnt(41) lgkmcnt(0)
	v_mul_f32_e32 v8, v3, v172
	v_add_f32_e32 v7, v7, v201
	s_clause 0x8
	buffer_load_dword v199, off, s[0:3], 0 offset:456
	buffer_load_dword v200, off, s[0:3], 0 offset:448
	;; [unrolled: 1-line block ×9, first 2 shown]
	v_add_f32_e32 v6, v6, v10
	v_add_f32_e32 v7, v7, v148
	v_mul_f32_e32 v10, v2, v172
	v_add_f32_e32 v6, v6, v149
	v_add_f32_e32 v7, v7, v11
	v_fmac_f32_e32 v10, v3, v166
	v_fma_f32 v11, v2, v166, -v8
	v_add_f32_e32 v6, v6, v151
	v_add_f32_e32 v7, v7, v153
	s_waitcnt vmcnt(49)
	v_mul_f32_e32 v151, v4, v173
	v_add_f32_e32 v6, v6, v142
	v_add_f32_e32 v7, v7, v155
	s_waitcnt vmcnt(45)
	v_fmac_f32_e32 v151, v5, v177
	v_add_f32_e32 v2, v6, v143
	v_add_f32_e32 v3, v7, v152
	ds_read2_b64 v[6:9], v1 offset0:101 offset1:102
	v_add_f32_e32 v138, v2, v145
	v_mul_f32_e32 v2, v5, v173
	v_add_f32_e32 v139, v3, v144
	v_add_f32_e32 v142, v138, v154
	v_fma_f32 v152, v4, v177, -v2
	ds_read2_b64 v[2:5], v1 offset0:103 offset1:104
	v_add_f32_e32 v143, v139, v150
	ds_read2_b64 v[138:141], v1 offset0:105 offset1:106
	v_add_f32_e32 v142, v142, v157
	v_add_f32_e32 v143, v143, v156
	;; [unrolled: 1-line block ×3, first 2 shown]
	s_waitcnt vmcnt(44) lgkmcnt(2)
	v_mul_f32_e32 v144, v7, v178
	v_mul_f32_e32 v154, v6, v178
	s_waitcnt vmcnt(43)
	v_mul_f32_e32 v156, v8, v179
	v_fma_f32 v155, v6, v176, -v144
	v_add_f32_e32 v6, v143, v160
	v_fmac_f32_e32 v154, v7, v176
	v_add_f32_e32 v7, v146, v168
	ds_read2_b64 v[142:145], v1 offset0:107 offset1:108
	s_waitcnt vmcnt(42) lgkmcnt(2)
	v_mul_f32_e32 v147, v3, v180
	v_add_f32_e32 v6, v6, v164
	v_mul_f32_e32 v158, v2, v180
	v_add_f32_e32 v7, v7, v167
	v_mul_f32_e32 v146, v9, v179
	v_fmac_f32_e32 v156, v9, v175
	v_add_f32_e32 v6, v6, v165
	v_fma_f32 v165, v2, v174, -v147
	v_add_f32_e32 v2, v7, v11
	v_fmac_f32_e32 v158, v3, v174
	v_fma_f32 v157, v8, v175, -v146
	v_add_f32_e32 v3, v6, v10
	s_waitcnt vmcnt(40) lgkmcnt(1)
	v_mul_f32_e32 v10, v139, v182
	v_add_f32_e32 v11, v2, v152
	v_mul_f32_e32 v150, v5, v181
	v_mul_f32_e32 v160, v4, v181
	;; [unrolled: 1-line block ×3, first 2 shown]
	s_waitcnt vmcnt(35)
	v_fma_f32 v167, v138, v187, -v10
	v_add_f32_e32 v10, v3, v151
	v_add_f32_e32 v11, v11, v155
	s_waitcnt vmcnt(34)
	v_fma_f32 v166, v4, v188, -v150
	ds_read2_b64 v[6:9], v1 offset0:109 offset1:110
	ds_read2_b64 v[146:149], v1 offset0:111 offset1:112
	v_fmac_f32_e32 v160, v5, v188
	v_add_f32_e32 v10, v10, v154
	v_add_f32_e32 v11, v11, v157
	v_mul_f32_e32 v138, v141, v183
	v_fmac_f32_e32 v164, v139, v187
	v_mul_f32_e32 v168, v140, v183
	v_add_f32_e32 v10, v10, v156
	v_add_f32_e32 v165, v11, v165
	s_waitcnt lgkmcnt(2)
	v_mul_f32_e32 v139, v143, v184
	v_fma_f32 v175, v140, v186, -v138
	v_mul_f32_e32 v172, v142, v184
	v_add_f32_e32 v158, v10, v158
	v_add_f32_e32 v165, v165, v166
	v_fmac_f32_e32 v168, v141, v186
	s_waitcnt vmcnt(33)
	v_mul_f32_e32 v174, v145, v189
	v_fma_f32 v176, v142, v185, -v139
	v_add_f32_e32 v158, v158, v160
	v_add_f32_e32 v165, v165, v167
	v_mul_f32_e32 v173, v144, v189
	v_fmac_f32_e32 v172, v143, v185
	s_waitcnt vmcnt(26)
	v_fma_f32 v174, v144, v196, -v174
	v_add_f32_e32 v158, v158, v164
	v_add_f32_e32 v165, v165, v175
	s_waitcnt lgkmcnt(1)
	v_mul_f32_e32 v177, v7, v190
	ds_read2_b64 v[2:5], v1 offset0:113 offset1:114
	ds_read2_b64 v[150:153], v1 offset0:115 offset1:116
	v_fmac_f32_e32 v173, v145, v196
	v_add_f32_e32 v158, v158, v168
	v_add_f32_e32 v165, v165, v176
	v_mul_f32_e32 v166, v6, v190
	v_mul_f32_e32 v178, v9, v191
	v_fma_f32 v6, v6, v195, -v177
	v_add_f32_e32 v158, v158, v172
	v_add_f32_e32 v165, v165, v174
	v_mul_f32_e32 v160, v8, v191
	v_fmac_f32_e32 v166, v7, v195
	s_waitcnt lgkmcnt(2)
	v_mul_f32_e32 v177, v147, v192
	v_add_f32_e32 v158, v158, v173
	v_fma_f32 v8, v8, v194, -v178
	v_add_f32_e32 v6, v165, v6
	v_mul_f32_e32 v167, v146, v192
	v_fmac_f32_e32 v160, v9, v194
	v_add_f32_e32 v158, v158, v166
	v_fma_f32 v146, v146, v193, -v177
	v_add_f32_e32 v6, v6, v8
	v_fmac_f32_e32 v167, v147, v193
	ds_read2_b64 v[138:141], v1 offset0:117 offset1:118
	ds_read2_b64 v[154:157], v1 offset0:119 offset1:120
	v_add_f32_e32 v8, v158, v160
	ds_read2_b64 v[142:145], v1 offset0:121 offset1:122
	ds_read_b64 v[10:11], v1 offset:984
	v_add_f32_e32 v6, v6, v146
	v_add_f32_e32 v8, v8, v167
	s_waitcnt vmcnt(24)
	v_mul_f32_e32 v173, v149, v198
	v_mul_f32_e32 v164, v148, v198
	s_waitcnt vmcnt(23) lgkmcnt(5)
	v_mul_f32_e32 v7, v2, v202
	v_mul_f32_e32 v147, v3, v202
	s_waitcnt vmcnt(22)
	v_mul_f32_e32 v146, v5, v203
	v_mul_f32_e32 v175, v4, v203
	s_waitcnt vmcnt(21) lgkmcnt(4)
	v_mul_f32_e32 v168, v150, v204
	s_waitcnt vmcnt(20)
	v_mul_f32_e32 v9, v152, v159
	s_waitcnt vmcnt(19) lgkmcnt(3)
	v_mul_f32_e32 v178, v138, v161
	s_waitcnt vmcnt(18)
	;; [unrolled: 4-line block ×3, first 2 shown]
	v_mul_f32_e32 v179, v156, v169
	s_waitcnt vmcnt(12)
	v_fmac_f32_e32 v168, v151, v205
	s_waitcnt vmcnt(11)
	v_fma_f32 v4, v4, v206, -v146
	s_waitcnt vmcnt(10)
	v_fmac_f32_e32 v7, v3, v207
	s_waitcnt vmcnt(9)
	v_fma_f32 v148, v148, v208, -v173
	v_fmac_f32_e32 v164, v149, v208
	v_fma_f32 v2, v2, v207, -v147
	v_fmac_f32_e32 v175, v5, v206
	v_mul_f32_e32 v5, v153, v159
	v_add_f32_e32 v3, v6, v148
	v_add_f32_e32 v6, v8, v164
	v_mul_f32_e32 v8, v151, v204
	s_waitcnt lgkmcnt(1)
	v_mul_f32_e32 v174, v142, v12
	v_mul_f32_e32 v180, v144, v170
	v_add_f32_e32 v2, v3, v2
	v_add_f32_e32 v3, v6, v7
	v_fma_f32 v6, v150, v205, -v8
	s_waitcnt vmcnt(6)
	v_fmac_f32_e32 v178, v139, v201
	s_waitcnt vmcnt(5)
	v_fma_f32 v5, v152, v209, -v5
	v_add_f32_e32 v2, v2, v4
	v_add_f32_e32 v3, v3, v175
	v_mul_f32_e32 v4, v139, v161
	v_fmac_f32_e32 v9, v153, v209
	v_fmac_f32_e32 v172, v141, v200
	v_add_f32_e32 v2, v2, v6
	v_add_f32_e32 v3, v3, v168
	v_mul_f32_e32 v6, v141, v162
	v_fma_f32 v4, v138, v201, -v4
	v_fmac_f32_e32 v176, v155, v199
	v_add_f32_e32 v2, v2, v5
	v_add_f32_e32 v3, v3, v9
	v_mul_f32_e32 v5, v155, v163
	v_fma_f32 v6, v140, v200, -v6
	s_waitcnt vmcnt(1)
	v_fmac_f32_e32 v179, v157, v213
	v_add_f32_e32 v2, v2, v4
	v_add_f32_e32 v3, v3, v178
	v_mul_f32_e32 v4, v157, v169
	v_fma_f32 v5, v154, v199, -v5
	v_fmac_f32_e32 v174, v143, v212
	v_add_f32_e32 v2, v2, v6
	v_add_f32_e32 v3, v3, v172
	v_mul_f32_e32 v6, v143, v12
	v_fma_f32 v4, v156, v213, -v4
	s_waitcnt lgkmcnt(0)
	v_mul_f32_e32 v165, v10, v171
	v_add_f32_e32 v2, v2, v5
	v_add_f32_e32 v3, v3, v176
	v_mul_f32_e32 v5, v145, v170
	v_fma_f32 v6, v142, v212, -v6
	v_fmac_f32_e32 v180, v145, v211
	v_add_f32_e32 v2, v2, v4
	v_add_f32_e32 v3, v3, v179
	v_mul_f32_e32 v4, v11, v171
	v_fma_f32 v5, v144, v211, -v5
	v_fmac_f32_e32 v165, v11, v210
	v_add_f32_e32 v2, v2, v6
	v_add_f32_e32 v3, v3, v174
	v_fma_f32 v4, v10, v210, -v4
	v_add_f32_e32 v2, v2, v5
	v_add_f32_e32 v3, v3, v180
	;; [unrolled: 1-line block ×4, first 2 shown]
	s_waitcnt vmcnt(0)
	v_sub_f32_e32 v2, v214, v2
	v_sub_f32_e32 v3, v197, v3
	buffer_store_dword v2, off, s[0:3], 0 offset:176
	buffer_store_dword v3, off, s[0:3], 0 offset:180
	v_cmpx_lt_u32_e32 21, v0
	s_cbranch_execz .LBB125_343
; %bb.342:
	s_clause 0x1
	buffer_load_dword v2, off, s[0:3], 0 offset:168
	buffer_load_dword v3, off, s[0:3], 0 offset:172
	buffer_store_dword v1, off, s[0:3], 0 offset:168
	buffer_store_dword v1, off, s[0:3], 0 offset:172
	s_waitcnt vmcnt(0)
	ds_write_b64 v137, v[2:3]
.LBB125_343:
	s_or_b32 exec_lo, exec_lo, s4
	s_waitcnt lgkmcnt(0)
	s_waitcnt_vscnt null, 0x0
	s_barrier
	buffer_gl0_inv
	s_clause 0x23
	buffer_load_dword v10, off, s[0:3], 0 offset:180
	buffer_load_dword v11, off, s[0:3], 0 offset:188
	;; [unrolled: 1-line block ×36, first 2 shown]
	ds_read_b128 v[2:5], v1 offset:672
	s_clause 0x1
	buffer_load_dword v187, off, s[0:3], 0 offset:316
	buffer_load_dword v188, off, s[0:3], 0 offset:324
	ds_read_b128 v[6:9], v1 offset:688
	ds_read_b128 v[138:141], v1 offset:704
	s_clause 0x7
	buffer_load_dword v189, off, s[0:3], 0 offset:332
	buffer_load_dword v190, off, s[0:3], 0 offset:340
	;; [unrolled: 1-line block ×8, first 2 shown]
	ds_read_b128 v[142:145], v1 offset:720
	ds_read_b128 v[146:149], v1 offset:736
	;; [unrolled: 1-line block ×3, first 2 shown]
	buffer_load_dword v199, off, s[0:3], 0 offset:172
	s_mov_b32 s4, exec_lo
	s_waitcnt vmcnt(46) lgkmcnt(5)
	v_mul_f32_e32 v197, v3, v10
	v_mul_f32_e32 v10, v2, v10
	s_waitcnt vmcnt(45)
	v_mul_f32_e32 v198, v4, v11
	v_mul_f32_e32 v11, v5, v11
	s_waitcnt vmcnt(42)
	v_fma_f32 v197, v2, v155, -v197
	v_fmac_f32_e32 v10, v3, v155
	v_fmac_f32_e32 v198, v5, v154
	v_fma_f32 v11, v4, v154, -v11
	s_waitcnt vmcnt(41) lgkmcnt(4)
	v_mul_f32_e32 v154, v6, v156
	v_mul_f32_e32 v155, v7, v156
	s_waitcnt vmcnt(40)
	v_mul_f32_e32 v156, v8, v157
	v_mul_f32_e32 v157, v9, v157
	s_waitcnt vmcnt(39) lgkmcnt(3)
	v_mul_f32_e32 v200, v138, v158
	v_mul_f32_e32 v158, v139, v158
	v_fmac_f32_e32 v154, v7, v12
	v_fma_f32 v12, v6, v12, -v155
	s_waitcnt vmcnt(38)
	v_mul_f32_e32 v155, v140, v159
	v_mul_f32_e32 v6, v141, v159
	ds_read_b128 v[2:5], v1 offset:768
	s_waitcnt vmcnt(34)
	v_fmac_f32_e32 v156, v9, v163
	v_fma_f32 v157, v8, v163, -v157
	v_fmac_f32_e32 v200, v139, v162
	v_fma_f32 v138, v138, v162, -v158
	;; [unrolled: 2-line block ×3, first 2 shown]
	s_clause 0x7
	buffer_load_dword v158, off, s[0:3], 0 offset:364
	buffer_load_dword v159, off, s[0:3], 0 offset:372
	;; [unrolled: 1-line block ×8, first 2 shown]
	s_waitcnt vmcnt(41) lgkmcnt(3)
	v_mul_f32_e32 v6, v143, v164
	s_waitcnt vmcnt(40)
	v_mul_f32_e32 v7, v145, v165
	v_mul_f32_e32 v140, v142, v164
	;; [unrolled: 1-line block ×3, first 2 shown]
	s_waitcnt vmcnt(39) lgkmcnt(2)
	v_mul_f32_e32 v164, v146, v166
	v_fma_f32 v142, v142, v160, -v6
	s_waitcnt vmcnt(34)
	v_fma_f32 v144, v144, v171, -v7
	ds_read_b128 v[6:9], v1 offset:784
	v_mul_f32_e32 v165, v147, v166
	v_fmac_f32_e32 v140, v143, v160
	v_mul_f32_e32 v143, v148, v167
	v_mul_f32_e32 v160, v149, v167
	v_fmac_f32_e32 v141, v145, v171
	v_fmac_f32_e32 v164, v147, v170
	v_fma_f32 v145, v146, v170, -v165
	v_fmac_f32_e32 v143, v149, v169
	v_fma_f32 v146, v148, v169, -v160
	s_waitcnt vmcnt(33) lgkmcnt(2)
	v_mul_f32_e32 v147, v150, v172
	v_mul_f32_e32 v148, v151, v172
	s_waitcnt vmcnt(32)
	v_mul_f32_e32 v149, v152, v173
	s_waitcnt vmcnt(31) lgkmcnt(1)
	v_mul_f32_e32 v170, v2, v174
	v_mul_f32_e32 v171, v3, v174
	v_mul_f32_e32 v169, v153, v173
	v_fmac_f32_e32 v147, v151, v168
	v_fma_f32 v148, v150, v168, -v148
	s_waitcnt vmcnt(30)
	v_mul_f32_e32 v150, v4, v175
	v_mul_f32_e32 v151, v5, v175
	s_waitcnt vmcnt(26)
	v_fmac_f32_e32 v149, v153, v179
	v_fmac_f32_e32 v170, v3, v178
	v_fma_f32 v153, v2, v178, -v171
	s_waitcnt vmcnt(25) lgkmcnt(0)
	v_mul_f32_e32 v178, v6, v180
	v_mul_f32_e32 v2, v7, v180
	v_add_f32_e32 v3, 0, v197
	s_clause 0x3
	buffer_load_dword v160, off, s[0:3], 0 offset:396
	buffer_load_dword v165, off, s[0:3], 0 offset:404
	buffer_load_dword v166, off, s[0:3], 0 offset:412
	buffer_load_dword v167, off, s[0:3], 0 offset:420
	v_fma_f32 v152, v152, v179, -v169
	s_clause 0x3
	buffer_load_dword v168, off, s[0:3], 0 offset:428
	buffer_load_dword v169, off, s[0:3], 0 offset:436
	;; [unrolled: 1-line block ×4, first 2 shown]
	v_fmac_f32_e32 v150, v5, v177
	v_fma_f32 v151, v4, v177, -v151
	s_clause 0x3
	buffer_load_dword v171, off, s[0:3], 0 offset:460
	buffer_load_dword v174, off, s[0:3], 0 offset:468
	;; [unrolled: 1-line block ×4, first 2 shown]
	v_add_f32_e32 v4, 0, v10
	buffer_load_dword v10, off, s[0:3], 0 offset:492
	v_fmac_f32_e32 v178, v7, v176
	v_fma_f32 v176, v6, v176, -v2
	v_add_f32_e32 v2, v3, v11
	s_clause 0x3
	buffer_load_dword v11, off, s[0:3], 0 offset:416
	buffer_load_dword v179, off, s[0:3], 0 offset:408
	;; [unrolled: 1-line block ×4, first 2 shown]
	v_add_f32_e32 v6, v4, v198
	v_add_f32_e32 v7, v2, v12
	s_waitcnt vmcnt(41)
	v_mul_f32_e32 v2, v9, v181
	v_mul_f32_e32 v12, v8, v181
	v_add_f32_e32 v6, v6, v154
	v_add_f32_e32 v7, v7, v157
	s_waitcnt vmcnt(37)
	v_fma_f32 v181, v8, v185, -v2
	ds_read_b128 v[2:5], v1 offset:800
	v_fmac_f32_e32 v12, v9, v185
	s_clause 0x3
	buffer_load_dword v185, off, s[0:3], 0 offset:448
	buffer_load_dword v198, off, s[0:3], 0 offset:440
	;; [unrolled: 1-line block ×4, first 2 shown]
	v_add_f32_e32 v7, v7, v138
	v_add_f32_e32 v6, v6, v156
	;; [unrolled: 1-line block ×6, first 2 shown]
	ds_read_b128 v[6:9], v1 offset:816
	v_add_f32_e32 v139, v139, v140
	s_waitcnt vmcnt(40) lgkmcnt(1)
	v_mul_f32_e32 v154, v2, v186
	v_mul_f32_e32 v142, v3, v186
	s_waitcnt vmcnt(39)
	v_mul_f32_e32 v156, v4, v187
	v_fmac_f32_e32 v154, v3, v184
	v_fma_f32 v155, v2, v184, -v142
	s_clause 0x4
	buffer_load_dword v184, off, s[0:3], 0 offset:480
	buffer_load_dword v186, off, s[0:3], 0 offset:472
	;; [unrolled: 1-line block ×5, first 2 shown]
	v_add_f32_e32 v3, v139, v141
	v_add_f32_e32 v2, v138, v144
	v_mul_f32_e32 v138, v5, v187
	v_fmac_f32_e32 v156, v5, v183
	v_add_f32_e32 v3, v3, v164
	buffer_load_dword v164, off, s[0:3], 0 offset:168
	v_add_f32_e32 v2, v2, v145
	v_fma_f32 v157, v4, v183, -v138
	s_waitcnt vmcnt(44) lgkmcnt(0)
	v_mul_f32_e32 v183, v6, v188
	v_add_f32_e32 v139, v3, v143
	v_mul_f32_e32 v144, v7, v188
	v_add_f32_e32 v2, v2, v146
	s_waitcnt vmcnt(43)
	v_mul_f32_e32 v187, v8, v189
	v_mul_f32_e32 v145, v9, v189
	v_add_f32_e32 v143, v139, v147
	ds_read_b128 v[138:141], v1 offset:848
	v_add_f32_e32 v142, v2, v148
	ds_read_b128 v[2:5], v1 offset:832
	v_fmac_f32_e32 v183, v7, v182
	v_add_f32_e32 v143, v143, v149
	v_fma_f32 v182, v6, v182, -v144
	v_add_f32_e32 v142, v142, v152
	s_waitcnt vmcnt(36)
	v_fmac_f32_e32 v187, v9, v196
	v_fma_f32 v188, v8, v196, -v145
	v_add_f32_e32 v147, v143, v170
	v_add_f32_e32 v146, v142, v153
	ds_read_b128 v[6:9], v1 offset:864
	ds_read_b128 v[142:145], v1 offset:880
	v_add_f32_e32 v147, v147, v150
	v_add_f32_e32 v146, v146, v151
	v_add_f32_e32 v147, v147, v178
	s_waitcnt lgkmcnt(3)
	v_mul_f32_e32 v150, v139, v192
	v_add_f32_e32 v146, v146, v176
	v_mul_f32_e32 v176, v138, v192
	s_waitcnt lgkmcnt(2)
	v_mul_f32_e32 v148, v3, v190
	v_add_f32_e32 v12, v147, v12
	v_mul_f32_e32 v170, v2, v190
	v_add_f32_e32 v151, v146, v181
	v_mul_f32_e32 v149, v5, v191
	v_fma_f32 v190, v2, v195, -v148
	v_add_f32_e32 v12, v12, v154
	v_mul_f32_e32 v189, v4, v191
	v_add_f32_e32 v155, v151, v155
	v_fmac_f32_e32 v170, v3, v195
	v_fma_f32 v191, v4, v194, -v149
	v_add_f32_e32 v12, v12, v156
	v_fmac_f32_e32 v189, v5, v194
	v_add_f32_e32 v154, v155, v157
	v_fmac_f32_e32 v176, v139, v193
	ds_read_b128 v[2:5], v1 offset:896
	ds_read_b128 v[146:149], v1 offset:912
	v_add_f32_e32 v12, v12, v183
	v_add_f32_e32 v12, v12, v187
	;; [unrolled: 1-line block ×5, first 2 shown]
	s_waitcnt vmcnt(34)
	v_mul_f32_e32 v178, v140, v158
	s_waitcnt vmcnt(33) lgkmcnt(3)
	v_mul_f32_e32 v192, v6, v159
	v_mul_f32_e32 v155, v7, v159
	;; [unrolled: 1-line block ×3, first 2 shown]
	v_fma_f32 v158, v138, v193, -v150
	s_waitcnt vmcnt(32)
	v_mul_f32_e32 v193, v8, v161
	s_waitcnt vmcnt(28)
	v_fmac_f32_e32 v192, v7, v202
	v_add_f32_e32 v7, v154, v182
	s_waitcnt vmcnt(27)
	v_fma_f32 v181, v140, v203, -v152
	v_fmac_f32_e32 v178, v141, v203
	v_mul_f32_e32 v156, v9, v161
	v_fma_f32 v159, v6, v202, -v155
	v_add_f32_e32 v182, v7, v188
	ds_read_b128 v[138:141], v1 offset:928
	ds_read_b128 v[150:153], v1 offset:944
	v_add_f32_e32 v12, v12, v178
	v_fmac_f32_e32 v193, v9, v201
	v_fma_f32 v161, v8, v201, -v156
	v_add_f32_e32 v182, v182, v190
	ds_read_b128 v[6:9], v1 offset:960
	ds_read_b128 v[154:157], v1 offset:976
	s_waitcnt lgkmcnt(6)
	v_mul_f32_e32 v1, v142, v162
	v_mul_f32_e32 v162, v143, v162
	v_add_f32_e32 v12, v12, v192
	v_add_f32_e32 v182, v182, v191
	v_fmac_f32_e32 v1, v143, v163
	v_fma_f32 v142, v142, v163, -v162
	v_add_f32_e32 v12, v12, v193
	v_add_f32_e32 v158, v182, v158
	;; [unrolled: 1-line block ×5, first 2 shown]
	s_waitcnt vmcnt(26)
	v_mul_f32_e32 v170, v144, v160
	v_mul_f32_e32 v160, v145, v160
	s_waitcnt vmcnt(25) lgkmcnt(5)
	v_mul_f32_e32 v183, v2, v165
	s_waitcnt vmcnt(24)
	v_mul_f32_e32 v12, v5, v166
	v_add_f32_e32 v158, v158, v161
	v_mul_f32_e32 v161, v3, v165
	v_mul_f32_e32 v187, v4, v166
	s_waitcnt vmcnt(23) lgkmcnt(4)
	v_mul_f32_e32 v188, v146, v167
	s_waitcnt vmcnt(22)
	v_mul_f32_e32 v182, v148, v168
	v_add_f32_e32 v142, v158, v142
	s_waitcnt vmcnt(21) lgkmcnt(3)
	v_mul_f32_e32 v176, v138, v169
	s_waitcnt vmcnt(20)
	v_mul_f32_e32 v189, v140, v172
	s_waitcnt vmcnt(12)
	v_fma_f32 v4, v4, v179, -v12
	s_waitcnt vmcnt(11)
	v_fmac_f32_e32 v183, v3, v180
	s_waitcnt vmcnt(10)
	v_fma_f32 v144, v144, v197, -v160
	v_fmac_f32_e32 v170, v145, v197
	v_fma_f32 v2, v2, v180, -v161
	v_fmac_f32_e32 v187, v5, v179
	v_fmac_f32_e32 v188, v147, v11
	v_add_f32_e32 v3, v142, v144
	v_add_f32_e32 v1, v1, v170
	v_mul_f32_e32 v142, v147, v167
	s_waitcnt lgkmcnt(2)
	v_mul_f32_e32 v181, v150, v173
	v_mul_f32_e32 v178, v152, v171
	v_add_f32_e32 v2, v3, v2
	v_add_f32_e32 v1, v1, v183
	v_mul_f32_e32 v3, v149, v168
	v_fma_f32 v5, v146, v11, -v142
	s_waitcnt vmcnt(6)
	v_fmac_f32_e32 v182, v149, v205
	v_add_f32_e32 v2, v2, v4
	v_add_f32_e32 v1, v1, v187
	v_mul_f32_e32 v4, v139, v169
	v_fma_f32 v3, v148, v205, -v3
	v_fmac_f32_e32 v176, v139, v204
	v_add_f32_e32 v2, v2, v5
	v_add_f32_e32 v1, v1, v188
	v_mul_f32_e32 v5, v141, v172
	v_fma_f32 v4, v138, v204, -v4
	;; [unrolled: 5-line block ×4, first 2 shown]
	s_waitcnt lgkmcnt(1)
	v_mul_f32_e32 v190, v6, v174
	v_add_f32_e32 v2, v2, v5
	v_add_f32_e32 v1, v1, v189
	v_mul_f32_e32 v5, v7, v174
	s_waitcnt vmcnt(2)
	v_fma_f32 v4, v152, v206, -v4
	v_fmac_f32_e32 v178, v153, v206
	v_add_f32_e32 v2, v2, v3
	v_add_f32_e32 v1, v1, v181
	v_mul_f32_e32 v3, v9, v175
	v_fma_f32 v5, v6, v200, -v5
	v_mul_f32_e32 v159, v8, v175
	v_add_f32_e32 v2, v2, v4
	v_fmac_f32_e32 v190, v7, v200
	v_add_f32_e32 v1, v1, v178
	s_waitcnt lgkmcnt(0)
	v_mul_f32_e32 v4, v155, v177
	v_fma_f32 v3, v8, v186, -v3
	v_add_f32_e32 v2, v2, v5
	v_mul_f32_e32 v191, v154, v177
	v_fmac_f32_e32 v159, v9, v186
	v_add_f32_e32 v1, v1, v190
	v_mul_f32_e32 v5, v157, v10
	v_fma_f32 v4, v154, v184, -v4
	v_add_f32_e32 v2, v2, v3
	v_mul_f32_e32 v143, v156, v10
	v_fmac_f32_e32 v191, v155, v184
	v_add_f32_e32 v1, v1, v159
	s_waitcnt vmcnt(1)
	v_fma_f32 v3, v156, v207, -v5
	v_add_f32_e32 v2, v2, v4
	v_fmac_f32_e32 v143, v157, v207
	v_add_f32_e32 v1, v1, v191
	v_add_f32_e32 v2, v2, v3
	;; [unrolled: 1-line block ×3, first 2 shown]
	s_waitcnt vmcnt(0)
	v_sub_f32_e32 v2, v164, v2
	v_sub_f32_e32 v1, v199, v1
	buffer_store_dword v2, off, s[0:3], 0 offset:168
	buffer_store_dword v1, off, s[0:3], 0 offset:172
	v_cmpx_lt_u32_e32 20, v0
	s_cbranch_execz .LBB125_345
; %bb.344:
	s_clause 0x1
	buffer_load_dword v1, off, s[0:3], 0 offset:160
	buffer_load_dword v2, off, s[0:3], 0 offset:164
	v_mov_b32_e32 v3, 0
	buffer_store_dword v3, off, s[0:3], 0 offset:160
	buffer_store_dword v3, off, s[0:3], 0 offset:164
	s_waitcnt vmcnt(0)
	ds_write_b64 v137, v[1:2]
.LBB125_345:
	s_or_b32 exec_lo, exec_lo, s4
	s_waitcnt lgkmcnt(0)
	s_waitcnt_vscnt null, 0x0
	s_barrier
	buffer_gl0_inv
	s_clause 0x23
	buffer_load_dword v2, off, s[0:3], 0 offset:172
	buffer_load_dword v1, off, s[0:3], 0 offset:180
	;; [unrolled: 1-line block ×36, first 2 shown]
	v_mov_b32_e32 v138, 0
	s_mov_b32 s4, exec_lo
	ds_read2_b64 v[3:6], v138 offset0:83 offset1:84
	s_clause 0x1
	buffer_load_dword v187, off, s[0:3], 0 offset:308
	buffer_load_dword v188, off, s[0:3], 0 offset:316
	ds_read2_b64 v[7:10], v138 offset0:85 offset1:86
	s_clause 0x8
	buffer_load_dword v189, off, s[0:3], 0 offset:324
	buffer_load_dword v190, off, s[0:3], 0 offset:332
	;; [unrolled: 1-line block ×9, first 2 shown]
	ds_read2_b64 v[139:142], v138 offset0:87 offset1:88
	ds_read2_b64 v[143:146], v138 offset0:89 offset1:90
	buffer_load_dword v198, off, s[0:3], 0 offset:164
	ds_read2_b64 v[147:150], v138 offset0:91 offset1:92
	ds_read2_b64 v[151:154], v138 offset0:93 offset1:94
	s_waitcnt vmcnt(47) lgkmcnt(5)
	v_mul_f32_e32 v199, v4, v2
	v_mul_f32_e32 v200, v3, v2
	s_waitcnt vmcnt(46)
	v_mul_f32_e32 v201, v5, v1
	v_mul_f32_e32 v1, v6, v1
	s_waitcnt vmcnt(43)
	v_fma_f32 v199, v3, v155, -v199
	v_fmac_f32_e32 v200, v4, v155
	s_waitcnt vmcnt(42) lgkmcnt(4)
	v_mul_f32_e32 v155, v7, v156
	v_mul_f32_e32 v156, v8, v156
	v_fmac_f32_e32 v201, v6, v12
	v_fma_f32 v12, v5, v12, -v1
	s_waitcnt vmcnt(41)
	v_mul_f32_e32 v202, v9, v157
	v_mul_f32_e32 v5, v10, v157
	v_fmac_f32_e32 v155, v8, v11
	v_fma_f32 v11, v7, v11, -v156
	s_waitcnt vmcnt(40) lgkmcnt(3)
	v_mul_f32_e32 v156, v139, v158
	v_mul_f32_e32 v6, v140, v158
	s_waitcnt vmcnt(36)
	v_fmac_f32_e32 v202, v10, v162
	v_fma_f32 v9, v9, v162, -v5
	s_waitcnt vmcnt(35)
	v_mul_f32_e32 v10, v141, v163
	v_mul_f32_e32 v5, v142, v163
	ds_read2_b64 v[1:4], v138 offset0:95 offset1:96
	s_waitcnt vmcnt(34) lgkmcnt(3)
	v_mul_f32_e32 v157, v143, v164
	v_mul_f32_e32 v7, v144, v164
	s_waitcnt vmcnt(33)
	v_mul_f32_e32 v158, v145, v165
	v_mul_f32_e32 v8, v146, v165
	v_fmac_f32_e32 v156, v140, v161
	v_fma_f32 v139, v139, v161, -v6
	v_fmac_f32_e32 v10, v142, v160
	v_fma_f32 v140, v141, v160, -v5
	s_clause 0x6
	buffer_load_dword v160, off, s[0:3], 0 offset:364
	buffer_load_dword v161, off, s[0:3], 0 offset:372
	;; [unrolled: 1-line block ×7, first 2 shown]
	v_fma_f32 v141, v143, v159, -v7
	s_waitcnt vmcnt(36)
	v_fma_f32 v142, v145, v169, -v8
	ds_read2_b64 v[5:8], v138 offset0:97 offset1:98
	v_fmac_f32_e32 v157, v144, v159
	v_fmac_f32_e32 v158, v146, v169
	s_waitcnt vmcnt(35) lgkmcnt(3)
	v_mul_f32_e32 v144, v148, v170
	s_waitcnt vmcnt(34)
	v_mul_f32_e32 v145, v149, v171
	v_mul_f32_e32 v146, v150, v171
	;; [unrolled: 1-line block ×3, first 2 shown]
	s_waitcnt vmcnt(33) lgkmcnt(2)
	v_mul_f32_e32 v159, v151, v172
	v_mul_f32_e32 v169, v152, v172
	v_fma_f32 v144, v147, v168, -v144
	s_waitcnt vmcnt(32)
	v_mul_f32_e32 v147, v153, v173
	v_fmac_f32_e32 v145, v150, v167
	v_fma_f32 v146, v149, v167, -v146
	s_waitcnt vmcnt(31) lgkmcnt(1)
	v_mul_f32_e32 v149, v1, v174
	v_mul_f32_e32 v150, v2, v174
	v_fmac_f32_e32 v143, v148, v168
	v_mul_f32_e32 v148, v154, v173
	v_fmac_f32_e32 v159, v152, v166
	v_fma_f32 v151, v151, v166, -v169
	s_waitcnt vmcnt(27)
	v_fmac_f32_e32 v147, v154, v178
	s_clause 0x7
	buffer_load_dword v166, off, s[0:3], 0 offset:388
	buffer_load_dword v167, off, s[0:3], 0 offset:396
	;; [unrolled: 1-line block ×8, first 2 shown]
	v_fmac_f32_e32 v149, v2, v177
	v_fma_f32 v150, v1, v177, -v150
	s_waitcnt vmcnt(33) lgkmcnt(0)
	v_mul_f32_e32 v154, v5, v180
	v_mul_f32_e32 v1, v6, v180
	v_add_f32_e32 v2, 0, v199
	v_fma_f32 v148, v153, v178, -v148
	v_mul_f32_e32 v152, v3, v179
	v_fmac_f32_e32 v154, v6, v175
	v_fma_f32 v175, v5, v175, -v1
	v_add_f32_e32 v1, 0, v200
	v_add_f32_e32 v2, v2, v12
	v_mul_f32_e32 v153, v4, v179
	s_clause 0x1
	buffer_load_dword v174, off, s[0:3], 0 offset:420
	buffer_load_dword v177, off, s[0:3], 0 offset:428
	v_fmac_f32_e32 v152, v4, v176
	v_add_f32_e32 v1, v1, v201
	v_add_f32_e32 v5, v2, v11
	s_waitcnt vmcnt(34)
	v_mul_f32_e32 v2, v8, v181
	v_fma_f32 v153, v3, v176, -v153
	s_clause 0x5
	buffer_load_dword v176, off, s[0:3], 0 offset:436
	buffer_load_dword v178, off, s[0:3], 0 offset:444
	;; [unrolled: 1-line block ×6, first 2 shown]
	v_mul_f32_e32 v204, v7, v181
	v_add_f32_e32 v6, v1, v155
	s_waitcnt vmcnt(36)
	v_fma_f32 v155, v7, v185, -v2
	ds_read2_b64 v[1:4], v138 offset0:99 offset1:100
	s_clause 0x1
	buffer_load_dword v201, off, s[0:3], 0 offset:484
	buffer_load_dword v181, off, s[0:3], 0 offset:492
	v_fmac_f32_e32 v204, v8, v185
	v_add_f32_e32 v6, v6, v202
	s_clause 0x3
	buffer_load_dword v185, off, s[0:3], 0 offset:440
	buffer_load_dword v202, off, s[0:3], 0 offset:432
	;; [unrolled: 1-line block ×4, first 2 shown]
	v_add_f32_e32 v5, v5, v9
	v_add_f32_e32 v6, v6, v156
	;; [unrolled: 1-line block ×6, first 2 shown]
	s_waitcnt vmcnt(41) lgkmcnt(0)
	v_mul_f32_e32 v156, v1, v186
	v_mul_f32_e32 v11, v2, v186
	v_add_f32_e32 v10, v5, v141
	ds_read2_b64 v[5:8], v138 offset0:101 offset1:102
	v_fmac_f32_e32 v156, v2, v184
	v_fma_f32 v157, v1, v184, -v11
	v_add_f32_e32 v1, v9, v158
	s_clause 0x6
	buffer_load_dword v158, off, s[0:3], 0 offset:472
	buffer_load_dword v184, off, s[0:3], 0 offset:464
	;; [unrolled: 1-line block ×7, first 2 shown]
	v_add_f32_e32 v10, v10, v142
	v_add_f32_e32 v1, v1, v143
	s_waitcnt vmcnt(47)
	v_mul_f32_e32 v9, v4, v187
	v_add_f32_e32 v2, v10, v144
	v_add_f32_e32 v1, v1, v145
	;; [unrolled: 1-line block ×4, first 2 shown]
	v_fma_f32 v159, v3, v183, -v9
	s_waitcnt vmcnt(46) lgkmcnt(0)
	v_mul_f32_e32 v141, v6, v188
	s_waitcnt vmcnt(45)
	v_mul_f32_e32 v142, v8, v189
	v_add_f32_e32 v2, v2, v151
	v_add_f32_e32 v140, v10, v147
	v_mul_f32_e32 v151, v3, v187
	v_mul_f32_e32 v187, v7, v189
	ds_read2_b64 v[9:12], v138 offset0:105 offset1:106
	v_add_f32_e32 v139, v2, v148
	v_add_f32_e32 v140, v140, v149
	v_fmac_f32_e32 v151, v4, v183
	v_mul_f32_e32 v183, v5, v188
	ds_read2_b64 v[1:4], v138 offset0:103 offset1:104
	v_add_f32_e32 v139, v139, v150
	v_add_f32_e32 v144, v140, v152
	s_waitcnt vmcnt(38)
	v_fmac_f32_e32 v187, v8, v196
	v_fmac_f32_e32 v183, v6, v182
	v_fma_f32 v182, v5, v182, -v141
	v_add_f32_e32 v143, v139, v153
	v_fma_f32 v153, v7, v196, -v142
	ds_read2_b64 v[5:8], v138 offset0:107 offset1:108
	ds_read2_b64 v[139:142], v138 offset0:109 offset1:110
	v_add_f32_e32 v144, v144, v154
	v_add_f32_e32 v143, v143, v175
	;; [unrolled: 1-line block ×3, first 2 shown]
	s_waitcnt lgkmcnt(3)
	v_mul_f32_e32 v147, v10, v192
	v_add_f32_e32 v143, v143, v155
	v_mul_f32_e32 v188, v9, v192
	s_waitcnt vmcnt(37)
	v_mul_f32_e32 v150, v12, v197
	v_add_f32_e32 v149, v144, v156
	s_waitcnt lgkmcnt(2)
	v_mul_f32_e32 v145, v2, v190
	v_add_f32_e32 v148, v143, v157
	v_mul_f32_e32 v152, v1, v190
	v_mul_f32_e32 v146, v4, v191
	v_add_f32_e32 v151, v149, v151
	v_fma_f32 v154, v1, v195, -v145
	v_add_f32_e32 v155, v148, v159
	v_mul_f32_e32 v175, v3, v191
	v_fmac_f32_e32 v152, v2, v195
	v_add_f32_e32 v151, v151, v183
	v_fma_f32 v190, v3, v194, -v146
	v_add_f32_e32 v155, v155, v182
	v_fmac_f32_e32 v175, v4, v194
	v_fma_f32 v157, v9, v193, -v147
	v_add_f32_e32 v151, v151, v187
	v_mul_f32_e32 v189, v11, v197
	v_fmac_f32_e32 v188, v10, v193
	ds_read2_b64 v[1:4], v138 offset0:111 offset1:112
	ds_read2_b64 v[143:146], v138 offset0:113 offset1:114
	s_waitcnt vmcnt(35) lgkmcnt(3)
	v_mul_f32_e32 v182, v5, v160
	s_waitcnt vmcnt(34)
	v_mul_f32_e32 v183, v7, v161
	v_mul_f32_e32 v156, v6, v160
	;; [unrolled: 1-line block ×3, first 2 shown]
	s_waitcnt vmcnt(33) lgkmcnt(2)
	v_mul_f32_e32 v187, v139, v162
	s_waitcnt vmcnt(30)
	v_fmac_f32_e32 v182, v6, v165
	v_add_f32_e32 v6, v155, v153
	v_fmac_f32_e32 v183, v8, v164
	v_fma_f32 v160, v7, v164, -v160
	v_fma_f32 v161, v5, v165, -v156
	v_add_f32_e32 v165, v151, v152
	v_add_f32_e32 v164, v6, v154
	s_waitcnt vmcnt(29)
	v_fma_f32 v159, v11, v203, -v150
	v_fmac_f32_e32 v189, v12, v203
	v_mul_f32_e32 v162, v140, v162
	v_add_f32_e32 v165, v165, v175
	v_add_f32_e32 v164, v164, v190
	v_fmac_f32_e32 v187, v140, v163
	ds_read2_b64 v[9:12], v138 offset0:115 offset1:116
	ds_read2_b64 v[147:150], v138 offset0:117 offset1:118
	v_fma_f32 v139, v139, v163, -v162
	v_add_f32_e32 v165, v165, v188
	v_add_f32_e32 v157, v164, v157
	s_waitcnt vmcnt(28)
	v_mul_f32_e32 v175, v141, v166
	v_mul_f32_e32 v166, v142, v166
	s_waitcnt vmcnt(27) lgkmcnt(3)
	v_mul_f32_e32 v164, v1, v167
	v_add_f32_e32 v162, v165, v189
	v_add_f32_e32 v157, v157, v159
	v_mul_f32_e32 v165, v2, v167
	s_waitcnt vmcnt(26)
	v_mul_f32_e32 v188, v3, v168
	s_waitcnt vmcnt(21)
	v_fma_f32 v141, v141, v173, -v166
	v_fmac_f32_e32 v175, v142, v173
	v_add_f32_e32 v157, v157, v161
	v_add_f32_e32 v161, v162, v182
	v_fmac_f32_e32 v164, v2, v172
	v_fma_f32 v1, v1, v172, -v165
	s_waitcnt lgkmcnt(2)
	v_mul_f32_e32 v140, v143, v169
	v_add_f32_e32 v157, v157, v160
	v_add_f32_e32 v160, v161, v183
	v_mul_f32_e32 v161, v4, v168
	v_fmac_f32_e32 v188, v4, v171
	v_fmac_f32_e32 v140, v144, v170
	v_add_f32_e32 v139, v157, v139
	v_add_f32_e32 v157, v160, v187
	v_fma_f32 v3, v3, v171, -v161
	s_waitcnt vmcnt(20)
	v_mul_f32_e32 v4, v146, v174
	v_mul_f32_e32 v159, v145, v174
	v_add_f32_e32 v2, v139, v141
	v_add_f32_e32 v139, v157, v175
	v_mul_f32_e32 v141, v144, v169
	s_waitcnt vmcnt(19) lgkmcnt(1)
	v_mul_f32_e32 v163, v9, v177
	ds_read2_b64 v[5:8], v138 offset0:119 offset1:120
	ds_read2_b64 v[151:154], v138 offset0:121 offset1:122
	ds_read_b64 v[155:156], v138 offset:984
	v_add_f32_e32 v1, v2, v1
	v_add_f32_e32 v2, v139, v164
	v_fma_f32 v139, v143, v170, -v141
	s_waitcnt vmcnt(18)
	v_mul_f32_e32 v142, v11, v176
	s_waitcnt vmcnt(17) lgkmcnt(3)
	v_mul_f32_e32 v166, v147, v178
	v_add_f32_e32 v1, v1, v3
	v_add_f32_e32 v2, v2, v188
	v_mul_f32_e32 v3, v10, v177
	s_waitcnt vmcnt(7)
	v_fma_f32 v4, v145, v206, -v4
	v_fmac_f32_e32 v159, v146, v206
	v_add_f32_e32 v1, v1, v139
	v_add_f32_e32 v2, v2, v140
	v_mul_f32_e32 v139, v12, v176
	v_fma_f32 v3, v9, v205, -v3
	v_fmac_f32_e32 v163, v10, v205
	v_add_f32_e32 v1, v1, v4
	v_add_f32_e32 v2, v2, v159
	v_mul_f32_e32 v4, v148, v178
	;; [unrolled: 5-line block ×3, first 2 shown]
	v_fma_f32 v4, v147, v185, -v4
	v_mul_f32_e32 v162, v149, v179
	v_add_f32_e32 v1, v1, v9
	v_fmac_f32_e32 v166, v148, v185
	v_add_f32_e32 v2, v2, v142
	s_waitcnt lgkmcnt(2)
	v_mul_f32_e32 v9, v6, v180
	v_mul_f32_e32 v167, v5, v180
	s_waitcnt vmcnt(3)
	v_fma_f32 v3, v149, v207, -v3
	v_add_f32_e32 v1, v1, v4
	v_fmac_f32_e32 v162, v150, v207
	v_add_f32_e32 v2, v2, v166
	v_mul_f32_e32 v4, v8, v199
	v_fma_f32 v5, v5, v186, -v9
	v_add_f32_e32 v1, v1, v3
	v_mul_f32_e32 v173, v7, v199
	v_fmac_f32_e32 v167, v6, v186
	v_add_f32_e32 v2, v2, v162
	s_waitcnt lgkmcnt(1)
	v_mul_f32_e32 v3, v152, v200
	v_fma_f32 v4, v7, v184, -v4
	v_add_f32_e32 v1, v1, v5
	v_mul_f32_e32 v168, v151, v200
	v_fmac_f32_e32 v173, v8, v184
	v_add_f32_e32 v2, v2, v167
	v_mul_f32_e32 v5, v154, v201
	v_fma_f32 v3, v151, v158, -v3
	v_add_f32_e32 v1, v1, v4
	v_mul_f32_e32 v182, v153, v201
	v_fmac_f32_e32 v168, v152, v158
	v_add_f32_e32 v2, v2, v173
	s_waitcnt lgkmcnt(0)
	v_mul_f32_e32 v4, v156, v181
	s_waitcnt vmcnt(1)
	v_fma_f32 v5, v153, v209, -v5
	v_add_f32_e32 v1, v1, v3
	v_mul_f32_e32 v160, v155, v181
	v_fmac_f32_e32 v182, v154, v209
	v_add_f32_e32 v2, v2, v168
	v_fma_f32 v3, v155, v208, -v4
	v_add_f32_e32 v1, v1, v5
	v_fmac_f32_e32 v160, v156, v208
	v_add_f32_e32 v2, v2, v182
	v_add_f32_e32 v1, v1, v3
	;; [unrolled: 1-line block ×3, first 2 shown]
	s_waitcnt vmcnt(0)
	v_sub_f32_e32 v1, v210, v1
	v_sub_f32_e32 v2, v198, v2
	buffer_store_dword v1, off, s[0:3], 0 offset:160
	buffer_store_dword v2, off, s[0:3], 0 offset:164
	v_cmpx_lt_u32_e32 19, v0
	s_cbranch_execz .LBB125_347
; %bb.346:
	s_clause 0x1
	buffer_load_dword v1, off, s[0:3], 0 offset:152
	buffer_load_dword v2, off, s[0:3], 0 offset:156
	buffer_store_dword v138, off, s[0:3], 0 offset:152
	buffer_store_dword v138, off, s[0:3], 0 offset:156
	s_waitcnt vmcnt(0)
	ds_write_b64 v137, v[1:2]
.LBB125_347:
	s_or_b32 exec_lo, exec_lo, s4
	s_waitcnt lgkmcnt(0)
	s_waitcnt_vscnt null, 0x0
	s_barrier
	buffer_gl0_inv
	s_clause 0x24
	buffer_load_dword v139, off, s[0:3], 0 offset:164
	buffer_load_dword v140, off, s[0:3], 0 offset:172
	;; [unrolled: 1-line block ×37, first 2 shown]
	ds_read_b128 v[9:12], v138 offset:656
	ds_read_b128 v[5:8], v138 offset:672
	s_clause 0x8
	buffer_load_dword v184, off, s[0:3], 0 offset:308
	buffer_load_dword v179, off, s[0:3], 0 offset:316
	;; [unrolled: 1-line block ×9, first 2 shown]
	ds_read_b128 v[1:4], v138 offset:688
	ds_read_b128 v[185:188], v138 offset:704
	;; [unrolled: 1-line block ×4, first 2 shown]
	buffer_load_dword v197, off, s[0:3], 0 offset:156
	s_mov_b32 s4, exec_lo
	s_waitcnt vmcnt(46) lgkmcnt(5)
	v_mul_f32_e32 v198, v9, v139
	s_waitcnt vmcnt(45)
	v_mul_f32_e32 v199, v11, v140
	v_mul_f32_e32 v139, v10, v139
	;; [unrolled: 1-line block ×3, first 2 shown]
	s_waitcnt vmcnt(44) lgkmcnt(4)
	v_mul_f32_e32 v200, v5, v142
	v_mul_f32_e32 v142, v6, v142
	s_waitcnt vmcnt(41)
	v_fmac_f32_e32 v198, v10, v145
	v_fma_f32 v139, v9, v145, -v139
	s_waitcnt vmcnt(40)
	v_mul_f32_e32 v145, v7, v144
	v_mul_f32_e32 v9, v8, v144
	v_fmac_f32_e32 v199, v12, v143
	v_fma_f32 v140, v11, v143, -v140
	s_waitcnt vmcnt(35) lgkmcnt(3)
	v_mul_f32_e32 v143, v1, v152
	v_mul_f32_e32 v152, v2, v152
	v_fmac_f32_e32 v200, v6, v141
	v_fma_f32 v141, v5, v141, -v142
	v_fmac_f32_e32 v145, v8, v155
	v_fma_f32 v142, v7, v155, -v9
	s_waitcnt vmcnt(34)
	v_mul_f32_e32 v144, v3, v153
	v_mul_f32_e32 v153, v4, v153
	s_waitcnt vmcnt(33) lgkmcnt(2)
	v_mul_f32_e32 v155, v185, v151
	v_mul_f32_e32 v151, v186, v151
	v_fmac_f32_e32 v143, v2, v149
	v_fma_f32 v149, v1, v149, -v152
	s_waitcnt vmcnt(32)
	v_mul_f32_e32 v152, v187, v150
	v_mul_f32_e32 v1, v188, v150
	ds_read_b128 v[5:8], v138 offset:752
	ds_read_b128 v[9:12], v138 offset:768
	v_fmac_f32_e32 v144, v4, v147
	v_fma_f32 v147, v3, v147, -v153
	s_waitcnt vmcnt(31) lgkmcnt(3)
	v_mul_f32_e32 v153, v189, v148
	s_waitcnt vmcnt(30)
	v_mul_f32_e32 v150, v191, v154
	v_mul_f32_e32 v2, v190, v148
	;; [unrolled: 1-line block ×3, first 2 shown]
	v_fmac_f32_e32 v155, v186, v146
	v_fma_f32 v146, v185, v146, -v151
	s_waitcnt vmcnt(26)
	v_fmac_f32_e32 v152, v188, v166
	v_fma_f32 v148, v187, v166, -v1
	s_clause 0x7
	buffer_load_dword v151, off, s[0:3], 0 offset:348
	buffer_load_dword v154, off, s[0:3], 0 offset:352
	;; [unrolled: 1-line block ×8, first 2 shown]
	v_fmac_f32_e32 v153, v190, v161
	v_fmac_f32_e32 v150, v192, v159
	v_fma_f32 v161, v189, v161, -v2
	v_fma_f32 v159, v191, v159, -v3
	ds_read_b128 v[1:4], v138 offset:784
	s_waitcnt vmcnt(33) lgkmcnt(3)
	v_mul_f32_e32 v189, v193, v160
	v_mul_f32_e32 v160, v194, v160
	s_waitcnt vmcnt(32)
	v_mul_f32_e32 v191, v195, v158
	v_mul_f32_e32 v158, v196, v158
	buffer_load_dword v190, off, s[0:3], 0 offset:380
	v_fmac_f32_e32 v189, v194, v156
	v_fma_f32 v156, v193, v156, -v160
	s_waitcnt vmcnt(32) lgkmcnt(2)
	v_mul_f32_e32 v160, v5, v157
	s_waitcnt vmcnt(28)
	v_fmac_f32_e32 v191, v196, v172
	v_fma_f32 v158, v195, v172, -v158
	s_waitcnt vmcnt(27)
	v_mul_f32_e32 v172, v7, v171
	v_mul_f32_e32 v157, v6, v157
	;; [unrolled: 1-line block ×3, first 2 shown]
	s_waitcnt vmcnt(26) lgkmcnt(1)
	v_mul_f32_e32 v192, v9, v170
	v_mul_f32_e32 v170, v10, v170
	v_fmac_f32_e32 v160, v6, v169
	v_fmac_f32_e32 v172, v8, v168
	v_fma_f32 v157, v5, v169, -v157
	v_fma_f32 v168, v7, v168, -v171
	s_clause 0x4
	buffer_load_dword v169, off, s[0:3], 0 offset:388
	buffer_load_dword v171, off, s[0:3], 0 offset:400
	;; [unrolled: 1-line block ×5, first 2 shown]
	s_waitcnt vmcnt(30)
	v_mul_f32_e32 v196, v11, v167
	v_mul_f32_e32 v167, v12, v167
	v_fmac_f32_e32 v192, v10, v164
	v_fma_f32 v164, v9, v164, -v170
	s_waitcnt vmcnt(25) lgkmcnt(0)
	v_mul_f32_e32 v170, v1, v182
	v_mul_f32_e32 v9, v2, v182
	ds_read_b128 v[5:8], v138 offset:800
	v_fmac_f32_e32 v196, v12, v183
	v_fma_f32 v167, v11, v183, -v167
	s_clause 0x1
	buffer_load_dword v182, off, s[0:3], 0 offset:396
	buffer_load_dword v183, off, s[0:3], 0 offset:404
	v_fmac_f32_e32 v170, v2, v178
	v_fma_f32 v178, v1, v178, -v9
	v_add_f32_e32 v1, 0, v198
	s_waitcnt vmcnt(26)
	v_mul_f32_e32 v202, v3, v180
	v_mul_f32_e32 v10, v4, v180
	s_clause 0x2
	buffer_load_dword v180, off, s[0:3], 0 offset:412
	buffer_load_dword v203, off, s[0:3], 0 offset:420
	;; [unrolled: 1-line block ×3, first 2 shown]
	v_add_f32_e32 v1, v1, v199
	s_clause 0x6
	buffer_load_dword v198, off, s[0:3], 0 offset:436
	buffer_load_dword v205, off, s[0:3], 0 offset:444
	;; [unrolled: 1-line block ×7, first 2 shown]
	v_add_f32_e32 v1, v1, v200
	s_clause 0x4
	buffer_load_dword v200, off, s[0:3], 0 offset:484
	buffer_load_dword v210, off, s[0:3], 0 offset:432
	;; [unrolled: 1-line block ×5, first 2 shown]
	v_add_f32_e32 v2, 0, v139
	v_fmac_f32_e32 v202, v4, v177
	v_add_f32_e32 v1, v1, v145
	v_fma_f32 v177, v3, v177, -v10
	s_waitcnt vmcnt(40) lgkmcnt(0)
	v_mul_f32_e32 v3, v6, v184
	v_add_f32_e32 v2, v2, v140
	v_add_f32_e32 v1, v1, v143
	;; [unrolled: 1-line block ×6, first 2 shown]
	s_clause 0x6
	buffer_load_dword v155, off, s[0:3], 0 offset:464
	buffer_load_dword v214, off, s[0:3], 0 offset:456
	;; [unrolled: 1-line block ×7, first 2 shown]
	v_add_f32_e32 v2, v2, v149
	v_add_f32_e32 v1, v1, v152
	s_waitcnt vmcnt(46)
	v_mul_f32_e32 v152, v7, v179
	v_add_f32_e32 v2, v2, v147
	v_mul_f32_e32 v147, v5, v184
	v_add_f32_e32 v1, v1, v153
	s_waitcnt vmcnt(39)
	v_fmac_f32_e32 v152, v8, v181
	v_add_f32_e32 v2, v2, v146
	v_fmac_f32_e32 v147, v6, v162
	v_add_f32_e32 v1, v1, v150
	v_add_f32_e32 v2, v2, v148
	v_fma_f32 v148, v5, v162, -v3
	v_add_f32_e32 v6, v1, v189
	v_add_f32_e32 v2, v2, v161
	buffer_load_dword v161, off, s[0:3], 0 offset:152
	v_add_f32_e32 v10, v6, v191
	v_add_f32_e32 v2, v2, v159
	;; [unrolled: 1-line block ×4, first 2 shown]
	ds_read_b128 v[1:4], v138 offset:816
	v_add_f32_e32 v140, v140, v172
	v_add_f32_e32 v9, v5, v158
	v_mul_f32_e32 v5, v8, v179
	v_add_f32_e32 v139, v9, v157
	v_fma_f32 v153, v7, v181, -v5
	ds_read_b128 v[5:8], v138 offset:832
	ds_read_b128 v[9:12], v138 offset:848
	v_add_f32_e32 v139, v139, v168
	v_add_f32_e32 v143, v139, v164
	s_waitcnt lgkmcnt(2)
	v_mul_f32_e32 v141, v2, v175
	v_mul_f32_e32 v156, v1, v175
	;; [unrolled: 1-line block ×3, first 2 shown]
	v_fma_f32 v157, v1, v176, -v141
	v_add_f32_e32 v1, v140, v192
	v_fmac_f32_e32 v156, v2, v176
	v_add_f32_e32 v2, v143, v167
	ds_read_b128 v[139:142], v138 offset:864
	v_mul_f32_e32 v143, v4, v174
	v_add_f32_e32 v1, v1, v196
	s_waitcnt lgkmcnt(2)
	v_mul_f32_e32 v159, v5, v173
	v_mul_f32_e32 v144, v6, v173
	v_add_f32_e32 v2, v2, v178
	v_fmac_f32_e32 v158, v4, v165
	v_add_f32_e32 v1, v1, v170
	v_fmac_f32_e32 v159, v6, v163
	v_fma_f32 v163, v5, v163, -v144
	v_add_f32_e32 v5, v2, v177
	v_add_f32_e32 v6, v1, v202
	s_waitcnt vmcnt(38)
	v_mul_f32_e32 v160, v7, v151
	v_mul_f32_e32 v149, v8, v151
	s_waitcnt vmcnt(36) lgkmcnt(1)
	v_mul_f32_e32 v162, v9, v166
	v_mul_f32_e32 v150, v10, v166
	v_fma_f32 v151, v3, v165, -v143
	s_waitcnt vmcnt(33) lgkmcnt(0)
	v_mul_f32_e32 v167, v139, v187
	ds_read_b128 v[1:4], v138 offset:880
	ds_read_b128 v[143:146], v138 offset:896
	v_fmac_f32_e32 v162, v10, v154
	v_add_f32_e32 v10, v5, v148
	v_fma_f32 v165, v9, v154, -v150
	v_add_f32_e32 v9, v6, v147
	s_waitcnt vmcnt(31)
	v_fma_f32 v164, v7, v201, -v149
	v_fmac_f32_e32 v160, v8, v201
	v_add_f32_e32 v10, v10, v153
	v_mul_f32_e32 v153, v12, v186
	v_add_f32_e32 v9, v9, v152
	v_mul_f32_e32 v152, v140, v187
	v_mul_f32_e32 v166, v11, v186
	v_add_f32_e32 v10, v10, v157
	v_fma_f32 v170, v11, v185, -v153
	s_waitcnt vmcnt(30)
	v_mul_f32_e32 v157, v141, v190
	v_fma_f32 v172, v139, v188, -v152
	v_add_f32_e32 v139, v9, v156
	v_add_f32_e32 v156, v10, v151
	v_fmac_f32_e32 v166, v12, v185
	v_mul_f32_e32 v168, v142, v190
	v_fmac_f32_e32 v167, v140, v188
	v_add_f32_e32 v158, v139, v158
	v_add_f32_e32 v156, v156, v163
	s_waitcnt vmcnt(29) lgkmcnt(1)
	v_mul_f32_e32 v163, v2, v169
	ds_read_b128 v[5:8], v138 offset:912
	ds_read_b128 v[147:150], v138 offset:928
	;; [unrolled: 1-line block ×4, first 2 shown]
	v_add_f32_e32 v158, v158, v159
	v_add_f32_e32 v156, v156, v164
	s_waitcnt vmcnt(25)
	v_fmac_f32_e32 v157, v142, v195
	v_fma_f32 v142, v141, v195, -v168
	v_mul_f32_e32 v168, v1, v169
	v_add_f32_e32 v158, v158, v160
	v_add_f32_e32 v156, v156, v165
	v_fma_f32 v1, v1, v194, -v163
	ds_read_b128 v[138:141], v138 offset:976
	s_waitcnt vmcnt(24)
	v_mul_f32_e32 v169, v4, v182
	v_add_f32_e32 v158, v158, v162
	v_add_f32_e32 v156, v156, v170
	v_mul_f32_e32 v159, v3, v182
	v_fmac_f32_e32 v168, v2, v194
	v_fma_f32 v3, v3, v193, -v169
	v_add_f32_e32 v158, v158, v166
	v_add_f32_e32 v156, v156, v172
	s_waitcnt vmcnt(23) lgkmcnt(5)
	v_mul_f32_e32 v164, v143, v183
	v_fmac_f32_e32 v159, v4, v193
	s_waitcnt vmcnt(22)
	v_mul_f32_e32 v160, v145, v180
	v_add_f32_e32 v158, v158, v167
	v_add_f32_e32 v142, v156, v142
	v_fmac_f32_e32 v164, v144, v171
	s_waitcnt vmcnt(21) lgkmcnt(4)
	v_mul_f32_e32 v173, v5, v203
	s_waitcnt vmcnt(20)
	v_mul_f32_e32 v165, v7, v204
	v_add_f32_e32 v156, v158, v157
	v_mul_f32_e32 v157, v144, v183
	v_add_f32_e32 v1, v142, v1
	v_mul_f32_e32 v142, v146, v180
	s_waitcnt vmcnt(8)
	v_fmac_f32_e32 v160, v146, v213
	v_add_f32_e32 v4, v156, v168
	v_fma_f32 v143, v143, v171, -v157
	v_add_f32_e32 v1, v1, v3
	v_fma_f32 v142, v145, v213, -v142
	v_fmac_f32_e32 v173, v6, v212
	v_add_f32_e32 v3, v4, v159
	v_mul_f32_e32 v4, v6, v203
	v_add_f32_e32 v1, v1, v143
	v_mul_f32_e32 v143, v8, v204
	s_waitcnt lgkmcnt(3)
	v_mul_f32_e32 v162, v147, v198
	v_add_f32_e32 v3, v3, v164
	v_fma_f32 v4, v5, v212, -v4
	v_add_f32_e32 v1, v1, v142
	v_mul_f32_e32 v5, v148, v198
	v_fma_f32 v6, v7, v211, -v143
	v_add_f32_e32 v3, v3, v160
	v_fmac_f32_e32 v165, v8, v211
	v_add_f32_e32 v1, v1, v4
	v_mul_f32_e32 v4, v150, v205
	v_fma_f32 v5, v147, v210, -v5
	v_add_f32_e32 v3, v3, v173
	v_mul_f32_e32 v174, v149, v205
	v_add_f32_e32 v1, v1, v6
	v_fmac_f32_e32 v162, v148, v210
	s_waitcnt lgkmcnt(2)
	v_mul_f32_e32 v6, v10, v206
	v_add_f32_e32 v3, v3, v165
	s_waitcnt vmcnt(4)
	v_fma_f32 v4, v149, v216, -v4
	v_add_f32_e32 v1, v1, v5
	v_mul_f32_e32 v170, v9, v206
	v_fmac_f32_e32 v174, v150, v216
	v_add_f32_e32 v3, v3, v162
	v_mul_f32_e32 v5, v12, v199
	v_fma_f32 v6, v9, v215, -v6
	v_add_f32_e32 v1, v1, v4
	v_mul_f32_e32 v166, v11, v199
	v_fmac_f32_e32 v170, v10, v215
	v_add_f32_e32 v3, v3, v174
	s_waitcnt lgkmcnt(1)
	v_mul_f32_e32 v4, v152, v207
	v_fma_f32 v5, v11, v214, -v5
	v_add_f32_e32 v1, v1, v6
	v_mul_f32_e32 v175, v151, v207
	v_fmac_f32_e32 v166, v12, v214
	v_add_f32_e32 v3, v3, v170
	v_mul_f32_e32 v6, v154, v208
	v_fma_f32 v4, v151, v155, -v4
	v_add_f32_e32 v1, v1, v5
	v_mul_f32_e32 v172, v153, v208
	v_fmac_f32_e32 v175, v152, v155
	v_add_f32_e32 v3, v3, v166
	s_waitcnt lgkmcnt(0)
	v_mul_f32_e32 v5, v139, v200
	s_waitcnt vmcnt(1)
	v_fma_f32 v6, v153, v219, -v6
	v_add_f32_e32 v1, v1, v4
	v_mul_f32_e32 v167, v138, v200
	v_fmac_f32_e32 v172, v154, v219
	v_add_f32_e32 v3, v3, v175
	v_mul_f32_e32 v4, v141, v209
	v_fma_f32 v5, v138, v218, -v5
	v_add_f32_e32 v1, v1, v6
	v_mul_f32_e32 v2, v140, v209
	v_fmac_f32_e32 v167, v139, v218
	v_add_f32_e32 v3, v3, v172
	v_fma_f32 v4, v140, v217, -v4
	v_add_f32_e32 v1, v1, v5
	v_fmac_f32_e32 v2, v141, v217
	v_add_f32_e32 v3, v3, v167
	v_add_f32_e32 v1, v1, v4
	;; [unrolled: 1-line block ×3, first 2 shown]
	s_waitcnt vmcnt(0)
	v_sub_f32_e32 v1, v161, v1
	v_sub_f32_e32 v2, v197, v2
	buffer_store_dword v1, off, s[0:3], 0 offset:152
	buffer_store_dword v2, off, s[0:3], 0 offset:156
	v_cmpx_lt_u32_e32 18, v0
	s_cbranch_execz .LBB125_349
; %bb.348:
	s_clause 0x1
	buffer_load_dword v1, off, s[0:3], 0 offset:144
	buffer_load_dword v2, off, s[0:3], 0 offset:148
	v_mov_b32_e32 v3, 0
	buffer_store_dword v3, off, s[0:3], 0 offset:144
	buffer_store_dword v3, off, s[0:3], 0 offset:148
	s_waitcnt vmcnt(0)
	ds_write_b64 v137, v[1:2]
.LBB125_349:
	s_or_b32 exec_lo, exec_lo, s4
	s_waitcnt lgkmcnt(0)
	s_waitcnt_vscnt null, 0x0
	s_barrier
	buffer_gl0_inv
	s_clause 0x25
	buffer_load_dword v140, off, s[0:3], 0 offset:156
	buffer_load_dword v141, off, s[0:3], 0 offset:164
	;; [unrolled: 1-line block ×38, first 2 shown]
	v_mov_b32_e32 v138, 0
	ds_read2_b64 v[9:12], v138 offset0:81 offset1:82
	ds_read2_b64 v[1:4], v138 offset0:83 offset1:84
	s_clause 0x7
	buffer_load_dword v181, off, s[0:3], 0 offset:308
	buffer_load_dword v178, off, s[0:3], 0 offset:316
	;; [unrolled: 1-line block ×8, first 2 shown]
	ds_read2_b64 v[5:8], v138 offset0:85 offset1:86
	s_clause 0x9
	buffer_load_dword v176, off, s[0:3], 0 offset:340
	buffer_load_dword v163, off, s[0:3], 0 offset:344
	;; [unrolled: 1-line block ×10, first 2 shown]
	ds_read2_b64 v[188:191], v138 offset0:87 offset1:88
	s_mov_b32 s4, exec_lo
	s_waitcnt vmcnt(55) lgkmcnt(3)
	v_mul_f32_e32 v199, v9, v140
	v_mul_f32_e32 v140, v10, v140
	s_waitcnt vmcnt(54)
	v_mul_f32_e32 v200, v11, v141
	v_mul_f32_e32 v141, v12, v141
	s_waitcnt vmcnt(51)
	v_fmac_f32_e32 v199, v10, v146
	v_fma_f32 v146, v9, v146, -v140
	s_waitcnt vmcnt(50) lgkmcnt(2)
	v_mul_f32_e32 v201, v1, v145
	v_mul_f32_e32 v140, v2, v145
	v_fmac_f32_e32 v200, v12, v143
	v_fma_f32 v143, v11, v143, -v141
	ds_read2_b64 v[9:12], v138 offset0:89 offset1:90
	s_waitcnt vmcnt(49)
	v_mul_f32_e32 v145, v3, v144
	v_mul_f32_e32 v141, v4, v144
	v_fmac_f32_e32 v201, v2, v139
	v_fma_f32 v144, v1, v139, -v140
	s_waitcnt vmcnt(48) lgkmcnt(2)
	v_mul_f32_e32 v202, v5, v142
	v_mul_f32_e32 v139, v6, v142
	s_waitcnt vmcnt(44)
	v_fmac_f32_e32 v145, v4, v154
	v_fma_f32 v154, v3, v154, -v141
	ds_read2_b64 v[1:4], v138 offset0:91 offset1:92
	s_waitcnt vmcnt(43)
	v_mul_f32_e32 v203, v7, v152
	v_mul_f32_e32 v140, v8, v152
	v_fmac_f32_e32 v202, v6, v150
	v_fma_f32 v150, v5, v150, -v139
	s_waitcnt vmcnt(42) lgkmcnt(2)
	v_mul_f32_e32 v152, v188, v151
	v_fmac_f32_e32 v203, v8, v148
	v_fma_f32 v148, v7, v148, -v140
	ds_read2_b64 v[5:8], v138 offset0:93 offset1:94
	v_mul_f32_e32 v139, v189, v151
	s_waitcnt vmcnt(41)
	v_mul_f32_e32 v151, v190, v149
	v_mul_f32_e32 v140, v191, v149
	s_waitcnt vmcnt(40) lgkmcnt(2)
	v_mul_f32_e32 v149, v9, v153
	v_mul_f32_e32 v153, v10, v153
	v_fmac_f32_e32 v152, v189, v147
	v_fma_f32 v147, v188, v147, -v139
	s_waitcnt vmcnt(36)
	v_fmac_f32_e32 v151, v191, v162
	v_fma_f32 v162, v190, v162, -v140
	ds_read2_b64 v[139:142], v138 offset0:95 offset1:96
	s_waitcnt vmcnt(35)
	v_mul_f32_e32 v188, v11, v161
	v_mul_f32_e32 v161, v12, v161
	v_fmac_f32_e32 v149, v10, v158
	v_fma_f32 v153, v9, v158, -v153
	s_waitcnt vmcnt(34) lgkmcnt(2)
	v_mul_f32_e32 v158, v1, v159
	v_mul_f32_e32 v159, v2, v159
	v_fmac_f32_e32 v188, v12, v156
	v_fma_f32 v156, v11, v156, -v161
	ds_read2_b64 v[9:12], v138 offset0:97 offset1:98
	v_fmac_f32_e32 v158, v2, v155
	v_fma_f32 v155, v1, v155, -v159
	s_waitcnt vmcnt(32) lgkmcnt(2)
	v_mul_f32_e32 v159, v5, v160
	v_mul_f32_e32 v1, v6, v160
	v_mul_f32_e32 v161, v3, v157
	v_mul_f32_e32 v157, v4, v157
	s_waitcnt vmcnt(27)
	v_mul_f32_e32 v2, v8, v172
	v_fmac_f32_e32 v159, v6, v169
	v_add_f32_e32 v6, 0, v199
	v_fmac_f32_e32 v161, v4, v173
	v_fma_f32 v157, v3, v173, -v157
	v_mul_f32_e32 v173, v7, v172
	s_waitcnt vmcnt(26) lgkmcnt(1)
	v_mul_f32_e32 v160, v139, v171
	v_add_f32_e32 v6, v6, v200
	v_mul_f32_e32 v3, v140, v171
	s_waitcnt vmcnt(25)
	v_mul_f32_e32 v171, v141, v170
	v_mul_f32_e32 v4, v142, v170
	s_clause 0x6
	buffer_load_dword v170, off, s[0:3], 0 offset:380
	buffer_load_dword v172, off, s[0:3], 0 offset:392
	buffer_load_dword v189, off, s[0:3], 0 offset:384
	buffer_load_dword v190, off, s[0:3], 0 offset:376
	buffer_load_dword v191, off, s[0:3], 0 offset:368
	buffer_load_dword v204, off, s[0:3], 0 offset:388
	buffer_load_dword v205, off, s[0:3], 0 offset:396
	v_add_f32_e32 v6, v6, v201
	v_fma_f32 v169, v5, v169, -v1
	v_fmac_f32_e32 v160, v140, v166
	v_fma_f32 v139, v139, v166, -v3
	s_waitcnt vmcnt(27) lgkmcnt(0)
	v_mul_f32_e32 v166, v9, v185
	v_mul_f32_e32 v5, v10, v185
	v_add_f32_e32 v6, v6, v145
	v_fmac_f32_e32 v173, v8, v168
	v_fma_f32 v168, v7, v168, -v2
	v_fmac_f32_e32 v171, v142, v186
	v_fma_f32 v140, v141, v186, -v4
	buffer_load_dword v185, off, s[0:3], 0 offset:404
	s_waitcnt vmcnt(27)
	v_mul_f32_e32 v186, v11, v180
	v_fmac_f32_e32 v166, v10, v182
	v_fma_f32 v182, v9, v182, -v5
	v_add_f32_e32 v5, 0, v146
	v_mul_f32_e32 v7, v12, v180
	v_add_f32_e32 v6, v6, v202
	ds_read2_b64 v[1:4], v138 offset0:99 offset1:100
	s_clause 0x1
	buffer_load_dword v199, off, s[0:3], 0 offset:412
	buffer_load_dword v200, off, s[0:3], 0 offset:420
	v_add_f32_e32 v5, v5, v143
	buffer_load_dword v180, off, s[0:3], 0 offset:428
	v_fmac_f32_e32 v186, v12, v177
	v_fma_f32 v143, v11, v177, -v7
	s_clause 0x7
	buffer_load_dword v177, off, s[0:3], 0 offset:436
	buffer_load_dword v201, off, s[0:3], 0 offset:444
	;; [unrolled: 1-line block ×8, first 2 shown]
	v_add_f32_e32 v6, v6, v203
	s_clause 0x3
	buffer_load_dword v203, off, s[0:3], 0 offset:424
	buffer_load_dword v211, off, s[0:3], 0 offset:416
	;; [unrolled: 1-line block ×4, first 2 shown]
	v_add_f32_e32 v5, v5, v144
	s_clause 0x3
	buffer_load_dword v214, off, s[0:3], 0 offset:456
	buffer_load_dword v215, off, s[0:3], 0 offset:448
	;; [unrolled: 1-line block ×4, first 2 shown]
	v_add_f32_e32 v6, v6, v152
	v_add_f32_e32 v5, v5, v154
	;; [unrolled: 1-line block ×3, first 2 shown]
	s_waitcnt vmcnt(45) lgkmcnt(0)
	v_mul_f32_e32 v144, v1, v184
	v_add_f32_e32 v5, v5, v150
	v_mul_f32_e32 v7, v2, v184
	v_add_f32_e32 v6, v6, v149
	v_fmac_f32_e32 v144, v2, v164
	v_add_f32_e32 v5, v5, v148
	v_fma_f32 v145, v1, v164, -v7
	v_add_f32_e32 v6, v6, v188
	v_add_f32_e32 v5, v5, v147
	s_waitcnt vmcnt(44)
	v_mul_f32_e32 v147, v3, v181
	v_add_f32_e32 v6, v6, v158
	v_add_f32_e32 v5, v5, v162
	s_clause 0x4
	buffer_load_dword v162, off, s[0:3], 0 offset:488
	buffer_load_dword v188, off, s[0:3], 0 offset:480
	;; [unrolled: 1-line block ×5, first 2 shown]
	v_add_f32_e32 v1, v6, v161
	s_waitcnt vmcnt(42)
	v_fmac_f32_e32 v147, v4, v183
	v_add_f32_e32 v5, v5, v153
	v_add_f32_e32 v9, v1, v159
	v_mul_f32_e32 v1, v4, v181
	v_add_f32_e32 v5, v5, v156
	v_add_f32_e32 v141, v9, v173
	v_fma_f32 v148, v3, v183, -v1
	v_add_f32_e32 v5, v5, v155
	v_add_f32_e32 v141, v141, v160
	v_add_f32_e32 v2, v5, v157
	ds_read2_b64 v[5:8], v138 offset0:101 offset1:102
	v_add_f32_e32 v149, v141, v171
	v_add_f32_e32 v10, v2, v169
	ds_read2_b64 v[1:4], v138 offset0:103 offset1:104
	v_add_f32_e32 v142, v10, v168
	ds_read2_b64 v[9:12], v138 offset0:105 offset1:106
	v_add_f32_e32 v139, v142, v139
	s_waitcnt lgkmcnt(2)
	v_mul_f32_e32 v146, v6, v178
	v_mul_f32_e32 v151, v5, v178
	;; [unrolled: 1-line block ×3, first 2 shown]
	v_fma_f32 v152, v5, v179, -v146
	v_add_f32_e32 v5, v139, v140
	ds_read2_b64 v[139:142], v138 offset0:107 offset1:108
	v_fmac_f32_e32 v151, v6, v179
	v_add_f32_e32 v6, v149, v166
	s_waitcnt lgkmcnt(2)
	v_mul_f32_e32 v154, v1, v174
	v_add_f32_e32 v5, v5, v182
	v_mul_f32_e32 v149, v2, v174
	s_waitcnt vmcnt(39) lgkmcnt(1)
	v_mul_f32_e32 v158, v9, v192
	v_add_f32_e32 v6, v6, v186
	v_fmac_f32_e32 v154, v2, v165
	v_add_f32_e32 v5, v5, v143
	v_fma_f32 v156, v1, v165, -v149
	v_mul_f32_e32 v149, v10, v192
	v_add_f32_e32 v1, v6, v144
	v_mul_f32_e32 v146, v8, v175
	v_add_f32_e32 v2, v5, v145
	v_fmac_f32_e32 v158, v10, v163
	v_fma_f32 v160, v9, v163, -v149
	v_add_f32_e32 v10, v1, v147
	v_fma_f32 v155, v7, v167, -v146
	v_add_f32_e32 v9, v2, v148
	v_fmac_f32_e32 v153, v8, v167
	v_mul_f32_e32 v150, v4, v176
	v_add_f32_e32 v10, v10, v151
	s_waitcnt vmcnt(36) lgkmcnt(0)
	v_mul_f32_e32 v163, v139, v195
	v_add_f32_e32 v9, v9, v152
	v_mul_f32_e32 v152, v140, v195
	v_mul_f32_e32 v157, v3, v176
	v_add_f32_e32 v10, v10, v153
	s_waitcnt vmcnt(34)
	v_fma_f32 v159, v3, v197, -v150
	ds_read2_b64 v[5:8], v138 offset0:109 offset1:110
	ds_read2_b64 v[143:146], v138 offset0:111 offset1:112
	v_fma_f32 v167, v139, v196, -v152
	v_add_f32_e32 v139, v9, v155
	v_fmac_f32_e32 v157, v4, v197
	v_add_f32_e32 v168, v10, v154
	v_mul_f32_e32 v151, v12, v194
	v_mul_f32_e32 v161, v11, v194
	v_add_f32_e32 v169, v139, v156
	s_waitcnt vmcnt(33)
	v_mul_f32_e32 v165, v142, v198
	v_add_f32_e32 v157, v168, v157
	v_fma_f32 v166, v11, v193, -v151
	v_fmac_f32_e32 v161, v12, v193
	v_add_f32_e32 v159, v169, v159
	v_mul_f32_e32 v164, v141, v198
	v_add_f32_e32 v157, v157, v158
	v_fmac_f32_e32 v163, v140, v196
	ds_read2_b64 v[1:4], v138 offset0:113 offset1:114
	ds_read2_b64 v[147:150], v138 offset0:115 offset1:116
	v_add_f32_e32 v159, v159, v160
	ds_read2_b64 v[9:12], v138 offset0:117 offset1:118
	ds_read2_b64 v[151:154], v138 offset0:119 offset1:120
	v_add_f32_e32 v157, v157, v161
	v_add_f32_e32 v159, v159, v166
	;; [unrolled: 1-line block ×4, first 2 shown]
	s_waitcnt vmcnt(31) lgkmcnt(5)
	v_mul_f32_e32 v168, v5, v170
	v_mul_f32_e32 v170, v6, v170
	s_waitcnt vmcnt(27)
	v_fma_f32 v165, v141, v191, -v165
	v_fmac_f32_e32 v164, v142, v191
	s_waitcnt vmcnt(26)
	v_mul_f32_e32 v171, v8, v204
	v_fma_f32 v5, v5, v190, -v170
	v_mul_f32_e32 v169, v7, v204
	v_add_f32_e32 v159, v159, v165
	v_fmac_f32_e32 v168, v6, v190
	v_add_f32_e32 v157, v157, v164
	s_waitcnt vmcnt(25) lgkmcnt(4)
	v_mul_f32_e32 v170, v144, v205
	v_fma_f32 v7, v7, v189, -v171
	v_add_f32_e32 v5, v159, v5
	v_mul_f32_e32 v158, v143, v205
	v_fmac_f32_e32 v169, v8, v189
	v_add_f32_e32 v157, v157, v168
	s_waitcnt vmcnt(24)
	v_mul_f32_e32 v164, v146, v185
	v_fma_f32 v143, v143, v172, -v170
	v_add_f32_e32 v5, v5, v7
	v_mul_f32_e32 v160, v145, v185
	v_fmac_f32_e32 v158, v144, v172
	v_add_f32_e32 v7, v157, v169
	ds_read2_b64 v[139:142], v138 offset0:121 offset1:122
	ds_read_b64 v[155:156], v138 offset:984
	s_waitcnt vmcnt(23) lgkmcnt(5)
	v_mul_f32_e32 v6, v1, v199
	v_mul_f32_e32 v144, v2, v199
	v_add_f32_e32 v5, v5, v143
	v_add_f32_e32 v7, v7, v158
	s_waitcnt vmcnt(22)
	v_mul_f32_e32 v143, v4, v200
	v_mul_f32_e32 v161, v3, v200
	s_waitcnt vmcnt(21) lgkmcnt(4)
	v_mul_f32_e32 v166, v147, v180
	s_waitcnt vmcnt(20)
	v_mul_f32_e32 v8, v149, v177
	s_waitcnt vmcnt(19) lgkmcnt(3)
	v_mul_f32_e32 v171, v9, v201
	s_waitcnt vmcnt(10)
	v_fmac_f32_e32 v6, v2, v212
	s_waitcnt vmcnt(9)
	v_fma_f32 v145, v145, v213, -v164
	v_fmac_f32_e32 v160, v146, v213
	v_fma_f32 v1, v1, v212, -v144
	v_fma_f32 v3, v3, v211, -v143
	v_fmac_f32_e32 v161, v4, v211
	v_add_f32_e32 v2, v5, v145
	v_add_f32_e32 v5, v7, v160
	v_mul_f32_e32 v7, v148, v180
	v_mul_f32_e32 v4, v150, v177
	v_fmac_f32_e32 v166, v148, v203
	v_add_f32_e32 v1, v2, v1
	v_add_f32_e32 v2, v5, v6
	v_fma_f32 v5, v147, v203, -v7
	s_waitcnt vmcnt(5)
	v_fma_f32 v4, v149, v217, -v4
	v_fmac_f32_e32 v8, v150, v217
	v_add_f32_e32 v1, v1, v3
	v_add_f32_e32 v2, v2, v161
	v_mul_f32_e32 v3, v10, v201
	v_mul_f32_e32 v163, v11, v206
	v_fmac_f32_e32 v171, v10, v216
	v_add_f32_e32 v1, v1, v5
	v_add_f32_e32 v2, v2, v166
	v_mul_f32_e32 v5, v12, v206
	v_fma_f32 v3, v9, v216, -v3
	s_waitcnt lgkmcnt(2)
	v_mul_f32_e32 v167, v151, v207
	v_add_f32_e32 v1, v1, v4
	v_add_f32_e32 v2, v2, v8
	v_mul_f32_e32 v4, v152, v207
	v_fma_f32 v5, v11, v215, -v5
	v_fmac_f32_e32 v163, v12, v215
	v_add_f32_e32 v1, v1, v3
	v_add_f32_e32 v2, v2, v171
	v_mul_f32_e32 v3, v154, v208
	v_fma_f32 v4, v151, v214, -v4
	v_mul_f32_e32 v173, v153, v208
	v_add_f32_e32 v1, v1, v5
	v_fmac_f32_e32 v167, v152, v214
	v_add_f32_e32 v2, v2, v163
	s_waitcnt lgkmcnt(1)
	v_mul_f32_e32 v5, v140, v202
	s_waitcnt vmcnt(1)
	v_fma_f32 v3, v153, v219, -v3
	v_add_f32_e32 v1, v1, v4
	v_mul_f32_e32 v165, v139, v202
	v_fmac_f32_e32 v173, v154, v219
	v_add_f32_e32 v2, v2, v167
	v_mul_f32_e32 v4, v142, v209
	v_fma_f32 v5, v139, v218, -v5
	v_add_f32_e32 v1, v1, v3
	v_mul_f32_e32 v174, v141, v209
	v_fmac_f32_e32 v165, v140, v218
	v_add_f32_e32 v2, v2, v173
	s_waitcnt lgkmcnt(0)
	v_mul_f32_e32 v3, v156, v210
	v_fma_f32 v4, v141, v188, -v4
	v_add_f32_e32 v1, v1, v5
	v_mul_f32_e32 v159, v155, v210
	v_fmac_f32_e32 v174, v142, v188
	v_add_f32_e32 v2, v2, v165
	v_fma_f32 v3, v155, v162, -v3
	v_add_f32_e32 v1, v1, v4
	v_fmac_f32_e32 v159, v156, v162
	v_add_f32_e32 v2, v2, v174
	v_add_f32_e32 v1, v1, v3
	;; [unrolled: 1-line block ×3, first 2 shown]
	s_waitcnt vmcnt(0)
	v_sub_f32_e32 v1, v220, v1
	v_sub_f32_e32 v2, v187, v2
	buffer_store_dword v1, off, s[0:3], 0 offset:144
	buffer_store_dword v2, off, s[0:3], 0 offset:148
	v_cmpx_lt_u32_e32 17, v0
	s_cbranch_execz .LBB125_351
; %bb.350:
	s_clause 0x1
	buffer_load_dword v1, off, s[0:3], 0 offset:136
	buffer_load_dword v2, off, s[0:3], 0 offset:140
	buffer_store_dword v138, off, s[0:3], 0 offset:136
	buffer_store_dword v138, off, s[0:3], 0 offset:140
	s_waitcnt vmcnt(0)
	ds_write_b64 v137, v[1:2]
.LBB125_351:
	s_or_b32 exec_lo, exec_lo, s4
	s_waitcnt lgkmcnt(0)
	s_waitcnt_vscnt null, 0x0
	s_barrier
	buffer_gl0_inv
	s_clause 0x2b
	buffer_load_dword v161, off, s[0:3], 0 offset:148
	buffer_load_dword v162, off, s[0:3], 0 offset:156
	;; [unrolled: 1-line block ×44, first 2 shown]
	ds_read_b128 v[9:12], v138 offset:640
	s_clause 0x1
	buffer_load_dword v187, off, s[0:3], 0 offset:316
	buffer_load_dword v181, off, s[0:3], 0 offset:324
	ds_read_b128 v[5:8], v138 offset:656
	ds_read_b128 v[1:4], v138 offset:672
	s_clause 0x7
	buffer_load_dword v182, off, s[0:3], 0 offset:332
	buffer_load_dword v171, off, s[0:3], 0 offset:340
	;; [unrolled: 1-line block ×8, first 2 shown]
	ds_read_b128 v[188:191], v138 offset:688
	buffer_load_dword v199, off, s[0:3], 0 offset:140
	s_mov_b32 s4, exec_lo
	s_waitcnt vmcnt(54) lgkmcnt(3)
	v_mul_f32_e32 v197, v9, v161
	s_waitcnt vmcnt(53)
	v_mul_f32_e32 v198, v11, v162
	v_mul_f32_e32 v161, v10, v161
	;; [unrolled: 1-line block ×3, first 2 shown]
	s_waitcnt vmcnt(50)
	v_fmac_f32_e32 v197, v10, v145
	v_fmac_f32_e32 v198, v12, v144
	v_fma_f32 v145, v9, v145, -v161
	v_fma_f32 v144, v11, v144, -v162
	ds_read_b128 v[9:12], v138 offset:704
	s_waitcnt vmcnt(49) lgkmcnt(3)
	v_mul_f32_e32 v161, v5, v142
	v_mul_f32_e32 v142, v6, v142
	s_waitcnt vmcnt(48)
	v_mul_f32_e32 v162, v7, v141
	v_mul_f32_e32 v141, v8, v141
	s_waitcnt vmcnt(47) lgkmcnt(2)
	v_mul_f32_e32 v200, v1, v140
	v_fmac_f32_e32 v161, v6, v139
	v_fma_f32 v201, v5, v139, -v142
	s_waitcnt vmcnt(46)
	v_mul_f32_e32 v202, v3, v143
	v_mul_f32_e32 v139, v2, v140
	;; [unrolled: 1-line block ×3, first 2 shown]
	s_waitcnt vmcnt(42)
	v_fmac_f32_e32 v162, v8, v151
	v_fma_f32 v143, v7, v151, -v141
	ds_read_b128 v[5:8], v138 offset:720
	v_fmac_f32_e32 v200, v2, v150
	v_fmac_f32_e32 v202, v4, v148
	v_fma_f32 v150, v1, v150, -v139
	v_fma_f32 v148, v3, v148, -v140
	ds_read_b128 v[1:4], v138 offset:736
	s_waitcnt vmcnt(41) lgkmcnt(3)
	v_mul_f32_e32 v151, v188, v149
	v_mul_f32_e32 v139, v189, v149
	s_waitcnt vmcnt(40)
	v_mul_f32_e32 v149, v190, v147
	v_mul_f32_e32 v140, v191, v147
	s_waitcnt vmcnt(39) lgkmcnt(2)
	v_mul_f32_e32 v147, v9, v152
	v_fmac_f32_e32 v151, v189, v146
	v_fma_f32 v146, v188, v146, -v139
	s_waitcnt vmcnt(34)
	v_fmac_f32_e32 v149, v191, v159
	v_fma_f32 v159, v190, v159, -v140
	ds_read_b128 v[139:142], v138 offset:752
	v_mul_f32_e32 v188, v11, v153
	v_mul_f32_e32 v153, v12, v153
	v_mul_f32_e32 v152, v10, v152
	v_fmac_f32_e32 v147, v10, v158
	s_waitcnt vmcnt(32) lgkmcnt(2)
	v_mul_f32_e32 v189, v7, v155
	v_fmac_f32_e32 v188, v12, v156
	v_fma_f32 v153, v11, v156, -v153
	v_mul_f32_e32 v156, v5, v157
	v_mul_f32_e32 v157, v6, v157
	;; [unrolled: 1-line block ×3, first 2 shown]
	v_fma_f32 v152, v9, v158, -v152
	ds_read_b128 v[9:12], v138 offset:768
	v_fmac_f32_e32 v156, v6, v154
	v_fma_f32 v154, v5, v154, -v157
	s_waitcnt vmcnt(31) lgkmcnt(2)
	v_mul_f32_e32 v157, v1, v160
	v_mul_f32_e32 v5, v2, v160
	buffer_load_dword v158, off, s[0:3], 0 offset:364
	s_waitcnt vmcnt(28)
	v_fmac_f32_e32 v189, v8, v175
	v_fma_f32 v155, v7, v175, -v155
	s_clause 0x3
	buffer_load_dword v160, off, s[0:3], 0 offset:384
	buffer_load_dword v175, off, s[0:3], 0 offset:376
	;; [unrolled: 1-line block ×4, first 2 shown]
	s_waitcnt vmcnt(31)
	v_mul_f32_e32 v203, v3, v174
	v_mul_f32_e32 v6, v4, v174
	v_fmac_f32_e32 v157, v2, v169
	v_fma_f32 v169, v1, v169, -v5
	s_waitcnt vmcnt(30) lgkmcnt(1)
	v_mul_f32_e32 v174, v139, v166
	s_waitcnt vmcnt(29)
	v_mul_f32_e32 v204, v141, v167
	v_mul_f32_e32 v1, v140, v166
	;; [unrolled: 1-line block ×3, first 2 shown]
	s_clause 0x2
	buffer_load_dword v166, off, s[0:3], 0 offset:372
	buffer_load_dword v167, off, s[0:3], 0 offset:380
	;; [unrolled: 1-line block ×3, first 2 shown]
	v_fmac_f32_e32 v203, v4, v165
	v_fma_f32 v165, v3, v165, -v6
	v_fmac_f32_e32 v174, v140, v163
	v_fma_f32 v139, v139, v163, -v1
	s_waitcnt vmcnt(28)
	v_fma_f32 v140, v141, v186, -v2
	ds_read_b128 v[1:4], v138 offset:784
	s_waitcnt vmcnt(27) lgkmcnt(1)
	v_mul_f32_e32 v5, v10, v184
	v_add_f32_e32 v6, 0, v197
	v_fmac_f32_e32 v204, v142, v186
	v_add_f32_e32 v7, 0, v145
	v_mul_f32_e32 v141, v9, v184
	v_fma_f32 v142, v9, v180, -v5
	v_add_f32_e32 v5, v6, v198
	s_waitcnt vmcnt(26)
	v_mul_f32_e32 v163, v11, v183
	v_add_f32_e32 v6, v7, v144
	v_mul_f32_e32 v8, v12, v183
	v_fmac_f32_e32 v141, v10, v180
	v_add_f32_e32 v5, v5, v161
	s_clause 0x3
	buffer_load_dword v180, off, s[0:3], 0 offset:396
	buffer_load_dword v183, off, s[0:3], 0 offset:404
	;; [unrolled: 1-line block ×4, first 2 shown]
	v_add_f32_e32 v6, v6, v201
	v_fmac_f32_e32 v163, v12, v178
	v_fma_f32 v144, v11, v178, -v8
	v_add_f32_e32 v5, v5, v162
	s_clause 0x3
	buffer_load_dword v161, off, s[0:3], 0 offset:428
	buffer_load_dword v178, off, s[0:3], 0 offset:436
	;; [unrolled: 1-line block ×4, first 2 shown]
	v_add_f32_e32 v6, v6, v143
	s_waitcnt vmcnt(33) lgkmcnt(0)
	v_mul_f32_e32 v143, v1, v176
	v_mul_f32_e32 v7, v2, v176
	v_add_f32_e32 v5, v5, v200
	s_clause 0x3
	buffer_load_dword v162, off, s[0:3], 0 offset:460
	buffer_load_dword v201, off, s[0:3], 0 offset:468
	;; [unrolled: 1-line block ×4, first 2 shown]
	v_add_f32_e32 v6, v6, v150
	buffer_load_dword v176, off, s[0:3], 0 offset:492
	v_fmac_f32_e32 v143, v2, v172
	v_fma_f32 v145, v1, v172, -v7
	v_add_f32_e32 v5, v5, v202
	s_clause 0x3
	buffer_load_dword v172, off, s[0:3], 0 offset:416
	buffer_load_dword v200, off, s[0:3], 0 offset:408
	;; [unrolled: 1-line block ×4, first 2 shown]
	v_add_f32_e32 v1, v6, v148
	v_add_f32_e32 v5, v5, v151
	;; [unrolled: 1-line block ×3, first 2 shown]
	s_waitcnt vmcnt(41)
	v_mul_f32_e32 v146, v3, v170
	v_mul_f32_e32 v1, v4, v170
	v_add_f32_e32 v5, v5, v149
	v_add_f32_e32 v6, v6, v159
	s_waitcnt vmcnt(37)
	v_fmac_f32_e32 v146, v4, v185
	v_fma_f32 v148, v3, v185, -v1
	ds_read_b128 v[1:4], v138 offset:800
	s_clause 0x3
	buffer_load_dword v159, off, s[0:3], 0 offset:448
	buffer_load_dword v170, off, s[0:3], 0 offset:440
	;; [unrolled: 1-line block ×4, first 2 shown]
	v_add_f32_e32 v6, v6, v152
	v_add_f32_e32 v5, v5, v147
	;; [unrolled: 1-line block ×4, first 2 shown]
	ds_read_b128 v[5:8], v138 offset:816
	v_add_f32_e32 v9, v9, v154
	v_add_f32_e32 v10, v10, v156
	s_waitcnt vmcnt(40) lgkmcnt(1)
	v_mul_f32_e32 v147, v1, v179
	v_mul_f32_e32 v11, v2, v179
	s_waitcnt vmcnt(39)
	v_mul_f32_e32 v151, v3, v187
	v_fmac_f32_e32 v147, v2, v177
	v_fma_f32 v149, v1, v177, -v11
	v_add_f32_e32 v1, v9, v155
	s_clause 0x3
	buffer_load_dword v155, off, s[0:3], 0 offset:480
	buffer_load_dword v156, off, s[0:3], 0 offset:472
	;; [unrolled: 1-line block ×4, first 2 shown]
	v_add_f32_e32 v2, v10, v189
	v_mul_f32_e32 v9, v4, v187
	v_fmac_f32_e32 v151, v4, v173
	v_add_f32_e32 v1, v1, v169
	buffer_load_dword v169, off, s[0:3], 0 offset:488
	v_add_f32_e32 v2, v2, v157
	buffer_load_dword v157, off, s[0:3], 0 offset:136
	v_fma_f32 v152, v3, v173, -v9
	v_add_f32_e32 v1, v1, v165
	s_waitcnt vmcnt(44) lgkmcnt(0)
	v_mul_f32_e32 v153, v5, v181
	v_add_f32_e32 v10, v2, v203
	s_waitcnt vmcnt(43)
	v_mul_f32_e32 v154, v7, v182
	v_mul_f32_e32 v165, v8, v182
	v_add_f32_e32 v139, v1, v139
	ds_read_b128 v[1:4], v138 offset:832
	v_add_f32_e32 v150, v10, v174
	ds_read_b128 v[9:12], v138 offset:848
	v_fmac_f32_e32 v153, v6, v164
	v_add_f32_e32 v139, v139, v140
	v_mul_f32_e32 v140, v6, v181
	v_add_f32_e32 v150, v150, v204
	s_waitcnt vmcnt(36)
	v_fmac_f32_e32 v154, v8, v196
	v_fma_f32 v165, v7, v196, -v165
	v_add_f32_e32 v173, v139, v142
	v_fma_f32 v164, v5, v164, -v140
	v_add_f32_e32 v150, v150, v141
	ds_read_b128 v[5:8], v138 offset:864
	ds_read_b128 v[139:142], v138 offset:880
	v_add_f32_e32 v144, v173, v144
	v_add_f32_e32 v150, v150, v163
	;; [unrolled: 1-line block ×3, first 2 shown]
	s_waitcnt lgkmcnt(3)
	v_mul_f32_e32 v173, v1, v171
	v_add_f32_e32 v143, v150, v143
	v_mul_f32_e32 v171, v2, v171
	v_mul_f32_e32 v163, v3, v168
	v_add_f32_e32 v148, v144, v148
	v_mul_f32_e32 v168, v4, v168
	v_add_f32_e32 v182, v143, v146
	v_fma_f32 v171, v1, v195, -v171
	v_fmac_f32_e32 v173, v2, v195
	v_add_f32_e32 v188, v148, v149
	s_waitcnt lgkmcnt(2)
	v_mul_f32_e32 v150, v10, v192
	v_add_f32_e32 v182, v182, v147
	v_fma_f32 v168, v3, v194, -v168
	v_mul_f32_e32 v174, v9, v192
	v_add_f32_e32 v152, v188, v152
	v_fmac_f32_e32 v163, v4, v194
	v_add_f32_e32 v151, v182, v151
	v_fma_f32 v187, v9, v193, -v150
	v_fmac_f32_e32 v174, v10, v193
	ds_read_b128 v[1:4], v138 offset:896
	ds_read_b128 v[143:146], v138 offset:912
	v_add_f32_e32 v151, v151, v153
	s_waitcnt vmcnt(34)
	v_mul_f32_e32 v181, v11, v158
	v_mul_f32_e32 v158, v12, v158
	s_waitcnt vmcnt(30)
	v_fmac_f32_e32 v181, v12, v191
	v_fma_f32 v158, v11, v191, -v158
	ds_read_b128 v[9:12], v138 offset:928
	ds_read_b128 v[147:150], v138 offset:944
	s_waitcnt vmcnt(29) lgkmcnt(5)
	v_mul_f32_e32 v188, v5, v166
	v_mul_f32_e32 v166, v6, v166
	s_waitcnt vmcnt(28)
	v_mul_f32_e32 v182, v7, v167
	v_mul_f32_e32 v167, v8, v167
	v_fmac_f32_e32 v188, v6, v190
	v_add_f32_e32 v6, v152, v164
	v_fma_f32 v164, v5, v190, -v166
	v_fma_f32 v166, v7, v175, -v167
	v_add_f32_e32 v167, v151, v154
	v_fmac_f32_e32 v182, v8, v175
	v_add_f32_e32 v165, v6, v165
	ds_read_b128 v[5:8], v138 offset:960
	ds_read_b128 v[151:154], v138 offset:976
	s_waitcnt vmcnt(27) lgkmcnt(6)
	v_mul_f32_e32 v138, v139, v205
	v_add_f32_e32 v167, v167, v173
	v_add_f32_e32 v165, v165, v171
	v_mul_f32_e32 v171, v140, v205
	s_waitcnt vmcnt(26)
	v_mul_f32_e32 v175, v142, v180
	v_add_f32_e32 v163, v167, v163
	v_mul_f32_e32 v173, v141, v180
	v_add_f32_e32 v165, v165, v168
	v_fma_f32 v139, v139, v160, -v171
	v_fmac_f32_e32 v138, v140, v160
	v_add_f32_e32 v163, v163, v174
	s_waitcnt vmcnt(25) lgkmcnt(5)
	v_mul_f32_e32 v168, v1, v183
	v_add_f32_e32 v165, v165, v187
	s_waitcnt vmcnt(24)
	v_mul_f32_e32 v167, v3, v184
	s_waitcnt vmcnt(23) lgkmcnt(4)
	v_mul_f32_e32 v180, v143, v186
	v_add_f32_e32 v163, v163, v181
	s_waitcnt vmcnt(22)
	v_mul_f32_e32 v187, v145, v161
	v_add_f32_e32 v158, v165, v158
	s_waitcnt vmcnt(21) lgkmcnt(3)
	v_mul_f32_e32 v174, v9, v178
	s_waitcnt vmcnt(20)
	v_mul_f32_e32 v189, v11, v197
	v_add_f32_e32 v163, v163, v188
	s_waitcnt vmcnt(12)
	v_fmac_f32_e32 v167, v4, v200
	v_add_f32_e32 v158, v158, v164
	s_waitcnt vmcnt(10)
	v_fma_f32 v141, v141, v208, -v175
	v_fmac_f32_e32 v173, v142, v208
	v_add_f32_e32 v160, v163, v182
	v_mul_f32_e32 v163, v2, v183
	v_add_f32_e32 v158, v158, v166
	v_mul_f32_e32 v142, v4, v184
	v_fmac_f32_e32 v168, v2, v202
	v_add_f32_e32 v138, v160, v138
	v_fma_f32 v1, v1, v202, -v163
	v_add_f32_e32 v139, v158, v139
	v_fma_f32 v3, v3, v200, -v142
	v_mul_f32_e32 v4, v146, v161
	v_add_f32_e32 v138, v138, v173
	v_fmac_f32_e32 v180, v144, v172
	v_add_f32_e32 v2, v139, v141
	v_mul_f32_e32 v139, v144, v186
	s_waitcnt vmcnt(6)
	v_fma_f32 v4, v145, v209, -v4
	v_fmac_f32_e32 v187, v146, v209
	v_fmac_f32_e32 v174, v10, v185
	v_add_f32_e32 v1, v2, v1
	v_add_f32_e32 v2, v138, v168
	v_fma_f32 v138, v143, v172, -v139
	s_waitcnt lgkmcnt(2)
	v_mul_f32_e32 v165, v147, v198
	v_fmac_f32_e32 v189, v12, v170
	v_add_f32_e32 v1, v1, v3
	v_add_f32_e32 v2, v2, v167
	v_mul_f32_e32 v3, v10, v178
	v_mul_f32_e32 v181, v149, v162
	v_fmac_f32_e32 v165, v148, v159
	v_add_f32_e32 v1, v1, v138
	v_add_f32_e32 v2, v2, v180
	v_mul_f32_e32 v138, v12, v197
	v_fma_f32 v3, v9, v185, -v3
	s_waitcnt lgkmcnt(1)
	v_mul_f32_e32 v190, v5, v201
	v_add_f32_e32 v1, v1, v4
	v_add_f32_e32 v2, v2, v187
	v_mul_f32_e32 v4, v148, v198
	v_fma_f32 v9, v11, v170, -v138
	v_mul_f32_e32 v164, v7, v206
	v_add_f32_e32 v1, v1, v3
	v_add_f32_e32 v2, v2, v174
	v_mul_f32_e32 v3, v150, v162
	v_fma_f32 v4, v147, v159, -v4
	s_waitcnt vmcnt(2)
	v_fmac_f32_e32 v181, v150, v179
	v_add_f32_e32 v1, v1, v9
	v_add_f32_e32 v2, v2, v189
	v_mul_f32_e32 v9, v6, v201
	v_fma_f32 v3, v149, v179, -v3
	v_fmac_f32_e32 v190, v6, v177
	v_add_f32_e32 v1, v1, v4
	v_add_f32_e32 v2, v2, v165
	v_mul_f32_e32 v4, v8, v206
	v_fma_f32 v5, v5, v177, -v9
	s_waitcnt lgkmcnt(0)
	v_mul_f32_e32 v188, v151, v207
	v_add_f32_e32 v1, v1, v3
	v_add_f32_e32 v2, v2, v181
	v_mul_f32_e32 v3, v152, v207
	v_fma_f32 v4, v7, v156, -v4
	v_fmac_f32_e32 v164, v8, v156
	v_add_f32_e32 v1, v1, v5
	v_add_f32_e32 v2, v2, v190
	v_mul_f32_e32 v5, v154, v176
	v_fma_f32 v3, v151, v155, -v3
	v_mul_f32_e32 v140, v153, v176
	v_add_f32_e32 v1, v1, v4
	v_fmac_f32_e32 v188, v152, v155
	v_add_f32_e32 v2, v2, v164
	s_waitcnt vmcnt(1)
	v_fma_f32 v4, v153, v169, -v5
	v_fmac_f32_e32 v140, v154, v169
	v_add_f32_e32 v1, v1, v3
	v_add_f32_e32 v2, v2, v188
	;; [unrolled: 1-line block ×4, first 2 shown]
	s_waitcnt vmcnt(0)
	v_sub_f32_e32 v1, v157, v1
	v_sub_f32_e32 v2, v199, v2
	buffer_store_dword v1, off, s[0:3], 0 offset:136
	buffer_store_dword v2, off, s[0:3], 0 offset:140
	v_cmpx_lt_u32_e32 16, v0
	s_cbranch_execz .LBB125_353
; %bb.352:
	s_clause 0x1
	buffer_load_dword v1, off, s[0:3], 0 offset:128
	buffer_load_dword v2, off, s[0:3], 0 offset:132
	v_mov_b32_e32 v3, 0
	buffer_store_dword v3, off, s[0:3], 0 offset:128
	buffer_store_dword v3, off, s[0:3], 0 offset:132
	s_waitcnt vmcnt(0)
	ds_write_b64 v137, v[1:2]
.LBB125_353:
	s_or_b32 exec_lo, exec_lo, s4
	s_waitcnt lgkmcnt(0)
	s_waitcnt_vscnt null, 0x0
	s_barrier
	buffer_gl0_inv
	s_clause 0x2b
	buffer_load_dword v140, off, s[0:3], 0 offset:140
	buffer_load_dword v141, off, s[0:3], 0 offset:148
	;; [unrolled: 1-line block ×44, first 2 shown]
	v_mov_b32_e32 v138, 0
	ds_read2_b64 v[9:12], v138 offset0:79 offset1:80
	ds_read2_b64 v[5:8], v138 offset0:81 offset1:82
	s_clause 0x1
	buffer_load_dword v187, off, s[0:3], 0 offset:308
	buffer_load_dword v182, off, s[0:3], 0 offset:316
	ds_read2_b64 v[1:4], v138 offset0:83 offset1:84
	s_clause 0x9
	buffer_load_dword v181, off, s[0:3], 0 offset:324
	buffer_load_dword v169, off, s[0:3], 0 offset:332
	;; [unrolled: 1-line block ×10, first 2 shown]
	ds_read2_b64 v[189:192], v138 offset0:85 offset1:86
	s_mov_b32 s4, exec_lo
	s_waitcnt vmcnt(55) lgkmcnt(3)
	v_mul_f32_e32 v199, v9, v140
	v_mul_f32_e32 v140, v10, v140
	s_waitcnt vmcnt(54)
	v_mul_f32_e32 v200, v11, v141
	v_mul_f32_e32 v141, v12, v141
	s_waitcnt vmcnt(51)
	v_fmac_f32_e32 v199, v10, v146
	v_fma_f32 v146, v9, v146, -v140
	s_waitcnt vmcnt(50) lgkmcnt(2)
	v_mul_f32_e32 v201, v5, v145
	v_mul_f32_e32 v140, v6, v145
	v_fmac_f32_e32 v200, v12, v142
	v_fma_f32 v145, v11, v142, -v141
	ds_read2_b64 v[9:12], v138 offset0:87 offset1:88
	s_waitcnt vmcnt(49)
	v_mul_f32_e32 v202, v7, v143
	v_mul_f32_e32 v141, v8, v143
	v_fmac_f32_e32 v201, v6, v139
	v_fma_f32 v143, v5, v139, -v140
	s_waitcnt vmcnt(48) lgkmcnt(2)
	v_mul_f32_e32 v203, v1, v144
	v_mul_f32_e32 v139, v2, v144
	s_waitcnt vmcnt(44)
	v_fmac_f32_e32 v202, v8, v153
	v_fma_f32 v144, v7, v153, -v141
	ds_read2_b64 v[5:8], v138 offset0:89 offset1:90
	s_waitcnt vmcnt(43)
	v_mul_f32_e32 v153, v3, v152
	v_mul_f32_e32 v140, v4, v152
	v_fmac_f32_e32 v203, v2, v150
	v_fma_f32 v150, v1, v150, -v139
	s_waitcnt vmcnt(42) lgkmcnt(2)
	v_mul_f32_e32 v152, v189, v151
	v_mul_f32_e32 v139, v190, v151
	v_fmac_f32_e32 v153, v4, v148
	v_fma_f32 v148, v3, v148, -v140
	ds_read2_b64 v[1:4], v138 offset0:91 offset1:92
	s_waitcnt vmcnt(41)
	v_mul_f32_e32 v151, v191, v149
	v_mul_f32_e32 v140, v192, v149
	v_fmac_f32_e32 v152, v190, v147
	v_fma_f32 v147, v189, v147, -v139
	s_waitcnt vmcnt(40) lgkmcnt(2)
	v_mul_f32_e32 v149, v9, v154
	s_waitcnt vmcnt(36)
	v_fmac_f32_e32 v151, v192, v161
	v_fma_f32 v161, v191, v161, -v140
	ds_read2_b64 v[139:142], v138 offset0:93 offset1:94
	v_mul_f32_e32 v154, v10, v154
	s_waitcnt vmcnt(35)
	v_mul_f32_e32 v189, v11, v160
	v_mul_f32_e32 v160, v12, v160
	v_fmac_f32_e32 v149, v10, v158
	v_fma_f32 v154, v9, v158, -v154
	s_waitcnt vmcnt(34) lgkmcnt(2)
	v_mul_f32_e32 v158, v5, v159
	v_mul_f32_e32 v159, v6, v159
	v_fmac_f32_e32 v189, v12, v156
	v_fma_f32 v156, v11, v156, -v160
	s_waitcnt vmcnt(33)
	v_mul_f32_e32 v160, v7, v157
	v_mul_f32_e32 v157, v8, v157
	v_fmac_f32_e32 v158, v6, v155
	v_fma_f32 v155, v5, v155, -v159
	s_waitcnt vmcnt(32) lgkmcnt(1)
	v_mul_f32_e32 v159, v1, v162
	v_mul_f32_e32 v5, v2, v162
	ds_read2_b64 v[9:12], v138 offset0:95 offset1:96
	s_waitcnt vmcnt(28)
	v_fmac_f32_e32 v160, v8, v175
	v_fma_f32 v157, v7, v175, -v157
	s_clause 0x3
	buffer_load_dword v162, off, s[0:3], 0 offset:376
	buffer_load_dword v175, off, s[0:3], 0 offset:368
	;; [unrolled: 1-line block ×4, first 2 shown]
	s_waitcnt vmcnt(31)
	v_mul_f32_e32 v192, v3, v173
	v_mul_f32_e32 v6, v4, v173
	v_fmac_f32_e32 v159, v2, v171
	v_fma_f32 v171, v1, v171, -v5
	s_waitcnt vmcnt(30) lgkmcnt(1)
	v_mul_f32_e32 v173, v139, v167
	s_waitcnt vmcnt(29)
	v_mul_f32_e32 v204, v141, v168
	v_mul_f32_e32 v1, v140, v167
	;; [unrolled: 1-line block ×3, first 2 shown]
	s_clause 0x2
	buffer_load_dword v167, off, s[0:3], 0 offset:364
	buffer_load_dword v168, off, s[0:3], 0 offset:372
	;; [unrolled: 1-line block ×3, first 2 shown]
	v_fmac_f32_e32 v192, v4, v165
	v_fma_f32 v165, v3, v165, -v6
	v_fmac_f32_e32 v173, v140, v164
	v_fma_f32 v139, v139, v164, -v1
	s_waitcnt vmcnt(28)
	v_fma_f32 v140, v141, v186, -v2
	ds_read2_b64 v[1:4], v138 offset0:97 offset1:98
	v_add_f32_e32 v5, 0, v199
	s_waitcnt vmcnt(27) lgkmcnt(1)
	v_mul_f32_e32 v6, v10, v183
	v_add_f32_e32 v8, 0, v146
	v_fmac_f32_e32 v204, v142, v186
	v_mul_f32_e32 v141, v9, v183
	v_add_f32_e32 v5, v5, v200
	v_fma_f32 v146, v9, v180, -v6
	v_add_f32_e32 v6, v8, v145
	s_waitcnt vmcnt(26)
	v_mul_f32_e32 v142, v11, v184
	v_mul_f32_e32 v7, v12, v184
	v_add_f32_e32 v5, v5, v201
	v_fmac_f32_e32 v141, v10, v180
	v_add_f32_e32 v6, v6, v143
	v_fmac_f32_e32 v142, v12, v179
	v_fma_f32 v164, v11, v179, -v7
	v_add_f32_e32 v5, v5, v202
	s_clause 0x7
	buffer_load_dword v179, off, s[0:3], 0 offset:388
	buffer_load_dword v180, off, s[0:3], 0 offset:396
	;; [unrolled: 1-line block ×8, first 2 shown]
	v_add_f32_e32 v6, v6, v144
	s_clause 0x1
	buffer_load_dword v202, off, s[0:3], 0 offset:420
	buffer_load_dword v206, off, s[0:3], 0 offset:428
	s_waitcnt vmcnt(35) lgkmcnt(0)
	v_mul_f32_e32 v143, v1, v176
	v_mul_f32_e32 v7, v2, v176
	v_add_f32_e32 v5, v5, v203
	s_waitcnt vmcnt(34)
	v_mul_f32_e32 v145, v3, v172
	s_clause 0x1
	buffer_load_dword v176, off, s[0:3], 0 offset:436
	buffer_load_dword v203, off, s[0:3], 0 offset:444
	v_fmac_f32_e32 v143, v2, v174
	v_fma_f32 v144, v1, v174, -v7
	v_add_f32_e32 v1, v6, v150
	v_add_f32_e32 v2, v5, v153
	s_clause 0x3
	buffer_load_dword v174, off, s[0:3], 0 offset:452
	buffer_load_dword v207, off, s[0:3], 0 offset:460
	;; [unrolled: 1-line block ×4, first 2 shown]
	s_waitcnt vmcnt(36)
	v_fmac_f32_e32 v145, v4, v185
	buffer_load_dword v210, off, s[0:3], 0 offset:484
	v_add_f32_e32 v1, v1, v148
	v_add_f32_e32 v5, v2, v152
	v_mul_f32_e32 v2, v4, v172
	buffer_load_dword v172, off, s[0:3], 0 offset:492
	v_add_f32_e32 v6, v1, v147
	v_add_f32_e32 v5, v5, v151
	v_fma_f32 v147, v3, v185, -v2
	ds_read2_b64 v[1:4], v138 offset0:99 offset1:100
	v_add_f32_e32 v6, v6, v161
	v_add_f32_e32 v5, v5, v149
	s_clause 0x3
	buffer_load_dword v161, off, s[0:3], 0 offset:440
	buffer_load_dword v185, off, s[0:3], 0 offset:432
	;; [unrolled: 1-line block ×4, first 2 shown]
	v_add_f32_e32 v6, v6, v154
	v_add_f32_e32 v5, v5, v189
	;; [unrolled: 1-line block ×4, first 2 shown]
	ds_read2_b64 v[5:8], v138 offset0:101 offset1:102
	v_add_f32_e32 v9, v9, v155
	v_add_f32_e32 v10, v10, v160
	s_waitcnt vmcnt(41) lgkmcnt(1)
	v_mul_f32_e32 v148, v1, v178
	v_mul_f32_e32 v11, v2, v178
	s_waitcnt vmcnt(40)
	v_mul_f32_e32 v150, v3, v187
	v_fmac_f32_e32 v148, v2, v177
	v_fma_f32 v149, v1, v177, -v11
	v_add_f32_e32 v1, v9, v157
	v_add_f32_e32 v2, v10, v159
	s_clause 0x3
	buffer_load_dword v157, off, s[0:3], 0 offset:472
	buffer_load_dword v158, off, s[0:3], 0 offset:464
	;; [unrolled: 1-line block ×4, first 2 shown]
	v_mul_f32_e32 v9, v4, v187
	v_fmac_f32_e32 v150, v4, v170
	v_add_f32_e32 v1, v1, v171
	s_clause 0x1
	buffer_load_dword v171, off, s[0:3], 0 offset:488
	buffer_load_dword v177, off, s[0:3], 0 offset:480
	v_add_f32_e32 v2, v2, v192
	s_waitcnt vmcnt(45) lgkmcnt(0)
	v_mul_f32_e32 v152, v5, v182
	s_waitcnt vmcnt(44)
	v_mul_f32_e32 v153, v7, v181
	v_add_f32_e32 v1, v1, v165
	buffer_load_dword v165, off, s[0:3], 0 offset:128
	v_add_f32_e32 v2, v2, v173
	v_fma_f32 v151, v3, v170, -v9
	v_fmac_f32_e32 v152, v6, v163
	v_add_f32_e32 v10, v1, v139
	s_waitcnt vmcnt(38)
	v_fmac_f32_e32 v153, v8, v197
	v_add_f32_e32 v139, v2, v204
	ds_read2_b64 v[1:4], v138 offset0:103 offset1:104
	v_add_f32_e32 v140, v10, v140
	ds_read2_b64 v[9:12], v138 offset0:105 offset1:106
	v_add_f32_e32 v139, v139, v141
	v_mul_f32_e32 v141, v6, v182
	v_add_f32_e32 v140, v140, v146
	v_mul_f32_e32 v146, v8, v181
	v_add_f32_e32 v155, v139, v142
	v_fma_f32 v154, v5, v163, -v141
	v_fma_f32 v156, v7, v197, -v146
	v_add_f32_e32 v146, v140, v164
	v_add_f32_e32 v143, v155, v143
	ds_read2_b64 v[5:8], v138 offset0:107 offset1:108
	ds_read2_b64 v[139:142], v138 offset0:109 offset1:110
	v_add_f32_e32 v144, v146, v144
	v_add_f32_e32 v143, v143, v145
	s_waitcnt lgkmcnt(3)
	v_mul_f32_e32 v163, v2, v169
	v_mul_f32_e32 v155, v1, v169
	;; [unrolled: 1-line block ×3, first 2 shown]
	v_add_f32_e32 v144, v144, v147
	v_add_f32_e32 v148, v143, v148
	v_fma_f32 v163, v1, v196, -v163
	v_mul_f32_e32 v164, v3, v166
	v_fmac_f32_e32 v155, v2, v196
	v_add_f32_e32 v149, v144, v149
	v_add_f32_e32 v181, v148, v150
	s_waitcnt lgkmcnt(2)
	v_mul_f32_e32 v147, v10, v194
	v_fma_f32 v170, v3, v195, -v146
	v_mul_f32_e32 v166, v9, v194
	v_add_f32_e32 v151, v149, v151
	v_add_f32_e32 v152, v181, v152
	v_fmac_f32_e32 v164, v4, v195
	s_waitcnt vmcnt(37)
	v_mul_f32_e32 v173, v12, v198
	v_fma_f32 v178, v9, v193, -v147
	v_add_f32_e32 v151, v151, v154
	v_mul_f32_e32 v169, v11, v198
	v_fmac_f32_e32 v166, v10, v193
	ds_read2_b64 v[1:4], v138 offset0:111 offset1:112
	ds_read2_b64 v[143:146], v138 offset0:113 offset1:114
	v_add_f32_e32 v151, v151, v156
	v_add_f32_e32 v163, v151, v163
	;; [unrolled: 1-line block ×4, first 2 shown]
	s_waitcnt vmcnt(32)
	v_fma_f32 v173, v11, v191, -v173
	v_fmac_f32_e32 v169, v12, v191
	ds_read2_b64 v[9:12], v138 offset0:115 offset1:116
	ds_read2_b64 v[147:150], v138 offset0:117 offset1:118
	v_add_f32_e32 v163, v163, v173
	s_waitcnt vmcnt(31) lgkmcnt(5)
	v_mul_f32_e32 v181, v5, v167
	s_waitcnt vmcnt(30)
	v_mul_f32_e32 v182, v7, v168
	v_mul_f32_e32 v154, v6, v167
	;; [unrolled: 1-line block ×3, first 2 shown]
	s_waitcnt vmcnt(29) lgkmcnt(4)
	v_mul_f32_e32 v187, v140, v205
	v_fmac_f32_e32 v181, v6, v190
	v_add_f32_e32 v6, v152, v153
	v_fmac_f32_e32 v182, v8, v175
	v_fma_f32 v167, v7, v175, -v167
	v_fma_f32 v168, v5, v190, -v154
	v_add_f32_e32 v175, v6, v155
	ds_read2_b64 v[5:8], v138 offset0:119 offset1:120
	ds_read2_b64 v[151:154], v138 offset0:121 offset1:122
	ds_read_b64 v[155:156], v138 offset:984
	v_add_f32_e32 v163, v163, v168
	v_add_f32_e32 v164, v175, v164
	v_mul_f32_e32 v175, v139, v205
	v_fma_f32 v139, v139, v162, -v187
	s_waitcnt vmcnt(28)
	v_mul_f32_e32 v170, v141, v179
	v_mul_f32_e32 v179, v142, v179
	v_add_f32_e32 v164, v164, v166
	v_fmac_f32_e32 v175, v140, v162
	v_add_f32_e32 v163, v163, v167
	s_waitcnt vmcnt(27) lgkmcnt(6)
	v_mul_f32_e32 v166, v1, v180
	v_mul_f32_e32 v173, v2, v180
	v_add_f32_e32 v162, v164, v169
	s_waitcnt vmcnt(21)
	v_fma_f32 v141, v141, v201, -v179
	v_add_f32_e32 v139, v163, v139
	v_fmac_f32_e32 v170, v142, v201
	v_mul_f32_e32 v167, v4, v183
	v_add_f32_e32 v162, v162, v181
	v_fmac_f32_e32 v166, v2, v200
	v_fma_f32 v1, v1, v200, -v173
	v_add_f32_e32 v2, v139, v141
	v_mul_f32_e32 v178, v3, v183
	v_add_f32_e32 v162, v162, v182
	s_waitcnt lgkmcnt(5)
	v_mul_f32_e32 v141, v144, v184
	v_fma_f32 v3, v3, v199, -v167
	v_add_f32_e32 v1, v2, v1
	v_mul_f32_e32 v140, v143, v184
	v_add_f32_e32 v162, v162, v175
	v_fmac_f32_e32 v178, v4, v199
	s_waitcnt vmcnt(20)
	v_mul_f32_e32 v4, v146, v202
	v_add_f32_e32 v1, v1, v3
	v_mul_f32_e32 v164, v145, v202
	v_add_f32_e32 v139, v162, v170
	v_fmac_f32_e32 v140, v144, v186
	s_waitcnt vmcnt(19) lgkmcnt(4)
	v_mul_f32_e32 v3, v10, v206
	v_mul_f32_e32 v169, v9, v206
	s_waitcnt vmcnt(18)
	v_mul_f32_e32 v142, v11, v176
	v_add_f32_e32 v2, v139, v166
	v_fma_f32 v139, v143, v186, -v141
	s_waitcnt vmcnt(7)
	v_fma_f32 v4, v145, v212, -v4
	v_fmac_f32_e32 v164, v146, v212
	v_fma_f32 v3, v9, v211, -v3
	v_add_f32_e32 v2, v2, v178
	v_add_f32_e32 v1, v1, v139
	v_mul_f32_e32 v139, v12, v176
	v_fmac_f32_e32 v169, v10, v211
	s_waitcnt lgkmcnt(3)
	v_mul_f32_e32 v179, v147, v203
	v_add_f32_e32 v2, v2, v140
	v_add_f32_e32 v1, v1, v4
	v_mul_f32_e32 v4, v148, v203
	v_fma_f32 v9, v11, v185, -v139
	v_fmac_f32_e32 v142, v12, v185
	v_add_f32_e32 v2, v2, v164
	v_add_f32_e32 v1, v1, v3
	v_mul_f32_e32 v3, v150, v174
	v_fma_f32 v4, v147, v161, -v4
	v_mul_f32_e32 v168, v149, v174
	v_add_f32_e32 v2, v2, v169
	v_add_f32_e32 v1, v1, v9
	v_fmac_f32_e32 v179, v148, v161
	s_waitcnt lgkmcnt(2)
	v_mul_f32_e32 v9, v6, v207
	v_mul_f32_e32 v180, v5, v207
	v_add_f32_e32 v2, v2, v142
	s_waitcnt vmcnt(3)
	v_fma_f32 v3, v149, v160, -v3
	v_add_f32_e32 v1, v1, v4
	v_fmac_f32_e32 v168, v150, v160
	v_mul_f32_e32 v4, v8, v208
	v_add_f32_e32 v2, v2, v179
	v_fma_f32 v5, v5, v159, -v9
	v_add_f32_e32 v1, v1, v3
	v_mul_f32_e32 v181, v7, v208
	v_fmac_f32_e32 v180, v6, v159
	v_add_f32_e32 v2, v2, v168
	s_waitcnt lgkmcnt(1)
	v_mul_f32_e32 v3, v152, v209
	v_fma_f32 v4, v7, v158, -v4
	v_add_f32_e32 v1, v1, v5
	v_mul_f32_e32 v182, v151, v209
	v_fmac_f32_e32 v181, v8, v158
	v_add_f32_e32 v2, v2, v180
	v_mul_f32_e32 v5, v154, v210
	v_fma_f32 v3, v151, v157, -v3
	v_add_f32_e32 v1, v1, v4
	v_mul_f32_e32 v183, v153, v210
	v_fmac_f32_e32 v182, v152, v157
	v_add_f32_e32 v2, v2, v181
	s_waitcnt lgkmcnt(0)
	v_mul_f32_e32 v4, v156, v172
	s_waitcnt vmcnt(1)
	v_fma_f32 v5, v153, v177, -v5
	v_add_f32_e32 v1, v1, v3
	v_mul_f32_e32 v163, v155, v172
	v_fmac_f32_e32 v183, v154, v177
	v_add_f32_e32 v2, v2, v182
	v_fma_f32 v3, v155, v171, -v4
	v_add_f32_e32 v1, v1, v5
	v_fmac_f32_e32 v163, v156, v171
	v_add_f32_e32 v2, v2, v183
	v_add_f32_e32 v1, v1, v3
	;; [unrolled: 1-line block ×3, first 2 shown]
	s_waitcnt vmcnt(0)
	v_sub_f32_e32 v1, v165, v1
	v_sub_f32_e32 v2, v188, v2
	buffer_store_dword v1, off, s[0:3], 0 offset:128
	buffer_store_dword v2, off, s[0:3], 0 offset:132
	v_cmpx_lt_u32_e32 15, v0
	s_cbranch_execz .LBB125_355
; %bb.354:
	s_clause 0x1
	buffer_load_dword v1, off, s[0:3], 0 offset:120
	buffer_load_dword v2, off, s[0:3], 0 offset:124
	buffer_store_dword v138, off, s[0:3], 0 offset:120
	buffer_store_dword v138, off, s[0:3], 0 offset:124
	s_waitcnt vmcnt(0)
	ds_write_b64 v137, v[1:2]
.LBB125_355:
	s_or_b32 exec_lo, exec_lo, s4
	s_waitcnt lgkmcnt(0)
	s_waitcnt_vscnt null, 0x0
	s_barrier
	buffer_gl0_inv
	s_clause 0x2c
	buffer_load_dword v179, off, s[0:3], 0 offset:132
	buffer_load_dword v180, off, s[0:3], 0 offset:140
	;; [unrolled: 1-line block ×45, first 2 shown]
	ds_read_b128 v[5:8], v138 offset:624
	buffer_load_dword v173, off, s[0:3], 0 offset:308
	ds_read_b128 v[1:4], v138 offset:640
	ds_read_b128 v[189:192], v138 offset:656
	s_clause 0x7
	buffer_load_dword v187, off, s[0:3], 0 offset:316
	buffer_load_dword v185, off, s[0:3], 0 offset:324
	;; [unrolled: 1-line block ×8, first 2 shown]
	ds_read_b128 v[193:196], v138 offset:672
	s_mov_b32 s4, exec_lo
	s_waitcnt vmcnt(53) lgkmcnt(3)
	v_mul_f32_e32 v197, v5, v179
	s_waitcnt vmcnt(52)
	v_mul_f32_e32 v198, v7, v180
	v_mul_f32_e32 v199, v6, v179
	;; [unrolled: 1-line block ×3, first 2 shown]
	buffer_load_dword v179, off, s[0:3], 0 offset:124
	s_waitcnt vmcnt(50)
	v_fmac_f32_e32 v197, v6, v141
	v_fmac_f32_e32 v198, v8, v140
	v_fma_f32 v199, v5, v141, -v199
	v_fma_f32 v180, v7, v140, -v180
	ds_read_b128 v[5:8], v138 offset:688
	s_waitcnt vmcnt(49) lgkmcnt(3)
	v_mul_f32_e32 v200, v1, v12
	v_mul_f32_e32 v12, v2, v12
	s_waitcnt vmcnt(48)
	v_mul_f32_e32 v201, v3, v11
	v_mul_f32_e32 v11, v4, v11
	s_waitcnt vmcnt(47) lgkmcnt(2)
	v_mul_f32_e32 v202, v189, v10
	v_fmac_f32_e32 v200, v2, v9
	v_fma_f32 v203, v1, v9, -v12
	s_waitcnt vmcnt(46)
	v_mul_f32_e32 v204, v191, v139
	v_mul_f32_e32 v9, v190, v10
	;; [unrolled: 1-line block ×3, first 2 shown]
	s_waitcnt vmcnt(42)
	v_fmac_f32_e32 v201, v4, v147
	v_fma_f32 v147, v3, v147, -v11
	ds_read_b128 v[1:4], v138 offset:704
	v_fmac_f32_e32 v202, v190, v146
	v_fmac_f32_e32 v204, v192, v144
	v_fma_f32 v146, v189, v146, -v9
	v_fma_f32 v144, v191, v144, -v10
	ds_read_b128 v[9:12], v138 offset:720
	s_waitcnt vmcnt(41) lgkmcnt(3)
	v_mul_f32_e32 v189, v193, v145
	v_mul_f32_e32 v139, v194, v145
	s_waitcnt vmcnt(40)
	v_mul_f32_e32 v145, v195, v143
	v_mul_f32_e32 v140, v196, v143
	s_waitcnt vmcnt(39) lgkmcnt(2)
	v_mul_f32_e32 v143, v5, v148
	v_fmac_f32_e32 v189, v194, v142
	v_fma_f32 v190, v193, v142, -v139
	s_waitcnt vmcnt(34)
	v_fmac_f32_e32 v145, v196, v155
	v_fma_f32 v155, v195, v155, -v140
	ds_read_b128 v[139:142], v138 offset:736
	v_mul_f32_e32 v191, v7, v149
	v_mul_f32_e32 v148, v6, v148
	;; [unrolled: 1-line block ×3, first 2 shown]
	v_fmac_f32_e32 v143, v6, v154
	v_fmac_f32_e32 v191, v8, v152
	v_fma_f32 v148, v5, v154, -v148
	v_fma_f32 v149, v7, v152, -v149
	ds_read_b128 v[5:8], v138 offset:752
	s_waitcnt vmcnt(33) lgkmcnt(3)
	v_mul_f32_e32 v152, v1, v153
	v_mul_f32_e32 v153, v2, v153
	s_waitcnt vmcnt(32)
	v_mul_f32_e32 v154, v3, v151
	v_mul_f32_e32 v151, v4, v151
	s_waitcnt vmcnt(31) lgkmcnt(2)
	v_mul_f32_e32 v192, v9, v156
	v_fmac_f32_e32 v152, v2, v150
	v_fma_f32 v150, v1, v150, -v153
	s_waitcnt vmcnt(30)
	v_mul_f32_e32 v153, v11, v157
	v_mul_f32_e32 v157, v12, v157
	s_waitcnt vmcnt(26)
	v_fmac_f32_e32 v154, v4, v164
	v_fma_f32 v151, v3, v164, -v151
	ds_read_b128 v[1:4], v138 offset:768
	v_mul_f32_e32 v156, v10, v156
	v_fmac_f32_e32 v153, v12, v161
	v_fma_f32 v157, v11, v161, -v157
	s_waitcnt vmcnt(25) lgkmcnt(2)
	v_mul_f32_e32 v161, v139, v159
	v_mul_f32_e32 v159, v140, v159
	v_fmac_f32_e32 v192, v10, v163
	v_fma_f32 v156, v9, v163, -v156
	ds_read_b128 v[9:12], v138 offset:784
	v_fmac_f32_e32 v161, v140, v158
	v_fma_f32 v139, v139, v158, -v159
	s_clause 0x1
	buffer_load_dword v158, off, s[0:3], 0 offset:348
	buffer_load_dword v159, off, s[0:3], 0 offset:356
	s_waitcnt vmcnt(26)
	v_mul_f32_e32 v163, v141, v160
	v_mul_f32_e32 v160, v142, v160
	s_waitcnt vmcnt(25) lgkmcnt(2)
	v_mul_f32_e32 v164, v5, v165
	v_mul_f32_e32 v165, v6, v165
	s_waitcnt vmcnt(21)
	v_fmac_f32_e32 v163, v142, v172
	v_fma_f32 v140, v141, v172, -v160
	s_waitcnt vmcnt(20)
	v_mul_f32_e32 v141, v7, v171
	v_mul_f32_e32 v142, v8, v171
	v_fmac_f32_e32 v164, v6, v170
	v_fma_f32 v160, v5, v170, -v165
	s_clause 0x3
	buffer_load_dword v165, off, s[0:3], 0 offset:368
	buffer_load_dword v170, off, s[0:3], 0 offset:360
	;; [unrolled: 1-line block ×4, first 2 shown]
	v_fmac_f32_e32 v141, v8, v167
	v_fma_f32 v142, v7, v167, -v142
	s_waitcnt vmcnt(23) lgkmcnt(1)
	v_mul_f32_e32 v167, v1, v168
	s_waitcnt vmcnt(22)
	v_mul_f32_e32 v193, v3, v169
	v_mul_f32_e32 v5, v2, v168
	;; [unrolled: 1-line block ×3, first 2 shown]
	s_clause 0x1
	buffer_load_dword v168, off, s[0:3], 0 offset:364
	buffer_load_dword v169, off, s[0:3], 0 offset:372
	s_waitcnt vmcnt(18) lgkmcnt(0)
	v_mul_f32_e32 v196, v11, v177
	v_fmac_f32_e32 v193, v4, v178
	v_fmac_f32_e32 v167, v2, v166
	v_fma_f32 v178, v3, v178, -v6
	v_mul_f32_e32 v6, v12, v177
	v_fma_f32 v166, v1, v166, -v5
	v_mul_f32_e32 v195, v9, v176
	v_mul_f32_e32 v5, v10, v176
	v_fmac_f32_e32 v196, v12, v174
	v_fma_f32 v174, v11, v174, -v6
	v_add_f32_e32 v6, 0, v199
	v_fmac_f32_e32 v195, v10, v175
	v_fma_f32 v175, v9, v175, -v5
	v_add_f32_e32 v5, 0, v197
	buffer_load_dword v194, off, s[0:3], 0 offset:380
	v_add_f32_e32 v6, v6, v180
	ds_read_b128 v[1:4], v138 offset:800
	s_clause 0x3
	buffer_load_dword v176, off, s[0:3], 0 offset:400
	buffer_load_dword v177, off, s[0:3], 0 offset:392
	;; [unrolled: 1-line block ×4, first 2 shown]
	v_add_f32_e32 v5, v5, v198
	s_clause 0x2
	buffer_load_dword v198, off, s[0:3], 0 offset:388
	buffer_load_dword v180, off, s[0:3], 0 offset:396
	;; [unrolled: 1-line block ×3, first 2 shown]
	v_add_f32_e32 v6, v6, v203
	v_add_f32_e32 v5, v5, v200
	;; [unrolled: 1-line block ×4, first 2 shown]
	s_clause 0x2
	buffer_load_dword v200, off, s[0:3], 0 offset:412
	buffer_load_dword v201, off, s[0:3], 0 offset:420
	;; [unrolled: 1-line block ×3, first 2 shown]
	v_add_f32_e32 v6, v6, v146
	v_add_f32_e32 v5, v5, v202
	s_clause 0x2
	buffer_load_dword v202, off, s[0:3], 0 offset:436
	buffer_load_dword v206, off, s[0:3], 0 offset:444
	;; [unrolled: 1-line block ×3, first 2 shown]
	s_waitcnt vmcnt(31) lgkmcnt(0)
	v_mul_f32_e32 v147, v1, v173
	v_add_f32_e32 v6, v6, v144
	v_add_f32_e32 v5, v5, v204
	s_clause 0x2
	buffer_load_dword v204, off, s[0:3], 0 offset:460
	buffer_load_dword v208, off, s[0:3], 0 offset:468
	;; [unrolled: 1-line block ×3, first 2 shown]
	v_mul_f32_e32 v7, v2, v173
	v_add_f32_e32 v6, v6, v190
	v_add_f32_e32 v5, v5, v189
	s_clause 0x1
	buffer_load_dword v189, off, s[0:3], 0 offset:484
	buffer_load_dword v190, off, s[0:3], 0 offset:492
	v_fmac_f32_e32 v147, v2, v162
	v_add_f32_e32 v6, v6, v155
	s_clause 0x3
	buffer_load_dword v155, off, s[0:3], 0 offset:432
	buffer_load_dword v210, off, s[0:3], 0 offset:424
	;; [unrolled: 1-line block ×4, first 2 shown]
	v_add_f32_e32 v5, v5, v145
	v_add_f32_e32 v6, v6, v148
	v_fma_f32 v148, v1, v162, -v7
	v_add_f32_e32 v5, v5, v143
	v_add_f32_e32 v6, v6, v149
	;; [unrolled: 1-line block ×3, first 2 shown]
	s_clause 0x3
	buffer_load_dword v191, off, s[0:3], 0 offset:464
	buffer_load_dword v213, off, s[0:3], 0 offset:456
	;; [unrolled: 1-line block ×4, first 2 shown]
	v_add_f32_e32 v6, v6, v150
	v_add_f32_e32 v5, v5, v152
	;; [unrolled: 1-line block ×3, first 2 shown]
	s_waitcnt vmcnt(43)
	v_mul_f32_e32 v151, v3, v187
	v_add_f32_e32 v5, v5, v154
	v_add_f32_e32 v6, v6, v156
	s_waitcnt vmcnt(36)
	v_fmac_f32_e32 v151, v4, v188
	v_add_f32_e32 v5, v5, v192
	s_clause 0x3
	buffer_load_dword v192, off, s[0:3], 0 offset:488
	buffer_load_dword v216, off, s[0:3], 0 offset:480
	;; [unrolled: 1-line block ×4, first 2 shown]
	v_add_f32_e32 v6, v6, v157
	v_add_f32_e32 v5, v5, v153
	;; [unrolled: 1-line block ×4, first 2 shown]
	ds_read_b128 v[5:8], v138 offset:816
	v_add_f32_e32 v9, v1, v140
	v_mul_f32_e32 v1, v4, v187
	v_add_f32_e32 v10, v2, v163
	v_add_f32_e32 v139, v9, v160
	v_fma_f32 v152, v3, v188, -v1
	ds_read_b128 v[1:4], v138 offset:832
	v_add_f32_e32 v140, v10, v164
	ds_read_b128 v[9:12], v138 offset:848
	v_add_f32_e32 v139, v139, v142
	v_add_f32_e32 v140, v140, v141
	;; [unrolled: 1-line block ×3, first 2 shown]
	s_waitcnt lgkmcnt(2)
	v_mul_f32_e32 v142, v6, v185
	v_mul_f32_e32 v153, v5, v185
	;; [unrolled: 1-line block ×3, first 2 shown]
	v_fma_f32 v154, v5, v186, -v142
	v_add_f32_e32 v5, v140, v167
	v_fmac_f32_e32 v153, v6, v186
	v_add_f32_e32 v6, v143, v178
	ds_read_b128 v[139:142], v138 offset:864
	s_waitcnt lgkmcnt(2)
	v_mul_f32_e32 v144, v2, v183
	v_add_f32_e32 v5, v5, v193
	v_mul_f32_e32 v160, v1, v183
	v_add_f32_e32 v6, v6, v175
	v_mul_f32_e32 v143, v8, v184
	v_fma_f32 v163, v1, v181, -v144
	v_add_f32_e32 v5, v5, v195
	v_fmac_f32_e32 v160, v2, v181
	v_add_f32_e32 v1, v6, v174
	v_fma_f32 v162, v7, v182, -v143
	v_fmac_f32_e32 v157, v8, v182
	v_add_f32_e32 v2, v5, v196
	ds_read_b128 v[5:8], v138 offset:880
	ds_read_b128 v[143:146], v138 offset:896
	s_waitcnt vmcnt(38)
	v_mul_f32_e32 v161, v3, v158
	v_mul_f32_e32 v149, v4, v158
	s_waitcnt vmcnt(37) lgkmcnt(3)
	v_mul_f32_e32 v158, v9, v159
	v_mul_f32_e32 v150, v10, v159
	s_waitcnt vmcnt(34)
	v_fmac_f32_e32 v158, v10, v171
	v_add_f32_e32 v10, v1, v148
	v_fma_f32 v164, v9, v171, -v150
	v_add_f32_e32 v9, v2, v147
	s_waitcnt vmcnt(33)
	v_fma_f32 v159, v3, v172, -v149
	v_fmac_f32_e32 v161, v4, v172
	v_add_f32_e32 v10, v10, v152
	s_waitcnt vmcnt(32)
	v_mul_f32_e32 v166, v11, v168
	v_add_f32_e32 v9, v9, v151
	s_waitcnt vmcnt(31) lgkmcnt(2)
	v_mul_f32_e32 v167, v139, v169
	v_mul_f32_e32 v151, v140, v169
	v_add_f32_e32 v10, v10, v154
	v_mul_f32_e32 v152, v12, v168
	v_fmac_f32_e32 v166, v12, v170
	v_fmac_f32_e32 v167, v140, v165
	v_fma_f32 v165, v139, v165, -v151
	v_add_f32_e32 v139, v9, v153
	v_add_f32_e32 v162, v10, v162
	v_fma_f32 v170, v11, v170, -v152
	ds_read_b128 v[1:4], v138 offset:912
	ds_read_b128 v[147:150], v138 offset:928
	;; [unrolled: 1-line block ×4, first 2 shown]
	v_add_f32_e32 v157, v139, v157
	v_add_f32_e32 v162, v162, v163
	s_waitcnt vmcnt(30)
	v_mul_f32_e32 v168, v141, v194
	v_mul_f32_e32 v169, v142, v194
	v_add_f32_e32 v157, v157, v160
	v_add_f32_e32 v159, v162, v159
	s_waitcnt vmcnt(26)
	v_fmac_f32_e32 v168, v142, v205
	v_fma_f32 v142, v141, v205, -v169
	s_waitcnt vmcnt(25) lgkmcnt(5)
	v_mul_f32_e32 v163, v6, v198
	v_add_f32_e32 v157, v157, v161
	v_add_f32_e32 v159, v159, v164
	v_mul_f32_e32 v169, v5, v198
	s_waitcnt vmcnt(24)
	v_mul_f32_e32 v171, v8, v180
	v_fma_f32 v5, v5, v197, -v163
	v_add_f32_e32 v157, v157, v158
	v_add_f32_e32 v159, v159, v170
	v_mul_f32_e32 v160, v7, v180
	v_fmac_f32_e32 v169, v6, v197
	v_fma_f32 v7, v7, v177, -v171
	v_add_f32_e32 v157, v157, v166
	v_add_f32_e32 v159, v159, v165
	s_waitcnt vmcnt(23) lgkmcnt(4)
	v_mul_f32_e32 v162, v143, v199
	v_fmac_f32_e32 v160, v8, v177
	s_waitcnt vmcnt(22)
	v_mul_f32_e32 v161, v145, v200
	v_add_f32_e32 v157, v157, v167
	v_add_f32_e32 v142, v159, v142
	v_mul_f32_e32 v159, v144, v199
	v_fmac_f32_e32 v162, v144, v176
	s_waitcnt vmcnt(21) lgkmcnt(3)
	v_mul_f32_e32 v172, v1, v201
	v_add_f32_e32 v157, v157, v168
	v_add_f32_e32 v5, v142, v5
	v_mul_f32_e32 v142, v146, v200
	v_fma_f32 v143, v143, v176, -v159
	s_waitcnt vmcnt(20)
	v_mul_f32_e32 v164, v3, v203
	v_add_f32_e32 v8, v157, v169
	v_add_f32_e32 v5, v5, v7
	s_waitcnt vmcnt(8)
	v_fma_f32 v142, v145, v212, -v142
	v_fmac_f32_e32 v161, v146, v212
	v_fmac_f32_e32 v172, v2, v211
	v_add_f32_e32 v7, v8, v160
	v_mul_f32_e32 v8, v2, v201
	v_add_f32_e32 v5, v5, v143
	v_mul_f32_e32 v143, v4, v203
	s_waitcnt lgkmcnt(2)
	v_mul_f32_e32 v158, v147, v202
	v_add_f32_e32 v7, v7, v162
	v_fma_f32 v1, v1, v211, -v8
	v_add_f32_e32 v2, v5, v142
	v_fma_f32 v3, v3, v210, -v143
	v_fmac_f32_e32 v164, v4, v210
	v_add_f32_e32 v5, v7, v161
	v_mul_f32_e32 v7, v148, v202
	v_add_f32_e32 v1, v2, v1
	v_mul_f32_e32 v4, v150, v206
	v_mul_f32_e32 v173, v149, v206
	v_add_f32_e32 v2, v5, v172
	v_fma_f32 v5, v147, v155, -v7
	v_add_f32_e32 v1, v1, v3
	v_fmac_f32_e32 v158, v148, v155
	ds_read_b128 v[138:141], v138 offset:976
	v_add_f32_e32 v2, v2, v164
	s_waitcnt lgkmcnt(2)
	v_mul_f32_e32 v3, v10, v207
	s_waitcnt vmcnt(4)
	v_fma_f32 v4, v149, v215, -v4
	v_add_f32_e32 v1, v1, v5
	v_mul_f32_e32 v170, v9, v207
	v_fmac_f32_e32 v173, v150, v215
	v_add_f32_e32 v2, v2, v158
	v_mul_f32_e32 v5, v12, v204
	v_fma_f32 v3, v9, v214, -v3
	v_add_f32_e32 v1, v1, v4
	v_mul_f32_e32 v166, v11, v204
	v_fmac_f32_e32 v170, v10, v214
	v_add_f32_e32 v2, v2, v173
	s_waitcnt lgkmcnt(1)
	v_mul_f32_e32 v4, v152, v208
	v_fma_f32 v5, v11, v213, -v5
	v_add_f32_e32 v1, v1, v3
	v_mul_f32_e32 v174, v151, v208
	v_fmac_f32_e32 v166, v12, v213
	v_add_f32_e32 v2, v2, v170
	v_mul_f32_e32 v3, v154, v209
	v_fma_f32 v4, v151, v191, -v4
	v_add_f32_e32 v1, v1, v5
	v_mul_f32_e32 v165, v153, v209
	v_fmac_f32_e32 v174, v152, v191
	v_add_f32_e32 v2, v2, v166
	s_waitcnt lgkmcnt(0)
	v_mul_f32_e32 v5, v139, v189
	s_waitcnt vmcnt(1)
	v_fma_f32 v3, v153, v217, -v3
	v_add_f32_e32 v1, v1, v4
	v_mul_f32_e32 v167, v138, v189
	v_fmac_f32_e32 v165, v154, v217
	v_add_f32_e32 v2, v2, v174
	v_mul_f32_e32 v4, v141, v190
	v_fma_f32 v5, v138, v216, -v5
	v_add_f32_e32 v1, v1, v3
	v_mul_f32_e32 v6, v140, v190
	v_fmac_f32_e32 v167, v139, v216
	v_add_f32_e32 v2, v2, v165
	v_fma_f32 v3, v140, v192, -v4
	v_add_f32_e32 v1, v1, v5
	v_fmac_f32_e32 v6, v141, v192
	v_add_f32_e32 v2, v2, v167
	v_add_f32_e32 v1, v1, v3
	;; [unrolled: 1-line block ×3, first 2 shown]
	s_waitcnt vmcnt(0)
	v_sub_f32_e32 v1, v156, v1
	v_sub_f32_e32 v2, v179, v2
	buffer_store_dword v1, off, s[0:3], 0 offset:120
	buffer_store_dword v2, off, s[0:3], 0 offset:124
	v_cmpx_lt_u32_e32 14, v0
	s_cbranch_execz .LBB125_357
; %bb.356:
	s_clause 0x1
	buffer_load_dword v1, off, s[0:3], 0 offset:112
	buffer_load_dword v2, off, s[0:3], 0 offset:116
	v_mov_b32_e32 v3, 0
	buffer_store_dword v3, off, s[0:3], 0 offset:112
	buffer_store_dword v3, off, s[0:3], 0 offset:116
	s_waitcnt vmcnt(0)
	ds_write_b64 v137, v[1:2]
.LBB125_357:
	s_or_b32 exec_lo, exec_lo, s4
	s_waitcnt lgkmcnt(0)
	s_waitcnt_vscnt null, 0x0
	s_barrier
	buffer_gl0_inv
	s_clause 0x2c
	buffer_load_dword v11, off, s[0:3], 0 offset:124
	buffer_load_dword v12, off, s[0:3], 0 offset:132
	;; [unrolled: 1-line block ×45, first 2 shown]
	v_mov_b32_e32 v9, 0
	ds_read2_b64 v[5:8], v9 offset0:77 offset1:78
	ds_read2_b64 v[1:4], v9 offset0:79 offset1:80
	s_clause 0x9
	buffer_load_dword v186, off, s[0:3], 0 offset:300
	buffer_load_dword v183, off, s[0:3], 0 offset:308
	;; [unrolled: 1-line block ×10, first 2 shown]
	ds_read2_b64 v[190:193], v9 offset0:81 offset1:82
	ds_read2_b64 v[194:197], v9 offset0:83 offset1:84
	s_mov_b32 s4, exec_lo
	s_waitcnt vmcnt(54) lgkmcnt(3)
	v_mul_f32_e32 v198, v5, v11
	v_mul_f32_e32 v11, v6, v11
	s_waitcnt vmcnt(53)
	v_mul_f32_e32 v199, v7, v12
	v_mul_f32_e32 v12, v8, v12
	s_waitcnt vmcnt(52) lgkmcnt(2)
	v_mul_f32_e32 v200, v1, v138
	s_waitcnt vmcnt(49)
	v_fmac_f32_e32 v198, v6, v141
	v_fma_f32 v11, v5, v141, -v11
	s_waitcnt vmcnt(48)
	v_mul_f32_e32 v201, v3, v140
	v_mul_f32_e32 v5, v2, v138
	;; [unrolled: 1-line block ×3, first 2 shown]
	v_fmac_f32_e32 v199, v8, v139
	s_waitcnt vmcnt(43) lgkmcnt(1)
	v_mul_f32_e32 v202, v190, v148
	v_mul_f32_e32 v138, v191, v148
	v_fma_f32 v12, v7, v139, -v12
	v_fmac_f32_e32 v200, v2, v10
	v_fmac_f32_e32 v201, v4, v149
	v_fma_f32 v10, v1, v10, -v5
	v_fma_f32 v149, v3, v149, -v6
	ds_read2_b64 v[1:4], v9 offset0:85 offset1:86
	ds_read2_b64 v[5:8], v9 offset0:87 offset1:88
	s_waitcnt vmcnt(42)
	v_mul_f32_e32 v148, v192, v147
	v_mul_f32_e32 v139, v193, v147
	s_waitcnt vmcnt(41) lgkmcnt(2)
	v_mul_f32_e32 v147, v194, v145
	v_fmac_f32_e32 v202, v191, v144
	v_fma_f32 v190, v190, v144, -v138
	s_waitcnt vmcnt(40)
	v_mul_f32_e32 v191, v196, v146
	v_mul_f32_e32 v138, v195, v145
	;; [unrolled: 1-line block ×3, first 2 shown]
	v_fmac_f32_e32 v148, v193, v143
	v_fma_f32 v146, v192, v143, -v139
	v_fmac_f32_e32 v147, v195, v142
	s_waitcnt vmcnt(36)
	v_fmac_f32_e32 v191, v197, v157
	v_fma_f32 v192, v194, v142, -v138
	v_fma_f32 v157, v196, v157, -v140
	ds_read2_b64 v[138:141], v9 offset0:89 offset1:90
	ds_read2_b64 v[142:145], v9 offset0:91 offset1:92
	s_waitcnt vmcnt(35) lgkmcnt(3)
	v_mul_f32_e32 v193, v1, v155
	s_waitcnt vmcnt(34)
	v_mul_f32_e32 v194, v3, v156
	v_mul_f32_e32 v155, v2, v155
	;; [unrolled: 1-line block ×3, first 2 shown]
	s_waitcnt vmcnt(33) lgkmcnt(2)
	v_mul_f32_e32 v195, v5, v154
	v_mul_f32_e32 v154, v6, v154
	v_fmac_f32_e32 v193, v2, v152
	v_fmac_f32_e32 v194, v4, v151
	v_fma_f32 v152, v1, v152, -v155
	v_fma_f32 v151, v3, v151, -v156
	s_clause 0x1
	buffer_load_dword v155, off, s[0:3], 0 offset:340
	buffer_load_dword v156, off, s[0:3], 0 offset:348
	s_waitcnt vmcnt(34)
	v_mul_f32_e32 v196, v7, v153
	v_mul_f32_e32 v153, v8, v153
	v_fmac_f32_e32 v195, v6, v150
	v_fma_f32 v150, v5, v150, -v154
	ds_read2_b64 v[1:4], v9 offset0:93 offset1:94
	s_waitcnt vmcnt(29) lgkmcnt(2)
	v_mul_f32_e32 v154, v138, v165
	v_mul_f32_e32 v5, v139, v165
	s_waitcnt vmcnt(28)
	v_mul_f32_e32 v6, v141, v166
	v_fmac_f32_e32 v196, v8, v168
	v_fma_f32 v153, v7, v168, -v153
	v_fmac_f32_e32 v154, v139, v160
	v_fma_f32 v138, v138, v160, -v5
	v_fma_f32 v139, v140, v159, -v6
	ds_read2_b64 v[5:8], v9 offset0:95 offset1:96
	v_mul_f32_e32 v168, v140, v166
	s_waitcnt vmcnt(27) lgkmcnt(2)
	v_mul_f32_e32 v165, v142, v162
	s_waitcnt vmcnt(26)
	v_mul_f32_e32 v166, v144, v163
	v_mul_f32_e32 v162, v143, v162
	;; [unrolled: 1-line block ×3, first 2 shown]
	v_fmac_f32_e32 v168, v141, v159
	v_fmac_f32_e32 v165, v143, v158
	s_waitcnt vmcnt(22)
	v_fmac_f32_e32 v166, v145, v181
	v_fma_f32 v140, v142, v158, -v162
	v_fma_f32 v141, v144, v181, -v163
	s_clause 0x5
	buffer_load_dword v158, off, s[0:3], 0 offset:356
	buffer_load_dword v159, off, s[0:3], 0 offset:364
	buffer_load_dword v160, off, s[0:3], 0 offset:360
	buffer_load_dword v162, off, s[0:3], 0 offset:352
	buffer_load_dword v163, off, s[0:3], 0 offset:344
	buffer_load_dword v181, off, s[0:3], 0 offset:336
	s_waitcnt vmcnt(27) lgkmcnt(1)
	v_mul_f32_e32 v142, v1, v176
	s_waitcnt vmcnt(26)
	v_mul_f32_e32 v143, v3, v177
	v_mul_f32_e32 v144, v2, v176
	;; [unrolled: 1-line block ×3, first 2 shown]
	v_add_f32_e32 v177, 0, v198
	v_fmac_f32_e32 v142, v2, v174
	v_fmac_f32_e32 v143, v4, v170
	v_fma_f32 v144, v1, v174, -v144
	v_fma_f32 v145, v3, v170, -v145
	ds_read2_b64 v[1:4], v9 offset0:97 offset1:98
	s_waitcnt vmcnt(25) lgkmcnt(1)
	v_mul_f32_e32 v170, v5, v171
	v_mul_f32_e32 v171, v6, v171
	buffer_load_dword v176, off, s[0:3], 0 offset:372
	s_waitcnt vmcnt(25)
	v_mul_f32_e32 v174, v7, v172
	v_mul_f32_e32 v172, v8, v172
	v_fmac_f32_e32 v170, v6, v169
	v_add_f32_e32 v6, 0, v11
	v_add_f32_e32 v11, v177, v199
	v_fma_f32 v169, v5, v169, -v171
	s_waitcnt vmcnt(21)
	v_fmac_f32_e32 v174, v8, v188
	v_fma_f32 v171, v7, v188, -v172
	v_add_f32_e32 v5, v6, v12
	v_add_f32_e32 v11, v11, v200
	s_clause 0x4
	buffer_load_dword v12, off, s[0:3], 0 offset:392
	buffer_load_dword v172, off, s[0:3], 0 offset:384
	;; [unrolled: 1-line block ×5, first 2 shown]
	v_add_f32_e32 v10, v5, v10
	v_add_f32_e32 v11, v11, v201
	ds_read2_b64 v[5:8], v9 offset0:99 offset1:100
	s_waitcnt vmcnt(25) lgkmcnt(1)
	v_mul_f32_e32 v198, v1, v187
	v_mul_f32_e32 v187, v2, v187
	v_add_f32_e32 v10, v10, v149
	v_add_f32_e32 v11, v11, v202
	s_clause 0x1
	buffer_load_dword v199, off, s[0:3], 0 offset:388
	buffer_load_dword v200, off, s[0:3], 0 offset:396
	v_fmac_f32_e32 v198, v2, v184
	v_fma_f32 v149, v1, v184, -v187
	v_add_f32_e32 v1, v10, v190
	v_add_f32_e32 v2, v11, v148
	buffer_load_dword v201, off, s[0:3], 0 offset:404
	s_waitcnt vmcnt(27)
	v_mul_f32_e32 v184, v3, v182
	v_mul_f32_e32 v10, v4, v182
	v_add_f32_e32 v1, v1, v146
	v_add_f32_e32 v2, v2, v147
	s_clause 0x2
	buffer_load_dword v187, off, s[0:3], 0 offset:412
	buffer_load_dword v190, off, s[0:3], 0 offset:420
	;; [unrolled: 1-line block ×3, first 2 shown]
	v_fmac_f32_e32 v184, v4, v178
	v_fma_f32 v10, v3, v178, -v10
	v_add_f32_e32 v2, v2, v191
	s_clause 0x1
	buffer_load_dword v178, off, s[0:3], 0 offset:436
	buffer_load_dword v202, off, s[0:3], 0 offset:444
	v_add_f32_e32 v1, v1, v192
	s_clause 0x2
	buffer_load_dword v191, off, s[0:3], 0 offset:452
	buffer_load_dword v192, off, s[0:3], 0 offset:460
	;; [unrolled: 1-line block ×3, first 2 shown]
	s_waitcnt vmcnt(34) lgkmcnt(0)
	v_mul_f32_e32 v11, v5, v186
	v_add_f32_e32 v2, v2, v193
	s_clause 0x2
	buffer_load_dword v193, off, s[0:3], 0 offset:476
	buffer_load_dword v204, off, s[0:3], 0 offset:484
	;; [unrolled: 1-line block ×3, first 2 shown]
	v_add_f32_e32 v1, v1, v157
	v_mul_f32_e32 v3, v6, v186
	v_fmac_f32_e32 v11, v6, v161
	v_add_f32_e32 v2, v2, v194
	s_clause 0x3
	buffer_load_dword v194, off, s[0:3], 0 offset:424
	buffer_load_dword v206, off, s[0:3], 0 offset:416
	;; [unrolled: 1-line block ×4, first 2 shown]
	v_add_f32_e32 v1, v1, v152
	v_fma_f32 v146, v5, v161, -v3
	v_add_f32_e32 v2, v2, v195
	v_add_f32_e32 v1, v1, v151
	;; [unrolled: 1-line block ×3, first 2 shown]
	s_clause 0x3
	buffer_load_dword v195, off, s[0:3], 0 offset:456
	buffer_load_dword v196, off, s[0:3], 0 offset:448
	;; [unrolled: 1-line block ×4, first 2 shown]
	v_add_f32_e32 v1, v1, v150
	s_waitcnt vmcnt(44)
	v_mul_f32_e32 v150, v7, v183
	v_add_f32_e32 v2, v2, v154
	v_add_f32_e32 v1, v1, v153
	s_waitcnt vmcnt(37)
	v_fmac_f32_e32 v150, v8, v185
	v_add_f32_e32 v2, v2, v168
	s_clause 0x4
	buffer_load_dword v168, off, s[0:3], 0 offset:488
	buffer_load_dword v211, off, s[0:3], 0 offset:480
	;; [unrolled: 1-line block ×5, first 2 shown]
	v_add_f32_e32 v1, v1, v138
	v_add_f32_e32 v2, v2, v165
	;; [unrolled: 1-line block ×6, first 2 shown]
	v_mul_f32_e32 v5, v8, v183
	v_add_f32_e32 v6, v1, v141
	ds_read2_b64 v[1:4], v9 offset0:101 offset1:102
	v_add_f32_e32 v142, v138, v143
	v_fma_f32 v151, v7, v185, -v5
	v_add_f32_e32 v139, v6, v144
	ds_read2_b64 v[5:8], v9 offset0:103 offset1:104
	v_add_f32_e32 v142, v142, v170
	v_add_f32_e32 v143, v139, v145
	ds_read2_b64 v[138:141], v9 offset0:105 offset1:106
	v_add_f32_e32 v147, v142, v174
	v_add_f32_e32 v143, v143, v169
	s_waitcnt lgkmcnt(2)
	v_mul_f32_e32 v144, v2, v179
	v_mul_f32_e32 v154, v1, v179
	;; [unrolled: 1-line block ×3, first 2 shown]
	v_fma_f32 v157, v1, v180, -v144
	v_add_f32_e32 v1, v143, v171
	v_fmac_f32_e32 v154, v2, v180
	v_add_f32_e32 v2, v147, v198
	s_waitcnt lgkmcnt(1)
	v_mul_f32_e32 v165, v5, v173
	v_mul_f32_e32 v148, v6, v173
	v_add_f32_e32 v1, v1, v149
	ds_read2_b64 v[142:145], v9 offset0:107 offset1:108
	v_add_f32_e32 v2, v2, v184
	v_fmac_f32_e32 v165, v6, v164
	v_fma_f32 v164, v5, v164, -v148
	v_add_f32_e32 v1, v1, v10
	v_mul_f32_e32 v147, v4, v175
	v_add_f32_e32 v5, v2, v11
	v_fmac_f32_e32 v161, v4, v167
	v_add_f32_e32 v6, v1, v146
	v_fma_f32 v10, v3, v167, -v147
	ds_read2_b64 v[1:4], v9 offset0:109 offset1:110
	ds_read2_b64 v[146:149], v9 offset0:111 offset1:112
	s_waitcnt vmcnt(40)
	v_mul_f32_e32 v152, v8, v155
	s_waitcnt vmcnt(39) lgkmcnt(3)
	v_mul_f32_e32 v169, v138, v156
	v_mul_f32_e32 v11, v139, v156
	;; [unrolled: 1-line block ×3, first 2 shown]
	s_waitcnt vmcnt(38)
	v_mul_f32_e32 v170, v140, v158
	s_waitcnt vmcnt(34)
	v_fmac_f32_e32 v169, v139, v163
	v_fma_f32 v163, v138, v163, -v11
	v_add_f32_e32 v11, v6, v151
	v_add_f32_e32 v139, v5, v150
	s_waitcnt vmcnt(33)
	v_fma_f32 v167, v7, v181, -v152
	v_fmac_f32_e32 v166, v8, v181
	v_fmac_f32_e32 v170, v141, v162
	v_add_f32_e32 v11, v11, v157
	v_add_f32_e32 v138, v139, v154
	v_mul_f32_e32 v139, v141, v158
	s_waitcnt lgkmcnt(2)
	v_mul_f32_e32 v158, v142, v159
	v_mul_f32_e32 v154, v143, v159
	v_add_f32_e32 v10, v11, v10
	v_add_f32_e32 v138, v138, v161
	v_fma_f32 v162, v140, v162, -v139
	s_waitcnt vmcnt(32)
	v_mul_f32_e32 v159, v145, v176
	v_fmac_f32_e32 v158, v143, v160
	v_add_f32_e32 v164, v10, v164
	v_add_f32_e32 v165, v138, v165
	v_fma_f32 v160, v142, v160, -v154
	v_mul_f32_e32 v161, v144, v176
	ds_read2_b64 v[5:8], v9 offset0:113 offset1:114
	ds_read2_b64 v[150:153], v9 offset0:115 offset1:116
	v_add_f32_e32 v164, v164, v167
	v_add_f32_e32 v165, v165, v166
	s_waitcnt vmcnt(28)
	v_fma_f32 v159, v144, v188, -v159
	s_waitcnt vmcnt(27) lgkmcnt(3)
	v_mul_f32_e32 v171, v2, v197
	v_fmac_f32_e32 v161, v145, v188
	v_add_f32_e32 v163, v164, v163
	v_add_f32_e32 v165, v165, v169
	v_mul_f32_e32 v166, v1, v197
	v_fma_f32 v1, v1, v177, -v171
	ds_read2_b64 v[138:141], v9 offset0:117 offset1:118
	ds_read2_b64 v[154:157], v9 offset0:119 offset1:120
	v_add_f32_e32 v162, v163, v162
	v_add_f32_e32 v165, v165, v170
	s_waitcnt vmcnt(26)
	v_mul_f32_e32 v173, v4, v199
	v_mul_f32_e32 v167, v3, v199
	v_fmac_f32_e32 v166, v2, v177
	v_add_f32_e32 v160, v162, v160
	v_add_f32_e32 v158, v165, v158
	s_waitcnt vmcnt(25) lgkmcnt(4)
	v_mul_f32_e32 v169, v146, v200
	v_mul_f32_e32 v171, v147, v200
	v_fma_f32 v3, v3, v172, -v173
	v_add_f32_e32 v159, v160, v159
	v_add_f32_e32 v158, v158, v161
	v_fmac_f32_e32 v167, v4, v172
	s_waitcnt vmcnt(24)
	v_mul_f32_e32 v160, v149, v201
	v_fmac_f32_e32 v169, v147, v12
	v_add_f32_e32 v1, v159, v1
	v_add_f32_e32 v158, v158, v166
	v_fma_f32 v12, v146, v12, -v171
	v_mul_f32_e32 v164, v148, v201
	s_waitcnt vmcnt(23) lgkmcnt(3)
	v_mul_f32_e32 v146, v6, v187
	v_add_f32_e32 v1, v1, v3
	v_add_f32_e32 v3, v158, v167
	v_mul_f32_e32 v2, v5, v187
	s_waitcnt vmcnt(22)
	v_mul_f32_e32 v170, v7, v190
	s_waitcnt vmcnt(21) lgkmcnt(2)
	v_mul_f32_e32 v163, v150, v182
	v_add_f32_e32 v1, v1, v12
	v_add_f32_e32 v3, v3, v169
	v_mul_f32_e32 v12, v8, v190
	s_waitcnt vmcnt(9)
	v_fma_f32 v147, v148, v208, -v160
	v_fmac_f32_e32 v164, v149, v208
	v_fma_f32 v5, v5, v207, -v146
	v_fmac_f32_e32 v2, v6, v207
	v_mul_f32_e32 v6, v151, v182
	v_add_f32_e32 v1, v1, v147
	v_add_f32_e32 v3, v3, v164
	v_fma_f32 v7, v7, v206, -v12
	v_fmac_f32_e32 v170, v8, v206
	v_mul_f32_e32 v4, v152, v178
	v_add_f32_e32 v1, v1, v5
	v_add_f32_e32 v2, v3, v2
	v_mul_f32_e32 v3, v153, v178
	v_fma_f32 v5, v150, v194, -v6
	v_fmac_f32_e32 v163, v151, v194
	v_add_f32_e32 v1, v1, v7
	v_add_f32_e32 v2, v2, v170
	s_waitcnt lgkmcnt(1)
	v_mul_f32_e32 v6, v139, v202
	s_waitcnt vmcnt(5)
	v_fma_f32 v3, v152, v210, -v3
	ds_read2_b64 v[142:145], v9 offset0:121 offset1:122
	ds_read_b64 v[10:11], v9 offset:984
	v_add_f32_e32 v1, v1, v5
	v_mul_f32_e32 v172, v138, v202
	v_fmac_f32_e32 v4, v153, v210
	v_add_f32_e32 v2, v2, v163
	v_mul_f32_e32 v5, v141, v191
	v_fma_f32 v6, v138, v209, -v6
	v_add_f32_e32 v1, v1, v3
	v_mul_f32_e32 v162, v140, v191
	v_fmac_f32_e32 v172, v139, v209
	v_add_f32_e32 v2, v2, v4
	s_waitcnt lgkmcnt(2)
	v_mul_f32_e32 v3, v155, v192
	v_fma_f32 v4, v140, v196, -v5
	v_add_f32_e32 v1, v1, v6
	v_mul_f32_e32 v165, v154, v192
	v_fmac_f32_e32 v162, v141, v196
	v_add_f32_e32 v2, v2, v172
	v_mul_f32_e32 v5, v157, v203
	v_fma_f32 v3, v154, v195, -v3
	v_add_f32_e32 v1, v1, v4
	v_mul_f32_e32 v173, v156, v203
	v_fmac_f32_e32 v165, v155, v195
	v_add_f32_e32 v2, v2, v162
	s_waitcnt lgkmcnt(1)
	v_mul_f32_e32 v4, v143, v193
	s_waitcnt vmcnt(1)
	v_fma_f32 v5, v156, v213, -v5
	v_add_f32_e32 v1, v1, v3
	v_mul_f32_e32 v161, v142, v193
	v_fmac_f32_e32 v173, v157, v213
	v_add_f32_e32 v2, v2, v165
	v_mul_f32_e32 v3, v145, v204
	v_fma_f32 v4, v142, v212, -v4
	v_add_f32_e32 v1, v1, v5
	v_mul_f32_e32 v174, v144, v204
	v_fmac_f32_e32 v161, v143, v212
	v_add_f32_e32 v2, v2, v173
	s_waitcnt lgkmcnt(0)
	v_mul_f32_e32 v5, v11, v205
	v_fma_f32 v3, v144, v211, -v3
	v_add_f32_e32 v1, v1, v4
	v_mul_f32_e32 v159, v10, v205
	v_fmac_f32_e32 v174, v145, v211
	v_add_f32_e32 v2, v2, v161
	v_fma_f32 v4, v10, v168, -v5
	v_add_f32_e32 v1, v1, v3
	v_fmac_f32_e32 v159, v11, v168
	v_add_f32_e32 v2, v2, v174
	v_add_f32_e32 v1, v1, v4
	;; [unrolled: 1-line block ×3, first 2 shown]
	s_waitcnt vmcnt(0)
	v_sub_f32_e32 v1, v214, v1
	v_sub_f32_e32 v2, v189, v2
	buffer_store_dword v1, off, s[0:3], 0 offset:112
	buffer_store_dword v2, off, s[0:3], 0 offset:116
	v_cmpx_lt_u32_e32 13, v0
	s_cbranch_execz .LBB125_359
; %bb.358:
	s_clause 0x1
	buffer_load_dword v1, off, s[0:3], 0 offset:104
	buffer_load_dword v2, off, s[0:3], 0 offset:108
	buffer_store_dword v9, off, s[0:3], 0 offset:104
	buffer_store_dword v9, off, s[0:3], 0 offset:108
	s_waitcnt vmcnt(0)
	ds_write_b64 v137, v[1:2]
.LBB125_359:
	s_or_b32 exec_lo, exec_lo, s4
	s_waitcnt lgkmcnt(0)
	s_waitcnt_vscnt null, 0x0
	s_barrier
	buffer_gl0_inv
	s_clause 0x33
	buffer_load_dword v172, off, s[0:3], 0 offset:116
	buffer_load_dword v173, off, s[0:3], 0 offset:124
	;; [unrolled: 1-line block ×52, first 2 shown]
	ds_read_b128 v[181:184], v9 offset:608
	ds_read_b128 v[185:188], v9 offset:624
	ds_read_b128 v[189:192], v9 offset:640
	s_clause 0x1
	buffer_load_dword v178, off, s[0:3], 0 offset:308
	buffer_load_dword v179, off, s[0:3], 0 offset:316
	ds_read_b128 v[193:196], v9 offset:656
	s_mov_b32 s4, exec_lo
	s_waitcnt vmcnt(53) lgkmcnt(3)
	v_mul_f32_e32 v197, v181, v172
	v_mul_f32_e32 v198, v182, v172
	s_waitcnt vmcnt(52)
	v_mul_f32_e32 v199, v183, v173
	v_mul_f32_e32 v173, v184, v173
	buffer_load_dword v172, off, s[0:3], 0 offset:108
	s_waitcnt vmcnt(50)
	v_fmac_f32_e32 v197, v182, v7
	v_fma_f32 v198, v181, v7, -v198
	v_fmac_f32_e32 v199, v184, v5
	v_fma_f32 v173, v183, v5, -v173
	ds_read_b128 v[181:184], v9 offset:672
	s_waitcnt vmcnt(49) lgkmcnt(3)
	v_mul_f32_e32 v200, v185, v2
	s_waitcnt vmcnt(48)
	v_mul_f32_e32 v201, v187, v3
	v_mul_f32_e32 v2, v186, v2
	;; [unrolled: 1-line block ×3, first 2 shown]
	s_waitcnt vmcnt(47) lgkmcnt(2)
	v_mul_f32_e32 v202, v189, v6
	v_mul_f32_e32 v5, v190, v6
	v_fmac_f32_e32 v200, v186, v1
	v_fma_f32 v203, v185, v1, -v2
	s_waitcnt vmcnt(46)
	v_mul_f32_e32 v204, v191, v4
	v_mul_f32_e32 v6, v192, v4
	s_waitcnt vmcnt(42)
	v_fma_f32 v205, v187, v139, -v3
	ds_read_b128 v[1:4], v9 offset:688
	v_fmac_f32_e32 v201, v188, v139
	v_fmac_f32_e32 v202, v190, v138
	v_fma_f32 v189, v189, v138, -v5
	v_fmac_f32_e32 v204, v192, v11
	v_fma_f32 v11, v191, v11, -v6
	ds_read_b128 v[185:188], v9 offset:704
	s_waitcnt vmcnt(41) lgkmcnt(3)
	v_mul_f32_e32 v190, v193, v12
	v_mul_f32_e32 v5, v194, v12
	s_waitcnt vmcnt(40)
	v_mul_f32_e32 v12, v195, v10
	v_mul_f32_e32 v6, v196, v10
	s_waitcnt vmcnt(39) lgkmcnt(2)
	v_mul_f32_e32 v10, v181, v140
	v_fmac_f32_e32 v190, v194, v8
	v_fma_f32 v191, v193, v8, -v5
	v_mul_f32_e32 v138, v182, v140
	s_waitcnt vmcnt(38)
	v_mul_f32_e32 v139, v184, v141
	s_waitcnt vmcnt(34)
	v_fmac_f32_e32 v12, v196, v147
	v_fma_f32 v147, v195, v147, -v6
	ds_read_b128 v[5:8], v9 offset:720
	v_mul_f32_e32 v192, v183, v141
	v_fmac_f32_e32 v10, v182, v146
	v_fma_f32 v146, v181, v146, -v138
	v_fma_f32 v181, v183, v144, -v139
	ds_read_b128 v[138:141], v9 offset:736
	v_fmac_f32_e32 v192, v184, v144
	s_waitcnt vmcnt(33) lgkmcnt(3)
	v_mul_f32_e32 v182, v1, v145
	v_mul_f32_e32 v144, v2, v145
	s_waitcnt vmcnt(32)
	v_mul_f32_e32 v183, v3, v143
	v_mul_f32_e32 v143, v4, v143
	s_waitcnt vmcnt(31) lgkmcnt(2)
	v_mul_f32_e32 v184, v185, v148
	v_fmac_f32_e32 v182, v2, v142
	v_fma_f32 v193, v1, v142, -v144
	v_mul_f32_e32 v142, v186, v148
	s_waitcnt vmcnt(30)
	v_mul_f32_e32 v194, v187, v149
	v_mul_f32_e32 v144, v188, v149
	s_waitcnt vmcnt(26)
	v_fmac_f32_e32 v183, v4, v155
	v_fma_f32 v148, v3, v155, -v143
	ds_read_b128 v[1:4], v9 offset:752
	v_fmac_f32_e32 v184, v186, v154
	v_fma_f32 v149, v185, v154, -v142
	s_waitcnt vmcnt(25) lgkmcnt(2)
	v_mul_f32_e32 v154, v5, v153
	v_fmac_f32_e32 v194, v188, v152
	v_fma_f32 v152, v187, v152, -v144
	ds_read_b128 v[142:145], v9 offset:768
	v_mul_f32_e32 v153, v6, v153
	s_waitcnt vmcnt(24)
	v_mul_f32_e32 v155, v7, v151
	v_mul_f32_e32 v151, v8, v151
	s_waitcnt vmcnt(23) lgkmcnt(2)
	v_mul_f32_e32 v185, v138, v156
	v_fmac_f32_e32 v154, v6, v150
	v_mul_f32_e32 v6, v139, v156
	v_fma_f32 v5, v5, v150, -v153
	s_waitcnt vmcnt(22)
	v_mul_f32_e32 v150, v140, v157
	v_mul_f32_e32 v153, v141, v157
	s_waitcnt vmcnt(18)
	v_fmac_f32_e32 v155, v8, v164
	v_fma_f32 v7, v7, v164, -v151
	v_fmac_f32_e32 v185, v139, v163
	v_fma_f32 v6, v138, v163, -v6
	s_clause 0x5
	buffer_load_dword v151, off, s[0:3], 0 offset:332
	buffer_load_dword v156, off, s[0:3], 0 offset:336
	;; [unrolled: 1-line block ×6, first 2 shown]
	v_fma_f32 v138, v140, v159, -v153
	s_waitcnt vmcnt(23) lgkmcnt(1)
	v_mul_f32_e32 v139, v1, v160
	s_waitcnt vmcnt(22)
	v_mul_f32_e32 v153, v3, v161
	v_mul_f32_e32 v8, v2, v160
	v_mul_f32_e32 v140, v4, v161
	v_fmac_f32_e32 v150, v141, v159
	v_fmac_f32_e32 v139, v2, v158
	s_waitcnt vmcnt(18)
	v_fmac_f32_e32 v153, v4, v171
	v_fma_f32 v141, v1, v158, -v8
	v_fma_f32 v158, v3, v171, -v140
	s_waitcnt vmcnt(17) lgkmcnt(0)
	v_mul_f32_e32 v171, v142, v169
	v_mul_f32_e32 v8, v143, v169
	s_clause 0x1
	buffer_load_dword v159, off, s[0:3], 0 offset:348
	buffer_load_dword v160, off, s[0:3], 0 offset:356
	ds_read_b128 v[1:4], v9 offset:784
	buffer_load_dword v161, off, s[0:3], 0 offset:364
	s_waitcnt vmcnt(19)
	v_mul_f32_e32 v187, v144, v170
	v_mul_f32_e32 v140, v145, v170
	v_fmac_f32_e32 v171, v143, v168
	v_fma_f32 v142, v142, v168, -v8
	s_clause 0x5
	buffer_load_dword v168, off, s[0:3], 0 offset:384
	buffer_load_dword v169, off, s[0:3], 0 offset:376
	;; [unrolled: 1-line block ×6, first 2 shown]
	v_fmac_f32_e32 v187, v145, v167
	v_fma_f32 v167, v144, v167, -v140
	v_add_f32_e32 v8, 0, v197
	v_add_f32_e32 v140, 0, v198
	v_add_f32_e32 v8, v8, v199
	v_add_f32_e32 v140, v140, v173
	buffer_load_dword v173, off, s[0:3], 0 offset:388
	s_waitcnt vmcnt(25) lgkmcnt(0)
	v_mul_f32_e32 v143, v2, v166
	v_add_f32_e32 v8, v8, v200
	v_add_f32_e32 v140, v140, v203
	s_waitcnt vmcnt(24)
	v_mul_f32_e32 v144, v4, v165
	s_clause 0x3
	buffer_load_dword v197, off, s[0:3], 0 offset:396
	buffer_load_dword v198, off, s[0:3], 0 offset:404
	;; [unrolled: 1-line block ×4, first 2 shown]
	v_add_f32_e32 v8, v8, v201
	v_add_f32_e32 v140, v140, v205
	v_mul_f32_e32 v201, v1, v166
	v_mul_f32_e32 v166, v3, v165
	v_add_f32_e32 v8, v8, v202
	v_add_f32_e32 v140, v140, v189
	v_fmac_f32_e32 v201, v2, v162
	v_fma_f32 v162, v1, v162, -v143
	s_clause 0x3
	buffer_load_dword v165, off, s[0:3], 0 offset:428
	buffer_load_dword v189, off, s[0:3], 0 offset:436
	;; [unrolled: 1-line block ×4, first 2 shown]
	v_add_f32_e32 v1, v8, v204
	v_add_f32_e32 v2, v140, v11
	s_waitcnt vmcnt(27)
	v_fmac_f32_e32 v166, v4, v180
	v_fma_f32 v11, v3, v180, -v144
	s_clause 0x1
	buffer_load_dword v180, off, s[0:3], 0 offset:460
	buffer_load_dword v204, off, s[0:3], 0 offset:468
	v_add_f32_e32 v1, v1, v190
	v_add_f32_e32 v2, v2, v191
	s_clause 0x6
	buffer_load_dword v190, off, s[0:3], 0 offset:476
	buffer_load_dword v191, off, s[0:3], 0 offset:484
	;; [unrolled: 1-line block ×7, first 2 shown]
	v_add_f32_e32 v1, v1, v12
	v_add_f32_e32 v2, v2, v147
	;; [unrolled: 1-line block ×6, first 2 shown]
	s_clause 0x3
	buffer_load_dword v181, off, s[0:3], 0 offset:448
	buffer_load_dword v192, off, s[0:3], 0 offset:440
	;; [unrolled: 1-line block ×4, first 2 shown]
	v_add_f32_e32 v1, v1, v182
	v_add_f32_e32 v2, v2, v193
	;; [unrolled: 1-line block ×3, first 2 shown]
	s_clause 0x4
	buffer_load_dword v182, off, s[0:3], 0 offset:480
	buffer_load_dword v183, off, s[0:3], 0 offset:472
	;; [unrolled: 1-line block ×5, first 2 shown]
	v_add_f32_e32 v2, v2, v148
	v_add_f32_e32 v1, v1, v184
	buffer_load_dword v184, off, s[0:3], 0 offset:488
	v_add_f32_e32 v2, v2, v149
	v_add_f32_e32 v1, v1, v194
	;; [unrolled: 1-line block ×5, first 2 shown]
	ds_read_b128 v[1:4], v9 offset:800
	v_add_f32_e32 v5, v5, v7
	v_add_f32_e32 v7, v8, v155
	;; [unrolled: 1-line block ×4, first 2 shown]
	ds_read_b128 v[5:8], v9 offset:816
	v_add_f32_e32 v10, v10, v138
	v_add_f32_e32 v12, v12, v150
	;; [unrolled: 1-line block ×4, first 2 shown]
	s_waitcnt vmcnt(44) lgkmcnt(1)
	v_mul_f32_e32 v154, v3, v179
	v_mul_f32_e32 v140, v4, v179
	;; [unrolled: 1-line block ×3, first 2 shown]
	v_add_f32_e32 v10, v10, v158
	v_add_f32_e32 v12, v12, v153
	v_mul_f32_e32 v138, v2, v178
	v_fmac_f32_e32 v154, v4, v176
	v_fma_f32 v155, v3, v176, -v140
	v_add_f32_e32 v10, v10, v142
	v_add_f32_e32 v12, v12, v171
	s_waitcnt lgkmcnt(0)
	v_mul_f32_e32 v158, v5, v175
	v_mul_f32_e32 v143, v6, v175
	v_fmac_f32_e32 v152, v2, v177
	v_fma_f32 v150, v1, v177, -v138
	ds_read_b128 v[1:4], v9 offset:832
	ds_read_b128 v[138:141], v9 offset:848
	v_add_f32_e32 v10, v10, v167
	v_fmac_f32_e32 v158, v6, v174
	v_fma_f32 v174, v5, v174, -v143
	v_add_f32_e32 v12, v12, v187
	v_add_f32_e32 v10, v10, v162
	;; [unrolled: 1-line block ×9, first 2 shown]
	s_waitcnt vmcnt(42)
	v_mul_f32_e32 v176, v7, v151
	v_mul_f32_e32 v144, v8, v151
	s_waitcnt vmcnt(40) lgkmcnt(1)
	v_mul_f32_e32 v167, v1, v157
	v_mul_f32_e32 v146, v2, v157
	s_waitcnt vmcnt(37)
	v_fmac_f32_e32 v176, v8, v186
	v_fma_f32 v175, v7, v186, -v144
	ds_read_b128 v[5:8], v9 offset:864
	ds_read_b128 v[142:145], v9 offset:880
	v_fmac_f32_e32 v167, v2, v156
	v_fma_f32 v156, v1, v156, -v146
	s_waitcnt vmcnt(36)
	v_mul_f32_e32 v157, v3, v159
	v_mul_f32_e32 v147, v4, v159
	s_waitcnt vmcnt(35) lgkmcnt(2)
	v_mul_f32_e32 v159, v138, v160
	v_mul_f32_e32 v151, v139, v160
	s_waitcnt vmcnt(34)
	v_mul_f32_e32 v12, v141, v161
	v_mul_f32_e32 v162, v140, v161
	v_fmac_f32_e32 v157, v4, v164
	v_fmac_f32_e32 v159, v139, v163
	v_fma_f32 v161, v138, v163, -v151
	s_waitcnt vmcnt(29) lgkmcnt(1)
	v_mul_f32_e32 v155, v5, v195
	v_fma_f32 v163, v140, v188, -v12
	v_mul_f32_e32 v12, v6, v195
	v_fma_f32 v160, v3, v164, -v147
	s_waitcnt vmcnt(28)
	v_mul_f32_e32 v154, v7, v196
	v_fmac_f32_e32 v155, v6, v170
	v_add_f32_e32 v6, v10, v174
	v_mul_f32_e32 v164, v8, v196
	v_add_f32_e32 v10, v11, v158
	v_fmac_f32_e32 v154, v8, v169
	ds_read_b128 v[1:4], v9 offset:896
	ds_read_b128 v[146:149], v9 offset:912
	v_add_f32_e32 v166, v6, v175
	v_fma_f32 v164, v7, v169, -v164
	v_add_f32_e32 v169, v10, v176
	v_fmac_f32_e32 v162, v141, v188
	v_fma_f32 v158, v5, v170, -v12
	v_add_f32_e32 v156, v166, v156
	s_waitcnt vmcnt(27) lgkmcnt(2)
	v_mul_f32_e32 v166, v143, v173
	v_add_f32_e32 v167, v169, v167
	v_mul_f32_e32 v170, v142, v173
	s_waitcnt vmcnt(26)
	v_mul_f32_e32 v171, v145, v197
	v_add_f32_e32 v156, v156, v160
	v_fma_f32 v142, v142, v168, -v166
	v_add_f32_e32 v157, v167, v157
	v_mul_f32_e32 v169, v144, v197
	v_fmac_f32_e32 v170, v143, v168
	v_add_f32_e32 v156, v156, v161
	ds_read_b128 v[138:141], v9 offset:928
	ds_read_b128 v[150:153], v9 offset:944
	v_add_f32_e32 v157, v157, v159
	s_waitcnt vmcnt(25) lgkmcnt(3)
	v_mul_f32_e32 v160, v1, v198
	s_waitcnt vmcnt(24)
	v_mul_f32_e32 v167, v3, v199
	v_add_f32_e32 v156, v156, v163
	s_waitcnt vmcnt(23) lgkmcnt(2)
	v_mul_f32_e32 v173, v146, v200
	v_add_f32_e32 v157, v157, v162
	s_waitcnt vmcnt(22)
	v_mul_f32_e32 v161, v148, v165
	s_waitcnt vmcnt(12)
	v_fmac_f32_e32 v167, v4, v207
	v_add_f32_e32 v156, v156, v158
	s_waitcnt vmcnt(10)
	v_fma_f32 v144, v144, v209, -v171
	v_add_f32_e32 v155, v157, v155
	v_fmac_f32_e32 v169, v145, v209
	v_fmac_f32_e32 v160, v2, v208
	v_add_f32_e32 v156, v156, v164
	v_fmac_f32_e32 v173, v147, v206
	v_add_f32_e32 v154, v155, v154
	v_mul_f32_e32 v155, v2, v198
	ds_read_b128 v[5:8], v9 offset:960
	ds_read_b128 v[9:12], v9 offset:976
	v_add_f32_e32 v142, v156, v142
	s_waitcnt lgkmcnt(3)
	v_mul_f32_e32 v159, v138, v189
	v_add_f32_e32 v145, v154, v170
	v_mul_f32_e32 v154, v4, v199
	v_fma_f32 v1, v1, v208, -v155
	v_add_f32_e32 v2, v142, v144
	v_mul_f32_e32 v144, v147, v200
	v_add_f32_e32 v142, v145, v169
	v_fma_f32 v3, v3, v207, -v154
	v_mul_f32_e32 v4, v149, v165
	v_add_f32_e32 v1, v2, v1
	s_waitcnt vmcnt(6)
	v_fmac_f32_e32 v161, v149, v211
	v_add_f32_e32 v2, v142, v160
	v_fma_f32 v142, v146, v206, -v144
	v_fma_f32 v4, v148, v211, -v4
	v_add_f32_e32 v1, v1, v3
	v_mul_f32_e32 v3, v139, v189
	v_add_f32_e32 v2, v2, v167
	v_mul_f32_e32 v174, v140, v202
	v_fmac_f32_e32 v159, v139, v210
	v_add_f32_e32 v1, v1, v142
	v_mul_f32_e32 v142, v141, v202
	v_add_f32_e32 v2, v2, v173
	v_fma_f32 v3, v138, v210, -v3
	s_waitcnt lgkmcnt(2)
	v_mul_f32_e32 v163, v150, v203
	v_add_f32_e32 v1, v1, v4
	v_mul_f32_e32 v4, v151, v203
	v_add_f32_e32 v2, v2, v161
	v_fma_f32 v138, v140, v192, -v142
	v_fmac_f32_e32 v174, v141, v192
	v_add_f32_e32 v1, v1, v3
	v_mul_f32_e32 v3, v153, v180
	v_add_f32_e32 v2, v2, v159
	v_fma_f32 v4, v150, v181, -v4
	v_mul_f32_e32 v162, v152, v180
	v_add_f32_e32 v1, v1, v138
	v_fmac_f32_e32 v163, v151, v181
	v_add_f32_e32 v2, v2, v174
	s_waitcnt lgkmcnt(1)
	v_mul_f32_e32 v138, v6, v204
	s_waitcnt vmcnt(2)
	v_fma_f32 v3, v152, v212, -v3
	v_add_f32_e32 v1, v1, v4
	v_mul_f32_e32 v175, v5, v204
	v_fmac_f32_e32 v162, v153, v212
	v_add_f32_e32 v2, v2, v163
	v_mul_f32_e32 v4, v8, v190
	v_fma_f32 v5, v5, v193, -v138
	v_add_f32_e32 v1, v1, v3
	v_mul_f32_e32 v158, v7, v190
	v_fmac_f32_e32 v175, v6, v193
	v_add_f32_e32 v2, v2, v162
	s_waitcnt lgkmcnt(0)
	v_mul_f32_e32 v3, v10, v191
	v_fma_f32 v4, v7, v183, -v4
	v_add_f32_e32 v1, v1, v5
	v_mul_f32_e32 v157, v9, v191
	v_fmac_f32_e32 v158, v8, v183
	v_add_f32_e32 v2, v2, v175
	v_mul_f32_e32 v5, v12, v205
	v_fma_f32 v3, v9, v182, -v3
	v_add_f32_e32 v1, v1, v4
	v_mul_f32_e32 v143, v11, v205
	v_fmac_f32_e32 v157, v10, v182
	v_add_f32_e32 v2, v2, v158
	s_waitcnt vmcnt(0)
	v_fma_f32 v4, v11, v184, -v5
	v_add_f32_e32 v1, v1, v3
	v_fmac_f32_e32 v143, v12, v184
	v_add_f32_e32 v2, v2, v157
	v_add_f32_e32 v1, v1, v4
	;; [unrolled: 1-line block ×3, first 2 shown]
	v_sub_f32_e32 v1, v213, v1
	v_sub_f32_e32 v2, v172, v2
	buffer_store_dword v1, off, s[0:3], 0 offset:104
	buffer_store_dword v2, off, s[0:3], 0 offset:108
	v_cmpx_lt_u32_e32 12, v0
	s_cbranch_execz .LBB125_361
; %bb.360:
	s_clause 0x1
	buffer_load_dword v1, off, s[0:3], 0 offset:96
	buffer_load_dword v2, off, s[0:3], 0 offset:100
	v_mov_b32_e32 v3, 0
	buffer_store_dword v3, off, s[0:3], 0 offset:96
	buffer_store_dword v3, off, s[0:3], 0 offset:100
	s_waitcnt vmcnt(0)
	ds_write_b64 v137, v[1:2]
.LBB125_361:
	s_or_b32 exec_lo, exec_lo, s4
	s_waitcnt lgkmcnt(0)
	s_waitcnt_vscnt null, 0x0
	s_barrier
	buffer_gl0_inv
	s_clause 0x33
	buffer_load_dword v11, off, s[0:3], 0 offset:108
	buffer_load_dword v12, off, s[0:3], 0 offset:116
	;; [unrolled: 1-line block ×52, first 2 shown]
	v_mov_b32_e32 v9, 0
	ds_read2_b64 v[5:8], v9 offset0:75 offset1:76
	ds_read2_b64 v[1:4], v9 offset0:77 offset1:78
	;; [unrolled: 1-line block ×3, first 2 shown]
	s_clause 0x2
	buffer_load_dword v187, off, s[0:3], 0 offset:300
	buffer_load_dword v188, off, s[0:3], 0 offset:308
	;; [unrolled: 1-line block ×3, first 2 shown]
	ds_read2_b64 v[194:197], v9 offset0:81 offset1:82
	s_mov_b32 s4, exec_lo
	s_waitcnt vmcnt(54) lgkmcnt(3)
	v_mul_f32_e32 v198, v5, v11
	s_waitcnt vmcnt(53)
	v_mul_f32_e32 v199, v7, v12
	v_mul_f32_e32 v11, v6, v11
	;; [unrolled: 1-line block ×3, first 2 shown]
	s_waitcnt vmcnt(50)
	v_fmac_f32_e32 v198, v6, v143
	v_fmac_f32_e32 v199, v8, v141
	v_fma_f32 v11, v5, v143, -v11
	v_fma_f32 v12, v7, v141, -v12
	ds_read2_b64 v[5:8], v9 offset0:83 offset1:84
	s_waitcnt vmcnt(49) lgkmcnt(3)
	v_mul_f32_e32 v200, v1, v138
	s_waitcnt vmcnt(48)
	v_mul_f32_e32 v201, v3, v139
	v_mul_f32_e32 v138, v2, v138
	v_mul_f32_e32 v139, v4, v139
	s_waitcnt vmcnt(47) lgkmcnt(2)
	v_mul_f32_e32 v202, v190, v142
	v_mul_f32_e32 v141, v191, v142
	v_fmac_f32_e32 v200, v2, v10
	v_fma_f32 v10, v1, v10, -v138
	s_waitcnt vmcnt(46)
	v_mul_f32_e32 v203, v192, v140
	v_mul_f32_e32 v138, v193, v140
	s_waitcnt vmcnt(42)
	v_fmac_f32_e32 v201, v4, v149
	v_fma_f32 v149, v3, v149, -v139
	ds_read2_b64 v[1:4], v9 offset0:85 offset1:86
	v_fmac_f32_e32 v202, v191, v148
	v_fma_f32 v148, v190, v148, -v141
	v_fmac_f32_e32 v203, v193, v146
	v_fma_f32 v146, v192, v146, -v138
	ds_read2_b64 v[138:141], v9 offset0:87 offset1:88
	s_waitcnt vmcnt(41) lgkmcnt(3)
	v_mul_f32_e32 v190, v194, v147
	v_mul_f32_e32 v142, v195, v147
	s_waitcnt vmcnt(40)
	v_mul_f32_e32 v147, v196, v145
	v_mul_f32_e32 v143, v197, v145
	s_waitcnt vmcnt(39) lgkmcnt(2)
	v_mul_f32_e32 v191, v5, v150
	v_fmac_f32_e32 v190, v195, v144
	v_fma_f32 v192, v194, v144, -v142
	s_waitcnt vmcnt(38)
	v_mul_f32_e32 v193, v7, v151
	v_mul_f32_e32 v150, v6, v150
	;; [unrolled: 1-line block ×3, first 2 shown]
	s_waitcnt vmcnt(34)
	v_fmac_f32_e32 v147, v197, v157
	v_fma_f32 v157, v196, v157, -v143
	ds_read2_b64 v[142:145], v9 offset0:89 offset1:90
	v_fmac_f32_e32 v191, v6, v156
	v_fmac_f32_e32 v193, v8, v154
	v_fma_f32 v150, v5, v156, -v150
	v_fma_f32 v151, v7, v154, -v151
	ds_read2_b64 v[5:8], v9 offset0:91 offset1:92
	s_waitcnt vmcnt(33) lgkmcnt(3)
	v_mul_f32_e32 v154, v1, v155
	v_mul_f32_e32 v155, v2, v155
	s_waitcnt vmcnt(32)
	v_mul_f32_e32 v156, v3, v153
	v_mul_f32_e32 v153, v4, v153
	s_waitcnt vmcnt(31) lgkmcnt(2)
	v_mul_f32_e32 v194, v138, v158
	v_fmac_f32_e32 v154, v2, v152
	v_fma_f32 v152, v1, v152, -v155
	s_waitcnt vmcnt(30)
	v_mul_f32_e32 v155, v140, v159
	v_mul_f32_e32 v159, v141, v159
	;; [unrolled: 1-line block ×3, first 2 shown]
	s_waitcnt vmcnt(26)
	v_fmac_f32_e32 v156, v4, v166
	v_fma_f32 v153, v3, v166, -v153
	v_fmac_f32_e32 v155, v141, v163
	v_fma_f32 v159, v140, v163, -v159
	s_waitcnt vmcnt(25) lgkmcnt(1)
	v_mul_f32_e32 v163, v142, v164
	v_mul_f32_e32 v164, v143, v164
	ds_read2_b64 v[1:4], v9 offset0:93 offset1:94
	v_fmac_f32_e32 v194, v139, v165
	v_fma_f32 v158, v138, v165, -v158
	s_waitcnt vmcnt(24)
	v_mul_f32_e32 v165, v144, v162
	v_mul_f32_e32 v162, v145, v162
	s_waitcnt vmcnt(23) lgkmcnt(1)
	v_mul_f32_e32 v166, v5, v167
	v_fmac_f32_e32 v163, v143, v160
	v_fma_f32 v142, v142, v160, -v164
	v_mul_f32_e32 v160, v6, v167
	ds_read2_b64 v[138:141], v9 offset0:95 offset1:96
	s_waitcnt vmcnt(22)
	v_mul_f32_e32 v143, v7, v169
	v_mul_f32_e32 v164, v8, v169
	s_waitcnt vmcnt(18)
	v_fmac_f32_e32 v165, v145, v177
	v_fma_f32 v144, v144, v177, -v162
	v_fmac_f32_e32 v166, v6, v176
	v_fma_f32 v5, v5, v176, -v160
	s_clause 0x5
	buffer_load_dword v145, off, s[0:3], 0 offset:324
	buffer_load_dword v160, off, s[0:3], 0 offset:328
	;; [unrolled: 1-line block ×6, first 2 shown]
	v_fmac_f32_e32 v143, v8, v175
	v_fma_f32 v6, v7, v175, -v164
	s_clause 0x1
	buffer_load_dword v164, off, s[0:3], 0 offset:340
	buffer_load_dword v175, off, s[0:3], 0 offset:348
	s_waitcnt vmcnt(25) lgkmcnt(1)
	v_mul_f32_e32 v177, v1, v173
	s_waitcnt vmcnt(24)
	v_mul_f32_e32 v195, v3, v174
	v_mul_f32_e32 v7, v2, v173
	v_mul_f32_e32 v8, v4, v174
	buffer_load_dword v173, off, s[0:3], 0 offset:356
	v_fmac_f32_e32 v177, v2, v171
	s_waitcnt vmcnt(21)
	v_fmac_f32_e32 v195, v4, v185
	v_fma_f32 v171, v1, v171, -v7
	v_fma_f32 v174, v3, v185, -v8
	ds_read2_b64 v[1:4], v9 offset0:97 offset1:98
	s_waitcnt vmcnt(20) lgkmcnt(1)
	v_mul_f32_e32 v185, v138, v183
	s_waitcnt vmcnt(19)
	v_mul_f32_e32 v196, v140, v184
	v_mul_f32_e32 v7, v139, v183
	;; [unrolled: 1-line block ×3, first 2 shown]
	s_clause 0x4
	buffer_load_dword v183, off, s[0:3], 0 offset:376
	buffer_load_dword v184, off, s[0:3], 0 offset:368
	;; [unrolled: 1-line block ×5, first 2 shown]
	v_fmac_f32_e32 v185, v139, v182
	v_fmac_f32_e32 v196, v141, v181
	v_fma_f32 v182, v138, v182, -v7
	v_add_f32_e32 v7, 0, v198
	v_fma_f32 v181, v140, v181, -v8
	buffer_load_dword v198, off, s[0:3], 0 offset:372
	v_add_f32_e32 v8, 0, v11
	v_add_f32_e32 v7, v7, v199
	buffer_load_dword v199, off, s[0:3], 0 offset:380
	v_add_f32_e32 v8, v8, v12
	v_add_f32_e32 v7, v7, v200
	s_waitcnt vmcnt(25) lgkmcnt(0)
	v_mul_f32_e32 v11, v1, v180
	v_mul_f32_e32 v12, v2, v180
	s_waitcnt vmcnt(24)
	v_mul_f32_e32 v180, v3, v179
	v_mul_f32_e32 v138, v4, v179
	v_fmac_f32_e32 v11, v2, v178
	v_add_f32_e32 v2, v7, v201
	v_fma_f32 v12, v1, v178, -v12
	s_clause 0x2
	buffer_load_dword v178, off, s[0:3], 0 offset:388
	buffer_load_dword v179, off, s[0:3], 0 offset:396
	;; [unrolled: 1-line block ×3, first 2 shown]
	v_add_f32_e32 v1, v8, v10
	buffer_load_dword v201, off, s[0:3], 0 offset:420
	v_add_f32_e32 v2, v2, v202
	s_waitcnt vmcnt(23)
	v_fmac_f32_e32 v180, v4, v186
	v_fma_f32 v10, v3, v186, -v138
	s_clause 0x5
	buffer_load_dword v186, off, s[0:3], 0 offset:412
	buffer_load_dword v202, off, s[0:3], 0 offset:408
	;; [unrolled: 1-line block ×6, first 2 shown]
	v_add_f32_e32 v1, v1, v149
	v_add_f32_e32 v2, v2, v203
	s_clause 0x1
	buffer_load_dword v203, off, s[0:3], 0 offset:436
	buffer_load_dword v210, off, s[0:3], 0 offset:444
	v_add_f32_e32 v1, v1, v148
	v_add_f32_e32 v2, v2, v190
	;; [unrolled: 1-line block ×6, first 2 shown]
	s_clause 0x5
	buffer_load_dword v190, off, s[0:3], 0 offset:452
	buffer_load_dword v192, off, s[0:3], 0 offset:460
	;; [unrolled: 1-line block ×6, first 2 shown]
	v_add_f32_e32 v2, v2, v193
	s_clause 0x3
	buffer_load_dword v193, off, s[0:3], 0 offset:440
	buffer_load_dword v214, off, s[0:3], 0 offset:432
	;; [unrolled: 1-line block ×4, first 2 shown]
	v_add_f32_e32 v1, v1, v157
	v_add_f32_e32 v2, v2, v154
	;; [unrolled: 1-line block ×6, first 2 shown]
	s_clause 0x3
	buffer_load_dword v194, off, s[0:3], 0 offset:472
	buffer_load_dword v217, off, s[0:3], 0 offset:464
	;; [unrolled: 1-line block ×4, first 2 shown]
	v_add_f32_e32 v1, v1, v152
	v_add_f32_e32 v2, v2, v155
	;; [unrolled: 1-line block ×5, first 2 shown]
	s_clause 0x1
	buffer_load_dword v158, off, s[0:3], 0 offset:488
	buffer_load_dword v220, off, s[0:3], 0 offset:480
	v_add_f32_e32 v7, v2, v165
	v_add_f32_e32 v1, v1, v159
	buffer_load_dword v159, off, s[0:3], 0 offset:96
	v_add_f32_e32 v7, v7, v166
	v_add_f32_e32 v1, v1, v142
	;; [unrolled: 1-line block ×4, first 2 shown]
	ds_read2_b64 v[1:4], v9 offset0:99 offset1:100
	v_add_f32_e32 v138, v138, v177
	v_add_f32_e32 v5, v8, v5
	;; [unrolled: 1-line block ×4, first 2 shown]
	ds_read2_b64 v[5:8], v9 offset0:101 offset1:102
	v_add_f32_e32 v142, v142, v185
	v_add_f32_e32 v139, v139, v171
	;; [unrolled: 1-line block ×4, first 2 shown]
	s_waitcnt vmcnt(47) lgkmcnt(1)
	v_mul_f32_e32 v146, v1, v187
	s_waitcnt vmcnt(46)
	v_mul_f32_e32 v150, v3, v188
	v_mul_f32_e32 v140, v2, v187
	;; [unrolled: 1-line block ×3, first 2 shown]
	v_add_f32_e32 v143, v143, v182
	v_fmac_f32_e32 v146, v2, v172
	v_fmac_f32_e32 v150, v4, v170
	v_fma_f32 v147, v1, v172, -v140
	v_fma_f32 v151, v3, v170, -v141
	v_add_f32_e32 v149, v143, v181
	ds_read2_b64 v[1:4], v9 offset0:103 offset1:104
	ds_read2_b64 v[138:141], v9 offset0:105 offset1:106
	s_waitcnt lgkmcnt(2)
	v_mul_f32_e32 v154, v5, v168
	v_mul_f32_e32 v144, v6, v168
	v_add_f32_e32 v12, v149, v12
	v_add_f32_e32 v11, v148, v11
	v_fmac_f32_e32 v154, v6, v161
	v_fma_f32 v156, v5, v161, -v144
	v_add_f32_e32 v10, v12, v10
	v_add_f32_e32 v11, v11, v180
	;; [unrolled: 1-line block ×8, first 2 shown]
	s_waitcnt vmcnt(44)
	v_mul_f32_e32 v155, v7, v145
	v_mul_f32_e32 v145, v8, v145
	s_waitcnt vmcnt(42) lgkmcnt(1)
	v_mul_f32_e32 v161, v1, v162
	v_mul_f32_e32 v148, v2, v162
	s_waitcnt vmcnt(39)
	v_fmac_f32_e32 v155, v8, v176
	v_fma_f32 v157, v7, v176, -v145
	ds_read2_b64 v[5:8], v9 offset0:107 offset1:108
	ds_read2_b64 v[142:145], v9 offset0:109 offset1:110
	s_waitcnt vmcnt(37) lgkmcnt(2)
	v_mul_f32_e32 v163, v138, v175
	v_mul_f32_e32 v152, v139, v175
	v_mul_f32_e32 v149, v4, v164
	v_fmac_f32_e32 v161, v2, v160
	v_fma_f32 v160, v1, v160, -v148
	v_fmac_f32_e32 v163, v139, v167
	v_fma_f32 v165, v138, v167, -v152
	v_add_f32_e32 v10, v10, v157
	v_mul_f32_e32 v162, v3, v164
	v_fma_f32 v164, v3, v169, -v149
	s_waitcnt vmcnt(36)
	v_mul_f32_e32 v153, v141, v173
	v_mul_f32_e32 v12, v140, v173
	v_add_f32_e32 v160, v10, v160
	v_fmac_f32_e32 v162, v4, v169
	ds_read2_b64 v[1:4], v9 offset0:111 offset1:112
	ds_read2_b64 v[146:149], v9 offset0:113 offset1:114
	s_waitcnt vmcnt(32)
	v_fma_f32 v166, v140, v204, -v153
	v_fmac_f32_e32 v12, v141, v204
	v_add_f32_e32 v160, v160, v164
	s_waitcnt vmcnt(31) lgkmcnt(3)
	v_mul_f32_e32 v167, v5, v205
	v_mul_f32_e32 v154, v6, v205
	ds_read2_b64 v[138:141], v9 offset0:115 offset1:116
	ds_read2_b64 v[150:153], v9 offset0:117 offset1:118
	s_waitcnt vmcnt(30)
	v_mul_f32_e32 v156, v8, v198
	v_add_f32_e32 v160, v160, v165
	v_fmac_f32_e32 v167, v6, v197
	v_add_f32_e32 v6, v11, v155
	v_fma_f32 v169, v5, v197, -v154
	v_mul_f32_e32 v168, v7, v198
	v_add_f32_e32 v160, v160, v166
	v_fma_f32 v170, v7, v184, -v156
	v_add_f32_e32 v161, v6, v161
	s_waitcnt vmcnt(29) lgkmcnt(4)
	v_mul_f32_e32 v171, v143, v199
	v_fmac_f32_e32 v168, v8, v184
	v_add_f32_e32 v160, v160, v169
	ds_read2_b64 v[5:8], v9 offset0:119 offset1:120
	ds_read2_b64 v[154:157], v9 offset0:121 offset1:122
	ds_read_b64 v[10:11], v9 offset:984
	v_add_f32_e32 v161, v161, v162
	v_mul_f32_e32 v162, v142, v199
	s_waitcnt vmcnt(28)
	v_mul_f32_e32 v172, v145, v178
	v_fma_f32 v142, v142, v183, -v171
	v_add_f32_e32 v160, v160, v170
	v_add_f32_e32 v161, v161, v163
	v_mul_f32_e32 v164, v144, v178
	v_fmac_f32_e32 v162, v143, v183
	s_waitcnt vmcnt(27) lgkmcnt(6)
	v_mul_f32_e32 v163, v1, v179
	v_mul_f32_e32 v171, v2, v179
	v_add_f32_e32 v12, v161, v12
	s_waitcnt vmcnt(20)
	v_fma_f32 v144, v144, v208, -v172
	v_add_f32_e32 v142, v160, v142
	v_fmac_f32_e32 v164, v145, v208
	v_fmac_f32_e32 v163, v2, v207
	v_add_f32_e32 v12, v12, v167
	v_fma_f32 v1, v1, v207, -v171
	v_add_f32_e32 v2, v142, v144
	v_mul_f32_e32 v165, v3, v200
	s_waitcnt lgkmcnt(5)
	v_mul_f32_e32 v142, v147, v186
	v_add_f32_e32 v12, v12, v168
	v_mul_f32_e32 v168, v4, v200
	v_add_f32_e32 v1, v2, v1
	v_mul_f32_e32 v143, v146, v186
	v_fmac_f32_e32 v165, v4, v206
	v_add_f32_e32 v12, v12, v162
	v_fma_f32 v3, v3, v206, -v168
	v_mul_f32_e32 v4, v149, v201
	v_mul_f32_e32 v161, v148, v201
	v_fmac_f32_e32 v143, v147, v202
	v_add_f32_e32 v12, v12, v164
	v_add_f32_e32 v1, v1, v3
	s_waitcnt vmcnt(19) lgkmcnt(4)
	v_mul_f32_e32 v3, v139, v209
	s_waitcnt vmcnt(7)
	v_fma_f32 v4, v148, v216, -v4
	v_mul_f32_e32 v166, v138, v209
	v_add_f32_e32 v2, v12, v163
	v_fma_f32 v12, v146, v202, -v142
	v_fmac_f32_e32 v161, v149, v216
	v_fma_f32 v3, v138, v215, -v3
	v_mul_f32_e32 v145, v140, v203
	v_add_f32_e32 v2, v2, v165
	v_add_f32_e32 v1, v1, v12
	v_mul_f32_e32 v12, v141, v203
	v_fmac_f32_e32 v166, v139, v215
	s_waitcnt lgkmcnt(3)
	v_mul_f32_e32 v172, v150, v210
	v_add_f32_e32 v2, v2, v143
	v_add_f32_e32 v1, v1, v4
	v_mul_f32_e32 v4, v151, v210
	v_fma_f32 v12, v140, v214, -v12
	v_fmac_f32_e32 v145, v141, v214
	v_add_f32_e32 v2, v2, v161
	v_add_f32_e32 v1, v1, v3
	v_mul_f32_e32 v3, v153, v190
	v_fma_f32 v4, v150, v193, -v4
	v_mul_f32_e32 v167, v152, v190
	v_add_f32_e32 v2, v2, v166
	v_add_f32_e32 v1, v1, v12
	v_fmac_f32_e32 v172, v151, v193
	s_waitcnt lgkmcnt(2)
	v_mul_f32_e32 v12, v6, v192
	s_waitcnt vmcnt(3)
	v_fma_f32 v3, v152, v219, -v3
	v_add_f32_e32 v2, v2, v145
	v_add_f32_e32 v1, v1, v4
	v_mul_f32_e32 v169, v5, v192
	v_fmac_f32_e32 v167, v153, v219
	v_mul_f32_e32 v4, v8, v211
	v_add_f32_e32 v2, v2, v172
	v_fma_f32 v5, v5, v218, -v12
	v_add_f32_e32 v1, v1, v3
	v_mul_f32_e32 v173, v7, v211
	v_fmac_f32_e32 v169, v6, v218
	v_add_f32_e32 v2, v2, v167
	s_waitcnt lgkmcnt(1)
	v_mul_f32_e32 v3, v155, v212
	v_fma_f32 v4, v7, v217, -v4
	v_add_f32_e32 v1, v1, v5
	v_mul_f32_e32 v170, v154, v212
	v_fmac_f32_e32 v173, v8, v217
	v_add_f32_e32 v2, v2, v169
	v_mul_f32_e32 v5, v157, v213
	v_fma_f32 v3, v154, v194, -v3
	v_add_f32_e32 v1, v1, v4
	v_mul_f32_e32 v174, v156, v213
	v_fmac_f32_e32 v170, v155, v194
	v_add_f32_e32 v2, v2, v173
	s_waitcnt lgkmcnt(0)
	v_mul_f32_e32 v4, v11, v191
	s_waitcnt vmcnt(1)
	v_fma_f32 v5, v156, v220, -v5
	v_add_f32_e32 v1, v1, v3
	v_mul_f32_e32 v160, v10, v191
	v_fmac_f32_e32 v174, v157, v220
	v_add_f32_e32 v2, v2, v170
	v_fma_f32 v3, v10, v158, -v4
	v_add_f32_e32 v1, v1, v5
	v_fmac_f32_e32 v160, v11, v158
	v_add_f32_e32 v2, v2, v174
	v_add_f32_e32 v1, v1, v3
	;; [unrolled: 1-line block ×3, first 2 shown]
	s_waitcnt vmcnt(0)
	v_sub_f32_e32 v1, v159, v1
	v_sub_f32_e32 v2, v189, v2
	buffer_store_dword v1, off, s[0:3], 0 offset:96
	buffer_store_dword v2, off, s[0:3], 0 offset:100
	v_cmpx_lt_u32_e32 11, v0
	s_cbranch_execz .LBB125_363
; %bb.362:
	s_clause 0x1
	buffer_load_dword v1, off, s[0:3], 0 offset:88
	buffer_load_dword v2, off, s[0:3], 0 offset:92
	buffer_store_dword v9, off, s[0:3], 0 offset:88
	buffer_store_dword v9, off, s[0:3], 0 offset:92
	s_waitcnt vmcnt(0)
	ds_write_b64 v137, v[1:2]
.LBB125_363:
	s_or_b32 exec_lo, exec_lo, s4
	s_waitcnt lgkmcnt(0)
	s_waitcnt_vscnt null, 0x0
	s_barrier
	buffer_gl0_inv
	s_clause 0x35
	buffer_load_dword v1, off, s[0:3], 0 offset:100
	buffer_load_dword v3, off, s[0:3], 0 offset:108
	;; [unrolled: 1-line block ×54, first 2 shown]
	ds_read_b128 v[182:185], v9 offset:592
	ds_read_b128 v[186:189], v9 offset:608
	ds_read_b128 v[190:193], v9 offset:624
	ds_read_b128 v[194:197], v9 offset:640
	buffer_load_dword v176, off, s[0:3], 0 offset:92
	s_mov_b32 s4, exec_lo
	s_waitcnt vmcnt(54) lgkmcnt(3)
	v_mul_f32_e32 v198, v182, v1
	v_mul_f32_e32 v1, v183, v1
	s_waitcnt vmcnt(53)
	v_mul_f32_e32 v199, v184, v3
	v_mul_f32_e32 v3, v185, v3
	s_waitcnt vmcnt(52) lgkmcnt(2)
	v_mul_f32_e32 v200, v186, v5
	v_mul_f32_e32 v5, v187, v5
	s_waitcnt vmcnt(49)
	v_fma_f32 v201, v182, v7, -v1
	s_waitcnt vmcnt(48)
	v_mul_f32_e32 v1, v189, v6
	v_fmac_f32_e32 v198, v183, v7
	v_fmac_f32_e32 v199, v185, v4
	v_fma_f32 v203, v184, v4, -v3
	v_fmac_f32_e32 v200, v187, v2
	v_fma_f32 v186, v186, v2, -v5
	s_waitcnt vmcnt(44)
	v_fma_f32 v187, v188, v141, -v1
	ds_read_b128 v[1:4], v9 offset:656
	ds_read_b128 v[182:185], v9 offset:672
	v_mul_f32_e32 v202, v188, v6
	s_waitcnt vmcnt(43) lgkmcnt(3)
	v_mul_f32_e32 v188, v190, v140
	v_mul_f32_e32 v5, v191, v140
	s_waitcnt vmcnt(42)
	v_mul_f32_e32 v6, v193, v139
	s_waitcnt vmcnt(41) lgkmcnt(2)
	v_mul_f32_e32 v204, v194, v12
	v_fmac_f32_e32 v202, v189, v141
	v_mul_f32_e32 v189, v192, v139
	v_fmac_f32_e32 v188, v191, v11
	v_fma_f32 v11, v190, v11, -v5
	s_waitcnt vmcnt(40)
	v_mul_f32_e32 v190, v196, v138
	v_mul_f32_e32 v5, v195, v12
	;; [unrolled: 1-line block ×3, first 2 shown]
	v_fmac_f32_e32 v189, v193, v10
	v_fma_f32 v10, v192, v10, -v6
	v_fmac_f32_e32 v204, v195, v8
	s_waitcnt vmcnt(36)
	v_fmac_f32_e32 v190, v197, v149
	v_fma_f32 v12, v194, v8, -v5
	v_fma_f32 v149, v196, v149, -v7
	ds_read_b128 v[5:8], v9 offset:688
	ds_read_b128 v[138:141], v9 offset:704
	s_waitcnt vmcnt(35) lgkmcnt(3)
	v_mul_f32_e32 v191, v1, v148
	v_mul_f32_e32 v148, v2, v148
	s_waitcnt vmcnt(34)
	v_mul_f32_e32 v192, v3, v147
	v_mul_f32_e32 v147, v4, v147
	s_waitcnt vmcnt(33) lgkmcnt(2)
	v_mul_f32_e32 v193, v182, v145
	v_fmac_f32_e32 v191, v2, v144
	v_fma_f32 v148, v1, v144, -v148
	s_waitcnt vmcnt(32)
	v_mul_f32_e32 v194, v184, v146
	v_mul_f32_e32 v1, v183, v145
	;; [unrolled: 1-line block ×3, first 2 shown]
	v_fmac_f32_e32 v192, v4, v143
	v_fma_f32 v146, v3, v143, -v147
	v_fmac_f32_e32 v193, v183, v142
	s_waitcnt vmcnt(28)
	v_fmac_f32_e32 v194, v185, v156
	v_fma_f32 v147, v182, v142, -v1
	v_fma_f32 v156, v184, v156, -v2
	ds_read_b128 v[1:4], v9 offset:720
	ds_read_b128 v[142:145], v9 offset:736
	s_waitcnt vmcnt(27) lgkmcnt(3)
	v_mul_f32_e32 v182, v5, v155
	v_mul_f32_e32 v155, v6, v155
	s_waitcnt vmcnt(26)
	v_mul_f32_e32 v183, v7, v154
	v_mul_f32_e32 v154, v8, v154
	s_waitcnt vmcnt(25) lgkmcnt(2)
	v_mul_f32_e32 v184, v138, v153
	v_mul_f32_e32 v153, v139, v153
	v_fmac_f32_e32 v182, v6, v152
	v_fma_f32 v152, v5, v152, -v155
	s_waitcnt vmcnt(24)
	v_mul_f32_e32 v155, v140, v157
	v_mul_f32_e32 v5, v141, v157
	v_fmac_f32_e32 v183, v8, v151
	v_fma_f32 v151, v7, v151, -v154
	v_fmac_f32_e32 v184, v139, v150
	v_fma_f32 v150, v138, v150, -v153
	s_waitcnt vmcnt(20)
	v_fmac_f32_e32 v155, v141, v164
	v_fma_f32 v153, v140, v164, -v5
	ds_read_b128 v[5:8], v9 offset:752
	ds_read_b128 v[138:141], v9 offset:768
	s_waitcnt vmcnt(19) lgkmcnt(3)
	v_mul_f32_e32 v157, v2, v163
	v_mul_f32_e32 v154, v1, v163
	s_waitcnt vmcnt(18)
	v_mul_f32_e32 v163, v3, v162
	v_mul_f32_e32 v162, v4, v162
	s_waitcnt vmcnt(17) lgkmcnt(2)
	v_mul_f32_e32 v164, v142, v161
	v_fma_f32 v157, v1, v160, -v157
	s_waitcnt vmcnt(16)
	v_mul_f32_e32 v1, v145, v165
	v_mul_f32_e32 v161, v143, v161
	v_fmac_f32_e32 v154, v2, v160
	v_mul_f32_e32 v160, v144, v165
	v_fmac_f32_e32 v163, v4, v159
	v_fma_f32 v159, v3, v159, -v162
	s_clause 0x4
	buffer_load_dword v162, off, s[0:3], 0 offset:316
	buffer_load_dword v165, off, s[0:3], 0 offset:336
	;; [unrolled: 1-line block ×5, first 2 shown]
	v_fmac_f32_e32 v164, v143, v158
	s_waitcnt vmcnt(17)
	v_fma_f32 v143, v144, v173, -v1
	ds_read_b128 v[1:4], v9 offset:784
	v_fmac_f32_e32 v160, v145, v173
	v_fma_f32 v142, v142, v158, -v161
	s_waitcnt vmcnt(16) lgkmcnt(2)
	v_mul_f32_e32 v144, v5, v171
	v_mul_f32_e32 v145, v6, v171
	s_waitcnt vmcnt(15)
	v_mul_f32_e32 v158, v7, v170
	v_mul_f32_e32 v161, v8, v170
	buffer_load_dword v170, off, s[0:3], 0 offset:332
	v_fmac_f32_e32 v144, v6, v169
	v_fma_f32 v145, v5, v169, -v145
	buffer_load_dword v169, off, s[0:3], 0 offset:324
	v_fmac_f32_e32 v158, v8, v167
	v_fma_f32 v161, v7, v167, -v161
	s_waitcnt vmcnt(16) lgkmcnt(1)
	v_mul_f32_e32 v167, v138, v168
	v_mul_f32_e32 v5, v139, v168
	s_waitcnt vmcnt(15)
	v_mul_f32_e32 v6, v141, v172
	v_mul_f32_e32 v168, v140, v172
	v_fmac_f32_e32 v167, v139, v166
	v_fma_f32 v166, v138, v166, -v5
	s_waitcnt vmcnt(10)
	v_fma_f32 v171, v140, v181, -v6
	ds_read_b128 v[5:8], v9 offset:800
	s_waitcnt vmcnt(9) lgkmcnt(1)
	v_mul_f32_e32 v172, v1, v180
	v_mul_f32_e32 v138, v2, v180
	s_waitcnt vmcnt(8)
	v_mul_f32_e32 v197, v3, v179
	v_fmac_f32_e32 v168, v141, v181
	s_clause 0x2
	buffer_load_dword v173, off, s[0:3], 0 offset:340
	buffer_load_dword v180, off, s[0:3], 0 offset:348
	;; [unrolled: 1-line block ×3, first 2 shown]
	v_fmac_f32_e32 v172, v2, v178
	v_fma_f32 v178, v1, v178, -v138
	v_mul_f32_e32 v1, v4, v179
	v_fmac_f32_e32 v197, v4, v177
	v_add_f32_e32 v2, 0, v201
	s_clause 0x3
	buffer_load_dword v179, off, s[0:3], 0 offset:368
	buffer_load_dword v205, off, s[0:3], 0 offset:360
	;; [unrolled: 1-line block ×4, first 2 shown]
	v_fma_f32 v177, v3, v177, -v1
	v_add_f32_e32 v1, 0, v198
	v_add_f32_e32 v2, v2, v203
	buffer_load_dword v198, off, s[0:3], 0 offset:364
	v_add_f32_e32 v1, v1, v199
	v_add_f32_e32 v2, v2, v186
	s_waitcnt lgkmcnt(0)
	v_mul_f32_e32 v3, v6, v175
	v_add_f32_e32 v1, v1, v200
	s_clause 0x1
	buffer_load_dword v199, off, s[0:3], 0 offset:372
	buffer_load_dword v200, off, s[0:3], 0 offset:380
	v_add_f32_e32 v2, v2, v187
	v_add_f32_e32 v1, v1, v202
	;; [unrolled: 1-line block ×3, first 2 shown]
	v_fma_f32 v11, v5, v174, -v3
	v_add_f32_e32 v1, v1, v188
	s_clause 0x5
	buffer_load_dword v186, off, s[0:3], 0 offset:400
	buffer_load_dword v187, off, s[0:3], 0 offset:392
	;; [unrolled: 1-line block ×6, first 2 shown]
	v_add_f32_e32 v2, v2, v10
	v_add_f32_e32 v1, v1, v189
	buffer_load_dword v189, off, s[0:3], 0 offset:388
	v_mul_f32_e32 v10, v5, v175
	v_add_f32_e32 v2, v2, v12
	v_add_f32_e32 v1, v1, v204
	v_fmac_f32_e32 v10, v6, v174
	v_add_f32_e32 v2, v2, v149
	v_add_f32_e32 v1, v1, v190
	s_clause 0x2
	buffer_load_dword v190, off, s[0:3], 0 offset:412
	buffer_load_dword v204, off, s[0:3], 0 offset:420
	buffer_load_dword v208, off, s[0:3], 0 offset:428
	v_add_f32_e32 v2, v2, v148
	v_add_f32_e32 v1, v1, v191
	s_clause 0x2
	buffer_load_dword v191, off, s[0:3], 0 offset:436
	buffer_load_dword v209, off, s[0:3], 0 offset:444
	buffer_load_dword v210, off, s[0:3], 0 offset:452
	;; [unrolled: 6-line block ×3, first 2 shown]
	buffer_load_dword v213, off, s[0:3], 0 offset:492
	v_add_f32_e32 v2, v2, v147
	v_add_f32_e32 v1, v1, v193
	buffer_load_dword v193, off, s[0:3], 0 offset:484
	v_add_f32_e32 v2, v2, v156
	v_add_f32_e32 v1, v1, v194
	;; [unrolled: 1-line block ×4, first 2 shown]
	s_clause 0x3
	buffer_load_dword v182, off, s[0:3], 0 offset:432
	buffer_load_dword v194, off, s[0:3], 0 offset:424
	;; [unrolled: 1-line block ×4, first 2 shown]
	v_add_f32_e32 v2, v2, v151
	v_add_f32_e32 v1, v1, v183
	;; [unrolled: 1-line block ×4, first 2 shown]
	s_clause 0x7
	buffer_load_dword v183, off, s[0:3], 0 offset:464
	buffer_load_dword v184, off, s[0:3], 0 offset:456
	;; [unrolled: 1-line block ×8, first 2 shown]
	v_add_f32_e32 v2, v2, v153
	v_add_f32_e32 v1, v1, v155
	;; [unrolled: 1-line block ×8, first 2 shown]
	ds_read_b128 v[1:4], v9 offset:816
	v_add_f32_e32 v12, v5, v143
	v_add_f32_e32 v138, v6, v160
	;; [unrolled: 1-line block ×4, first 2 shown]
	ds_read_b128 v[138:141], v9 offset:848
	v_add_f32_e32 v12, v12, v161
	v_add_f32_e32 v142, v142, v158
	v_add_f32_e32 v12, v12, v166
	s_waitcnt vmcnt(46)
	v_mul_f32_e32 v154, v7, v162
	v_mul_f32_e32 v5, v8, v162
	s_waitcnt vmcnt(42)
	v_fmac_f32_e32 v154, v8, v196
	v_fma_f32 v155, v7, v196, -v5
	ds_read_b128 v[5:8], v9 offset:832
	s_waitcnt vmcnt(41) lgkmcnt(2)
	v_mul_f32_e32 v146, v4, v170
	s_waitcnt vmcnt(40)
	v_mul_f32_e32 v143, v2, v169
	v_mul_f32_e32 v156, v1, v169
	v_fma_f32 v161, v3, v185, -v146
	v_fma_f32 v157, v1, v195, -v143
	v_add_f32_e32 v1, v142, v167
	v_fmac_f32_e32 v156, v2, v195
	v_add_f32_e32 v2, v12, v171
	ds_read_b128 v[142:145], v9 offset:864
	v_mul_f32_e32 v12, v3, v170
	v_add_f32_e32 v1, v1, v168
	v_add_f32_e32 v2, v2, v178
	s_waitcnt vmcnt(39) lgkmcnt(1)
	v_mul_f32_e32 v147, v6, v173
	v_mul_f32_e32 v158, v5, v173
	v_add_f32_e32 v1, v1, v172
	s_waitcnt vmcnt(37)
	v_mul_f32_e32 v160, v138, v181
	v_fmac_f32_e32 v12, v4, v185
	v_fma_f32 v162, v5, v165, -v147
	v_add_f32_e32 v5, v2, v177
	v_fmac_f32_e32 v158, v6, v165
	v_add_f32_e32 v6, v1, v197
	v_mul_f32_e32 v150, v8, v180
	v_mul_f32_e32 v151, v139, v181
	v_add_f32_e32 v11, v5, v11
	s_waitcnt vmcnt(34)
	v_fmac_f32_e32 v160, v139, v206
	v_add_f32_e32 v10, v6, v10
	v_mul_f32_e32 v159, v7, v180
	s_waitcnt vmcnt(33)
	v_fma_f32 v163, v7, v207, -v150
	v_add_f32_e32 v11, v11, v155
	ds_read_b128 v[1:4], v9 offset:880
	ds_read_b128 v[146:149], v9 offset:896
	v_add_f32_e32 v10, v10, v154
	v_fmac_f32_e32 v159, v8, v207
	v_fma_f32 v164, v138, v206, -v151
	s_waitcnt vmcnt(31) lgkmcnt(2)
	v_mul_f32_e32 v166, v142, v199
	v_add_f32_e32 v11, v11, v157
	s_waitcnt vmcnt(30)
	v_mul_f32_e32 v167, v144, v200
	v_add_f32_e32 v10, v10, v156
	v_mul_f32_e32 v139, v143, v199
	v_fmac_f32_e32 v166, v143, v179
	v_add_f32_e32 v143, v11, v161
	v_mul_f32_e32 v168, v145, v200
	v_mul_f32_e32 v138, v141, v198
	;; [unrolled: 1-line block ×3, first 2 shown]
	v_fma_f32 v142, v142, v179, -v139
	s_waitcnt vmcnt(26)
	v_fmac_f32_e32 v167, v145, v201
	v_add_f32_e32 v145, v10, v12
	v_add_f32_e32 v143, v143, v162
	v_fma_f32 v169, v140, v205, -v138
	v_fmac_f32_e32 v165, v141, v205
	v_fma_f32 v144, v144, v201, -v168
	v_add_f32_e32 v145, v145, v158
	v_add_f32_e32 v143, v143, v163
	s_waitcnt vmcnt(23) lgkmcnt(1)
	v_mul_f32_e32 v162, v2, v189
	ds_read_b128 v[5:8], v9 offset:912
	ds_read_b128 v[150:153], v9 offset:928
	v_mul_f32_e32 v161, v1, v189
	v_add_f32_e32 v145, v145, v159
	v_add_f32_e32 v143, v143, v164
	v_mul_f32_e32 v168, v4, v202
	v_fma_f32 v1, v1, v188, -v162
	v_mul_f32_e32 v158, v3, v202
	v_add_f32_e32 v145, v145, v160
	v_add_f32_e32 v143, v143, v169
	v_fmac_f32_e32 v161, v2, v188
	v_fma_f32 v3, v3, v187, -v168
	s_waitcnt lgkmcnt(2)
	v_mul_f32_e32 v163, v146, v203
	v_add_f32_e32 v145, v145, v165
	v_add_f32_e32 v142, v143, v142
	v_fmac_f32_e32 v158, v4, v187
	s_waitcnt vmcnt(22)
	v_mul_f32_e32 v159, v148, v190
	v_fmac_f32_e32 v163, v147, v186
	v_add_f32_e32 v145, v145, v166
	v_add_f32_e32 v142, v142, v144
	ds_read_b128 v[138:141], v9 offset:944
	ds_read_b128 v[154:157], v9 offset:960
	s_waitcnt vmcnt(21) lgkmcnt(3)
	v_mul_f32_e32 v170, v5, v204
	s_waitcnt vmcnt(20)
	v_mul_f32_e32 v164, v7, v208
	v_add_f32_e32 v144, v145, v167
	v_mul_f32_e32 v145, v147, v203
	v_add_f32_e32 v1, v142, v1
	v_mul_f32_e32 v142, v149, v190
	s_waitcnt vmcnt(19) lgkmcnt(2)
	v_mul_f32_e32 v160, v150, v191
	v_add_f32_e32 v4, v144, v161
	v_fma_f32 v144, v146, v186, -v145
	v_add_f32_e32 v1, v1, v3
	s_waitcnt vmcnt(9)
	v_fmac_f32_e32 v170, v6, v214
	s_waitcnt vmcnt(8)
	v_fma_f32 v142, v148, v215, -v142
	v_add_f32_e32 v3, v4, v158
	v_mul_f32_e32 v4, v6, v204
	v_add_f32_e32 v1, v1, v144
	v_fmac_f32_e32 v159, v149, v215
	v_mul_f32_e32 v144, v8, v208
	v_add_f32_e32 v3, v3, v163
	v_fma_f32 v4, v5, v214, -v4
	v_add_f32_e32 v1, v1, v142
	v_mul_f32_e32 v5, v151, v191
	v_fma_f32 v6, v7, v194, -v144
	v_add_f32_e32 v3, v3, v159
	v_fmac_f32_e32 v164, v8, v194
	v_add_f32_e32 v1, v1, v4
	v_mul_f32_e32 v4, v153, v209
	v_fma_f32 v5, v150, v182, -v5
	v_add_f32_e32 v3, v3, v170
	v_mul_f32_e32 v171, v152, v209
	v_add_f32_e32 v1, v1, v6
	v_fmac_f32_e32 v160, v151, v182
	ds_read_b128 v[9:12], v9 offset:976
	v_add_f32_e32 v3, v3, v164
	s_waitcnt lgkmcnt(2)
	v_mul_f32_e32 v6, v139, v210
	s_waitcnt vmcnt(4)
	v_fma_f32 v4, v152, v217, -v4
	v_add_f32_e32 v1, v1, v5
	v_mul_f32_e32 v169, v138, v210
	v_fmac_f32_e32 v171, v153, v217
	v_add_f32_e32 v3, v3, v160
	v_mul_f32_e32 v5, v141, v192
	v_fma_f32 v6, v138, v216, -v6
	v_add_f32_e32 v1, v1, v4
	v_mul_f32_e32 v165, v140, v192
	v_fmac_f32_e32 v169, v139, v216
	v_add_f32_e32 v3, v3, v171
	s_waitcnt lgkmcnt(1)
	v_mul_f32_e32 v4, v155, v211
	v_fma_f32 v5, v140, v184, -v5
	v_add_f32_e32 v1, v1, v6
	v_mul_f32_e32 v172, v154, v211
	v_fmac_f32_e32 v165, v141, v184
	v_add_f32_e32 v3, v3, v169
	v_mul_f32_e32 v6, v157, v212
	v_fma_f32 v4, v154, v183, -v4
	v_add_f32_e32 v1, v1, v5
	v_mul_f32_e32 v143, v156, v212
	v_fmac_f32_e32 v172, v155, v183
	v_add_f32_e32 v3, v3, v165
	s_waitcnt lgkmcnt(0)
	v_mul_f32_e32 v5, v10, v193
	s_waitcnt vmcnt(1)
	v_fma_f32 v6, v156, v220, -v6
	v_add_f32_e32 v1, v1, v4
	v_mul_f32_e32 v166, v9, v193
	v_fmac_f32_e32 v143, v157, v220
	v_add_f32_e32 v3, v3, v172
	v_mul_f32_e32 v4, v12, v213
	v_fma_f32 v5, v9, v219, -v5
	v_add_f32_e32 v1, v1, v6
	v_mul_f32_e32 v2, v11, v213
	v_fmac_f32_e32 v166, v10, v219
	v_add_f32_e32 v3, v3, v143
	v_fma_f32 v4, v11, v218, -v4
	v_add_f32_e32 v1, v1, v5
	v_fmac_f32_e32 v2, v12, v218
	v_add_f32_e32 v3, v3, v166
	v_add_f32_e32 v1, v1, v4
	;; [unrolled: 1-line block ×3, first 2 shown]
	s_waitcnt vmcnt(0)
	v_sub_f32_e32 v1, v221, v1
	v_sub_f32_e32 v2, v176, v2
	buffer_store_dword v1, off, s[0:3], 0 offset:88
	buffer_store_dword v2, off, s[0:3], 0 offset:92
	v_cmpx_lt_u32_e32 10, v0
	s_cbranch_execz .LBB125_365
; %bb.364:
	s_clause 0x1
	buffer_load_dword v1, off, s[0:3], 0 offset:80
	buffer_load_dword v2, off, s[0:3], 0 offset:84
	v_mov_b32_e32 v3, 0
	buffer_store_dword v3, off, s[0:3], 0 offset:80
	buffer_store_dword v3, off, s[0:3], 0 offset:84
	s_waitcnt vmcnt(0)
	ds_write_b64 v137, v[1:2]
.LBB125_365:
	s_or_b32 exec_lo, exec_lo, s4
	s_waitcnt lgkmcnt(0)
	s_waitcnt_vscnt null, 0x0
	s_barrier
	buffer_gl0_inv
	s_clause 0x35
	buffer_load_dword v2, off, s[0:3], 0 offset:92
	buffer_load_dword v4, off, s[0:3], 0 offset:100
	;; [unrolled: 1-line block ×54, first 2 shown]
	v_mov_b32_e32 v1, 0
	ds_read2_b64 v[182:185], v1 offset0:73 offset1:74
	ds_read2_b64 v[186:189], v1 offset0:75 offset1:76
	buffer_load_dword v179, off, s[0:3], 0 offset:84
	ds_read2_b64 v[190:193], v1 offset0:77 offset1:78
	ds_read2_b64 v[194:197], v1 offset0:79 offset1:80
	s_mov_b32 s4, exec_lo
	s_waitcnt vmcnt(54) lgkmcnt(3)
	v_mul_f32_e32 v198, v182, v2
	v_mul_f32_e32 v2, v183, v2
	s_waitcnt vmcnt(53)
	v_mul_f32_e32 v199, v184, v4
	v_mul_f32_e32 v4, v185, v4
	s_waitcnt vmcnt(52) lgkmcnt(2)
	v_mul_f32_e32 v200, v186, v6
	v_mul_f32_e32 v6, v187, v6
	s_waitcnt vmcnt(49)
	v_fma_f32 v201, v182, v8, -v2
	s_waitcnt vmcnt(48)
	v_mul_f32_e32 v2, v189, v7
	v_fmac_f32_e32 v198, v183, v8
	v_fmac_f32_e32 v199, v185, v5
	v_fma_f32 v203, v184, v5, -v4
	v_fmac_f32_e32 v200, v187, v3
	v_fma_f32 v186, v186, v3, -v6
	s_waitcnt vmcnt(44)
	v_fma_f32 v187, v188, v141, -v2
	ds_read2_b64 v[2:5], v1 offset0:81 offset1:82
	ds_read2_b64 v[182:185], v1 offset0:83 offset1:84
	v_mul_f32_e32 v202, v188, v7
	s_waitcnt vmcnt(43) lgkmcnt(3)
	v_mul_f32_e32 v188, v190, v139
	v_mul_f32_e32 v6, v191, v139
	s_waitcnt vmcnt(42)
	v_mul_f32_e32 v7, v193, v140
	s_waitcnt vmcnt(41) lgkmcnt(2)
	v_mul_f32_e32 v204, v194, v138
	v_fmac_f32_e32 v202, v189, v141
	v_mul_f32_e32 v189, v192, v140
	v_mul_f32_e32 v8, v195, v138
	v_fmac_f32_e32 v188, v191, v11
	v_fma_f32 v11, v190, v11, -v6
	s_waitcnt vmcnt(40)
	v_mul_f32_e32 v190, v196, v12
	v_mul_f32_e32 v6, v197, v12
	v_fmac_f32_e32 v189, v193, v10
	v_fma_f32 v10, v192, v10, -v7
	v_fmac_f32_e32 v204, v195, v9
	v_fma_f32 v12, v194, v9, -v8
	s_waitcnt vmcnt(36)
	v_fmac_f32_e32 v190, v197, v149
	v_fma_f32 v149, v196, v149, -v6
	ds_read2_b64 v[6:9], v1 offset0:85 offset1:86
	ds_read2_b64 v[138:141], v1 offset0:87 offset1:88
	s_waitcnt vmcnt(35) lgkmcnt(3)
	v_mul_f32_e32 v191, v2, v148
	v_mul_f32_e32 v148, v3, v148
	s_waitcnt vmcnt(34)
	v_mul_f32_e32 v192, v4, v147
	v_mul_f32_e32 v147, v5, v147
	s_waitcnt vmcnt(33) lgkmcnt(2)
	v_mul_f32_e32 v193, v182, v145
	v_fmac_f32_e32 v191, v3, v144
	v_fma_f32 v148, v2, v144, -v148
	s_waitcnt vmcnt(32)
	v_mul_f32_e32 v194, v184, v146
	v_mul_f32_e32 v2, v183, v145
	;; [unrolled: 1-line block ×3, first 2 shown]
	v_fmac_f32_e32 v192, v5, v143
	v_fma_f32 v146, v4, v143, -v147
	v_fmac_f32_e32 v193, v183, v142
	s_waitcnt vmcnt(28)
	v_fmac_f32_e32 v194, v185, v157
	v_fma_f32 v147, v182, v142, -v2
	v_fma_f32 v157, v184, v157, -v3
	ds_read2_b64 v[2:5], v1 offset0:89 offset1:90
	ds_read2_b64 v[142:145], v1 offset0:91 offset1:92
	s_waitcnt vmcnt(27) lgkmcnt(3)
	v_mul_f32_e32 v182, v6, v156
	v_mul_f32_e32 v156, v7, v156
	s_waitcnt vmcnt(26)
	v_mul_f32_e32 v183, v8, v155
	v_mul_f32_e32 v155, v9, v155
	s_waitcnt vmcnt(25) lgkmcnt(2)
	v_mul_f32_e32 v184, v138, v154
	v_fmac_f32_e32 v182, v7, v152
	v_fma_f32 v152, v6, v152, -v156
	v_fmac_f32_e32 v183, v9, v151
	v_fma_f32 v151, v8, v151, -v155
	s_clause 0x4
	buffer_load_dword v155, off, s[0:3], 0 offset:308
	buffer_load_dword v156, off, s[0:3], 0 offset:328
	;; [unrolled: 1-line block ×5, first 2 shown]
	v_mul_f32_e32 v154, v139, v154
	s_waitcnt vmcnt(29)
	v_mul_f32_e32 v6, v141, v153
	v_mul_f32_e32 v197, v140, v153
	v_fmac_f32_e32 v184, v139, v150
	v_fma_f32 v138, v138, v150, -v154
	s_waitcnt vmcnt(24)
	v_fma_f32 v140, v140, v166, -v6
	ds_read2_b64 v[6:9], v1 offset0:93 offset1:94
	buffer_load_dword v154, off, s[0:3], 0 offset:316
	s_waitcnt lgkmcnt(2)
	v_mul_f32_e32 v139, v2, v158
	v_mul_f32_e32 v150, v3, v158
	v_fmac_f32_e32 v197, v141, v166
	s_waitcnt vmcnt(24)
	v_mul_f32_e32 v141, v4, v164
	v_mul_f32_e32 v153, v5, v164
	v_fmac_f32_e32 v139, v3, v162
	v_fma_f32 v150, v2, v162, -v150
	s_waitcnt vmcnt(23) lgkmcnt(1)
	v_mul_f32_e32 v158, v142, v161
	v_mul_f32_e32 v2, v143, v161
	s_waitcnt vmcnt(22)
	v_mul_f32_e32 v3, v145, v165
	v_fmac_f32_e32 v141, v5, v160
	v_fma_f32 v153, v4, v160, -v153
	s_clause 0x1
	buffer_load_dword v160, off, s[0:3], 0 offset:324
	buffer_load_dword v161, off, s[0:3], 0 offset:332
	v_mul_f32_e32 v162, v144, v165
	v_fmac_f32_e32 v158, v143, v159
	v_fma_f32 v142, v142, v159, -v2
	s_clause 0x1
	buffer_load_dword v159, off, s[0:3], 0 offset:340
	buffer_load_dword v164, off, s[0:3], 0 offset:348
	v_add_f32_e32 v143, 0, v198
	s_waitcnt vmcnt(22)
	v_fma_f32 v144, v144, v173, -v3
	ds_read2_b64 v[2:5], v1 offset0:95 offset1:96
	v_fmac_f32_e32 v162, v145, v173
	s_waitcnt vmcnt(21) lgkmcnt(1)
	v_mul_f32_e32 v145, v6, v172
	v_mul_f32_e32 v165, v7, v172
	v_add_f32_e32 v143, v143, v199
	v_add_f32_e32 v172, 0, v201
	s_waitcnt vmcnt(20)
	v_mul_f32_e32 v166, v8, v171
	v_mul_f32_e32 v171, v9, v171
	v_fmac_f32_e32 v145, v7, v170
	v_fma_f32 v165, v6, v170, -v165
	v_add_f32_e32 v6, v172, v203
	v_add_f32_e32 v7, v143, v200
	v_fmac_f32_e32 v166, v9, v169
	v_fma_f32 v169, v8, v169, -v171
	s_clause 0x3
	buffer_load_dword v170, off, s[0:3], 0 offset:360
	buffer_load_dword v171, off, s[0:3], 0 offset:352
	;; [unrolled: 1-line block ×4, first 2 shown]
	v_add_f32_e32 v6, v6, v186
	v_add_f32_e32 v143, v7, v202
	s_clause 0x2
	buffer_load_dword v186, off, s[0:3], 0 offset:356
	buffer_load_dword v198, off, s[0:3], 0 offset:364
	;; [unrolled: 1-line block ×3, first 2 shown]
	v_add_f32_e32 v187, v6, v187
	ds_read2_b64 v[6:9], v1 offset0:97 offset1:98
	v_add_f32_e32 v143, v143, v188
	s_waitcnt vmcnt(26) lgkmcnt(1)
	v_mul_f32_e32 v188, v2, v167
	v_mul_f32_e32 v167, v3, v167
	v_add_f32_e32 v11, v187, v11
	s_waitcnt vmcnt(25)
	v_mul_f32_e32 v187, v4, v168
	v_mul_f32_e32 v168, v5, v168
	v_fmac_f32_e32 v188, v3, v163
	v_add_f32_e32 v3, v143, v189
	v_fma_f32 v143, v2, v163, -v167
	v_add_f32_e32 v2, v11, v10
	s_waitcnt vmcnt(20)
	v_fmac_f32_e32 v187, v5, v181
	v_fma_f32 v163, v4, v181, -v168
	v_add_f32_e32 v10, v3, v204
	s_clause 0x4
	buffer_load_dword v167, off, s[0:3], 0 offset:392
	buffer_load_dword v168, off, s[0:3], 0 offset:384
	;; [unrolled: 1-line block ×5, first 2 shown]
	v_add_f32_e32 v12, v2, v12
	ds_read2_b64 v[2:5], v1 offset0:99 offset1:100
	v_add_f32_e32 v10, v10, v190
	s_clause 0x1
	buffer_load_dword v190, off, s[0:3], 0 offset:388
	buffer_load_dword v201, off, s[0:3], 0 offset:396
	s_waitcnt vmcnt(26) lgkmcnt(1)
	v_mul_f32_e32 v200, v6, v180
	v_mul_f32_e32 v180, v7, v180
	v_add_f32_e32 v12, v12, v149
	v_add_f32_e32 v10, v10, v191
	buffer_load_dword v191, off, s[0:3], 0 offset:404
	v_fmac_f32_e32 v200, v7, v178
	v_fma_f32 v149, v6, v178, -v180
	s_waitcnt vmcnt(26)
	v_mul_f32_e32 v178, v8, v177
	v_add_f32_e32 v7, v10, v192
	v_mul_f32_e32 v10, v9, v177
	v_add_f32_e32 v6, v12, v148
	s_clause 0x2
	buffer_load_dword v12, off, s[0:3], 0 offset:412
	buffer_load_dword v180, off, s[0:3], 0 offset:420
	;; [unrolled: 1-line block ×3, first 2 shown]
	v_add_f32_e32 v7, v7, v193
	v_fmac_f32_e32 v178, v9, v176
	v_fma_f32 v10, v8, v176, -v10
	s_clause 0x1
	buffer_load_dword v176, off, s[0:3], 0 offset:436
	buffer_load_dword v192, off, s[0:3], 0 offset:444
	v_add_f32_e32 v6, v6, v146
	v_add_f32_e32 v7, v7, v194
	s_clause 0x2
	buffer_load_dword v193, off, s[0:3], 0 offset:452
	buffer_load_dword v194, off, s[0:3], 0 offset:460
	;; [unrolled: 1-line block ×3, first 2 shown]
	s_waitcnt lgkmcnt(0)
	v_mul_f32_e32 v146, v2, v175
	v_mul_f32_e32 v8, v3, v175
	v_add_f32_e32 v6, v6, v147
	v_add_f32_e32 v7, v7, v182
	s_clause 0x2
	buffer_load_dword v182, off, s[0:3], 0 offset:476
	buffer_load_dword v203, off, s[0:3], 0 offset:484
	;; [unrolled: 1-line block ×3, first 2 shown]
	v_fmac_f32_e32 v146, v3, v174
	v_fma_f32 v147, v2, v174, -v8
	v_add_f32_e32 v6, v6, v157
	v_add_f32_e32 v7, v7, v183
	s_clause 0x3
	buffer_load_dword v183, off, s[0:3], 0 offset:424
	buffer_load_dword v205, off, s[0:3], 0 offset:416
	;; [unrolled: 1-line block ×4, first 2 shown]
	v_add_f32_e32 v6, v6, v152
	v_add_f32_e32 v7, v7, v184
	;; [unrolled: 1-line block ×4, first 2 shown]
	s_clause 0x8
	buffer_load_dword v184, off, s[0:3], 0 offset:456
	buffer_load_dword v197, off, s[0:3], 0 offset:448
	;; [unrolled: 1-line block ×9, first 2 shown]
	v_add_f32_e32 v6, v6, v138
	v_add_f32_e32 v7, v7, v139
	v_add_f32_e32 v6, v6, v140
	v_add_f32_e32 v7, v7, v141
	v_add_f32_e32 v6, v6, v150
	v_add_f32_e32 v7, v7, v158
	v_add_f32_e32 v6, v6, v153
	v_add_f32_e32 v2, v7, v162
	v_add_f32_e32 v6, v6, v142
	v_add_f32_e32 v138, v2, v145
	v_add_f32_e32 v3, v6, v144
	ds_read2_b64 v[6:9], v1 offset0:101 offset1:102
	v_add_f32_e32 v142, v138, v166
	v_add_f32_e32 v139, v3, v165
	v_add_f32_e32 v142, v142, v188
	v_add_f32_e32 v144, v139, v169
	ds_read2_b64 v[138:141], v1 offset0:105 offset1:106
	v_add_f32_e32 v148, v142, v187
	v_add_f32_e32 v143, v144, v143
	s_waitcnt vmcnt(48)
	v_mul_f32_e32 v150, v4, v155
	v_mul_f32_e32 v2, v5, v155
	s_waitcnt vmcnt(44)
	v_fmac_f32_e32 v150, v5, v196
	v_fma_f32 v151, v4, v196, -v2
	ds_read2_b64 v[2:5], v1 offset0:103 offset1:104
	s_waitcnt vmcnt(43) lgkmcnt(2)
	v_mul_f32_e32 v145, v7, v154
	v_mul_f32_e32 v155, v6, v154
	v_fma_f32 v154, v6, v195, -v145
	v_add_f32_e32 v6, v143, v163
	v_fmac_f32_e32 v155, v7, v195
	v_add_f32_e32 v7, v148, v200
	ds_read2_b64 v[142:145], v1 offset0:107 offset1:108
	v_add_f32_e32 v6, v6, v149
	s_waitcnt vmcnt(42)
	v_mul_f32_e32 v157, v8, v160
	v_add_f32_e32 v7, v7, v178
	s_waitcnt vmcnt(41) lgkmcnt(1)
	v_mul_f32_e32 v158, v2, v161
	v_mul_f32_e32 v149, v3, v161
	v_add_f32_e32 v6, v6, v10
	s_waitcnt vmcnt(39)
	v_mul_f32_e32 v153, v139, v164
	v_mul_f32_e32 v148, v9, v160
	v_fmac_f32_e32 v158, v3, v156
	v_mul_f32_e32 v160, v4, v159
	v_add_f32_e32 v3, v6, v147
	v_mul_f32_e32 v152, v5, v159
	v_mul_f32_e32 v159, v138, v164
	v_fma_f32 v161, v2, v156, -v149
	v_add_f32_e32 v2, v7, v146
	v_fma_f32 v10, v8, v185, -v148
	v_fmac_f32_e32 v157, v9, v185
	ds_read2_b64 v[6:9], v1 offset0:109 offset1:110
	ds_read2_b64 v[146:149], v1 offset0:111 offset1:112
	s_waitcnt vmcnt(36)
	v_fma_f32 v163, v138, v172, -v153
	v_add_f32_e32 v138, v3, v151
	v_fmac_f32_e32 v159, v139, v172
	v_add_f32_e32 v139, v2, v150
	s_waitcnt vmcnt(35)
	v_fma_f32 v162, v4, v173, -v152
	v_fmac_f32_e32 v160, v5, v173
	v_add_f32_e32 v138, v138, v154
	s_waitcnt vmcnt(34)
	v_mul_f32_e32 v164, v140, v186
	v_add_f32_e32 v139, v139, v155
	v_mul_f32_e32 v155, v141, v186
	s_waitcnt vmcnt(33) lgkmcnt(2)
	v_mul_f32_e32 v165, v142, v198
	v_add_f32_e32 v10, v138, v10
	v_mul_f32_e32 v154, v143, v198
	v_add_f32_e32 v139, v139, v157
	v_fmac_f32_e32 v164, v141, v171
	v_fma_f32 v171, v140, v171, -v155
	v_add_f32_e32 v161, v10, v161
	s_waitcnt vmcnt(32)
	v_mul_f32_e32 v169, v145, v199
	v_add_f32_e32 v158, v139, v158
	v_fmac_f32_e32 v165, v143, v170
	v_fma_f32 v170, v142, v170, -v154
	v_add_f32_e32 v161, v161, v162
	v_mul_f32_e32 v166, v144, v199
	v_add_f32_e32 v158, v158, v160
	s_waitcnt vmcnt(28)
	v_fma_f32 v169, v144, v11, -v169
	s_waitcnt vmcnt(27) lgkmcnt(1)
	v_mul_f32_e32 v172, v7, v189
	v_add_f32_e32 v161, v161, v163
	ds_read2_b64 v[2:5], v1 offset0:113 offset1:114
	ds_read2_b64 v[150:153], v1 offset0:115 offset1:116
	v_add_f32_e32 v158, v158, v159
	v_fmac_f32_e32 v166, v145, v11
	v_mul_f32_e32 v160, v6, v189
	v_add_f32_e32 v161, v161, v171
	s_waitcnt vmcnt(26)
	v_mul_f32_e32 v173, v9, v190
	v_add_f32_e32 v158, v158, v164
	v_fma_f32 v6, v6, v181, -v172
	v_mul_f32_e32 v162, v8, v190
	v_add_f32_e32 v161, v161, v170
	v_fmac_f32_e32 v160, v7, v181
	v_add_f32_e32 v158, v158, v165
	s_waitcnt vmcnt(25) lgkmcnt(2)
	v_mul_f32_e32 v172, v147, v201
	v_fma_f32 v8, v8, v168, -v173
	v_add_f32_e32 v161, v161, v169
	v_mul_f32_e32 v159, v146, v201
	v_add_f32_e32 v158, v158, v166
	v_fmac_f32_e32 v162, v9, v168
	s_waitcnt vmcnt(24)
	v_mul_f32_e32 v166, v149, v191
	v_add_f32_e32 v6, v161, v6
	v_fma_f32 v146, v146, v167, -v172
	v_add_f32_e32 v158, v158, v160
	v_mul_f32_e32 v163, v148, v191
	v_fmac_f32_e32 v159, v147, v167
	v_add_f32_e32 v6, v6, v8
	s_waitcnt vmcnt(23) lgkmcnt(1)
	v_mul_f32_e32 v7, v2, v12
	v_add_f32_e32 v8, v158, v162
	v_mul_f32_e32 v12, v3, v12
	ds_read2_b64 v[138:141], v1 offset0:117 offset1:118
	ds_read2_b64 v[154:157], v1 offset0:119 offset1:120
	v_add_f32_e32 v6, v6, v146
	s_waitcnt vmcnt(9)
	v_fma_f32 v147, v148, v207, -v166
	v_fmac_f32_e32 v163, v149, v207
	v_add_f32_e32 v8, v8, v159
	v_mul_f32_e32 v146, v5, v180
	v_fmac_f32_e32 v7, v3, v206
	v_fma_f32 v2, v2, v206, -v12
	v_add_f32_e32 v3, v6, v147
	v_mul_f32_e32 v164, v4, v180
	v_add_f32_e32 v6, v8, v163
	s_waitcnt lgkmcnt(2)
	v_mul_f32_e32 v8, v151, v177
	v_fma_f32 v4, v4, v205, -v146
	v_add_f32_e32 v2, v3, v2
	v_mul_f32_e32 v171, v150, v177
	v_fmac_f32_e32 v164, v5, v205
	v_add_f32_e32 v3, v6, v7
	v_mul_f32_e32 v5, v153, v176
	v_fma_f32 v6, v150, v183, -v8
	v_add_f32_e32 v2, v2, v4
	v_mul_f32_e32 v9, v152, v176
	v_fmac_f32_e32 v171, v151, v183
	v_add_f32_e32 v3, v3, v164
	s_waitcnt lgkmcnt(1)
	v_mul_f32_e32 v4, v139, v192
	s_waitcnt vmcnt(5)
	v_fma_f32 v5, v152, v209, -v5
	v_add_f32_e32 v2, v2, v6
	ds_read2_b64 v[142:145], v1 offset0:121 offset1:122
	ds_read_b64 v[10:11], v1 offset:984
	v_mul_f32_e32 v168, v138, v192
	v_fmac_f32_e32 v9, v153, v209
	v_add_f32_e32 v3, v3, v171
	v_mul_f32_e32 v6, v141, v193
	v_fma_f32 v4, v138, v208, -v4
	v_add_f32_e32 v2, v2, v5
	v_mul_f32_e32 v165, v140, v193
	v_fmac_f32_e32 v168, v139, v208
	v_add_f32_e32 v3, v3, v9
	s_waitcnt lgkmcnt(2)
	v_mul_f32_e32 v5, v155, v194
	v_fma_f32 v6, v140, v197, -v6
	v_add_f32_e32 v2, v2, v4
	v_mul_f32_e32 v170, v154, v194
	v_fmac_f32_e32 v165, v141, v197
	v_add_f32_e32 v3, v3, v168
	v_mul_f32_e32 v4, v157, v202
	v_fma_f32 v5, v154, v184, -v5
	v_add_f32_e32 v2, v2, v6
	v_mul_f32_e32 v173, v156, v202
	v_fmac_f32_e32 v170, v155, v184
	v_add_f32_e32 v3, v3, v165
	s_waitcnt lgkmcnt(1)
	v_mul_f32_e32 v6, v143, v182
	s_waitcnt vmcnt(1)
	v_fma_f32 v4, v156, v213, -v4
	v_add_f32_e32 v2, v2, v5
	v_mul_f32_e32 v169, v142, v182
	v_fmac_f32_e32 v173, v157, v213
	v_add_f32_e32 v3, v3, v170
	v_mul_f32_e32 v5, v145, v203
	v_fma_f32 v6, v142, v212, -v6
	v_add_f32_e32 v2, v2, v4
	v_mul_f32_e32 v174, v144, v203
	v_fmac_f32_e32 v169, v143, v212
	v_add_f32_e32 v3, v3, v173
	s_waitcnt lgkmcnt(0)
	v_mul_f32_e32 v4, v11, v204
	v_fma_f32 v5, v144, v211, -v5
	v_add_f32_e32 v2, v2, v6
	v_mul_f32_e32 v160, v10, v204
	v_fmac_f32_e32 v174, v145, v211
	v_add_f32_e32 v3, v3, v169
	v_fma_f32 v4, v10, v210, -v4
	v_add_f32_e32 v2, v2, v5
	v_fmac_f32_e32 v160, v11, v210
	v_add_f32_e32 v3, v3, v174
	v_add_f32_e32 v2, v2, v4
	;; [unrolled: 1-line block ×3, first 2 shown]
	s_waitcnt vmcnt(0)
	v_sub_f32_e32 v2, v214, v2
	v_sub_f32_e32 v3, v179, v3
	buffer_store_dword v2, off, s[0:3], 0 offset:80
	buffer_store_dword v3, off, s[0:3], 0 offset:84
	v_cmpx_lt_u32_e32 9, v0
	s_cbranch_execz .LBB125_367
; %bb.366:
	s_clause 0x1
	buffer_load_dword v2, off, s[0:3], 0 offset:72
	buffer_load_dword v3, off, s[0:3], 0 offset:76
	buffer_store_dword v1, off, s[0:3], 0 offset:72
	buffer_store_dword v1, off, s[0:3], 0 offset:76
	s_waitcnt vmcnt(0)
	ds_write_b64 v137, v[2:3]
.LBB125_367:
	s_or_b32 exec_lo, exec_lo, s4
	s_waitcnt lgkmcnt(0)
	s_waitcnt_vscnt null, 0x0
	s_barrier
	buffer_gl0_inv
	s_clause 0x3b
	buffer_load_dword v4, off, s[0:3], 0 offset:84
	buffer_load_dword v3, off, s[0:3], 0 offset:96
	;; [unrolled: 1-line block ×60, first 2 shown]
	ds_read_b128 v[183:186], v1 offset:576
	ds_read_b128 v[187:190], v1 offset:592
	;; [unrolled: 1-line block ×3, first 2 shown]
	buffer_load_dword v200, off, s[0:3], 0 offset:76
	s_mov_b32 s4, exec_lo
	s_waitcnt vmcnt(60) lgkmcnt(2)
	v_mul_f32_e32 v199, v183, v4
	v_mul_f32_e32 v4, v184, v4
	s_waitcnt vmcnt(56)
	v_mul_f32_e32 v201, v185, v10
	v_mul_f32_e32 v10, v186, v10
	v_fmac_f32_e32 v199, v184, v11
	v_fma_f32 v4, v183, v11, -v4
	s_waitcnt vmcnt(55) lgkmcnt(1)
	v_mul_f32_e32 v202, v187, v9
	v_fmac_f32_e32 v201, v186, v7
	v_fma_f32 v7, v185, v7, -v10
	ds_read_b128 v[183:186], v1 offset:624
	v_mul_f32_e32 v9, v188, v9
	s_waitcnt vmcnt(54)
	v_mul_f32_e32 v203, v189, v5
	v_mul_f32_e32 v5, v190, v5
	v_fmac_f32_e32 v202, v188, v3
	s_waitcnt vmcnt(48) lgkmcnt(1)
	v_mul_f32_e32 v204, v193, v169
	v_fma_f32 v3, v187, v3, -v9
	v_fmac_f32_e32 v203, v190, v173
	v_fma_f32 v5, v189, v173, -v5
	v_mul_f32_e32 v9, v192, v172
	ds_read_b128 v[187:190], v1 offset:640
	v_mul_f32_e32 v173, v191, v172
	v_fmac_f32_e32 v204, v194, v160
	v_add_f32_e32 v4, 0, v4
	v_fma_f32 v172, v191, v168, -v9
	v_mul_f32_e32 v9, v194, v169
	v_fmac_f32_e32 v173, v192, v168
	v_add_f32_e32 v4, v4, v7
	v_fma_f32 v205, v193, v160, -v9
	s_waitcnt vmcnt(47) lgkmcnt(1)
	v_mul_f32_e32 v206, v183, v164
	v_mul_f32_e32 v9, v184, v164
	ds_read_b128 v[191:194], v1 offset:656
	s_waitcnt vmcnt(46)
	v_mul_f32_e32 v207, v185, v157
	v_add_f32_e32 v3, v4, v3
	v_fmac_f32_e32 v206, v184, v148
	v_fma_f32 v148, v183, v148, -v9
	v_mul_f32_e32 v9, v186, v157
	s_waitcnt vmcnt(42)
	v_fmac_f32_e32 v207, v186, v171
	s_waitcnt vmcnt(41) lgkmcnt(1)
	v_mul_f32_e32 v209, v187, v170
	v_fma_f32 v208, v185, v171, -v9
	v_mul_f32_e32 v9, v188, v170
	ds_read_b128 v[168:171], v1 offset:672
	ds_read_b128 v[183:186], v1 offset:688
	v_fmac_f32_e32 v209, v188, v163
	s_waitcnt vmcnt(40)
	v_mul_f32_e32 v188, v189, v165
	v_fma_f32 v187, v187, v163, -v9
	v_mul_f32_e32 v9, v190, v165
	v_fmac_f32_e32 v188, v190, v155
	s_waitcnt vmcnt(39) lgkmcnt(2)
	v_mul_f32_e32 v190, v191, v161
	v_fma_f32 v189, v189, v155, -v9
	v_mul_f32_e32 v9, v192, v161
	s_waitcnt vmcnt(38)
	v_mul_f32_e32 v161, v193, v153
	v_fmac_f32_e32 v190, v192, v143
	v_fma_f32 v143, v191, v143, -v9
	v_mul_f32_e32 v9, v194, v153
	s_waitcnt vmcnt(34)
	v_fmac_f32_e32 v161, v194, v167
	s_waitcnt vmcnt(33) lgkmcnt(1)
	v_mul_f32_e32 v191, v168, v166
	s_waitcnt vmcnt(30) lgkmcnt(0)
	v_mul_f32_e32 v10, v186, v150
	v_fma_f32 v167, v193, v167, -v9
	v_mul_f32_e32 v9, v169, v166
	ds_read_b128 v[163:166], v1 offset:704
	v_fmac_f32_e32 v191, v169, v156
	v_mul_f32_e32 v169, v170, v158
	v_fma_f32 v168, v168, v156, -v9
	v_mul_f32_e32 v9, v171, v158
	v_fmac_f32_e32 v169, v171, v146
	v_mul_f32_e32 v171, v185, v150
	s_waitcnt vmcnt(26)
	v_fma_f32 v150, v185, v162, -v10
	v_fma_f32 v146, v170, v146, -v9
	v_mul_f32_e32 v170, v183, v154
	v_mul_f32_e32 v9, v184, v154
	ds_read_b128 v[153:156], v1 offset:720
	v_fmac_f32_e32 v171, v186, v162
	v_fmac_f32_e32 v170, v184, v139
	v_fma_f32 v139, v183, v139, -v9
	s_waitcnt vmcnt(25) lgkmcnt(1)
	v_mul_f32_e32 v162, v163, v159
	v_mul_f32_e32 v9, v164, v159
	ds_read_b128 v[157:160], v1 offset:736
	v_fmac_f32_e32 v162, v164, v149
	v_fma_f32 v149, v163, v149, -v9
	s_waitcnt vmcnt(24)
	v_mul_f32_e32 v163, v165, v151
	v_mul_f32_e32 v9, v166, v151
	buffer_load_dword v151, off, s[0:3], 0 offset:316
	v_fmac_f32_e32 v163, v166, v141
	v_fma_f32 v141, v165, v141, -v9
	s_waitcnt vmcnt(24) lgkmcnt(1)
	v_mul_f32_e32 v164, v153, v144
	v_mul_f32_e32 v9, v154, v144
	s_waitcnt vmcnt(23)
	v_mul_f32_e32 v144, v155, v142
	v_mul_f32_e32 v10, v156, v142
	buffer_load_dword v142, off, s[0:3], 0 offset:324
	v_fmac_f32_e32 v164, v154, v12
	v_fma_f32 v153, v153, v12, -v9
	s_waitcnt vmcnt(20)
	v_fmac_f32_e32 v144, v156, v152
	v_fma_f32 v152, v155, v152, -v10
	ds_read_b128 v[9:12], v1 offset:752
	s_waitcnt vmcnt(18) lgkmcnt(1)
	v_mul_f32_e32 v155, v159, v145
	v_mul_f32_e32 v145, v160, v145
	;; [unrolled: 1-line block ×4, first 2 shown]
	buffer_load_dword v156, off, s[0:3], 0 offset:332
	v_fmac_f32_e32 v155, v160, v138
	v_fma_f32 v138, v159, v138, -v145
	v_add_f32_e32 v159, 0, v199
	v_fmac_f32_e32 v154, v158, v140
	v_fma_f32 v140, v157, v140, -v147
	s_clause 0x6
	buffer_load_dword v157, off, s[0:3], 0 offset:352
	buffer_load_dword v147, off, s[0:3], 0 offset:344
	;; [unrolled: 1-line block ×7, first 2 shown]
	v_add_f32_e32 v7, v159, v201
	buffer_load_dword v159, off, s[0:3], 0 offset:364
	v_add_f32_e32 v7, v7, v202
	s_waitcnt vmcnt(26) lgkmcnt(0)
	v_mul_f32_e32 v183, v9, v8
	v_mul_f32_e32 v4, v10, v8
	s_waitcnt vmcnt(25)
	v_mul_f32_e32 v184, v11, v6
	v_mul_f32_e32 v6, v12, v6
	v_add_f32_e32 v8, v3, v5
	v_add_f32_e32 v7, v7, v203
	v_fmac_f32_e32 v183, v10, v2
	v_fma_f32 v10, v9, v2, -v4
	s_waitcnt vmcnt(21)
	v_fma_f32 v11, v11, v195, -v6
	ds_read_b128 v[2:5], v1 offset:768
	v_add_f32_e32 v6, v8, v172
	v_add_f32_e32 v7, v7, v173
	v_fmac_f32_e32 v184, v12, v195
	s_clause 0x6
	buffer_load_dword v12, off, s[0:3], 0 offset:384
	buffer_load_dword v172, off, s[0:3], 0 offset:376
	;; [unrolled: 1-line block ×7, first 2 shown]
	v_add_f32_e32 v6, v6, v205
	v_add_f32_e32 v7, v7, v204
	;; [unrolled: 1-line block ×6, first 2 shown]
	ds_read_b128 v[6:9], v1 offset:784
	s_waitcnt vmcnt(27) lgkmcnt(1)
	v_mul_f32_e32 v195, v2, v182
	v_mul_f32_e32 v182, v3, v182
	v_add_f32_e32 v148, v148, v209
	v_add_f32_e32 v187, v194, v187
	s_waitcnt vmcnt(26)
	v_mul_f32_e32 v194, v4, v181
	v_fmac_f32_e32 v195, v3, v179
	v_fma_f32 v179, v2, v179, -v182
	v_add_f32_e32 v3, v148, v188
	v_add_f32_e32 v2, v187, v189
	v_mul_f32_e32 v181, v5, v181
	s_clause 0x3
	buffer_load_dword v182, off, s[0:3], 0 offset:396
	buffer_load_dword v187, off, s[0:3], 0 offset:404
	;; [unrolled: 1-line block ×4, first 2 shown]
	v_fmac_f32_e32 v194, v5, v178
	v_add_f32_e32 v3, v3, v190
	v_add_f32_e32 v2, v2, v143
	v_fma_f32 v148, v4, v178, -v181
	s_clause 0x3
	buffer_load_dword v178, off, s[0:3], 0 offset:428
	buffer_load_dword v181, off, s[0:3], 0 offset:436
	;; [unrolled: 1-line block ×4, first 2 shown]
	v_add_f32_e32 v3, v3, v161
	v_add_f32_e32 v2, v2, v167
	s_waitcnt vmcnt(33) lgkmcnt(0)
	v_mul_f32_e32 v203, v6, v176
	v_mul_f32_e32 v4, v7, v176
	s_clause 0x3
	buffer_load_dword v161, off, s[0:3], 0 offset:460
	buffer_load_dword v167, off, s[0:3], 0 offset:468
	;; [unrolled: 1-line block ×4, first 2 shown]
	v_add_f32_e32 v3, v3, v191
	v_add_f32_e32 v2, v2, v168
	buffer_load_dword v168, off, s[0:3], 0 offset:492
	v_fmac_f32_e32 v203, v7, v175
	v_fma_f32 v175, v6, v175, -v4
	v_add_f32_e32 v6, v3, v169
	s_clause 0x3
	buffer_load_dword v169, off, s[0:3], 0 offset:416
	buffer_load_dword v176, off, s[0:3], 0 offset:408
	;; [unrolled: 1-line block ×4, first 2 shown]
	v_add_f32_e32 v2, v2, v146
	s_waitcnt vmcnt(41)
	v_mul_f32_e32 v146, v8, v174
	v_add_f32_e32 v6, v6, v170
	v_add_f32_e32 v7, v2, v139
	v_mul_f32_e32 v2, v9, v174
	s_waitcnt vmcnt(37)
	v_fmac_f32_e32 v146, v9, v197
	v_add_f32_e32 v6, v6, v171
	v_add_f32_e32 v7, v7, v150
	v_fma_f32 v174, v8, v197, -v2
	ds_read_b128 v[2:5], v1 offset:800
	s_clause 0x3
	buffer_load_dword v170, off, s[0:3], 0 offset:448
	buffer_load_dword v171, off, s[0:3], 0 offset:440
	;; [unrolled: 1-line block ×4, first 2 shown]
	v_add_f32_e32 v6, v6, v162
	v_add_f32_e32 v7, v7, v149
	;; [unrolled: 1-line block ×4, first 2 shown]
	ds_read_b128 v[6:9], v1 offset:816
	v_add_f32_e32 v139, v139, v153
	v_add_f32_e32 v141, v141, v164
	s_waitcnt vmcnt(40) lgkmcnt(1)
	v_mul_f32_e32 v150, v2, v198
	v_mul_f32_e32 v143, v3, v198
	v_fmac_f32_e32 v150, v3, v196
	v_fma_f32 v153, v2, v196, -v143
	s_clause 0x5
	buffer_load_dword v162, off, s[0:3], 0 offset:480
	buffer_load_dword v163, off, s[0:3], 0 offset:472
	;; [unrolled: 1-line block ×6, first 2 shown]
	v_add_f32_e32 v2, v139, v152
	v_add_f32_e32 v3, v141, v144
	v_add_f32_e32 v2, v2, v140
	v_add_f32_e32 v3, v3, v154
	v_add_f32_e32 v2, v2, v138
	v_add_f32_e32 v139, v3, v155
	v_add_f32_e32 v10, v2, v10
	v_add_f32_e32 v143, v139, v183
	v_add_f32_e32 v10, v10, v11
	v_add_f32_e32 v143, v143, v184
	v_add_f32_e32 v10, v10, v179
	v_add_f32_e32 v149, v143, v195
	v_add_f32_e32 v10, v10, v148
	v_add_f32_e32 v149, v149, v194
	v_add_f32_e32 v10, v10, v175
	v_add_f32_e32 v149, v149, v203
	v_add_f32_e32 v10, v10, v174
	v_add_f32_e32 v10, v10, v153
	s_waitcnt vmcnt(44)
	v_mul_f32_e32 v154, v4, v151
	v_mul_f32_e32 v138, v5, v151
	v_fmac_f32_e32 v154, v5, v180
	v_fma_f32 v155, v4, v180, -v138
	ds_read_b128 v[2:5], v1 offset:832
	ds_read_b128 v[138:141], v1 offset:848
	s_waitcnt vmcnt(43) lgkmcnt(2)
	v_mul_f32_e32 v11, v6, v142
	v_mul_f32_e32 v142, v7, v142
	v_add_f32_e32 v10, v10, v155
	v_fmac_f32_e32 v11, v7, v177
	s_waitcnt vmcnt(42)
	v_mul_f32_e32 v180, v8, v156
	v_mul_f32_e32 v144, v9, v156
	v_fma_f32 v156, v6, v177, -v142
	s_waitcnt vmcnt(38)
	v_fmac_f32_e32 v180, v9, v145
	v_fma_f32 v177, v8, v145, -v144
	ds_read_b128 v[6:9], v1 offset:864
	ds_read_b128 v[142:145], v1 offset:880
	s_waitcnt vmcnt(36) lgkmcnt(3)
	v_mul_f32_e32 v151, v5, v165
	v_mul_f32_e32 v179, v2, v160
	;; [unrolled: 1-line block ×4, first 2 shown]
	s_waitcnt vmcnt(35) lgkmcnt(2)
	v_mul_f32_e32 v165, v138, v166
	v_mul_f32_e32 v152, v139, v166
	v_fma_f32 v175, v4, v147, -v151
	v_add_f32_e32 v151, v149, v146
	v_fmac_f32_e32 v179, v3, v158
	v_fmac_f32_e32 v165, v139, v157
	v_fma_f32 v174, v138, v157, -v152
	v_fma_f32 v158, v2, v158, -v148
	v_add_f32_e32 v157, v151, v150
	v_fmac_f32_e32 v160, v5, v147
	s_waitcnt vmcnt(34)
	v_mul_f32_e32 v166, v140, v159
	v_mul_f32_e32 v159, v141, v159
	ds_read_b128 v[2:5], v1 offset:896
	ds_read_b128 v[146:149], v1 offset:912
	v_add_f32_e32 v154, v157, v154
	s_waitcnt vmcnt(29) lgkmcnt(3)
	v_mul_f32_e32 v183, v6, v186
	v_mul_f32_e32 v155, v7, v186
	v_fma_f32 v159, v140, v185, -v159
	v_fmac_f32_e32 v166, v141, v185
	s_waitcnt vmcnt(28)
	v_mul_f32_e32 v184, v8, v192
	v_fmac_f32_e32 v183, v7, v173
	v_add_f32_e32 v7, v10, v156
	v_add_f32_e32 v10, v154, v11
	v_fma_f32 v11, v6, v173, -v155
	v_mul_f32_e32 v157, v9, v192
	ds_read_b128 v[138:141], v1 offset:928
	ds_read_b128 v[150:153], v1 offset:944
	v_add_f32_e32 v173, v7, v177
	v_add_f32_e32 v10, v10, v180
	v_fmac_f32_e32 v184, v9, v172
	v_fma_f32 v172, v8, v172, -v157
	ds_read_b128 v[6:9], v1 offset:960
	ds_read_b128 v[154:157], v1 offset:976
	v_add_f32_e32 v158, v173, v158
	v_add_f32_e32 v10, v10, v179
	s_waitcnt vmcnt(27) lgkmcnt(6)
	v_mul_f32_e32 v1, v142, v193
	v_mul_f32_e32 v173, v143, v193
	v_add_f32_e32 v158, v158, v175
	v_add_f32_e32 v10, v10, v160
	v_fmac_f32_e32 v1, v143, v12
	s_waitcnt vmcnt(26)
	v_mul_f32_e32 v179, v145, v182
	v_fma_f32 v12, v142, v12, -v173
	v_add_f32_e32 v158, v158, v174
	v_add_f32_e32 v10, v10, v165
	v_mul_f32_e32 v177, v144, v182
	s_waitcnt vmcnt(25) lgkmcnt(5)
	v_mul_f32_e32 v175, v2, v187
	v_mul_f32_e32 v143, v3, v187
	v_add_f32_e32 v158, v158, v159
	v_add_f32_e32 v10, v10, v166
	s_waitcnt vmcnt(24)
	v_mul_f32_e32 v160, v4, v188
	s_waitcnt vmcnt(23) lgkmcnt(4)
	v_mul_f32_e32 v180, v146, v189
	s_waitcnt vmcnt(22)
	v_mul_f32_e32 v174, v148, v178
	v_add_f32_e32 v11, v158, v11
	v_add_f32_e32 v10, v10, v183
	s_waitcnt vmcnt(21) lgkmcnt(3)
	v_mul_f32_e32 v165, v138, v181
	s_waitcnt vmcnt(20)
	v_mul_f32_e32 v182, v140, v190
	s_waitcnt vmcnt(19) lgkmcnt(2)
	v_mul_f32_e32 v159, v150, v199
	v_add_f32_e32 v11, v11, v172
	v_add_f32_e32 v10, v10, v184
	s_waitcnt vmcnt(12)
	v_fmac_f32_e32 v160, v5, v176
	s_waitcnt vmcnt(11)
	v_fmac_f32_e32 v175, v3, v191
	s_waitcnt vmcnt(10)
	v_fma_f32 v144, v144, v204, -v179
	v_add_f32_e32 v11, v11, v12
	v_fmac_f32_e32 v177, v145, v204
	v_add_f32_e32 v1, v10, v1
	v_mul_f32_e32 v10, v5, v188
	v_fma_f32 v2, v2, v191, -v143
	v_add_f32_e32 v3, v11, v144
	v_mul_f32_e32 v11, v147, v189
	v_add_f32_e32 v1, v1, v177
	v_fma_f32 v4, v4, v176, -v10
	v_fmac_f32_e32 v180, v147, v169
	v_add_f32_e32 v2, v3, v2
	v_mul_f32_e32 v3, v149, v178
	v_add_f32_e32 v1, v1, v175
	v_fma_f32 v5, v146, v169, -v11
	s_waitcnt vmcnt(6)
	v_fmac_f32_e32 v174, v149, v205
	v_add_f32_e32 v2, v2, v4
	v_mul_f32_e32 v4, v139, v181
	v_add_f32_e32 v1, v1, v160
	v_fma_f32 v3, v148, v205, -v3
	v_fmac_f32_e32 v165, v139, v197
	v_add_f32_e32 v2, v2, v5
	v_mul_f32_e32 v5, v141, v190
	v_add_f32_e32 v1, v1, v180
	v_fma_f32 v4, v138, v197, -v4
	;; [unrolled: 5-line block ×3, first 2 shown]
	v_mul_f32_e32 v166, v152, v161
	v_add_f32_e32 v2, v2, v4
	v_mul_f32_e32 v4, v153, v161
	v_add_f32_e32 v1, v1, v165
	v_fma_f32 v3, v150, v170, -v3
	v_fmac_f32_e32 v159, v151, v170
	v_add_f32_e32 v2, v2, v5
	s_waitcnt lgkmcnt(1)
	v_mul_f32_e32 v5, v7, v167
	v_add_f32_e32 v1, v1, v182
	v_mul_f32_e32 v185, v6, v167
	s_waitcnt vmcnt(2)
	v_fma_f32 v4, v152, v196, -v4
	v_add_f32_e32 v2, v2, v3
	v_fmac_f32_e32 v166, v153, v196
	v_add_f32_e32 v1, v1, v159
	v_mul_f32_e32 v3, v9, v201
	v_fma_f32 v5, v6, v164, -v5
	v_add_f32_e32 v2, v2, v4
	v_mul_f32_e32 v158, v8, v201
	v_fmac_f32_e32 v185, v7, v164
	v_add_f32_e32 v1, v1, v166
	s_waitcnt lgkmcnt(0)
	v_mul_f32_e32 v4, v155, v202
	v_fma_f32 v3, v8, v163, -v3
	v_add_f32_e32 v2, v2, v5
	v_mul_f32_e32 v183, v154, v202
	v_fmac_f32_e32 v158, v9, v163
	v_add_f32_e32 v1, v1, v185
	v_mul_f32_e32 v5, v157, v168
	v_fma_f32 v4, v154, v162, -v4
	v_add_f32_e32 v2, v2, v3
	v_mul_f32_e32 v142, v156, v168
	v_fmac_f32_e32 v183, v155, v162
	v_add_f32_e32 v1, v1, v158
	s_waitcnt vmcnt(1)
	v_fma_f32 v3, v156, v198, -v5
	v_add_f32_e32 v2, v2, v4
	v_fmac_f32_e32 v142, v157, v198
	v_add_f32_e32 v1, v1, v183
	v_add_f32_e32 v2, v2, v3
	v_add_f32_e32 v1, v1, v142
	s_waitcnt vmcnt(0)
	v_sub_f32_e32 v2, v206, v2
	v_sub_f32_e32 v1, v200, v1
	buffer_store_dword v2, off, s[0:3], 0 offset:72
	buffer_store_dword v1, off, s[0:3], 0 offset:76
	v_cmpx_lt_u32_e32 8, v0
	s_cbranch_execz .LBB125_369
; %bb.368:
	s_clause 0x1
	buffer_load_dword v1, off, s[0:3], 0 offset:64
	buffer_load_dword v2, off, s[0:3], 0 offset:68
	v_mov_b32_e32 v3, 0
	buffer_store_dword v3, off, s[0:3], 0 offset:64
	buffer_store_dword v3, off, s[0:3], 0 offset:68
	s_waitcnt vmcnt(0)
	ds_write_b64 v137, v[1:2]
.LBB125_369:
	s_or_b32 exec_lo, exec_lo, s4
	s_waitcnt lgkmcnt(0)
	s_waitcnt_vscnt null, 0x0
	s_barrier
	buffer_gl0_inv
	s_clause 0x3b
	buffer_load_dword v9, off, s[0:3], 0 offset:76
	buffer_load_dword v2, off, s[0:3], 0 offset:88
	;; [unrolled: 1-line block ×60, first 2 shown]
	v_mov_b32_e32 v1, 0
	ds_read2_b64 v[183:186], v1 offset0:71 offset1:72
	ds_read2_b64 v[187:190], v1 offset0:73 offset1:74
	;; [unrolled: 1-line block ×3, first 2 shown]
	buffer_load_dword v200, off, s[0:3], 0 offset:68
	s_mov_b32 s4, exec_lo
	s_waitcnt vmcnt(60) lgkmcnt(2)
	v_mul_f32_e32 v199, v183, v9
	v_mul_f32_e32 v9, v184, v9
	s_waitcnt vmcnt(56)
	v_mul_f32_e32 v201, v185, v6
	v_mul_f32_e32 v6, v186, v6
	v_fmac_f32_e32 v199, v184, v7
	v_fma_f32 v9, v183, v7, -v9
	s_waitcnt vmcnt(55) lgkmcnt(1)
	v_mul_f32_e32 v203, v187, v5
	v_fmac_f32_e32 v201, v186, v4
	v_fma_f32 v202, v185, v4, -v6
	v_mul_f32_e32 v183, v188, v5
	ds_read2_b64 v[4:7], v1 offset0:77 offset1:78
	v_fmac_f32_e32 v203, v188, v2
	s_waitcnt vmcnt(54)
	v_mul_f32_e32 v205, v189, v3
	s_waitcnt vmcnt(49) lgkmcnt(1)
	v_mul_f32_e32 v206, v191, v172
	v_fma_f32 v204, v187, v2, -v183
	v_mul_f32_e32 v2, v190, v3
	ds_read2_b64 v[183:186], v1 offset0:79 offset1:80
	v_fmac_f32_e32 v205, v190, v173
	v_fmac_f32_e32 v206, v192, v168
	v_add_f32_e32 v9, 0, v9
	v_fma_f32 v173, v189, v173, -v2
	v_mul_f32_e32 v2, v192, v172
	ds_read2_b64 v[187:190], v1 offset0:81 offset1:82
	v_add_f32_e32 v9, v9, v202
	v_fma_f32 v172, v191, v168, -v2
	s_waitcnt vmcnt(48)
	v_mul_f32_e32 v191, v193, v169
	v_mul_f32_e32 v2, v194, v169
	v_add_f32_e32 v9, v9, v204
	s_waitcnt vmcnt(47) lgkmcnt(2)
	v_mul_f32_e32 v192, v4, v164
	v_fmac_f32_e32 v191, v194, v160
	v_fma_f32 v160, v193, v160, -v2
	v_mul_f32_e32 v2, v5, v164
	v_fmac_f32_e32 v192, v5, v148
	s_waitcnt vmcnt(46)
	v_mul_f32_e32 v193, v6, v157
	v_fma_f32 v148, v4, v148, -v2
	v_mul_f32_e32 v2, v7, v157
	s_waitcnt vmcnt(42)
	v_fmac_f32_e32 v193, v7, v171
	s_waitcnt vmcnt(41) lgkmcnt(1)
	v_mul_f32_e32 v157, v183, v170
	v_mul_f32_e32 v7, v184, v170
	v_fma_f32 v6, v6, v171, -v2
	ds_read2_b64 v[2:5], v1 offset0:83 offset1:84
	ds_read2_b64 v[168:171], v1 offset0:85 offset1:86
	v_fmac_f32_e32 v157, v184, v163
	v_fma_f32 v183, v183, v163, -v7
	s_waitcnt vmcnt(40)
	v_mul_f32_e32 v184, v185, v165
	v_mul_f32_e32 v7, v186, v165
	v_fmac_f32_e32 v184, v186, v155
	v_fma_f32 v185, v185, v155, -v7
	s_waitcnt vmcnt(39) lgkmcnt(2)
	v_mul_f32_e32 v186, v187, v161
	v_mul_f32_e32 v7, v188, v161
	s_waitcnt vmcnt(38)
	v_mul_f32_e32 v161, v189, v153
	v_fmac_f32_e32 v186, v188, v143
	v_fma_f32 v143, v187, v143, -v7
	v_mul_f32_e32 v7, v190, v153
	s_waitcnt vmcnt(34)
	v_fmac_f32_e32 v161, v190, v167
	s_waitcnt vmcnt(33) lgkmcnt(1)
	v_mul_f32_e32 v187, v2, v166
	s_waitcnt vmcnt(30) lgkmcnt(0)
	v_mul_f32_e32 v190, v170, v150
	v_fma_f32 v167, v189, v167, -v7
	v_mul_f32_e32 v7, v3, v166
	ds_read2_b64 v[163:166], v1 offset0:87 offset1:88
	v_mul_f32_e32 v189, v4, v158
	v_fmac_f32_e32 v187, v3, v156
	s_waitcnt vmcnt(26)
	v_fmac_f32_e32 v190, v171, v162
	v_fma_f32 v188, v2, v156, -v7
	v_mul_f32_e32 v2, v5, v158
	v_fmac_f32_e32 v189, v5, v146
	v_mul_f32_e32 v158, v168, v154
	v_mul_f32_e32 v7, v171, v150
	v_fma_f32 v146, v4, v146, -v2
	v_mul_f32_e32 v2, v169, v154
	v_fmac_f32_e32 v158, v169, v139
	v_fma_f32 v150, v170, v162, -v7
	ds_read2_b64 v[153:156], v1 offset0:91 offset1:92
	v_fma_f32 v139, v168, v139, -v2
	ds_read2_b64 v[2:5], v1 offset0:89 offset1:90
	s_waitcnt vmcnt(25) lgkmcnt(2)
	v_mul_f32_e32 v162, v163, v159
	v_mul_f32_e32 v7, v164, v159
	s_waitcnt vmcnt(24)
	v_mul_f32_e32 v159, v165, v151
	v_fmac_f32_e32 v162, v164, v149
	v_fma_f32 v149, v163, v149, -v7
	v_mul_f32_e32 v7, v166, v151
	v_fmac_f32_e32 v159, v166, v141
	s_clause 0x1
	buffer_load_dword v151, off, s[0:3], 0 offset:308
	buffer_load_dword v164, off, s[0:3], 0 offset:316
	v_fma_f32 v141, v165, v141, -v7
	buffer_load_dword v165, off, s[0:3], 0 offset:324
	s_waitcnt vmcnt(26) lgkmcnt(0)
	v_mul_f32_e32 v163, v2, v144
	v_mul_f32_e32 v7, v3, v144
	s_waitcnt vmcnt(25)
	v_mul_f32_e32 v144, v4, v142
	v_mul_f32_e32 v142, v5, v142
	v_fmac_f32_e32 v163, v3, v12
	v_fma_f32 v12, v2, v12, -v7
	s_waitcnt vmcnt(21)
	v_fmac_f32_e32 v144, v5, v152
	v_fma_f32 v142, v4, v152, -v142
	ds_read2_b64 v[2:5], v1 offset0:93 offset1:94
	s_waitcnt vmcnt(20)
	v_mul_f32_e32 v152, v153, v147
	v_mul_f32_e32 v7, v154, v147
	s_waitcnt vmcnt(19)
	v_mul_f32_e32 v147, v155, v145
	v_mul_f32_e32 v145, v156, v145
	v_fmac_f32_e32 v152, v154, v140
	v_fma_f32 v140, v153, v140, -v7
	v_add_f32_e32 v7, 0, v199
	v_fmac_f32_e32 v147, v156, v138
	v_fma_f32 v138, v155, v138, -v145
	s_clause 0x6
	buffer_load_dword v153, off, s[0:3], 0 offset:344
	buffer_load_dword v154, off, s[0:3], 0 offset:336
	;; [unrolled: 1-line block ×7, first 2 shown]
	v_add_f32_e32 v7, v7, v201
	buffer_load_dword v169, off, s[0:3], 0 offset:356
	v_add_f32_e32 v7, v7, v203
	s_waitcnt vmcnt(26) lgkmcnt(0)
	v_mul_f32_e32 v170, v2, v11
	v_mul_f32_e32 v11, v3, v11
	s_waitcnt vmcnt(25)
	v_mul_f32_e32 v171, v4, v10
	v_add_f32_e32 v7, v7, v205
	v_mul_f32_e32 v10, v5, v10
	v_fmac_f32_e32 v170, v3, v8
	v_fma_f32 v11, v2, v8, -v11
	v_add_f32_e32 v8, v9, v173
	v_add_f32_e32 v7, v7, v206
	s_waitcnt vmcnt(21)
	v_fmac_f32_e32 v171, v5, v195
	v_fma_f32 v10, v4, v195, -v10
	ds_read2_b64 v[2:5], v1 offset0:95 offset1:96
	v_add_f32_e32 v8, v8, v172
	v_add_f32_e32 v7, v7, v191
	s_clause 0x3
	buffer_load_dword v172, off, s[0:3], 0 offset:376
	buffer_load_dword v173, off, s[0:3], 0 offset:368
	;; [unrolled: 1-line block ×4, first 2 shown]
	v_add_f32_e32 v8, v8, v160
	v_add_f32_e32 v8, v8, v148
	;; [unrolled: 1-line block ×3, first 2 shown]
	s_clause 0x2
	buffer_load_dword v160, off, s[0:3], 0 offset:364
	buffer_load_dword v191, off, s[0:3], 0 offset:372
	;; [unrolled: 1-line block ×3, first 2 shown]
	v_add_f32_e32 v199, v8, v6
	v_add_f32_e32 v148, v148, v193
	ds_read2_b64 v[6:9], v1 offset0:97 offset1:98
	s_waitcnt vmcnt(27) lgkmcnt(1)
	v_mul_f32_e32 v193, v2, v182
	v_mul_f32_e32 v182, v3, v182
	v_add_f32_e32 v183, v199, v183
	s_waitcnt vmcnt(26)
	v_mul_f32_e32 v199, v4, v181
	v_mul_f32_e32 v181, v5, v181
	v_fmac_f32_e32 v193, v3, v180
	v_add_f32_e32 v3, v148, v157
	v_add_f32_e32 v148, v183, v185
	v_fma_f32 v157, v2, v180, -v182
	v_fmac_f32_e32 v199, v5, v178
	v_fma_f32 v178, v4, v178, -v181
	v_add_f32_e32 v2, v3, v184
	v_add_f32_e32 v3, v148, v143
	s_clause 0x7
	buffer_load_dword v180, off, s[0:3], 0 offset:388
	buffer_load_dword v181, off, s[0:3], 0 offset:396
	;; [unrolled: 1-line block ×8, first 2 shown]
	v_add_f32_e32 v2, v2, v186
	v_add_f32_e32 v3, v3, v167
	s_waitcnt vmcnt(33) lgkmcnt(0)
	v_mul_f32_e32 v148, v6, v177
	v_mul_f32_e32 v4, v7, v177
	s_clause 0x1
	buffer_load_dword v167, off, s[0:3], 0 offset:420
	buffer_load_dword v186, off, s[0:3], 0 offset:428
	v_add_f32_e32 v2, v2, v161
	v_add_f32_e32 v3, v3, v188
	v_fmac_f32_e32 v148, v7, v175
	v_fma_f32 v175, v6, v175, -v4
	s_clause 0x1
	buffer_load_dword v161, off, s[0:3], 0 offset:436
	buffer_load_dword v177, off, s[0:3], 0 offset:444
	v_add_f32_e32 v2, v2, v187
	v_add_f32_e32 v3, v3, v146
	s_clause 0x3
	buffer_load_dword v187, off, s[0:3], 0 offset:452
	buffer_load_dword v188, off, s[0:3], 0 offset:460
	;; [unrolled: 1-line block ×4, first 2 shown]
	s_waitcnt vmcnt(40)
	v_mul_f32_e32 v146, v8, v174
	v_add_f32_e32 v2, v2, v189
	v_add_f32_e32 v6, v3, v139
	v_mul_f32_e32 v3, v9, v174
	buffer_load_dword v189, off, s[0:3], 0 offset:484
	s_waitcnt vmcnt(37)
	v_fmac_f32_e32 v146, v9, v197
	v_add_f32_e32 v7, v2, v158
	v_add_f32_e32 v6, v6, v150
	v_fma_f32 v174, v8, v197, -v3
	ds_read2_b64 v[2:5], v1 offset0:99 offset1:100
	buffer_load_dword v158, off, s[0:3], 0 offset:492
	v_add_f32_e32 v7, v7, v190
	v_add_f32_e32 v6, v6, v149
	;; [unrolled: 1-line block ×3, first 2 shown]
	s_clause 0x3
	buffer_load_dword v162, off, s[0:3], 0 offset:440
	buffer_load_dword v190, off, s[0:3], 0 offset:432
	buffer_load_dword v197, off, s[0:3], 0 offset:424
	buffer_load_dword v205, off, s[0:3], 0 offset:416
	v_add_f32_e32 v6, v6, v141
	v_add_f32_e32 v139, v7, v159
	;; [unrolled: 1-line block ×3, first 2 shown]
	ds_read2_b64 v[6:9], v1 offset0:101 offset1:102
	v_add_f32_e32 v139, v139, v163
	v_add_f32_e32 v12, v12, v142
	s_waitcnt vmcnt(41) lgkmcnt(1)
	v_mul_f32_e32 v149, v2, v198
	v_mul_f32_e32 v141, v3, v198
	v_fmac_f32_e32 v149, v3, v196
	v_fma_f32 v150, v2, v196, -v141
	v_add_f32_e32 v3, v12, v140
	s_clause 0x6
	buffer_load_dword v12, off, s[0:3], 0 offset:472
	buffer_load_dword v159, off, s[0:3], 0 offset:464
	;; [unrolled: 1-line block ×7, first 2 shown]
	v_add_f32_e32 v2, v139, v144
	v_add_f32_e32 v3, v3, v138
	;; [unrolled: 1-line block ×18, first 2 shown]
	s_waitcnt vmcnt(46)
	v_mul_f32_e32 v11, v4, v151
	v_mul_f32_e32 v138, v5, v151
	s_waitcnt vmcnt(45) lgkmcnt(0)
	v_mul_f32_e32 v157, v6, v164
	v_mul_f32_e32 v143, v7, v164
	s_waitcnt vmcnt(44)
	v_mul_f32_e32 v164, v8, v165
	v_mul_f32_e32 v144, v9, v165
	v_fmac_f32_e32 v11, v5, v179
	v_fma_f32 v151, v4, v179, -v138
	ds_read2_b64 v[2:5], v1 offset0:103 offset1:104
	ds_read2_b64 v[138:141], v1 offset0:105 offset1:106
	v_fmac_f32_e32 v157, v7, v176
	v_fma_f32 v165, v6, v176, -v143
	v_add_f32_e32 v10, v10, v151
	v_add_f32_e32 v11, v150, v11
	;; [unrolled: 1-line block ×4, first 2 shown]
	s_waitcnt vmcnt(40)
	v_fmac_f32_e32 v164, v9, v145
	v_fma_f32 v170, v8, v145, -v144
	ds_read2_b64 v[6:9], v1 offset0:107 offset1:108
	ds_read2_b64 v[142:145], v1 offset0:109 offset1:110
	s_waitcnt vmcnt(39) lgkmcnt(3)
	v_mul_f32_e32 v171, v2, v156
	v_mul_f32_e32 v152, v3, v156
	s_waitcnt vmcnt(38)
	v_mul_f32_e32 v175, v4, v166
	v_mul_f32_e32 v148, v5, v166
	s_waitcnt vmcnt(37) lgkmcnt(2)
	v_mul_f32_e32 v166, v138, v168
	v_mul_f32_e32 v156, v139, v168
	v_fmac_f32_e32 v171, v3, v155
	v_fma_f32 v155, v2, v155, -v152
	v_fmac_f32_e32 v175, v5, v154
	v_fma_f32 v168, v4, v154, -v148
	s_waitcnt vmcnt(36)
	v_mul_f32_e32 v174, v140, v169
	v_mul_f32_e32 v152, v141, v169
	v_fma_f32 v169, v138, v153, -v156
	v_fmac_f32_e32 v166, v139, v153
	ds_read2_b64 v[2:5], v1 offset0:111 offset1:112
	ds_read2_b64 v[146:149], v1 offset0:113 offset1:114
	s_waitcnt vmcnt(32)
	v_fma_f32 v176, v140, v195, -v152
	v_fmac_f32_e32 v174, v141, v195
	ds_read2_b64 v[138:141], v1 offset0:115 offset1:116
	ds_read2_b64 v[150:153], v1 offset0:117 offset1:118
	s_waitcnt vmcnt(31) lgkmcnt(5)
	v_mul_f32_e32 v165, v6, v160
	v_mul_f32_e32 v154, v7, v160
	s_waitcnt vmcnt(30)
	v_mul_f32_e32 v156, v9, v191
	v_mul_f32_e32 v178, v8, v191
	v_fmac_f32_e32 v165, v7, v194
	v_add_f32_e32 v7, v10, v170
	v_add_f32_e32 v10, v11, v164
	v_fma_f32 v160, v6, v194, -v154
	v_fma_f32 v164, v8, v173, -v156
	v_fmac_f32_e32 v178, v9, v173
	v_add_f32_e32 v170, v7, v155
	v_add_f32_e32 v171, v10, v171
	ds_read2_b64 v[6:9], v1 offset0:119 offset1:120
	ds_read2_b64 v[154:157], v1 offset0:121 offset1:122
	ds_read_b64 v[10:11], v1 offset:984
	s_waitcnt vmcnt(28) lgkmcnt(7)
	v_mul_f32_e32 v179, v145, v180
	v_add_f32_e32 v168, v170, v168
	v_add_f32_e32 v171, v171, v175
	v_mul_f32_e32 v175, v143, v192
	v_mul_f32_e32 v170, v142, v192
	;; [unrolled: 1-line block ×3, first 2 shown]
	v_add_f32_e32 v168, v168, v169
	v_add_f32_e32 v166, v171, v166
	v_fma_f32 v142, v142, v172, -v175
	v_fmac_f32_e32 v170, v143, v172
	s_waitcnt vmcnt(27) lgkmcnt(6)
	v_mul_f32_e32 v169, v2, v181
	v_add_f32_e32 v168, v168, v176
	v_add_f32_e32 v166, v166, v174
	v_mul_f32_e32 v175, v3, v181
	s_waitcnt vmcnt(21)
	v_fma_f32 v144, v144, v202, -v179
	v_fmac_f32_e32 v173, v145, v202
	v_add_f32_e32 v160, v168, v160
	v_add_f32_e32 v165, v166, v165
	v_fmac_f32_e32 v169, v3, v201
	v_fma_f32 v2, v2, v201, -v175
	v_mul_f32_e32 v171, v4, v182
	v_add_f32_e32 v160, v160, v164
	v_add_f32_e32 v164, v165, v178
	v_mul_f32_e32 v165, v5, v182
	s_waitcnt lgkmcnt(5)
	v_mul_f32_e32 v143, v146, v183
	v_fmac_f32_e32 v171, v5, v185
	v_add_f32_e32 v142, v160, v142
	v_add_f32_e32 v160, v164, v170
	v_fma_f32 v4, v4, v185, -v165
	s_waitcnt vmcnt(20)
	v_mul_f32_e32 v5, v149, v167
	v_mul_f32_e32 v172, v148, v167
	v_add_f32_e32 v3, v142, v144
	v_add_f32_e32 v142, v160, v173
	v_mul_f32_e32 v144, v147, v183
	v_fmac_f32_e32 v143, v147, v184
	s_waitcnt vmcnt(19) lgkmcnt(4)
	v_mul_f32_e32 v174, v138, v186
	v_add_f32_e32 v2, v3, v2
	v_add_f32_e32 v3, v142, v169
	v_fma_f32 v142, v146, v184, -v144
	s_waitcnt vmcnt(18)
	v_mul_f32_e32 v145, v140, v161
	s_waitcnt vmcnt(8)
	v_fmac_f32_e32 v174, v139, v197
	v_add_f32_e32 v2, v2, v4
	v_add_f32_e32 v3, v3, v171
	v_mul_f32_e32 v4, v139, v186
	s_waitcnt vmcnt(7)
	v_fma_f32 v5, v148, v205, -v5
	v_fmac_f32_e32 v172, v149, v205
	v_add_f32_e32 v2, v2, v142
	v_add_f32_e32 v3, v3, v143
	v_mul_f32_e32 v142, v141, v161
	v_fma_f32 v4, v138, v197, -v4
	s_waitcnt lgkmcnt(3)
	v_mul_f32_e32 v176, v150, v177
	v_add_f32_e32 v2, v2, v5
	v_add_f32_e32 v3, v3, v172
	v_mul_f32_e32 v5, v151, v177
	v_fma_f32 v138, v140, v190, -v142
	v_fmac_f32_e32 v145, v141, v190
	v_add_f32_e32 v2, v2, v4
	v_add_f32_e32 v3, v3, v174
	v_mul_f32_e32 v4, v153, v187
	v_fma_f32 v5, v150, v162, -v5
	v_mul_f32_e32 v166, v152, v187
	v_add_f32_e32 v2, v2, v138
	v_fmac_f32_e32 v176, v151, v162
	v_add_f32_e32 v3, v3, v145
	s_waitcnt lgkmcnt(2)
	v_mul_f32_e32 v138, v7, v188
	s_waitcnt vmcnt(3)
	v_fma_f32 v4, v152, v196, -v4
	v_add_f32_e32 v2, v2, v5
	v_mul_f32_e32 v168, v6, v188
	v_fmac_f32_e32 v166, v153, v196
	v_add_f32_e32 v3, v3, v176
	v_mul_f32_e32 v5, v9, v203
	v_fma_f32 v6, v6, v163, -v138
	v_add_f32_e32 v2, v2, v4
	v_mul_f32_e32 v179, v8, v203
	v_fmac_f32_e32 v168, v7, v163
	v_add_f32_e32 v3, v3, v166
	s_waitcnt lgkmcnt(1)
	v_mul_f32_e32 v4, v155, v204
	v_fma_f32 v5, v8, v159, -v5
	v_add_f32_e32 v2, v2, v6
	v_mul_f32_e32 v178, v154, v204
	v_fmac_f32_e32 v179, v9, v159
	v_add_f32_e32 v3, v3, v168
	v_mul_f32_e32 v6, v157, v189
	v_fma_f32 v4, v154, v12, -v4
	v_add_f32_e32 v2, v2, v5
	v_mul_f32_e32 v180, v156, v189
	v_fmac_f32_e32 v178, v155, v12
	v_add_f32_e32 v3, v3, v179
	s_waitcnt lgkmcnt(0)
	v_mul_f32_e32 v5, v11, v158
	s_waitcnt vmcnt(1)
	v_fma_f32 v6, v156, v206, -v6
	v_add_f32_e32 v2, v2, v4
	v_mul_f32_e32 v164, v10, v158
	v_fmac_f32_e32 v180, v157, v206
	v_add_f32_e32 v3, v3, v178
	v_fma_f32 v4, v10, v198, -v5
	v_add_f32_e32 v2, v2, v6
	v_fmac_f32_e32 v164, v11, v198
	v_add_f32_e32 v3, v3, v180
	v_add_f32_e32 v2, v2, v4
	v_add_f32_e32 v3, v3, v164
	s_waitcnt vmcnt(0)
	v_sub_f32_e32 v2, v207, v2
	v_sub_f32_e32 v3, v200, v3
	buffer_store_dword v2, off, s[0:3], 0 offset:64
	buffer_store_dword v3, off, s[0:3], 0 offset:68
	v_cmpx_lt_u32_e32 7, v0
	s_cbranch_execz .LBB125_371
; %bb.370:
	s_clause 0x1
	buffer_load_dword v2, off, s[0:3], 0 offset:56
	buffer_load_dword v3, off, s[0:3], 0 offset:60
	buffer_store_dword v1, off, s[0:3], 0 offset:56
	buffer_store_dword v1, off, s[0:3], 0 offset:60
	s_waitcnt vmcnt(0)
	ds_write_b64 v137, v[2:3]
.LBB125_371:
	s_or_b32 exec_lo, exec_lo, s4
	s_waitcnt lgkmcnt(0)
	s_waitcnt_vscnt null, 0x0
	s_barrier
	buffer_gl0_inv
	s_clause 0x3c
	buffer_load_dword v9, off, s[0:3], 0 offset:68
	buffer_load_dword v10, off, s[0:3], 0 offset:76
	;; [unrolled: 1-line block ×61, first 2 shown]
	ds_read_b128 v[183:186], v1 offset:560
	ds_read_b128 v[187:190], v1 offset:576
	buffer_load_dword v198, off, s[0:3], 0 offset:60
	s_mov_b32 s4, exec_lo
	s_waitcnt vmcnt(61) lgkmcnt(1)
	v_mul_f32_e32 v196, v183, v9
	v_mul_f32_e32 v9, v184, v9
	s_waitcnt vmcnt(60)
	v_mul_f32_e32 v197, v185, v10
	v_mul_f32_e32 v10, v186, v10
	s_waitcnt vmcnt(57)
	v_fmac_f32_e32 v196, v184, v6
	v_fma_f32 v199, v183, v6, -v9
	v_fmac_f32_e32 v197, v186, v5
	v_fma_f32 v200, v185, v5, -v10
	ds_read_b128 v[183:186], v1 offset:592
	s_waitcnt vmcnt(56) lgkmcnt(1)
	v_mul_f32_e32 v201, v187, v4
	v_mul_f32_e32 v4, v188, v4
	s_waitcnt vmcnt(55)
	v_mul_f32_e32 v202, v189, v3
	v_mul_f32_e32 v3, v190, v3
	v_fmac_f32_e32 v201, v188, v2
	v_fma_f32 v187, v187, v2, -v4
	s_waitcnt vmcnt(51)
	v_fmac_f32_e32 v202, v190, v173
	v_fma_f32 v173, v189, v173, -v3
	ds_read_b128 v[2:5], v1 offset:608
	s_waitcnt vmcnt(50) lgkmcnt(1)
	v_mul_f32_e32 v188, v183, v172
	v_mul_f32_e32 v6, v184, v172
	s_waitcnt vmcnt(49)
	v_mul_f32_e32 v172, v185, v170
	v_mul_f32_e32 v9, v186, v170
	v_fmac_f32_e32 v188, v184, v166
	v_fma_f32 v166, v183, v166, -v6
	v_fmac_f32_e32 v172, v186, v159
	v_fma_f32 v159, v185, v159, -v9
	ds_read_b128 v[183:186], v1 offset:624
	s_waitcnt vmcnt(48) lgkmcnt(1)
	v_mul_f32_e32 v189, v2, v164
	v_mul_f32_e32 v6, v3, v164
	s_waitcnt vmcnt(47)
	v_mul_f32_e32 v190, v4, v162
	v_mul_f32_e32 v9, v5, v162
	v_fmac_f32_e32 v189, v3, v145
	v_fma_f32 v145, v2, v145, -v6
	s_waitcnt vmcnt(43)
	v_fmac_f32_e32 v190, v5, v171
	v_fma_f32 v203, v4, v171, -v9
	ds_read_b128 v[2:5], v1 offset:640
	s_waitcnt vmcnt(42) lgkmcnt(1)
	v_mul_f32_e32 v204, v183, v169
	v_mul_f32_e32 v6, v184, v169
	s_waitcnt vmcnt(41)
	v_mul_f32_e32 v205, v185, v168
	v_mul_f32_e32 v9, v186, v168
	ds_read_b128 v[168:171], v1 offset:656
	v_fmac_f32_e32 v204, v184, v160
	v_fma_f32 v160, v183, v160, -v6
	v_fmac_f32_e32 v205, v186, v154
	v_fma_f32 v183, v185, v154, -v9
	s_waitcnt vmcnt(40) lgkmcnt(1)
	v_mul_f32_e32 v184, v2, v158
	v_mul_f32_e32 v6, v3, v158
	s_waitcnt vmcnt(39)
	v_mul_f32_e32 v158, v4, v156
	v_mul_f32_e32 v9, v5, v156
	v_fmac_f32_e32 v184, v3, v141
	v_fma_f32 v141, v2, v141, -v6
	s_waitcnt vmcnt(35)
	v_fmac_f32_e32 v158, v5, v167
	v_fma_f32 v167, v4, v167, -v9
	ds_read_b128 v[2:5], v1 offset:672
	s_waitcnt vmcnt(34) lgkmcnt(1)
	v_mul_f32_e32 v185, v168, v165
	v_mul_f32_e32 v6, v169, v165
	s_waitcnt vmcnt(33)
	v_mul_f32_e32 v186, v170, v163
	v_mul_f32_e32 v9, v171, v163
	ds_read_b128 v[162:165], v1 offset:688
	v_fmac_f32_e32 v185, v169, v152
	v_fma_f32 v152, v168, v152, -v6
	v_fmac_f32_e32 v186, v171, v147
	v_fma_f32 v147, v170, v147, -v9
	s_waitcnt vmcnt(32) lgkmcnt(1)
	v_mul_f32_e32 v168, v2, v151
	v_mul_f32_e32 v6, v3, v151
	s_waitcnt vmcnt(31)
	v_mul_f32_e32 v151, v4, v149
	v_mul_f32_e32 v9, v5, v149
	v_fmac_f32_e32 v168, v3, v11
	v_fma_f32 v149, v2, v11, -v6
	s_waitcnt vmcnt(27)
	v_fmac_f32_e32 v151, v5, v161
	v_fma_f32 v161, v4, v161, -v9
	ds_read_b128 v[2:5], v1 offset:704
	s_waitcnt vmcnt(26) lgkmcnt(1)
	v_mul_f32_e32 v169, v162, v157
	v_mul_f32_e32 v6, v163, v157
	s_waitcnt vmcnt(25)
	v_mul_f32_e32 v170, v164, v155
	v_mul_f32_e32 v9, v165, v155
	ds_read_b128 v[154:157], v1 offset:720
	v_fmac_f32_e32 v169, v163, v146
	v_fma_f32 v146, v162, v146, -v6
	v_fmac_f32_e32 v170, v165, v142
	v_fma_f32 v142, v164, v142, -v9
	s_waitcnt vmcnt(24) lgkmcnt(1)
	v_mul_f32_e32 v162, v2, v144
	v_mul_f32_e32 v6, v3, v144
	s_waitcnt vmcnt(23)
	v_mul_f32_e32 v144, v4, v143
	v_mul_f32_e32 v9, v5, v143
	v_fmac_f32_e32 v162, v3, v8
	v_fma_f32 v143, v2, v8, -v6
	s_waitcnt vmcnt(19)
	v_fmac_f32_e32 v144, v5, v153
	v_fma_f32 v153, v4, v153, -v9
	ds_read_b128 v[2:5], v1 offset:736
	s_waitcnt vmcnt(18) lgkmcnt(1)
	v_mul_f32_e32 v163, v154, v150
	v_mul_f32_e32 v6, v155, v150
	s_waitcnt vmcnt(17)
	v_mul_f32_e32 v150, v156, v148
	v_mul_f32_e32 v8, v157, v148
	v_fmac_f32_e32 v163, v155, v140
	v_fma_f32 v140, v154, v140, -v6
	v_fmac_f32_e32 v150, v157, v12
	v_fma_f32 v12, v156, v12, -v8
	ds_read_b128 v[8:11], v1 offset:752
	s_waitcnt vmcnt(16) lgkmcnt(1)
	v_mul_f32_e32 v148, v2, v139
	v_mul_f32_e32 v6, v3, v139
	s_waitcnt vmcnt(15)
	v_mul_f32_e32 v139, v4, v138
	v_mul_f32_e32 v138, v5, v138
	v_fmac_f32_e32 v148, v3, v7
	v_fma_f32 v154, v2, v7, -v6
	s_waitcnt vmcnt(11)
	v_fmac_f32_e32 v139, v5, v182
	v_fma_f32 v138, v4, v182, -v138
	ds_read_b128 v[2:5], v1 offset:768
	s_waitcnt vmcnt(10) lgkmcnt(1)
	v_mul_f32_e32 v155, v8, v181
	v_mul_f32_e32 v6, v9, v181
	s_waitcnt vmcnt(9)
	v_mul_f32_e32 v7, v11, v180
	v_mul_f32_e32 v156, v10, v180
	buffer_load_dword v180, off, s[0:3], 0 offset:316
	v_fmac_f32_e32 v155, v9, v179
	v_fma_f32 v157, v8, v179, -v6
	v_fma_f32 v10, v10, v176, -v7
	ds_read_b128 v[6:9], v1 offset:784
	v_fmac_f32_e32 v156, v11, v176
	buffer_load_dword v11, off, s[0:3], 0 offset:308
	s_waitcnt vmcnt(10) lgkmcnt(1)
	v_mul_f32_e32 v164, v2, v178
	v_mul_f32_e32 v165, v3, v178
	s_waitcnt vmcnt(9)
	v_mul_f32_e32 v171, v4, v177
	v_mul_f32_e32 v176, v5, v177
	v_fmac_f32_e32 v164, v3, v175
	v_fma_f32 v165, v2, v175, -v165
	s_waitcnt vmcnt(5)
	v_fmac_f32_e32 v171, v5, v193
	v_fma_f32 v175, v4, v193, -v176
	ds_read_b128 v[2:5], v1 offset:800
	s_waitcnt vmcnt(4) lgkmcnt(1)
	v_mul_f32_e32 v176, v6, v194
	v_mul_f32_e32 v177, v7, v194
	s_waitcnt vmcnt(3)
	v_mul_f32_e32 v178, v8, v195
	v_mul_f32_e32 v179, v9, v195
	v_fmac_f32_e32 v176, v7, v192
	v_fma_f32 v177, v6, v192, -v177
	v_fmac_f32_e32 v178, v9, v191
	v_fma_f32 v179, v8, v191, -v179
	s_clause 0x4
	buffer_load_dword v181, off, s[0:3], 0 offset:336
	buffer_load_dword v182, off, s[0:3], 0 offset:328
	buffer_load_dword v191, off, s[0:3], 0 offset:320
	buffer_load_dword v192, off, s[0:3], 0 offset:312
	buffer_load_dword v193, off, s[0:3], 0 offset:324
	v_add_f32_e32 v7, 0, v196
	v_add_f32_e32 v6, 0, v199
	s_clause 0x1
	buffer_load_dword v194, off, s[0:3], 0 offset:332
	buffer_load_dword v195, off, s[0:3], 0 offset:340
	v_add_f32_e32 v7, v7, v197
	v_add_f32_e32 v6, v6, v200
	;; [unrolled: 1-line block ×4, first 2 shown]
	s_clause 0x1
	buffer_load_dword v187, off, s[0:3], 0 offset:348
	buffer_load_dword v196, off, s[0:3], 0 offset:356
	v_add_f32_e32 v7, v7, v202
	v_add_f32_e32 v6, v6, v173
	v_add_f32_e32 v7, v7, v188
	v_add_f32_e32 v6, v6, v166
	s_clause 0x3
	buffer_load_dword v166, off, s[0:3], 0 offset:368
	buffer_load_dword v173, off, s[0:3], 0 offset:360
	;; [unrolled: 1-line block ×4, first 2 shown]
	v_add_f32_e32 v7, v7, v172
	v_add_f32_e32 v6, v6, v159
	s_clause 0x2
	buffer_load_dword v159, off, s[0:3], 0 offset:364
	buffer_load_dword v172, off, s[0:3], 0 offset:372
	;; [unrolled: 1-line block ×3, first 2 shown]
	v_add_f32_e32 v7, v7, v189
	v_add_f32_e32 v6, v6, v145
	;; [unrolled: 1-line block ×6, first 2 shown]
	s_clause 0x4
	buffer_load_dword v160, off, s[0:3], 0 offset:400
	buffer_load_dword v189, off, s[0:3], 0 offset:392
	;; [unrolled: 1-line block ×5, first 2 shown]
	v_add_f32_e32 v7, v7, v205
	v_add_f32_e32 v6, v6, v183
	buffer_load_dword v183, off, s[0:3], 0 offset:388
	v_add_f32_e32 v7, v7, v184
	v_add_f32_e32 v6, v6, v141
	buffer_load_dword v184, off, s[0:3], 0 offset:404
	v_add_f32_e32 v7, v7, v158
	v_add_f32_e32 v6, v6, v167
	s_clause 0x4
	buffer_load_dword v167, off, s[0:3], 0 offset:412
	buffer_load_dword v202, off, s[0:3], 0 offset:420
	;; [unrolled: 1-line block ×5, first 2 shown]
	v_add_f32_e32 v7, v7, v185
	v_add_f32_e32 v6, v6, v152
	s_clause 0x3
	buffer_load_dword v185, off, s[0:3], 0 offset:452
	buffer_load_dword v205, off, s[0:3], 0 offset:460
	buffer_load_dword v206, off, s[0:3], 0 offset:468
	buffer_load_dword v207, off, s[0:3], 0 offset:484
	v_add_f32_e32 v7, v7, v186
	v_add_f32_e32 v6, v6, v147
	buffer_load_dword v186, off, s[0:3], 0 offset:476
	v_add_f32_e32 v7, v7, v168
	v_add_f32_e32 v6, v6, v149
	buffer_load_dword v168, off, s[0:3], 0 offset:492
	v_add_f32_e32 v7, v7, v151
	v_add_f32_e32 v6, v6, v161
	;; [unrolled: 1-line block ×3, first 2 shown]
	s_clause 0x3
	buffer_load_dword v161, off, s[0:3], 0 offset:432
	buffer_load_dword v169, off, s[0:3], 0 offset:424
	buffer_load_dword v208, off, s[0:3], 0 offset:416
	buffer_load_dword v209, off, s[0:3], 0 offset:408
	v_add_f32_e32 v6, v6, v146
	v_add_f32_e32 v7, v7, v170
	;; [unrolled: 1-line block ×4, first 2 shown]
	s_clause 0x6
	buffer_load_dword v162, off, s[0:3], 0 offset:464
	buffer_load_dword v170, off, s[0:3], 0 offset:456
	;; [unrolled: 1-line block ×7, first 2 shown]
	v_add_f32_e32 v6, v6, v143
	v_add_f32_e32 v7, v7, v144
	;; [unrolled: 1-line block ×4, first 2 shown]
	buffer_load_dword v163, off, s[0:3], 0 offset:56
	v_add_f32_e32 v6, v6, v140
	v_add_f32_e32 v7, v7, v150
	;; [unrolled: 1-line block ×3, first 2 shown]
	s_waitcnt vmcnt(46) lgkmcnt(0)
	v_mul_f32_e32 v12, v2, v11
	v_mul_f32_e32 v8, v3, v11
	v_fmac_f32_e32 v12, v3, v174
	v_fma_f32 v11, v2, v174, -v8
	v_add_f32_e32 v2, v6, v154
	v_add_f32_e32 v3, v7, v148
	ds_read_b128 v[6:9], v1 offset:816
	v_mul_f32_e32 v154, v4, v180
	v_add_f32_e32 v138, v2, v138
	v_mul_f32_e32 v2, v5, v180
	v_add_f32_e32 v139, v3, v139
	v_add_f32_e32 v142, v138, v157
	;; [unrolled: 1-line block ×3, first 2 shown]
	ds_read_b128 v[138:141], v1 offset:848
	v_add_f32_e32 v10, v142, v10
	v_add_f32_e32 v143, v143, v156
	s_waitcnt vmcnt(42)
	v_fmac_f32_e32 v154, v5, v192
	v_fma_f32 v174, v4, v192, -v2
	ds_read_b128 v[2:5], v1 offset:832
	s_waitcnt vmcnt(41) lgkmcnt(2)
	v_mul_f32_e32 v142, v7, v193
	v_mul_f32_e32 v155, v6, v193
	v_add_f32_e32 v10, v10, v165
	s_waitcnt vmcnt(40)
	v_mul_f32_e32 v146, v9, v194
	v_fma_f32 v156, v6, v191, -v142
	v_add_f32_e32 v6, v143, v164
	v_fmac_f32_e32 v155, v7, v191
	v_add_f32_e32 v7, v10, v175
	v_mul_f32_e32 v10, v8, v194
	ds_read_b128 v[142:145], v1 offset:864
	v_add_f32_e32 v6, v6, v171
	v_fma_f32 v157, v8, v182, -v146
	v_add_f32_e32 v7, v7, v177
	v_fmac_f32_e32 v10, v9, v182
	s_waitcnt vmcnt(37) lgkmcnt(2)
	v_mul_f32_e32 v151, v139, v196
	v_add_f32_e32 v6, v6, v176
	v_mul_f32_e32 v171, v138, v196
	s_waitcnt lgkmcnt(1)
	v_mul_f32_e32 v147, v3, v195
	v_mul_f32_e32 v164, v2, v195
	;; [unrolled: 1-line block ×4, first 2 shown]
	s_waitcnt vmcnt(34)
	v_fma_f32 v177, v138, v197, -v151
	v_fma_f32 v175, v2, v181, -v147
	v_add_f32_e32 v2, v7, v179
	v_fmac_f32_e32 v164, v3, v181
	v_add_f32_e32 v3, v6, v178
	s_waitcnt vmcnt(33)
	v_fma_f32 v176, v4, v199, -v150
	ds_read_b128 v[6:9], v1 offset:880
	ds_read_b128 v[146:149], v1 offset:896
	v_add_f32_e32 v11, v2, v11
	v_fmac_f32_e32 v165, v5, v199
	v_add_f32_e32 v12, v3, v12
	s_waitcnt vmcnt(32)
	v_mul_f32_e32 v138, v141, v159
	v_fmac_f32_e32 v171, v139, v197
	v_add_f32_e32 v11, v11, v174
	v_mul_f32_e32 v174, v140, v159
	v_add_f32_e32 v12, v12, v154
	s_waitcnt vmcnt(31) lgkmcnt(2)
	v_mul_f32_e32 v159, v142, v172
	v_mul_f32_e32 v139, v143, v172
	v_add_f32_e32 v11, v11, v156
	v_fmac_f32_e32 v174, v141, v173
	v_add_f32_e32 v12, v12, v155
	v_fma_f32 v173, v140, v173, -v138
	s_waitcnt vmcnt(30)
	v_mul_f32_e32 v172, v145, v188
	v_add_f32_e32 v11, v11, v157
	v_fmac_f32_e32 v159, v143, v166
	v_add_f32_e32 v10, v12, v10
	v_fma_f32 v166, v142, v166, -v139
	v_mul_f32_e32 v178, v144, v188
	v_add_f32_e32 v11, v11, v175
	s_waitcnt vmcnt(26)
	v_fma_f32 v172, v144, v200, -v172
	v_add_f32_e32 v10, v10, v164
	s_waitcnt vmcnt(24) lgkmcnt(1)
	v_mul_f32_e32 v12, v7, v183
	ds_read_b128 v[2:5], v1 offset:912
	ds_read_b128 v[150:153], v1 offset:928
	v_add_f32_e32 v11, v11, v176
	ds_read_b128 v[138:141], v1 offset:944
	ds_read_b128 v[154:157], v1 offset:960
	v_add_f32_e32 v10, v10, v165
	v_fmac_f32_e32 v178, v145, v200
	ds_read_b128 v[142:145], v1 offset:976
	v_add_f32_e32 v11, v11, v177
	v_mul_f32_e32 v1, v6, v183
	v_add_f32_e32 v10, v10, v171
	v_mul_f32_e32 v175, v9, v201
	v_fma_f32 v6, v6, v190, -v12
	v_add_f32_e32 v11, v11, v173
	v_mul_f32_e32 v164, v8, v201
	v_add_f32_e32 v10, v10, v174
	v_fmac_f32_e32 v1, v7, v190
	s_waitcnt vmcnt(23) lgkmcnt(5)
	v_mul_f32_e32 v12, v147, v184
	v_add_f32_e32 v11, v11, v166
	v_fma_f32 v8, v8, v189, -v175
	v_add_f32_e32 v10, v10, v159
	v_mul_f32_e32 v176, v146, v184
	v_fmac_f32_e32 v164, v9, v189
	v_add_f32_e32 v11, v11, v172
	s_waitcnt vmcnt(22)
	v_mul_f32_e32 v9, v149, v167
	v_add_f32_e32 v10, v10, v178
	v_mul_f32_e32 v165, v148, v167
	v_fmac_f32_e32 v176, v147, v160
	v_add_f32_e32 v6, v11, v6
	s_waitcnt vmcnt(21) lgkmcnt(4)
	v_mul_f32_e32 v179, v2, v202
	v_add_f32_e32 v1, v10, v1
	v_fma_f32 v10, v146, v160, -v12
	s_waitcnt vmcnt(8)
	v_fma_f32 v9, v148, v209, -v9
	v_add_f32_e32 v6, v6, v8
	v_mul_f32_e32 v8, v3, v202
	v_add_f32_e32 v1, v1, v164
	v_fmac_f32_e32 v165, v149, v209
	v_fmac_f32_e32 v179, v3, v208
	v_add_f32_e32 v6, v6, v10
	v_mul_f32_e32 v10, v5, v158
	v_add_f32_e32 v1, v1, v176
	v_fma_f32 v2, v2, v208, -v8
	v_mul_f32_e32 v177, v4, v158
	v_add_f32_e32 v3, v6, v9
	s_waitcnt lgkmcnt(3)
	v_mul_f32_e32 v6, v151, v203
	v_add_f32_e32 v1, v1, v165
	v_fma_f32 v4, v4, v169, -v10
	v_mul_f32_e32 v171, v150, v203
	v_add_f32_e32 v2, v3, v2
	v_fmac_f32_e32 v177, v5, v169
	v_add_f32_e32 v1, v1, v179
	v_mul_f32_e32 v3, v153, v204
	v_fma_f32 v5, v150, v161, -v6
	v_add_f32_e32 v2, v2, v4
	v_mul_f32_e32 v180, v152, v204
	v_fmac_f32_e32 v171, v151, v161
	v_add_f32_e32 v1, v1, v177
	s_waitcnt lgkmcnt(2)
	v_mul_f32_e32 v4, v139, v185
	s_waitcnt vmcnt(4)
	v_fma_f32 v3, v152, v211, -v3
	v_add_f32_e32 v2, v2, v5
	v_mul_f32_e32 v173, v138, v185
	v_fmac_f32_e32 v180, v153, v211
	v_add_f32_e32 v1, v1, v171
	v_mul_f32_e32 v5, v141, v205
	v_fma_f32 v4, v138, v210, -v4
	v_add_f32_e32 v2, v2, v3
	v_mul_f32_e32 v174, v140, v205
	v_fmac_f32_e32 v173, v139, v210
	v_add_f32_e32 v1, v1, v180
	s_waitcnt lgkmcnt(1)
	v_mul_f32_e32 v3, v155, v206
	v_fma_f32 v5, v140, v170, -v5
	v_add_f32_e32 v2, v2, v4
	v_mul_f32_e32 v181, v154, v206
	v_fmac_f32_e32 v174, v141, v170
	v_add_f32_e32 v1, v1, v173
	v_mul_f32_e32 v4, v157, v186
	v_fma_f32 v3, v154, v162, -v3
	v_add_f32_e32 v2, v2, v5
	v_mul_f32_e32 v166, v156, v186
	v_fmac_f32_e32 v181, v155, v162
	v_add_f32_e32 v1, v1, v174
	s_waitcnt lgkmcnt(0)
	v_mul_f32_e32 v5, v143, v207
	s_waitcnt vmcnt(1)
	v_fma_f32 v4, v156, v214, -v4
	v_add_f32_e32 v2, v2, v3
	v_mul_f32_e32 v159, v142, v207
	v_fmac_f32_e32 v166, v157, v214
	v_add_f32_e32 v1, v1, v181
	v_mul_f32_e32 v3, v145, v168
	v_fma_f32 v5, v142, v213, -v5
	v_add_f32_e32 v2, v2, v4
	v_mul_f32_e32 v7, v144, v168
	v_fmac_f32_e32 v159, v143, v213
	v_add_f32_e32 v1, v1, v166
	v_fma_f32 v3, v144, v212, -v3
	v_add_f32_e32 v2, v2, v5
	v_fmac_f32_e32 v7, v145, v212
	v_add_f32_e32 v1, v1, v159
	v_add_f32_e32 v2, v2, v3
	;; [unrolled: 1-line block ×3, first 2 shown]
	s_waitcnt vmcnt(0)
	v_sub_f32_e32 v2, v163, v2
	v_sub_f32_e32 v1, v198, v1
	buffer_store_dword v2, off, s[0:3], 0 offset:56
	buffer_store_dword v1, off, s[0:3], 0 offset:60
	v_cmpx_lt_u32_e32 6, v0
	s_cbranch_execz .LBB125_373
; %bb.372:
	s_clause 0x1
	buffer_load_dword v1, off, s[0:3], 0 offset:48
	buffer_load_dword v2, off, s[0:3], 0 offset:52
	v_mov_b32_e32 v3, 0
	buffer_store_dword v3, off, s[0:3], 0 offset:48
	buffer_store_dword v3, off, s[0:3], 0 offset:52
	s_waitcnt vmcnt(0)
	ds_write_b64 v137, v[1:2]
.LBB125_373:
	s_or_b32 exec_lo, exec_lo, s4
	s_waitcnt lgkmcnt(0)
	s_waitcnt_vscnt null, 0x0
	s_barrier
	buffer_gl0_inv
	s_clause 0x3c
	buffer_load_dword v2, off, s[0:3], 0 offset:60
	buffer_load_dword v3, off, s[0:3], 0 offset:68
	;; [unrolled: 1-line block ×61, first 2 shown]
	v_mov_b32_e32 v1, 0
	ds_read2_b64 v[186:189], v1 offset0:69 offset1:70
	ds_read2_b64 v[190:193], v1 offset0:71 offset1:72
	buffer_load_dword v184, off, s[0:3], 0 offset:52
	s_mov_b32 s4, exec_lo
	s_waitcnt vmcnt(61) lgkmcnt(1)
	v_mul_f32_e32 v197, v186, v2
	v_mul_f32_e32 v2, v187, v2
	s_waitcnt vmcnt(60)
	v_mul_f32_e32 v198, v188, v3
	v_mul_f32_e32 v3, v189, v3
	s_waitcnt vmcnt(59) lgkmcnt(0)
	v_mul_f32_e32 v199, v190, v4
	v_mul_f32_e32 v200, v191, v4
	s_waitcnt vmcnt(58)
	v_mul_f32_e32 v201, v192, v5
	v_mul_f32_e32 v202, v193, v5
	s_waitcnt vmcnt(55)
	v_fmac_f32_e32 v197, v187, v8
	v_fma_f32 v8, v186, v8, -v2
	v_fmac_f32_e32 v198, v189, v7
	v_fma_f32 v7, v188, v7, -v3
	ds_read2_b64 v[2:5], v1 offset0:73 offset1:74
	ds_read2_b64 v[186:189], v1 offset0:75 offset1:76
	v_fmac_f32_e32 v199, v191, v6
	v_fma_f32 v6, v190, v6, -v200
	s_waitcnt vmcnt(51)
	v_fma_f32 v190, v192, v168, -v202
	v_fmac_f32_e32 v201, v193, v168
	v_add_f32_e32 v8, 0, v8
	v_add_f32_e32 v7, v8, v7
	;; [unrolled: 1-line block ×3, first 2 shown]
	s_waitcnt vmcnt(50) lgkmcnt(1)
	v_mul_f32_e32 v191, v2, v165
	v_mul_f32_e32 v165, v3, v165
	s_waitcnt vmcnt(49)
	v_mul_f32_e32 v192, v4, v163
	v_mul_f32_e32 v163, v5, v163
	s_waitcnt vmcnt(48) lgkmcnt(0)
	v_mul_f32_e32 v193, v186, v160
	v_fmac_f32_e32 v191, v3, v147
	v_fma_f32 v147, v2, v147, -v165
	v_fmac_f32_e32 v192, v5, v143
	v_fma_f32 v163, v4, v143, -v163
	ds_read2_b64 v[2:5], v1 offset0:77 offset1:78
	v_mul_f32_e32 v160, v187, v160
	s_waitcnt vmcnt(47)
	v_mul_f32_e32 v200, v188, v158
	v_mul_f32_e32 v158, v189, v158
	v_fmac_f32_e32 v193, v187, v138
	v_fma_f32 v138, v186, v138, -v160
	s_waitcnt vmcnt(43)
	v_fmac_f32_e32 v200, v189, v173
	v_fma_f32 v165, v188, v173, -v158
	ds_read2_b64 v[186:189], v1 offset0:79 offset1:80
	s_waitcnt vmcnt(42) lgkmcnt(1)
	v_mul_f32_e32 v173, v2, v172
	v_mul_f32_e32 v143, v3, v172
	s_waitcnt vmcnt(41)
	v_mul_f32_e32 v172, v4, v171
	v_mul_f32_e32 v158, v5, v171
	v_fmac_f32_e32 v173, v3, v153
	v_fma_f32 v153, v2, v153, -v143
	v_fmac_f32_e32 v172, v5, v150
	v_fma_f32 v150, v4, v150, -v158
	ds_read2_b64 v[2:5], v1 offset0:81 offset1:82
	s_waitcnt vmcnt(40) lgkmcnt(1)
	v_mul_f32_e32 v171, v186, v169
	s_waitcnt vmcnt(39)
	v_mul_f32_e32 v202, v188, v167
	v_mul_f32_e32 v167, v189, v167
	v_mul_f32_e32 v160, v187, v169
	v_fmac_f32_e32 v171, v187, v144
	s_waitcnt vmcnt(35)
	v_fmac_f32_e32 v202, v189, v170
	v_fma_f32 v187, v188, v170, -v167
	ds_read2_b64 v[167:170], v1 offset0:83 offset1:84
	v_fma_f32 v186, v186, v144, -v160
	s_waitcnt vmcnt(34) lgkmcnt(1)
	v_mul_f32_e32 v188, v2, v166
	v_mul_f32_e32 v143, v3, v166
	s_waitcnt vmcnt(33)
	v_mul_f32_e32 v166, v4, v164
	v_mul_f32_e32 v144, v5, v164
	v_fmac_f32_e32 v188, v3, v148
	v_fma_f32 v148, v2, v148, -v143
	v_fmac_f32_e32 v166, v5, v145
	v_fma_f32 v203, v4, v145, -v144
	ds_read2_b64 v[2:5], v1 offset0:85 offset1:86
	s_waitcnt vmcnt(32) lgkmcnt(1)
	v_mul_f32_e32 v164, v167, v161
	v_mul_f32_e32 v158, v168, v161
	s_waitcnt vmcnt(31)
	v_mul_f32_e32 v189, v169, v159
	v_mul_f32_e32 v159, v170, v159
	v_fmac_f32_e32 v164, v168, v139
	v_fma_f32 v139, v167, v139, -v158
	s_waitcnt vmcnt(27)
	v_fmac_f32_e32 v189, v170, v162
	v_fma_f32 v162, v169, v162, -v159
	ds_read2_b64 v[158:161], v1 offset0:87 offset1:88
	s_waitcnt vmcnt(26) lgkmcnt(1)
	v_mul_f32_e32 v167, v2, v157
	v_mul_f32_e32 v143, v3, v157
	s_waitcnt vmcnt(25)
	v_mul_f32_e32 v157, v4, v156
	v_mul_f32_e32 v144, v5, v156
	v_fmac_f32_e32 v167, v3, v142
	v_fma_f32 v168, v2, v142, -v143
	v_fmac_f32_e32 v157, v5, v140
	v_fma_f32 v140, v4, v140, -v144
	ds_read2_b64 v[2:5], v1 offset0:89 offset1:90
	s_waitcnt vmcnt(24) lgkmcnt(1)
	v_mul_f32_e32 v156, v158, v154
	v_mul_f32_e32 v145, v159, v154
	s_waitcnt vmcnt(23)
	v_mul_f32_e32 v154, v160, v152
	v_mul_f32_e32 v152, v161, v152
	v_fmac_f32_e32 v156, v159, v10
	v_fma_f32 v10, v158, v10, -v145
	ds_read2_b64 v[142:145], v1 offset0:91 offset1:92
	s_waitcnt vmcnt(19)
	v_fmac_f32_e32 v154, v161, v155
	v_fma_f32 v152, v160, v155, -v152
	buffer_load_dword v155, off, s[0:3], 0 offset:300
	s_waitcnt vmcnt(18) lgkmcnt(1)
	v_mul_f32_e32 v159, v4, v149
	v_mul_f32_e32 v149, v5, v149
	;; [unrolled: 1-line block ×4, first 2 shown]
	v_fmac_f32_e32 v159, v5, v11
	v_fma_f32 v11, v4, v11, -v149
	s_clause 0x4
	buffer_load_dword v149, off, s[0:3], 0 offset:308
	buffer_load_dword v161, off, s[0:3], 0 offset:328
	;; [unrolled: 1-line block ×5, first 2 shown]
	s_waitcnt vmcnt(22) lgkmcnt(0)
	v_mul_f32_e32 v160, v142, v146
	v_mul_f32_e32 v146, v143, v146
	v_fmac_f32_e32 v158, v3, v141
	v_fma_f32 v141, v2, v141, -v151
	s_waitcnt vmcnt(21)
	v_mul_f32_e32 v2, v145, v12
	v_mul_f32_e32 v151, v144, v12
	v_fmac_f32_e32 v160, v143, v9
	v_fma_f32 v12, v142, v9, -v146
	v_add_f32_e32 v9, 0, v197
	s_waitcnt vmcnt(17)
	v_fma_f32 v142, v144, v182, -v2
	ds_read2_b64 v[2:5], v1 offset0:93 offset1:94
	buffer_load_dword v143, off, s[0:3], 0 offset:316
	v_add_f32_e32 v144, v6, v190
	v_add_f32_e32 v8, v9, v198
	v_fmac_f32_e32 v151, v145, v182
	s_clause 0x2
	buffer_load_dword v146, off, s[0:3], 0 offset:324
	buffer_load_dword v182, off, s[0:3], 0 offset:332
	buffer_load_dword v190, off, s[0:3], 0 offset:340
	v_add_f32_e32 v144, v144, v147
	v_add_f32_e32 v7, v8, v199
	;; [unrolled: 1-line block ×4, first 2 shown]
	ds_read2_b64 v[6:9], v1 offset0:95 offset1:96
	buffer_load_dword v163, off, s[0:3], 0 offset:348
	v_add_f32_e32 v145, v145, v191
	s_waitcnt vmcnt(21) lgkmcnt(1)
	v_mul_f32_e32 v147, v2, v181
	v_mul_f32_e32 v181, v3, v181
	s_waitcnt vmcnt(20)
	v_mul_f32_e32 v191, v4, v180
	v_mul_f32_e32 v180, v5, v180
	v_fmac_f32_e32 v147, v3, v179
	v_fma_f32 v179, v2, v179, -v181
	v_add_f32_e32 v2, v145, v192
	v_fmac_f32_e32 v191, v5, v178
	v_fma_f32 v178, v4, v178, -v180
	s_clause 0x3
	buffer_load_dword v180, off, s[0:3], 0 offset:360
	buffer_load_dword v181, off, s[0:3], 0 offset:352
	;; [unrolled: 1-line block ×4, first 2 shown]
	v_add_f32_e32 v3, v144, v138
	v_add_f32_e32 v2, v2, v193
	s_waitcnt vmcnt(23) lgkmcnt(0)
	v_mul_f32_e32 v145, v6, v176
	v_add_f32_e32 v138, v3, v165
	s_clause 0x2
	buffer_load_dword v165, off, s[0:3], 0 offset:356
	buffer_load_dword v193, off, s[0:3], 0 offset:364
	;; [unrolled: 1-line block ×3, first 2 shown]
	v_add_f32_e32 v144, v2, v200
	ds_read2_b64 v[2:5], v1 offset0:97 offset1:98
	v_fmac_f32_e32 v145, v7, v174
	v_add_f32_e32 v138, v138, v153
	v_mul_f32_e32 v153, v7, v176
	v_add_f32_e32 v144, v144, v173
	s_waitcnt vmcnt(25)
	v_mul_f32_e32 v173, v8, v175
	v_mul_f32_e32 v175, v9, v175
	v_add_f32_e32 v7, v138, v150
	v_fma_f32 v150, v6, v174, -v153
	v_add_f32_e32 v6, v144, v172
	s_waitcnt vmcnt(21)
	v_fmac_f32_e32 v173, v9, v195
	v_fma_f32 v153, v8, v195, -v175
	v_add_f32_e32 v138, v7, v186
	s_clause 0x4
	buffer_load_dword v172, off, s[0:3], 0 offset:392
	buffer_load_dword v174, off, s[0:3], 0 offset:384
	;; [unrolled: 1-line block ×5, first 2 shown]
	v_add_f32_e32 v144, v6, v171
	ds_read2_b64 v[6:9], v1 offset0:99 offset1:100
	v_add_f32_e32 v138, v138, v187
	v_add_f32_e32 v144, v144, v202
	s_waitcnt vmcnt(25) lgkmcnt(1)
	v_mul_f32_e32 v187, v3, v196
	v_mul_f32_e32 v171, v2, v196
	v_add_f32_e32 v138, v138, v148
	s_clause 0x2
	buffer_load_dword v195, off, s[0:3], 0 offset:388
	buffer_load_dword v196, off, s[0:3], 0 offset:396
	;; [unrolled: 1-line block ×3, first 2 shown]
	v_fma_f32 v148, v2, v194, -v187
	v_add_f32_e32 v2, v144, v188
	v_fmac_f32_e32 v171, v3, v194
	v_add_f32_e32 v3, v138, v203
	s_waitcnt vmcnt(27)
	v_mul_f32_e32 v187, v4, v185
	s_clause 0x1
	buffer_load_dword v188, off, s[0:3], 0 offset:412
	buffer_load_dword v194, off, s[0:3], 0 offset:420
	v_add_f32_e32 v2, v2, v166
	v_mul_f32_e32 v138, v5, v185
	v_add_f32_e32 v3, v3, v139
	s_clause 0x2
	buffer_load_dword v166, off, s[0:3], 0 offset:428
	buffer_load_dword v185, off, s[0:3], 0 offset:436
	buffer_load_dword v200, off, s[0:3], 0 offset:444
	v_add_f32_e32 v2, v2, v164
	v_fmac_f32_e32 v187, v5, v183
	v_add_f32_e32 v3, v3, v162
	s_clause 0x2
	buffer_load_dword v162, off, s[0:3], 0 offset:452
	buffer_load_dword v164, off, s[0:3], 0 offset:460
	;; [unrolled: 1-line block ×3, first 2 shown]
	v_fma_f32 v183, v4, v183, -v138
	v_add_f32_e32 v2, v2, v189
	v_add_f32_e32 v3, v3, v168
	s_clause 0x2
	buffer_load_dword v168, off, s[0:3], 0 offset:476
	buffer_load_dword v189, off, s[0:3], 0 offset:484
	;; [unrolled: 1-line block ×3, first 2 shown]
	v_add_f32_e32 v2, v2, v167
	s_clause 0x7
	buffer_load_dword v167, off, s[0:3], 0 offset:424
	buffer_load_dword v203, off, s[0:3], 0 offset:416
	;; [unrolled: 1-line block ×8, first 2 shown]
	v_add_f32_e32 v3, v3, v140
	v_add_f32_e32 v2, v2, v157
	v_add_f32_e32 v3, v3, v10
	v_add_f32_e32 v2, v2, v156
	v_add_f32_e32 v3, v3, v152
	v_add_f32_e32 v2, v2, v154
	v_add_f32_e32 v3, v3, v141
	v_add_f32_e32 v2, v2, v158
	s_clause 0x3
	buffer_load_dword v158, off, s[0:3], 0 offset:488
	buffer_load_dword v211, off, s[0:3], 0 offset:480
	;; [unrolled: 1-line block ×4, first 2 shown]
	v_add_f32_e32 v3, v3, v11
	v_add_f32_e32 v2, v2, v159
	buffer_load_dword v159, off, s[0:3], 0 offset:48
	v_add_f32_e32 v3, v3, v12
	v_add_f32_e32 v2, v2, v160
	s_waitcnt vmcnt(49) lgkmcnt(0)
	v_mul_f32_e32 v10, v6, v155
	v_mul_f32_e32 v4, v7, v155
	v_fmac_f32_e32 v10, v7, v177
	v_fma_f32 v11, v6, v177, -v4
	v_add_f32_e32 v6, v3, v142
	v_add_f32_e32 v7, v2, v151
	ds_read2_b64 v[2:5], v1 offset0:101 offset1:102
	v_add_f32_e32 v12, v6, v179
	s_waitcnt vmcnt(48)
	v_mul_f32_e32 v151, v8, v149
	v_mul_f32_e32 v6, v9, v149
	v_add_f32_e32 v138, v7, v147
	v_add_f32_e32 v12, v12, v178
	s_waitcnt vmcnt(44)
	v_fmac_f32_e32 v151, v9, v204
	v_fma_f32 v152, v8, v204, -v6
	ds_read2_b64 v[6:9], v1 offset0:103 offset1:104
	v_add_f32_e32 v142, v138, v191
	v_add_f32_e32 v12, v12, v150
	ds_read2_b64 v[138:141], v1 offset0:105 offset1:106
	v_add_f32_e32 v142, v142, v145
	v_add_f32_e32 v12, v12, v153
	s_waitcnt vmcnt(43) lgkmcnt(2)
	v_mul_f32_e32 v154, v2, v143
	v_mul_f32_e32 v143, v3, v143
	v_fmac_f32_e32 v154, v3, v170
	v_fma_f32 v155, v2, v170, -v143
	v_add_f32_e32 v2, v142, v173
	v_add_f32_e32 v3, v12, v148
	ds_read2_b64 v[142:145], v1 offset0:107 offset1:108
	s_waitcnt vmcnt(42)
	v_mul_f32_e32 v12, v4, v146
	s_waitcnt vmcnt(41) lgkmcnt(2)
	v_mul_f32_e32 v147, v7, v182
	v_add_f32_e32 v2, v2, v171
	v_add_f32_e32 v3, v3, v183
	v_mul_f32_e32 v160, v6, v182
	v_mul_f32_e32 v146, v5, v146
	v_fma_f32 v157, v6, v161, -v147
	v_add_f32_e32 v2, v2, v187
	v_add_f32_e32 v6, v3, v11
	v_fmac_f32_e32 v160, v7, v161
	s_waitcnt vmcnt(39) lgkmcnt(1)
	v_mul_f32_e32 v171, v138, v163
	v_fma_f32 v156, v4, v169, -v146
	v_add_f32_e32 v7, v2, v10
	v_mul_f32_e32 v10, v139, v163
	v_add_f32_e32 v11, v6, v152
	v_fmac_f32_e32 v12, v5, v169
	v_mul_f32_e32 v150, v9, v190
	v_mul_f32_e32 v170, v8, v190
	s_waitcnt vmcnt(36)
	v_fma_f32 v163, v138, v192, -v10
	v_add_f32_e32 v10, v7, v151
	v_add_f32_e32 v11, v11, v155
	s_waitcnt vmcnt(35)
	v_fma_f32 v161, v8, v197, -v150
	ds_read2_b64 v[2:5], v1 offset0:109 offset1:110
	ds_read2_b64 v[146:149], v1 offset0:111 offset1:112
	v_fmac_f32_e32 v170, v9, v197
	v_add_f32_e32 v10, v10, v154
	v_add_f32_e32 v11, v11, v156
	s_waitcnt vmcnt(34)
	v_mul_f32_e32 v138, v141, v165
	v_fmac_f32_e32 v171, v139, v192
	v_mul_f32_e32 v169, v140, v165
	v_add_f32_e32 v10, v10, v12
	v_add_f32_e32 v12, v11, v157
	s_waitcnt vmcnt(33) lgkmcnt(2)
	v_mul_f32_e32 v139, v143, v193
	v_fma_f32 v178, v140, v181, -v138
	v_mul_f32_e32 v165, v142, v193
	v_add_f32_e32 v160, v10, v160
	v_add_f32_e32 v12, v12, v161
	v_fmac_f32_e32 v169, v141, v181
	s_waitcnt vmcnt(32)
	v_mul_f32_e32 v173, v144, v198
	v_mul_f32_e32 v177, v145, v198
	v_add_f32_e32 v160, v160, v170
	v_add_f32_e32 v12, v12, v163
	v_fma_f32 v179, v142, v180, -v139
	v_fmac_f32_e32 v165, v143, v180
	s_waitcnt vmcnt(28)
	v_fmac_f32_e32 v173, v145, v176
	v_add_f32_e32 v160, v160, v171
	v_add_f32_e32 v12, v12, v178
	v_fma_f32 v176, v144, v176, -v177
	s_waitcnt vmcnt(27) lgkmcnt(1)
	v_mul_f32_e32 v177, v3, v186
	ds_read2_b64 v[6:9], v1 offset0:113 offset1:114
	ds_read2_b64 v[150:153], v1 offset0:115 offset1:116
	v_add_f32_e32 v160, v160, v169
	v_add_f32_e32 v12, v12, v179
	v_mul_f32_e32 v161, v2, v186
	s_waitcnt vmcnt(26)
	v_mul_f32_e32 v180, v5, v195
	v_fma_f32 v2, v2, v175, -v177
	v_add_f32_e32 v160, v160, v165
	v_add_f32_e32 v12, v12, v176
	v_mul_f32_e32 v170, v4, v195
	v_fmac_f32_e32 v161, v3, v175
	s_waitcnt vmcnt(25) lgkmcnt(2)
	v_mul_f32_e32 v177, v147, v196
	v_add_f32_e32 v160, v160, v173
	v_fma_f32 v4, v4, v174, -v180
	v_add_f32_e32 v2, v12, v2
	v_mul_f32_e32 v163, v146, v196
	v_fmac_f32_e32 v170, v5, v174
	v_add_f32_e32 v12, v160, v161
	s_waitcnt vmcnt(24)
	v_mul_f32_e32 v173, v149, v199
	v_fma_f32 v146, v146, v172, -v177
	v_add_f32_e32 v2, v2, v4
	v_mul_f32_e32 v171, v148, v199
	v_fmac_f32_e32 v163, v147, v172
	v_add_f32_e32 v4, v12, v170
	s_waitcnt vmcnt(23) lgkmcnt(1)
	v_mul_f32_e32 v12, v7, v188
	v_add_f32_e32 v2, v2, v146
	ds_read2_b64 v[138:141], v1 offset0:117 offset1:118
	ds_read2_b64 v[154:157], v1 offset0:119 offset1:120
	s_waitcnt vmcnt(9)
	v_fma_f32 v147, v148, v206, -v173
	v_mul_f32_e32 v3, v6, v188
	v_fmac_f32_e32 v171, v149, v206
	v_add_f32_e32 v4, v4, v163
	v_mul_f32_e32 v146, v9, v194
	v_fma_f32 v6, v6, v205, -v12
	v_add_f32_e32 v2, v2, v147
	v_mul_f32_e32 v175, v8, v194
	v_fmac_f32_e32 v3, v7, v205
	v_add_f32_e32 v4, v4, v171
	s_waitcnt lgkmcnt(2)
	v_mul_f32_e32 v7, v151, v166
	v_fma_f32 v8, v8, v203, -v146
	v_add_f32_e32 v2, v2, v6
	v_mul_f32_e32 v169, v150, v166
	v_fmac_f32_e32 v175, v9, v203
	v_add_f32_e32 v3, v4, v3
	v_mul_f32_e32 v4, v153, v185
	v_fma_f32 v6, v150, v167, -v7
	v_add_f32_e32 v2, v2, v8
	v_mul_f32_e32 v5, v152, v185
	v_fmac_f32_e32 v169, v151, v167
	v_add_f32_e32 v3, v3, v175
	s_waitcnt lgkmcnt(1)
	v_mul_f32_e32 v7, v139, v200
	s_waitcnt vmcnt(5)
	v_fma_f32 v4, v152, v210, -v4
	v_add_f32_e32 v2, v2, v6
	ds_read2_b64 v[142:145], v1 offset0:121 offset1:122
	ds_read_b64 v[10:11], v1 offset:984
	v_mul_f32_e32 v174, v138, v200
	v_fmac_f32_e32 v5, v153, v210
	v_add_f32_e32 v3, v3, v169
	v_mul_f32_e32 v6, v141, v162
	v_fma_f32 v7, v138, v209, -v7
	v_add_f32_e32 v2, v2, v4
	v_mul_f32_e32 v165, v140, v162
	v_fmac_f32_e32 v174, v139, v209
	v_add_f32_e32 v3, v3, v5
	s_waitcnt lgkmcnt(2)
	v_mul_f32_e32 v4, v155, v164
	v_fma_f32 v5, v140, v208, -v6
	v_add_f32_e32 v2, v2, v7
	v_mul_f32_e32 v178, v154, v164
	v_fmac_f32_e32 v165, v141, v208
	v_add_f32_e32 v3, v3, v174
	v_mul_f32_e32 v6, v157, v201
	v_fma_f32 v4, v154, v207, -v4
	v_add_f32_e32 v2, v2, v5
	v_mul_f32_e32 v179, v156, v201
	v_fmac_f32_e32 v178, v155, v207
	v_add_f32_e32 v3, v3, v165
	s_waitcnt lgkmcnt(1)
	v_mul_f32_e32 v5, v143, v168
	s_waitcnt vmcnt(1)
	v_fma_f32 v6, v156, v213, -v6
	v_add_f32_e32 v2, v2, v4
	v_mul_f32_e32 v176, v142, v168
	v_fmac_f32_e32 v179, v157, v213
	v_add_f32_e32 v3, v3, v178
	v_mul_f32_e32 v4, v145, v189
	v_fma_f32 v5, v142, v212, -v5
	v_add_f32_e32 v2, v2, v6
	v_mul_f32_e32 v180, v144, v189
	v_fmac_f32_e32 v176, v143, v212
	v_add_f32_e32 v3, v3, v179
	s_waitcnt lgkmcnt(0)
	v_mul_f32_e32 v6, v11, v202
	v_fma_f32 v4, v144, v211, -v4
	v_add_f32_e32 v2, v2, v5
	v_mul_f32_e32 v160, v10, v202
	v_fmac_f32_e32 v180, v145, v211
	v_add_f32_e32 v3, v3, v176
	v_fma_f32 v5, v10, v158, -v6
	v_add_f32_e32 v2, v2, v4
	v_fmac_f32_e32 v160, v11, v158
	v_add_f32_e32 v3, v3, v180
	v_add_f32_e32 v2, v2, v5
	v_add_f32_e32 v3, v3, v160
	s_waitcnt vmcnt(0)
	v_sub_f32_e32 v2, v159, v2
	v_sub_f32_e32 v3, v184, v3
	buffer_store_dword v2, off, s[0:3], 0 offset:48
	buffer_store_dword v3, off, s[0:3], 0 offset:52
	v_cmpx_lt_u32_e32 5, v0
	s_cbranch_execz .LBB125_375
; %bb.374:
	s_clause 0x1
	buffer_load_dword v2, off, s[0:3], 0 offset:40
	buffer_load_dword v3, off, s[0:3], 0 offset:44
	buffer_store_dword v1, off, s[0:3], 0 offset:40
	buffer_store_dword v1, off, s[0:3], 0 offset:44
	s_waitcnt vmcnt(0)
	ds_write_b64 v137, v[2:3]
.LBB125_375:
	s_or_b32 exec_lo, exec_lo, s4
	s_waitcnt lgkmcnt(0)
	s_waitcnt_vscnt null, 0x0
	s_barrier
	buffer_gl0_inv
	s_clause 0x34
	buffer_load_dword v173, off, s[0:3], 0 offset:52
	buffer_load_dword v174, off, s[0:3], 0 offset:60
	;; [unrolled: 1-line block ×53, first 2 shown]
	ds_read_b128 v[181:184], v1 offset:544
	ds_read_b128 v[185:188], v1 offset:560
	;; [unrolled: 1-line block ×4, first 2 shown]
	s_mov_b32 s4, exec_lo
	s_waitcnt vmcnt(52) lgkmcnt(3)
	v_mul_f32_e32 v176, v181, v173
	v_mul_f32_e32 v197, v182, v173
	s_waitcnt vmcnt(51)
	v_mul_f32_e32 v173, v183, v174
	v_mul_f32_e32 v198, v184, v174
	buffer_load_dword v174, off, s[0:3], 0 offset:44
	s_waitcnt vmcnt(49)
	v_fmac_f32_e32 v176, v182, v6
	v_fma_f32 v197, v181, v6, -v197
	v_fmac_f32_e32 v173, v184, v5
	v_fma_f32 v198, v183, v5, -v198
	ds_read_b128 v[181:184], v1 offset:608
	s_waitcnt vmcnt(48) lgkmcnt(3)
	v_mul_f32_e32 v199, v185, v4
	v_mul_f32_e32 v4, v186, v4
	s_waitcnt vmcnt(47)
	v_mul_f32_e32 v200, v187, v3
	v_mul_f32_e32 v3, v188, v3
	s_waitcnt vmcnt(46) lgkmcnt(2)
	v_mul_f32_e32 v201, v189, v8
	v_fmac_f32_e32 v199, v186, v2
	v_fma_f32 v203, v185, v2, -v4
	s_waitcnt vmcnt(41)
	v_fmac_f32_e32 v200, v188, v139
	v_fma_f32 v139, v187, v139, -v3
	ds_read_b128 v[2:5], v1 offset:624
	ds_read_b128 v[185:188], v1 offset:640
	v_mul_f32_e32 v6, v190, v8
	v_mul_f32_e32 v202, v191, v7
	;; [unrolled: 1-line block ×3, first 2 shown]
	v_fmac_f32_e32 v201, v190, v138
	v_fma_f32 v138, v189, v138, -v6
	v_fmac_f32_e32 v202, v192, v11
	v_fma_f32 v11, v191, v11, -v7
	s_waitcnt vmcnt(40) lgkmcnt(3)
	v_mul_f32_e32 v189, v193, v12
	v_mul_f32_e32 v6, v194, v12
	s_waitcnt vmcnt(39)
	v_mul_f32_e32 v12, v195, v10
	v_mul_f32_e32 v7, v196, v10
	s_waitcnt vmcnt(34) lgkmcnt(2)
	v_mul_f32_e32 v191, v181, v170
	v_fmac_f32_e32 v189, v194, v9
	v_fma_f32 v190, v193, v9, -v6
	v_fmac_f32_e32 v12, v196, v171
	v_fma_f32 v171, v195, v171, -v7
	ds_read_b128 v[6:9], v1 offset:656
	v_mul_f32_e32 v170, v182, v170
	s_waitcnt vmcnt(33)
	v_mul_f32_e32 v192, v183, v169
	v_mul_f32_e32 v169, v184, v169
	s_waitcnt vmcnt(32) lgkmcnt(2)
	v_mul_f32_e32 v193, v2, v168
	v_mul_f32_e32 v168, v3, v168
	v_fmac_f32_e32 v191, v182, v163
	v_fma_f32 v170, v181, v163, -v170
	s_waitcnt vmcnt(31)
	v_mul_f32_e32 v181, v4, v167
	v_mul_f32_e32 v163, v5, v167
	v_fmac_f32_e32 v192, v184, v159
	v_fma_f32 v159, v183, v159, -v169
	s_waitcnt vmcnt(30) lgkmcnt(1)
	v_mul_f32_e32 v167, v185, v164
	v_mul_f32_e32 v169, v186, v164
	s_waitcnt vmcnt(29)
	v_mul_f32_e32 v182, v187, v165
	v_mul_f32_e32 v183, v188, v165
	buffer_load_dword v10, off, s[0:3], 0 offset:260
	v_fmac_f32_e32 v193, v3, v149
	v_fma_f32 v149, v2, v149, -v168
	s_waitcnt vmcnt(26)
	v_fmac_f32_e32 v181, v5, v166
	v_fma_f32 v168, v4, v166, -v163
	ds_read_b128 v[2:5], v1 offset:672
	ds_read_b128 v[163:166], v1 offset:688
	v_fmac_f32_e32 v167, v186, v162
	v_fma_f32 v162, v185, v162, -v169
	v_fmac_f32_e32 v182, v188, v160
	v_fma_f32 v160, v187, v160, -v183
	s_clause 0x4
	buffer_load_dword v169, off, s[0:3], 0 offset:268
	buffer_load_dword v183, off, s[0:3], 0 offset:288
	;; [unrolled: 1-line block ×5, first 2 shown]
	s_waitcnt vmcnt(30) lgkmcnt(2)
	v_mul_f32_e32 v187, v6, v155
	v_mul_f32_e32 v155, v7, v155
	s_waitcnt vmcnt(29)
	v_mul_f32_e32 v188, v8, v153
	v_mul_f32_e32 v153, v9, v153
	v_fmac_f32_e32 v187, v7, v145
	v_fma_f32 v145, v6, v145, -v155
	s_waitcnt vmcnt(25)
	v_fmac_f32_e32 v188, v9, v161
	v_fma_f32 v153, v8, v161, -v153
	ds_read_b128 v[6:9], v1 offset:704
	s_waitcnt vmcnt(24) lgkmcnt(2)
	v_mul_f32_e32 v155, v2, v158
	v_mul_f32_e32 v158, v3, v158
	s_waitcnt vmcnt(23)
	v_mul_f32_e32 v161, v4, v157
	v_mul_f32_e32 v157, v5, v157
	v_fmac_f32_e32 v155, v3, v150
	v_fma_f32 v150, v2, v150, -v158
	s_waitcnt vmcnt(22) lgkmcnt(1)
	v_mul_f32_e32 v158, v163, v154
	v_mul_f32_e32 v2, v164, v154
	v_fmac_f32_e32 v161, v5, v146
	v_fma_f32 v146, v4, v146, -v157
	s_waitcnt vmcnt(21)
	v_mul_f32_e32 v154, v165, v148
	v_mul_f32_e32 v3, v166, v148
	s_clause 0x1
	buffer_load_dword v148, off, s[0:3], 0 offset:276
	buffer_load_dword v157, off, s[0:3], 0 offset:284
	v_fmac_f32_e32 v158, v164, v141
	v_fma_f32 v141, v163, v141, -v2
	s_waitcnt vmcnt(19)
	v_fmac_f32_e32 v154, v166, v156
	v_fma_f32 v156, v165, v156, -v3
	ds_read_b128 v[2:5], v1 offset:720
	s_waitcnt vmcnt(18) lgkmcnt(1)
	v_mul_f32_e32 v163, v6, v152
	v_mul_f32_e32 v152, v7, v152
	s_waitcnt vmcnt(17)
	v_mul_f32_e32 v164, v8, v151
	v_mul_f32_e32 v151, v9, v151
	v_fmac_f32_e32 v163, v7, v147
	v_fma_f32 v147, v6, v147, -v152
	v_fmac_f32_e32 v164, v9, v142
	v_fma_f32 v142, v8, v142, -v151
	ds_read_b128 v[6:9], v1 offset:736
	buffer_load_dword v151, off, s[0:3], 0 offset:292
	s_waitcnt vmcnt(16) lgkmcnt(1)
	v_mul_f32_e32 v165, v4, v143
	v_mul_f32_e32 v143, v5, v143
	;; [unrolled: 1-line block ×4, first 2 shown]
	s_waitcnt vmcnt(12)
	v_fmac_f32_e32 v165, v5, v180
	v_fma_f32 v143, v4, v180, -v143
	buffer_load_dword v180, off, s[0:3], 0 offset:300
	v_fmac_f32_e32 v152, v3, v140
	v_fma_f32 v140, v2, v140, -v144
	s_waitcnt vmcnt(12) lgkmcnt(0)
	v_mul_f32_e32 v144, v6, v179
	v_mul_f32_e32 v166, v7, v179
	s_waitcnt vmcnt(11)
	v_mul_f32_e32 v179, v8, v178
	v_mul_f32_e32 v178, v9, v178
	ds_read_b128 v[2:5], v1 offset:752
	v_fmac_f32_e32 v144, v7, v177
	v_fma_f32 v166, v6, v177, -v166
	v_fmac_f32_e32 v179, v9, v175
	v_fma_f32 v175, v8, v175, -v178
	s_clause 0x4
	buffer_load_dword v177, off, s[0:3], 0 offset:320
	buffer_load_dword v178, off, s[0:3], 0 offset:312
	;; [unrolled: 1-line block ×5, first 2 shown]
	v_add_f32_e32 v6, 0, v197
	v_add_f32_e32 v7, 0, v176
	buffer_load_dword v197, off, s[0:3], 0 offset:316
	v_add_f32_e32 v6, v6, v198
	v_add_f32_e32 v7, v7, v173
	s_clause 0x1
	buffer_load_dword v173, off, s[0:3], 0 offset:324
	buffer_load_dword v176, off, s[0:3], 0 offset:332
	v_add_f32_e32 v6, v6, v203
	v_add_f32_e32 v7, v7, v199
	;; [unrolled: 1-line block ×4, first 2 shown]
	s_clause 0x3
	buffer_load_dword v198, off, s[0:3], 0 offset:352
	buffer_load_dword v199, off, s[0:3], 0 offset:344
	;; [unrolled: 1-line block ×4, first 2 shown]
	v_add_f32_e32 v6, v6, v138
	v_add_f32_e32 v7, v7, v201
	;; [unrolled: 1-line block ×4, first 2 shown]
	s_clause 0x3
	buffer_load_dword v11, off, s[0:3], 0 offset:340
	buffer_load_dword v201, off, s[0:3], 0 offset:348
	;; [unrolled: 1-line block ×4, first 2 shown]
	v_add_f32_e32 v6, v6, v190
	v_add_f32_e32 v7, v7, v189
	v_add_f32_e32 v6, v6, v171
	v_add_f32_e32 v7, v7, v12
	v_add_f32_e32 v6, v6, v170
	v_add_f32_e32 v7, v7, v191
	v_add_f32_e32 v6, v6, v159
	v_add_f32_e32 v7, v7, v192
	v_add_f32_e32 v6, v6, v149
	v_add_f32_e32 v149, v7, v193
	v_add_f32_e32 v168, v6, v168
	v_add_f32_e32 v149, v149, v181
	v_add_f32_e32 v162, v168, v162
	v_add_f32_e32 v149, v149, v167
	s_waitcnt vmcnt(25) lgkmcnt(0)
	v_mul_f32_e32 v138, v2, v10
	v_mul_f32_e32 v8, v3, v10
	v_fmac_f32_e32 v138, v3, v172
	s_waitcnt vmcnt(24)
	v_mul_f32_e32 v10, v4, v169
	v_mul_f32_e32 v9, v5, v169
	v_fma_f32 v139, v2, v172, -v8
	s_waitcnt vmcnt(20)
	v_fmac_f32_e32 v10, v5, v186
	v_fma_f32 v12, v4, v186, -v9
	ds_read_b128 v[2:5], v1 offset:768
	s_clause 0x6
	buffer_load_dword v169, off, s[0:3], 0 offset:384
	buffer_load_dword v170, off, s[0:3], 0 offset:376
	;; [unrolled: 1-line block ×7, first 2 shown]
	ds_read_b128 v[6:9], v1 offset:784
	s_waitcnt vmcnt(26) lgkmcnt(1)
	v_mul_f32_e32 v181, v2, v148
	v_mul_f32_e32 v148, v3, v148
	s_waitcnt vmcnt(25)
	v_mul_f32_e32 v168, v4, v157
	v_mul_f32_e32 v157, v5, v157
	v_fmac_f32_e32 v181, v3, v185
	v_add_f32_e32 v3, v149, v182
	v_fma_f32 v148, v2, v185, -v148
	v_add_f32_e32 v2, v162, v160
	v_fma_f32 v149, v4, v184, -v157
	s_clause 0x3
	buffer_load_dword v160, off, s[0:3], 0 offset:396
	buffer_load_dword v162, off, s[0:3], 0 offset:404
	;; [unrolled: 1-line block ×4, first 2 shown]
	v_add_f32_e32 v3, v3, v187
	v_fmac_f32_e32 v168, v5, v184
	v_add_f32_e32 v2, v2, v145
	s_clause 0x3
	buffer_load_dword v184, off, s[0:3], 0 offset:428
	buffer_load_dword v185, off, s[0:3], 0 offset:436
	;; [unrolled: 1-line block ×4, first 2 shown]
	v_add_f32_e32 v3, v3, v188
	s_waitcnt vmcnt(32) lgkmcnt(0)
	v_mul_f32_e32 v4, v7, v151
	v_add_f32_e32 v2, v2, v153
	v_mul_f32_e32 v153, v6, v151
	s_clause 0x3
	buffer_load_dword v188, off, s[0:3], 0 offset:460
	buffer_load_dword v191, off, s[0:3], 0 offset:468
	;; [unrolled: 1-line block ×4, first 2 shown]
	v_add_f32_e32 v3, v3, v155
	buffer_load_dword v205, off, s[0:3], 0 offset:492
	v_add_f32_e32 v2, v2, v150
	v_fmac_f32_e32 v153, v7, v183
	v_fma_f32 v150, v6, v183, -v4
	v_add_f32_e32 v6, v3, v161
	s_clause 0x3
	buffer_load_dword v161, off, s[0:3], 0 offset:416
	buffer_load_dword v183, off, s[0:3], 0 offset:408
	buffer_load_dword v206, off, s[0:3], 0 offset:400
	buffer_load_dword v207, off, s[0:3], 0 offset:392
	v_add_f32_e32 v2, v2, v146
	v_add_f32_e32 v6, v6, v158
	;; [unrolled: 1-line block ×3, first 2 shown]
	s_waitcnt vmcnt(40)
	v_mul_f32_e32 v2, v9, v180
	v_mul_f32_e32 v146, v8, v180
	v_add_f32_e32 v6, v6, v154
	v_add_f32_e32 v7, v7, v156
	;; [unrolled: 1-line block ×4, first 2 shown]
	s_waitcnt vmcnt(36)
	v_fma_f32 v151, v8, v195, -v2
	ds_read_b128 v[2:5], v1 offset:800
	v_fmac_f32_e32 v146, v9, v195
	s_clause 0x3
	buffer_load_dword v158, off, s[0:3], 0 offset:448
	buffer_load_dword v180, off, s[0:3], 0 offset:440
	;; [unrolled: 1-line block ×4, first 2 shown]
	v_add_f32_e32 v141, v7, v142
	v_add_f32_e32 v142, v6, v164
	ds_read_b128 v[6:9], v1 offset:816
	v_add_f32_e32 v140, v141, v140
	v_add_f32_e32 v142, v142, v152
	s_waitcnt vmcnt(39) lgkmcnt(1)
	v_mul_f32_e32 v154, v2, v196
	v_mul_f32_e32 v141, v3, v196
	s_waitcnt vmcnt(38)
	v_mul_f32_e32 v155, v4, v197
	v_fmac_f32_e32 v154, v3, v194
	v_fma_f32 v152, v2, v194, -v141
	v_add_f32_e32 v3, v142, v165
	s_clause 0x3
	buffer_load_dword v163, off, s[0:3], 0 offset:480
	buffer_load_dword v164, off, s[0:3], 0 offset:472
	;; [unrolled: 1-line block ×4, first 2 shown]
	v_add_f32_e32 v2, v140, v143
	buffer_load_dword v196, off, s[0:3], 0 offset:40
	v_mul_f32_e32 v140, v5, v197
	v_add_f32_e32 v3, v3, v144
	v_fmac_f32_e32 v155, v5, v178
	v_add_f32_e32 v2, v2, v166
	buffer_load_dword v166, off, s[0:3], 0 offset:488
	v_fma_f32 v156, v4, v178, -v140
	v_add_f32_e32 v141, v3, v179
	s_waitcnt vmcnt(43) lgkmcnt(0)
	v_mul_f32_e32 v157, v6, v173
	v_add_f32_e32 v2, v2, v175
	v_add_f32_e32 v143, v141, v138
	v_fmac_f32_e32 v157, v7, v177
	v_add_f32_e32 v142, v2, v139
	ds_read_b128 v[2:5], v1 offset:832
	ds_read_b128 v[138:141], v1 offset:848
	v_add_f32_e32 v10, v143, v10
	s_waitcnt vmcnt(42)
	v_mul_f32_e32 v143, v9, v176
	v_add_f32_e32 v12, v142, v12
	v_mul_f32_e32 v142, v7, v173
	v_mul_f32_e32 v173, v8, v176
	v_add_f32_e32 v10, v10, v181
	s_waitcnt vmcnt(38)
	v_fma_f32 v176, v8, v203, -v143
	v_add_f32_e32 v12, v12, v148
	v_fma_f32 v175, v6, v177, -v142
	v_fmac_f32_e32 v173, v9, v203
	ds_read_b128 v[6:9], v1 offset:864
	ds_read_b128 v[142:145], v1 offset:880
	v_add_f32_e32 v10, v10, v168
	v_add_f32_e32 v12, v12, v149
	;; [unrolled: 1-line block ×4, first 2 shown]
	s_waitcnt vmcnt(36) lgkmcnt(3)
	v_mul_f32_e32 v168, v4, v201
	s_waitcnt vmcnt(35) lgkmcnt(2)
	v_mul_f32_e32 v178, v138, v204
	v_mul_f32_e32 v150, v139, v204
	v_add_f32_e32 v10, v10, v146
	v_add_f32_e32 v12, v12, v151
	v_mul_f32_e32 v147, v5, v201
	v_fmac_f32_e32 v178, v139, v198
	v_fma_f32 v197, v138, v198, -v150
	v_add_f32_e32 v10, v10, v154
	v_add_f32_e32 v12, v12, v152
	v_mul_f32_e32 v177, v2, v11
	v_mul_f32_e32 v11, v3, v11
	v_fmac_f32_e32 v168, v5, v199
	v_add_f32_e32 v10, v10, v155
	v_add_f32_e32 v12, v12, v156
	v_fma_f32 v181, v4, v199, -v147
	v_fma_f32 v11, v2, v200, -v11
	v_fmac_f32_e32 v177, v3, v200
	v_add_f32_e32 v10, v10, v157
	s_waitcnt vmcnt(34)
	v_mul_f32_e32 v179, v140, v202
	v_mul_f32_e32 v151, v141, v202
	ds_read_b128 v[2:5], v1 offset:896
	ds_read_b128 v[146:149], v1 offset:912
	v_add_f32_e32 v10, v10, v173
	v_add_f32_e32 v10, v10, v177
	;; [unrolled: 1-line block ×4, first 2 shown]
	s_waitcnt vmcnt(29) lgkmcnt(3)
	v_mul_f32_e32 v198, v6, v159
	s_waitcnt vmcnt(28)
	v_mul_f32_e32 v199, v8, v186
	v_mul_f32_e32 v154, v7, v159
	;; [unrolled: 1-line block ×3, first 2 shown]
	v_fmac_f32_e32 v179, v141, v172
	v_fmac_f32_e32 v198, v7, v171
	v_add_f32_e32 v7, v12, v175
	v_fmac_f32_e32 v199, v9, v170
	v_fma_f32 v159, v8, v170, -v155
	v_fma_f32 v172, v140, v172, -v151
	;; [unrolled: 1-line block ×3, first 2 shown]
	v_add_f32_e32 v170, v7, v176
	v_add_f32_e32 v10, v10, v179
	ds_read_b128 v[138:141], v1 offset:928
	ds_read_b128 v[150:153], v1 offset:944
	;; [unrolled: 1-line block ×4, first 2 shown]
	s_waitcnt vmcnt(27) lgkmcnt(6)
	v_mul_f32_e32 v1, v142, v189
	v_add_f32_e32 v11, v170, v11
	v_mul_f32_e32 v170, v143, v189
	v_add_f32_e32 v10, v10, v198
	v_fmac_f32_e32 v1, v143, v169
	v_add_f32_e32 v11, v11, v181
	v_fma_f32 v142, v142, v169, -v170
	v_add_f32_e32 v10, v10, v199
	v_add_f32_e32 v11, v11, v197
	v_add_f32_e32 v1, v10, v1
	s_waitcnt vmcnt(26)
	v_mul_f32_e32 v171, v144, v160
	v_add_f32_e32 v11, v11, v172
	v_mul_f32_e32 v160, v145, v160
	s_waitcnt vmcnt(25) lgkmcnt(5)
	v_mul_f32_e32 v173, v2, v162
	s_waitcnt vmcnt(24)
	v_mul_f32_e32 v10, v5, v167
	v_mul_f32_e32 v168, v4, v167
	v_add_f32_e32 v11, v11, v12
	s_waitcnt vmcnt(23) lgkmcnt(4)
	v_mul_f32_e32 v175, v146, v182
	s_waitcnt vmcnt(22)
	v_mul_f32_e32 v176, v148, v184
	s_waitcnt vmcnt(21) lgkmcnt(3)
	v_mul_f32_e32 v177, v138, v185
	s_waitcnt vmcnt(20)
	v_mul_f32_e32 v178, v140, v187
	v_add_f32_e32 v11, v11, v159
	v_mul_f32_e32 v159, v3, v162
	s_waitcnt vmcnt(19) lgkmcnt(2)
	v_mul_f32_e32 v172, v150, v190
	s_waitcnt vmcnt(18)
	v_mul_f32_e32 v179, v152, v188
	s_waitcnt vmcnt(17) lgkmcnt(1)
	v_mul_f32_e32 v181, v6, v191
	v_add_f32_e32 v11, v11, v142
	s_waitcnt vmcnt(13)
	v_fmac_f32_e32 v175, v147, v161
	s_waitcnt vmcnt(12)
	v_fma_f32 v4, v4, v183, -v10
	s_waitcnt vmcnt(11)
	v_fmac_f32_e32 v173, v3, v206
	s_waitcnt vmcnt(10)
	v_fma_f32 v144, v144, v207, -v160
	v_fmac_f32_e32 v171, v145, v207
	v_fma_f32 v2, v2, v206, -v159
	v_fmac_f32_e32 v168, v5, v183
	v_mul_f32_e32 v12, v8, v192
	v_add_f32_e32 v3, v11, v144
	v_add_f32_e32 v1, v1, v171
	v_mul_f32_e32 v11, v147, v182
	s_waitcnt lgkmcnt(0)
	v_mul_f32_e32 v186, v154, v193
	v_mul_f32_e32 v143, v156, v205
	v_add_f32_e32 v2, v3, v2
	v_add_f32_e32 v1, v1, v173
	v_mul_f32_e32 v3, v149, v184
	v_fma_f32 v5, v146, v161, -v11
	v_add_f32_e32 v2, v2, v4
	v_add_f32_e32 v1, v1, v168
	v_mul_f32_e32 v4, v139, v185
	s_waitcnt vmcnt(8)
	v_fmac_f32_e32 v178, v141, v180
	s_waitcnt vmcnt(7)
	v_fmac_f32_e32 v177, v139, v195
	s_waitcnt vmcnt(6)
	v_fma_f32 v3, v148, v208, -v3
	v_add_f32_e32 v2, v2, v5
	v_fmac_f32_e32 v176, v149, v208
	v_add_f32_e32 v1, v1, v175
	v_mul_f32_e32 v5, v141, v187
	v_fma_f32 v4, v138, v195, -v4
	v_add_f32_e32 v2, v2, v3
	v_mul_f32_e32 v3, v151, v190
	v_add_f32_e32 v1, v1, v176
	v_fma_f32 v5, v140, v180, -v5
	v_fmac_f32_e32 v172, v151, v158
	v_add_f32_e32 v2, v2, v4
	v_mul_f32_e32 v4, v153, v188
	v_add_f32_e32 v1, v1, v177
	v_fma_f32 v3, v150, v158, -v3
	v_add_f32_e32 v2, v2, v5
	v_mul_f32_e32 v5, v7, v191
	v_add_f32_e32 v1, v1, v178
	v_add_f32_e32 v2, v2, v3
	v_mul_f32_e32 v3, v9, v192
	v_add_f32_e32 v1, v1, v172
	s_waitcnt vmcnt(4)
	v_fmac_f32_e32 v12, v9, v164
	s_waitcnt vmcnt(3)
	v_fma_f32 v5, v6, v165, -v5
	s_waitcnt vmcnt(2)
	v_fma_f32 v4, v152, v194, -v4
	v_fmac_f32_e32 v179, v153, v194
	v_fmac_f32_e32 v181, v7, v165
	v_fma_f32 v3, v8, v164, -v3
	v_fmac_f32_e32 v186, v155, v163
	v_add_f32_e32 v2, v2, v4
	v_add_f32_e32 v1, v1, v179
	v_mul_f32_e32 v4, v155, v193
	s_waitcnt vmcnt(0)
	v_fmac_f32_e32 v143, v157, v166
	v_add_f32_e32 v2, v2, v5
	v_add_f32_e32 v1, v1, v181
	v_mul_f32_e32 v5, v157, v205
	v_fma_f32 v4, v154, v163, -v4
	v_add_f32_e32 v2, v2, v3
	v_add_f32_e32 v1, v1, v12
	v_fma_f32 v3, v156, v166, -v5
	v_add_f32_e32 v2, v2, v4
	v_add_f32_e32 v1, v1, v186
	;; [unrolled: 1-line block ×4, first 2 shown]
	v_sub_f32_e32 v2, v196, v2
	v_sub_f32_e32 v1, v174, v1
	buffer_store_dword v2, off, s[0:3], 0 offset:40
	buffer_store_dword v1, off, s[0:3], 0 offset:44
	v_cmpx_lt_u32_e32 4, v0
	s_cbranch_execz .LBB125_377
; %bb.376:
	s_clause 0x1
	buffer_load_dword v1, off, s[0:3], 0 offset:32
	buffer_load_dword v2, off, s[0:3], 0 offset:36
	v_mov_b32_e32 v3, 0
	buffer_store_dword v3, off, s[0:3], 0 offset:32
	buffer_store_dword v3, off, s[0:3], 0 offset:36
	s_waitcnt vmcnt(0)
	ds_write_b64 v137, v[1:2]
.LBB125_377:
	s_or_b32 exec_lo, exec_lo, s4
	s_waitcnt lgkmcnt(0)
	s_waitcnt_vscnt null, 0x0
	s_barrier
	buffer_gl0_inv
	s_clause 0x34
	buffer_load_dword v2, off, s[0:3], 0 offset:44
	buffer_load_dword v3, off, s[0:3], 0 offset:52
	;; [unrolled: 1-line block ×53, first 2 shown]
	v_mov_b32_e32 v1, 0
	ds_read2_b64 v[181:184], v1 offset0:67 offset1:68
	ds_read2_b64 v[185:188], v1 offset0:69 offset1:70
	;; [unrolled: 1-line block ×4, first 2 shown]
	buffer_load_dword v180, off, s[0:3], 0 offset:36
	s_mov_b32 s4, exec_lo
	s_waitcnt vmcnt(53) lgkmcnt(3)
	v_mul_f32_e32 v197, v181, v2
	v_mul_f32_e32 v2, v182, v2
	s_waitcnt vmcnt(52)
	v_mul_f32_e32 v198, v183, v3
	v_mul_f32_e32 v3, v184, v3
	s_waitcnt vmcnt(49)
	v_fmac_f32_e32 v197, v182, v8
	v_fma_f32 v199, v181, v8, -v2
	v_fmac_f32_e32 v198, v184, v7
	v_fma_f32 v200, v183, v7, -v3
	ds_read2_b64 v[181:184], v1 offset0:75 offset1:76
	s_waitcnt vmcnt(48) lgkmcnt(3)
	v_mul_f32_e32 v201, v185, v6
	v_mul_f32_e32 v2, v186, v6
	s_waitcnt vmcnt(47)
	v_mul_f32_e32 v3, v188, v5
	v_mul_f32_e32 v202, v187, v5
	s_waitcnt vmcnt(46) lgkmcnt(2)
	v_mul_f32_e32 v6, v190, v10
	s_waitcnt vmcnt(45)
	v_mul_f32_e32 v7, v192, v9
	v_fmac_f32_e32 v201, v186, v4
	v_fma_f32 v185, v185, v4, -v2
	s_waitcnt vmcnt(41)
	v_fma_f32 v186, v187, v141, -v3
	ds_read2_b64 v[2:5], v1 offset0:77 offset1:78
	v_mul_f32_e32 v203, v189, v10
	v_mul_f32_e32 v10, v191, v9
	v_fmac_f32_e32 v202, v188, v141
	v_fma_f32 v187, v189, v140, -v6
	v_fma_f32 v188, v191, v138, -v7
	ds_read2_b64 v[6:9], v1 offset0:79 offset1:80
	v_fmac_f32_e32 v10, v192, v138
	s_waitcnt vmcnt(40) lgkmcnt(3)
	v_mul_f32_e32 v189, v193, v139
	v_mul_f32_e32 v138, v194, v139
	v_fmac_f32_e32 v203, v190, v140
	s_waitcnt vmcnt(39)
	v_mul_f32_e32 v190, v195, v12
	v_mul_f32_e32 v12, v196, v12
	v_fmac_f32_e32 v189, v194, v11
	v_fma_f32 v11, v193, v11, -v138
	ds_read2_b64 v[138:141], v1 offset0:81 offset1:82
	s_waitcnt vmcnt(35)
	v_fmac_f32_e32 v190, v196, v173
	v_fma_f32 v12, v195, v173, -v12
	s_waitcnt vmcnt(34) lgkmcnt(3)
	v_mul_f32_e32 v173, v181, v172
	v_mul_f32_e32 v172, v182, v172
	s_waitcnt vmcnt(33)
	v_mul_f32_e32 v192, v183, v171
	v_mul_f32_e32 v171, v184, v171
	s_waitcnt vmcnt(32) lgkmcnt(2)
	v_mul_f32_e32 v193, v2, v170
	v_mul_f32_e32 v170, v3, v170
	v_fmac_f32_e32 v173, v182, v165
	v_fma_f32 v172, v181, v165, -v172
	s_waitcnt vmcnt(31)
	v_mul_f32_e32 v181, v4, v169
	v_mul_f32_e32 v165, v5, v169
	v_fmac_f32_e32 v192, v184, v161
	v_fma_f32 v161, v183, v161, -v171
	s_waitcnt vmcnt(30) lgkmcnt(1)
	v_mul_f32_e32 v169, v6, v166
	v_mul_f32_e32 v171, v7, v166
	s_waitcnt vmcnt(29)
	v_mul_f32_e32 v182, v8, v167
	v_mul_f32_e32 v183, v9, v167
	buffer_load_dword v191, off, s[0:3], 0 offset:252
	v_fmac_f32_e32 v193, v3, v151
	v_fma_f32 v151, v2, v151, -v170
	s_waitcnt vmcnt(26)
	v_fmac_f32_e32 v181, v5, v168
	v_fma_f32 v170, v4, v168, -v165
	ds_read2_b64 v[2:5], v1 offset0:83 offset1:84
	ds_read2_b64 v[165:168], v1 offset0:85 offset1:86
	v_fmac_f32_e32 v169, v7, v164
	v_fma_f32 v164, v6, v164, -v171
	v_fmac_f32_e32 v182, v9, v162
	v_fma_f32 v162, v8, v162, -v183
	s_clause 0x4
	buffer_load_dword v171, off, s[0:3], 0 offset:260
	buffer_load_dword v183, off, s[0:3], 0 offset:280
	;; [unrolled: 1-line block ×5, first 2 shown]
	s_waitcnt vmcnt(30) lgkmcnt(2)
	v_mul_f32_e32 v196, v138, v157
	v_mul_f32_e32 v6, v139, v157
	s_waitcnt vmcnt(29)
	v_mul_f32_e32 v7, v141, v155
	v_mul_f32_e32 v157, v140, v155
	v_fmac_f32_e32 v196, v139, v147
	v_fma_f32 v138, v138, v147, -v6
	s_waitcnt vmcnt(25)
	v_fma_f32 v139, v140, v163, -v7
	ds_read2_b64 v[6:9], v1 offset0:87 offset1:88
	v_fmac_f32_e32 v157, v141, v163
	s_waitcnt vmcnt(24) lgkmcnt(2)
	v_mul_f32_e32 v140, v2, v160
	v_mul_f32_e32 v141, v3, v160
	s_waitcnt vmcnt(23)
	v_mul_f32_e32 v147, v4, v159
	v_mul_f32_e32 v155, v5, v159
	v_fmac_f32_e32 v140, v3, v152
	v_fma_f32 v141, v2, v152, -v141
	s_waitcnt vmcnt(22) lgkmcnt(1)
	v_mul_f32_e32 v152, v165, v156
	v_mul_f32_e32 v2, v166, v156
	v_fmac_f32_e32 v147, v5, v148
	v_fma_f32 v148, v4, v148, -v155
	s_waitcnt vmcnt(21)
	v_mul_f32_e32 v155, v167, v150
	v_mul_f32_e32 v3, v168, v150
	s_clause 0x1
	buffer_load_dword v150, off, s[0:3], 0 offset:268
	buffer_load_dword v156, off, s[0:3], 0 offset:276
	v_fmac_f32_e32 v152, v166, v143
	v_fma_f32 v143, v165, v143, -v2
	s_waitcnt vmcnt(19)
	v_fmac_f32_e32 v155, v168, v158
	v_fma_f32 v158, v167, v158, -v3
	ds_read2_b64 v[2:5], v1 offset0:89 offset1:90
	s_waitcnt vmcnt(18) lgkmcnt(1)
	v_mul_f32_e32 v159, v6, v154
	v_mul_f32_e32 v154, v7, v154
	s_waitcnt vmcnt(17)
	v_mul_f32_e32 v160, v8, v153
	v_mul_f32_e32 v153, v9, v153
	buffer_load_dword v168, off, s[0:3], 0 offset:292
	v_fmac_f32_e32 v159, v7, v149
	v_fma_f32 v149, v6, v149, -v154
	v_fmac_f32_e32 v160, v9, v144
	v_fma_f32 v144, v8, v144, -v153
	ds_read2_b64 v[6:9], v1 offset0:91 offset1:92
	buffer_load_dword v153, off, s[0:3], 0 offset:284
	s_waitcnt vmcnt(18) lgkmcnt(1)
	v_mul_f32_e32 v154, v2, v146
	v_mul_f32_e32 v146, v3, v146
	s_waitcnt vmcnt(17)
	v_mul_f32_e32 v163, v4, v145
	v_mul_f32_e32 v145, v5, v145
	v_fmac_f32_e32 v154, v3, v142
	v_fma_f32 v142, v2, v142, -v146
	s_waitcnt vmcnt(13)
	v_fmac_f32_e32 v163, v5, v179
	v_fma_f32 v145, v4, v179, -v145
	ds_read2_b64 v[2:5], v1 offset0:93 offset1:94
	s_waitcnt vmcnt(12) lgkmcnt(1)
	v_mul_f32_e32 v146, v6, v178
	v_mul_f32_e32 v165, v7, v178
	s_waitcnt vmcnt(11)
	v_mul_f32_e32 v166, v8, v177
	v_mul_f32_e32 v167, v9, v177
	v_fmac_f32_e32 v146, v7, v176
	v_fma_f32 v165, v6, v176, -v165
	v_fmac_f32_e32 v166, v9, v175
	v_fma_f32 v167, v8, v175, -v167
	s_clause 0x4
	buffer_load_dword v175, off, s[0:3], 0 offset:312
	buffer_load_dword v176, off, s[0:3], 0 offset:304
	;; [unrolled: 1-line block ×5, first 2 shown]
	v_add_f32_e32 v6, 0, v197
	v_add_f32_e32 v7, 0, v199
	buffer_load_dword v197, off, s[0:3], 0 offset:308
	v_add_f32_e32 v6, v6, v198
	v_add_f32_e32 v7, v7, v200
	;; [unrolled: 1-line block ×4, first 2 shown]
	s_clause 0x1
	buffer_load_dword v185, off, s[0:3], 0 offset:316
	buffer_load_dword v198, off, s[0:3], 0 offset:324
	v_add_f32_e32 v6, v6, v202
	v_add_f32_e32 v7, v7, v186
	s_clause 0x3
	buffer_load_dword v186, off, s[0:3], 0 offset:344
	buffer_load_dword v199, off, s[0:3], 0 offset:336
	;; [unrolled: 1-line block ×4, first 2 shown]
	v_add_f32_e32 v6, v6, v203
	v_add_f32_e32 v7, v7, v187
	;; [unrolled: 1-line block ×4, first 2 shown]
	s_clause 0x3
	buffer_load_dword v10, off, s[0:3], 0 offset:332
	buffer_load_dword v187, off, s[0:3], 0 offset:340
	buffer_load_dword v202, off, s[0:3], 0 offset:348
	buffer_load_dword v188, off, s[0:3], 0 offset:356
	v_add_f32_e32 v6, v6, v189
	v_add_f32_e32 v7, v7, v11
	;; [unrolled: 1-line block ×13, first 2 shown]
	s_waitcnt vmcnt(25) lgkmcnt(0)
	v_mul_f32_e32 v189, v2, v191
	v_mul_f32_e32 v8, v3, v191
	v_fmac_f32_e32 v189, v3, v174
	s_waitcnt vmcnt(24)
	v_mul_f32_e32 v11, v4, v171
	v_mul_f32_e32 v9, v5, v171
	v_fma_f32 v171, v2, v174, -v8
	s_waitcnt vmcnt(20)
	v_fmac_f32_e32 v11, v5, v195
	v_fma_f32 v12, v4, v195, -v9
	ds_read2_b64 v[2:5], v1 offset0:95 offset1:96
	s_clause 0x6
	buffer_load_dword v172, off, s[0:3], 0 offset:376
	buffer_load_dword v173, off, s[0:3], 0 offset:368
	;; [unrolled: 1-line block ×7, first 2 shown]
	ds_read2_b64 v[6:9], v1 offset0:97 offset1:98
	s_waitcnt vmcnt(26) lgkmcnt(1)
	v_mul_f32_e32 v181, v2, v150
	v_mul_f32_e32 v150, v3, v150
	s_waitcnt vmcnt(25)
	v_mul_f32_e32 v170, v4, v156
	v_mul_f32_e32 v156, v5, v156
	v_fmac_f32_e32 v181, v3, v194
	v_add_f32_e32 v3, v151, v169
	v_add_f32_e32 v151, v164, v162
	v_fma_f32 v150, v2, v194, -v150
	v_fmac_f32_e32 v170, v5, v184
	v_fma_f32 v156, v4, v184, -v156
	v_add_f32_e32 v2, v3, v182
	v_add_f32_e32 v3, v151, v138
	s_clause 0x7
	buffer_load_dword v162, off, s[0:3], 0 offset:388
	buffer_load_dword v164, off, s[0:3], 0 offset:396
	;; [unrolled: 1-line block ×8, first 2 shown]
	v_add_f32_e32 v2, v2, v196
	v_add_f32_e32 v3, v3, v139
	s_waitcnt vmcnt(31) lgkmcnt(0)
	v_mul_f32_e32 v151, v6, v153
	v_mul_f32_e32 v4, v7, v153
	s_clause 0x1
	buffer_load_dword v196, off, s[0:3], 0 offset:420
	buffer_load_dword v203, off, s[0:3], 0 offset:428
	v_add_f32_e32 v2, v2, v157
	v_add_f32_e32 v3, v3, v141
	v_fmac_f32_e32 v151, v7, v183
	v_fma_f32 v153, v6, v183, -v4
	s_clause 0x1
	buffer_load_dword v204, off, s[0:3], 0 offset:436
	buffer_load_dword v205, off, s[0:3], 0 offset:444
	v_add_f32_e32 v2, v2, v140
	v_add_f32_e32 v3, v3, v148
	s_clause 0x4
	buffer_load_dword v183, off, s[0:3], 0 offset:452
	buffer_load_dword v206, off, s[0:3], 0 offset:460
	;; [unrolled: 1-line block ×5, first 2 shown]
	v_add_f32_e32 v2, v2, v147
	v_add_f32_e32 v6, v3, v143
	v_mul_f32_e32 v3, v9, v168
	v_mul_f32_e32 v147, v8, v168
	buffer_load_dword v168, off, s[0:3], 0 offset:492
	v_add_f32_e32 v7, v2, v152
	v_add_f32_e32 v6, v6, v158
	;; [unrolled: 1-line block ×4, first 2 shown]
	s_waitcnt vmcnt(37)
	v_fma_f32 v148, v8, v178, -v3
	ds_read2_b64 v[2:5], v1 offset0:99 offset1:100
	v_fmac_f32_e32 v147, v9, v178
	v_add_f32_e32 v7, v7, v159
	s_clause 0x3
	buffer_load_dword v158, off, s[0:3], 0 offset:440
	buffer_load_dword v159, off, s[0:3], 0 offset:432
	;; [unrolled: 1-line block ×4, first 2 shown]
	v_add_f32_e32 v6, v6, v144
	v_add_f32_e32 v138, v7, v160
	;; [unrolled: 1-line block ×3, first 2 shown]
	ds_read2_b64 v[6:9], v1 offset0:101 offset1:102
	v_add_f32_e32 v138, v138, v154
	v_add_f32_e32 v139, v139, v145
	s_waitcnt vmcnt(40) lgkmcnt(1)
	v_mul_f32_e32 v149, v2, v179
	v_mul_f32_e32 v140, v3, v179
	s_waitcnt vmcnt(39)
	v_mul_f32_e32 v154, v4, v197
	v_fmac_f32_e32 v149, v3, v177
	v_fma_f32 v152, v2, v177, -v140
	v_add_f32_e32 v2, v138, v163
	v_add_f32_e32 v3, v139, v165
	s_clause 0x3
	buffer_load_dword v160, off, s[0:3], 0 offset:472
	buffer_load_dword v163, off, s[0:3], 0 offset:464
	buffer_load_dword v165, off, s[0:3], 0 offset:456
	buffer_load_dword v177, off, s[0:3], 0 offset:448
	v_mul_f32_e32 v138, v5, v197
	s_waitcnt vmcnt(42) lgkmcnt(0)
	v_mul_f32_e32 v157, v6, v185
	v_add_f32_e32 v2, v2, v146
	v_add_f32_e32 v3, v3, v167
	s_clause 0x1
	buffer_load_dword v167, off, s[0:3], 0 offset:488
	buffer_load_dword v179, off, s[0:3], 0 offset:480
	v_mul_f32_e32 v142, v7, v185
	s_waitcnt vmcnt(43)
	v_mul_f32_e32 v143, v9, v198
	v_add_f32_e32 v2, v2, v166
	buffer_load_dword v166, off, s[0:3], 0 offset:32
	v_add_f32_e32 v3, v3, v171
	v_mul_f32_e32 v171, v8, v198
	v_fmac_f32_e32 v154, v5, v176
	v_add_f32_e32 v139, v2, v189
	v_fma_f32 v155, v4, v176, -v138
	v_add_f32_e32 v12, v3, v12
	ds_read2_b64 v[2:5], v1 offset0:103 offset1:104
	v_fmac_f32_e32 v157, v7, v175
	v_add_f32_e32 v11, v139, v11
	ds_read2_b64 v[138:141], v1 offset0:105 offset1:106
	v_add_f32_e32 v12, v12, v150
	v_fma_f32 v175, v6, v175, -v142
	s_waitcnt vmcnt(40)
	v_fmac_f32_e32 v171, v9, v201
	v_add_f32_e32 v11, v11, v181
	v_add_f32_e32 v12, v12, v156
	v_fma_f32 v156, v8, v201, -v143
	ds_read2_b64 v[6:9], v1 offset0:107 offset1:108
	ds_read2_b64 v[142:145], v1 offset0:109 offset1:110
	v_add_f32_e32 v11, v11, v170
	v_add_f32_e32 v12, v12, v153
	;; [unrolled: 1-line block ×4, first 2 shown]
	s_waitcnt vmcnt(39) lgkmcnt(3)
	v_mul_f32_e32 v170, v2, v10
	v_mul_f32_e32 v10, v3, v10
	v_add_f32_e32 v11, v11, v147
	s_waitcnt vmcnt(38)
	v_mul_f32_e32 v146, v5, v187
	v_add_f32_e32 v12, v12, v152
	v_mul_f32_e32 v176, v4, v187
	v_fma_f32 v10, v2, v200, -v10
	v_add_f32_e32 v11, v11, v149
	v_fmac_f32_e32 v170, v3, v200
	v_add_f32_e32 v12, v12, v155
	s_waitcnt vmcnt(37) lgkmcnt(2)
	v_mul_f32_e32 v181, v138, v202
	v_mul_f32_e32 v150, v139, v202
	v_add_f32_e32 v11, v11, v154
	v_fma_f32 v187, v4, v199, -v146
	v_add_f32_e32 v12, v12, v175
	v_fmac_f32_e32 v176, v5, v199
	s_waitcnt vmcnt(36)
	v_mul_f32_e32 v151, v141, v188
	v_add_f32_e32 v11, v11, v157
	v_fmac_f32_e32 v181, v139, v186
	v_fma_f32 v186, v138, v186, -v150
	v_mul_f32_e32 v185, v140, v188
	ds_read2_b64 v[2:5], v1 offset0:111 offset1:112
	ds_read2_b64 v[146:149], v1 offset0:113 offset1:114
	v_add_f32_e32 v11, v11, v171
	v_add_f32_e32 v170, v11, v170
	;; [unrolled: 1-line block ×4, first 2 shown]
	s_waitcnt vmcnt(31) lgkmcnt(3)
	v_mul_f32_e32 v175, v6, v161
	v_mul_f32_e32 v154, v7, v161
	v_fma_f32 v188, v140, v190, -v151
	v_fmac_f32_e32 v185, v141, v190
	s_waitcnt vmcnt(30)
	v_mul_f32_e32 v155, v9, v191
	v_fmac_f32_e32 v175, v7, v174
	v_add_f32_e32 v7, v12, v156
	v_fma_f32 v12, v6, v174, -v154
	v_mul_f32_e32 v189, v8, v191
	v_add_f32_e32 v170, v170, v185
	v_fma_f32 v161, v8, v173, -v155
	v_add_f32_e32 v171, v7, v10
	s_waitcnt vmcnt(29) lgkmcnt(2)
	v_mul_f32_e32 v176, v143, v192
	v_fmac_f32_e32 v189, v9, v173
	v_mul_f32_e32 v173, v142, v192
	v_add_f32_e32 v170, v170, v175
	v_add_f32_e32 v171, v171, v187
	v_fma_f32 v142, v142, v172, -v176
	ds_read2_b64 v[138:141], v1 offset0:115 offset1:116
	ds_read2_b64 v[150:153], v1 offset0:117 offset1:118
	v_fmac_f32_e32 v173, v143, v172
	ds_read2_b64 v[6:9], v1 offset0:119 offset1:120
	ds_read2_b64 v[154:157], v1 offset0:121 offset1:122
	ds_read_b64 v[10:11], v1 offset:984
	v_add_f32_e32 v171, v171, v186
	v_add_f32_e32 v171, v171, v188
	s_waitcnt vmcnt(28)
	v_mul_f32_e32 v174, v144, v162
	v_mul_f32_e32 v162, v145, v162
	v_add_f32_e32 v12, v171, v12
	s_waitcnt vmcnt(27) lgkmcnt(6)
	v_mul_f32_e32 v186, v2, v164
	v_mul_f32_e32 v164, v3, v164
	s_waitcnt vmcnt(26)
	v_mul_f32_e32 v181, v4, v169
	v_mul_f32_e32 v169, v5, v169
	v_add_f32_e32 v12, v12, v161
	v_add_f32_e32 v161, v170, v189
	s_waitcnt vmcnt(21)
	v_fma_f32 v144, v144, v195, -v162
	v_fmac_f32_e32 v174, v145, v195
	v_fmac_f32_e32 v186, v3, v194
	v_add_f32_e32 v12, v12, v142
	v_add_f32_e32 v142, v161, v173
	v_fma_f32 v2, v2, v194, -v164
	v_fma_f32 v4, v4, v193, -v169
	s_waitcnt lgkmcnt(5)
	v_mul_f32_e32 v143, v146, v182
	v_add_f32_e32 v3, v12, v144
	v_add_f32_e32 v12, v142, v174
	v_mul_f32_e32 v142, v147, v182
	v_fmac_f32_e32 v181, v5, v193
	s_waitcnt vmcnt(20)
	v_mul_f32_e32 v5, v149, v196
	v_add_f32_e32 v2, v3, v2
	v_add_f32_e32 v3, v12, v186
	v_fma_f32 v12, v146, v184, -v142
	v_mul_f32_e32 v172, v148, v196
	v_fmac_f32_e32 v143, v147, v184
	v_add_f32_e32 v2, v2, v4
	v_add_f32_e32 v3, v3, v181
	s_waitcnt vmcnt(19) lgkmcnt(4)
	v_mul_f32_e32 v4, v139, v203
	v_mul_f32_e32 v176, v138, v203
	s_waitcnt vmcnt(18)
	v_mul_f32_e32 v145, v140, v204
	v_add_f32_e32 v2, v2, v12
	v_add_f32_e32 v3, v3, v143
	v_mul_f32_e32 v12, v141, v204
	s_waitcnt vmcnt(17) lgkmcnt(3)
	v_mul_f32_e32 v162, v150, v205
	s_waitcnt vmcnt(16)
	v_mul_f32_e32 v171, v152, v183
	s_waitcnt vmcnt(15) lgkmcnt(2)
	v_mul_f32_e32 v175, v6, v206
	s_waitcnt vmcnt(14)
	v_mul_f32_e32 v185, v8, v207
	s_waitcnt vmcnt(13) lgkmcnt(1)
	v_mul_f32_e32 v170, v154, v208
	s_waitcnt vmcnt(9)
	v_fma_f32 v12, v140, v159, -v12
	s_waitcnt vmcnt(8)
	v_fma_f32 v4, v138, v178, -v4
	s_waitcnt vmcnt(7)
	v_fma_f32 v5, v148, v210, -v5
	v_fmac_f32_e32 v172, v149, v210
	v_fmac_f32_e32 v176, v139, v178
	;; [unrolled: 1-line block ×4, first 2 shown]
	v_add_f32_e32 v2, v2, v5
	v_add_f32_e32 v3, v3, v172
	v_mul_f32_e32 v5, v151, v205
	v_mul_f32_e32 v187, v156, v209
	s_waitcnt lgkmcnt(0)
	v_mul_f32_e32 v161, v10, v168
	v_add_f32_e32 v2, v2, v4
	v_add_f32_e32 v3, v3, v176
	v_mul_f32_e32 v4, v153, v183
	v_fma_f32 v5, v150, v158, -v5
	v_add_f32_e32 v2, v2, v12
	v_add_f32_e32 v3, v3, v145
	v_mul_f32_e32 v12, v7, v206
	v_add_f32_e32 v2, v2, v5
	v_add_f32_e32 v3, v3, v162
	v_mul_f32_e32 v5, v9, v207
	s_waitcnt vmcnt(6)
	v_fmac_f32_e32 v170, v155, v160
	s_waitcnt vmcnt(5)
	v_fmac_f32_e32 v185, v9, v163
	s_waitcnt vmcnt(4)
	v_fma_f32 v6, v6, v165, -v12
	s_waitcnt vmcnt(3)
	v_fma_f32 v4, v152, v177, -v4
	v_fmac_f32_e32 v171, v153, v177
	v_fmac_f32_e32 v175, v7, v165
	v_fma_f32 v5, v8, v163, -v5
	s_waitcnt vmcnt(2)
	v_fmac_f32_e32 v161, v11, v167
	v_add_f32_e32 v2, v2, v4
	v_add_f32_e32 v3, v3, v171
	v_mul_f32_e32 v4, v155, v208
	s_waitcnt vmcnt(1)
	v_fmac_f32_e32 v187, v157, v179
	v_add_f32_e32 v2, v2, v6
	v_add_f32_e32 v3, v3, v175
	v_mul_f32_e32 v6, v157, v209
	v_fma_f32 v4, v154, v160, -v4
	v_add_f32_e32 v2, v2, v5
	v_add_f32_e32 v3, v3, v185
	v_mul_f32_e32 v5, v11, v168
	v_fma_f32 v6, v156, v179, -v6
	v_add_f32_e32 v2, v2, v4
	v_add_f32_e32 v3, v3, v170
	v_fma_f32 v4, v10, v167, -v5
	v_add_f32_e32 v2, v2, v6
	v_add_f32_e32 v3, v3, v187
	;; [unrolled: 1-line block ×4, first 2 shown]
	s_waitcnt vmcnt(0)
	v_sub_f32_e32 v2, v166, v2
	v_sub_f32_e32 v3, v180, v3
	buffer_store_dword v2, off, s[0:3], 0 offset:32
	buffer_store_dword v3, off, s[0:3], 0 offset:36
	v_cmpx_lt_u32_e32 3, v0
	s_cbranch_execz .LBB125_379
; %bb.378:
	s_clause 0x1
	buffer_load_dword v2, off, s[0:3], 0 offset:24
	buffer_load_dword v3, off, s[0:3], 0 offset:28
	buffer_store_dword v1, off, s[0:3], 0 offset:24
	buffer_store_dword v1, off, s[0:3], 0 offset:28
	s_waitcnt vmcnt(0)
	ds_write_b64 v137, v[2:3]
.LBB125_379:
	s_or_b32 exec_lo, exec_lo, s4
	s_waitcnt lgkmcnt(0)
	s_waitcnt_vscnt null, 0x0
	s_barrier
	buffer_gl0_inv
	s_clause 0x3c
	buffer_load_dword v172, off, s[0:3], 0 offset:36
	buffer_load_dword v173, off, s[0:3], 0 offset:44
	;; [unrolled: 1-line block ×61, first 2 shown]
	ds_read_b128 v[186:189], v1 offset:528
	ds_read_b128 v[190:193], v1 offset:544
	s_mov_b32 s4, exec_lo
	s_waitcnt vmcnt(60) lgkmcnt(1)
	v_mul_f32_e32 v182, v186, v172
	v_mul_f32_e32 v197, v187, v172
	s_waitcnt vmcnt(59)
	v_mul_f32_e32 v172, v188, v173
	v_mul_f32_e32 v198, v189, v173
	buffer_load_dword v173, off, s[0:3], 0 offset:28
	s_waitcnt vmcnt(57)
	v_fmac_f32_e32 v182, v187, v6
	v_fma_f32 v197, v186, v6, -v197
	v_fmac_f32_e32 v172, v189, v5
	v_fma_f32 v198, v188, v5, -v198
	ds_read_b128 v[186:189], v1 offset:560
	s_waitcnt vmcnt(56) lgkmcnt(1)
	v_mul_f32_e32 v199, v190, v4
	v_mul_f32_e32 v4, v191, v4
	s_waitcnt vmcnt(55)
	v_mul_f32_e32 v200, v192, v3
	v_mul_f32_e32 v3, v193, v3
	v_fmac_f32_e32 v199, v191, v2
	v_fma_f32 v190, v190, v2, -v4
	s_waitcnt vmcnt(51)
	v_fmac_f32_e32 v200, v193, v139
	v_fma_f32 v139, v192, v139, -v3
	ds_read_b128 v[2:5], v1 offset:576
	s_waitcnt vmcnt(50) lgkmcnt(1)
	v_mul_f32_e32 v191, v186, v138
	v_mul_f32_e32 v6, v187, v138
	s_waitcnt vmcnt(49)
	v_mul_f32_e32 v138, v188, v12
	v_mul_f32_e32 v12, v189, v12
	v_fmac_f32_e32 v191, v187, v11
	v_fma_f32 v11, v186, v11, -v6
	v_fmac_f32_e32 v138, v189, v8
	v_fma_f32 v12, v188, v8, -v12
	ds_read_b128 v[186:189], v1 offset:592
	s_waitcnt vmcnt(48) lgkmcnt(1)
	v_mul_f32_e32 v192, v2, v10
	v_mul_f32_e32 v6, v3, v10
	s_waitcnt vmcnt(47)
	v_mul_f32_e32 v10, v4, v9
	v_mul_f32_e32 v8, v5, v9
	v_fmac_f32_e32 v192, v3, v7
	v_fma_f32 v193, v2, v7, -v6
	s_waitcnt vmcnt(43)
	v_fmac_f32_e32 v10, v5, v171
	v_fma_f32 v171, v4, v171, -v8
	ds_read_b128 v[2:5], v1 offset:608
	s_waitcnt vmcnt(42) lgkmcnt(1)
	v_mul_f32_e32 v201, v186, v170
	v_mul_f32_e32 v6, v187, v170
	s_waitcnt vmcnt(41)
	v_mul_f32_e32 v170, v188, v169
	v_mul_f32_e32 v7, v189, v169
	v_fmac_f32_e32 v201, v187, v164
	v_fma_f32 v164, v186, v164, -v6
	v_fmac_f32_e32 v170, v189, v159
	v_fma_f32 v159, v188, v159, -v7
	ds_read_b128 v[6:9], v1 offset:624
	s_waitcnt vmcnt(40) lgkmcnt(1)
	v_mul_f32_e32 v169, v2, v163
	v_mul_f32_e32 v163, v3, v163
	s_waitcnt vmcnt(39)
	v_mul_f32_e32 v186, v4, v161
	v_mul_f32_e32 v161, v5, v161
	buffer_load_dword v187, off, s[0:3], 0 offset:276
	v_fmac_f32_e32 v169, v3, v147
	v_fma_f32 v147, v2, v147, -v163
	s_waitcnt vmcnt(36)
	v_fmac_f32_e32 v186, v5, v168
	v_fma_f32 v161, v4, v168, -v161
	ds_read_b128 v[2:5], v1 offset:640
	s_waitcnt vmcnt(35) lgkmcnt(1)
	v_mul_f32_e32 v163, v6, v167
	v_mul_f32_e32 v167, v7, v167
	s_waitcnt vmcnt(34)
	v_mul_f32_e32 v168, v8, v166
	v_mul_f32_e32 v166, v9, v166
	v_fmac_f32_e32 v163, v7, v157
	v_fma_f32 v157, v6, v157, -v167
	v_fmac_f32_e32 v168, v9, v152
	v_fma_f32 v152, v8, v152, -v166
	ds_read_b128 v[6:9], v1 offset:656
	s_waitcnt vmcnt(33) lgkmcnt(1)
	v_mul_f32_e32 v166, v2, v156
	v_mul_f32_e32 v156, v3, v156
	s_waitcnt vmcnt(32)
	v_mul_f32_e32 v167, v4, v154
	v_mul_f32_e32 v154, v5, v154
	v_fmac_f32_e32 v166, v3, v142
	v_fma_f32 v142, v2, v142, -v156
	s_waitcnt vmcnt(28)
	v_fmac_f32_e32 v167, v5, v165
	v_fma_f32 v154, v4, v165, -v154
	ds_read_b128 v[2:5], v1 offset:672
	s_waitcnt vmcnt(27) lgkmcnt(1)
	v_mul_f32_e32 v156, v6, v162
	v_mul_f32_e32 v162, v7, v162
	s_waitcnt vmcnt(26)
	v_mul_f32_e32 v165, v8, v160
	v_mul_f32_e32 v160, v9, v160
	v_fmac_f32_e32 v156, v7, v151
	v_fma_f32 v151, v6, v151, -v162
	v_fmac_f32_e32 v165, v9, v148
	v_fma_f32 v148, v8, v148, -v160
	ds_read_b128 v[6:9], v1 offset:688
	s_waitcnt vmcnt(25) lgkmcnt(1)
	v_mul_f32_e32 v160, v2, v150
	v_mul_f32_e32 v150, v3, v150
	s_waitcnt vmcnt(24)
	v_mul_f32_e32 v162, v4, v149
	v_mul_f32_e32 v149, v5, v149
	;; [unrolled: 23-line block ×4, first 2 shown]
	v_fmac_f32_e32 v179, v3, v174
	v_fma_f32 v174, v2, v174, -v177
	s_waitcnt vmcnt(4)
	v_fmac_f32_e32 v180, v5, v194
	v_fma_f32 v176, v4, v194, -v176
	ds_read_b128 v[2:5], v1 offset:768
	s_waitcnt vmcnt(3) lgkmcnt(1)
	v_mul_f32_e32 v177, v6, v195
	v_mul_f32_e32 v188, v7, v195
	buffer_load_dword v195, off, s[0:3], 0 offset:284
	s_waitcnt vmcnt(3)
	v_mul_f32_e32 v189, v8, v196
	v_mul_f32_e32 v194, v9, v196
	v_fmac_f32_e32 v177, v7, v185
	v_fma_f32 v185, v6, v185, -v188
	v_fmac_f32_e32 v189, v9, v184
	v_fma_f32 v184, v8, v184, -v194
	s_clause 0x4
	buffer_load_dword v188, off, s[0:3], 0 offset:304
	buffer_load_dword v194, off, s[0:3], 0 offset:296
	;; [unrolled: 1-line block ×5, first 2 shown]
	s_waitcnt vmcnt(6) lgkmcnt(0)
	v_mul_f32_e32 v203, v2, v187
	v_mul_f32_e32 v7, v3, v187
	v_fmac_f32_e32 v203, v3, v183
	v_fma_f32 v183, v2, v183, -v7
	s_waitcnt vmcnt(5)
	v_mul_f32_e32 v187, v4, v195
	v_mul_f32_e32 v2, v5, v195
	s_waitcnt vmcnt(1)
	v_fmac_f32_e32 v187, v5, v6
	v_fma_f32 v195, v4, v6, -v2
	ds_read_b128 v[2:5], v1 offset:784
	ds_read_b128 v[6:9], v1 offset:800
	s_waitcnt vmcnt(0) lgkmcnt(1)
	v_mul_f32_e32 v204, v2, v202
	v_mul_f32_e32 v202, v3, v202
	v_fmac_f32_e32 v204, v3, v196
	v_fma_f32 v196, v2, v196, -v202
	s_clause 0x1
	buffer_load_dword v2, off, s[0:3], 0 offset:300
	buffer_load_dword v3, off, s[0:3], 0 offset:308
	s_waitcnt vmcnt(1)
	v_mul_f32_e32 v202, v4, v2
	v_mul_f32_e32 v2, v5, v2
	v_fmac_f32_e32 v202, v5, v194
	v_fma_f32 v194, v4, v194, -v2
	v_add_f32_e32 v2, 0, v197
	v_add_f32_e32 v4, 0, v182
	;; [unrolled: 1-line block ×4, first 2 shown]
	buffer_load_dword v172, off, s[0:3], 0 offset:316
	v_add_f32_e32 v2, v2, v190
	v_add_f32_e32 v4, v4, v199
	;; [unrolled: 1-line block ×3, first 2 shown]
	s_clause 0x3
	buffer_load_dword v182, off, s[0:3], 0 offset:336
	buffer_load_dword v190, off, s[0:3], 0 offset:328
	;; [unrolled: 1-line block ×4, first 2 shown]
	v_add_f32_e32 v4, v4, v200
	v_add_f32_e32 v2, v2, v11
	buffer_load_dword v11, off, s[0:3], 0 offset:324
	v_add_f32_e32 v4, v4, v191
	v_add_f32_e32 v2, v2, v12
	s_clause 0x1
	buffer_load_dword v12, off, s[0:3], 0 offset:332
	buffer_load_dword v191, off, s[0:3], 0 offset:340
	v_add_f32_e32 v4, v4, v138
	v_add_f32_e32 v2, v2, v193
	s_clause 0x1
	buffer_load_dword v193, off, s[0:3], 0 offset:348
	buffer_load_dword v198, off, s[0:3], 0 offset:356
	v_add_f32_e32 v4, v4, v192
	v_add_f32_e32 v2, v2, v171
	;; [unrolled: 1-line block ×4, first 2 shown]
	s_clause 0x3
	buffer_load_dword v10, off, s[0:3], 0 offset:368
	buffer_load_dword v164, off, s[0:3], 0 offset:360
	;; [unrolled: 1-line block ×4, first 2 shown]
	v_add_f32_e32 v4, v4, v201
	v_add_f32_e32 v2, v2, v159
	buffer_load_dword v159, off, s[0:3], 0 offset:364
	v_add_f32_e32 v4, v4, v170
	s_clause 0x1
	buffer_load_dword v170, off, s[0:3], 0 offset:372
	buffer_load_dword v199, off, s[0:3], 0 offset:380
	v_add_f32_e32 v2, v2, v147
	v_add_f32_e32 v4, v4, v169
	v_add_f32_e32 v2, v2, v161
	v_add_f32_e32 v4, v4, v186
	s_clause 0x3
	buffer_load_dword v161, off, s[0:3], 0 offset:400
	buffer_load_dword v169, off, s[0:3], 0 offset:392
	;; [unrolled: 1-line block ×4, first 2 shown]
	v_add_f32_e32 v2, v2, v157
	v_add_f32_e32 v4, v4, v163
	buffer_load_dword v163, off, s[0:3], 0 offset:388
	v_add_f32_e32 v2, v2, v152
	v_add_f32_e32 v4, v4, v168
	buffer_load_dword v168, off, s[0:3], 0 offset:396
	v_add_f32_e32 v2, v2, v142
	v_add_f32_e32 v4, v4, v166
	s_clause 0x2
	buffer_load_dword v166, off, s[0:3], 0 offset:404
	buffer_load_dword v201, off, s[0:3], 0 offset:412
	;; [unrolled: 1-line block ×3, first 2 shown]
	v_add_f32_e32 v2, v2, v154
	v_add_f32_e32 v4, v4, v167
	s_clause 0x2
	buffer_load_dword v167, off, s[0:3], 0 offset:428
	buffer_load_dword v206, off, s[0:3], 0 offset:436
	;; [unrolled: 1-line block ×3, first 2 shown]
	v_add_f32_e32 v2, v2, v151
	buffer_load_dword v208, off, s[0:3], 0 offset:452
	v_add_f32_e32 v4, v4, v156
	s_clause 0x2
	buffer_load_dword v209, off, s[0:3], 0 offset:460
	buffer_load_dword v210, off, s[0:3], 0 offset:468
	;; [unrolled: 1-line block ×3, first 2 shown]
	v_add_f32_e32 v2, v2, v148
	v_add_f32_e32 v4, v4, v165
	buffer_load_dword v165, off, s[0:3], 0 offset:476
	v_add_f32_e32 v2, v2, v141
	v_add_f32_e32 v4, v4, v160
	buffer_load_dword v160, off, s[0:3], 0 offset:492
	v_add_f32_e32 v2, v2, v149
	v_add_f32_e32 v4, v4, v162
	s_clause 0x3
	buffer_load_dword v162, off, s[0:3], 0 offset:432
	buffer_load_dword v212, off, s[0:3], 0 offset:424
	buffer_load_dword v213, off, s[0:3], 0 offset:416
	buffer_load_dword v214, off, s[0:3], 0 offset:408
	v_add_f32_e32 v2, v2, v146
	v_add_f32_e32 v4, v4, v150
	s_waitcnt vmcnt(39) lgkmcnt(0)
	v_mul_f32_e32 v150, v6, v3
	v_mul_f32_e32 v3, v7, v3
	v_add_f32_e32 v2, v2, v143
	v_add_f32_e32 v4, v4, v158
	s_clause 0x3
	buffer_load_dword v158, off, s[0:3], 0 offset:464
	buffer_load_dword v215, off, s[0:3], 0 offset:456
	;; [unrolled: 1-line block ×4, first 2 shown]
	v_fmac_f32_e32 v150, v7, v188
	v_add_f32_e32 v2, v2, v140
	v_fma_f32 v151, v6, v188, -v3
	v_add_f32_e32 v4, v4, v153
	v_add_f32_e32 v2, v2, v144
	;; [unrolled: 1-line block ×4, first 2 shown]
	s_clause 0x3
	buffer_load_dword v178, off, s[0:3], 0 offset:488
	buffer_load_dword v218, off, s[0:3], 0 offset:480
	;; [unrolled: 1-line block ×4, first 2 shown]
	v_add_f32_e32 v4, v4, v145
	v_add_f32_e32 v2, v2, v175
	;; [unrolled: 1-line block ×5, first 2 shown]
	ds_read_b128 v[2:5], v1 offset:816
	v_add_f32_e32 v138, v6, v176
	v_add_f32_e32 v142, v138, v185
	;; [unrolled: 1-line block ×4, first 2 shown]
	s_waitcnt vmcnt(46)
	v_mul_f32_e32 v154, v8, v172
	v_mul_f32_e32 v6, v9, v172
	s_waitcnt vmcnt(42)
	v_fmac_f32_e32 v154, v9, v139
	v_fma_f32 v155, v8, v139, -v6
	v_add_f32_e32 v139, v7, v180
	ds_read_b128 v[6:9], v1 offset:832
	s_waitcnt vmcnt(41) lgkmcnt(1)
	v_mul_f32_e32 v156, v2, v11
	v_mul_f32_e32 v11, v3, v11
	v_add_f32_e32 v143, v139, v177
	ds_read_b128 v[138:141], v1 offset:848
	s_waitcnt vmcnt(40)
	v_mul_f32_e32 v172, v4, v12
	v_fmac_f32_e32 v156, v3, v197
	v_fma_f32 v11, v2, v197, -v11
	v_add_f32_e32 v143, v143, v189
	v_add_f32_e32 v3, v146, v195
	v_mul_f32_e32 v12, v5, v12
	v_fmac_f32_e32 v172, v5, v190
	v_add_f32_e32 v2, v143, v203
	ds_read_b128 v[142:145], v1 offset:864
	v_add_f32_e32 v3, v3, v196
	v_fma_f32 v12, v4, v190, -v12
	v_add_f32_e32 v2, v2, v187
	s_waitcnt vmcnt(39) lgkmcnt(2)
	v_mul_f32_e32 v146, v7, v191
	v_mul_f32_e32 v174, v6, v191
	s_waitcnt vmcnt(38)
	v_mul_f32_e32 v152, v9, v193
	v_mul_f32_e32 v175, v8, v193
	v_add_f32_e32 v2, v2, v204
	s_waitcnt vmcnt(37) lgkmcnt(1)
	v_mul_f32_e32 v176, v138, v198
	v_fma_f32 v177, v6, v182, -v146
	v_add_f32_e32 v6, v3, v194
	v_fmac_f32_e32 v174, v7, v182
	v_add_f32_e32 v7, v2, v202
	v_mul_f32_e32 v153, v139, v198
	s_waitcnt vmcnt(34)
	v_fmac_f32_e32 v176, v139, v171
	v_add_f32_e32 v139, v6, v151
	s_waitcnt vmcnt(32)
	v_mul_f32_e32 v180, v140, v159
	v_fma_f32 v179, v8, v192, -v152
	v_fma_f32 v171, v138, v171, -v153
	v_add_f32_e32 v138, v7, v150
	v_add_f32_e32 v139, v139, v155
	v_mul_f32_e32 v155, v141, v159
	s_waitcnt vmcnt(31) lgkmcnt(0)
	v_mul_f32_e32 v159, v142, v170
	ds_read_b128 v[2:5], v1 offset:880
	ds_read_b128 v[146:149], v1 offset:896
	v_add_f32_e32 v138, v138, v154
	v_add_f32_e32 v11, v139, v11
	v_mul_f32_e32 v139, v143, v170
	s_waitcnt vmcnt(30)
	v_mul_f32_e32 v170, v145, v199
	v_fmac_f32_e32 v159, v143, v10
	v_fmac_f32_e32 v175, v9, v192
	v_add_f32_e32 v11, v11, v12
	v_fma_f32 v10, v142, v10, -v139
	v_add_f32_e32 v142, v138, v156
	s_waitcnt vmcnt(26)
	v_fma_f32 v12, v144, v200, -v170
	v_fmac_f32_e32 v180, v141, v164
	v_add_f32_e32 v11, v11, v177
	v_fma_f32 v164, v140, v164, -v155
	v_add_f32_e32 v170, v142, v172
	v_mul_f32_e32 v181, v144, v199
	ds_read_b128 v[6:9], v1 offset:912
	ds_read_b128 v[150:153], v1 offset:928
	v_add_f32_e32 v11, v11, v179
	ds_read_b128 v[138:141], v1 offset:944
	ds_read_b128 v[154:157], v1 offset:960
	v_add_f32_e32 v170, v170, v174
	v_fmac_f32_e32 v181, v145, v200
	ds_read_b128 v[142:145], v1 offset:976
	v_add_f32_e32 v11, v11, v171
	s_waitcnt vmcnt(25) lgkmcnt(6)
	v_mul_f32_e32 v1, v2, v163
	v_add_f32_e32 v170, v170, v175
	v_mul_f32_e32 v163, v3, v163
	s_waitcnt vmcnt(24)
	v_mul_f32_e32 v172, v4, v168
	v_add_f32_e32 v11, v11, v164
	v_mul_f32_e32 v168, v5, v168
	v_add_f32_e32 v170, v170, v176
	v_fma_f32 v2, v2, v186, -v163
	v_fmac_f32_e32 v1, v3, v186
	v_add_f32_e32 v10, v11, v10
	v_fma_f32 v4, v4, v169, -v168
	v_add_f32_e32 v170, v170, v180
	s_waitcnt vmcnt(23) lgkmcnt(5)
	v_mul_f32_e32 v174, v146, v166
	v_fmac_f32_e32 v172, v5, v169
	v_add_f32_e32 v10, v10, v12
	s_waitcnt vmcnt(22)
	v_mul_f32_e32 v5, v149, v201
	v_add_f32_e32 v159, v170, v159
	v_mul_f32_e32 v175, v148, v201
	v_fmac_f32_e32 v174, v147, v161
	v_add_f32_e32 v2, v10, v2
	s_waitcnt vmcnt(8)
	v_fma_f32 v5, v148, v214, -v5
	v_add_f32_e32 v12, v159, v181
	v_mul_f32_e32 v159, v147, v166
	s_waitcnt lgkmcnt(4)
	v_mul_f32_e32 v177, v6, v205
	v_add_f32_e32 v2, v2, v4
	v_mul_f32_e32 v4, v7, v205
	v_add_f32_e32 v1, v12, v1
	v_fma_f32 v10, v146, v161, -v159
	v_fmac_f32_e32 v175, v149, v214
	v_mul_f32_e32 v171, v8, v167
	v_fma_f32 v4, v6, v213, -v4
	v_add_f32_e32 v1, v1, v172
	v_add_f32_e32 v2, v2, v10
	v_mul_f32_e32 v10, v9, v167
	v_fmac_f32_e32 v177, v7, v213
	s_waitcnt lgkmcnt(3)
	v_mul_f32_e32 v176, v150, v206
	v_add_f32_e32 v1, v1, v174
	v_add_f32_e32 v2, v2, v5
	v_mul_f32_e32 v5, v151, v206
	v_fma_f32 v6, v8, v212, -v10
	v_fmac_f32_e32 v171, v9, v212
	v_add_f32_e32 v1, v1, v175
	v_add_f32_e32 v2, v2, v4
	v_mul_f32_e32 v4, v153, v207
	v_fma_f32 v5, v150, v162, -v5
	v_mul_f32_e32 v179, v152, v207
	v_add_f32_e32 v1, v1, v177
	v_add_f32_e32 v2, v2, v6
	v_fmac_f32_e32 v176, v151, v162
	s_waitcnt lgkmcnt(2)
	v_mul_f32_e32 v6, v139, v208
	s_waitcnt vmcnt(4)
	v_fma_f32 v4, v152, v217, -v4
	v_add_f32_e32 v1, v1, v171
	v_add_f32_e32 v2, v2, v5
	v_mul_f32_e32 v164, v138, v208
	v_fmac_f32_e32 v179, v153, v217
	v_mul_f32_e32 v5, v141, v209
	v_add_f32_e32 v1, v1, v176
	v_fma_f32 v6, v138, v216, -v6
	v_add_f32_e32 v2, v2, v4
	v_mul_f32_e32 v180, v140, v209
	v_fmac_f32_e32 v164, v139, v216
	v_add_f32_e32 v1, v1, v179
	s_waitcnt lgkmcnt(1)
	v_mul_f32_e32 v4, v155, v210
	v_fma_f32 v5, v140, v215, -v5
	v_add_f32_e32 v2, v2, v6
	v_mul_f32_e32 v182, v154, v210
	v_fmac_f32_e32 v180, v141, v215
	v_add_f32_e32 v1, v1, v164
	v_mul_f32_e32 v6, v157, v165
	v_fma_f32 v4, v154, v158, -v4
	v_add_f32_e32 v2, v2, v5
	v_mul_f32_e32 v11, v156, v165
	v_fmac_f32_e32 v182, v155, v158
	v_add_f32_e32 v1, v1, v180
	s_waitcnt lgkmcnt(0)
	v_mul_f32_e32 v5, v143, v211
	s_waitcnt vmcnt(1)
	v_fma_f32 v6, v156, v219, -v6
	v_add_f32_e32 v2, v2, v4
	v_mul_f32_e32 v170, v142, v211
	v_fmac_f32_e32 v11, v157, v219
	v_add_f32_e32 v1, v1, v182
	v_mul_f32_e32 v4, v145, v160
	v_fma_f32 v5, v142, v218, -v5
	v_add_f32_e32 v2, v2, v6
	v_mul_f32_e32 v3, v144, v160
	v_fmac_f32_e32 v170, v143, v218
	v_add_f32_e32 v1, v1, v11
	v_fma_f32 v4, v144, v178, -v4
	v_add_f32_e32 v2, v2, v5
	v_fmac_f32_e32 v3, v145, v178
	v_add_f32_e32 v1, v1, v170
	v_add_f32_e32 v2, v2, v4
	;; [unrolled: 1-line block ×3, first 2 shown]
	s_waitcnt vmcnt(0)
	v_sub_f32_e32 v2, v220, v2
	v_sub_f32_e32 v1, v173, v1
	buffer_store_dword v2, off, s[0:3], 0 offset:24
	buffer_store_dword v1, off, s[0:3], 0 offset:28
	v_cmpx_lt_u32_e32 2, v0
	s_cbranch_execz .LBB125_381
; %bb.380:
	s_clause 0x1
	buffer_load_dword v1, off, s[0:3], 0 offset:16
	buffer_load_dword v2, off, s[0:3], 0 offset:20
	v_mov_b32_e32 v3, 0
	buffer_store_dword v3, off, s[0:3], 0 offset:16
	buffer_store_dword v3, off, s[0:3], 0 offset:20
	s_waitcnt vmcnt(0)
	ds_write_b64 v137, v[1:2]
.LBB125_381:
	s_or_b32 exec_lo, exec_lo, s4
	s_waitcnt lgkmcnt(0)
	s_waitcnt_vscnt null, 0x0
	s_barrier
	buffer_gl0_inv
	s_clause 0x34
	buffer_load_dword v11, off, s[0:3], 0 offset:28
	buffer_load_dword v10, off, s[0:3], 0 offset:36
	buffer_load_dword v12, off, s[0:3], 0 offset:40
	buffer_load_dword v138, off, s[0:3], 0 offset:32
	buffer_load_dword v141, off, s[0:3], 0 offset:24
	buffer_load_dword v140, off, s[0:3], 0 offset:44
	buffer_load_dword v139, off, s[0:3], 0 offset:52
	buffer_load_dword v142, off, s[0:3], 0 offset:60
	buffer_load_dword v143, off, s[0:3], 0 offset:72
	buffer_load_dword v145, off, s[0:3], 0 offset:64
	buffer_load_dword v147, off, s[0:3], 0 offset:56
	buffer_load_dword v150, off, s[0:3], 0 offset:48
	buffer_load_dword v149, off, s[0:3], 0 offset:68
	buffer_load_dword v148, off, s[0:3], 0 offset:76
	buffer_load_dword v146, off, s[0:3], 0 offset:84
	buffer_load_dword v144, off, s[0:3], 0 offset:92
	buffer_load_dword v156, off, s[0:3], 0 offset:104
	buffer_load_dword v164, off, s[0:3], 0 offset:96
	buffer_load_dword v172, off, s[0:3], 0 offset:88
	buffer_load_dword v179, off, s[0:3], 0 offset:80
	buffer_load_dword v178, off, s[0:3], 0 offset:100
	buffer_load_dword v173, off, s[0:3], 0 offset:108
	buffer_load_dword v167, off, s[0:3], 0 offset:116
	buffer_load_dword v175, off, s[0:3], 0 offset:124
	buffer_load_dword v160, off, s[0:3], 0 offset:136
	buffer_load_dword v168, off, s[0:3], 0 offset:128
	buffer_load_dword v174, off, s[0:3], 0 offset:120
	buffer_load_dword v181, off, s[0:3], 0 offset:112
	buffer_load_dword v180, off, s[0:3], 0 offset:132
	buffer_load_dword v176, off, s[0:3], 0 offset:140
	buffer_load_dword v171, off, s[0:3], 0 offset:148
	buffer_load_dword v169, off, s[0:3], 0 offset:156
	buffer_load_dword v152, off, s[0:3], 0 offset:168
	buffer_load_dword v157, off, s[0:3], 0 offset:160
	buffer_load_dword v163, off, s[0:3], 0 offset:152
	buffer_load_dword v177, off, s[0:3], 0 offset:144
	buffer_load_dword v170, off, s[0:3], 0 offset:164
	buffer_load_dword v165, off, s[0:3], 0 offset:172
	buffer_load_dword v161, off, s[0:3], 0 offset:180
	buffer_load_dword v159, off, s[0:3], 0 offset:188
	buffer_load_dword v151, off, s[0:3], 0 offset:200
	buffer_load_dword v153, off, s[0:3], 0 offset:192
	buffer_load_dword v158, off, s[0:3], 0 offset:184
	buffer_load_dword v166, off, s[0:3], 0 offset:176
	buffer_load_dword v162, off, s[0:3], 0 offset:196
	buffer_load_dword v155, off, s[0:3], 0 offset:204
	buffer_load_dword v154, off, s[0:3], 0 offset:212
	buffer_load_dword v182, off, s[0:3], 0 offset:232
	buffer_load_dword v185, off, s[0:3], 0 offset:224
	buffer_load_dword v186, off, s[0:3], 0 offset:216
	buffer_load_dword v189, off, s[0:3], 0 offset:208
	buffer_load_dword v188, off, s[0:3], 0 offset:220
	buffer_load_dword v187, off, s[0:3], 0 offset:228
	v_mov_b32_e32 v9, 0
	ds_read2_b64 v[191:194], v9 offset0:65 offset1:66
	ds_read2_b64 v[5:8], v9 offset0:67 offset1:68
	;; [unrolled: 1-line block ×3, first 2 shown]
	s_clause 0x2
	buffer_load_dword v184, off, s[0:3], 0 offset:236
	buffer_load_dword v183, off, s[0:3], 0 offset:244
	;; [unrolled: 1-line block ×3, first 2 shown]
	ds_read2_b64 v[195:198], v9 offset0:71 offset1:72
	s_mov_b32 s4, exec_lo
	s_waitcnt vmcnt(55) lgkmcnt(3)
	v_mul_f32_e32 v199, v191, v11
	v_mul_f32_e32 v11, v192, v11
	s_waitcnt vmcnt(54)
	v_mul_f32_e32 v200, v193, v10
	v_mul_f32_e32 v10, v194, v10
	s_waitcnt vmcnt(51)
	v_fmac_f32_e32 v199, v192, v141
	v_fma_f32 v11, v191, v141, -v11
	v_fmac_f32_e32 v200, v194, v138
	v_fma_f32 v10, v193, v138, -v10
	ds_read2_b64 v[191:194], v9 offset0:73 offset1:74
	s_waitcnt vmcnt(50) lgkmcnt(3)
	v_mul_f32_e32 v201, v5, v140
	v_mul_f32_e32 v140, v6, v140
	s_waitcnt vmcnt(49)
	v_mul_f32_e32 v202, v7, v139
	v_mul_f32_e32 v138, v8, v139
	s_waitcnt vmcnt(48) lgkmcnt(2)
	v_mul_f32_e32 v203, v1, v142
	v_fmac_f32_e32 v201, v6, v12
	v_fma_f32 v12, v5, v12, -v140
	v_mul_f32_e32 v139, v2, v142
	s_waitcnt vmcnt(44)
	v_fmac_f32_e32 v202, v8, v150
	v_fma_f32 v150, v7, v150, -v138
	ds_read2_b64 v[5:8], v9 offset0:75 offset1:76
	s_waitcnt vmcnt(43)
	v_mul_f32_e32 v204, v3, v149
	v_mul_f32_e32 v138, v4, v149
	v_fmac_f32_e32 v203, v2, v147
	v_fma_f32 v147, v1, v147, -v139
	s_waitcnt vmcnt(42) lgkmcnt(2)
	v_mul_f32_e32 v149, v195, v148
	v_mul_f32_e32 v139, v196, v148
	v_fmac_f32_e32 v204, v4, v145
	v_fma_f32 v148, v3, v145, -v138
	ds_read2_b64 v[1:4], v9 offset0:77 offset1:78
	s_waitcnt vmcnt(41)
	v_mul_f32_e32 v205, v197, v146
	v_mul_f32_e32 v138, v198, v146
	v_fmac_f32_e32 v149, v196, v143
	v_fma_f32 v146, v195, v143, -v139
	s_waitcnt vmcnt(40) lgkmcnt(2)
	v_mul_f32_e32 v195, v191, v144
	v_mul_f32_e32 v142, v192, v144
	s_waitcnt vmcnt(36)
	v_fmac_f32_e32 v205, v198, v179
	v_fma_f32 v179, v197, v179, -v138
	ds_read2_b64 v[138:141], v9 offset0:79 offset1:80
	s_waitcnt vmcnt(35)
	v_mul_f32_e32 v196, v193, v178
	v_mul_f32_e32 v143, v194, v178
	v_fmac_f32_e32 v195, v192, v172
	v_fma_f32 v172, v191, v172, -v142
	s_waitcnt vmcnt(34) lgkmcnt(2)
	v_mul_f32_e32 v178, v5, v173
	v_fmac_f32_e32 v196, v194, v164
	v_fma_f32 v164, v193, v164, -v143
	ds_read2_b64 v[142:145], v9 offset0:81 offset1:82
	v_mul_f32_e32 v173, v6, v173
	s_waitcnt vmcnt(33)
	v_mul_f32_e32 v191, v7, v167
	v_mul_f32_e32 v167, v8, v167
	v_fmac_f32_e32 v178, v6, v156
	v_fma_f32 v156, v5, v156, -v173
	s_waitcnt vmcnt(32) lgkmcnt(2)
	v_mul_f32_e32 v173, v1, v175
	v_mul_f32_e32 v175, v2, v175
	s_waitcnt vmcnt(28)
	v_fmac_f32_e32 v191, v8, v181
	v_fma_f32 v167, v7, v181, -v167
	s_waitcnt vmcnt(27)
	v_mul_f32_e32 v181, v3, v180
	v_mul_f32_e32 v180, v4, v180
	ds_read2_b64 v[5:8], v9 offset0:83 offset1:84
	v_fmac_f32_e32 v173, v2, v174
	v_fma_f32 v174, v1, v174, -v175
	s_waitcnt vmcnt(26) lgkmcnt(2)
	v_mul_f32_e32 v175, v138, v176
	v_mul_f32_e32 v176, v139, v176
	v_fmac_f32_e32 v181, v4, v168
	v_fma_f32 v168, v3, v168, -v180
	s_waitcnt vmcnt(25)
	v_mul_f32_e32 v180, v140, v171
	v_mul_f32_e32 v171, v141, v171
	ds_read2_b64 v[1:4], v9 offset0:85 offset1:86
	v_fmac_f32_e32 v175, v139, v160
	v_fma_f32 v160, v138, v160, -v176
	s_waitcnt vmcnt(24) lgkmcnt(2)
	v_mul_f32_e32 v176, v142, v169
	v_mul_f32_e32 v138, v143, v169
	s_waitcnt vmcnt(20)
	v_fmac_f32_e32 v180, v141, v177
	v_fma_f32 v169, v140, v177, -v171
	s_clause 0x3
	buffer_load_dword v171, off, s[0:3], 0 offset:264
	buffer_load_dword v177, off, s[0:3], 0 offset:256
	;; [unrolled: 1-line block ×4, first 2 shown]
	v_fmac_f32_e32 v176, v143, v163
	v_fma_f32 v142, v142, v163, -v138
	s_waitcnt vmcnt(23)
	v_mul_f32_e32 v194, v144, v170
	s_waitcnt vmcnt(22) lgkmcnt(1)
	v_mul_f32_e32 v143, v5, v165
	v_mul_f32_e32 v163, v6, v165
	;; [unrolled: 1-line block ×3, first 2 shown]
	buffer_load_dword v170, off, s[0:3], 0 offset:276
	v_fmac_f32_e32 v194, v145, v157
	v_fmac_f32_e32 v143, v6, v152
	v_fma_f32 v152, v5, v152, -v163
	v_fma_f32 v144, v144, v157, -v139
	ds_read2_b64 v[138:141], v9 offset0:87 offset1:88
	s_waitcnt vmcnt(16) lgkmcnt(1)
	v_mul_f32_e32 v163, v3, v162
	v_mul_f32_e32 v162, v4, v162
	v_mul_f32_e32 v145, v7, v161
	v_mul_f32_e32 v157, v8, v161
	v_mul_f32_e32 v161, v1, v159
	v_mul_f32_e32 v5, v2, v159
	buffer_load_dword v159, off, s[0:3], 0 offset:252
	v_fmac_f32_e32 v163, v4, v153
	v_fma_f32 v153, v3, v153, -v162
	buffer_load_dword v162, off, s[0:3], 0 offset:260
	v_fmac_f32_e32 v145, v8, v166
	v_fma_f32 v157, v7, v166, -v157
	v_fmac_f32_e32 v161, v2, v158
	v_fma_f32 v158, v1, v158, -v5
	ds_read2_b64 v[5:8], v9 offset0:89 offset1:90
	s_waitcnt vmcnt(17) lgkmcnt(1)
	v_mul_f32_e32 v165, v138, v155
	v_mul_f32_e32 v1, v139, v155
	s_waitcnt vmcnt(16)
	v_mul_f32_e32 v155, v140, v154
	v_mul_f32_e32 v2, v141, v154
	buffer_load_dword v154, off, s[0:3], 0 offset:268
	v_fmac_f32_e32 v165, v139, v151
	v_fma_f32 v138, v138, v151, -v1
	s_waitcnt vmcnt(13)
	v_fmac_f32_e32 v155, v141, v189
	v_fma_f32 v139, v140, v189, -v2
	ds_read2_b64 v[1:4], v9 offset0:91 offset1:92
	s_waitcnt vmcnt(12) lgkmcnt(1)
	v_mul_f32_e32 v140, v5, v188
	v_mul_f32_e32 v141, v6, v188
	s_waitcnt vmcnt(11)
	v_mul_f32_e32 v151, v7, v187
	v_mul_f32_e32 v166, v8, v187
	v_fmac_f32_e32 v140, v6, v186
	v_fma_f32 v141, v5, v186, -v141
	v_fmac_f32_e32 v151, v8, v185
	v_fma_f32 v166, v7, v185, -v166
	s_clause 0x5
	buffer_load_dword v185, off, s[0:3], 0 offset:296
	buffer_load_dword v186, off, s[0:3], 0 offset:288
	;; [unrolled: 1-line block ×6, first 2 shown]
	v_add_f32_e32 v5, 0, v11
	v_add_f32_e32 v6, 0, v199
	buffer_load_dword v11, off, s[0:3], 0 offset:308
	s_waitcnt vmcnt(17) lgkmcnt(0)
	v_mul_f32_e32 v7, v2, v184
	v_add_f32_e32 v5, v5, v10
	buffer_load_dword v10, off, s[0:3], 0 offset:300
	v_add_f32_e32 v6, v6, v200
	s_waitcnt vmcnt(17)
	v_mul_f32_e32 v8, v4, v183
	v_add_f32_e32 v5, v5, v12
	v_mul_f32_e32 v12, v1, v184
	v_add_f32_e32 v6, v6, v201
	;; [unrolled: 2-line block ×3, first 2 shown]
	v_fmac_f32_e32 v12, v2, v182
	v_fma_f32 v150, v1, v182, -v7
	v_add_f32_e32 v6, v6, v202
	v_add_f32_e32 v5, v5, v147
	s_clause 0x3
	buffer_load_dword v147, off, s[0:3], 0 offset:328
	buffer_load_dword v182, off, s[0:3], 0 offset:320
	;; [unrolled: 1-line block ×4, first 2 shown]
	v_add_f32_e32 v6, v6, v203
	v_add_f32_e32 v5, v5, v148
	buffer_load_dword v148, off, s[0:3], 0 offset:316
	v_add_f32_e32 v6, v6, v204
	v_add_f32_e32 v5, v5, v146
	;; [unrolled: 1-line block ×8, first 2 shown]
	s_waitcnt vmcnt(17)
	v_fmac_f32_e32 v184, v4, v193
	v_fma_f32 v193, v3, v193, -v8
	ds_read2_b64 v[1:4], v9 offset0:93 offset1:94
	s_clause 0x2
	buffer_load_dword v149, off, s[0:3], 0 offset:324
	buffer_load_dword v179, off, s[0:3], 0 offset:332
	;; [unrolled: 1-line block ×3, first 2 shown]
	ds_read2_b64 v[5:8], v9 offset0:95 offset1:96
	buffer_load_dword v164, off, s[0:3], 0 offset:348
	s_waitcnt vmcnt(19) lgkmcnt(1)
	v_mul_f32_e32 v172, v1, v159
	v_mul_f32_e32 v159, v2, v159
	s_waitcnt vmcnt(18)
	v_mul_f32_e32 v200, v3, v162
	v_mul_f32_e32 v162, v4, v162
	v_fmac_f32_e32 v172, v2, v192
	v_fma_f32 v159, v1, v192, -v159
	v_add_f32_e32 v1, v195, v196
	v_fmac_f32_e32 v200, v4, v177
	v_fma_f32 v162, v3, v177, -v162
	v_add_f32_e32 v2, v146, v156
	s_clause 0x3
	buffer_load_dword v156, off, s[0:3], 0 offset:360
	buffer_load_dword v177, off, s[0:3], 0 offset:352
	;; [unrolled: 1-line block ×4, first 2 shown]
	v_add_f32_e32 v1, v1, v178
	v_add_f32_e32 v146, v2, v167
	s_clause 0x2
	buffer_load_dword v167, off, s[0:3], 0 offset:356
	buffer_load_dword v178, off, s[0:3], 0 offset:364
	;; [unrolled: 1-line block ×3, first 2 shown]
	v_add_f32_e32 v191, v1, v191
	ds_read2_b64 v[1:4], v9 offset0:97 offset1:98
	v_add_f32_e32 v146, v146, v174
	s_waitcnt vmcnt(24) lgkmcnt(1)
	v_mul_f32_e32 v174, v5, v154
	v_mul_f32_e32 v154, v6, v154
	v_add_f32_e32 v173, v191, v173
	v_mul_f32_e32 v191, v7, v170
	v_mul_f32_e32 v170, v8, v170
	v_fmac_f32_e32 v174, v6, v171
	v_add_f32_e32 v6, v146, v168
	v_fma_f32 v146, v5, v171, -v154
	v_add_f32_e32 v5, v173, v181
	v_add_f32_e32 v160, v6, v160
	s_waitcnt vmcnt(20)
	v_fmac_f32_e32 v191, v8, v188
	v_add_f32_e32 v175, v5, v175
	v_fma_f32 v154, v7, v188, -v170
	s_clause 0x4
	buffer_load_dword v168, off, s[0:3], 0 offset:392
	buffer_load_dword v170, off, s[0:3], 0 offset:384
	;; [unrolled: 1-line block ×5, first 2 shown]
	v_add_f32_e32 v160, v160, v169
	s_waitcnt vmcnt(24) lgkmcnt(0)
	v_mul_f32_e32 v169, v2, v189
	v_add_f32_e32 v175, v175, v180
	v_mul_f32_e32 v188, v1, v189
	ds_read2_b64 v[5:8], v9 offset0:99 offset1:100
	v_add_f32_e32 v142, v160, v142
	v_fma_f32 v169, v1, v187, -v169
	v_add_f32_e32 v1, v175, v176
	v_fmac_f32_e32 v188, v2, v187
	s_clause 0x1
	buffer_load_dword v180, off, s[0:3], 0 offset:388
	buffer_load_dword v189, off, s[0:3], 0 offset:396
	v_add_f32_e32 v2, v142, v144
	buffer_load_dword v160, off, s[0:3], 0 offset:404
	v_add_f32_e32 v1, v1, v194
	s_waitcnt vmcnt(26)
	v_mul_f32_e32 v187, v3, v197
	v_mul_f32_e32 v142, v4, v197
	v_add_f32_e32 v2, v2, v152
	s_clause 0x1
	buffer_load_dword v175, off, s[0:3], 0 offset:412
	buffer_load_dword v176, off, s[0:3], 0 offset:420
	v_add_f32_e32 v1, v1, v143
	buffer_load_dword v194, off, s[0:3], 0 offset:428
	v_fmac_f32_e32 v187, v4, v186
	v_add_f32_e32 v2, v2, v157
	v_fma_f32 v152, v3, v186, -v142
	v_add_f32_e32 v1, v1, v145
	s_clause 0x4
	buffer_load_dword v186, off, s[0:3], 0 offset:436
	buffer_load_dword v197, off, s[0:3], 0 offset:444
	;; [unrolled: 1-line block ×5, first 2 shown]
	v_add_f32_e32 v2, v2, v158
	s_clause 0x2
	buffer_load_dword v158, off, s[0:3], 0 offset:476
	buffer_load_dword v204, off, s[0:3], 0 offset:484
	;; [unrolled: 1-line block ×3, first 2 shown]
	v_add_f32_e32 v1, v1, v161
	s_clause 0x3
	buffer_load_dword v161, off, s[0:3], 0 offset:424
	buffer_load_dword v206, off, s[0:3], 0 offset:416
	;; [unrolled: 1-line block ×4, first 2 shown]
	s_waitcnt vmcnt(39) lgkmcnt(0)
	v_mul_f32_e32 v3, v6, v10
	v_add_f32_e32 v2, v2, v153
	v_add_f32_e32 v1, v1, v163
	;; [unrolled: 1-line block ×4, first 2 shown]
	s_clause 0x3
	buffer_load_dword v163, off, s[0:3], 0 offset:456
	buffer_load_dword v165, off, s[0:3], 0 offset:448
	;; [unrolled: 1-line block ×4, first 2 shown]
	v_add_f32_e32 v2, v2, v139
	v_add_f32_e32 v1, v1, v155
	;; [unrolled: 1-line block ×5, first 2 shown]
	s_clause 0x4
	buffer_load_dword v166, off, s[0:3], 0 offset:488
	buffer_load_dword v211, off, s[0:3], 0 offset:480
	buffer_load_dword v212, off, s[0:3], 0 offset:472
	buffer_load_dword v213, off, s[0:3], 0 offset:464
	buffer_load_dword v214, off, s[0:3], 0 offset:16
	v_add_f32_e32 v1, v1, v151
	v_mul_f32_e32 v151, v7, v11
	v_add_f32_e32 v2, v2, v150
	v_mul_f32_e32 v150, v5, v10
	v_fma_f32 v10, v5, v185, -v3
	v_add_f32_e32 v1, v1, v12
	s_waitcnt vmcnt(44)
	v_fmac_f32_e32 v151, v8, v198
	v_add_f32_e32 v5, v2, v193
	v_fmac_f32_e32 v150, v6, v185
	v_add_f32_e32 v6, v1, v184
	ds_read2_b64 v[1:4], v9 offset0:101 offset1:102
	v_add_f32_e32 v12, v5, v159
	v_mul_f32_e32 v5, v8, v11
	v_add_f32_e32 v138, v6, v172
	v_add_f32_e32 v12, v12, v162
	v_fma_f32 v11, v7, v198, -v5
	ds_read2_b64 v[5:8], v9 offset0:103 offset1:104
	v_add_f32_e32 v142, v138, v200
	ds_read2_b64 v[138:141], v9 offset0:105 offset1:106
	v_add_f32_e32 v12, v12, v146
	v_add_f32_e32 v142, v142, v174
	;; [unrolled: 1-line block ×3, first 2 shown]
	s_waitcnt vmcnt(43) lgkmcnt(2)
	v_mul_f32_e32 v143, v2, v148
	v_mul_f32_e32 v155, v1, v148
	v_fma_f32 v154, v1, v183, -v143
	v_add_f32_e32 v1, v142, v191
	v_fmac_f32_e32 v155, v2, v183
	v_add_f32_e32 v2, v12, v169
	ds_read2_b64 v[142:145], v9 offset0:107 offset1:108
	v_add_f32_e32 v1, v1, v188
	v_add_f32_e32 v2, v2, v152
	;; [unrolled: 1-line block ×3, first 2 shown]
	s_waitcnt vmcnt(42)
	v_mul_f32_e32 v146, v4, v149
	s_waitcnt vmcnt(41) lgkmcnt(2)
	v_mul_f32_e32 v148, v6, v179
	v_mul_f32_e32 v159, v5, v179
	;; [unrolled: 1-line block ×3, first 2 shown]
	s_waitcnt vmcnt(40)
	v_mul_f32_e32 v152, v8, v199
	v_fma_f32 v157, v3, v182, -v146
	v_fma_f32 v172, v5, v147, -v148
	v_add_f32_e32 v5, v2, v10
	v_fmac_f32_e32 v159, v6, v147
	v_add_f32_e32 v6, v1, v150
	s_waitcnt vmcnt(39) lgkmcnt(1)
	v_mul_f32_e32 v10, v139, v164
	v_fmac_f32_e32 v12, v4, v182
	v_add_f32_e32 v11, v5, v11
	v_mul_f32_e32 v162, v7, v199
	v_mul_f32_e32 v169, v138, v164
	ds_read2_b64 v[1:4], v9 offset0:109 offset1:110
	ds_read2_b64 v[146:149], v9 offset0:111 offset1:112
	v_add_f32_e32 v11, v11, v154
	v_add_f32_e32 v11, v11, v157
	s_waitcnt vmcnt(36)
	v_fma_f32 v174, v138, v192, -v10
	v_add_f32_e32 v10, v6, v151
	s_waitcnt vmcnt(35)
	v_fma_f32 v164, v7, v195, -v152
	v_fmac_f32_e32 v162, v8, v195
	s_waitcnt vmcnt(34)
	v_mul_f32_e32 v179, v140, v167
	v_mul_f32_e32 v138, v141, v167
	v_add_f32_e32 v10, v10, v155
	v_fmac_f32_e32 v169, v139, v192
	s_waitcnt vmcnt(33) lgkmcnt(2)
	v_mul_f32_e32 v139, v143, v178
	v_fmac_f32_e32 v179, v141, v177
	v_fma_f32 v177, v140, v177, -v138
	v_add_f32_e32 v10, v10, v12
	v_add_f32_e32 v12, v11, v172
	v_mul_f32_e32 v167, v142, v178
	s_waitcnt vmcnt(32)
	v_mul_f32_e32 v182, v144, v196
	v_mul_f32_e32 v178, v145, v196
	v_add_f32_e32 v159, v10, v159
	v_add_f32_e32 v12, v12, v164
	v_fma_f32 v183, v142, v156, -v139
	v_fmac_f32_e32 v167, v143, v156
	ds_read2_b64 v[5:8], v9 offset0:113 offset1:114
	ds_read2_b64 v[150:153], v9 offset0:115 offset1:116
	v_add_f32_e32 v159, v159, v162
	v_add_f32_e32 v12, v12, v174
	ds_read2_b64 v[138:141], v9 offset0:117 offset1:118
	ds_read2_b64 v[154:157], v9 offset0:119 offset1:120
	s_waitcnt vmcnt(28)
	v_fmac_f32_e32 v182, v145, v173
	v_add_f32_e32 v159, v159, v169
	v_add_f32_e32 v12, v12, v177
	v_fma_f32 v172, v144, v173, -v178
	s_waitcnt vmcnt(27) lgkmcnt(5)
	v_mul_f32_e32 v173, v2, v181
	v_mul_f32_e32 v164, v1, v181
	v_add_f32_e32 v159, v159, v179
	v_add_f32_e32 v12, v12, v183
	ds_read2_b64 v[142:145], v9 offset0:121 offset1:122
	ds_read_b64 v[10:11], v9 offset:984
	v_fma_f32 v1, v1, v171, -v173
	s_waitcnt vmcnt(26)
	v_mul_f32_e32 v178, v4, v180
	v_add_f32_e32 v159, v159, v167
	v_add_f32_e32 v12, v12, v172
	v_mul_f32_e32 v162, v3, v180
	v_fmac_f32_e32 v164, v2, v171
	s_waitcnt vmcnt(25) lgkmcnt(6)
	v_mul_f32_e32 v177, v147, v189
	v_add_f32_e32 v159, v159, v182
	v_fma_f32 v3, v3, v170, -v178
	v_add_f32_e32 v1, v12, v1
	v_mul_f32_e32 v174, v146, v189
	v_fmac_f32_e32 v162, v4, v170
	v_add_f32_e32 v12, v159, v164
	s_waitcnt vmcnt(24)
	v_mul_f32_e32 v169, v148, v160
	v_mul_f32_e32 v160, v149, v160
	v_fma_f32 v146, v146, v168, -v177
	v_add_f32_e32 v1, v1, v3
	v_fmac_f32_e32 v174, v147, v168
	v_add_f32_e32 v3, v12, v162
	s_waitcnt vmcnt(23) lgkmcnt(5)
	v_mul_f32_e32 v12, v6, v175
	v_mul_f32_e32 v2, v5, v175
	s_waitcnt vmcnt(9)
	v_fma_f32 v147, v148, v208, -v160
	v_add_f32_e32 v1, v1, v146
	v_fmac_f32_e32 v169, v149, v208
	v_add_f32_e32 v3, v3, v174
	v_mul_f32_e32 v146, v8, v176
	v_fma_f32 v5, v5, v207, -v12
	v_add_f32_e32 v1, v1, v147
	v_mul_f32_e32 v171, v7, v176
	v_fmac_f32_e32 v2, v6, v207
	v_add_f32_e32 v3, v3, v169
	s_waitcnt lgkmcnt(4)
	v_mul_f32_e32 v6, v151, v194
	v_fma_f32 v7, v7, v206, -v146
	v_add_f32_e32 v1, v1, v5
	v_mul_f32_e32 v173, v150, v194
	v_fmac_f32_e32 v171, v8, v206
	v_add_f32_e32 v2, v3, v2
	v_mul_f32_e32 v3, v153, v186
	v_fma_f32 v5, v150, v161, -v6
	v_add_f32_e32 v1, v1, v7
	v_mul_f32_e32 v4, v152, v186
	v_fmac_f32_e32 v173, v151, v161
	v_add_f32_e32 v2, v2, v171
	s_waitcnt lgkmcnt(3)
	v_mul_f32_e32 v6, v139, v197
	s_waitcnt vmcnt(5)
	v_fma_f32 v3, v152, v210, -v3
	v_add_f32_e32 v1, v1, v5
	v_mul_f32_e32 v170, v138, v197
	v_fmac_f32_e32 v4, v153, v210
	v_add_f32_e32 v2, v2, v173
	v_mul_f32_e32 v5, v141, v201
	v_fma_f32 v6, v138, v209, -v6
	v_add_f32_e32 v1, v1, v3
	v_mul_f32_e32 v167, v140, v201
	v_fmac_f32_e32 v170, v139, v209
	v_add_f32_e32 v2, v2, v4
	s_waitcnt lgkmcnt(2)
	v_mul_f32_e32 v3, v155, v202
	v_fma_f32 v4, v140, v165, -v5
	v_add_f32_e32 v1, v1, v6
	v_mul_f32_e32 v178, v154, v202
	v_fmac_f32_e32 v167, v141, v165
	v_add_f32_e32 v2, v2, v170
	v_mul_f32_e32 v5, v157, v203
	v_fma_f32 v3, v154, v163, -v3
	v_add_f32_e32 v1, v1, v4
	v_mul_f32_e32 v179, v156, v203
	v_fmac_f32_e32 v178, v155, v163
	v_add_f32_e32 v2, v2, v167
	s_waitcnt lgkmcnt(1)
	v_mul_f32_e32 v4, v143, v158
	s_waitcnt vmcnt(1)
	v_fma_f32 v5, v156, v213, -v5
	v_add_f32_e32 v1, v1, v3
	v_mul_f32_e32 v172, v142, v158
	v_fmac_f32_e32 v179, v157, v213
	v_add_f32_e32 v2, v2, v178
	v_mul_f32_e32 v3, v145, v204
	v_fma_f32 v4, v142, v212, -v4
	v_add_f32_e32 v1, v1, v5
	v_mul_f32_e32 v180, v144, v204
	v_fmac_f32_e32 v172, v143, v212
	v_add_f32_e32 v2, v2, v179
	s_waitcnt lgkmcnt(0)
	v_mul_f32_e32 v5, v11, v205
	v_fma_f32 v3, v144, v211, -v3
	v_add_f32_e32 v1, v1, v4
	v_mul_f32_e32 v159, v10, v205
	v_fmac_f32_e32 v180, v145, v211
	v_add_f32_e32 v2, v2, v172
	v_fma_f32 v4, v10, v166, -v5
	v_add_f32_e32 v1, v1, v3
	v_fmac_f32_e32 v159, v11, v166
	v_add_f32_e32 v2, v2, v180
	v_add_f32_e32 v1, v1, v4
	;; [unrolled: 1-line block ×3, first 2 shown]
	s_waitcnt vmcnt(0)
	v_sub_f32_e32 v1, v214, v1
	v_sub_f32_e32 v2, v190, v2
	buffer_store_dword v1, off, s[0:3], 0 offset:16
	buffer_store_dword v2, off, s[0:3], 0 offset:20
	v_cmpx_lt_u32_e32 1, v0
	s_cbranch_execz .LBB125_383
; %bb.382:
	s_clause 0x1
	buffer_load_dword v1, off, s[0:3], 0 offset:8
	buffer_load_dword v2, off, s[0:3], 0 offset:12
	buffer_store_dword v9, off, s[0:3], 0 offset:8
	buffer_store_dword v9, off, s[0:3], 0 offset:12
	s_waitcnt vmcnt(0)
	ds_write_b64 v137, v[1:2]
.LBB125_383:
	s_or_b32 exec_lo, exec_lo, s4
	s_waitcnt lgkmcnt(0)
	s_waitcnt_vscnt null, 0x0
	s_barrier
	buffer_gl0_inv
	s_clause 0x3c
	buffer_load_dword v172, off, s[0:3], 0 offset:20
	buffer_load_dword v173, off, s[0:3], 0 offset:28
	;; [unrolled: 1-line block ×61, first 2 shown]
	ds_read_b128 v[189:192], v9 offset:512
	ds_read_b128 v[193:196], v9 offset:528
	s_mov_b32 s4, exec_lo
	s_waitcnt vmcnt(60) lgkmcnt(1)
	v_mul_f32_e32 v183, v189, v172
	v_mul_f32_e32 v197, v190, v172
	s_waitcnt vmcnt(59)
	v_mul_f32_e32 v172, v191, v173
	v_mul_f32_e32 v198, v192, v173
	buffer_load_dword v173, off, s[0:3], 0 offset:12
	s_waitcnt vmcnt(57)
	v_fmac_f32_e32 v183, v190, v5
	v_fma_f32 v197, v189, v5, -v197
	v_fmac_f32_e32 v172, v192, v4
	v_fma_f32 v198, v191, v4, -v198
	ds_read_b128 v[189:192], v9 offset:544
	s_waitcnt vmcnt(56) lgkmcnt(1)
	v_mul_f32_e32 v199, v193, v3
	v_mul_f32_e32 v3, v194, v3
	s_waitcnt vmcnt(55)
	v_mul_f32_e32 v200, v195, v2
	v_mul_f32_e32 v2, v196, v2
	v_fmac_f32_e32 v199, v194, v1
	v_fma_f32 v193, v193, v1, -v3
	s_waitcnt vmcnt(51)
	v_fmac_f32_e32 v200, v196, v139
	v_fma_f32 v139, v195, v139, -v2
	ds_read_b128 v[1:4], v9 offset:560
	s_waitcnt vmcnt(50) lgkmcnt(1)
	v_mul_f32_e32 v194, v189, v138
	v_mul_f32_e32 v5, v190, v138
	s_waitcnt vmcnt(49)
	v_mul_f32_e32 v138, v191, v12
	v_mul_f32_e32 v12, v192, v12
	v_fmac_f32_e32 v194, v190, v11
	v_fma_f32 v11, v189, v11, -v5
	v_fmac_f32_e32 v138, v192, v7
	v_fma_f32 v12, v191, v7, -v12
	ds_read_b128 v[189:192], v9 offset:576
	s_waitcnt vmcnt(48) lgkmcnt(1)
	v_mul_f32_e32 v195, v1, v10
	v_mul_f32_e32 v5, v2, v10
	s_waitcnt vmcnt(47)
	v_mul_f32_e32 v10, v3, v8
	v_mul_f32_e32 v7, v4, v8
	v_fmac_f32_e32 v195, v2, v6
	v_fma_f32 v196, v1, v6, -v5
	s_waitcnt vmcnt(43)
	v_fmac_f32_e32 v10, v4, v147
	v_fma_f32 v147, v3, v147, -v7
	ds_read_b128 v[1:4], v9 offset:592
	s_waitcnt vmcnt(42) lgkmcnt(1)
	v_mul_f32_e32 v201, v189, v146
	v_mul_f32_e32 v5, v190, v146
	s_waitcnt vmcnt(41)
	v_mul_f32_e32 v146, v191, v145
	v_mul_f32_e32 v6, v192, v145
	v_fmac_f32_e32 v201, v190, v144
	v_fma_f32 v144, v189, v144, -v5
	v_fmac_f32_e32 v146, v192, v141
	v_fma_f32 v141, v191, v141, -v6
	ds_read_b128 v[5:8], v9 offset:608
	s_waitcnt vmcnt(40) lgkmcnt(1)
	v_mul_f32_e32 v145, v1, v143
	v_mul_f32_e32 v143, v2, v143
	s_waitcnt vmcnt(39)
	v_mul_f32_e32 v189, v3, v142
	v_mul_f32_e32 v142, v4, v142
	s_clause 0x1
	buffer_load_dword v190, off, s[0:3], 0 offset:260
	buffer_load_dword v191, off, s[0:3], 0 offset:268
	v_fmac_f32_e32 v145, v2, v140
	v_fma_f32 v140, v1, v140, -v143
	s_waitcnt vmcnt(37)
	v_fmac_f32_e32 v189, v4, v171
	v_fma_f32 v142, v3, v171, -v142
	ds_read_b128 v[1:4], v9 offset:624
	s_waitcnt vmcnt(36) lgkmcnt(1)
	v_mul_f32_e32 v143, v5, v170
	v_mul_f32_e32 v170, v6, v170
	s_waitcnt vmcnt(35)
	v_mul_f32_e32 v171, v7, v169
	v_mul_f32_e32 v169, v8, v169
	v_fmac_f32_e32 v143, v6, v164
	v_fma_f32 v164, v5, v164, -v170
	v_fmac_f32_e32 v171, v8, v159
	v_fma_f32 v159, v7, v159, -v169
	ds_read_b128 v[5:8], v9 offset:640
	s_waitcnt vmcnt(34) lgkmcnt(1)
	v_mul_f32_e32 v169, v1, v163
	v_mul_f32_e32 v163, v2, v163
	s_waitcnt vmcnt(33)
	v_mul_f32_e32 v170, v3, v161
	v_mul_f32_e32 v161, v4, v161
	v_fmac_f32_e32 v169, v2, v150
	v_fma_f32 v150, v1, v150, -v163
	s_waitcnt vmcnt(29)
	v_fmac_f32_e32 v170, v4, v168
	v_fma_f32 v161, v3, v168, -v161
	ds_read_b128 v[1:4], v9 offset:656
	s_waitcnt vmcnt(28) lgkmcnt(1)
	v_mul_f32_e32 v163, v5, v167
	v_mul_f32_e32 v167, v6, v167
	s_waitcnt vmcnt(27)
	v_mul_f32_e32 v168, v7, v166
	v_mul_f32_e32 v166, v8, v166
	v_fmac_f32_e32 v163, v6, v158
	v_fma_f32 v158, v5, v158, -v167
	v_fmac_f32_e32 v168, v8, v155
	v_fma_f32 v155, v7, v155, -v166
	ds_read_b128 v[5:8], v9 offset:672
	s_waitcnt vmcnt(26) lgkmcnt(1)
	v_mul_f32_e32 v166, v1, v157
	v_mul_f32_e32 v157, v2, v157
	s_waitcnt vmcnt(25)
	v_mul_f32_e32 v167, v3, v156
	v_mul_f32_e32 v156, v4, v156
	;; [unrolled: 23-line block ×4, first 2 shown]
	v_fmac_f32_e32 v179, v2, v174
	v_fma_f32 v174, v1, v174, -v177
	s_waitcnt vmcnt(5)
	v_fmac_f32_e32 v180, v4, v188
	v_fma_f32 v176, v3, v188, -v176
	ds_read_b128 v[1:4], v9 offset:752
	s_waitcnt vmcnt(4) lgkmcnt(1)
	v_mul_f32_e32 v177, v5, v187
	v_mul_f32_e32 v187, v6, v187
	s_waitcnt vmcnt(3)
	v_mul_f32_e32 v188, v7, v186
	v_mul_f32_e32 v186, v8, v186
	v_fmac_f32_e32 v177, v6, v185
	v_fma_f32 v185, v5, v185, -v187
	v_fmac_f32_e32 v188, v8, v184
	v_fma_f32 v184, v7, v184, -v186
	s_clause 0x5
	buffer_load_dword v186, off, s[0:3], 0 offset:288
	buffer_load_dword v187, off, s[0:3], 0 offset:280
	;; [unrolled: 1-line block ×6, first 2 shown]
	v_add_f32_e32 v6, 0, v197
	buffer_load_dword v197, off, s[0:3], 0 offset:292
	v_add_f32_e32 v7, 0, v183
	v_add_f32_e32 v6, v6, v198
	;; [unrolled: 1-line block ×3, first 2 shown]
	buffer_load_dword v172, off, s[0:3], 0 offset:300
	v_add_f32_e32 v6, v6, v193
	v_add_f32_e32 v7, v7, v199
	;; [unrolled: 1-line block ×3, first 2 shown]
	s_clause 0x3
	buffer_load_dword v183, off, s[0:3], 0 offset:320
	buffer_load_dword v139, off, s[0:3], 0 offset:312
	buffer_load_dword v193, off, s[0:3], 0 offset:304
	buffer_load_dword v198, off, s[0:3], 0 offset:296
	v_add_f32_e32 v7, v7, v200
	v_add_f32_e32 v6, v6, v11
	buffer_load_dword v11, off, s[0:3], 0 offset:308
	v_add_f32_e32 v7, v7, v194
	buffer_load_dword v194, off, s[0:3], 0 offset:316
	v_add_f32_e32 v6, v6, v12
	v_add_f32_e32 v7, v7, v138
	;; [unrolled: 1-line block ×5, first 2 shown]
	s_clause 0x1
	buffer_load_dword v12, off, s[0:3], 0 offset:324
	buffer_load_dword v147, off, s[0:3], 0 offset:332
	v_add_f32_e32 v7, v7, v10
	v_add_f32_e32 v6, v6, v144
	s_clause 0x3
	buffer_load_dword v10, off, s[0:3], 0 offset:352
	buffer_load_dword v195, off, s[0:3], 0 offset:344
	;; [unrolled: 1-line block ×4, first 2 shown]
	v_add_f32_e32 v7, v7, v201
	s_clause 0x3
	buffer_load_dword v199, off, s[0:3], 0 offset:340
	buffer_load_dword v200, off, s[0:3], 0 offset:348
	;; [unrolled: 1-line block ×4, first 2 shown]
	v_add_f32_e32 v6, v6, v141
	v_add_f32_e32 v7, v7, v146
	;; [unrolled: 1-line block ×6, first 2 shown]
	s_waitcnt vmcnt(25) lgkmcnt(0)
	v_mul_f32_e32 v138, v1, v190
	s_waitcnt vmcnt(24)
	v_mul_f32_e32 v145, v3, v191
	v_mul_f32_e32 v140, v4, v191
	;; [unrolled: 1-line block ×3, first 2 shown]
	v_fmac_f32_e32 v138, v2, v182
	v_fma_f32 v141, v1, v182, -v8
	s_waitcnt vmcnt(20)
	v_fmac_f32_e32 v145, v4, v5
	v_fma_f32 v142, v3, v5, -v140
	v_add_f32_e32 v5, v6, v164
	v_add_f32_e32 v6, v7, v143
	ds_read_b128 v[1:4], v9 offset:768
	s_clause 0x3
	buffer_load_dword v164, off, s[0:3], 0 offset:384
	buffer_load_dword v182, off, s[0:3], 0 offset:376
	;; [unrolled: 1-line block ×4, first 2 shown]
	v_add_f32_e32 v5, v5, v159
	v_add_f32_e32 v6, v6, v171
	;; [unrolled: 1-line block ×4, first 2 shown]
	s_clause 0x2
	buffer_load_dword v159, off, s[0:3], 0 offset:372
	buffer_load_dword v169, off, s[0:3], 0 offset:380
	;; [unrolled: 1-line block ×3, first 2 shown]
	v_add_f32_e32 v143, v5, v161
	v_add_f32_e32 v140, v140, v170
	ds_read_b128 v[5:8], v9 offset:784
	v_add_f32_e32 v143, v143, v158
	v_add_f32_e32 v140, v140, v163
	s_waitcnt vmcnt(26) lgkmcnt(1)
	v_mul_f32_e32 v146, v1, v202
	v_mul_f32_e32 v150, v2, v202
	s_waitcnt vmcnt(25)
	v_mul_f32_e32 v161, v4, v203
	v_mul_f32_e32 v158, v3, v203
	v_fmac_f32_e32 v146, v2, v192
	v_add_f32_e32 v2, v140, v168
	v_fma_f32 v150, v1, v192, -v150
	v_add_f32_e32 v1, v143, v155
	v_fma_f32 v161, v3, v187, -v161
	s_clause 0x3
	buffer_load_dword v155, off, s[0:3], 0 offset:396
	buffer_load_dword v163, off, s[0:3], 0 offset:404
	;; [unrolled: 1-line block ×4, first 2 shown]
	v_add_f32_e32 v2, v2, v166
	v_fmac_f32_e32 v158, v4, v187
	v_add_f32_e32 v1, v1, v149
	s_clause 0x3
	buffer_load_dword v166, off, s[0:3], 0 offset:428
	buffer_load_dword v187, off, s[0:3], 0 offset:436
	;; [unrolled: 1-line block ×4, first 2 shown]
	s_waitcnt vmcnt(32) lgkmcnt(0)
	v_mul_f32_e32 v149, v5, v197
	v_add_f32_e32 v2, v2, v167
	v_mul_f32_e32 v3, v6, v197
	v_add_f32_e32 v1, v1, v156
	s_clause 0x3
	buffer_load_dword v156, off, s[0:3], 0 offset:460
	buffer_load_dword v167, off, s[0:3], 0 offset:468
	;; [unrolled: 1-line block ×4, first 2 shown]
	v_fmac_f32_e32 v149, v6, v186
	v_add_f32_e32 v2, v2, v157
	v_fma_f32 v157, v5, v186, -v3
	v_add_f32_e32 v1, v1, v154
	buffer_load_dword v154, off, s[0:3], 0 offset:492
	v_add_f32_e32 v5, v2, v165
	s_clause 0x3
	buffer_load_dword v165, off, s[0:3], 0 offset:416
	buffer_load_dword v186, off, s[0:3], 0 offset:408
	;; [unrolled: 1-line block ×4, first 2 shown]
	v_add_f32_e32 v1, v1, v151
	v_add_f32_e32 v5, v5, v160
	;; [unrolled: 1-line block ×3, first 2 shown]
	s_waitcnt vmcnt(40)
	v_mul_f32_e32 v1, v8, v172
	v_mul_f32_e32 v148, v7, v172
	v_add_f32_e32 v5, v5, v162
	v_add_f32_e32 v6, v6, v152
	s_waitcnt vmcnt(36)
	v_fma_f32 v151, v7, v198, -v1
	ds_read_b128 v[1:4], v9 offset:800
	v_add_f32_e32 v5, v5, v153
	v_fmac_f32_e32 v148, v8, v198
	v_add_f32_e32 v6, v6, v178
	s_clause 0x3
	buffer_load_dword v160, off, s[0:3], 0 offset:448
	buffer_load_dword v162, off, s[0:3], 0 offset:440
	;; [unrolled: 1-line block ×4, first 2 shown]
	v_add_f32_e32 v143, v5, v181
	v_add_f32_e32 v140, v6, v175
	ds_read_b128 v[5:8], v9 offset:816
	v_add_f32_e32 v143, v143, v179
	v_add_f32_e32 v140, v140, v174
	s_waitcnt vmcnt(39) lgkmcnt(1)
	v_mul_f32_e32 v152, v1, v11
	v_mul_f32_e32 v11, v2, v11
	s_waitcnt vmcnt(38)
	v_mul_f32_e32 v181, v3, v194
	v_fmac_f32_e32 v152, v2, v193
	v_fma_f32 v11, v1, v193, -v11
	v_add_f32_e32 v1, v140, v176
	s_clause 0x3
	buffer_load_dword v174, off, s[0:3], 0 offset:480
	buffer_load_dword v175, off, s[0:3], 0 offset:472
	buffer_load_dword v176, off, s[0:3], 0 offset:464
	buffer_load_dword v179, off, s[0:3], 0 offset:456
	v_add_f32_e32 v2, v143, v180
	buffer_load_dword v180, off, s[0:3], 0 offset:488
	v_mul_f32_e32 v140, v4, v194
	v_add_f32_e32 v1, v1, v185
	v_fmac_f32_e32 v181, v4, v139
	v_add_f32_e32 v2, v2, v177
	buffer_load_dword v177, off, s[0:3], 0 offset:8
	s_waitcnt vmcnt(43) lgkmcnt(0)
	v_mul_f32_e32 v185, v5, v12
	v_add_f32_e32 v1, v1, v184
	v_fma_f32 v184, v3, v139, -v140
	v_add_f32_e32 v143, v2, v188
	s_waitcnt vmcnt(42)
	v_mul_f32_e32 v188, v7, v147
	v_mul_f32_e32 v12, v6, v12
	v_add_f32_e32 v153, v1, v141
	ds_read_b128 v[1:4], v9 offset:832
	v_add_f32_e32 v143, v143, v138
	ds_read_b128 v[138:141], v9 offset:848
	v_fmac_f32_e32 v185, v6, v183
	v_add_f32_e32 v142, v153, v142
	v_fma_f32 v12, v5, v183, -v12
	v_add_f32_e32 v143, v143, v145
	v_mul_f32_e32 v145, v8, v147
	s_waitcnt vmcnt(38)
	v_fmac_f32_e32 v188, v8, v144
	v_add_f32_e32 v147, v142, v150
	v_add_f32_e32 v146, v143, v146
	v_fma_f32 v183, v7, v144, -v145
	ds_read_b128 v[5:8], v9 offset:864
	ds_read_b128 v[142:145], v9 offset:880
	v_add_f32_e32 v147, v147, v161
	v_add_f32_e32 v146, v146, v158
	;; [unrolled: 1-line block ×3, first 2 shown]
	s_waitcnt vmcnt(37) lgkmcnt(3)
	v_mul_f32_e32 v161, v1, v199
	v_mul_f32_e32 v150, v2, v199
	v_add_f32_e32 v146, v146, v149
	s_waitcnt vmcnt(35) lgkmcnt(2)
	v_mul_f32_e32 v157, v138, v201
	v_mul_f32_e32 v193, v139, v201
	v_fmac_f32_e32 v161, v2, v196
	v_fma_f32 v196, v1, v196, -v150
	v_add_f32_e32 v150, v147, v151
	v_add_f32_e32 v151, v146, v148
	v_fmac_f32_e32 v157, v139, v10
	v_fma_f32 v193, v138, v10, -v193
	v_mul_f32_e32 v158, v3, v200
	v_add_f32_e32 v10, v150, v11
	v_add_f32_e32 v11, v151, v152
	v_mul_f32_e32 v153, v4, v200
	s_waitcnt vmcnt(34)
	v_mul_f32_e32 v194, v140, v204
	v_fmac_f32_e32 v158, v4, v195
	v_add_f32_e32 v10, v10, v184
	v_add_f32_e32 v11, v11, v181
	v_fma_f32 v195, v3, v195, -v153
	v_mul_f32_e32 v153, v141, v204
	ds_read_b128 v[1:4], v9 offset:896
	ds_read_b128 v[146:149], v9 offset:912
	s_waitcnt vmcnt(30)
	v_fmac_f32_e32 v194, v141, v190
	v_fma_f32 v190, v140, v190, -v153
	ds_read_b128 v[138:141], v9 offset:928
	ds_read_b128 v[150:153], v9 offset:944
	s_waitcnt vmcnt(29) lgkmcnt(5)
	v_mul_f32_e32 v184, v5, v159
	s_waitcnt vmcnt(28)
	v_mul_f32_e32 v181, v7, v169
	v_mul_f32_e32 v159, v6, v159
	;; [unrolled: 1-line block ×3, first 2 shown]
	v_fmac_f32_e32 v184, v6, v189
	v_add_f32_e32 v6, v10, v12
	v_add_f32_e32 v10, v11, v185
	v_fmac_f32_e32 v181, v8, v182
	v_fma_f32 v169, v7, v182, -v169
	v_fma_f32 v159, v5, v189, -v159
	v_add_f32_e32 v182, v6, v183
	v_add_f32_e32 v183, v10, v188
	s_waitcnt vmcnt(27) lgkmcnt(4)
	v_mul_f32_e32 v185, v142, v171
	v_mul_f32_e32 v171, v143, v171
	ds_read_b128 v[5:8], v9 offset:960
	ds_read_b128 v[9:12], v9 offset:976
	v_add_f32_e32 v182, v182, v196
	v_add_f32_e32 v161, v183, v161
	v_fmac_f32_e32 v185, v143, v164
	s_waitcnt vmcnt(26)
	v_mul_f32_e32 v183, v144, v155
	v_mul_f32_e32 v155, v145, v155
	v_add_f32_e32 v182, v182, v195
	v_add_f32_e32 v158, v161, v158
	v_fma_f32 v142, v142, v164, -v171
	s_waitcnt vmcnt(25) lgkmcnt(5)
	v_mul_f32_e32 v188, v1, v163
	v_mul_f32_e32 v163, v2, v163
	v_add_f32_e32 v182, v182, v193
	v_add_f32_e32 v157, v158, v157
	s_waitcnt vmcnt(24)
	v_mul_f32_e32 v161, v3, v168
	s_waitcnt vmcnt(23) lgkmcnt(4)
	v_mul_f32_e32 v189, v146, v170
	s_waitcnt vmcnt(22)
	v_mul_f32_e32 v193, v148, v166
	v_add_f32_e32 v182, v182, v190
	v_add_f32_e32 v157, v157, v194
	s_waitcnt vmcnt(21) lgkmcnt(3)
	v_mul_f32_e32 v158, v138, v187
	s_waitcnt vmcnt(20)
	v_mul_f32_e32 v195, v140, v191
	s_waitcnt vmcnt(19) lgkmcnt(2)
	v_mul_f32_e32 v190, v150, v192
	v_add_f32_e32 v159, v182, v159
	v_add_f32_e32 v157, v157, v184
	s_waitcnt vmcnt(11)
	v_fmac_f32_e32 v188, v2, v197
	s_waitcnt vmcnt(10)
	v_fma_f32 v144, v144, v205, -v155
	v_fmac_f32_e32 v183, v145, v205
	v_add_f32_e32 v159, v159, v169
	v_add_f32_e32 v157, v157, v181
	v_mul_f32_e32 v155, v4, v168
	v_fma_f32 v1, v1, v197, -v163
	v_fmac_f32_e32 v161, v4, v186
	v_add_f32_e32 v142, v159, v142
	v_add_f32_e32 v145, v157, v185
	v_fma_f32 v3, v3, v186, -v155
	v_mul_f32_e32 v4, v149, v166
	v_fmac_f32_e32 v189, v147, v165
	v_add_f32_e32 v2, v142, v144
	v_add_f32_e32 v142, v145, v183
	v_mul_f32_e32 v144, v147, v170
	s_waitcnt vmcnt(8)
	v_fmac_f32_e32 v195, v141, v162
	s_waitcnt vmcnt(7)
	v_fmac_f32_e32 v158, v139, v172
	v_add_f32_e32 v1, v2, v1
	v_add_f32_e32 v2, v142, v188
	v_fma_f32 v142, v146, v165, -v144
	s_waitcnt vmcnt(6)
	v_fma_f32 v4, v148, v178, -v4
	v_fmac_f32_e32 v193, v149, v178
	v_add_f32_e32 v1, v1, v3
	v_add_f32_e32 v2, v2, v161
	v_mul_f32_e32 v3, v139, v187
	v_mul_f32_e32 v194, v152, v156
	v_fmac_f32_e32 v190, v151, v160
	v_add_f32_e32 v1, v1, v142
	v_add_f32_e32 v2, v2, v189
	v_mul_f32_e32 v142, v141, v191
	v_fma_f32 v3, v138, v172, -v3
	s_waitcnt lgkmcnt(1)
	v_mul_f32_e32 v196, v5, v167
	v_add_f32_e32 v1, v1, v4
	v_add_f32_e32 v2, v2, v193
	v_mul_f32_e32 v4, v151, v192
	v_fma_f32 v138, v140, v162, -v142
	v_mul_f32_e32 v182, v7, v202
	v_add_f32_e32 v1, v1, v3
	v_add_f32_e32 v2, v2, v158
	v_mul_f32_e32 v3, v153, v156
	v_fma_f32 v4, v150, v160, -v4
	s_waitcnt vmcnt(2)
	v_fmac_f32_e32 v194, v153, v179
	v_add_f32_e32 v1, v1, v138
	v_add_f32_e32 v2, v2, v195
	v_mul_f32_e32 v138, v6, v167
	v_fma_f32 v3, v152, v179, -v3
	v_fmac_f32_e32 v196, v6, v176
	v_add_f32_e32 v1, v1, v4
	v_add_f32_e32 v2, v2, v190
	v_mul_f32_e32 v4, v8, v202
	v_fma_f32 v5, v5, v176, -v138
	s_waitcnt lgkmcnt(0)
	v_mul_f32_e32 v184, v9, v203
	v_add_f32_e32 v1, v1, v3
	v_add_f32_e32 v2, v2, v194
	v_mul_f32_e32 v3, v10, v203
	v_fma_f32 v4, v7, v175, -v4
	v_fmac_f32_e32 v182, v8, v175
	v_add_f32_e32 v1, v1, v5
	v_add_f32_e32 v2, v2, v196
	v_mul_f32_e32 v5, v12, v154
	v_fma_f32 v3, v9, v174, -v3
	v_mul_f32_e32 v143, v11, v154
	v_add_f32_e32 v1, v1, v4
	v_fmac_f32_e32 v184, v10, v174
	v_add_f32_e32 v2, v2, v182
	s_waitcnt vmcnt(1)
	v_fma_f32 v4, v11, v180, -v5
	v_fmac_f32_e32 v143, v12, v180
	v_add_f32_e32 v1, v1, v3
	v_add_f32_e32 v2, v2, v184
	;; [unrolled: 1-line block ×4, first 2 shown]
	s_waitcnt vmcnt(0)
	v_sub_f32_e32 v1, v177, v1
	v_sub_f32_e32 v2, v173, v2
	buffer_store_dword v1, off, s[0:3], 0 offset:8
	buffer_store_dword v2, off, s[0:3], 0 offset:12
	v_cmpx_ne_u32_e32 0, v0
	s_cbranch_execz .LBB125_385
; %bb.384:
	s_clause 0x1
	buffer_load_dword v0, off, s[0:3], 0
	buffer_load_dword v1, off, s[0:3], 0 offset:4
	v_mov_b32_e32 v2, 0
	buffer_store_dword v2, off, s[0:3], 0
	buffer_store_dword v2, off, s[0:3], 0 offset:4
	s_waitcnt vmcnt(0)
	ds_write_b64 v137, v[0:1]
.LBB125_385:
	s_or_b32 exec_lo, exec_lo, s4
	s_waitcnt lgkmcnt(0)
	s_waitcnt_vscnt null, 0x0
	s_barrier
	buffer_gl0_inv
	s_clause 0x3c
	buffer_load_dword v171, off, s[0:3], 0 offset:12
	buffer_load_dword v0, off, s[0:3], 0 offset:24
	;; [unrolled: 1-line block ×61, first 2 shown]
	v_mov_b32_e32 v6, 0
	ds_read2_b64 v[187:190], v6 offset0:63 offset1:64
	ds_read2_b64 v[191:194], v6 offset0:65 offset1:66
	;; [unrolled: 1-line block ×3, first 2 shown]
	s_and_b32 vcc_lo, exec_lo, s16
	s_waitcnt vmcnt(60) lgkmcnt(2)
	v_mul_f32_e32 v181, v187, v171
	v_mul_f32_e32 v199, v188, v171
	buffer_load_dword v171, off, s[0:3], 0 offset:4
	s_waitcnt vmcnt(57)
	v_mul_f32_e32 v200, v189, v4
	v_mul_f32_e32 v4, v190, v4
	v_fmac_f32_e32 v181, v188, v5
	v_fma_f32 v199, v187, v5, -v199
	s_waitcnt vmcnt(56) lgkmcnt(1)
	v_mul_f32_e32 v202, v191, v3
	v_fmac_f32_e32 v200, v190, v2
	v_fma_f32 v201, v189, v2, -v4
	v_mul_f32_e32 v187, v192, v3
	ds_read2_b64 v[2:5], v6 offset0:69 offset1:70
	v_fmac_f32_e32 v202, v192, v0
	s_waitcnt vmcnt(55)
	v_mul_f32_e32 v192, v193, v1
	v_fma_f32 v191, v191, v0, -v187
	v_mul_f32_e32 v0, v194, v1
	ds_read2_b64 v[187:190], v6 offset0:71 offset1:72
	s_waitcnt vmcnt(51)
	v_fmac_f32_e32 v192, v194, v138
	s_waitcnt vmcnt(50) lgkmcnt(2)
	v_mul_f32_e32 v194, v195, v137
	v_fma_f32 v193, v193, v138, -v0
	v_mul_f32_e32 v0, v196, v137
	v_fmac_f32_e32 v194, v196, v11
	s_waitcnt vmcnt(49)
	v_mul_f32_e32 v196, v197, v12
	v_fma_f32 v195, v195, v11, -v0
	v_mul_f32_e32 v0, v198, v12
	v_fmac_f32_e32 v196, v198, v9
	s_waitcnt vmcnt(48) lgkmcnt(1)
	v_mul_f32_e32 v198, v2, v10
	s_waitcnt vmcnt(47)
	v_mul_f32_e32 v204, v4, v8
	v_fma_f32 v197, v197, v9, -v0
	v_mul_f32_e32 v0, v3, v10
	ds_read2_b64 v[9:12], v6 offset0:73 offset1:74
	v_fmac_f32_e32 v198, v3, v7
	s_waitcnt vmcnt(43)
	v_fmac_f32_e32 v204, v5, v146
	v_fma_f32 v203, v2, v7, -v0
	v_mul_f32_e32 v0, v5, v8
	s_waitcnt vmcnt(42) lgkmcnt(1)
	v_mul_f32_e32 v7, v188, v145
	v_mul_f32_e32 v5, v187, v145
	v_fma_f32 v4, v4, v146, -v0
	ds_read2_b64 v[0:3], v6 offset0:75 offset1:76
	v_fma_f32 v145, v187, v143, -v7
	s_waitcnt vmcnt(41)
	v_mul_f32_e32 v7, v190, v144
	v_mul_f32_e32 v146, v189, v144
	v_fmac_f32_e32 v5, v188, v143
	v_fma_f32 v187, v189, v141, -v7
	v_fmac_f32_e32 v146, v190, v141
	s_waitcnt vmcnt(40) lgkmcnt(1)
	v_mul_f32_e32 v7, v10, v142
	v_mul_f32_e32 v188, v9, v142
	ds_read2_b64 v[141:144], v6 offset0:77 offset1:78
	s_waitcnt vmcnt(39)
	v_mul_f32_e32 v190, v11, v140
	v_fma_f32 v189, v9, v139, -v7
	v_mul_f32_e32 v7, v12, v140
	v_fmac_f32_e32 v188, v10, v139
	s_waitcnt vmcnt(35)
	v_fmac_f32_e32 v190, v12, v170
	v_fma_f32 v11, v11, v170, -v7
	ds_read2_b64 v[7:10], v6 offset0:79 offset1:80
	s_waitcnt vmcnt(34) lgkmcnt(2)
	v_mul_f32_e32 v12, v0, v169
	v_mul_f32_e32 v137, v1, v169
	s_waitcnt vmcnt(33)
	v_mul_f32_e32 v169, v2, v166
	v_fmac_f32_e32 v12, v1, v165
	v_fma_f32 v165, v0, v165, -v137
	v_mul_f32_e32 v0, v3, v166
	v_fmac_f32_e32 v169, v3, v159
	s_waitcnt vmcnt(32) lgkmcnt(1)
	v_mul_f32_e32 v166, v141, v163
	v_mul_f32_e32 v137, v142, v163
	v_fma_f32 v159, v2, v159, -v0
	ds_read2_b64 v[0:3], v6 offset0:81 offset1:82
	v_fmac_f32_e32 v166, v142, v151
	v_fma_f32 v141, v141, v151, -v137
	s_waitcnt vmcnt(31)
	v_mul_f32_e32 v142, v143, v157
	v_mul_f32_e32 v137, v144, v157
	s_waitcnt vmcnt(26) lgkmcnt(1)
	v_mul_f32_e32 v151, v8, v167
	s_waitcnt vmcnt(25)
	v_mul_f32_e32 v157, v9, v161
	v_fmac_f32_e32 v142, v144, v168
	v_fma_f32 v143, v143, v168, -v137
	v_mul_f32_e32 v144, v7, v167
	ds_read2_b64 v[137:140], v6 offset0:83 offset1:84
	v_fma_f32 v151, v7, v160, -v151
	v_mul_f32_e32 v7, v10, v161
	v_fmac_f32_e32 v157, v10, v154
	v_fmac_f32_e32 v144, v8, v160
	v_fma_f32 v154, v9, v154, -v7
	ds_read2_b64 v[7:10], v6 offset0:85 offset1:86
	s_waitcnt vmcnt(24) lgkmcnt(2)
	v_mul_f32_e32 v160, v0, v158
	v_mul_f32_e32 v158, v1, v158
	v_fmac_f32_e32 v160, v1, v148
	v_fma_f32 v148, v0, v148, -v158
	s_waitcnt vmcnt(23)
	v_mul_f32_e32 v158, v2, v152
	v_mul_f32_e32 v0, v3, v152
	s_waitcnt vmcnt(18) lgkmcnt(1)
	v_mul_f32_e32 v161, v137, v162
	v_fmac_f32_e32 v158, v3, v164
	v_fma_f32 v152, v2, v164, -v0
	v_mul_f32_e32 v162, v138, v162
	ds_read2_b64 v[0:3], v6 offset0:87 offset1:88
	v_fmac_f32_e32 v161, v138, v155
	v_fma_f32 v155, v137, v155, -v162
	s_waitcnt vmcnt(17)
	v_mul_f32_e32 v162, v139, v156
	v_mul_f32_e32 v137, v140, v156
	s_waitcnt vmcnt(16) lgkmcnt(1)
	v_mul_f32_e32 v156, v7, v153
	v_mul_f32_e32 v153, v8, v153
	v_fmac_f32_e32 v162, v140, v150
	v_fma_f32 v150, v139, v150, -v137
	ds_read2_b64 v[137:140], v6 offset0:89 offset1:90
	v_fmac_f32_e32 v156, v8, v147
	v_fma_f32 v147, v7, v147, -v153
	s_waitcnt vmcnt(15)
	v_mul_f32_e32 v153, v9, v149
	v_mul_f32_e32 v7, v10, v149
	s_waitcnt vmcnt(11)
	v_fmac_f32_e32 v153, v10, v179
	v_fma_f32 v149, v9, v179, -v7
	ds_read2_b64 v[7:10], v6 offset0:91 offset1:92
	s_waitcnt vmcnt(10) lgkmcnt(2)
	v_mul_f32_e32 v164, v1, v178
	v_mul_f32_e32 v163, v0, v178
	s_waitcnt vmcnt(9)
	v_mul_f32_e32 v167, v2, v177
	v_fma_f32 v164, v0, v176, -v164
	v_mul_f32_e32 v0, v3, v177
	v_fmac_f32_e32 v163, v1, v176
	v_fmac_f32_e32 v167, v3, v173
	s_waitcnt vmcnt(8) lgkmcnt(1)
	v_mul_f32_e32 v170, v137, v175
	s_waitcnt vmcnt(7)
	v_mul_f32_e32 v1, v140, v174
	v_fma_f32 v168, v2, v173, -v0
	v_mul_f32_e32 v0, v138, v175
	v_mul_f32_e32 v173, v139, v174
	s_clause 0x1
	buffer_load_dword v174, off, s[0:3], 0 offset:252
	buffer_load_dword v176, off, s[0:3], 0 offset:260
	v_fmac_f32_e32 v170, v138, v172
	v_fma_f32 v137, v137, v172, -v0
	s_waitcnt vmcnt(5)
	v_fmac_f32_e32 v173, v140, v186
	v_fma_f32 v138, v139, v186, -v1
	ds_read2_b64 v[0:3], v6 offset0:93 offset1:94
	s_waitcnt vmcnt(4) lgkmcnt(1)
	v_mul_f32_e32 v139, v7, v185
	v_mul_f32_e32 v140, v8, v185
	s_waitcnt vmcnt(3)
	v_mul_f32_e32 v172, v9, v184
	v_mul_f32_e32 v175, v10, v184
	v_fmac_f32_e32 v139, v8, v183
	v_fma_f32 v140, v7, v183, -v140
	v_fmac_f32_e32 v172, v10, v182
	v_fma_f32 v175, v9, v182, -v175
	s_clause 0x6
	buffer_load_dword v177, off, s[0:3], 0 offset:280
	buffer_load_dword v178, off, s[0:3], 0 offset:272
	;; [unrolled: 1-line block ×7, first 2 shown]
	v_add_f32_e32 v8, 0, v181
	v_add_f32_e32 v9, 0, v199
	buffer_load_dword v181, off, s[0:3], 0 offset:292
	v_add_f32_e32 v8, v8, v200
	v_add_f32_e32 v9, v9, v201
	;; [unrolled: 1-line block ×5, first 2 shown]
	s_clause 0x3
	buffer_load_dword v185, off, s[0:3], 0 offset:312
	buffer_load_dword v186, off, s[0:3], 0 offset:304
	;; [unrolled: 1-line block ×4, first 2 shown]
	v_add_f32_e32 v9, v9, v193
	buffer_load_dword v193, off, s[0:3], 0 offset:300
	v_add_f32_e32 v8, v8, v194
	buffer_load_dword v194, off, s[0:3], 0 offset:308
	v_add_f32_e32 v9, v9, v195
	v_add_f32_e32 v8, v8, v196
	s_clause 0x1
	buffer_load_dword v195, off, s[0:3], 0 offset:316
	buffer_load_dword v196, off, s[0:3], 0 offset:324
	v_add_f32_e32 v9, v9, v197
	v_add_f32_e32 v8, v8, v198
	s_clause 0x3
	buffer_load_dword v197, off, s[0:3], 0 offset:344
	buffer_load_dword v198, off, s[0:3], 0 offset:336
	;; [unrolled: 1-line block ×4, first 2 shown]
	v_add_f32_e32 v9, v9, v203
	v_add_f32_e32 v8, v8, v204
	;; [unrolled: 1-line block ×5, first 2 shown]
	s_clause 0x2
	buffer_load_dword v145, off, s[0:3], 0 offset:332
	buffer_load_dword v201, off, s[0:3], 0 offset:340
	;; [unrolled: 1-line block ×3, first 2 shown]
	v_add_f32_e32 v5, v5, v146
	v_add_f32_e32 v4, v4, v187
	buffer_load_dword v187, off, s[0:3], 0 offset:356
	v_add_f32_e32 v5, v5, v188
	v_add_f32_e32 v4, v4, v189
	;; [unrolled: 1-line block ×12, first 2 shown]
	s_waitcnt vmcnt(25) lgkmcnt(0)
	v_mul_f32_e32 v146, v0, v174
	v_mul_f32_e32 v8, v1, v174
	s_waitcnt vmcnt(24)
	v_mul_f32_e32 v174, v2, v176
	v_mul_f32_e32 v9, v3, v176
	v_fmac_f32_e32 v146, v1, v180
	v_fma_f32 v176, v0, v180, -v8
	s_waitcnt vmcnt(20)
	v_fmac_f32_e32 v174, v3, v7
	v_fma_f32 v11, v2, v7, -v9
	ds_read2_b64 v[0:3], v6 offset0:95 offset1:96
	s_clause 0x6
	buffer_load_dword v165, off, s[0:3], 0 offset:376
	buffer_load_dword v180, off, s[0:3], 0 offset:368
	buffer_load_dword v188, off, s[0:3], 0 offset:360
	buffer_load_dword v189, off, s[0:3], 0 offset:352
	buffer_load_dword v12, off, s[0:3], 0 offset:364
	buffer_load_dword v159, off, s[0:3], 0 offset:372
	buffer_load_dword v169, off, s[0:3], 0 offset:380
	ds_read2_b64 v[7:10], v6 offset0:97 offset1:98
	s_waitcnt vmcnt(26) lgkmcnt(1)
	v_mul_f32_e32 v141, v0, v182
	v_mul_f32_e32 v143, v1, v182
	s_waitcnt vmcnt(25)
	v_mul_f32_e32 v166, v2, v183
	v_mul_f32_e32 v142, v3, v183
	v_fmac_f32_e32 v141, v1, v179
	v_add_f32_e32 v1, v4, v151
	v_fma_f32 v4, v0, v179, -v143
	v_add_f32_e32 v0, v5, v144
	v_fmac_f32_e32 v166, v3, v178
	v_fma_f32 v142, v2, v178, -v142
	v_add_f32_e32 v1, v1, v154
	s_clause 0x7
	buffer_load_dword v178, off, s[0:3], 0 offset:388
	buffer_load_dword v179, off, s[0:3], 0 offset:396
	;; [unrolled: 1-line block ×8, first 2 shown]
	v_add_f32_e32 v0, v0, v157
	s_waitcnt vmcnt(32) lgkmcnt(0)
	v_mul_f32_e32 v5, v7, v184
	v_mul_f32_e32 v2, v8, v184
	v_add_f32_e32 v1, v1, v148
	s_clause 0x1
	buffer_load_dword v157, off, s[0:3], 0 offset:420
	buffer_load_dword v206, off, s[0:3], 0 offset:428
	v_add_f32_e32 v0, v0, v160
	v_fmac_f32_e32 v5, v8, v177
	v_fma_f32 v148, v7, v177, -v2
	v_add_f32_e32 v1, v1, v152
	s_clause 0x1
	buffer_load_dword v160, off, s[0:3], 0 offset:436
	buffer_load_dword v184, off, s[0:3], 0 offset:444
	v_add_f32_e32 v0, v0, v158
	buffer_load_dword v158, off, s[0:3], 0 offset:452
	v_add_f32_e32 v1, v1, v155
	v_add_f32_e32 v0, v0, v161
	s_clause 0x3
	buffer_load_dword v161, off, s[0:3], 0 offset:460
	buffer_load_dword v177, off, s[0:3], 0 offset:468
	;; [unrolled: 1-line block ×4, first 2 shown]
	v_add_f32_e32 v1, v1, v150
	s_waitcnt vmcnt(40)
	v_mul_f32_e32 v150, v9, v181
	v_add_f32_e32 v7, v0, v162
	v_mul_f32_e32 v0, v10, v181
	buffer_load_dword v162, off, s[0:3], 0 offset:492
	v_add_f32_e32 v8, v1, v147
	s_waitcnt vmcnt(37)
	v_fmac_f32_e32 v150, v10, v192
	v_add_f32_e32 v7, v7, v156
	v_fma_f32 v147, v9, v192, -v0
	ds_read2_b64 v[0:3], v6 offset0:99 offset1:100
	v_add_f32_e32 v8, v8, v149
	v_add_f32_e32 v7, v7, v153
	;; [unrolled: 1-line block ×3, first 2 shown]
	s_clause 0x3
	buffer_load_dword v164, off, s[0:3], 0 offset:440
	buffer_load_dword v181, off, s[0:3], 0 offset:432
	;; [unrolled: 1-line block ×4, first 2 shown]
	v_add_f32_e32 v7, v7, v163
	v_add_f32_e32 v143, v8, v168
	;; [unrolled: 1-line block ×3, first 2 shown]
	ds_read2_b64 v[7:10], v6 offset0:101 offset1:102
	v_add_f32_e32 v137, v143, v137
	v_add_f32_e32 v144, v144, v170
	s_clause 0x3
	buffer_load_dword v163, off, s[0:3], 0 offset:472
	buffer_load_dword v167, off, s[0:3], 0 offset:464
	;; [unrolled: 1-line block ×4, first 2 shown]
	s_waitcnt vmcnt(44) lgkmcnt(1)
	v_mul_f32_e32 v149, v0, v193
	v_mul_f32_e32 v143, v1, v193
	s_waitcnt vmcnt(43)
	v_mul_f32_e32 v153, v2, v194
	v_fmac_f32_e32 v149, v1, v191
	v_fma_f32 v151, v0, v191, -v143
	v_add_f32_e32 v1, v144, v173
	s_clause 0x1
	buffer_load_dword v173, off, s[0:3], 0 offset:488
	buffer_load_dword v191, off, s[0:3], 0 offset:480
	v_add_f32_e32 v0, v137, v138
	v_mul_f32_e32 v137, v3, v194
	v_fmac_f32_e32 v153, v3, v186
	v_add_f32_e32 v1, v1, v139
	v_add_f32_e32 v0, v0, v140
	v_fma_f32 v152, v2, v186, -v137
	s_waitcnt vmcnt(44) lgkmcnt(0)
	v_mul_f32_e32 v144, v8, v195
	v_add_f32_e32 v1, v1, v172
	v_mul_f32_e32 v154, v7, v195
	v_add_f32_e32 v0, v0, v175
	buffer_load_dword v175, off, s[0:3], 0
	v_fma_f32 v155, v7, v185, -v144
	v_add_f32_e32 v143, v1, v146
	s_waitcnt vmcnt(44)
	v_mul_f32_e32 v146, v10, v196
	v_add_f32_e32 v138, v0, v176
	ds_read2_b64 v[0:3], v6 offset0:103 offset1:104
	v_fmac_f32_e32 v154, v8, v185
	v_add_f32_e32 v143, v143, v174
	s_waitcnt vmcnt(40)
	v_fma_f32 v172, v9, v200, -v146
	v_add_f32_e32 v11, v138, v11
	ds_read2_b64 v[137:140], v6 offset0:105 offset1:106
	v_add_f32_e32 v156, v143, v141
	v_add_f32_e32 v4, v11, v4
	v_mul_f32_e32 v11, v9, v196
	v_add_f32_e32 v146, v156, v166
	v_add_f32_e32 v4, v4, v142
	v_fmac_f32_e32 v11, v10, v200
	ds_read2_b64 v[7:10], v6 offset0:107 offset1:108
	ds_read2_b64 v[141:144], v6 offset0:109 offset1:110
	v_add_f32_e32 v5, v146, v5
	v_add_f32_e32 v4, v4, v148
	s_waitcnt vmcnt(39) lgkmcnt(3)
	v_mul_f32_e32 v166, v0, v145
	v_mul_f32_e32 v145, v1, v145
	v_add_f32_e32 v5, v5, v150
	s_waitcnt vmcnt(38)
	v_mul_f32_e32 v148, v3, v201
	v_add_f32_e32 v4, v4, v147
	v_mul_f32_e32 v174, v2, v201
	v_fma_f32 v186, v0, v199, -v145
	v_add_f32_e32 v5, v5, v149
	v_fmac_f32_e32 v166, v1, v199
	v_add_f32_e32 v4, v4, v151
	s_waitcnt vmcnt(37) lgkmcnt(2)
	v_mul_f32_e32 v156, v138, v202
	v_fma_f32 v193, v2, v198, -v148
	v_add_f32_e32 v5, v5, v153
	v_mul_f32_e32 v176, v137, v202
	v_add_f32_e32 v4, v4, v152
	v_fmac_f32_e32 v174, v3, v198
	s_waitcnt vmcnt(36)
	v_mul_f32_e32 v185, v139, v187
	v_add_f32_e32 v5, v5, v154
	v_mul_f32_e32 v150, v140, v187
	v_add_f32_e32 v4, v4, v155
	v_fma_f32 v187, v137, v197, -v156
	v_fmac_f32_e32 v176, v138, v197
	v_add_f32_e32 v11, v5, v11
	ds_read2_b64 v[0:3], v6 offset0:111 offset1:112
	ds_read2_b64 v[145:148], v6 offset0:113 offset1:114
	v_add_f32_e32 v4, v4, v172
	v_add_f32_e32 v11, v11, v166
	;; [unrolled: 1-line block ×7, first 2 shown]
	s_waitcnt vmcnt(31) lgkmcnt(3)
	v_mul_f32_e32 v194, v7, v12
	v_fmac_f32_e32 v185, v140, v189
	v_fma_f32 v189, v139, v189, -v150
	v_mul_f32_e32 v12, v8, v12
	s_waitcnt vmcnt(30)
	v_mul_f32_e32 v153, v10, v159
	v_mul_f32_e32 v195, v9, v159
	v_fmac_f32_e32 v194, v8, v188
	v_add_f32_e32 v172, v172, v189
	v_fma_f32 v12, v7, v188, -v12
	v_add_f32_e32 v11, v11, v185
	v_fma_f32 v159, v9, v180, -v153
	s_waitcnt vmcnt(29) lgkmcnt(2)
	v_mul_f32_e32 v166, v141, v169
	v_mul_f32_e32 v169, v142, v169
	v_add_f32_e32 v12, v172, v12
	v_fmac_f32_e32 v195, v10, v180
	v_add_f32_e32 v11, v11, v194
	v_fmac_f32_e32 v166, v142, v165
	v_fma_f32 v141, v141, v165, -v169
	v_add_f32_e32 v12, v12, v159
	ds_read2_b64 v[137:140], v6 offset0:115 offset1:116
	ds_read2_b64 v[149:152], v6 offset0:117 offset1:118
	v_add_f32_e32 v11, v11, v195
	ds_read2_b64 v[7:10], v6 offset0:119 offset1:120
	ds_read2_b64 v[153:156], v6 offset0:121 offset1:122
	ds_read_b64 v[4:5], v6 offset:984
	v_add_f32_e32 v12, v12, v141
	s_waitcnt vmcnt(28)
	v_mul_f32_e32 v174, v144, v178
	v_mul_f32_e32 v180, v143, v178
	s_waitcnt vmcnt(27) lgkmcnt(6)
	v_mul_f32_e32 v178, v0, v179
	v_mul_f32_e32 v172, v1, v179
	v_add_f32_e32 v11, v11, v166
	s_waitcnt vmcnt(26)
	v_mul_f32_e32 v186, v2, v182
	v_mul_f32_e32 v182, v3, v182
	s_waitcnt vmcnt(21)
	v_fma_f32 v143, v143, v205, -v174
	v_fmac_f32_e32 v180, v144, v205
	v_fmac_f32_e32 v178, v1, v204
	v_fma_f32 v0, v0, v204, -v172
	v_fma_f32 v2, v2, v203, -v182
	v_add_f32_e32 v1, v12, v143
	v_add_f32_e32 v11, v11, v180
	s_waitcnt lgkmcnt(5)
	v_mul_f32_e32 v12, v146, v183
	v_mul_f32_e32 v176, v145, v183
	v_fmac_f32_e32 v186, v3, v203
	v_add_f32_e32 v0, v1, v0
	v_add_f32_e32 v1, v11, v178
	s_waitcnt vmcnt(20)
	v_mul_f32_e32 v3, v148, v157
	v_fma_f32 v11, v145, v190, -v12
	v_mul_f32_e32 v187, v147, v157
	v_add_f32_e32 v0, v0, v2
	v_fmac_f32_e32 v176, v146, v190
	v_add_f32_e32 v1, v1, v186
	s_waitcnt vmcnt(19) lgkmcnt(4)
	v_mul_f32_e32 v2, v138, v206
	v_mul_f32_e32 v142, v137, v206
	v_add_f32_e32 v0, v0, v11
	s_waitcnt vmcnt(18)
	v_mul_f32_e32 v11, v140, v160
	v_add_f32_e32 v1, v1, v176
	v_mul_f32_e32 v165, v139, v160
	s_waitcnt vmcnt(17) lgkmcnt(3)
	v_mul_f32_e32 v169, v149, v184
	s_waitcnt vmcnt(16)
	v_mul_f32_e32 v179, v151, v158
	s_waitcnt vmcnt(15) lgkmcnt(2)
	v_mul_f32_e32 v144, v7, v161
	s_waitcnt vmcnt(14)
	;; [unrolled: 4-line block ×4, first 2 shown]
	v_fmac_f32_e32 v169, v150, v164
	s_waitcnt vmcnt(9)
	v_fma_f32 v11, v139, v181, -v11
	s_waitcnt vmcnt(8)
	v_fma_f32 v2, v137, v192, -v2
	;; [unrolled: 2-line block ×3, first 2 shown]
	v_fmac_f32_e32 v187, v148, v209
	v_fmac_f32_e32 v142, v138, v192
	;; [unrolled: 1-line block ×3, first 2 shown]
	v_add_f32_e32 v0, v0, v3
	v_add_f32_e32 v1, v1, v187
	v_mul_f32_e32 v3, v150, v184
	s_waitcnt vmcnt(6)
	v_fmac_f32_e32 v159, v154, v163
	v_add_f32_e32 v0, v0, v2
	v_add_f32_e32 v1, v1, v142
	v_mul_f32_e32 v2, v152, v158
	v_fma_f32 v3, v149, v164, -v3
	s_waitcnt vmcnt(3)
	v_fmac_f32_e32 v179, v152, v170
	v_add_f32_e32 v0, v0, v11
	v_add_f32_e32 v1, v1, v165
	v_mul_f32_e32 v11, v8, v161
	v_fma_f32 v2, v151, v170, -v2
	v_fmac_f32_e32 v144, v8, v168
	v_add_f32_e32 v0, v0, v3
	v_add_f32_e32 v1, v1, v169
	v_mul_f32_e32 v3, v10, v177
	v_fma_f32 v7, v7, v168, -v11
	v_fmac_f32_e32 v174, v10, v167
	v_add_f32_e32 v0, v0, v2
	v_add_f32_e32 v1, v1, v179
	v_mul_f32_e32 v2, v154, v207
	v_fma_f32 v3, v9, v167, -v3
	s_waitcnt vmcnt(1)
	v_fmac_f32_e32 v185, v156, v191
	v_add_f32_e32 v0, v0, v7
	v_add_f32_e32 v1, v1, v144
	v_mul_f32_e32 v7, v156, v208
	v_fma_f32 v2, v153, v163, -v2
	v_fmac_f32_e32 v141, v5, v173
	v_add_f32_e32 v0, v0, v3
	v_add_f32_e32 v1, v1, v174
	v_mul_f32_e32 v3, v5, v162
	v_fma_f32 v7, v155, v191, -v7
	v_add_f32_e32 v0, v0, v2
	v_add_f32_e32 v1, v1, v159
	v_fma_f32 v2, v4, v173, -v3
	v_add_f32_e32 v0, v0, v7
	v_add_f32_e32 v1, v1, v185
	;; [unrolled: 1-line block ×4, first 2 shown]
	s_waitcnt vmcnt(0)
	v_sub_f32_e32 v0, v175, v0
	v_sub_f32_e32 v1, v171, v1
	buffer_store_dword v0, off, s[0:3], 0
	buffer_store_dword v1, off, s[0:3], 0 offset:4
	s_cbranch_vccz .LBB125_508
; %bb.386:
	global_load_dword v0, v6, s[12:13] offset:240
	s_waitcnt vmcnt(0)
	v_add_nc_u32_e32 v0, -1, v0
	v_cmp_ne_u32_e32 vcc_lo, 60, v0
	s_cbranch_vccz .LBB125_388
; %bb.387:
	v_lshlrev_b32_e32 v0, 3, v0
	s_clause 0x3
	buffer_load_dword v1, v0, s[0:3], 0 offen
	buffer_load_dword v2, v0, s[0:3], 0 offen offset:4
	buffer_load_dword v3, off, s[0:3], 0 offset:484
	buffer_load_dword v4, off, s[0:3], 0 offset:480
	s_waitcnt vmcnt(3)
	buffer_store_dword v1, off, s[0:3], 0 offset:480
	s_waitcnt vmcnt(2)
	buffer_store_dword v2, off, s[0:3], 0 offset:484
	s_waitcnt vmcnt(1)
	buffer_store_dword v3, v0, s[0:3], 0 offen offset:4
	s_waitcnt vmcnt(0)
	buffer_store_dword v4, v0, s[0:3], 0 offen
.LBB125_388:
	v_mov_b32_e32 v0, 0
	global_load_dword v1, v0, s[12:13] offset:236
	s_waitcnt vmcnt(0)
	v_add_nc_u32_e32 v1, -1, v1
	v_cmp_eq_u32_e32 vcc_lo, 59, v1
	s_cbranch_vccnz .LBB125_390
; %bb.389:
	v_lshlrev_b32_e32 v1, 3, v1
	s_clause 0x3
	buffer_load_dword v2, v1, s[0:3], 0 offen
	buffer_load_dword v3, v1, s[0:3], 0 offen offset:4
	buffer_load_dword v4, off, s[0:3], 0 offset:472
	buffer_load_dword v5, off, s[0:3], 0 offset:476
	s_waitcnt vmcnt(3)
	buffer_store_dword v2, off, s[0:3], 0 offset:472
	s_waitcnt vmcnt(2)
	buffer_store_dword v3, off, s[0:3], 0 offset:476
	s_waitcnt vmcnt(1)
	buffer_store_dword v4, v1, s[0:3], 0 offen
	s_waitcnt vmcnt(0)
	buffer_store_dword v5, v1, s[0:3], 0 offen offset:4
.LBB125_390:
	global_load_dword v0, v0, s[12:13] offset:232
	s_waitcnt vmcnt(0)
	v_add_nc_u32_e32 v0, -1, v0
	v_cmp_eq_u32_e32 vcc_lo, 58, v0
	s_cbranch_vccnz .LBB125_392
; %bb.391:
	v_lshlrev_b32_e32 v0, 3, v0
	s_clause 0x3
	buffer_load_dword v1, v0, s[0:3], 0 offen
	buffer_load_dword v2, v0, s[0:3], 0 offen offset:4
	buffer_load_dword v3, off, s[0:3], 0 offset:468
	buffer_load_dword v4, off, s[0:3], 0 offset:464
	s_waitcnt vmcnt(3)
	buffer_store_dword v1, off, s[0:3], 0 offset:464
	s_waitcnt vmcnt(2)
	buffer_store_dword v2, off, s[0:3], 0 offset:468
	s_waitcnt vmcnt(1)
	buffer_store_dword v3, v0, s[0:3], 0 offen offset:4
	s_waitcnt vmcnt(0)
	buffer_store_dword v4, v0, s[0:3], 0 offen
.LBB125_392:
	v_mov_b32_e32 v0, 0
	global_load_dword v1, v0, s[12:13] offset:228
	s_waitcnt vmcnt(0)
	v_add_nc_u32_e32 v1, -1, v1
	v_cmp_eq_u32_e32 vcc_lo, 57, v1
	s_cbranch_vccnz .LBB125_394
; %bb.393:
	v_lshlrev_b32_e32 v1, 3, v1
	s_clause 0x3
	buffer_load_dword v2, v1, s[0:3], 0 offen
	buffer_load_dword v3, v1, s[0:3], 0 offen offset:4
	buffer_load_dword v4, off, s[0:3], 0 offset:456
	buffer_load_dword v5, off, s[0:3], 0 offset:460
	s_waitcnt vmcnt(3)
	buffer_store_dword v2, off, s[0:3], 0 offset:456
	s_waitcnt vmcnt(2)
	buffer_store_dword v3, off, s[0:3], 0 offset:460
	s_waitcnt vmcnt(1)
	buffer_store_dword v4, v1, s[0:3], 0 offen
	s_waitcnt vmcnt(0)
	buffer_store_dword v5, v1, s[0:3], 0 offen offset:4
.LBB125_394:
	global_load_dword v0, v0, s[12:13] offset:224
	s_waitcnt vmcnt(0)
	v_add_nc_u32_e32 v0, -1, v0
	v_cmp_eq_u32_e32 vcc_lo, 56, v0
	s_cbranch_vccnz .LBB125_396
; %bb.395:
	v_lshlrev_b32_e32 v0, 3, v0
	s_clause 0x3
	buffer_load_dword v1, v0, s[0:3], 0 offen
	buffer_load_dword v2, v0, s[0:3], 0 offen offset:4
	buffer_load_dword v3, off, s[0:3], 0 offset:452
	buffer_load_dword v4, off, s[0:3], 0 offset:448
	s_waitcnt vmcnt(3)
	buffer_store_dword v1, off, s[0:3], 0 offset:448
	s_waitcnt vmcnt(2)
	buffer_store_dword v2, off, s[0:3], 0 offset:452
	s_waitcnt vmcnt(1)
	buffer_store_dword v3, v0, s[0:3], 0 offen offset:4
	s_waitcnt vmcnt(0)
	buffer_store_dword v4, v0, s[0:3], 0 offen
.LBB125_396:
	;; [unrolled: 43-line block ×29, first 2 shown]
	v_mov_b32_e32 v0, 0
	global_load_dword v1, v0, s[12:13] offset:4
	s_waitcnt vmcnt(0)
	v_add_nc_u32_e32 v1, -1, v1
	v_cmp_eq_u32_e32 vcc_lo, 1, v1
	s_cbranch_vccnz .LBB125_506
; %bb.505:
	v_lshlrev_b32_e32 v1, 3, v1
	s_clause 0x3
	buffer_load_dword v2, v1, s[0:3], 0 offen
	buffer_load_dword v3, v1, s[0:3], 0 offen offset:4
	buffer_load_dword v4, off, s[0:3], 0 offset:8
	buffer_load_dword v5, off, s[0:3], 0 offset:12
	s_waitcnt vmcnt(3)
	buffer_store_dword v2, off, s[0:3], 0 offset:8
	s_waitcnt vmcnt(2)
	buffer_store_dword v3, off, s[0:3], 0 offset:12
	s_waitcnt vmcnt(1)
	buffer_store_dword v4, v1, s[0:3], 0 offen
	s_waitcnt vmcnt(0)
	buffer_store_dword v5, v1, s[0:3], 0 offen offset:4
.LBB125_506:
	global_load_dword v0, v0, s[12:13]
	s_waitcnt vmcnt(0)
	v_add_nc_u32_e32 v0, -1, v0
	v_cmp_eq_u32_e32 vcc_lo, 0, v0
	s_cbranch_vccnz .LBB125_508
; %bb.507:
	v_lshlrev_b32_e32 v0, 3, v0
	s_clause 0x3
	buffer_load_dword v1, v0, s[0:3], 0 offen
	buffer_load_dword v2, v0, s[0:3], 0 offen offset:4
	buffer_load_dword v3, off, s[0:3], 0 offset:4
	buffer_load_dword v4, off, s[0:3], 0
	s_waitcnt vmcnt(3)
	buffer_store_dword v1, off, s[0:3], 0
	s_waitcnt vmcnt(2)
	buffer_store_dword v2, off, s[0:3], 0 offset:4
	s_waitcnt vmcnt(1)
	buffer_store_dword v3, v0, s[0:3], 0 offen offset:4
	s_waitcnt vmcnt(0)
	buffer_store_dword v4, v0, s[0:3], 0 offen
.LBB125_508:
	s_clause 0x1
	buffer_load_dword v0, off, s[0:3], 0
	buffer_load_dword v1, off, s[0:3], 0 offset:4
	s_waitcnt vmcnt(0)
	flat_store_dwordx2 v[13:14], v[0:1]
	s_clause 0x1
	buffer_load_dword v0, off, s[0:3], 0 offset:8
	buffer_load_dword v1, off, s[0:3], 0 offset:12
	s_waitcnt vmcnt(0)
	flat_store_dwordx2 v[15:16], v[0:1]
	s_clause 0x1
	buffer_load_dword v0, off, s[0:3], 0 offset:16
	;; [unrolled: 5-line block ×61, first 2 shown]
	buffer_load_dword v1, off, s[0:3], 0 offset:492
	s_waitcnt vmcnt(0)
	flat_store_dwordx2 v[135:136], v[0:1]
	s_endpgm
	.section	.rodata,"a",@progbits
	.p2align	6, 0x0
	.amdhsa_kernel _ZN9rocsolver6v33100L18getri_kernel_smallILi62E19rocblas_complex_numIfEPKPS3_EEvT1_iilPiilS8_bb
		.amdhsa_group_segment_fixed_size 996
		.amdhsa_private_segment_fixed_size 512
		.amdhsa_kernarg_size 60
		.amdhsa_user_sgpr_count 6
		.amdhsa_user_sgpr_private_segment_buffer 1
		.amdhsa_user_sgpr_dispatch_ptr 0
		.amdhsa_user_sgpr_queue_ptr 0
		.amdhsa_user_sgpr_kernarg_segment_ptr 1
		.amdhsa_user_sgpr_dispatch_id 0
		.amdhsa_user_sgpr_flat_scratch_init 0
		.amdhsa_user_sgpr_private_segment_size 0
		.amdhsa_wavefront_size32 1
		.amdhsa_uses_dynamic_stack 0
		.amdhsa_system_sgpr_private_segment_wavefront_offset 1
		.amdhsa_system_sgpr_workgroup_id_x 1
		.amdhsa_system_sgpr_workgroup_id_y 0
		.amdhsa_system_sgpr_workgroup_id_z 0
		.amdhsa_system_sgpr_workgroup_info 0
		.amdhsa_system_vgpr_workitem_id 0
		.amdhsa_next_free_vgpr 254
		.amdhsa_next_free_sgpr 20
		.amdhsa_reserve_vcc 1
		.amdhsa_reserve_flat_scratch 0
		.amdhsa_float_round_mode_32 0
		.amdhsa_float_round_mode_16_64 0
		.amdhsa_float_denorm_mode_32 3
		.amdhsa_float_denorm_mode_16_64 3
		.amdhsa_dx10_clamp 1
		.amdhsa_ieee_mode 1
		.amdhsa_fp16_overflow 0
		.amdhsa_workgroup_processor_mode 1
		.amdhsa_memory_ordered 1
		.amdhsa_forward_progress 1
		.amdhsa_shared_vgpr_count 0
		.amdhsa_exception_fp_ieee_invalid_op 0
		.amdhsa_exception_fp_denorm_src 0
		.amdhsa_exception_fp_ieee_div_zero 0
		.amdhsa_exception_fp_ieee_overflow 0
		.amdhsa_exception_fp_ieee_underflow 0
		.amdhsa_exception_fp_ieee_inexact 0
		.amdhsa_exception_int_div_zero 0
	.end_amdhsa_kernel
	.section	.text._ZN9rocsolver6v33100L18getri_kernel_smallILi62E19rocblas_complex_numIfEPKPS3_EEvT1_iilPiilS8_bb,"axG",@progbits,_ZN9rocsolver6v33100L18getri_kernel_smallILi62E19rocblas_complex_numIfEPKPS3_EEvT1_iilPiilS8_bb,comdat
.Lfunc_end125:
	.size	_ZN9rocsolver6v33100L18getri_kernel_smallILi62E19rocblas_complex_numIfEPKPS3_EEvT1_iilPiilS8_bb, .Lfunc_end125-_ZN9rocsolver6v33100L18getri_kernel_smallILi62E19rocblas_complex_numIfEPKPS3_EEvT1_iilPiilS8_bb
                                        ; -- End function
	.set _ZN9rocsolver6v33100L18getri_kernel_smallILi62E19rocblas_complex_numIfEPKPS3_EEvT1_iilPiilS8_bb.num_vgpr, 254
	.set _ZN9rocsolver6v33100L18getri_kernel_smallILi62E19rocblas_complex_numIfEPKPS3_EEvT1_iilPiilS8_bb.num_agpr, 0
	.set _ZN9rocsolver6v33100L18getri_kernel_smallILi62E19rocblas_complex_numIfEPKPS3_EEvT1_iilPiilS8_bb.numbered_sgpr, 20
	.set _ZN9rocsolver6v33100L18getri_kernel_smallILi62E19rocblas_complex_numIfEPKPS3_EEvT1_iilPiilS8_bb.num_named_barrier, 0
	.set _ZN9rocsolver6v33100L18getri_kernel_smallILi62E19rocblas_complex_numIfEPKPS3_EEvT1_iilPiilS8_bb.private_seg_size, 512
	.set _ZN9rocsolver6v33100L18getri_kernel_smallILi62E19rocblas_complex_numIfEPKPS3_EEvT1_iilPiilS8_bb.uses_vcc, 1
	.set _ZN9rocsolver6v33100L18getri_kernel_smallILi62E19rocblas_complex_numIfEPKPS3_EEvT1_iilPiilS8_bb.uses_flat_scratch, 0
	.set _ZN9rocsolver6v33100L18getri_kernel_smallILi62E19rocblas_complex_numIfEPKPS3_EEvT1_iilPiilS8_bb.has_dyn_sized_stack, 0
	.set _ZN9rocsolver6v33100L18getri_kernel_smallILi62E19rocblas_complex_numIfEPKPS3_EEvT1_iilPiilS8_bb.has_recursion, 0
	.set _ZN9rocsolver6v33100L18getri_kernel_smallILi62E19rocblas_complex_numIfEPKPS3_EEvT1_iilPiilS8_bb.has_indirect_call, 0
	.section	.AMDGPU.csdata,"",@progbits
; Kernel info:
; codeLenInByte = 139524
; TotalNumSgprs: 22
; NumVgprs: 254
; ScratchSize: 512
; MemoryBound: 0
; FloatMode: 240
; IeeeMode: 1
; LDSByteSize: 996 bytes/workgroup (compile time only)
; SGPRBlocks: 0
; VGPRBlocks: 31
; NumSGPRsForWavesPerEU: 22
; NumVGPRsForWavesPerEU: 254
; Occupancy: 4
; WaveLimiterHint : 1
; COMPUTE_PGM_RSRC2:SCRATCH_EN: 1
; COMPUTE_PGM_RSRC2:USER_SGPR: 6
; COMPUTE_PGM_RSRC2:TRAP_HANDLER: 0
; COMPUTE_PGM_RSRC2:TGID_X_EN: 1
; COMPUTE_PGM_RSRC2:TGID_Y_EN: 0
; COMPUTE_PGM_RSRC2:TGID_Z_EN: 0
; COMPUTE_PGM_RSRC2:TIDIG_COMP_CNT: 0
	.section	.text._ZN9rocsolver6v33100L18getri_kernel_smallILi63E19rocblas_complex_numIfEPKPS3_EEvT1_iilPiilS8_bb,"axG",@progbits,_ZN9rocsolver6v33100L18getri_kernel_smallILi63E19rocblas_complex_numIfEPKPS3_EEvT1_iilPiilS8_bb,comdat
	.globl	_ZN9rocsolver6v33100L18getri_kernel_smallILi63E19rocblas_complex_numIfEPKPS3_EEvT1_iilPiilS8_bb ; -- Begin function _ZN9rocsolver6v33100L18getri_kernel_smallILi63E19rocblas_complex_numIfEPKPS3_EEvT1_iilPiilS8_bb
	.p2align	8
	.type	_ZN9rocsolver6v33100L18getri_kernel_smallILi63E19rocblas_complex_numIfEPKPS3_EEvT1_iilPiilS8_bb,@function
_ZN9rocsolver6v33100L18getri_kernel_smallILi63E19rocblas_complex_numIfEPKPS3_EEvT1_iilPiilS8_bb: ; @_ZN9rocsolver6v33100L18getri_kernel_smallILi63E19rocblas_complex_numIfEPKPS3_EEvT1_iilPiilS8_bb
; %bb.0:
	s_add_u32 s0, s0, s7
	s_addc_u32 s1, s1, 0
	s_mov_b32 s7, exec_lo
	v_cmpx_gt_u32_e32 63, v0
	s_cbranch_execz .LBB126_266
; %bb.1:
	s_clause 0x2
	s_load_dword s17, s[4:5], 0x38
	s_load_dwordx2 s[12:13], s[4:5], 0x0
	s_load_dwordx4 s[8:11], s[4:5], 0x28
	s_waitcnt lgkmcnt(0)
	s_bitcmp1_b32 s17, 8
	s_cselect_b32 s16, -1, 0
	s_ashr_i32 s7, s6, 31
	s_lshl_b64 s[14:15], s[6:7], 3
	s_add_u32 s12, s12, s14
	s_addc_u32 s13, s13, s15
	s_load_dwordx2 s[14:15], s[12:13], 0x0
	s_bfe_u32 s12, s17, 0x10008
	s_cmp_eq_u32 s12, 0
                                        ; implicit-def: $sgpr12_sgpr13
	s_cbranch_scc1 .LBB126_3
; %bb.2:
	s_clause 0x1
	s_load_dword s12, s[4:5], 0x20
	s_load_dwordx2 s[18:19], s[4:5], 0x18
	s_mul_i32 s13, s8, s7
	s_mul_hi_u32 s17, s8, s6
	s_mul_i32 s9, s9, s6
	s_add_i32 s13, s17, s13
	s_mul_i32 s8, s8, s6
	s_add_i32 s9, s13, s9
	s_lshl_b64 s[8:9], s[8:9], 2
	s_waitcnt lgkmcnt(0)
	s_ashr_i32 s13, s12, 31
	s_add_u32 s17, s18, s8
	s_addc_u32 s18, s19, s9
	s_lshl_b64 s[8:9], s[12:13], 2
	s_add_u32 s12, s17, s8
	s_addc_u32 s13, s18, s9
.LBB126_3:
	s_clause 0x1
	s_load_dwordx2 s[8:9], s[4:5], 0x8
	s_load_dword s17, s[4:5], 0x38
	v_lshlrev_b32_e32 v3, 3, v0
	s_waitcnt lgkmcnt(0)
	s_ashr_i32 s5, s8, 31
	s_mov_b32 s4, s8
	v_add3_u32 v4, s9, s9, v0
	s_lshl_b64 s[4:5], s[4:5], 3
	s_add_u32 s4, s14, s4
	s_addc_u32 s5, s15, s5
	v_add_co_u32 v13, s8, s4, v3
	v_add_co_ci_u32_e64 v14, null, s5, 0, s8
	s_mov_b32 s14, s9
	s_ashr_i32 s15, s9, 31
	v_ashrrev_i32_e32 v5, 31, v4
	flat_load_dwordx2 v[1:2], v[13:14]
	s_lshl_b64 s[14:15], s[14:15], 3
	s_bitcmp0_b32 s17, 0
	v_add_co_u32 v15, vcc_lo, v13, s14
	v_add_co_ci_u32_e64 v16, null, s15, v14, vcc_lo
	v_lshlrev_b64 v[5:6], 3, v[4:5]
	v_add_nc_u32_e32 v4, s9, v4
	s_waitcnt vmcnt(0) lgkmcnt(0)
	buffer_store_dword v2, off, s[0:3], 0 offset:4
	buffer_store_dword v1, off, s[0:3], 0
	flat_load_dwordx2 v[1:2], v[15:16]
	v_add_co_u32 v17, vcc_lo, s4, v5
	v_add_co_ci_u32_e64 v18, null, s5, v6, vcc_lo
	v_ashrrev_i32_e32 v5, 31, v4
	s_waitcnt vmcnt(0) lgkmcnt(0)
	buffer_store_dword v2, off, s[0:3], 0 offset:12
	buffer_store_dword v1, off, s[0:3], 0 offset:8
	flat_load_dwordx2 v[1:2], v[17:18]
	v_lshlrev_b64 v[5:6], 3, v[4:5]
	v_add_nc_u32_e32 v4, s9, v4
	s_waitcnt vmcnt(0) lgkmcnt(0)
	buffer_store_dword v2, off, s[0:3], 0 offset:20
	buffer_store_dword v1, off, s[0:3], 0 offset:16
	v_add_co_u32 v19, vcc_lo, s4, v5
	v_add_co_ci_u32_e64 v20, null, s5, v6, vcc_lo
	v_ashrrev_i32_e32 v5, 31, v4
	flat_load_dwordx2 v[1:2], v[19:20]
	s_waitcnt vmcnt(0) lgkmcnt(0)
	buffer_store_dword v2, off, s[0:3], 0 offset:28
	buffer_store_dword v1, off, s[0:3], 0 offset:24
	v_lshlrev_b64 v[5:6], 3, v[4:5]
	v_add_nc_u32_e32 v4, s9, v4
	v_add_co_u32 v21, vcc_lo, s4, v5
	v_add_co_ci_u32_e64 v22, null, s5, v6, vcc_lo
	v_ashrrev_i32_e32 v5, 31, v4
	flat_load_dwordx2 v[1:2], v[21:22]
	s_waitcnt vmcnt(0) lgkmcnt(0)
	buffer_store_dword v2, off, s[0:3], 0 offset:36
	buffer_store_dword v1, off, s[0:3], 0 offset:32
	v_lshlrev_b64 v[5:6], 3, v[4:5]
	v_add_nc_u32_e32 v4, s9, v4
	;; [unrolled: 9-line block ×58, first 2 shown]
	v_add_co_u32 v135, vcc_lo, s4, v5
	v_add_co_ci_u32_e64 v136, null, s5, v6, vcc_lo
	v_ashrrev_i32_e32 v5, 31, v4
	flat_load_dwordx2 v[1:2], v[135:136]
	s_waitcnt vmcnt(0) lgkmcnt(0)
	buffer_store_dword v2, off, s[0:3], 0 offset:492
	buffer_store_dword v1, off, s[0:3], 0 offset:488
	v_lshlrev_b64 v[4:5], 3, v[4:5]
	v_add_co_u32 v137, vcc_lo, s4, v4
	v_add_co_ci_u32_e64 v138, null, s5, v5, vcc_lo
	s_mov_b32 s5, -1
	flat_load_dwordx2 v[1:2], v[137:138]
	s_waitcnt vmcnt(0) lgkmcnt(0)
	buffer_store_dword v2, off, s[0:3], 0 offset:500
	buffer_store_dword v1, off, s[0:3], 0 offset:496
	s_cbranch_scc1 .LBB126_264
; %bb.4:
	v_cmp_eq_u32_e64 s4, 0, v0
	s_and_saveexec_b32 s5, s4
; %bb.5:
	v_mov_b32_e32 v1, 0
	ds_write_b32 v1, v1 offset:504
; %bb.6:
	s_or_b32 exec_lo, exec_lo, s5
	v_lshl_add_u32 v5, v0, 3, 0
	s_waitcnt lgkmcnt(0)
	s_waitcnt_vscnt null, 0x0
	s_barrier
	buffer_gl0_inv
	s_clause 0x1
	buffer_load_dword v1, v5, s[0:3], 0 offen
	buffer_load_dword v2, v5, s[0:3], 0 offen offset:4
	s_waitcnt vmcnt(1)
	v_cmp_eq_f32_e32 vcc_lo, 0, v1
	s_waitcnt vmcnt(0)
	v_cmp_eq_f32_e64 s5, 0, v2
	s_and_b32 s5, vcc_lo, s5
	s_and_saveexec_b32 s8, s5
	s_cbranch_execz .LBB126_10
; %bb.7:
	v_mov_b32_e32 v1, 0
	s_mov_b32 s9, 0
	ds_read_b32 v2, v1 offset:504
	s_waitcnt lgkmcnt(0)
	v_readfirstlane_b32 s5, v2
	v_add_nc_u32_e32 v2, 1, v0
	s_cmp_eq_u32 s5, 0
	v_cmp_gt_i32_e32 vcc_lo, s5, v2
	s_cselect_b32 s14, -1, 0
	s_or_b32 s14, s14, vcc_lo
	s_and_b32 exec_lo, exec_lo, s14
	s_cbranch_execz .LBB126_10
; %bb.8:
	v_mov_b32_e32 v4, s5
.LBB126_9:                              ; =>This Inner Loop Header: Depth=1
	ds_cmpst_rtn_b32 v4, v1, v4, v2 offset:504
	s_waitcnt lgkmcnt(0)
	v_cmp_ne_u32_e32 vcc_lo, 0, v4
	v_cmp_le_i32_e64 s5, v4, v2
	s_and_b32 s5, vcc_lo, s5
	s_and_b32 s5, exec_lo, s5
	s_or_b32 s9, s5, s9
	s_andn2_b32 exec_lo, exec_lo, s9
	s_cbranch_execnz .LBB126_9
.LBB126_10:
	s_or_b32 exec_lo, exec_lo, s8
	v_mov_b32_e32 v1, 0
	s_barrier
	buffer_gl0_inv
	ds_read_b32 v2, v1 offset:504
	s_and_saveexec_b32 s5, s4
	s_cbranch_execz .LBB126_12
; %bb.11:
	s_lshl_b64 s[8:9], s[6:7], 2
	s_add_u32 s8, s10, s8
	s_addc_u32 s9, s11, s9
	s_waitcnt lgkmcnt(0)
	global_store_dword v1, v2, s[8:9]
.LBB126_12:
	s_or_b32 exec_lo, exec_lo, s5
	s_waitcnt lgkmcnt(0)
	v_cmp_ne_u32_e32 vcc_lo, 0, v2
	s_mov_b32 s5, 0
	s_cbranch_vccnz .LBB126_264
; %bb.13:
	s_clause 0x1
	buffer_load_dword v2, v5, s[0:3], 0 offen
	buffer_load_dword v4, v5, s[0:3], 0 offen offset:4
                                        ; implicit-def: $vgpr7
                                        ; implicit-def: $vgpr6
                                        ; implicit-def: $vgpr1
	s_waitcnt vmcnt(0)
	v_cmp_ngt_f32_e64 s5, |v2|, |v4|
	s_and_saveexec_b32 s8, s5
	s_xor_b32 s5, exec_lo, s8
	s_cbranch_execz .LBB126_15
; %bb.14:
	v_div_scale_f32 v1, null, v4, v4, v2
	v_div_scale_f32 v8, vcc_lo, v2, v4, v2
	v_rcp_f32_e32 v6, v1
	v_fma_f32 v7, -v1, v6, 1.0
	v_fmac_f32_e32 v6, v7, v6
	v_mul_f32_e32 v7, v8, v6
	v_fma_f32 v9, -v1, v7, v8
	v_fmac_f32_e32 v7, v9, v6
	v_fma_f32 v1, -v1, v7, v8
	v_div_fmas_f32 v1, v1, v6, v7
	v_div_fixup_f32 v1, v1, v4, v2
	v_fmac_f32_e32 v4, v2, v1
	v_div_scale_f32 v2, null, v4, v4, 1.0
	v_rcp_f32_e32 v6, v2
	v_fma_f32 v7, -v2, v6, 1.0
	v_fmac_f32_e32 v6, v7, v6
	v_div_scale_f32 v7, vcc_lo, 1.0, v4, 1.0
	v_mul_f32_e32 v8, v7, v6
	v_fma_f32 v9, -v2, v8, v7
	v_fmac_f32_e32 v8, v9, v6
	v_fma_f32 v2, -v2, v8, v7
	v_div_fmas_f32 v2, v2, v6, v8
	v_div_fixup_f32 v2, v2, v4, 1.0
                                        ; implicit-def: $vgpr4
	v_mul_f32_e32 v7, v1, v2
	v_xor_b32_e32 v6, 0x80000000, v2
                                        ; implicit-def: $vgpr2
	v_xor_b32_e32 v1, 0x80000000, v7
.LBB126_15:
	s_andn2_saveexec_b32 s5, s5
	s_cbranch_execz .LBB126_17
; %bb.16:
	v_div_scale_f32 v1, null, v2, v2, v4
	v_div_scale_f32 v8, vcc_lo, v4, v2, v4
	v_rcp_f32_e32 v6, v1
	v_fma_f32 v7, -v1, v6, 1.0
	v_fmac_f32_e32 v6, v7, v6
	v_mul_f32_e32 v7, v8, v6
	v_fma_f32 v9, -v1, v7, v8
	v_fmac_f32_e32 v7, v9, v6
	v_fma_f32 v1, -v1, v7, v8
	v_div_fmas_f32 v1, v1, v6, v7
	v_div_fixup_f32 v6, v1, v2, v4
	v_fmac_f32_e32 v2, v4, v6
	v_div_scale_f32 v1, null, v2, v2, 1.0
	v_div_scale_f32 v8, vcc_lo, 1.0, v2, 1.0
	v_rcp_f32_e32 v4, v1
	v_fma_f32 v7, -v1, v4, 1.0
	v_fmac_f32_e32 v4, v7, v4
	v_mul_f32_e32 v7, v8, v4
	v_fma_f32 v9, -v1, v7, v8
	v_fmac_f32_e32 v7, v9, v4
	v_fma_f32 v1, -v1, v7, v8
	v_div_fmas_f32 v1, v1, v4, v7
	v_div_fixup_f32 v7, v1, v2, 1.0
	v_xor_b32_e32 v1, 0x80000000, v7
	v_mul_f32_e64 v6, v6, -v7
.LBB126_17:
	s_or_b32 exec_lo, exec_lo, s5
	buffer_store_dword v7, v5, s[0:3], 0 offen
	buffer_store_dword v6, v5, s[0:3], 0 offen offset:4
	s_clause 0x1
	buffer_load_dword v8, off, s[0:3], 0 offset:12
	buffer_load_dword v7, off, s[0:3], 0 offset:8
	v_xor_b32_e32 v2, 0x80000000, v6
	v_or_b32_e32 v4, 0x200, v3
	s_waitcnt vmcnt(0)
	ds_write2st64_b64 v3, v[1:2], v[7:8] offset1:1
	s_waitcnt lgkmcnt(0)
	s_waitcnt_vscnt null, 0x0
	s_barrier
	buffer_gl0_inv
	s_and_saveexec_b32 s5, s4
	s_cbranch_execz .LBB126_19
; %bb.18:
	s_clause 0x1
	buffer_load_dword v8, v5, s[0:3], 0 offen offset:4
	buffer_load_dword v9, v5, s[0:3], 0 offen
	ds_read_b64 v[1:2], v4
	v_mov_b32_e32 v6, 0
	ds_read_b64 v[6:7], v6 offset:8
	s_waitcnt vmcnt(1) lgkmcnt(1)
	v_mul_f32_e32 v10, v1, v8
	v_mul_f32_e32 v8, v2, v8
	s_waitcnt vmcnt(0)
	v_fmac_f32_e32 v10, v2, v9
	v_fma_f32 v1, v1, v9, -v8
	v_add_f32_e32 v2, 0, v10
	v_add_f32_e32 v1, 0, v1
	s_waitcnt lgkmcnt(0)
	v_mul_f32_e32 v8, v2, v7
	v_mul_f32_e32 v7, v1, v7
	v_fma_f32 v1, v1, v6, -v8
	v_fmac_f32_e32 v7, v2, v6
	buffer_store_dword v1, off, s[0:3], 0 offset:8
	buffer_store_dword v7, off, s[0:3], 0 offset:12
.LBB126_19:
	s_or_b32 exec_lo, exec_lo, s5
	s_waitcnt_vscnt null, 0x0
	s_barrier
	buffer_gl0_inv
	s_clause 0x1
	buffer_load_dword v1, off, s[0:3], 0 offset:16
	buffer_load_dword v2, off, s[0:3], 0 offset:20
	s_mov_b32 s5, exec_lo
	s_waitcnt vmcnt(0)
	ds_write_b64 v4, v[1:2]
	s_waitcnt lgkmcnt(0)
	s_barrier
	buffer_gl0_inv
	v_cmpx_gt_u32_e32 2, v0
	s_cbranch_execz .LBB126_23
; %bb.20:
	s_clause 0x1
	buffer_load_dword v6, v5, s[0:3], 0 offen offset:4
	buffer_load_dword v5, v5, s[0:3], 0 offen
	ds_read_b64 v[1:2], v4
	s_waitcnt vmcnt(1) lgkmcnt(0)
	v_mul_f32_e32 v7, v2, v6
	v_mul_f32_e32 v6, v1, v6
	s_waitcnt vmcnt(0)
	v_fma_f32 v1, v1, v5, -v7
	v_fmac_f32_e32 v6, v2, v5
	v_add_f32_e32 v2, 0, v1
	v_add_f32_e32 v1, 0, v6
	s_and_saveexec_b32 s8, s4
	s_cbranch_execz .LBB126_22
; %bb.21:
	s_clause 0x1
	buffer_load_dword v7, off, s[0:3], 0 offset:12
	buffer_load_dword v8, off, s[0:3], 0 offset:8
	v_mov_b32_e32 v5, 0
	ds_read_b64 v[5:6], v5 offset:520
	s_waitcnt vmcnt(1) lgkmcnt(0)
	v_mul_f32_e32 v9, v5, v7
	v_mul_f32_e32 v7, v6, v7
	s_waitcnt vmcnt(0)
	v_fmac_f32_e32 v9, v6, v8
	v_fma_f32 v5, v5, v8, -v7
	v_add_f32_e32 v1, v1, v9
	v_add_f32_e32 v2, v2, v5
.LBB126_22:
	s_or_b32 exec_lo, exec_lo, s8
	v_mov_b32_e32 v5, 0
	ds_read_b64 v[5:6], v5 offset:16
	s_waitcnt lgkmcnt(0)
	v_mul_f32_e32 v7, v1, v6
	v_mul_f32_e32 v6, v2, v6
	v_fma_f32 v2, v2, v5, -v7
	v_fmac_f32_e32 v6, v1, v5
	buffer_store_dword v2, off, s[0:3], 0 offset:16
	buffer_store_dword v6, off, s[0:3], 0 offset:20
.LBB126_23:
	s_or_b32 exec_lo, exec_lo, s5
	s_waitcnt_vscnt null, 0x0
	s_barrier
	buffer_gl0_inv
	s_clause 0x1
	buffer_load_dword v5, off, s[0:3], 0 offset:24
	buffer_load_dword v6, off, s[0:3], 0 offset:28
	v_add_nc_u32_e32 v1, -1, v0
	s_mov_b32 s4, exec_lo
	s_waitcnt vmcnt(0)
	ds_write_b64 v4, v[5:6]
	s_waitcnt lgkmcnt(0)
	s_barrier
	buffer_gl0_inv
	v_cmpx_gt_u32_e32 3, v0
	s_cbranch_execz .LBB126_27
; %bb.24:
	v_add_nc_u32_e32 v5, -1, v0
	v_or_b32_e32 v6, 0x200, v3
	v_mov_b32_e32 v7, v3
	v_mov_b32_e32 v2, 0
	;; [unrolled: 1-line block ×3, first 2 shown]
	s_mov_b32 s5, 0
	.p2align	6
.LBB126_25:                             ; =>This Inner Loop Header: Depth=1
	s_clause 0x1
	buffer_load_dword v11, v7, s[0:3], 0 offen offset:4
	buffer_load_dword v12, v7, s[0:3], 0 offen
	ds_read_b64 v[9:10], v6
	v_add_nc_u32_e32 v5, 1, v5
	v_add_nc_u32_e32 v6, 8, v6
	;; [unrolled: 1-line block ×3, first 2 shown]
	v_cmp_lt_u32_e32 vcc_lo, 1, v5
	s_or_b32 s5, vcc_lo, s5
	s_waitcnt vmcnt(1) lgkmcnt(0)
	v_mul_f32_e32 v139, v10, v11
	v_mul_f32_e32 v11, v9, v11
	s_waitcnt vmcnt(0)
	v_fma_f32 v9, v9, v12, -v139
	v_fmac_f32_e32 v11, v10, v12
	v_add_f32_e32 v8, v8, v9
	v_add_f32_e32 v2, v2, v11
	s_andn2_b32 exec_lo, exec_lo, s5
	s_cbranch_execnz .LBB126_25
; %bb.26:
	s_or_b32 exec_lo, exec_lo, s5
	v_mov_b32_e32 v5, 0
	ds_read_b64 v[5:6], v5 offset:24
	s_waitcnt lgkmcnt(0)
	v_mul_f32_e32 v7, v2, v6
	v_mul_f32_e32 v6, v8, v6
	v_fma_f32 v7, v8, v5, -v7
	v_fmac_f32_e32 v6, v2, v5
	buffer_store_dword v7, off, s[0:3], 0 offset:24
	buffer_store_dword v6, off, s[0:3], 0 offset:28
.LBB126_27:
	s_or_b32 exec_lo, exec_lo, s4
	s_waitcnt_vscnt null, 0x0
	s_barrier
	buffer_gl0_inv
	s_clause 0x1
	buffer_load_dword v5, off, s[0:3], 0 offset:32
	buffer_load_dword v6, off, s[0:3], 0 offset:36
	s_mov_b32 s4, exec_lo
	s_waitcnt vmcnt(0)
	ds_write_b64 v4, v[5:6]
	s_waitcnt lgkmcnt(0)
	s_barrier
	buffer_gl0_inv
	v_cmpx_gt_u32_e32 4, v0
	s_cbranch_execz .LBB126_31
; %bb.28:
	v_add_nc_u32_e32 v5, -1, v0
	v_or_b32_e32 v6, 0x200, v3
	v_mov_b32_e32 v7, v3
	v_mov_b32_e32 v2, 0
	;; [unrolled: 1-line block ×3, first 2 shown]
	s_mov_b32 s5, 0
	.p2align	6
.LBB126_29:                             ; =>This Inner Loop Header: Depth=1
	s_clause 0x1
	buffer_load_dword v11, v7, s[0:3], 0 offen offset:4
	buffer_load_dword v12, v7, s[0:3], 0 offen
	ds_read_b64 v[9:10], v6
	v_add_nc_u32_e32 v5, 1, v5
	v_add_nc_u32_e32 v6, 8, v6
	;; [unrolled: 1-line block ×3, first 2 shown]
	v_cmp_lt_u32_e32 vcc_lo, 2, v5
	s_or_b32 s5, vcc_lo, s5
	s_waitcnt vmcnt(1) lgkmcnt(0)
	v_mul_f32_e32 v139, v10, v11
	v_mul_f32_e32 v11, v9, v11
	s_waitcnt vmcnt(0)
	v_fma_f32 v9, v9, v12, -v139
	v_fmac_f32_e32 v11, v10, v12
	v_add_f32_e32 v8, v8, v9
	v_add_f32_e32 v2, v2, v11
	s_andn2_b32 exec_lo, exec_lo, s5
	s_cbranch_execnz .LBB126_29
; %bb.30:
	s_or_b32 exec_lo, exec_lo, s5
	v_mov_b32_e32 v5, 0
	ds_read_b64 v[5:6], v5 offset:32
	s_waitcnt lgkmcnt(0)
	v_mul_f32_e32 v7, v2, v6
	v_mul_f32_e32 v6, v8, v6
	v_fma_f32 v7, v8, v5, -v7
	v_fmac_f32_e32 v6, v2, v5
	buffer_store_dword v7, off, s[0:3], 0 offset:32
	buffer_store_dword v6, off, s[0:3], 0 offset:36
.LBB126_31:
	s_or_b32 exec_lo, exec_lo, s4
	s_waitcnt_vscnt null, 0x0
	s_barrier
	buffer_gl0_inv
	s_clause 0x1
	buffer_load_dword v5, off, s[0:3], 0 offset:40
	buffer_load_dword v6, off, s[0:3], 0 offset:44
	s_mov_b32 s4, exec_lo
	s_waitcnt vmcnt(0)
	ds_write_b64 v4, v[5:6]
	s_waitcnt lgkmcnt(0)
	s_barrier
	buffer_gl0_inv
	v_cmpx_gt_u32_e32 5, v0
	s_cbranch_execz .LBB126_35
; %bb.32:
	v_add_nc_u32_e32 v5, -1, v0
	v_or_b32_e32 v6, 0x200, v3
	v_mov_b32_e32 v7, v3
	v_mov_b32_e32 v2, 0
	;; [unrolled: 1-line block ×3, first 2 shown]
	s_mov_b32 s5, 0
	.p2align	6
.LBB126_33:                             ; =>This Inner Loop Header: Depth=1
	s_clause 0x1
	buffer_load_dword v11, v7, s[0:3], 0 offen offset:4
	buffer_load_dword v12, v7, s[0:3], 0 offen
	ds_read_b64 v[9:10], v6
	v_add_nc_u32_e32 v5, 1, v5
	v_add_nc_u32_e32 v6, 8, v6
	;; [unrolled: 1-line block ×3, first 2 shown]
	v_cmp_lt_u32_e32 vcc_lo, 3, v5
	s_or_b32 s5, vcc_lo, s5
	s_waitcnt vmcnt(1) lgkmcnt(0)
	v_mul_f32_e32 v139, v10, v11
	v_mul_f32_e32 v11, v9, v11
	s_waitcnt vmcnt(0)
	v_fma_f32 v9, v9, v12, -v139
	v_fmac_f32_e32 v11, v10, v12
	v_add_f32_e32 v8, v8, v9
	v_add_f32_e32 v2, v2, v11
	s_andn2_b32 exec_lo, exec_lo, s5
	s_cbranch_execnz .LBB126_33
; %bb.34:
	s_or_b32 exec_lo, exec_lo, s5
	v_mov_b32_e32 v5, 0
	ds_read_b64 v[5:6], v5 offset:40
	s_waitcnt lgkmcnt(0)
	v_mul_f32_e32 v7, v2, v6
	v_mul_f32_e32 v6, v8, v6
	v_fma_f32 v7, v8, v5, -v7
	v_fmac_f32_e32 v6, v2, v5
	buffer_store_dword v7, off, s[0:3], 0 offset:40
	buffer_store_dword v6, off, s[0:3], 0 offset:44
.LBB126_35:
	s_or_b32 exec_lo, exec_lo, s4
	s_waitcnt_vscnt null, 0x0
	s_barrier
	buffer_gl0_inv
	s_clause 0x1
	buffer_load_dword v5, off, s[0:3], 0 offset:48
	buffer_load_dword v6, off, s[0:3], 0 offset:52
	s_mov_b32 s4, exec_lo
	s_waitcnt vmcnt(0)
	ds_write_b64 v4, v[5:6]
	s_waitcnt lgkmcnt(0)
	s_barrier
	buffer_gl0_inv
	v_cmpx_gt_u32_e32 6, v0
	s_cbranch_execz .LBB126_39
; %bb.36:
	v_add_nc_u32_e32 v5, -1, v0
	v_or_b32_e32 v6, 0x200, v3
	v_mov_b32_e32 v7, v3
	v_mov_b32_e32 v2, 0
	v_mov_b32_e32 v8, 0
	s_mov_b32 s5, 0
	.p2align	6
.LBB126_37:                             ; =>This Inner Loop Header: Depth=1
	s_clause 0x1
	buffer_load_dword v11, v7, s[0:3], 0 offen offset:4
	buffer_load_dword v12, v7, s[0:3], 0 offen
	ds_read_b64 v[9:10], v6
	v_add_nc_u32_e32 v5, 1, v5
	v_add_nc_u32_e32 v6, 8, v6
	v_add_nc_u32_e32 v7, 8, v7
	v_cmp_lt_u32_e32 vcc_lo, 4, v5
	s_or_b32 s5, vcc_lo, s5
	s_waitcnt vmcnt(1) lgkmcnt(0)
	v_mul_f32_e32 v139, v10, v11
	v_mul_f32_e32 v11, v9, v11
	s_waitcnt vmcnt(0)
	v_fma_f32 v9, v9, v12, -v139
	v_fmac_f32_e32 v11, v10, v12
	v_add_f32_e32 v8, v8, v9
	v_add_f32_e32 v2, v2, v11
	s_andn2_b32 exec_lo, exec_lo, s5
	s_cbranch_execnz .LBB126_37
; %bb.38:
	s_or_b32 exec_lo, exec_lo, s5
	v_mov_b32_e32 v5, 0
	ds_read_b64 v[5:6], v5 offset:48
	s_waitcnt lgkmcnt(0)
	v_mul_f32_e32 v7, v2, v6
	v_mul_f32_e32 v6, v8, v6
	v_fma_f32 v7, v8, v5, -v7
	v_fmac_f32_e32 v6, v2, v5
	buffer_store_dword v7, off, s[0:3], 0 offset:48
	buffer_store_dword v6, off, s[0:3], 0 offset:52
.LBB126_39:
	s_or_b32 exec_lo, exec_lo, s4
	s_waitcnt_vscnt null, 0x0
	s_barrier
	buffer_gl0_inv
	s_clause 0x1
	buffer_load_dword v5, off, s[0:3], 0 offset:56
	buffer_load_dword v6, off, s[0:3], 0 offset:60
	s_mov_b32 s4, exec_lo
	s_waitcnt vmcnt(0)
	ds_write_b64 v4, v[5:6]
	s_waitcnt lgkmcnt(0)
	s_barrier
	buffer_gl0_inv
	v_cmpx_gt_u32_e32 7, v0
	s_cbranch_execz .LBB126_43
; %bb.40:
	v_add_nc_u32_e32 v5, -1, v0
	v_or_b32_e32 v6, 0x200, v3
	v_mov_b32_e32 v7, v3
	v_mov_b32_e32 v2, 0
	;; [unrolled: 1-line block ×3, first 2 shown]
	s_mov_b32 s5, 0
	.p2align	6
.LBB126_41:                             ; =>This Inner Loop Header: Depth=1
	s_clause 0x1
	buffer_load_dword v11, v7, s[0:3], 0 offen offset:4
	buffer_load_dword v12, v7, s[0:3], 0 offen
	ds_read_b64 v[9:10], v6
	v_add_nc_u32_e32 v5, 1, v5
	v_add_nc_u32_e32 v6, 8, v6
	;; [unrolled: 1-line block ×3, first 2 shown]
	v_cmp_lt_u32_e32 vcc_lo, 5, v5
	s_or_b32 s5, vcc_lo, s5
	s_waitcnt vmcnt(1) lgkmcnt(0)
	v_mul_f32_e32 v139, v10, v11
	v_mul_f32_e32 v11, v9, v11
	s_waitcnt vmcnt(0)
	v_fma_f32 v9, v9, v12, -v139
	v_fmac_f32_e32 v11, v10, v12
	v_add_f32_e32 v8, v8, v9
	v_add_f32_e32 v2, v2, v11
	s_andn2_b32 exec_lo, exec_lo, s5
	s_cbranch_execnz .LBB126_41
; %bb.42:
	s_or_b32 exec_lo, exec_lo, s5
	v_mov_b32_e32 v5, 0
	ds_read_b64 v[5:6], v5 offset:56
	s_waitcnt lgkmcnt(0)
	v_mul_f32_e32 v7, v2, v6
	v_mul_f32_e32 v6, v8, v6
	v_fma_f32 v7, v8, v5, -v7
	v_fmac_f32_e32 v6, v2, v5
	buffer_store_dword v7, off, s[0:3], 0 offset:56
	buffer_store_dword v6, off, s[0:3], 0 offset:60
.LBB126_43:
	s_or_b32 exec_lo, exec_lo, s4
	s_waitcnt_vscnt null, 0x0
	s_barrier
	buffer_gl0_inv
	s_clause 0x1
	buffer_load_dword v5, off, s[0:3], 0 offset:64
	buffer_load_dword v6, off, s[0:3], 0 offset:68
	s_mov_b32 s4, exec_lo
	s_waitcnt vmcnt(0)
	ds_write_b64 v4, v[5:6]
	s_waitcnt lgkmcnt(0)
	s_barrier
	buffer_gl0_inv
	v_cmpx_gt_u32_e32 8, v0
	s_cbranch_execz .LBB126_47
; %bb.44:
	v_add_nc_u32_e32 v5, -1, v0
	v_or_b32_e32 v6, 0x200, v3
	v_mov_b32_e32 v7, v3
	v_mov_b32_e32 v2, 0
	;; [unrolled: 1-line block ×3, first 2 shown]
	s_mov_b32 s5, 0
	.p2align	6
.LBB126_45:                             ; =>This Inner Loop Header: Depth=1
	s_clause 0x1
	buffer_load_dword v11, v7, s[0:3], 0 offen offset:4
	buffer_load_dword v12, v7, s[0:3], 0 offen
	ds_read_b64 v[9:10], v6
	v_add_nc_u32_e32 v5, 1, v5
	v_add_nc_u32_e32 v6, 8, v6
	;; [unrolled: 1-line block ×3, first 2 shown]
	v_cmp_lt_u32_e32 vcc_lo, 6, v5
	s_or_b32 s5, vcc_lo, s5
	s_waitcnt vmcnt(1) lgkmcnt(0)
	v_mul_f32_e32 v139, v10, v11
	v_mul_f32_e32 v11, v9, v11
	s_waitcnt vmcnt(0)
	v_fma_f32 v9, v9, v12, -v139
	v_fmac_f32_e32 v11, v10, v12
	v_add_f32_e32 v8, v8, v9
	v_add_f32_e32 v2, v2, v11
	s_andn2_b32 exec_lo, exec_lo, s5
	s_cbranch_execnz .LBB126_45
; %bb.46:
	s_or_b32 exec_lo, exec_lo, s5
	v_mov_b32_e32 v5, 0
	ds_read_b64 v[5:6], v5 offset:64
	s_waitcnt lgkmcnt(0)
	v_mul_f32_e32 v7, v2, v6
	v_mul_f32_e32 v6, v8, v6
	v_fma_f32 v7, v8, v5, -v7
	v_fmac_f32_e32 v6, v2, v5
	buffer_store_dword v7, off, s[0:3], 0 offset:64
	buffer_store_dword v6, off, s[0:3], 0 offset:68
.LBB126_47:
	s_or_b32 exec_lo, exec_lo, s4
	s_waitcnt_vscnt null, 0x0
	s_barrier
	buffer_gl0_inv
	s_clause 0x1
	buffer_load_dword v5, off, s[0:3], 0 offset:72
	buffer_load_dword v6, off, s[0:3], 0 offset:76
	s_mov_b32 s4, exec_lo
	s_waitcnt vmcnt(0)
	ds_write_b64 v4, v[5:6]
	s_waitcnt lgkmcnt(0)
	s_barrier
	buffer_gl0_inv
	v_cmpx_gt_u32_e32 9, v0
	s_cbranch_execz .LBB126_51
; %bb.48:
	v_add_nc_u32_e32 v5, -1, v0
	v_or_b32_e32 v6, 0x200, v3
	v_mov_b32_e32 v7, v3
	v_mov_b32_e32 v2, 0
	;; [unrolled: 1-line block ×3, first 2 shown]
	s_mov_b32 s5, 0
	.p2align	6
.LBB126_49:                             ; =>This Inner Loop Header: Depth=1
	s_clause 0x1
	buffer_load_dword v11, v7, s[0:3], 0 offen offset:4
	buffer_load_dword v12, v7, s[0:3], 0 offen
	ds_read_b64 v[9:10], v6
	v_add_nc_u32_e32 v5, 1, v5
	v_add_nc_u32_e32 v6, 8, v6
	;; [unrolled: 1-line block ×3, first 2 shown]
	v_cmp_lt_u32_e32 vcc_lo, 7, v5
	s_or_b32 s5, vcc_lo, s5
	s_waitcnt vmcnt(1) lgkmcnt(0)
	v_mul_f32_e32 v139, v10, v11
	v_mul_f32_e32 v11, v9, v11
	s_waitcnt vmcnt(0)
	v_fma_f32 v9, v9, v12, -v139
	v_fmac_f32_e32 v11, v10, v12
	v_add_f32_e32 v8, v8, v9
	v_add_f32_e32 v2, v2, v11
	s_andn2_b32 exec_lo, exec_lo, s5
	s_cbranch_execnz .LBB126_49
; %bb.50:
	s_or_b32 exec_lo, exec_lo, s5
	v_mov_b32_e32 v5, 0
	ds_read_b64 v[5:6], v5 offset:72
	s_waitcnt lgkmcnt(0)
	v_mul_f32_e32 v7, v2, v6
	v_mul_f32_e32 v6, v8, v6
	v_fma_f32 v7, v8, v5, -v7
	v_fmac_f32_e32 v6, v2, v5
	buffer_store_dword v7, off, s[0:3], 0 offset:72
	buffer_store_dword v6, off, s[0:3], 0 offset:76
.LBB126_51:
	s_or_b32 exec_lo, exec_lo, s4
	s_waitcnt_vscnt null, 0x0
	s_barrier
	buffer_gl0_inv
	s_clause 0x1
	buffer_load_dword v5, off, s[0:3], 0 offset:80
	buffer_load_dword v6, off, s[0:3], 0 offset:84
	s_mov_b32 s4, exec_lo
	s_waitcnt vmcnt(0)
	ds_write_b64 v4, v[5:6]
	s_waitcnt lgkmcnt(0)
	s_barrier
	buffer_gl0_inv
	v_cmpx_gt_u32_e32 10, v0
	s_cbranch_execz .LBB126_55
; %bb.52:
	v_add_nc_u32_e32 v5, -1, v0
	v_or_b32_e32 v6, 0x200, v3
	v_mov_b32_e32 v7, v3
	v_mov_b32_e32 v2, 0
	;; [unrolled: 1-line block ×3, first 2 shown]
	s_mov_b32 s5, 0
	.p2align	6
.LBB126_53:                             ; =>This Inner Loop Header: Depth=1
	s_clause 0x1
	buffer_load_dword v11, v7, s[0:3], 0 offen offset:4
	buffer_load_dword v12, v7, s[0:3], 0 offen
	ds_read_b64 v[9:10], v6
	v_add_nc_u32_e32 v5, 1, v5
	v_add_nc_u32_e32 v6, 8, v6
	;; [unrolled: 1-line block ×3, first 2 shown]
	v_cmp_lt_u32_e32 vcc_lo, 8, v5
	s_or_b32 s5, vcc_lo, s5
	s_waitcnt vmcnt(1) lgkmcnt(0)
	v_mul_f32_e32 v139, v10, v11
	v_mul_f32_e32 v11, v9, v11
	s_waitcnt vmcnt(0)
	v_fma_f32 v9, v9, v12, -v139
	v_fmac_f32_e32 v11, v10, v12
	v_add_f32_e32 v8, v8, v9
	v_add_f32_e32 v2, v2, v11
	s_andn2_b32 exec_lo, exec_lo, s5
	s_cbranch_execnz .LBB126_53
; %bb.54:
	s_or_b32 exec_lo, exec_lo, s5
	v_mov_b32_e32 v5, 0
	ds_read_b64 v[5:6], v5 offset:80
	s_waitcnt lgkmcnt(0)
	v_mul_f32_e32 v7, v2, v6
	v_mul_f32_e32 v6, v8, v6
	v_fma_f32 v7, v8, v5, -v7
	v_fmac_f32_e32 v6, v2, v5
	buffer_store_dword v7, off, s[0:3], 0 offset:80
	buffer_store_dword v6, off, s[0:3], 0 offset:84
.LBB126_55:
	s_or_b32 exec_lo, exec_lo, s4
	s_waitcnt_vscnt null, 0x0
	s_barrier
	buffer_gl0_inv
	s_clause 0x1
	buffer_load_dword v5, off, s[0:3], 0 offset:88
	buffer_load_dword v6, off, s[0:3], 0 offset:92
	s_mov_b32 s4, exec_lo
	s_waitcnt vmcnt(0)
	ds_write_b64 v4, v[5:6]
	s_waitcnt lgkmcnt(0)
	s_barrier
	buffer_gl0_inv
	v_cmpx_gt_u32_e32 11, v0
	s_cbranch_execz .LBB126_59
; %bb.56:
	v_add_nc_u32_e32 v5, -1, v0
	v_or_b32_e32 v6, 0x200, v3
	v_mov_b32_e32 v7, v3
	v_mov_b32_e32 v2, 0
	;; [unrolled: 1-line block ×3, first 2 shown]
	s_mov_b32 s5, 0
	.p2align	6
.LBB126_57:                             ; =>This Inner Loop Header: Depth=1
	s_clause 0x1
	buffer_load_dword v11, v7, s[0:3], 0 offen offset:4
	buffer_load_dword v12, v7, s[0:3], 0 offen
	ds_read_b64 v[9:10], v6
	v_add_nc_u32_e32 v5, 1, v5
	v_add_nc_u32_e32 v6, 8, v6
	;; [unrolled: 1-line block ×3, first 2 shown]
	v_cmp_lt_u32_e32 vcc_lo, 9, v5
	s_or_b32 s5, vcc_lo, s5
	s_waitcnt vmcnt(1) lgkmcnt(0)
	v_mul_f32_e32 v139, v10, v11
	v_mul_f32_e32 v11, v9, v11
	s_waitcnt vmcnt(0)
	v_fma_f32 v9, v9, v12, -v139
	v_fmac_f32_e32 v11, v10, v12
	v_add_f32_e32 v8, v8, v9
	v_add_f32_e32 v2, v2, v11
	s_andn2_b32 exec_lo, exec_lo, s5
	s_cbranch_execnz .LBB126_57
; %bb.58:
	s_or_b32 exec_lo, exec_lo, s5
	v_mov_b32_e32 v5, 0
	ds_read_b64 v[5:6], v5 offset:88
	s_waitcnt lgkmcnt(0)
	v_mul_f32_e32 v7, v2, v6
	v_mul_f32_e32 v6, v8, v6
	v_fma_f32 v7, v8, v5, -v7
	v_fmac_f32_e32 v6, v2, v5
	buffer_store_dword v7, off, s[0:3], 0 offset:88
	buffer_store_dword v6, off, s[0:3], 0 offset:92
.LBB126_59:
	s_or_b32 exec_lo, exec_lo, s4
	s_waitcnt_vscnt null, 0x0
	s_barrier
	buffer_gl0_inv
	s_clause 0x1
	buffer_load_dword v5, off, s[0:3], 0 offset:96
	buffer_load_dword v6, off, s[0:3], 0 offset:100
	s_mov_b32 s4, exec_lo
	s_waitcnt vmcnt(0)
	ds_write_b64 v4, v[5:6]
	s_waitcnt lgkmcnt(0)
	s_barrier
	buffer_gl0_inv
	v_cmpx_gt_u32_e32 12, v0
	s_cbranch_execz .LBB126_63
; %bb.60:
	v_add_nc_u32_e32 v5, -1, v0
	v_or_b32_e32 v6, 0x200, v3
	v_mov_b32_e32 v7, v3
	v_mov_b32_e32 v2, 0
	;; [unrolled: 1-line block ×3, first 2 shown]
	s_mov_b32 s5, 0
	.p2align	6
.LBB126_61:                             ; =>This Inner Loop Header: Depth=1
	s_clause 0x1
	buffer_load_dword v11, v7, s[0:3], 0 offen offset:4
	buffer_load_dword v12, v7, s[0:3], 0 offen
	ds_read_b64 v[9:10], v6
	v_add_nc_u32_e32 v5, 1, v5
	v_add_nc_u32_e32 v6, 8, v6
	;; [unrolled: 1-line block ×3, first 2 shown]
	v_cmp_lt_u32_e32 vcc_lo, 10, v5
	s_or_b32 s5, vcc_lo, s5
	s_waitcnt vmcnt(1) lgkmcnt(0)
	v_mul_f32_e32 v139, v10, v11
	v_mul_f32_e32 v11, v9, v11
	s_waitcnt vmcnt(0)
	v_fma_f32 v9, v9, v12, -v139
	v_fmac_f32_e32 v11, v10, v12
	v_add_f32_e32 v8, v8, v9
	v_add_f32_e32 v2, v2, v11
	s_andn2_b32 exec_lo, exec_lo, s5
	s_cbranch_execnz .LBB126_61
; %bb.62:
	s_or_b32 exec_lo, exec_lo, s5
	v_mov_b32_e32 v5, 0
	ds_read_b64 v[5:6], v5 offset:96
	s_waitcnt lgkmcnt(0)
	v_mul_f32_e32 v7, v2, v6
	v_mul_f32_e32 v6, v8, v6
	v_fma_f32 v7, v8, v5, -v7
	v_fmac_f32_e32 v6, v2, v5
	buffer_store_dword v7, off, s[0:3], 0 offset:96
	buffer_store_dword v6, off, s[0:3], 0 offset:100
.LBB126_63:
	s_or_b32 exec_lo, exec_lo, s4
	s_waitcnt_vscnt null, 0x0
	s_barrier
	buffer_gl0_inv
	s_clause 0x1
	buffer_load_dword v5, off, s[0:3], 0 offset:104
	buffer_load_dword v6, off, s[0:3], 0 offset:108
	s_mov_b32 s4, exec_lo
	s_waitcnt vmcnt(0)
	ds_write_b64 v4, v[5:6]
	s_waitcnt lgkmcnt(0)
	s_barrier
	buffer_gl0_inv
	v_cmpx_gt_u32_e32 13, v0
	s_cbranch_execz .LBB126_67
; %bb.64:
	v_add_nc_u32_e32 v5, -1, v0
	v_or_b32_e32 v6, 0x200, v3
	v_mov_b32_e32 v7, v3
	v_mov_b32_e32 v2, 0
	;; [unrolled: 1-line block ×3, first 2 shown]
	s_mov_b32 s5, 0
	.p2align	6
.LBB126_65:                             ; =>This Inner Loop Header: Depth=1
	s_clause 0x1
	buffer_load_dword v11, v7, s[0:3], 0 offen offset:4
	buffer_load_dword v12, v7, s[0:3], 0 offen
	ds_read_b64 v[9:10], v6
	v_add_nc_u32_e32 v5, 1, v5
	v_add_nc_u32_e32 v6, 8, v6
	;; [unrolled: 1-line block ×3, first 2 shown]
	v_cmp_lt_u32_e32 vcc_lo, 11, v5
	s_or_b32 s5, vcc_lo, s5
	s_waitcnt vmcnt(1) lgkmcnt(0)
	v_mul_f32_e32 v139, v10, v11
	v_mul_f32_e32 v11, v9, v11
	s_waitcnt vmcnt(0)
	v_fma_f32 v9, v9, v12, -v139
	v_fmac_f32_e32 v11, v10, v12
	v_add_f32_e32 v8, v8, v9
	v_add_f32_e32 v2, v2, v11
	s_andn2_b32 exec_lo, exec_lo, s5
	s_cbranch_execnz .LBB126_65
; %bb.66:
	s_or_b32 exec_lo, exec_lo, s5
	v_mov_b32_e32 v5, 0
	ds_read_b64 v[5:6], v5 offset:104
	s_waitcnt lgkmcnt(0)
	v_mul_f32_e32 v7, v2, v6
	v_mul_f32_e32 v6, v8, v6
	v_fma_f32 v7, v8, v5, -v7
	v_fmac_f32_e32 v6, v2, v5
	buffer_store_dword v7, off, s[0:3], 0 offset:104
	buffer_store_dword v6, off, s[0:3], 0 offset:108
.LBB126_67:
	s_or_b32 exec_lo, exec_lo, s4
	s_waitcnt_vscnt null, 0x0
	s_barrier
	buffer_gl0_inv
	s_clause 0x1
	buffer_load_dword v5, off, s[0:3], 0 offset:112
	buffer_load_dword v6, off, s[0:3], 0 offset:116
	s_mov_b32 s4, exec_lo
	s_waitcnt vmcnt(0)
	ds_write_b64 v4, v[5:6]
	s_waitcnt lgkmcnt(0)
	s_barrier
	buffer_gl0_inv
	v_cmpx_gt_u32_e32 14, v0
	s_cbranch_execz .LBB126_71
; %bb.68:
	v_add_nc_u32_e32 v5, -1, v0
	v_or_b32_e32 v6, 0x200, v3
	v_mov_b32_e32 v7, v3
	v_mov_b32_e32 v2, 0
	;; [unrolled: 1-line block ×3, first 2 shown]
	s_mov_b32 s5, 0
	.p2align	6
.LBB126_69:                             ; =>This Inner Loop Header: Depth=1
	s_clause 0x1
	buffer_load_dword v11, v7, s[0:3], 0 offen offset:4
	buffer_load_dword v12, v7, s[0:3], 0 offen
	ds_read_b64 v[9:10], v6
	v_add_nc_u32_e32 v5, 1, v5
	v_add_nc_u32_e32 v6, 8, v6
	;; [unrolled: 1-line block ×3, first 2 shown]
	v_cmp_lt_u32_e32 vcc_lo, 12, v5
	s_or_b32 s5, vcc_lo, s5
	s_waitcnt vmcnt(1) lgkmcnt(0)
	v_mul_f32_e32 v139, v10, v11
	v_mul_f32_e32 v11, v9, v11
	s_waitcnt vmcnt(0)
	v_fma_f32 v9, v9, v12, -v139
	v_fmac_f32_e32 v11, v10, v12
	v_add_f32_e32 v8, v8, v9
	v_add_f32_e32 v2, v2, v11
	s_andn2_b32 exec_lo, exec_lo, s5
	s_cbranch_execnz .LBB126_69
; %bb.70:
	s_or_b32 exec_lo, exec_lo, s5
	v_mov_b32_e32 v5, 0
	ds_read_b64 v[5:6], v5 offset:112
	s_waitcnt lgkmcnt(0)
	v_mul_f32_e32 v7, v2, v6
	v_mul_f32_e32 v6, v8, v6
	v_fma_f32 v7, v8, v5, -v7
	v_fmac_f32_e32 v6, v2, v5
	buffer_store_dword v7, off, s[0:3], 0 offset:112
	buffer_store_dword v6, off, s[0:3], 0 offset:116
.LBB126_71:
	s_or_b32 exec_lo, exec_lo, s4
	s_waitcnt_vscnt null, 0x0
	s_barrier
	buffer_gl0_inv
	s_clause 0x1
	buffer_load_dword v5, off, s[0:3], 0 offset:120
	buffer_load_dword v6, off, s[0:3], 0 offset:124
	s_mov_b32 s4, exec_lo
	s_waitcnt vmcnt(0)
	ds_write_b64 v4, v[5:6]
	s_waitcnt lgkmcnt(0)
	s_barrier
	buffer_gl0_inv
	v_cmpx_gt_u32_e32 15, v0
	s_cbranch_execz .LBB126_75
; %bb.72:
	v_add_nc_u32_e32 v5, -1, v0
	v_or_b32_e32 v6, 0x200, v3
	v_mov_b32_e32 v7, v3
	v_mov_b32_e32 v2, 0
	;; [unrolled: 1-line block ×3, first 2 shown]
	s_mov_b32 s5, 0
	.p2align	6
.LBB126_73:                             ; =>This Inner Loop Header: Depth=1
	s_clause 0x1
	buffer_load_dword v11, v7, s[0:3], 0 offen offset:4
	buffer_load_dword v12, v7, s[0:3], 0 offen
	ds_read_b64 v[9:10], v6
	v_add_nc_u32_e32 v5, 1, v5
	v_add_nc_u32_e32 v6, 8, v6
	;; [unrolled: 1-line block ×3, first 2 shown]
	v_cmp_lt_u32_e32 vcc_lo, 13, v5
	s_or_b32 s5, vcc_lo, s5
	s_waitcnt vmcnt(1) lgkmcnt(0)
	v_mul_f32_e32 v139, v10, v11
	v_mul_f32_e32 v11, v9, v11
	s_waitcnt vmcnt(0)
	v_fma_f32 v9, v9, v12, -v139
	v_fmac_f32_e32 v11, v10, v12
	v_add_f32_e32 v8, v8, v9
	v_add_f32_e32 v2, v2, v11
	s_andn2_b32 exec_lo, exec_lo, s5
	s_cbranch_execnz .LBB126_73
; %bb.74:
	s_or_b32 exec_lo, exec_lo, s5
	v_mov_b32_e32 v5, 0
	ds_read_b64 v[5:6], v5 offset:120
	s_waitcnt lgkmcnt(0)
	v_mul_f32_e32 v7, v2, v6
	v_mul_f32_e32 v6, v8, v6
	v_fma_f32 v7, v8, v5, -v7
	v_fmac_f32_e32 v6, v2, v5
	buffer_store_dword v7, off, s[0:3], 0 offset:120
	buffer_store_dword v6, off, s[0:3], 0 offset:124
.LBB126_75:
	s_or_b32 exec_lo, exec_lo, s4
	s_waitcnt_vscnt null, 0x0
	s_barrier
	buffer_gl0_inv
	s_clause 0x1
	buffer_load_dword v5, off, s[0:3], 0 offset:128
	buffer_load_dword v6, off, s[0:3], 0 offset:132
	s_mov_b32 s4, exec_lo
	s_waitcnt vmcnt(0)
	ds_write_b64 v4, v[5:6]
	s_waitcnt lgkmcnt(0)
	s_barrier
	buffer_gl0_inv
	v_cmpx_gt_u32_e32 16, v0
	s_cbranch_execz .LBB126_79
; %bb.76:
	v_add_nc_u32_e32 v5, -1, v0
	v_or_b32_e32 v6, 0x200, v3
	v_mov_b32_e32 v7, v3
	v_mov_b32_e32 v2, 0
	;; [unrolled: 1-line block ×3, first 2 shown]
	s_mov_b32 s5, 0
	.p2align	6
.LBB126_77:                             ; =>This Inner Loop Header: Depth=1
	s_clause 0x1
	buffer_load_dword v11, v7, s[0:3], 0 offen offset:4
	buffer_load_dword v12, v7, s[0:3], 0 offen
	ds_read_b64 v[9:10], v6
	v_add_nc_u32_e32 v5, 1, v5
	v_add_nc_u32_e32 v6, 8, v6
	;; [unrolled: 1-line block ×3, first 2 shown]
	v_cmp_lt_u32_e32 vcc_lo, 14, v5
	s_or_b32 s5, vcc_lo, s5
	s_waitcnt vmcnt(1) lgkmcnt(0)
	v_mul_f32_e32 v139, v10, v11
	v_mul_f32_e32 v11, v9, v11
	s_waitcnt vmcnt(0)
	v_fma_f32 v9, v9, v12, -v139
	v_fmac_f32_e32 v11, v10, v12
	v_add_f32_e32 v8, v8, v9
	v_add_f32_e32 v2, v2, v11
	s_andn2_b32 exec_lo, exec_lo, s5
	s_cbranch_execnz .LBB126_77
; %bb.78:
	s_or_b32 exec_lo, exec_lo, s5
	v_mov_b32_e32 v5, 0
	ds_read_b64 v[5:6], v5 offset:128
	s_waitcnt lgkmcnt(0)
	v_mul_f32_e32 v7, v2, v6
	v_mul_f32_e32 v6, v8, v6
	v_fma_f32 v7, v8, v5, -v7
	v_fmac_f32_e32 v6, v2, v5
	buffer_store_dword v7, off, s[0:3], 0 offset:128
	buffer_store_dword v6, off, s[0:3], 0 offset:132
.LBB126_79:
	s_or_b32 exec_lo, exec_lo, s4
	s_waitcnt_vscnt null, 0x0
	s_barrier
	buffer_gl0_inv
	s_clause 0x1
	buffer_load_dword v5, off, s[0:3], 0 offset:136
	buffer_load_dword v6, off, s[0:3], 0 offset:140
	s_mov_b32 s4, exec_lo
	s_waitcnt vmcnt(0)
	ds_write_b64 v4, v[5:6]
	s_waitcnt lgkmcnt(0)
	s_barrier
	buffer_gl0_inv
	v_cmpx_gt_u32_e32 17, v0
	s_cbranch_execz .LBB126_83
; %bb.80:
	v_add_nc_u32_e32 v5, -1, v0
	v_or_b32_e32 v6, 0x200, v3
	v_mov_b32_e32 v7, v3
	v_mov_b32_e32 v2, 0
	;; [unrolled: 1-line block ×3, first 2 shown]
	s_mov_b32 s5, 0
	.p2align	6
.LBB126_81:                             ; =>This Inner Loop Header: Depth=1
	s_clause 0x1
	buffer_load_dword v11, v7, s[0:3], 0 offen offset:4
	buffer_load_dword v12, v7, s[0:3], 0 offen
	ds_read_b64 v[9:10], v6
	v_add_nc_u32_e32 v5, 1, v5
	v_add_nc_u32_e32 v6, 8, v6
	;; [unrolled: 1-line block ×3, first 2 shown]
	v_cmp_lt_u32_e32 vcc_lo, 15, v5
	s_or_b32 s5, vcc_lo, s5
	s_waitcnt vmcnt(1) lgkmcnt(0)
	v_mul_f32_e32 v139, v10, v11
	v_mul_f32_e32 v11, v9, v11
	s_waitcnt vmcnt(0)
	v_fma_f32 v9, v9, v12, -v139
	v_fmac_f32_e32 v11, v10, v12
	v_add_f32_e32 v8, v8, v9
	v_add_f32_e32 v2, v2, v11
	s_andn2_b32 exec_lo, exec_lo, s5
	s_cbranch_execnz .LBB126_81
; %bb.82:
	s_or_b32 exec_lo, exec_lo, s5
	v_mov_b32_e32 v5, 0
	ds_read_b64 v[5:6], v5 offset:136
	s_waitcnt lgkmcnt(0)
	v_mul_f32_e32 v7, v2, v6
	v_mul_f32_e32 v6, v8, v6
	v_fma_f32 v7, v8, v5, -v7
	v_fmac_f32_e32 v6, v2, v5
	buffer_store_dword v7, off, s[0:3], 0 offset:136
	buffer_store_dword v6, off, s[0:3], 0 offset:140
.LBB126_83:
	s_or_b32 exec_lo, exec_lo, s4
	s_waitcnt_vscnt null, 0x0
	s_barrier
	buffer_gl0_inv
	s_clause 0x1
	buffer_load_dword v5, off, s[0:3], 0 offset:144
	buffer_load_dword v6, off, s[0:3], 0 offset:148
	s_mov_b32 s4, exec_lo
	s_waitcnt vmcnt(0)
	ds_write_b64 v4, v[5:6]
	s_waitcnt lgkmcnt(0)
	s_barrier
	buffer_gl0_inv
	v_cmpx_gt_u32_e32 18, v0
	s_cbranch_execz .LBB126_87
; %bb.84:
	v_add_nc_u32_e32 v5, -1, v0
	v_or_b32_e32 v6, 0x200, v3
	v_mov_b32_e32 v7, v3
	v_mov_b32_e32 v2, 0
	;; [unrolled: 1-line block ×3, first 2 shown]
	s_mov_b32 s5, 0
	.p2align	6
.LBB126_85:                             ; =>This Inner Loop Header: Depth=1
	s_clause 0x1
	buffer_load_dword v11, v7, s[0:3], 0 offen offset:4
	buffer_load_dword v12, v7, s[0:3], 0 offen
	ds_read_b64 v[9:10], v6
	v_add_nc_u32_e32 v5, 1, v5
	v_add_nc_u32_e32 v6, 8, v6
	;; [unrolled: 1-line block ×3, first 2 shown]
	v_cmp_lt_u32_e32 vcc_lo, 16, v5
	s_or_b32 s5, vcc_lo, s5
	s_waitcnt vmcnt(1) lgkmcnt(0)
	v_mul_f32_e32 v139, v10, v11
	v_mul_f32_e32 v11, v9, v11
	s_waitcnt vmcnt(0)
	v_fma_f32 v9, v9, v12, -v139
	v_fmac_f32_e32 v11, v10, v12
	v_add_f32_e32 v8, v8, v9
	v_add_f32_e32 v2, v2, v11
	s_andn2_b32 exec_lo, exec_lo, s5
	s_cbranch_execnz .LBB126_85
; %bb.86:
	s_or_b32 exec_lo, exec_lo, s5
	v_mov_b32_e32 v5, 0
	ds_read_b64 v[5:6], v5 offset:144
	s_waitcnt lgkmcnt(0)
	v_mul_f32_e32 v7, v2, v6
	v_mul_f32_e32 v6, v8, v6
	v_fma_f32 v7, v8, v5, -v7
	v_fmac_f32_e32 v6, v2, v5
	buffer_store_dword v7, off, s[0:3], 0 offset:144
	buffer_store_dword v6, off, s[0:3], 0 offset:148
.LBB126_87:
	s_or_b32 exec_lo, exec_lo, s4
	s_waitcnt_vscnt null, 0x0
	s_barrier
	buffer_gl0_inv
	s_clause 0x1
	buffer_load_dword v5, off, s[0:3], 0 offset:152
	buffer_load_dword v6, off, s[0:3], 0 offset:156
	s_mov_b32 s4, exec_lo
	s_waitcnt vmcnt(0)
	ds_write_b64 v4, v[5:6]
	s_waitcnt lgkmcnt(0)
	s_barrier
	buffer_gl0_inv
	v_cmpx_gt_u32_e32 19, v0
	s_cbranch_execz .LBB126_91
; %bb.88:
	v_add_nc_u32_e32 v5, -1, v0
	v_or_b32_e32 v6, 0x200, v3
	v_mov_b32_e32 v7, v3
	v_mov_b32_e32 v2, 0
	;; [unrolled: 1-line block ×3, first 2 shown]
	s_mov_b32 s5, 0
	.p2align	6
.LBB126_89:                             ; =>This Inner Loop Header: Depth=1
	s_clause 0x1
	buffer_load_dword v11, v7, s[0:3], 0 offen offset:4
	buffer_load_dword v12, v7, s[0:3], 0 offen
	ds_read_b64 v[9:10], v6
	v_add_nc_u32_e32 v5, 1, v5
	v_add_nc_u32_e32 v6, 8, v6
	;; [unrolled: 1-line block ×3, first 2 shown]
	v_cmp_lt_u32_e32 vcc_lo, 17, v5
	s_or_b32 s5, vcc_lo, s5
	s_waitcnt vmcnt(1) lgkmcnt(0)
	v_mul_f32_e32 v139, v10, v11
	v_mul_f32_e32 v11, v9, v11
	s_waitcnt vmcnt(0)
	v_fma_f32 v9, v9, v12, -v139
	v_fmac_f32_e32 v11, v10, v12
	v_add_f32_e32 v8, v8, v9
	v_add_f32_e32 v2, v2, v11
	s_andn2_b32 exec_lo, exec_lo, s5
	s_cbranch_execnz .LBB126_89
; %bb.90:
	s_or_b32 exec_lo, exec_lo, s5
	v_mov_b32_e32 v5, 0
	ds_read_b64 v[5:6], v5 offset:152
	s_waitcnt lgkmcnt(0)
	v_mul_f32_e32 v7, v2, v6
	v_mul_f32_e32 v6, v8, v6
	v_fma_f32 v7, v8, v5, -v7
	v_fmac_f32_e32 v6, v2, v5
	buffer_store_dword v7, off, s[0:3], 0 offset:152
	buffer_store_dword v6, off, s[0:3], 0 offset:156
.LBB126_91:
	s_or_b32 exec_lo, exec_lo, s4
	s_waitcnt_vscnt null, 0x0
	s_barrier
	buffer_gl0_inv
	s_clause 0x1
	buffer_load_dword v5, off, s[0:3], 0 offset:160
	buffer_load_dword v6, off, s[0:3], 0 offset:164
	s_mov_b32 s4, exec_lo
	s_waitcnt vmcnt(0)
	ds_write_b64 v4, v[5:6]
	s_waitcnt lgkmcnt(0)
	s_barrier
	buffer_gl0_inv
	v_cmpx_gt_u32_e32 20, v0
	s_cbranch_execz .LBB126_95
; %bb.92:
	v_add_nc_u32_e32 v5, -1, v0
	v_or_b32_e32 v6, 0x200, v3
	v_mov_b32_e32 v7, v3
	v_mov_b32_e32 v2, 0
	;; [unrolled: 1-line block ×3, first 2 shown]
	s_mov_b32 s5, 0
	.p2align	6
.LBB126_93:                             ; =>This Inner Loop Header: Depth=1
	s_clause 0x1
	buffer_load_dword v11, v7, s[0:3], 0 offen offset:4
	buffer_load_dword v12, v7, s[0:3], 0 offen
	ds_read_b64 v[9:10], v6
	v_add_nc_u32_e32 v5, 1, v5
	v_add_nc_u32_e32 v6, 8, v6
	v_add_nc_u32_e32 v7, 8, v7
	v_cmp_lt_u32_e32 vcc_lo, 18, v5
	s_or_b32 s5, vcc_lo, s5
	s_waitcnt vmcnt(1) lgkmcnt(0)
	v_mul_f32_e32 v139, v10, v11
	v_mul_f32_e32 v11, v9, v11
	s_waitcnt vmcnt(0)
	v_fma_f32 v9, v9, v12, -v139
	v_fmac_f32_e32 v11, v10, v12
	v_add_f32_e32 v8, v8, v9
	v_add_f32_e32 v2, v2, v11
	s_andn2_b32 exec_lo, exec_lo, s5
	s_cbranch_execnz .LBB126_93
; %bb.94:
	s_or_b32 exec_lo, exec_lo, s5
	v_mov_b32_e32 v5, 0
	ds_read_b64 v[5:6], v5 offset:160
	s_waitcnt lgkmcnt(0)
	v_mul_f32_e32 v7, v2, v6
	v_mul_f32_e32 v6, v8, v6
	v_fma_f32 v7, v8, v5, -v7
	v_fmac_f32_e32 v6, v2, v5
	buffer_store_dword v7, off, s[0:3], 0 offset:160
	buffer_store_dword v6, off, s[0:3], 0 offset:164
.LBB126_95:
	s_or_b32 exec_lo, exec_lo, s4
	s_waitcnt_vscnt null, 0x0
	s_barrier
	buffer_gl0_inv
	s_clause 0x1
	buffer_load_dword v5, off, s[0:3], 0 offset:168
	buffer_load_dword v6, off, s[0:3], 0 offset:172
	s_mov_b32 s4, exec_lo
	s_waitcnt vmcnt(0)
	ds_write_b64 v4, v[5:6]
	s_waitcnt lgkmcnt(0)
	s_barrier
	buffer_gl0_inv
	v_cmpx_gt_u32_e32 21, v0
	s_cbranch_execz .LBB126_99
; %bb.96:
	v_add_nc_u32_e32 v5, -1, v0
	v_or_b32_e32 v6, 0x200, v3
	v_mov_b32_e32 v7, v3
	v_mov_b32_e32 v2, 0
	;; [unrolled: 1-line block ×3, first 2 shown]
	s_mov_b32 s5, 0
	.p2align	6
.LBB126_97:                             ; =>This Inner Loop Header: Depth=1
	s_clause 0x1
	buffer_load_dword v11, v7, s[0:3], 0 offen offset:4
	buffer_load_dword v12, v7, s[0:3], 0 offen
	ds_read_b64 v[9:10], v6
	v_add_nc_u32_e32 v5, 1, v5
	v_add_nc_u32_e32 v6, 8, v6
	;; [unrolled: 1-line block ×3, first 2 shown]
	v_cmp_lt_u32_e32 vcc_lo, 19, v5
	s_or_b32 s5, vcc_lo, s5
	s_waitcnt vmcnt(1) lgkmcnt(0)
	v_mul_f32_e32 v139, v10, v11
	v_mul_f32_e32 v11, v9, v11
	s_waitcnt vmcnt(0)
	v_fma_f32 v9, v9, v12, -v139
	v_fmac_f32_e32 v11, v10, v12
	v_add_f32_e32 v8, v8, v9
	v_add_f32_e32 v2, v2, v11
	s_andn2_b32 exec_lo, exec_lo, s5
	s_cbranch_execnz .LBB126_97
; %bb.98:
	s_or_b32 exec_lo, exec_lo, s5
	v_mov_b32_e32 v5, 0
	ds_read_b64 v[5:6], v5 offset:168
	s_waitcnt lgkmcnt(0)
	v_mul_f32_e32 v7, v2, v6
	v_mul_f32_e32 v6, v8, v6
	v_fma_f32 v7, v8, v5, -v7
	v_fmac_f32_e32 v6, v2, v5
	buffer_store_dword v7, off, s[0:3], 0 offset:168
	buffer_store_dword v6, off, s[0:3], 0 offset:172
.LBB126_99:
	s_or_b32 exec_lo, exec_lo, s4
	s_waitcnt_vscnt null, 0x0
	s_barrier
	buffer_gl0_inv
	s_clause 0x1
	buffer_load_dword v5, off, s[0:3], 0 offset:176
	buffer_load_dword v6, off, s[0:3], 0 offset:180
	s_mov_b32 s4, exec_lo
	s_waitcnt vmcnt(0)
	ds_write_b64 v4, v[5:6]
	s_waitcnt lgkmcnt(0)
	s_barrier
	buffer_gl0_inv
	v_cmpx_gt_u32_e32 22, v0
	s_cbranch_execz .LBB126_103
; %bb.100:
	v_add_nc_u32_e32 v5, -1, v0
	v_or_b32_e32 v6, 0x200, v3
	v_mov_b32_e32 v7, v3
	v_mov_b32_e32 v2, 0
	;; [unrolled: 1-line block ×3, first 2 shown]
	s_mov_b32 s5, 0
	.p2align	6
.LBB126_101:                            ; =>This Inner Loop Header: Depth=1
	s_clause 0x1
	buffer_load_dword v11, v7, s[0:3], 0 offen offset:4
	buffer_load_dword v12, v7, s[0:3], 0 offen
	ds_read_b64 v[9:10], v6
	v_add_nc_u32_e32 v5, 1, v5
	v_add_nc_u32_e32 v6, 8, v6
	;; [unrolled: 1-line block ×3, first 2 shown]
	v_cmp_lt_u32_e32 vcc_lo, 20, v5
	s_or_b32 s5, vcc_lo, s5
	s_waitcnt vmcnt(1) lgkmcnt(0)
	v_mul_f32_e32 v139, v10, v11
	v_mul_f32_e32 v11, v9, v11
	s_waitcnt vmcnt(0)
	v_fma_f32 v9, v9, v12, -v139
	v_fmac_f32_e32 v11, v10, v12
	v_add_f32_e32 v8, v8, v9
	v_add_f32_e32 v2, v2, v11
	s_andn2_b32 exec_lo, exec_lo, s5
	s_cbranch_execnz .LBB126_101
; %bb.102:
	s_or_b32 exec_lo, exec_lo, s5
	v_mov_b32_e32 v5, 0
	ds_read_b64 v[5:6], v5 offset:176
	s_waitcnt lgkmcnt(0)
	v_mul_f32_e32 v7, v2, v6
	v_mul_f32_e32 v6, v8, v6
	v_fma_f32 v7, v8, v5, -v7
	v_fmac_f32_e32 v6, v2, v5
	buffer_store_dword v7, off, s[0:3], 0 offset:176
	buffer_store_dword v6, off, s[0:3], 0 offset:180
.LBB126_103:
	s_or_b32 exec_lo, exec_lo, s4
	s_waitcnt_vscnt null, 0x0
	s_barrier
	buffer_gl0_inv
	s_clause 0x1
	buffer_load_dword v5, off, s[0:3], 0 offset:184
	buffer_load_dword v6, off, s[0:3], 0 offset:188
	s_mov_b32 s4, exec_lo
	s_waitcnt vmcnt(0)
	ds_write_b64 v4, v[5:6]
	s_waitcnt lgkmcnt(0)
	s_barrier
	buffer_gl0_inv
	v_cmpx_gt_u32_e32 23, v0
	s_cbranch_execz .LBB126_107
; %bb.104:
	v_add_nc_u32_e32 v5, -1, v0
	v_or_b32_e32 v6, 0x200, v3
	v_mov_b32_e32 v7, v3
	v_mov_b32_e32 v2, 0
	;; [unrolled: 1-line block ×3, first 2 shown]
	s_mov_b32 s5, 0
	.p2align	6
.LBB126_105:                            ; =>This Inner Loop Header: Depth=1
	s_clause 0x1
	buffer_load_dword v11, v7, s[0:3], 0 offen offset:4
	buffer_load_dword v12, v7, s[0:3], 0 offen
	ds_read_b64 v[9:10], v6
	v_add_nc_u32_e32 v5, 1, v5
	v_add_nc_u32_e32 v6, 8, v6
	;; [unrolled: 1-line block ×3, first 2 shown]
	v_cmp_lt_u32_e32 vcc_lo, 21, v5
	s_or_b32 s5, vcc_lo, s5
	s_waitcnt vmcnt(1) lgkmcnt(0)
	v_mul_f32_e32 v139, v10, v11
	v_mul_f32_e32 v11, v9, v11
	s_waitcnt vmcnt(0)
	v_fma_f32 v9, v9, v12, -v139
	v_fmac_f32_e32 v11, v10, v12
	v_add_f32_e32 v8, v8, v9
	v_add_f32_e32 v2, v2, v11
	s_andn2_b32 exec_lo, exec_lo, s5
	s_cbranch_execnz .LBB126_105
; %bb.106:
	s_or_b32 exec_lo, exec_lo, s5
	v_mov_b32_e32 v5, 0
	ds_read_b64 v[5:6], v5 offset:184
	s_waitcnt lgkmcnt(0)
	v_mul_f32_e32 v7, v2, v6
	v_mul_f32_e32 v6, v8, v6
	v_fma_f32 v7, v8, v5, -v7
	v_fmac_f32_e32 v6, v2, v5
	buffer_store_dword v7, off, s[0:3], 0 offset:184
	buffer_store_dword v6, off, s[0:3], 0 offset:188
.LBB126_107:
	s_or_b32 exec_lo, exec_lo, s4
	s_waitcnt_vscnt null, 0x0
	s_barrier
	buffer_gl0_inv
	s_clause 0x1
	buffer_load_dword v5, off, s[0:3], 0 offset:192
	buffer_load_dword v6, off, s[0:3], 0 offset:196
	s_mov_b32 s4, exec_lo
	s_waitcnt vmcnt(0)
	ds_write_b64 v4, v[5:6]
	s_waitcnt lgkmcnt(0)
	s_barrier
	buffer_gl0_inv
	v_cmpx_gt_u32_e32 24, v0
	s_cbranch_execz .LBB126_111
; %bb.108:
	v_add_nc_u32_e32 v5, -1, v0
	v_or_b32_e32 v6, 0x200, v3
	v_mov_b32_e32 v7, v3
	v_mov_b32_e32 v2, 0
	;; [unrolled: 1-line block ×3, first 2 shown]
	s_mov_b32 s5, 0
	.p2align	6
.LBB126_109:                            ; =>This Inner Loop Header: Depth=1
	s_clause 0x1
	buffer_load_dword v11, v7, s[0:3], 0 offen offset:4
	buffer_load_dword v12, v7, s[0:3], 0 offen
	ds_read_b64 v[9:10], v6
	v_add_nc_u32_e32 v5, 1, v5
	v_add_nc_u32_e32 v6, 8, v6
	;; [unrolled: 1-line block ×3, first 2 shown]
	v_cmp_lt_u32_e32 vcc_lo, 22, v5
	s_or_b32 s5, vcc_lo, s5
	s_waitcnt vmcnt(1) lgkmcnt(0)
	v_mul_f32_e32 v139, v10, v11
	v_mul_f32_e32 v11, v9, v11
	s_waitcnt vmcnt(0)
	v_fma_f32 v9, v9, v12, -v139
	v_fmac_f32_e32 v11, v10, v12
	v_add_f32_e32 v8, v8, v9
	v_add_f32_e32 v2, v2, v11
	s_andn2_b32 exec_lo, exec_lo, s5
	s_cbranch_execnz .LBB126_109
; %bb.110:
	s_or_b32 exec_lo, exec_lo, s5
	v_mov_b32_e32 v5, 0
	ds_read_b64 v[5:6], v5 offset:192
	s_waitcnt lgkmcnt(0)
	v_mul_f32_e32 v7, v2, v6
	v_mul_f32_e32 v6, v8, v6
	v_fma_f32 v7, v8, v5, -v7
	v_fmac_f32_e32 v6, v2, v5
	buffer_store_dword v7, off, s[0:3], 0 offset:192
	buffer_store_dword v6, off, s[0:3], 0 offset:196
.LBB126_111:
	s_or_b32 exec_lo, exec_lo, s4
	s_waitcnt_vscnt null, 0x0
	s_barrier
	buffer_gl0_inv
	s_clause 0x1
	buffer_load_dword v5, off, s[0:3], 0 offset:200
	buffer_load_dword v6, off, s[0:3], 0 offset:204
	s_mov_b32 s4, exec_lo
	s_waitcnt vmcnt(0)
	ds_write_b64 v4, v[5:6]
	s_waitcnt lgkmcnt(0)
	s_barrier
	buffer_gl0_inv
	v_cmpx_gt_u32_e32 25, v0
	s_cbranch_execz .LBB126_115
; %bb.112:
	v_add_nc_u32_e32 v5, -1, v0
	v_or_b32_e32 v6, 0x200, v3
	v_mov_b32_e32 v7, v3
	v_mov_b32_e32 v2, 0
	v_mov_b32_e32 v8, 0
	s_mov_b32 s5, 0
	.p2align	6
.LBB126_113:                            ; =>This Inner Loop Header: Depth=1
	s_clause 0x1
	buffer_load_dword v11, v7, s[0:3], 0 offen offset:4
	buffer_load_dword v12, v7, s[0:3], 0 offen
	ds_read_b64 v[9:10], v6
	v_add_nc_u32_e32 v5, 1, v5
	v_add_nc_u32_e32 v6, 8, v6
	;; [unrolled: 1-line block ×3, first 2 shown]
	v_cmp_lt_u32_e32 vcc_lo, 23, v5
	s_or_b32 s5, vcc_lo, s5
	s_waitcnt vmcnt(1) lgkmcnt(0)
	v_mul_f32_e32 v139, v10, v11
	v_mul_f32_e32 v11, v9, v11
	s_waitcnt vmcnt(0)
	v_fma_f32 v9, v9, v12, -v139
	v_fmac_f32_e32 v11, v10, v12
	v_add_f32_e32 v8, v8, v9
	v_add_f32_e32 v2, v2, v11
	s_andn2_b32 exec_lo, exec_lo, s5
	s_cbranch_execnz .LBB126_113
; %bb.114:
	s_or_b32 exec_lo, exec_lo, s5
	v_mov_b32_e32 v5, 0
	ds_read_b64 v[5:6], v5 offset:200
	s_waitcnt lgkmcnt(0)
	v_mul_f32_e32 v7, v2, v6
	v_mul_f32_e32 v6, v8, v6
	v_fma_f32 v7, v8, v5, -v7
	v_fmac_f32_e32 v6, v2, v5
	buffer_store_dword v7, off, s[0:3], 0 offset:200
	buffer_store_dword v6, off, s[0:3], 0 offset:204
.LBB126_115:
	s_or_b32 exec_lo, exec_lo, s4
	s_waitcnt_vscnt null, 0x0
	s_barrier
	buffer_gl0_inv
	s_clause 0x1
	buffer_load_dword v5, off, s[0:3], 0 offset:208
	buffer_load_dword v6, off, s[0:3], 0 offset:212
	s_mov_b32 s4, exec_lo
	s_waitcnt vmcnt(0)
	ds_write_b64 v4, v[5:6]
	s_waitcnt lgkmcnt(0)
	s_barrier
	buffer_gl0_inv
	v_cmpx_gt_u32_e32 26, v0
	s_cbranch_execz .LBB126_119
; %bb.116:
	v_add_nc_u32_e32 v5, -1, v0
	v_or_b32_e32 v6, 0x200, v3
	v_mov_b32_e32 v7, v3
	v_mov_b32_e32 v2, 0
	;; [unrolled: 1-line block ×3, first 2 shown]
	s_mov_b32 s5, 0
	.p2align	6
.LBB126_117:                            ; =>This Inner Loop Header: Depth=1
	s_clause 0x1
	buffer_load_dword v11, v7, s[0:3], 0 offen offset:4
	buffer_load_dword v12, v7, s[0:3], 0 offen
	ds_read_b64 v[9:10], v6
	v_add_nc_u32_e32 v5, 1, v5
	v_add_nc_u32_e32 v6, 8, v6
	;; [unrolled: 1-line block ×3, first 2 shown]
	v_cmp_lt_u32_e32 vcc_lo, 24, v5
	s_or_b32 s5, vcc_lo, s5
	s_waitcnt vmcnt(1) lgkmcnt(0)
	v_mul_f32_e32 v139, v10, v11
	v_mul_f32_e32 v11, v9, v11
	s_waitcnt vmcnt(0)
	v_fma_f32 v9, v9, v12, -v139
	v_fmac_f32_e32 v11, v10, v12
	v_add_f32_e32 v8, v8, v9
	v_add_f32_e32 v2, v2, v11
	s_andn2_b32 exec_lo, exec_lo, s5
	s_cbranch_execnz .LBB126_117
; %bb.118:
	s_or_b32 exec_lo, exec_lo, s5
	v_mov_b32_e32 v5, 0
	ds_read_b64 v[5:6], v5 offset:208
	s_waitcnt lgkmcnt(0)
	v_mul_f32_e32 v7, v2, v6
	v_mul_f32_e32 v6, v8, v6
	v_fma_f32 v7, v8, v5, -v7
	v_fmac_f32_e32 v6, v2, v5
	buffer_store_dword v7, off, s[0:3], 0 offset:208
	buffer_store_dword v6, off, s[0:3], 0 offset:212
.LBB126_119:
	s_or_b32 exec_lo, exec_lo, s4
	s_waitcnt_vscnt null, 0x0
	s_barrier
	buffer_gl0_inv
	s_clause 0x1
	buffer_load_dword v5, off, s[0:3], 0 offset:216
	buffer_load_dword v6, off, s[0:3], 0 offset:220
	s_mov_b32 s4, exec_lo
	s_waitcnt vmcnt(0)
	ds_write_b64 v4, v[5:6]
	s_waitcnt lgkmcnt(0)
	s_barrier
	buffer_gl0_inv
	v_cmpx_gt_u32_e32 27, v0
	s_cbranch_execz .LBB126_123
; %bb.120:
	v_add_nc_u32_e32 v5, -1, v0
	v_or_b32_e32 v6, 0x200, v3
	v_mov_b32_e32 v7, v3
	v_mov_b32_e32 v2, 0
	;; [unrolled: 1-line block ×3, first 2 shown]
	s_mov_b32 s5, 0
	.p2align	6
.LBB126_121:                            ; =>This Inner Loop Header: Depth=1
	s_clause 0x1
	buffer_load_dword v11, v7, s[0:3], 0 offen offset:4
	buffer_load_dword v12, v7, s[0:3], 0 offen
	ds_read_b64 v[9:10], v6
	v_add_nc_u32_e32 v5, 1, v5
	v_add_nc_u32_e32 v6, 8, v6
	v_add_nc_u32_e32 v7, 8, v7
	v_cmp_lt_u32_e32 vcc_lo, 25, v5
	s_or_b32 s5, vcc_lo, s5
	s_waitcnt vmcnt(1) lgkmcnt(0)
	v_mul_f32_e32 v139, v10, v11
	v_mul_f32_e32 v11, v9, v11
	s_waitcnt vmcnt(0)
	v_fma_f32 v9, v9, v12, -v139
	v_fmac_f32_e32 v11, v10, v12
	v_add_f32_e32 v8, v8, v9
	v_add_f32_e32 v2, v2, v11
	s_andn2_b32 exec_lo, exec_lo, s5
	s_cbranch_execnz .LBB126_121
; %bb.122:
	s_or_b32 exec_lo, exec_lo, s5
	v_mov_b32_e32 v5, 0
	ds_read_b64 v[5:6], v5 offset:216
	s_waitcnt lgkmcnt(0)
	v_mul_f32_e32 v7, v2, v6
	v_mul_f32_e32 v6, v8, v6
	v_fma_f32 v7, v8, v5, -v7
	v_fmac_f32_e32 v6, v2, v5
	buffer_store_dword v7, off, s[0:3], 0 offset:216
	buffer_store_dword v6, off, s[0:3], 0 offset:220
.LBB126_123:
	s_or_b32 exec_lo, exec_lo, s4
	s_waitcnt_vscnt null, 0x0
	s_barrier
	buffer_gl0_inv
	s_clause 0x1
	buffer_load_dword v5, off, s[0:3], 0 offset:224
	buffer_load_dword v6, off, s[0:3], 0 offset:228
	s_mov_b32 s4, exec_lo
	s_waitcnt vmcnt(0)
	ds_write_b64 v4, v[5:6]
	s_waitcnt lgkmcnt(0)
	s_barrier
	buffer_gl0_inv
	v_cmpx_gt_u32_e32 28, v0
	s_cbranch_execz .LBB126_127
; %bb.124:
	v_add_nc_u32_e32 v5, -1, v0
	v_or_b32_e32 v6, 0x200, v3
	v_mov_b32_e32 v7, v3
	v_mov_b32_e32 v2, 0
	;; [unrolled: 1-line block ×3, first 2 shown]
	s_mov_b32 s5, 0
	.p2align	6
.LBB126_125:                            ; =>This Inner Loop Header: Depth=1
	s_clause 0x1
	buffer_load_dword v11, v7, s[0:3], 0 offen offset:4
	buffer_load_dword v12, v7, s[0:3], 0 offen
	ds_read_b64 v[9:10], v6
	v_add_nc_u32_e32 v5, 1, v5
	v_add_nc_u32_e32 v6, 8, v6
	;; [unrolled: 1-line block ×3, first 2 shown]
	v_cmp_lt_u32_e32 vcc_lo, 26, v5
	s_or_b32 s5, vcc_lo, s5
	s_waitcnt vmcnt(1) lgkmcnt(0)
	v_mul_f32_e32 v139, v10, v11
	v_mul_f32_e32 v11, v9, v11
	s_waitcnt vmcnt(0)
	v_fma_f32 v9, v9, v12, -v139
	v_fmac_f32_e32 v11, v10, v12
	v_add_f32_e32 v8, v8, v9
	v_add_f32_e32 v2, v2, v11
	s_andn2_b32 exec_lo, exec_lo, s5
	s_cbranch_execnz .LBB126_125
; %bb.126:
	s_or_b32 exec_lo, exec_lo, s5
	v_mov_b32_e32 v5, 0
	ds_read_b64 v[5:6], v5 offset:224
	s_waitcnt lgkmcnt(0)
	v_mul_f32_e32 v7, v2, v6
	v_mul_f32_e32 v6, v8, v6
	v_fma_f32 v7, v8, v5, -v7
	v_fmac_f32_e32 v6, v2, v5
	buffer_store_dword v7, off, s[0:3], 0 offset:224
	buffer_store_dword v6, off, s[0:3], 0 offset:228
.LBB126_127:
	s_or_b32 exec_lo, exec_lo, s4
	s_waitcnt_vscnt null, 0x0
	s_barrier
	buffer_gl0_inv
	s_clause 0x1
	buffer_load_dword v5, off, s[0:3], 0 offset:232
	buffer_load_dword v6, off, s[0:3], 0 offset:236
	s_mov_b32 s4, exec_lo
	s_waitcnt vmcnt(0)
	ds_write_b64 v4, v[5:6]
	s_waitcnt lgkmcnt(0)
	s_barrier
	buffer_gl0_inv
	v_cmpx_gt_u32_e32 29, v0
	s_cbranch_execz .LBB126_131
; %bb.128:
	v_add_nc_u32_e32 v5, -1, v0
	v_or_b32_e32 v6, 0x200, v3
	v_mov_b32_e32 v7, v3
	v_mov_b32_e32 v2, 0
	;; [unrolled: 1-line block ×3, first 2 shown]
	s_mov_b32 s5, 0
	.p2align	6
.LBB126_129:                            ; =>This Inner Loop Header: Depth=1
	s_clause 0x1
	buffer_load_dword v11, v7, s[0:3], 0 offen offset:4
	buffer_load_dword v12, v7, s[0:3], 0 offen
	ds_read_b64 v[9:10], v6
	v_add_nc_u32_e32 v5, 1, v5
	v_add_nc_u32_e32 v6, 8, v6
	;; [unrolled: 1-line block ×3, first 2 shown]
	v_cmp_lt_u32_e32 vcc_lo, 27, v5
	s_or_b32 s5, vcc_lo, s5
	s_waitcnt vmcnt(1) lgkmcnt(0)
	v_mul_f32_e32 v139, v10, v11
	v_mul_f32_e32 v11, v9, v11
	s_waitcnt vmcnt(0)
	v_fma_f32 v9, v9, v12, -v139
	v_fmac_f32_e32 v11, v10, v12
	v_add_f32_e32 v8, v8, v9
	v_add_f32_e32 v2, v2, v11
	s_andn2_b32 exec_lo, exec_lo, s5
	s_cbranch_execnz .LBB126_129
; %bb.130:
	s_or_b32 exec_lo, exec_lo, s5
	v_mov_b32_e32 v5, 0
	ds_read_b64 v[5:6], v5 offset:232
	s_waitcnt lgkmcnt(0)
	v_mul_f32_e32 v7, v2, v6
	v_mul_f32_e32 v6, v8, v6
	v_fma_f32 v7, v8, v5, -v7
	v_fmac_f32_e32 v6, v2, v5
	buffer_store_dword v7, off, s[0:3], 0 offset:232
	buffer_store_dword v6, off, s[0:3], 0 offset:236
.LBB126_131:
	s_or_b32 exec_lo, exec_lo, s4
	s_waitcnt_vscnt null, 0x0
	s_barrier
	buffer_gl0_inv
	s_clause 0x1
	buffer_load_dword v5, off, s[0:3], 0 offset:240
	buffer_load_dword v6, off, s[0:3], 0 offset:244
	s_mov_b32 s4, exec_lo
	s_waitcnt vmcnt(0)
	ds_write_b64 v4, v[5:6]
	s_waitcnt lgkmcnt(0)
	s_barrier
	buffer_gl0_inv
	v_cmpx_gt_u32_e32 30, v0
	s_cbranch_execz .LBB126_135
; %bb.132:
	v_add_nc_u32_e32 v5, -1, v0
	v_or_b32_e32 v6, 0x200, v3
	v_mov_b32_e32 v7, v3
	v_mov_b32_e32 v2, 0
	;; [unrolled: 1-line block ×3, first 2 shown]
	s_mov_b32 s5, 0
	.p2align	6
.LBB126_133:                            ; =>This Inner Loop Header: Depth=1
	s_clause 0x1
	buffer_load_dword v11, v7, s[0:3], 0 offen offset:4
	buffer_load_dword v12, v7, s[0:3], 0 offen
	ds_read_b64 v[9:10], v6
	v_add_nc_u32_e32 v5, 1, v5
	v_add_nc_u32_e32 v6, 8, v6
	;; [unrolled: 1-line block ×3, first 2 shown]
	v_cmp_lt_u32_e32 vcc_lo, 28, v5
	s_or_b32 s5, vcc_lo, s5
	s_waitcnt vmcnt(1) lgkmcnt(0)
	v_mul_f32_e32 v139, v10, v11
	v_mul_f32_e32 v11, v9, v11
	s_waitcnt vmcnt(0)
	v_fma_f32 v9, v9, v12, -v139
	v_fmac_f32_e32 v11, v10, v12
	v_add_f32_e32 v8, v8, v9
	v_add_f32_e32 v2, v2, v11
	s_andn2_b32 exec_lo, exec_lo, s5
	s_cbranch_execnz .LBB126_133
; %bb.134:
	s_or_b32 exec_lo, exec_lo, s5
	v_mov_b32_e32 v5, 0
	ds_read_b64 v[5:6], v5 offset:240
	s_waitcnt lgkmcnt(0)
	v_mul_f32_e32 v7, v2, v6
	v_mul_f32_e32 v6, v8, v6
	v_fma_f32 v7, v8, v5, -v7
	v_fmac_f32_e32 v6, v2, v5
	buffer_store_dword v7, off, s[0:3], 0 offset:240
	buffer_store_dword v6, off, s[0:3], 0 offset:244
.LBB126_135:
	s_or_b32 exec_lo, exec_lo, s4
	s_waitcnt_vscnt null, 0x0
	s_barrier
	buffer_gl0_inv
	s_clause 0x1
	buffer_load_dword v5, off, s[0:3], 0 offset:248
	buffer_load_dword v6, off, s[0:3], 0 offset:252
	s_mov_b32 s4, exec_lo
	s_waitcnt vmcnt(0)
	ds_write_b64 v4, v[5:6]
	s_waitcnt lgkmcnt(0)
	s_barrier
	buffer_gl0_inv
	v_cmpx_gt_u32_e32 31, v0
	s_cbranch_execz .LBB126_139
; %bb.136:
	v_add_nc_u32_e32 v5, -1, v0
	v_or_b32_e32 v6, 0x200, v3
	v_mov_b32_e32 v7, v3
	v_mov_b32_e32 v2, 0
	;; [unrolled: 1-line block ×3, first 2 shown]
	s_mov_b32 s5, 0
	.p2align	6
.LBB126_137:                            ; =>This Inner Loop Header: Depth=1
	s_clause 0x1
	buffer_load_dword v11, v7, s[0:3], 0 offen offset:4
	buffer_load_dword v12, v7, s[0:3], 0 offen
	ds_read_b64 v[9:10], v6
	v_add_nc_u32_e32 v5, 1, v5
	v_add_nc_u32_e32 v6, 8, v6
	;; [unrolled: 1-line block ×3, first 2 shown]
	v_cmp_lt_u32_e32 vcc_lo, 29, v5
	s_or_b32 s5, vcc_lo, s5
	s_waitcnt vmcnt(1) lgkmcnt(0)
	v_mul_f32_e32 v139, v10, v11
	v_mul_f32_e32 v11, v9, v11
	s_waitcnt vmcnt(0)
	v_fma_f32 v9, v9, v12, -v139
	v_fmac_f32_e32 v11, v10, v12
	v_add_f32_e32 v8, v8, v9
	v_add_f32_e32 v2, v2, v11
	s_andn2_b32 exec_lo, exec_lo, s5
	s_cbranch_execnz .LBB126_137
; %bb.138:
	s_or_b32 exec_lo, exec_lo, s5
	v_mov_b32_e32 v5, 0
	ds_read_b64 v[5:6], v5 offset:248
	s_waitcnt lgkmcnt(0)
	v_mul_f32_e32 v7, v2, v6
	v_mul_f32_e32 v6, v8, v6
	v_fma_f32 v7, v8, v5, -v7
	v_fmac_f32_e32 v6, v2, v5
	buffer_store_dword v7, off, s[0:3], 0 offset:248
	buffer_store_dword v6, off, s[0:3], 0 offset:252
.LBB126_139:
	s_or_b32 exec_lo, exec_lo, s4
	s_waitcnt_vscnt null, 0x0
	s_barrier
	buffer_gl0_inv
	s_clause 0x1
	buffer_load_dword v5, off, s[0:3], 0 offset:256
	buffer_load_dword v6, off, s[0:3], 0 offset:260
	s_mov_b32 s4, exec_lo
	s_waitcnt vmcnt(0)
	ds_write_b64 v4, v[5:6]
	s_waitcnt lgkmcnt(0)
	s_barrier
	buffer_gl0_inv
	v_cmpx_gt_u32_e32 32, v0
	s_cbranch_execz .LBB126_143
; %bb.140:
	v_add_nc_u32_e32 v5, -1, v0
	v_or_b32_e32 v6, 0x200, v3
	v_mov_b32_e32 v7, v3
	v_mov_b32_e32 v2, 0
	;; [unrolled: 1-line block ×3, first 2 shown]
	s_mov_b32 s5, 0
	.p2align	6
.LBB126_141:                            ; =>This Inner Loop Header: Depth=1
	s_clause 0x1
	buffer_load_dword v11, v7, s[0:3], 0 offen offset:4
	buffer_load_dword v12, v7, s[0:3], 0 offen
	ds_read_b64 v[9:10], v6
	v_add_nc_u32_e32 v5, 1, v5
	v_add_nc_u32_e32 v6, 8, v6
	;; [unrolled: 1-line block ×3, first 2 shown]
	v_cmp_lt_u32_e32 vcc_lo, 30, v5
	s_or_b32 s5, vcc_lo, s5
	s_waitcnt vmcnt(1) lgkmcnt(0)
	v_mul_f32_e32 v139, v10, v11
	v_mul_f32_e32 v11, v9, v11
	s_waitcnt vmcnt(0)
	v_fma_f32 v9, v9, v12, -v139
	v_fmac_f32_e32 v11, v10, v12
	v_add_f32_e32 v8, v8, v9
	v_add_f32_e32 v2, v2, v11
	s_andn2_b32 exec_lo, exec_lo, s5
	s_cbranch_execnz .LBB126_141
; %bb.142:
	s_or_b32 exec_lo, exec_lo, s5
	v_mov_b32_e32 v5, 0
	ds_read_b64 v[5:6], v5 offset:256
	s_waitcnt lgkmcnt(0)
	v_mul_f32_e32 v7, v2, v6
	v_mul_f32_e32 v6, v8, v6
	v_fma_f32 v7, v8, v5, -v7
	v_fmac_f32_e32 v6, v2, v5
	buffer_store_dword v7, off, s[0:3], 0 offset:256
	buffer_store_dword v6, off, s[0:3], 0 offset:260
.LBB126_143:
	s_or_b32 exec_lo, exec_lo, s4
	s_waitcnt_vscnt null, 0x0
	s_barrier
	buffer_gl0_inv
	s_clause 0x1
	buffer_load_dword v5, off, s[0:3], 0 offset:264
	buffer_load_dword v6, off, s[0:3], 0 offset:268
	s_mov_b32 s4, exec_lo
	s_waitcnt vmcnt(0)
	ds_write_b64 v4, v[5:6]
	s_waitcnt lgkmcnt(0)
	s_barrier
	buffer_gl0_inv
	v_cmpx_gt_u32_e32 33, v0
	s_cbranch_execz .LBB126_147
; %bb.144:
	v_add_nc_u32_e32 v5, -1, v0
	v_or_b32_e32 v6, 0x200, v3
	v_mov_b32_e32 v7, v3
	v_mov_b32_e32 v2, 0
	;; [unrolled: 1-line block ×3, first 2 shown]
	s_mov_b32 s5, 0
	.p2align	6
.LBB126_145:                            ; =>This Inner Loop Header: Depth=1
	s_clause 0x1
	buffer_load_dword v11, v7, s[0:3], 0 offen offset:4
	buffer_load_dword v12, v7, s[0:3], 0 offen
	ds_read_b64 v[9:10], v6
	v_add_nc_u32_e32 v5, 1, v5
	v_add_nc_u32_e32 v6, 8, v6
	v_add_nc_u32_e32 v7, 8, v7
	v_cmp_lt_u32_e32 vcc_lo, 31, v5
	s_or_b32 s5, vcc_lo, s5
	s_waitcnt vmcnt(1) lgkmcnt(0)
	v_mul_f32_e32 v139, v10, v11
	v_mul_f32_e32 v11, v9, v11
	s_waitcnt vmcnt(0)
	v_fma_f32 v9, v9, v12, -v139
	v_fmac_f32_e32 v11, v10, v12
	v_add_f32_e32 v8, v8, v9
	v_add_f32_e32 v2, v2, v11
	s_andn2_b32 exec_lo, exec_lo, s5
	s_cbranch_execnz .LBB126_145
; %bb.146:
	s_or_b32 exec_lo, exec_lo, s5
	v_mov_b32_e32 v5, 0
	ds_read_b64 v[5:6], v5 offset:264
	s_waitcnt lgkmcnt(0)
	v_mul_f32_e32 v7, v2, v6
	v_mul_f32_e32 v6, v8, v6
	v_fma_f32 v7, v8, v5, -v7
	v_fmac_f32_e32 v6, v2, v5
	buffer_store_dword v7, off, s[0:3], 0 offset:264
	buffer_store_dword v6, off, s[0:3], 0 offset:268
.LBB126_147:
	s_or_b32 exec_lo, exec_lo, s4
	s_waitcnt_vscnt null, 0x0
	s_barrier
	buffer_gl0_inv
	s_clause 0x1
	buffer_load_dword v5, off, s[0:3], 0 offset:272
	buffer_load_dword v6, off, s[0:3], 0 offset:276
	s_mov_b32 s4, exec_lo
	s_waitcnt vmcnt(0)
	ds_write_b64 v4, v[5:6]
	s_waitcnt lgkmcnt(0)
	s_barrier
	buffer_gl0_inv
	v_cmpx_gt_u32_e32 34, v0
	s_cbranch_execz .LBB126_151
; %bb.148:
	v_add_nc_u32_e32 v5, -1, v0
	v_or_b32_e32 v6, 0x200, v3
	v_mov_b32_e32 v7, v3
	v_mov_b32_e32 v2, 0
	;; [unrolled: 1-line block ×3, first 2 shown]
	s_mov_b32 s5, 0
	.p2align	6
.LBB126_149:                            ; =>This Inner Loop Header: Depth=1
	s_clause 0x1
	buffer_load_dword v11, v7, s[0:3], 0 offen offset:4
	buffer_load_dword v12, v7, s[0:3], 0 offen
	ds_read_b64 v[9:10], v6
	v_add_nc_u32_e32 v5, 1, v5
	v_add_nc_u32_e32 v6, 8, v6
	;; [unrolled: 1-line block ×3, first 2 shown]
	v_cmp_lt_u32_e32 vcc_lo, 32, v5
	s_or_b32 s5, vcc_lo, s5
	s_waitcnt vmcnt(1) lgkmcnt(0)
	v_mul_f32_e32 v139, v10, v11
	v_mul_f32_e32 v11, v9, v11
	s_waitcnt vmcnt(0)
	v_fma_f32 v9, v9, v12, -v139
	v_fmac_f32_e32 v11, v10, v12
	v_add_f32_e32 v8, v8, v9
	v_add_f32_e32 v2, v2, v11
	s_andn2_b32 exec_lo, exec_lo, s5
	s_cbranch_execnz .LBB126_149
; %bb.150:
	s_or_b32 exec_lo, exec_lo, s5
	v_mov_b32_e32 v5, 0
	ds_read_b64 v[5:6], v5 offset:272
	s_waitcnt lgkmcnt(0)
	v_mul_f32_e32 v7, v2, v6
	v_mul_f32_e32 v6, v8, v6
	v_fma_f32 v7, v8, v5, -v7
	v_fmac_f32_e32 v6, v2, v5
	buffer_store_dword v7, off, s[0:3], 0 offset:272
	buffer_store_dword v6, off, s[0:3], 0 offset:276
.LBB126_151:
	s_or_b32 exec_lo, exec_lo, s4
	s_waitcnt_vscnt null, 0x0
	s_barrier
	buffer_gl0_inv
	s_clause 0x1
	buffer_load_dword v5, off, s[0:3], 0 offset:280
	buffer_load_dword v6, off, s[0:3], 0 offset:284
	s_mov_b32 s4, exec_lo
	s_waitcnt vmcnt(0)
	ds_write_b64 v4, v[5:6]
	s_waitcnt lgkmcnt(0)
	s_barrier
	buffer_gl0_inv
	v_cmpx_gt_u32_e32 35, v0
	s_cbranch_execz .LBB126_155
; %bb.152:
	v_add_nc_u32_e32 v5, -1, v0
	v_or_b32_e32 v6, 0x200, v3
	v_mov_b32_e32 v7, v3
	v_mov_b32_e32 v2, 0
	;; [unrolled: 1-line block ×3, first 2 shown]
	s_mov_b32 s5, 0
	.p2align	6
.LBB126_153:                            ; =>This Inner Loop Header: Depth=1
	s_clause 0x1
	buffer_load_dword v11, v7, s[0:3], 0 offen offset:4
	buffer_load_dword v12, v7, s[0:3], 0 offen
	ds_read_b64 v[9:10], v6
	v_add_nc_u32_e32 v5, 1, v5
	v_add_nc_u32_e32 v6, 8, v6
	;; [unrolled: 1-line block ×3, first 2 shown]
	v_cmp_lt_u32_e32 vcc_lo, 33, v5
	s_or_b32 s5, vcc_lo, s5
	s_waitcnt vmcnt(1) lgkmcnt(0)
	v_mul_f32_e32 v139, v10, v11
	v_mul_f32_e32 v11, v9, v11
	s_waitcnt vmcnt(0)
	v_fma_f32 v9, v9, v12, -v139
	v_fmac_f32_e32 v11, v10, v12
	v_add_f32_e32 v8, v8, v9
	v_add_f32_e32 v2, v2, v11
	s_andn2_b32 exec_lo, exec_lo, s5
	s_cbranch_execnz .LBB126_153
; %bb.154:
	s_or_b32 exec_lo, exec_lo, s5
	v_mov_b32_e32 v5, 0
	ds_read_b64 v[5:6], v5 offset:280
	s_waitcnt lgkmcnt(0)
	v_mul_f32_e32 v7, v2, v6
	v_mul_f32_e32 v6, v8, v6
	v_fma_f32 v7, v8, v5, -v7
	v_fmac_f32_e32 v6, v2, v5
	buffer_store_dword v7, off, s[0:3], 0 offset:280
	buffer_store_dword v6, off, s[0:3], 0 offset:284
.LBB126_155:
	s_or_b32 exec_lo, exec_lo, s4
	s_waitcnt_vscnt null, 0x0
	s_barrier
	buffer_gl0_inv
	s_clause 0x1
	buffer_load_dword v5, off, s[0:3], 0 offset:288
	buffer_load_dword v6, off, s[0:3], 0 offset:292
	s_mov_b32 s4, exec_lo
	s_waitcnt vmcnt(0)
	ds_write_b64 v4, v[5:6]
	s_waitcnt lgkmcnt(0)
	s_barrier
	buffer_gl0_inv
	v_cmpx_gt_u32_e32 36, v0
	s_cbranch_execz .LBB126_159
; %bb.156:
	v_add_nc_u32_e32 v5, -1, v0
	v_or_b32_e32 v6, 0x200, v3
	v_mov_b32_e32 v7, v3
	v_mov_b32_e32 v2, 0
	;; [unrolled: 1-line block ×3, first 2 shown]
	s_mov_b32 s5, 0
	.p2align	6
.LBB126_157:                            ; =>This Inner Loop Header: Depth=1
	s_clause 0x1
	buffer_load_dword v11, v7, s[0:3], 0 offen offset:4
	buffer_load_dword v12, v7, s[0:3], 0 offen
	ds_read_b64 v[9:10], v6
	v_add_nc_u32_e32 v5, 1, v5
	v_add_nc_u32_e32 v6, 8, v6
	;; [unrolled: 1-line block ×3, first 2 shown]
	v_cmp_lt_u32_e32 vcc_lo, 34, v5
	s_or_b32 s5, vcc_lo, s5
	s_waitcnt vmcnt(1) lgkmcnt(0)
	v_mul_f32_e32 v139, v10, v11
	v_mul_f32_e32 v11, v9, v11
	s_waitcnt vmcnt(0)
	v_fma_f32 v9, v9, v12, -v139
	v_fmac_f32_e32 v11, v10, v12
	v_add_f32_e32 v8, v8, v9
	v_add_f32_e32 v2, v2, v11
	s_andn2_b32 exec_lo, exec_lo, s5
	s_cbranch_execnz .LBB126_157
; %bb.158:
	s_or_b32 exec_lo, exec_lo, s5
	v_mov_b32_e32 v5, 0
	ds_read_b64 v[5:6], v5 offset:288
	s_waitcnt lgkmcnt(0)
	v_mul_f32_e32 v7, v2, v6
	v_mul_f32_e32 v6, v8, v6
	v_fma_f32 v7, v8, v5, -v7
	v_fmac_f32_e32 v6, v2, v5
	buffer_store_dword v7, off, s[0:3], 0 offset:288
	buffer_store_dword v6, off, s[0:3], 0 offset:292
.LBB126_159:
	s_or_b32 exec_lo, exec_lo, s4
	s_waitcnt_vscnt null, 0x0
	s_barrier
	buffer_gl0_inv
	s_clause 0x1
	buffer_load_dword v5, off, s[0:3], 0 offset:296
	buffer_load_dword v6, off, s[0:3], 0 offset:300
	s_mov_b32 s4, exec_lo
	s_waitcnt vmcnt(0)
	ds_write_b64 v4, v[5:6]
	s_waitcnt lgkmcnt(0)
	s_barrier
	buffer_gl0_inv
	v_cmpx_gt_u32_e32 37, v0
	s_cbranch_execz .LBB126_163
; %bb.160:
	v_add_nc_u32_e32 v5, -1, v0
	v_or_b32_e32 v6, 0x200, v3
	v_mov_b32_e32 v7, v3
	v_mov_b32_e32 v2, 0
	;; [unrolled: 1-line block ×3, first 2 shown]
	s_mov_b32 s5, 0
	.p2align	6
.LBB126_161:                            ; =>This Inner Loop Header: Depth=1
	s_clause 0x1
	buffer_load_dword v11, v7, s[0:3], 0 offen offset:4
	buffer_load_dword v12, v7, s[0:3], 0 offen
	ds_read_b64 v[9:10], v6
	v_add_nc_u32_e32 v5, 1, v5
	v_add_nc_u32_e32 v6, 8, v6
	;; [unrolled: 1-line block ×3, first 2 shown]
	v_cmp_lt_u32_e32 vcc_lo, 35, v5
	s_or_b32 s5, vcc_lo, s5
	s_waitcnt vmcnt(1) lgkmcnt(0)
	v_mul_f32_e32 v139, v10, v11
	v_mul_f32_e32 v11, v9, v11
	s_waitcnt vmcnt(0)
	v_fma_f32 v9, v9, v12, -v139
	v_fmac_f32_e32 v11, v10, v12
	v_add_f32_e32 v8, v8, v9
	v_add_f32_e32 v2, v2, v11
	s_andn2_b32 exec_lo, exec_lo, s5
	s_cbranch_execnz .LBB126_161
; %bb.162:
	s_or_b32 exec_lo, exec_lo, s5
	v_mov_b32_e32 v5, 0
	ds_read_b64 v[5:6], v5 offset:296
	s_waitcnt lgkmcnt(0)
	v_mul_f32_e32 v7, v2, v6
	v_mul_f32_e32 v6, v8, v6
	v_fma_f32 v7, v8, v5, -v7
	v_fmac_f32_e32 v6, v2, v5
	buffer_store_dword v7, off, s[0:3], 0 offset:296
	buffer_store_dword v6, off, s[0:3], 0 offset:300
.LBB126_163:
	s_or_b32 exec_lo, exec_lo, s4
	s_waitcnt_vscnt null, 0x0
	s_barrier
	buffer_gl0_inv
	s_clause 0x1
	buffer_load_dword v5, off, s[0:3], 0 offset:304
	buffer_load_dword v6, off, s[0:3], 0 offset:308
	s_mov_b32 s4, exec_lo
	s_waitcnt vmcnt(0)
	ds_write_b64 v4, v[5:6]
	s_waitcnt lgkmcnt(0)
	s_barrier
	buffer_gl0_inv
	v_cmpx_gt_u32_e32 38, v0
	s_cbranch_execz .LBB126_167
; %bb.164:
	v_add_nc_u32_e32 v5, -1, v0
	v_or_b32_e32 v6, 0x200, v3
	v_mov_b32_e32 v7, v3
	v_mov_b32_e32 v2, 0
	;; [unrolled: 1-line block ×3, first 2 shown]
	s_mov_b32 s5, 0
	.p2align	6
.LBB126_165:                            ; =>This Inner Loop Header: Depth=1
	s_clause 0x1
	buffer_load_dword v11, v7, s[0:3], 0 offen offset:4
	buffer_load_dword v12, v7, s[0:3], 0 offen
	ds_read_b64 v[9:10], v6
	v_add_nc_u32_e32 v5, 1, v5
	v_add_nc_u32_e32 v6, 8, v6
	;; [unrolled: 1-line block ×3, first 2 shown]
	v_cmp_lt_u32_e32 vcc_lo, 36, v5
	s_or_b32 s5, vcc_lo, s5
	s_waitcnt vmcnt(1) lgkmcnt(0)
	v_mul_f32_e32 v139, v10, v11
	v_mul_f32_e32 v11, v9, v11
	s_waitcnt vmcnt(0)
	v_fma_f32 v9, v9, v12, -v139
	v_fmac_f32_e32 v11, v10, v12
	v_add_f32_e32 v8, v8, v9
	v_add_f32_e32 v2, v2, v11
	s_andn2_b32 exec_lo, exec_lo, s5
	s_cbranch_execnz .LBB126_165
; %bb.166:
	s_or_b32 exec_lo, exec_lo, s5
	v_mov_b32_e32 v5, 0
	ds_read_b64 v[5:6], v5 offset:304
	s_waitcnt lgkmcnt(0)
	v_mul_f32_e32 v7, v2, v6
	v_mul_f32_e32 v6, v8, v6
	v_fma_f32 v7, v8, v5, -v7
	v_fmac_f32_e32 v6, v2, v5
	buffer_store_dword v7, off, s[0:3], 0 offset:304
	buffer_store_dword v6, off, s[0:3], 0 offset:308
.LBB126_167:
	s_or_b32 exec_lo, exec_lo, s4
	s_waitcnt_vscnt null, 0x0
	s_barrier
	buffer_gl0_inv
	s_clause 0x1
	buffer_load_dword v5, off, s[0:3], 0 offset:312
	buffer_load_dword v6, off, s[0:3], 0 offset:316
	s_mov_b32 s4, exec_lo
	s_waitcnt vmcnt(0)
	ds_write_b64 v4, v[5:6]
	s_waitcnt lgkmcnt(0)
	s_barrier
	buffer_gl0_inv
	v_cmpx_gt_u32_e32 39, v0
	s_cbranch_execz .LBB126_171
; %bb.168:
	v_add_nc_u32_e32 v5, -1, v0
	v_or_b32_e32 v6, 0x200, v3
	v_mov_b32_e32 v7, v3
	v_mov_b32_e32 v2, 0
	;; [unrolled: 1-line block ×3, first 2 shown]
	s_mov_b32 s5, 0
	.p2align	6
.LBB126_169:                            ; =>This Inner Loop Header: Depth=1
	s_clause 0x1
	buffer_load_dword v11, v7, s[0:3], 0 offen offset:4
	buffer_load_dword v12, v7, s[0:3], 0 offen
	ds_read_b64 v[9:10], v6
	v_add_nc_u32_e32 v5, 1, v5
	v_add_nc_u32_e32 v6, 8, v6
	;; [unrolled: 1-line block ×3, first 2 shown]
	v_cmp_lt_u32_e32 vcc_lo, 37, v5
	s_or_b32 s5, vcc_lo, s5
	s_waitcnt vmcnt(1) lgkmcnt(0)
	v_mul_f32_e32 v139, v10, v11
	v_mul_f32_e32 v11, v9, v11
	s_waitcnt vmcnt(0)
	v_fma_f32 v9, v9, v12, -v139
	v_fmac_f32_e32 v11, v10, v12
	v_add_f32_e32 v8, v8, v9
	v_add_f32_e32 v2, v2, v11
	s_andn2_b32 exec_lo, exec_lo, s5
	s_cbranch_execnz .LBB126_169
; %bb.170:
	s_or_b32 exec_lo, exec_lo, s5
	v_mov_b32_e32 v5, 0
	ds_read_b64 v[5:6], v5 offset:312
	s_waitcnt lgkmcnt(0)
	v_mul_f32_e32 v7, v2, v6
	v_mul_f32_e32 v6, v8, v6
	v_fma_f32 v7, v8, v5, -v7
	v_fmac_f32_e32 v6, v2, v5
	buffer_store_dword v7, off, s[0:3], 0 offset:312
	buffer_store_dword v6, off, s[0:3], 0 offset:316
.LBB126_171:
	s_or_b32 exec_lo, exec_lo, s4
	s_waitcnt_vscnt null, 0x0
	s_barrier
	buffer_gl0_inv
	s_clause 0x1
	buffer_load_dword v5, off, s[0:3], 0 offset:320
	buffer_load_dword v6, off, s[0:3], 0 offset:324
	s_mov_b32 s4, exec_lo
	s_waitcnt vmcnt(0)
	ds_write_b64 v4, v[5:6]
	s_waitcnt lgkmcnt(0)
	s_barrier
	buffer_gl0_inv
	v_cmpx_gt_u32_e32 40, v0
	s_cbranch_execz .LBB126_175
; %bb.172:
	v_add_nc_u32_e32 v5, -1, v0
	v_or_b32_e32 v6, 0x200, v3
	v_mov_b32_e32 v7, v3
	v_mov_b32_e32 v2, 0
	;; [unrolled: 1-line block ×3, first 2 shown]
	s_mov_b32 s5, 0
	.p2align	6
.LBB126_173:                            ; =>This Inner Loop Header: Depth=1
	s_clause 0x1
	buffer_load_dword v11, v7, s[0:3], 0 offen offset:4
	buffer_load_dword v12, v7, s[0:3], 0 offen
	ds_read_b64 v[9:10], v6
	v_add_nc_u32_e32 v5, 1, v5
	v_add_nc_u32_e32 v6, 8, v6
	;; [unrolled: 1-line block ×3, first 2 shown]
	v_cmp_lt_u32_e32 vcc_lo, 38, v5
	s_or_b32 s5, vcc_lo, s5
	s_waitcnt vmcnt(1) lgkmcnt(0)
	v_mul_f32_e32 v139, v10, v11
	v_mul_f32_e32 v11, v9, v11
	s_waitcnt vmcnt(0)
	v_fma_f32 v9, v9, v12, -v139
	v_fmac_f32_e32 v11, v10, v12
	v_add_f32_e32 v8, v8, v9
	v_add_f32_e32 v2, v2, v11
	s_andn2_b32 exec_lo, exec_lo, s5
	s_cbranch_execnz .LBB126_173
; %bb.174:
	s_or_b32 exec_lo, exec_lo, s5
	v_mov_b32_e32 v5, 0
	ds_read_b64 v[5:6], v5 offset:320
	s_waitcnt lgkmcnt(0)
	v_mul_f32_e32 v7, v2, v6
	v_mul_f32_e32 v6, v8, v6
	v_fma_f32 v7, v8, v5, -v7
	v_fmac_f32_e32 v6, v2, v5
	buffer_store_dword v7, off, s[0:3], 0 offset:320
	buffer_store_dword v6, off, s[0:3], 0 offset:324
.LBB126_175:
	s_or_b32 exec_lo, exec_lo, s4
	s_waitcnt_vscnt null, 0x0
	s_barrier
	buffer_gl0_inv
	s_clause 0x1
	buffer_load_dword v5, off, s[0:3], 0 offset:328
	buffer_load_dword v6, off, s[0:3], 0 offset:332
	s_mov_b32 s4, exec_lo
	s_waitcnt vmcnt(0)
	ds_write_b64 v4, v[5:6]
	s_waitcnt lgkmcnt(0)
	s_barrier
	buffer_gl0_inv
	v_cmpx_gt_u32_e32 41, v0
	s_cbranch_execz .LBB126_179
; %bb.176:
	v_add_nc_u32_e32 v5, -1, v0
	v_or_b32_e32 v6, 0x200, v3
	v_mov_b32_e32 v7, v3
	v_mov_b32_e32 v2, 0
	;; [unrolled: 1-line block ×3, first 2 shown]
	s_mov_b32 s5, 0
	.p2align	6
.LBB126_177:                            ; =>This Inner Loop Header: Depth=1
	s_clause 0x1
	buffer_load_dword v11, v7, s[0:3], 0 offen offset:4
	buffer_load_dword v12, v7, s[0:3], 0 offen
	ds_read_b64 v[9:10], v6
	v_add_nc_u32_e32 v5, 1, v5
	v_add_nc_u32_e32 v6, 8, v6
	;; [unrolled: 1-line block ×3, first 2 shown]
	v_cmp_lt_u32_e32 vcc_lo, 39, v5
	s_or_b32 s5, vcc_lo, s5
	s_waitcnt vmcnt(1) lgkmcnt(0)
	v_mul_f32_e32 v139, v10, v11
	v_mul_f32_e32 v11, v9, v11
	s_waitcnt vmcnt(0)
	v_fma_f32 v9, v9, v12, -v139
	v_fmac_f32_e32 v11, v10, v12
	v_add_f32_e32 v8, v8, v9
	v_add_f32_e32 v2, v2, v11
	s_andn2_b32 exec_lo, exec_lo, s5
	s_cbranch_execnz .LBB126_177
; %bb.178:
	s_or_b32 exec_lo, exec_lo, s5
	v_mov_b32_e32 v5, 0
	ds_read_b64 v[5:6], v5 offset:328
	s_waitcnt lgkmcnt(0)
	v_mul_f32_e32 v7, v2, v6
	v_mul_f32_e32 v6, v8, v6
	v_fma_f32 v7, v8, v5, -v7
	v_fmac_f32_e32 v6, v2, v5
	buffer_store_dword v7, off, s[0:3], 0 offset:328
	buffer_store_dword v6, off, s[0:3], 0 offset:332
.LBB126_179:
	s_or_b32 exec_lo, exec_lo, s4
	s_waitcnt_vscnt null, 0x0
	s_barrier
	buffer_gl0_inv
	s_clause 0x1
	buffer_load_dword v5, off, s[0:3], 0 offset:336
	buffer_load_dword v6, off, s[0:3], 0 offset:340
	s_mov_b32 s4, exec_lo
	s_waitcnt vmcnt(0)
	ds_write_b64 v4, v[5:6]
	s_waitcnt lgkmcnt(0)
	s_barrier
	buffer_gl0_inv
	v_cmpx_gt_u32_e32 42, v0
	s_cbranch_execz .LBB126_183
; %bb.180:
	v_add_nc_u32_e32 v5, -1, v0
	v_or_b32_e32 v6, 0x200, v3
	v_mov_b32_e32 v7, v3
	v_mov_b32_e32 v2, 0
	;; [unrolled: 1-line block ×3, first 2 shown]
	s_mov_b32 s5, 0
	.p2align	6
.LBB126_181:                            ; =>This Inner Loop Header: Depth=1
	s_clause 0x1
	buffer_load_dword v11, v7, s[0:3], 0 offen offset:4
	buffer_load_dword v12, v7, s[0:3], 0 offen
	ds_read_b64 v[9:10], v6
	v_add_nc_u32_e32 v5, 1, v5
	v_add_nc_u32_e32 v6, 8, v6
	;; [unrolled: 1-line block ×3, first 2 shown]
	v_cmp_lt_u32_e32 vcc_lo, 40, v5
	s_or_b32 s5, vcc_lo, s5
	s_waitcnt vmcnt(1) lgkmcnt(0)
	v_mul_f32_e32 v139, v10, v11
	v_mul_f32_e32 v11, v9, v11
	s_waitcnt vmcnt(0)
	v_fma_f32 v9, v9, v12, -v139
	v_fmac_f32_e32 v11, v10, v12
	v_add_f32_e32 v8, v8, v9
	v_add_f32_e32 v2, v2, v11
	s_andn2_b32 exec_lo, exec_lo, s5
	s_cbranch_execnz .LBB126_181
; %bb.182:
	s_or_b32 exec_lo, exec_lo, s5
	v_mov_b32_e32 v5, 0
	ds_read_b64 v[5:6], v5 offset:336
	s_waitcnt lgkmcnt(0)
	v_mul_f32_e32 v7, v2, v6
	v_mul_f32_e32 v6, v8, v6
	v_fma_f32 v7, v8, v5, -v7
	v_fmac_f32_e32 v6, v2, v5
	buffer_store_dword v7, off, s[0:3], 0 offset:336
	buffer_store_dword v6, off, s[0:3], 0 offset:340
.LBB126_183:
	s_or_b32 exec_lo, exec_lo, s4
	s_waitcnt_vscnt null, 0x0
	s_barrier
	buffer_gl0_inv
	s_clause 0x1
	buffer_load_dword v5, off, s[0:3], 0 offset:344
	buffer_load_dword v6, off, s[0:3], 0 offset:348
	s_mov_b32 s4, exec_lo
	s_waitcnt vmcnt(0)
	ds_write_b64 v4, v[5:6]
	s_waitcnt lgkmcnt(0)
	s_barrier
	buffer_gl0_inv
	v_cmpx_gt_u32_e32 43, v0
	s_cbranch_execz .LBB126_187
; %bb.184:
	v_add_nc_u32_e32 v5, -1, v0
	v_or_b32_e32 v6, 0x200, v3
	v_mov_b32_e32 v7, v3
	v_mov_b32_e32 v2, 0
	;; [unrolled: 1-line block ×3, first 2 shown]
	s_mov_b32 s5, 0
	.p2align	6
.LBB126_185:                            ; =>This Inner Loop Header: Depth=1
	s_clause 0x1
	buffer_load_dword v11, v7, s[0:3], 0 offen offset:4
	buffer_load_dword v12, v7, s[0:3], 0 offen
	ds_read_b64 v[9:10], v6
	v_add_nc_u32_e32 v5, 1, v5
	v_add_nc_u32_e32 v6, 8, v6
	;; [unrolled: 1-line block ×3, first 2 shown]
	v_cmp_lt_u32_e32 vcc_lo, 41, v5
	s_or_b32 s5, vcc_lo, s5
	s_waitcnt vmcnt(1) lgkmcnt(0)
	v_mul_f32_e32 v139, v10, v11
	v_mul_f32_e32 v11, v9, v11
	s_waitcnt vmcnt(0)
	v_fma_f32 v9, v9, v12, -v139
	v_fmac_f32_e32 v11, v10, v12
	v_add_f32_e32 v8, v8, v9
	v_add_f32_e32 v2, v2, v11
	s_andn2_b32 exec_lo, exec_lo, s5
	s_cbranch_execnz .LBB126_185
; %bb.186:
	s_or_b32 exec_lo, exec_lo, s5
	v_mov_b32_e32 v5, 0
	ds_read_b64 v[5:6], v5 offset:344
	s_waitcnt lgkmcnt(0)
	v_mul_f32_e32 v7, v2, v6
	v_mul_f32_e32 v6, v8, v6
	v_fma_f32 v7, v8, v5, -v7
	v_fmac_f32_e32 v6, v2, v5
	buffer_store_dword v7, off, s[0:3], 0 offset:344
	buffer_store_dword v6, off, s[0:3], 0 offset:348
.LBB126_187:
	s_or_b32 exec_lo, exec_lo, s4
	s_waitcnt_vscnt null, 0x0
	s_barrier
	buffer_gl0_inv
	s_clause 0x1
	buffer_load_dword v5, off, s[0:3], 0 offset:352
	buffer_load_dword v6, off, s[0:3], 0 offset:356
	s_mov_b32 s4, exec_lo
	s_waitcnt vmcnt(0)
	ds_write_b64 v4, v[5:6]
	s_waitcnt lgkmcnt(0)
	s_barrier
	buffer_gl0_inv
	v_cmpx_gt_u32_e32 44, v0
	s_cbranch_execz .LBB126_191
; %bb.188:
	v_add_nc_u32_e32 v5, -1, v0
	v_or_b32_e32 v6, 0x200, v3
	v_mov_b32_e32 v7, v3
	v_mov_b32_e32 v2, 0
	v_mov_b32_e32 v8, 0
	s_mov_b32 s5, 0
	.p2align	6
.LBB126_189:                            ; =>This Inner Loop Header: Depth=1
	s_clause 0x1
	buffer_load_dword v11, v7, s[0:3], 0 offen offset:4
	buffer_load_dword v12, v7, s[0:3], 0 offen
	ds_read_b64 v[9:10], v6
	v_add_nc_u32_e32 v5, 1, v5
	v_add_nc_u32_e32 v6, 8, v6
	;; [unrolled: 1-line block ×3, first 2 shown]
	v_cmp_lt_u32_e32 vcc_lo, 42, v5
	s_or_b32 s5, vcc_lo, s5
	s_waitcnt vmcnt(1) lgkmcnt(0)
	v_mul_f32_e32 v139, v10, v11
	v_mul_f32_e32 v11, v9, v11
	s_waitcnt vmcnt(0)
	v_fma_f32 v9, v9, v12, -v139
	v_fmac_f32_e32 v11, v10, v12
	v_add_f32_e32 v8, v8, v9
	v_add_f32_e32 v2, v2, v11
	s_andn2_b32 exec_lo, exec_lo, s5
	s_cbranch_execnz .LBB126_189
; %bb.190:
	s_or_b32 exec_lo, exec_lo, s5
	v_mov_b32_e32 v5, 0
	ds_read_b64 v[5:6], v5 offset:352
	s_waitcnt lgkmcnt(0)
	v_mul_f32_e32 v7, v2, v6
	v_mul_f32_e32 v6, v8, v6
	v_fma_f32 v7, v8, v5, -v7
	v_fmac_f32_e32 v6, v2, v5
	buffer_store_dword v7, off, s[0:3], 0 offset:352
	buffer_store_dword v6, off, s[0:3], 0 offset:356
.LBB126_191:
	s_or_b32 exec_lo, exec_lo, s4
	s_waitcnt_vscnt null, 0x0
	s_barrier
	buffer_gl0_inv
	s_clause 0x1
	buffer_load_dword v5, off, s[0:3], 0 offset:360
	buffer_load_dword v6, off, s[0:3], 0 offset:364
	s_mov_b32 s4, exec_lo
	s_waitcnt vmcnt(0)
	ds_write_b64 v4, v[5:6]
	s_waitcnt lgkmcnt(0)
	s_barrier
	buffer_gl0_inv
	v_cmpx_gt_u32_e32 45, v0
	s_cbranch_execz .LBB126_195
; %bb.192:
	v_add_nc_u32_e32 v5, -1, v0
	v_or_b32_e32 v6, 0x200, v3
	v_mov_b32_e32 v7, v3
	v_mov_b32_e32 v2, 0
	;; [unrolled: 1-line block ×3, first 2 shown]
	s_mov_b32 s5, 0
	.p2align	6
.LBB126_193:                            ; =>This Inner Loop Header: Depth=1
	s_clause 0x1
	buffer_load_dword v11, v7, s[0:3], 0 offen offset:4
	buffer_load_dword v12, v7, s[0:3], 0 offen
	ds_read_b64 v[9:10], v6
	v_add_nc_u32_e32 v5, 1, v5
	v_add_nc_u32_e32 v6, 8, v6
	v_add_nc_u32_e32 v7, 8, v7
	v_cmp_lt_u32_e32 vcc_lo, 43, v5
	s_or_b32 s5, vcc_lo, s5
	s_waitcnt vmcnt(1) lgkmcnt(0)
	v_mul_f32_e32 v139, v10, v11
	v_mul_f32_e32 v11, v9, v11
	s_waitcnt vmcnt(0)
	v_fma_f32 v9, v9, v12, -v139
	v_fmac_f32_e32 v11, v10, v12
	v_add_f32_e32 v8, v8, v9
	v_add_f32_e32 v2, v2, v11
	s_andn2_b32 exec_lo, exec_lo, s5
	s_cbranch_execnz .LBB126_193
; %bb.194:
	s_or_b32 exec_lo, exec_lo, s5
	v_mov_b32_e32 v5, 0
	ds_read_b64 v[5:6], v5 offset:360
	s_waitcnt lgkmcnt(0)
	v_mul_f32_e32 v7, v2, v6
	v_mul_f32_e32 v6, v8, v6
	v_fma_f32 v7, v8, v5, -v7
	v_fmac_f32_e32 v6, v2, v5
	buffer_store_dword v7, off, s[0:3], 0 offset:360
	buffer_store_dword v6, off, s[0:3], 0 offset:364
.LBB126_195:
	s_or_b32 exec_lo, exec_lo, s4
	s_waitcnt_vscnt null, 0x0
	s_barrier
	buffer_gl0_inv
	s_clause 0x1
	buffer_load_dword v5, off, s[0:3], 0 offset:368
	buffer_load_dword v6, off, s[0:3], 0 offset:372
	s_mov_b32 s4, exec_lo
	s_waitcnt vmcnt(0)
	ds_write_b64 v4, v[5:6]
	s_waitcnt lgkmcnt(0)
	s_barrier
	buffer_gl0_inv
	v_cmpx_gt_u32_e32 46, v0
	s_cbranch_execz .LBB126_199
; %bb.196:
	v_add_nc_u32_e32 v5, -1, v0
	v_or_b32_e32 v6, 0x200, v3
	v_mov_b32_e32 v7, v3
	v_mov_b32_e32 v2, 0
	;; [unrolled: 1-line block ×3, first 2 shown]
	s_mov_b32 s5, 0
	.p2align	6
.LBB126_197:                            ; =>This Inner Loop Header: Depth=1
	s_clause 0x1
	buffer_load_dword v11, v7, s[0:3], 0 offen offset:4
	buffer_load_dword v12, v7, s[0:3], 0 offen
	ds_read_b64 v[9:10], v6
	v_add_nc_u32_e32 v5, 1, v5
	v_add_nc_u32_e32 v6, 8, v6
	;; [unrolled: 1-line block ×3, first 2 shown]
	v_cmp_lt_u32_e32 vcc_lo, 44, v5
	s_or_b32 s5, vcc_lo, s5
	s_waitcnt vmcnt(1) lgkmcnt(0)
	v_mul_f32_e32 v139, v10, v11
	v_mul_f32_e32 v11, v9, v11
	s_waitcnt vmcnt(0)
	v_fma_f32 v9, v9, v12, -v139
	v_fmac_f32_e32 v11, v10, v12
	v_add_f32_e32 v8, v8, v9
	v_add_f32_e32 v2, v2, v11
	s_andn2_b32 exec_lo, exec_lo, s5
	s_cbranch_execnz .LBB126_197
; %bb.198:
	s_or_b32 exec_lo, exec_lo, s5
	v_mov_b32_e32 v5, 0
	ds_read_b64 v[5:6], v5 offset:368
	s_waitcnt lgkmcnt(0)
	v_mul_f32_e32 v7, v2, v6
	v_mul_f32_e32 v6, v8, v6
	v_fma_f32 v7, v8, v5, -v7
	v_fmac_f32_e32 v6, v2, v5
	buffer_store_dword v7, off, s[0:3], 0 offset:368
	buffer_store_dword v6, off, s[0:3], 0 offset:372
.LBB126_199:
	s_or_b32 exec_lo, exec_lo, s4
	s_waitcnt_vscnt null, 0x0
	s_barrier
	buffer_gl0_inv
	s_clause 0x1
	buffer_load_dword v5, off, s[0:3], 0 offset:376
	buffer_load_dword v6, off, s[0:3], 0 offset:380
	s_mov_b32 s4, exec_lo
	s_waitcnt vmcnt(0)
	ds_write_b64 v4, v[5:6]
	s_waitcnt lgkmcnt(0)
	s_barrier
	buffer_gl0_inv
	v_cmpx_gt_u32_e32 47, v0
	s_cbranch_execz .LBB126_203
; %bb.200:
	v_add_nc_u32_e32 v5, -1, v0
	v_or_b32_e32 v6, 0x200, v3
	v_mov_b32_e32 v7, v3
	v_mov_b32_e32 v2, 0
	;; [unrolled: 1-line block ×3, first 2 shown]
	s_mov_b32 s5, 0
	.p2align	6
.LBB126_201:                            ; =>This Inner Loop Header: Depth=1
	s_clause 0x1
	buffer_load_dword v11, v7, s[0:3], 0 offen offset:4
	buffer_load_dword v12, v7, s[0:3], 0 offen
	ds_read_b64 v[9:10], v6
	v_add_nc_u32_e32 v5, 1, v5
	v_add_nc_u32_e32 v6, 8, v6
	;; [unrolled: 1-line block ×3, first 2 shown]
	v_cmp_lt_u32_e32 vcc_lo, 45, v5
	s_or_b32 s5, vcc_lo, s5
	s_waitcnt vmcnt(1) lgkmcnt(0)
	v_mul_f32_e32 v139, v10, v11
	v_mul_f32_e32 v11, v9, v11
	s_waitcnt vmcnt(0)
	v_fma_f32 v9, v9, v12, -v139
	v_fmac_f32_e32 v11, v10, v12
	v_add_f32_e32 v8, v8, v9
	v_add_f32_e32 v2, v2, v11
	s_andn2_b32 exec_lo, exec_lo, s5
	s_cbranch_execnz .LBB126_201
; %bb.202:
	s_or_b32 exec_lo, exec_lo, s5
	v_mov_b32_e32 v5, 0
	ds_read_b64 v[5:6], v5 offset:376
	s_waitcnt lgkmcnt(0)
	v_mul_f32_e32 v7, v2, v6
	v_mul_f32_e32 v6, v8, v6
	v_fma_f32 v7, v8, v5, -v7
	v_fmac_f32_e32 v6, v2, v5
	buffer_store_dword v7, off, s[0:3], 0 offset:376
	buffer_store_dword v6, off, s[0:3], 0 offset:380
.LBB126_203:
	s_or_b32 exec_lo, exec_lo, s4
	s_waitcnt_vscnt null, 0x0
	s_barrier
	buffer_gl0_inv
	s_clause 0x1
	buffer_load_dword v5, off, s[0:3], 0 offset:384
	buffer_load_dword v6, off, s[0:3], 0 offset:388
	s_mov_b32 s4, exec_lo
	s_waitcnt vmcnt(0)
	ds_write_b64 v4, v[5:6]
	s_waitcnt lgkmcnt(0)
	s_barrier
	buffer_gl0_inv
	v_cmpx_gt_u32_e32 48, v0
	s_cbranch_execz .LBB126_207
; %bb.204:
	v_add_nc_u32_e32 v5, -1, v0
	v_or_b32_e32 v6, 0x200, v3
	v_mov_b32_e32 v7, v3
	v_mov_b32_e32 v2, 0
	;; [unrolled: 1-line block ×3, first 2 shown]
	s_mov_b32 s5, 0
	.p2align	6
.LBB126_205:                            ; =>This Inner Loop Header: Depth=1
	s_clause 0x1
	buffer_load_dword v11, v7, s[0:3], 0 offen offset:4
	buffer_load_dword v12, v7, s[0:3], 0 offen
	ds_read_b64 v[9:10], v6
	v_add_nc_u32_e32 v5, 1, v5
	v_add_nc_u32_e32 v6, 8, v6
	;; [unrolled: 1-line block ×3, first 2 shown]
	v_cmp_lt_u32_e32 vcc_lo, 46, v5
	s_or_b32 s5, vcc_lo, s5
	s_waitcnt vmcnt(1) lgkmcnt(0)
	v_mul_f32_e32 v139, v10, v11
	v_mul_f32_e32 v11, v9, v11
	s_waitcnt vmcnt(0)
	v_fma_f32 v9, v9, v12, -v139
	v_fmac_f32_e32 v11, v10, v12
	v_add_f32_e32 v8, v8, v9
	v_add_f32_e32 v2, v2, v11
	s_andn2_b32 exec_lo, exec_lo, s5
	s_cbranch_execnz .LBB126_205
; %bb.206:
	s_or_b32 exec_lo, exec_lo, s5
	v_mov_b32_e32 v5, 0
	ds_read_b64 v[5:6], v5 offset:384
	s_waitcnt lgkmcnt(0)
	v_mul_f32_e32 v7, v2, v6
	v_mul_f32_e32 v6, v8, v6
	v_fma_f32 v7, v8, v5, -v7
	v_fmac_f32_e32 v6, v2, v5
	buffer_store_dword v7, off, s[0:3], 0 offset:384
	buffer_store_dword v6, off, s[0:3], 0 offset:388
.LBB126_207:
	s_or_b32 exec_lo, exec_lo, s4
	s_waitcnt_vscnt null, 0x0
	s_barrier
	buffer_gl0_inv
	s_clause 0x1
	buffer_load_dword v5, off, s[0:3], 0 offset:392
	buffer_load_dword v6, off, s[0:3], 0 offset:396
	s_mov_b32 s4, exec_lo
	s_waitcnt vmcnt(0)
	ds_write_b64 v4, v[5:6]
	s_waitcnt lgkmcnt(0)
	s_barrier
	buffer_gl0_inv
	v_cmpx_gt_u32_e32 49, v0
	s_cbranch_execz .LBB126_211
; %bb.208:
	v_add_nc_u32_e32 v5, -1, v0
	v_or_b32_e32 v6, 0x200, v3
	v_mov_b32_e32 v7, v3
	v_mov_b32_e32 v2, 0
	;; [unrolled: 1-line block ×3, first 2 shown]
	s_mov_b32 s5, 0
	.p2align	6
.LBB126_209:                            ; =>This Inner Loop Header: Depth=1
	s_clause 0x1
	buffer_load_dword v11, v7, s[0:3], 0 offen offset:4
	buffer_load_dword v12, v7, s[0:3], 0 offen
	ds_read_b64 v[9:10], v6
	v_add_nc_u32_e32 v5, 1, v5
	v_add_nc_u32_e32 v6, 8, v6
	;; [unrolled: 1-line block ×3, first 2 shown]
	v_cmp_lt_u32_e32 vcc_lo, 47, v5
	s_or_b32 s5, vcc_lo, s5
	s_waitcnt vmcnt(1) lgkmcnt(0)
	v_mul_f32_e32 v139, v10, v11
	v_mul_f32_e32 v11, v9, v11
	s_waitcnt vmcnt(0)
	v_fma_f32 v9, v9, v12, -v139
	v_fmac_f32_e32 v11, v10, v12
	v_add_f32_e32 v8, v8, v9
	v_add_f32_e32 v2, v2, v11
	s_andn2_b32 exec_lo, exec_lo, s5
	s_cbranch_execnz .LBB126_209
; %bb.210:
	s_or_b32 exec_lo, exec_lo, s5
	v_mov_b32_e32 v5, 0
	ds_read_b64 v[5:6], v5 offset:392
	s_waitcnt lgkmcnt(0)
	v_mul_f32_e32 v7, v2, v6
	v_mul_f32_e32 v6, v8, v6
	v_fma_f32 v7, v8, v5, -v7
	v_fmac_f32_e32 v6, v2, v5
	buffer_store_dword v7, off, s[0:3], 0 offset:392
	buffer_store_dword v6, off, s[0:3], 0 offset:396
.LBB126_211:
	s_or_b32 exec_lo, exec_lo, s4
	s_waitcnt_vscnt null, 0x0
	s_barrier
	buffer_gl0_inv
	s_clause 0x1
	buffer_load_dword v5, off, s[0:3], 0 offset:400
	buffer_load_dword v6, off, s[0:3], 0 offset:404
	s_mov_b32 s4, exec_lo
	s_waitcnt vmcnt(0)
	ds_write_b64 v4, v[5:6]
	s_waitcnt lgkmcnt(0)
	s_barrier
	buffer_gl0_inv
	v_cmpx_gt_u32_e32 50, v0
	s_cbranch_execz .LBB126_215
; %bb.212:
	v_add_nc_u32_e32 v5, -1, v0
	v_or_b32_e32 v6, 0x200, v3
	v_mov_b32_e32 v7, v3
	v_mov_b32_e32 v2, 0
	;; [unrolled: 1-line block ×3, first 2 shown]
	s_mov_b32 s5, 0
	.p2align	6
.LBB126_213:                            ; =>This Inner Loop Header: Depth=1
	s_clause 0x1
	buffer_load_dword v11, v7, s[0:3], 0 offen offset:4
	buffer_load_dword v12, v7, s[0:3], 0 offen
	ds_read_b64 v[9:10], v6
	v_add_nc_u32_e32 v5, 1, v5
	v_add_nc_u32_e32 v6, 8, v6
	;; [unrolled: 1-line block ×3, first 2 shown]
	v_cmp_lt_u32_e32 vcc_lo, 48, v5
	s_or_b32 s5, vcc_lo, s5
	s_waitcnt vmcnt(1) lgkmcnt(0)
	v_mul_f32_e32 v139, v10, v11
	v_mul_f32_e32 v11, v9, v11
	s_waitcnt vmcnt(0)
	v_fma_f32 v9, v9, v12, -v139
	v_fmac_f32_e32 v11, v10, v12
	v_add_f32_e32 v8, v8, v9
	v_add_f32_e32 v2, v2, v11
	s_andn2_b32 exec_lo, exec_lo, s5
	s_cbranch_execnz .LBB126_213
; %bb.214:
	s_or_b32 exec_lo, exec_lo, s5
	v_mov_b32_e32 v5, 0
	ds_read_b64 v[5:6], v5 offset:400
	s_waitcnt lgkmcnt(0)
	v_mul_f32_e32 v7, v2, v6
	v_mul_f32_e32 v6, v8, v6
	v_fma_f32 v7, v8, v5, -v7
	v_fmac_f32_e32 v6, v2, v5
	buffer_store_dword v7, off, s[0:3], 0 offset:400
	buffer_store_dword v6, off, s[0:3], 0 offset:404
.LBB126_215:
	s_or_b32 exec_lo, exec_lo, s4
	s_waitcnt_vscnt null, 0x0
	s_barrier
	buffer_gl0_inv
	s_clause 0x1
	buffer_load_dword v5, off, s[0:3], 0 offset:408
	buffer_load_dword v6, off, s[0:3], 0 offset:412
	s_mov_b32 s4, exec_lo
	s_waitcnt vmcnt(0)
	ds_write_b64 v4, v[5:6]
	s_waitcnt lgkmcnt(0)
	s_barrier
	buffer_gl0_inv
	v_cmpx_gt_u32_e32 51, v0
	s_cbranch_execz .LBB126_219
; %bb.216:
	v_add_nc_u32_e32 v5, -1, v0
	v_or_b32_e32 v6, 0x200, v3
	v_mov_b32_e32 v7, v3
	v_mov_b32_e32 v2, 0
	;; [unrolled: 1-line block ×3, first 2 shown]
	s_mov_b32 s5, 0
	.p2align	6
.LBB126_217:                            ; =>This Inner Loop Header: Depth=1
	s_clause 0x1
	buffer_load_dword v11, v7, s[0:3], 0 offen offset:4
	buffer_load_dword v12, v7, s[0:3], 0 offen
	ds_read_b64 v[9:10], v6
	v_add_nc_u32_e32 v5, 1, v5
	v_add_nc_u32_e32 v6, 8, v6
	;; [unrolled: 1-line block ×3, first 2 shown]
	v_cmp_lt_u32_e32 vcc_lo, 49, v5
	s_or_b32 s5, vcc_lo, s5
	s_waitcnt vmcnt(1) lgkmcnt(0)
	v_mul_f32_e32 v139, v10, v11
	v_mul_f32_e32 v11, v9, v11
	s_waitcnt vmcnt(0)
	v_fma_f32 v9, v9, v12, -v139
	v_fmac_f32_e32 v11, v10, v12
	v_add_f32_e32 v8, v8, v9
	v_add_f32_e32 v2, v2, v11
	s_andn2_b32 exec_lo, exec_lo, s5
	s_cbranch_execnz .LBB126_217
; %bb.218:
	s_or_b32 exec_lo, exec_lo, s5
	v_mov_b32_e32 v5, 0
	ds_read_b64 v[5:6], v5 offset:408
	s_waitcnt lgkmcnt(0)
	v_mul_f32_e32 v7, v2, v6
	v_mul_f32_e32 v6, v8, v6
	v_fma_f32 v7, v8, v5, -v7
	v_fmac_f32_e32 v6, v2, v5
	buffer_store_dword v7, off, s[0:3], 0 offset:408
	buffer_store_dword v6, off, s[0:3], 0 offset:412
.LBB126_219:
	s_or_b32 exec_lo, exec_lo, s4
	s_waitcnt_vscnt null, 0x0
	s_barrier
	buffer_gl0_inv
	s_clause 0x1
	buffer_load_dword v5, off, s[0:3], 0 offset:416
	buffer_load_dword v6, off, s[0:3], 0 offset:420
	s_mov_b32 s4, exec_lo
	s_waitcnt vmcnt(0)
	ds_write_b64 v4, v[5:6]
	s_waitcnt lgkmcnt(0)
	s_barrier
	buffer_gl0_inv
	v_cmpx_gt_u32_e32 52, v0
	s_cbranch_execz .LBB126_223
; %bb.220:
	v_add_nc_u32_e32 v5, -1, v0
	v_or_b32_e32 v6, 0x200, v3
	v_mov_b32_e32 v7, v3
	v_mov_b32_e32 v2, 0
	;; [unrolled: 1-line block ×3, first 2 shown]
	s_mov_b32 s5, 0
	.p2align	6
.LBB126_221:                            ; =>This Inner Loop Header: Depth=1
	s_clause 0x1
	buffer_load_dword v11, v7, s[0:3], 0 offen offset:4
	buffer_load_dword v12, v7, s[0:3], 0 offen
	ds_read_b64 v[9:10], v6
	v_add_nc_u32_e32 v5, 1, v5
	v_add_nc_u32_e32 v6, 8, v6
	;; [unrolled: 1-line block ×3, first 2 shown]
	v_cmp_lt_u32_e32 vcc_lo, 50, v5
	s_or_b32 s5, vcc_lo, s5
	s_waitcnt vmcnt(1) lgkmcnt(0)
	v_mul_f32_e32 v139, v10, v11
	v_mul_f32_e32 v11, v9, v11
	s_waitcnt vmcnt(0)
	v_fma_f32 v9, v9, v12, -v139
	v_fmac_f32_e32 v11, v10, v12
	v_add_f32_e32 v8, v8, v9
	v_add_f32_e32 v2, v2, v11
	s_andn2_b32 exec_lo, exec_lo, s5
	s_cbranch_execnz .LBB126_221
; %bb.222:
	s_or_b32 exec_lo, exec_lo, s5
	v_mov_b32_e32 v5, 0
	ds_read_b64 v[5:6], v5 offset:416
	s_waitcnt lgkmcnt(0)
	v_mul_f32_e32 v7, v2, v6
	v_mul_f32_e32 v6, v8, v6
	v_fma_f32 v7, v8, v5, -v7
	v_fmac_f32_e32 v6, v2, v5
	buffer_store_dword v7, off, s[0:3], 0 offset:416
	buffer_store_dword v6, off, s[0:3], 0 offset:420
.LBB126_223:
	s_or_b32 exec_lo, exec_lo, s4
	s_waitcnt_vscnt null, 0x0
	s_barrier
	buffer_gl0_inv
	s_clause 0x1
	buffer_load_dword v5, off, s[0:3], 0 offset:424
	buffer_load_dword v6, off, s[0:3], 0 offset:428
	s_mov_b32 s4, exec_lo
	s_waitcnt vmcnt(0)
	ds_write_b64 v4, v[5:6]
	s_waitcnt lgkmcnt(0)
	s_barrier
	buffer_gl0_inv
	v_cmpx_gt_u32_e32 53, v0
	s_cbranch_execz .LBB126_227
; %bb.224:
	v_add_nc_u32_e32 v5, -1, v0
	v_or_b32_e32 v6, 0x200, v3
	v_mov_b32_e32 v7, v3
	v_mov_b32_e32 v2, 0
	;; [unrolled: 1-line block ×3, first 2 shown]
	s_mov_b32 s5, 0
	.p2align	6
.LBB126_225:                            ; =>This Inner Loop Header: Depth=1
	s_clause 0x1
	buffer_load_dword v11, v7, s[0:3], 0 offen offset:4
	buffer_load_dword v12, v7, s[0:3], 0 offen
	ds_read_b64 v[9:10], v6
	v_add_nc_u32_e32 v5, 1, v5
	v_add_nc_u32_e32 v6, 8, v6
	;; [unrolled: 1-line block ×3, first 2 shown]
	v_cmp_lt_u32_e32 vcc_lo, 51, v5
	s_or_b32 s5, vcc_lo, s5
	s_waitcnt vmcnt(1) lgkmcnt(0)
	v_mul_f32_e32 v139, v10, v11
	v_mul_f32_e32 v11, v9, v11
	s_waitcnt vmcnt(0)
	v_fma_f32 v9, v9, v12, -v139
	v_fmac_f32_e32 v11, v10, v12
	v_add_f32_e32 v8, v8, v9
	v_add_f32_e32 v2, v2, v11
	s_andn2_b32 exec_lo, exec_lo, s5
	s_cbranch_execnz .LBB126_225
; %bb.226:
	s_or_b32 exec_lo, exec_lo, s5
	v_mov_b32_e32 v5, 0
	ds_read_b64 v[5:6], v5 offset:424
	s_waitcnt lgkmcnt(0)
	v_mul_f32_e32 v7, v2, v6
	v_mul_f32_e32 v6, v8, v6
	v_fma_f32 v7, v8, v5, -v7
	v_fmac_f32_e32 v6, v2, v5
	buffer_store_dword v7, off, s[0:3], 0 offset:424
	buffer_store_dword v6, off, s[0:3], 0 offset:428
.LBB126_227:
	s_or_b32 exec_lo, exec_lo, s4
	s_waitcnt_vscnt null, 0x0
	s_barrier
	buffer_gl0_inv
	s_clause 0x1
	buffer_load_dword v5, off, s[0:3], 0 offset:432
	buffer_load_dword v6, off, s[0:3], 0 offset:436
	s_mov_b32 s4, exec_lo
	s_waitcnt vmcnt(0)
	ds_write_b64 v4, v[5:6]
	s_waitcnt lgkmcnt(0)
	s_barrier
	buffer_gl0_inv
	v_cmpx_gt_u32_e32 54, v0
	s_cbranch_execz .LBB126_231
; %bb.228:
	v_add_nc_u32_e32 v5, -1, v0
	v_or_b32_e32 v6, 0x200, v3
	v_mov_b32_e32 v7, v3
	v_mov_b32_e32 v2, 0
	;; [unrolled: 1-line block ×3, first 2 shown]
	s_mov_b32 s5, 0
	.p2align	6
.LBB126_229:                            ; =>This Inner Loop Header: Depth=1
	s_clause 0x1
	buffer_load_dword v11, v7, s[0:3], 0 offen offset:4
	buffer_load_dword v12, v7, s[0:3], 0 offen
	ds_read_b64 v[9:10], v6
	v_add_nc_u32_e32 v5, 1, v5
	v_add_nc_u32_e32 v6, 8, v6
	v_add_nc_u32_e32 v7, 8, v7
	v_cmp_lt_u32_e32 vcc_lo, 52, v5
	s_or_b32 s5, vcc_lo, s5
	s_waitcnt vmcnt(1) lgkmcnt(0)
	v_mul_f32_e32 v139, v10, v11
	v_mul_f32_e32 v11, v9, v11
	s_waitcnt vmcnt(0)
	v_fma_f32 v9, v9, v12, -v139
	v_fmac_f32_e32 v11, v10, v12
	v_add_f32_e32 v8, v8, v9
	v_add_f32_e32 v2, v2, v11
	s_andn2_b32 exec_lo, exec_lo, s5
	s_cbranch_execnz .LBB126_229
; %bb.230:
	s_or_b32 exec_lo, exec_lo, s5
	v_mov_b32_e32 v5, 0
	ds_read_b64 v[5:6], v5 offset:432
	s_waitcnt lgkmcnt(0)
	v_mul_f32_e32 v7, v2, v6
	v_mul_f32_e32 v6, v8, v6
	v_fma_f32 v7, v8, v5, -v7
	v_fmac_f32_e32 v6, v2, v5
	buffer_store_dword v7, off, s[0:3], 0 offset:432
	buffer_store_dword v6, off, s[0:3], 0 offset:436
.LBB126_231:
	s_or_b32 exec_lo, exec_lo, s4
	s_waitcnt_vscnt null, 0x0
	s_barrier
	buffer_gl0_inv
	s_clause 0x1
	buffer_load_dword v5, off, s[0:3], 0 offset:440
	buffer_load_dword v6, off, s[0:3], 0 offset:444
	s_mov_b32 s4, exec_lo
	s_waitcnt vmcnt(0)
	ds_write_b64 v4, v[5:6]
	s_waitcnt lgkmcnt(0)
	s_barrier
	buffer_gl0_inv
	v_cmpx_gt_u32_e32 55, v0
	s_cbranch_execz .LBB126_235
; %bb.232:
	v_add_nc_u32_e32 v5, -1, v0
	v_or_b32_e32 v6, 0x200, v3
	v_mov_b32_e32 v7, v3
	v_mov_b32_e32 v2, 0
	;; [unrolled: 1-line block ×3, first 2 shown]
	s_mov_b32 s5, 0
	.p2align	6
.LBB126_233:                            ; =>This Inner Loop Header: Depth=1
	s_clause 0x1
	buffer_load_dword v11, v7, s[0:3], 0 offen offset:4
	buffer_load_dword v12, v7, s[0:3], 0 offen
	ds_read_b64 v[9:10], v6
	v_add_nc_u32_e32 v5, 1, v5
	v_add_nc_u32_e32 v6, 8, v6
	;; [unrolled: 1-line block ×3, first 2 shown]
	v_cmp_lt_u32_e32 vcc_lo, 53, v5
	s_or_b32 s5, vcc_lo, s5
	s_waitcnt vmcnt(1) lgkmcnt(0)
	v_mul_f32_e32 v139, v10, v11
	v_mul_f32_e32 v11, v9, v11
	s_waitcnt vmcnt(0)
	v_fma_f32 v9, v9, v12, -v139
	v_fmac_f32_e32 v11, v10, v12
	v_add_f32_e32 v8, v8, v9
	v_add_f32_e32 v2, v2, v11
	s_andn2_b32 exec_lo, exec_lo, s5
	s_cbranch_execnz .LBB126_233
; %bb.234:
	s_or_b32 exec_lo, exec_lo, s5
	v_mov_b32_e32 v5, 0
	ds_read_b64 v[5:6], v5 offset:440
	s_waitcnt lgkmcnt(0)
	v_mul_f32_e32 v7, v2, v6
	v_mul_f32_e32 v6, v8, v6
	v_fma_f32 v7, v8, v5, -v7
	v_fmac_f32_e32 v6, v2, v5
	buffer_store_dword v7, off, s[0:3], 0 offset:440
	buffer_store_dword v6, off, s[0:3], 0 offset:444
.LBB126_235:
	s_or_b32 exec_lo, exec_lo, s4
	s_waitcnt_vscnt null, 0x0
	s_barrier
	buffer_gl0_inv
	s_clause 0x1
	buffer_load_dword v5, off, s[0:3], 0 offset:448
	buffer_load_dword v6, off, s[0:3], 0 offset:452
	s_mov_b32 s4, exec_lo
	s_waitcnt vmcnt(0)
	ds_write_b64 v4, v[5:6]
	s_waitcnt lgkmcnt(0)
	s_barrier
	buffer_gl0_inv
	v_cmpx_gt_u32_e32 56, v0
	s_cbranch_execz .LBB126_239
; %bb.236:
	v_add_nc_u32_e32 v5, -1, v0
	v_or_b32_e32 v6, 0x200, v3
	v_mov_b32_e32 v7, v3
	v_mov_b32_e32 v2, 0
	;; [unrolled: 1-line block ×3, first 2 shown]
	s_mov_b32 s5, 0
	.p2align	6
.LBB126_237:                            ; =>This Inner Loop Header: Depth=1
	s_clause 0x1
	buffer_load_dword v11, v7, s[0:3], 0 offen offset:4
	buffer_load_dword v12, v7, s[0:3], 0 offen
	ds_read_b64 v[9:10], v6
	v_add_nc_u32_e32 v5, 1, v5
	v_add_nc_u32_e32 v6, 8, v6
	;; [unrolled: 1-line block ×3, first 2 shown]
	v_cmp_lt_u32_e32 vcc_lo, 54, v5
	s_or_b32 s5, vcc_lo, s5
	s_waitcnt vmcnt(1) lgkmcnt(0)
	v_mul_f32_e32 v139, v10, v11
	v_mul_f32_e32 v11, v9, v11
	s_waitcnt vmcnt(0)
	v_fma_f32 v9, v9, v12, -v139
	v_fmac_f32_e32 v11, v10, v12
	v_add_f32_e32 v8, v8, v9
	v_add_f32_e32 v2, v2, v11
	s_andn2_b32 exec_lo, exec_lo, s5
	s_cbranch_execnz .LBB126_237
; %bb.238:
	s_or_b32 exec_lo, exec_lo, s5
	v_mov_b32_e32 v5, 0
	ds_read_b64 v[5:6], v5 offset:448
	s_waitcnt lgkmcnt(0)
	v_mul_f32_e32 v7, v2, v6
	v_mul_f32_e32 v6, v8, v6
	v_fma_f32 v7, v8, v5, -v7
	v_fmac_f32_e32 v6, v2, v5
	buffer_store_dword v7, off, s[0:3], 0 offset:448
	buffer_store_dword v6, off, s[0:3], 0 offset:452
.LBB126_239:
	s_or_b32 exec_lo, exec_lo, s4
	s_waitcnt_vscnt null, 0x0
	s_barrier
	buffer_gl0_inv
	s_clause 0x1
	buffer_load_dword v5, off, s[0:3], 0 offset:456
	buffer_load_dword v6, off, s[0:3], 0 offset:460
	s_mov_b32 s4, exec_lo
	s_waitcnt vmcnt(0)
	ds_write_b64 v4, v[5:6]
	s_waitcnt lgkmcnt(0)
	s_barrier
	buffer_gl0_inv
	v_cmpx_gt_u32_e32 57, v0
	s_cbranch_execz .LBB126_243
; %bb.240:
	v_add_nc_u32_e32 v5, -1, v0
	v_or_b32_e32 v6, 0x200, v3
	v_mov_b32_e32 v7, v3
	v_mov_b32_e32 v2, 0
	;; [unrolled: 1-line block ×3, first 2 shown]
	s_mov_b32 s5, 0
	.p2align	6
.LBB126_241:                            ; =>This Inner Loop Header: Depth=1
	s_clause 0x1
	buffer_load_dword v11, v7, s[0:3], 0 offen offset:4
	buffer_load_dword v12, v7, s[0:3], 0 offen
	ds_read_b64 v[9:10], v6
	v_add_nc_u32_e32 v5, 1, v5
	v_add_nc_u32_e32 v6, 8, v6
	;; [unrolled: 1-line block ×3, first 2 shown]
	v_cmp_lt_u32_e32 vcc_lo, 55, v5
	s_or_b32 s5, vcc_lo, s5
	s_waitcnt vmcnt(1) lgkmcnt(0)
	v_mul_f32_e32 v139, v10, v11
	v_mul_f32_e32 v11, v9, v11
	s_waitcnt vmcnt(0)
	v_fma_f32 v9, v9, v12, -v139
	v_fmac_f32_e32 v11, v10, v12
	v_add_f32_e32 v8, v8, v9
	v_add_f32_e32 v2, v2, v11
	s_andn2_b32 exec_lo, exec_lo, s5
	s_cbranch_execnz .LBB126_241
; %bb.242:
	s_or_b32 exec_lo, exec_lo, s5
	v_mov_b32_e32 v5, 0
	ds_read_b64 v[5:6], v5 offset:456
	s_waitcnt lgkmcnt(0)
	v_mul_f32_e32 v7, v2, v6
	v_mul_f32_e32 v6, v8, v6
	v_fma_f32 v7, v8, v5, -v7
	v_fmac_f32_e32 v6, v2, v5
	buffer_store_dword v7, off, s[0:3], 0 offset:456
	buffer_store_dword v6, off, s[0:3], 0 offset:460
.LBB126_243:
	s_or_b32 exec_lo, exec_lo, s4
	s_waitcnt_vscnt null, 0x0
	s_barrier
	buffer_gl0_inv
	s_clause 0x1
	buffer_load_dword v5, off, s[0:3], 0 offset:464
	buffer_load_dword v6, off, s[0:3], 0 offset:468
	s_mov_b32 s4, exec_lo
	s_waitcnt vmcnt(0)
	ds_write_b64 v4, v[5:6]
	s_waitcnt lgkmcnt(0)
	s_barrier
	buffer_gl0_inv
	v_cmpx_gt_u32_e32 58, v0
	s_cbranch_execz .LBB126_247
; %bb.244:
	v_add_nc_u32_e32 v5, -1, v0
	v_or_b32_e32 v6, 0x200, v3
	v_mov_b32_e32 v7, v3
	v_mov_b32_e32 v2, 0
	;; [unrolled: 1-line block ×3, first 2 shown]
	s_mov_b32 s5, 0
	.p2align	6
.LBB126_245:                            ; =>This Inner Loop Header: Depth=1
	s_clause 0x1
	buffer_load_dword v11, v7, s[0:3], 0 offen offset:4
	buffer_load_dword v12, v7, s[0:3], 0 offen
	ds_read_b64 v[9:10], v6
	v_add_nc_u32_e32 v5, 1, v5
	v_add_nc_u32_e32 v6, 8, v6
	;; [unrolled: 1-line block ×3, first 2 shown]
	v_cmp_lt_u32_e32 vcc_lo, 56, v5
	s_or_b32 s5, vcc_lo, s5
	s_waitcnt vmcnt(1) lgkmcnt(0)
	v_mul_f32_e32 v139, v10, v11
	v_mul_f32_e32 v11, v9, v11
	s_waitcnt vmcnt(0)
	v_fma_f32 v9, v9, v12, -v139
	v_fmac_f32_e32 v11, v10, v12
	v_add_f32_e32 v8, v8, v9
	v_add_f32_e32 v2, v2, v11
	s_andn2_b32 exec_lo, exec_lo, s5
	s_cbranch_execnz .LBB126_245
; %bb.246:
	s_or_b32 exec_lo, exec_lo, s5
	v_mov_b32_e32 v5, 0
	ds_read_b64 v[5:6], v5 offset:464
	s_waitcnt lgkmcnt(0)
	v_mul_f32_e32 v7, v2, v6
	v_mul_f32_e32 v6, v8, v6
	v_fma_f32 v7, v8, v5, -v7
	v_fmac_f32_e32 v6, v2, v5
	buffer_store_dword v7, off, s[0:3], 0 offset:464
	buffer_store_dword v6, off, s[0:3], 0 offset:468
.LBB126_247:
	s_or_b32 exec_lo, exec_lo, s4
	s_waitcnt_vscnt null, 0x0
	s_barrier
	buffer_gl0_inv
	s_clause 0x1
	buffer_load_dword v5, off, s[0:3], 0 offset:472
	buffer_load_dword v6, off, s[0:3], 0 offset:476
	s_mov_b32 s4, exec_lo
	s_waitcnt vmcnt(0)
	ds_write_b64 v4, v[5:6]
	s_waitcnt lgkmcnt(0)
	s_barrier
	buffer_gl0_inv
	v_cmpx_gt_u32_e32 59, v0
	s_cbranch_execz .LBB126_251
; %bb.248:
	v_add_nc_u32_e32 v5, -1, v0
	v_or_b32_e32 v6, 0x200, v3
	v_mov_b32_e32 v7, v3
	v_mov_b32_e32 v2, 0
	v_mov_b32_e32 v8, 0
	s_mov_b32 s5, 0
	.p2align	6
.LBB126_249:                            ; =>This Inner Loop Header: Depth=1
	s_clause 0x1
	buffer_load_dword v11, v7, s[0:3], 0 offen offset:4
	buffer_load_dword v12, v7, s[0:3], 0 offen
	ds_read_b64 v[9:10], v6
	v_add_nc_u32_e32 v5, 1, v5
	v_add_nc_u32_e32 v6, 8, v6
	v_add_nc_u32_e32 v7, 8, v7
	v_cmp_lt_u32_e32 vcc_lo, 57, v5
	s_or_b32 s5, vcc_lo, s5
	s_waitcnt vmcnt(1) lgkmcnt(0)
	v_mul_f32_e32 v139, v10, v11
	v_mul_f32_e32 v11, v9, v11
	s_waitcnt vmcnt(0)
	v_fma_f32 v9, v9, v12, -v139
	v_fmac_f32_e32 v11, v10, v12
	v_add_f32_e32 v8, v8, v9
	v_add_f32_e32 v2, v2, v11
	s_andn2_b32 exec_lo, exec_lo, s5
	s_cbranch_execnz .LBB126_249
; %bb.250:
	s_or_b32 exec_lo, exec_lo, s5
	v_mov_b32_e32 v5, 0
	ds_read_b64 v[5:6], v5 offset:472
	s_waitcnt lgkmcnt(0)
	v_mul_f32_e32 v7, v2, v6
	v_mul_f32_e32 v6, v8, v6
	v_fma_f32 v7, v8, v5, -v7
	v_fmac_f32_e32 v6, v2, v5
	buffer_store_dword v7, off, s[0:3], 0 offset:472
	buffer_store_dword v6, off, s[0:3], 0 offset:476
.LBB126_251:
	s_or_b32 exec_lo, exec_lo, s4
	s_waitcnt_vscnt null, 0x0
	s_barrier
	buffer_gl0_inv
	s_clause 0x1
	buffer_load_dword v5, off, s[0:3], 0 offset:480
	buffer_load_dword v6, off, s[0:3], 0 offset:484
	s_mov_b32 s4, exec_lo
	s_waitcnt vmcnt(0)
	ds_write_b64 v4, v[5:6]
	s_waitcnt lgkmcnt(0)
	s_barrier
	buffer_gl0_inv
	v_cmpx_gt_u32_e32 60, v0
	s_cbranch_execz .LBB126_255
; %bb.252:
	v_add_nc_u32_e32 v5, -1, v0
	v_or_b32_e32 v6, 0x200, v3
	v_mov_b32_e32 v7, v3
	v_mov_b32_e32 v2, 0
	;; [unrolled: 1-line block ×3, first 2 shown]
	s_mov_b32 s5, 0
	.p2align	6
.LBB126_253:                            ; =>This Inner Loop Header: Depth=1
	s_clause 0x1
	buffer_load_dword v11, v7, s[0:3], 0 offen offset:4
	buffer_load_dword v12, v7, s[0:3], 0 offen
	ds_read_b64 v[9:10], v6
	v_add_nc_u32_e32 v5, 1, v5
	v_add_nc_u32_e32 v6, 8, v6
	;; [unrolled: 1-line block ×3, first 2 shown]
	v_cmp_lt_u32_e32 vcc_lo, 58, v5
	s_or_b32 s5, vcc_lo, s5
	s_waitcnt vmcnt(1) lgkmcnt(0)
	v_mul_f32_e32 v139, v10, v11
	v_mul_f32_e32 v11, v9, v11
	s_waitcnt vmcnt(0)
	v_fma_f32 v9, v9, v12, -v139
	v_fmac_f32_e32 v11, v10, v12
	v_add_f32_e32 v8, v8, v9
	v_add_f32_e32 v2, v2, v11
	s_andn2_b32 exec_lo, exec_lo, s5
	s_cbranch_execnz .LBB126_253
; %bb.254:
	s_or_b32 exec_lo, exec_lo, s5
	v_mov_b32_e32 v5, 0
	ds_read_b64 v[5:6], v5 offset:480
	s_waitcnt lgkmcnt(0)
	v_mul_f32_e32 v7, v2, v6
	v_mul_f32_e32 v6, v8, v6
	v_fma_f32 v7, v8, v5, -v7
	v_fmac_f32_e32 v6, v2, v5
	buffer_store_dword v7, off, s[0:3], 0 offset:480
	buffer_store_dword v6, off, s[0:3], 0 offset:484
.LBB126_255:
	s_or_b32 exec_lo, exec_lo, s4
	s_waitcnt_vscnt null, 0x0
	s_barrier
	buffer_gl0_inv
	s_clause 0x1
	buffer_load_dword v5, off, s[0:3], 0 offset:488
	buffer_load_dword v6, off, s[0:3], 0 offset:492
	s_mov_b32 s4, exec_lo
	s_waitcnt vmcnt(0)
	ds_write_b64 v4, v[5:6]
	s_waitcnt lgkmcnt(0)
	s_barrier
	buffer_gl0_inv
	v_cmpx_gt_u32_e32 61, v0
	s_cbranch_execz .LBB126_259
; %bb.256:
	v_add_nc_u32_e32 v5, -1, v0
	v_or_b32_e32 v6, 0x200, v3
	v_mov_b32_e32 v7, v3
	v_mov_b32_e32 v2, 0
	;; [unrolled: 1-line block ×3, first 2 shown]
	s_mov_b32 s5, 0
	.p2align	6
.LBB126_257:                            ; =>This Inner Loop Header: Depth=1
	s_clause 0x1
	buffer_load_dword v11, v7, s[0:3], 0 offen offset:4
	buffer_load_dword v12, v7, s[0:3], 0 offen
	ds_read_b64 v[9:10], v6
	v_add_nc_u32_e32 v5, 1, v5
	v_add_nc_u32_e32 v6, 8, v6
	;; [unrolled: 1-line block ×3, first 2 shown]
	v_cmp_lt_u32_e32 vcc_lo, 59, v5
	s_or_b32 s5, vcc_lo, s5
	s_waitcnt vmcnt(1) lgkmcnt(0)
	v_mul_f32_e32 v139, v10, v11
	v_mul_f32_e32 v11, v9, v11
	s_waitcnt vmcnt(0)
	v_fma_f32 v9, v9, v12, -v139
	v_fmac_f32_e32 v11, v10, v12
	v_add_f32_e32 v8, v8, v9
	v_add_f32_e32 v2, v2, v11
	s_andn2_b32 exec_lo, exec_lo, s5
	s_cbranch_execnz .LBB126_257
; %bb.258:
	s_or_b32 exec_lo, exec_lo, s5
	v_mov_b32_e32 v5, 0
	ds_read_b64 v[5:6], v5 offset:488
	s_waitcnt lgkmcnt(0)
	v_mul_f32_e32 v7, v2, v6
	v_mul_f32_e32 v6, v8, v6
	v_fma_f32 v7, v8, v5, -v7
	v_fmac_f32_e32 v6, v2, v5
	buffer_store_dword v7, off, s[0:3], 0 offset:488
	buffer_store_dword v6, off, s[0:3], 0 offset:492
.LBB126_259:
	s_or_b32 exec_lo, exec_lo, s4
	s_waitcnt_vscnt null, 0x0
	s_barrier
	buffer_gl0_inv
	s_clause 0x1
	buffer_load_dword v5, off, s[0:3], 0 offset:496
	buffer_load_dword v6, off, s[0:3], 0 offset:500
	s_mov_b32 s4, exec_lo
	s_waitcnt vmcnt(0)
	ds_write_b64 v4, v[5:6]
	s_waitcnt lgkmcnt(0)
	s_barrier
	buffer_gl0_inv
	v_cmpx_ne_u32_e32 62, v0
	s_cbranch_execz .LBB126_263
; %bb.260:
	v_mov_b32_e32 v2, 0
	v_mov_b32_e32 v5, 0
	s_mov_b32 s5, 0
	.p2align	6
.LBB126_261:                            ; =>This Inner Loop Header: Depth=1
	s_clause 0x1
	buffer_load_dword v8, v3, s[0:3], 0 offen offset:4
	buffer_load_dword v9, v3, s[0:3], 0 offen
	ds_read_b64 v[6:7], v4
	v_add_nc_u32_e32 v1, 1, v1
	v_add_nc_u32_e32 v4, 8, v4
	;; [unrolled: 1-line block ×3, first 2 shown]
	v_cmp_lt_u32_e32 vcc_lo, 60, v1
	s_or_b32 s5, vcc_lo, s5
	s_waitcnt vmcnt(1) lgkmcnt(0)
	v_mul_f32_e32 v10, v7, v8
	v_mul_f32_e32 v8, v6, v8
	s_waitcnt vmcnt(0)
	v_fma_f32 v6, v6, v9, -v10
	v_fmac_f32_e32 v8, v7, v9
	v_add_f32_e32 v5, v5, v6
	v_add_f32_e32 v2, v2, v8
	s_andn2_b32 exec_lo, exec_lo, s5
	s_cbranch_execnz .LBB126_261
; %bb.262:
	s_or_b32 exec_lo, exec_lo, s5
	v_mov_b32_e32 v1, 0
	ds_read_b64 v[3:4], v1 offset:496
	s_waitcnt lgkmcnt(0)
	v_mul_f32_e32 v1, v2, v4
	v_mul_f32_e32 v4, v5, v4
	v_fma_f32 v1, v5, v3, -v1
	v_fmac_f32_e32 v4, v2, v3
	buffer_store_dword v1, off, s[0:3], 0 offset:496
	buffer_store_dword v4, off, s[0:3], 0 offset:500
.LBB126_263:
	s_or_b32 exec_lo, exec_lo, s4
	s_mov_b32 s5, -1
	s_waitcnt_vscnt null, 0x0
	s_barrier
	buffer_gl0_inv
.LBB126_264:
	s_and_b32 vcc_lo, exec_lo, s5
	s_cbranch_vccz .LBB126_266
; %bb.265:
	s_lshl_b64 s[4:5], s[6:7], 2
	v_mov_b32_e32 v1, 0
	s_add_u32 s4, s10, s4
	s_addc_u32 s5, s11, s5
	global_load_dword v1, v1, s[4:5]
	s_waitcnt vmcnt(0)
	v_cmp_ne_u32_e32 vcc_lo, 0, v1
	s_cbranch_vccz .LBB126_267
.LBB126_266:
	s_endpgm
.LBB126_267:
	v_lshl_or_b32 v139, v0, 3, 0x200
	s_mov_b32 s4, exec_lo
	v_cmpx_eq_u32_e32 62, v0
	s_cbranch_execz .LBB126_269
; %bb.268:
	s_clause 0x1
	buffer_load_dword v1, off, s[0:3], 0 offset:488
	buffer_load_dword v2, off, s[0:3], 0 offset:492
	v_mov_b32_e32 v3, 0
	buffer_store_dword v3, off, s[0:3], 0 offset:488
	buffer_store_dword v3, off, s[0:3], 0 offset:492
	s_waitcnt vmcnt(0)
	ds_write_b64 v139, v[1:2]
.LBB126_269:
	s_or_b32 exec_lo, exec_lo, s4
	s_waitcnt lgkmcnt(0)
	s_waitcnt_vscnt null, 0x0
	s_barrier
	buffer_gl0_inv
	s_clause 0x3
	buffer_load_dword v4, off, s[0:3], 0 offset:500
	buffer_load_dword v5, off, s[0:3], 0 offset:496
	;; [unrolled: 1-line block ×4, first 2 shown]
	v_mov_b32_e32 v1, 0
	s_mov_b32 s4, exec_lo
	ds_read_b64 v[2:3], v1 offset:1008
	s_waitcnt vmcnt(3) lgkmcnt(0)
	v_mul_f32_e32 v8, v3, v4
	v_mul_f32_e32 v4, v2, v4
	s_waitcnt vmcnt(2)
	v_fma_f32 v2, v2, v5, -v8
	v_fmac_f32_e32 v4, v3, v5
	v_add_f32_e32 v2, 0, v2
	v_add_f32_e32 v3, 0, v4
	s_waitcnt vmcnt(1)
	v_sub_f32_e32 v2, v6, v2
	s_waitcnt vmcnt(0)
	v_sub_f32_e32 v3, v7, v3
	buffer_store_dword v2, off, s[0:3], 0 offset:488
	buffer_store_dword v3, off, s[0:3], 0 offset:492
	v_cmpx_lt_u32_e32 60, v0
	s_cbranch_execz .LBB126_271
; %bb.270:
	s_clause 0x1
	buffer_load_dword v2, off, s[0:3], 0 offset:480
	buffer_load_dword v3, off, s[0:3], 0 offset:484
	buffer_store_dword v1, off, s[0:3], 0 offset:480
	buffer_store_dword v1, off, s[0:3], 0 offset:484
	s_waitcnt vmcnt(0)
	ds_write_b64 v139, v[2:3]
.LBB126_271:
	s_or_b32 exec_lo, exec_lo, s4
	s_waitcnt lgkmcnt(0)
	s_waitcnt_vscnt null, 0x0
	s_barrier
	buffer_gl0_inv
	s_clause 0x5
	buffer_load_dword v5, off, s[0:3], 0 offset:492
	buffer_load_dword v6, off, s[0:3], 0 offset:500
	;; [unrolled: 1-line block ×6, first 2 shown]
	ds_read2_b64 v[1:4], v1 offset0:125 offset1:126
	s_mov_b32 s4, exec_lo
	s_waitcnt vmcnt(5) lgkmcnt(0)
	v_mul_f32_e32 v11, v2, v5
	v_mul_f32_e32 v5, v1, v5
	s_waitcnt vmcnt(4)
	v_mul_f32_e32 v12, v3, v6
	v_mul_f32_e32 v6, v4, v6
	s_waitcnt vmcnt(3)
	v_fma_f32 v1, v1, v7, -v11
	v_fmac_f32_e32 v5, v2, v7
	s_waitcnt vmcnt(2)
	v_fmac_f32_e32 v12, v4, v8
	v_fma_f32 v2, v3, v8, -v6
	v_add_f32_e32 v1, 0, v1
	v_add_f32_e32 v3, 0, v5
	;; [unrolled: 1-line block ×4, first 2 shown]
	s_waitcnt vmcnt(1)
	v_sub_f32_e32 v1, v9, v1
	s_waitcnt vmcnt(0)
	v_sub_f32_e32 v2, v10, v2
	buffer_store_dword v1, off, s[0:3], 0 offset:480
	buffer_store_dword v2, off, s[0:3], 0 offset:484
	v_cmpx_lt_u32_e32 59, v0
	s_cbranch_execz .LBB126_273
; %bb.272:
	s_clause 0x1
	buffer_load_dword v1, off, s[0:3], 0 offset:472
	buffer_load_dword v2, off, s[0:3], 0 offset:476
	v_mov_b32_e32 v3, 0
	buffer_store_dword v3, off, s[0:3], 0 offset:472
	buffer_store_dword v3, off, s[0:3], 0 offset:476
	s_waitcnt vmcnt(0)
	ds_write_b64 v139, v[1:2]
.LBB126_273:
	s_or_b32 exec_lo, exec_lo, s4
	s_waitcnt lgkmcnt(0)
	s_waitcnt_vscnt null, 0x0
	s_barrier
	buffer_gl0_inv
	s_clause 0x7
	buffer_load_dword v8, off, s[0:3], 0 offset:484
	buffer_load_dword v9, off, s[0:3], 0 offset:492
	;; [unrolled: 1-line block ×8, first 2 shown]
	v_mov_b32_e32 v1, 0
	ds_read_b128 v[2:5], v1 offset:992
	ds_read_b64 v[6:7], v1 offset:1008
	s_mov_b32 s4, exec_lo
	s_waitcnt vmcnt(7) lgkmcnt(1)
	v_mul_f32_e32 v143, v3, v8
	v_mul_f32_e32 v8, v2, v8
	s_waitcnt vmcnt(6)
	v_mul_f32_e32 v144, v4, v9
	v_mul_f32_e32 v9, v5, v9
	s_waitcnt vmcnt(5) lgkmcnt(0)
	v_mul_f32_e32 v145, v6, v10
	s_waitcnt vmcnt(4)
	v_fma_f32 v2, v2, v11, -v143
	v_fmac_f32_e32 v8, v3, v11
	v_mul_f32_e32 v3, v7, v10
	s_waitcnt vmcnt(3)
	v_fma_f32 v4, v4, v12, -v9
	v_fmac_f32_e32 v144, v5, v12
	v_add_f32_e32 v2, 0, v2
	v_add_f32_e32 v5, 0, v8
	s_waitcnt vmcnt(2)
	v_fma_f32 v3, v6, v140, -v3
	v_fmac_f32_e32 v145, v7, v140
	v_add_f32_e32 v2, v2, v4
	v_add_f32_e32 v4, v5, v144
	;; [unrolled: 1-line block ×4, first 2 shown]
	s_waitcnt vmcnt(1)
	v_sub_f32_e32 v2, v141, v2
	s_waitcnt vmcnt(0)
	v_sub_f32_e32 v3, v142, v3
	buffer_store_dword v2, off, s[0:3], 0 offset:472
	buffer_store_dword v3, off, s[0:3], 0 offset:476
	v_cmpx_lt_u32_e32 58, v0
	s_cbranch_execz .LBB126_275
; %bb.274:
	s_clause 0x1
	buffer_load_dword v2, off, s[0:3], 0 offset:464
	buffer_load_dword v3, off, s[0:3], 0 offset:468
	buffer_store_dword v1, off, s[0:3], 0 offset:464
	buffer_store_dword v1, off, s[0:3], 0 offset:468
	s_waitcnt vmcnt(0)
	ds_write_b64 v139, v[2:3]
.LBB126_275:
	s_or_b32 exec_lo, exec_lo, s4
	s_waitcnt lgkmcnt(0)
	s_waitcnt_vscnt null, 0x0
	s_barrier
	buffer_gl0_inv
	s_clause 0x9
	buffer_load_dword v10, off, s[0:3], 0 offset:476
	buffer_load_dword v11, off, s[0:3], 0 offset:484
	;; [unrolled: 1-line block ×10, first 2 shown]
	ds_read2_b64 v[2:5], v1 offset0:123 offset1:124
	ds_read2_b64 v[6:9], v1 offset0:125 offset1:126
	s_mov_b32 s4, exec_lo
	s_waitcnt vmcnt(9) lgkmcnt(1)
	v_mul_f32_e32 v1, v2, v10
	v_mul_f32_e32 v10, v3, v10
	s_waitcnt vmcnt(8)
	v_mul_f32_e32 v147, v4, v11
	v_mul_f32_e32 v11, v5, v11
	s_waitcnt vmcnt(7) lgkmcnt(0)
	v_mul_f32_e32 v148, v6, v12
	s_waitcnt vmcnt(5)
	v_fmac_f32_e32 v1, v3, v141
	v_fma_f32 v2, v2, v141, -v10
	v_mul_f32_e32 v3, v7, v12
	s_waitcnt vmcnt(4)
	v_fma_f32 v4, v4, v142, -v11
	v_fmac_f32_e32 v147, v5, v142
	v_add_f32_e32 v1, 0, v1
	v_add_f32_e32 v2, 0, v2
	v_mul_f32_e32 v5, v9, v140
	s_waitcnt vmcnt(3)
	v_fma_f32 v3, v6, v143, -v3
	v_mul_f32_e32 v149, v8, v140
	v_fmac_f32_e32 v148, v7, v143
	v_add_f32_e32 v2, v2, v4
	v_add_f32_e32 v1, v1, v147
	s_waitcnt vmcnt(2)
	v_fma_f32 v4, v8, v144, -v5
	v_fmac_f32_e32 v149, v9, v144
	v_add_f32_e32 v2, v2, v3
	v_add_f32_e32 v1, v1, v148
	;; [unrolled: 1-line block ×4, first 2 shown]
	s_waitcnt vmcnt(1)
	v_sub_f32_e32 v2, v145, v2
	s_waitcnt vmcnt(0)
	v_sub_f32_e32 v1, v146, v1
	buffer_store_dword v2, off, s[0:3], 0 offset:464
	buffer_store_dword v1, off, s[0:3], 0 offset:468
	v_cmpx_lt_u32_e32 57, v0
	s_cbranch_execz .LBB126_277
; %bb.276:
	s_clause 0x1
	buffer_load_dword v1, off, s[0:3], 0 offset:456
	buffer_load_dword v2, off, s[0:3], 0 offset:460
	v_mov_b32_e32 v3, 0
	buffer_store_dword v3, off, s[0:3], 0 offset:456
	buffer_store_dword v3, off, s[0:3], 0 offset:460
	s_waitcnt vmcnt(0)
	ds_write_b64 v139, v[1:2]
.LBB126_277:
	s_or_b32 exec_lo, exec_lo, s4
	s_waitcnt lgkmcnt(0)
	s_waitcnt_vscnt null, 0x0
	s_barrier
	buffer_gl0_inv
	s_clause 0xb
	buffer_load_dword v12, off, s[0:3], 0 offset:468
	buffer_load_dword v140, off, s[0:3], 0 offset:476
	;; [unrolled: 1-line block ×12, first 2 shown]
	v_mov_b32_e32 v1, 0
	ds_read_b128 v[2:5], v1 offset:976
	ds_read_b128 v[6:9], v1 offset:992
	ds_read_b64 v[10:11], v1 offset:1008
	s_mov_b32 s4, exec_lo
	s_waitcnt vmcnt(11) lgkmcnt(2)
	v_mul_f32_e32 v151, v2, v12
	v_mul_f32_e32 v12, v3, v12
	s_waitcnt vmcnt(10)
	v_mul_f32_e32 v152, v4, v140
	v_mul_f32_e32 v140, v5, v140
	s_waitcnt vmcnt(9) lgkmcnt(1)
	v_mul_f32_e32 v153, v6, v141
	s_waitcnt vmcnt(6)
	v_fmac_f32_e32 v151, v3, v144
	v_fma_f32 v2, v2, v144, -v12
	v_mul_f32_e32 v3, v7, v141
	s_waitcnt vmcnt(5)
	v_fma_f32 v4, v4, v145, -v140
	v_fmac_f32_e32 v152, v5, v145
	v_add_f32_e32 v5, 0, v151
	v_add_f32_e32 v2, 0, v2
	v_mul_f32_e32 v12, v9, v142
	s_waitcnt vmcnt(4)
	v_fma_f32 v3, v6, v146, -v3
	v_mul_f32_e32 v154, v8, v142
	v_fmac_f32_e32 v153, v7, v146
	v_add_f32_e32 v2, v2, v4
	v_add_f32_e32 v4, v5, v152
	s_waitcnt lgkmcnt(0)
	v_mul_f32_e32 v5, v11, v143
	s_waitcnt vmcnt(3)
	v_fma_f32 v6, v8, v147, -v12
	v_mul_f32_e32 v155, v10, v143
	v_add_f32_e32 v2, v2, v3
	v_fmac_f32_e32 v154, v9, v147
	v_add_f32_e32 v3, v4, v153
	s_waitcnt vmcnt(2)
	v_fma_f32 v4, v10, v148, -v5
	v_fmac_f32_e32 v155, v11, v148
	v_add_f32_e32 v2, v2, v6
	v_add_f32_e32 v3, v3, v154
	;; [unrolled: 1-line block ×4, first 2 shown]
	s_waitcnt vmcnt(1)
	v_sub_f32_e32 v2, v149, v2
	s_waitcnt vmcnt(0)
	v_sub_f32_e32 v3, v150, v3
	buffer_store_dword v2, off, s[0:3], 0 offset:456
	buffer_store_dword v3, off, s[0:3], 0 offset:460
	v_cmpx_lt_u32_e32 56, v0
	s_cbranch_execz .LBB126_279
; %bb.278:
	s_clause 0x1
	buffer_load_dword v2, off, s[0:3], 0 offset:448
	buffer_load_dword v3, off, s[0:3], 0 offset:452
	buffer_store_dword v1, off, s[0:3], 0 offset:448
	buffer_store_dword v1, off, s[0:3], 0 offset:452
	s_waitcnt vmcnt(0)
	ds_write_b64 v139, v[2:3]
.LBB126_279:
	s_or_b32 exec_lo, exec_lo, s4
	s_waitcnt lgkmcnt(0)
	s_waitcnt_vscnt null, 0x0
	s_barrier
	buffer_gl0_inv
	s_clause 0xd
	buffer_load_dword v10, off, s[0:3], 0 offset:460
	buffer_load_dword v11, off, s[0:3], 0 offset:468
	;; [unrolled: 1-line block ×14, first 2 shown]
	ds_read2_b64 v[2:5], v1 offset0:121 offset1:122
	ds_read2_b64 v[6:9], v1 offset0:123 offset1:124
	;; [unrolled: 1-line block ×3, first 2 shown]
	s_mov_b32 s4, exec_lo
	s_waitcnt vmcnt(13) lgkmcnt(2)
	v_mul_f32_e32 v1, v2, v10
	v_mul_f32_e32 v10, v3, v10
	s_waitcnt vmcnt(12)
	v_mul_f32_e32 v155, v4, v11
	v_mul_f32_e32 v11, v5, v11
	s_waitcnt vmcnt(11) lgkmcnt(1)
	v_mul_f32_e32 v156, v6, v12
	s_waitcnt vmcnt(10)
	v_mul_f32_e32 v157, v8, v144
	s_waitcnt vmcnt(7)
	v_fma_f32 v2, v2, v147, -v10
	v_fmac_f32_e32 v1, v3, v147
	v_mul_f32_e32 v3, v7, v12
	s_waitcnt vmcnt(6)
	v_fma_f32 v4, v4, v148, -v11
	v_fmac_f32_e32 v155, v5, v148
	v_add_f32_e32 v2, 0, v2
	v_add_f32_e32 v1, 0, v1
	v_mul_f32_e32 v5, v9, v144
	s_waitcnt vmcnt(5)
	v_fma_f32 v3, v6, v149, -v3
	v_fmac_f32_e32 v156, v7, v149
	v_add_f32_e32 v2, v2, v4
	v_add_f32_e32 v1, v1, v155
	s_waitcnt lgkmcnt(0)
	v_mul_f32_e32 v4, v141, v145
	s_waitcnt vmcnt(4)
	v_fma_f32 v5, v8, v150, -v5
	v_mul_f32_e32 v158, v140, v145
	v_add_f32_e32 v2, v2, v3
	v_fmac_f32_e32 v157, v9, v150
	v_add_f32_e32 v1, v1, v156
	v_mul_f32_e32 v3, v143, v146
	s_waitcnt vmcnt(3)
	v_fma_f32 v4, v140, v151, -v4
	v_add_f32_e32 v2, v2, v5
	v_mul_f32_e32 v159, v142, v146
	v_fmac_f32_e32 v158, v141, v151
	v_add_f32_e32 v1, v1, v157
	s_waitcnt vmcnt(2)
	v_fma_f32 v3, v142, v152, -v3
	v_add_f32_e32 v2, v2, v4
	v_fmac_f32_e32 v159, v143, v152
	v_add_f32_e32 v1, v1, v158
	v_add_f32_e32 v2, v2, v3
	;; [unrolled: 1-line block ×3, first 2 shown]
	s_waitcnt vmcnt(1)
	v_sub_f32_e32 v2, v153, v2
	s_waitcnt vmcnt(0)
	v_sub_f32_e32 v1, v154, v1
	buffer_store_dword v2, off, s[0:3], 0 offset:448
	buffer_store_dword v1, off, s[0:3], 0 offset:452
	v_cmpx_lt_u32_e32 55, v0
	s_cbranch_execz .LBB126_281
; %bb.280:
	s_clause 0x1
	buffer_load_dword v1, off, s[0:3], 0 offset:440
	buffer_load_dword v2, off, s[0:3], 0 offset:444
	v_mov_b32_e32 v3, 0
	buffer_store_dword v3, off, s[0:3], 0 offset:440
	buffer_store_dword v3, off, s[0:3], 0 offset:444
	s_waitcnt vmcnt(0)
	ds_write_b64 v139, v[1:2]
.LBB126_281:
	s_or_b32 exec_lo, exec_lo, s4
	s_waitcnt lgkmcnt(0)
	s_waitcnt_vscnt null, 0x0
	s_barrier
	buffer_gl0_inv
	s_clause 0xf
	buffer_load_dword v12, off, s[0:3], 0 offset:452
	buffer_load_dword v144, off, s[0:3], 0 offset:460
	;; [unrolled: 1-line block ×16, first 2 shown]
	v_mov_b32_e32 v1, 0
	ds_read_b128 v[2:5], v1 offset:960
	ds_read_b128 v[6:9], v1 offset:976
	;; [unrolled: 1-line block ×3, first 2 shown]
	ds_read_b64 v[10:11], v1 offset:1008
	s_mov_b32 s4, exec_lo
	s_waitcnt vmcnt(15) lgkmcnt(3)
	v_mul_f32_e32 v159, v2, v12
	v_mul_f32_e32 v12, v3, v12
	s_waitcnt vmcnt(14)
	v_mul_f32_e32 v160, v4, v144
	v_mul_f32_e32 v144, v5, v144
	s_waitcnt vmcnt(13) lgkmcnt(2)
	v_mul_f32_e32 v161, v6, v145
	s_waitcnt vmcnt(12)
	v_mul_f32_e32 v162, v8, v146
	s_waitcnt vmcnt(11) lgkmcnt(1)
	v_mul_f32_e32 v163, v140, v147
	s_waitcnt vmcnt(8)
	v_fma_f32 v2, v2, v150, -v12
	v_fmac_f32_e32 v159, v3, v150
	v_mul_f32_e32 v3, v7, v145
	s_waitcnt vmcnt(7)
	v_fma_f32 v4, v4, v151, -v144
	v_fmac_f32_e32 v160, v5, v151
	v_add_f32_e32 v2, 0, v2
	v_add_f32_e32 v5, 0, v159
	v_mul_f32_e32 v12, v9, v146
	s_waitcnt vmcnt(6)
	v_fma_f32 v3, v6, v152, -v3
	v_fmac_f32_e32 v161, v7, v152
	v_add_f32_e32 v2, v2, v4
	v_add_f32_e32 v4, v5, v160
	;; [unrolled: 6-line block ×3, first 2 shown]
	v_mul_f32_e32 v4, v143, v148
	s_waitcnt vmcnt(4)
	v_fma_f32 v5, v140, v154, -v5
	v_mul_f32_e32 v164, v142, v148
	v_add_f32_e32 v2, v2, v6
	v_fmac_f32_e32 v163, v141, v154
	v_add_f32_e32 v3, v3, v162
	s_waitcnt lgkmcnt(0)
	v_mul_f32_e32 v6, v11, v149
	s_waitcnt vmcnt(3)
	v_fma_f32 v4, v142, v155, -v4
	v_add_f32_e32 v2, v2, v5
	v_mul_f32_e32 v165, v10, v149
	v_fmac_f32_e32 v164, v143, v155
	v_add_f32_e32 v3, v3, v163
	s_waitcnt vmcnt(2)
	v_fma_f32 v5, v10, v156, -v6
	v_add_f32_e32 v2, v2, v4
	v_fmac_f32_e32 v165, v11, v156
	v_add_f32_e32 v3, v3, v164
	v_add_f32_e32 v2, v2, v5
	v_add_f32_e32 v3, v3, v165
	s_waitcnt vmcnt(1)
	v_sub_f32_e32 v2, v157, v2
	s_waitcnt vmcnt(0)
	v_sub_f32_e32 v3, v158, v3
	buffer_store_dword v2, off, s[0:3], 0 offset:440
	buffer_store_dword v3, off, s[0:3], 0 offset:444
	v_cmpx_lt_u32_e32 54, v0
	s_cbranch_execz .LBB126_283
; %bb.282:
	s_clause 0x1
	buffer_load_dword v2, off, s[0:3], 0 offset:432
	buffer_load_dword v3, off, s[0:3], 0 offset:436
	buffer_store_dword v1, off, s[0:3], 0 offset:432
	buffer_store_dword v1, off, s[0:3], 0 offset:436
	s_waitcnt vmcnt(0)
	ds_write_b64 v139, v[2:3]
.LBB126_283:
	s_or_b32 exec_lo, exec_lo, s4
	s_waitcnt lgkmcnt(0)
	s_waitcnt_vscnt null, 0x0
	s_barrier
	buffer_gl0_inv
	s_clause 0x11
	buffer_load_dword v10, off, s[0:3], 0 offset:444
	buffer_load_dword v11, off, s[0:3], 0 offset:452
	;; [unrolled: 1-line block ×18, first 2 shown]
	ds_read2_b64 v[2:5], v1 offset0:119 offset1:120
	ds_read2_b64 v[6:9], v1 offset0:121 offset1:122
	;; [unrolled: 1-line block ×4, first 2 shown]
	s_mov_b32 s4, exec_lo
	s_waitcnt vmcnt(17) lgkmcnt(3)
	v_mul_f32_e32 v1, v2, v10
	v_mul_f32_e32 v10, v3, v10
	s_waitcnt vmcnt(16)
	v_mul_f32_e32 v163, v4, v11
	v_mul_f32_e32 v11, v5, v11
	s_waitcnt vmcnt(15) lgkmcnt(2)
	v_mul_f32_e32 v164, v6, v12
	s_waitcnt vmcnt(14)
	v_mul_f32_e32 v165, v8, v148
	s_waitcnt vmcnt(13) lgkmcnt(1)
	v_mul_f32_e32 v166, v140, v149
	s_waitcnt vmcnt(12)
	v_mul_f32_e32 v167, v142, v150
	s_waitcnt vmcnt(9)
	v_fma_f32 v2, v2, v153, -v10
	v_fmac_f32_e32 v1, v3, v153
	v_mul_f32_e32 v3, v7, v12
	s_waitcnt vmcnt(8)
	v_fma_f32 v4, v4, v154, -v11
	v_fmac_f32_e32 v163, v5, v154
	v_add_f32_e32 v2, 0, v2
	v_add_f32_e32 v1, 0, v1
	v_mul_f32_e32 v5, v9, v148
	s_waitcnt vmcnt(7)
	v_fma_f32 v3, v6, v155, -v3
	v_fmac_f32_e32 v164, v7, v155
	v_add_f32_e32 v2, v2, v4
	v_add_f32_e32 v1, v1, v163
	;; [unrolled: 6-line block ×4, first 2 shown]
	s_waitcnt lgkmcnt(0)
	v_mul_f32_e32 v5, v145, v151
	s_waitcnt vmcnt(4)
	v_fma_f32 v3, v142, v158, -v3
	v_mul_f32_e32 v168, v144, v151
	v_add_f32_e32 v2, v2, v4
	v_fmac_f32_e32 v167, v143, v158
	v_add_f32_e32 v1, v1, v166
	v_mul_f32_e32 v4, v147, v152
	s_waitcnt vmcnt(3)
	v_fma_f32 v5, v144, v159, -v5
	v_add_f32_e32 v2, v2, v3
	v_mul_f32_e32 v169, v146, v152
	v_fmac_f32_e32 v168, v145, v159
	v_add_f32_e32 v1, v1, v167
	s_waitcnt vmcnt(2)
	v_fma_f32 v3, v146, v160, -v4
	v_add_f32_e32 v2, v2, v5
	v_fmac_f32_e32 v169, v147, v160
	v_add_f32_e32 v1, v1, v168
	v_add_f32_e32 v2, v2, v3
	;; [unrolled: 1-line block ×3, first 2 shown]
	s_waitcnt vmcnt(1)
	v_sub_f32_e32 v2, v161, v2
	s_waitcnt vmcnt(0)
	v_sub_f32_e32 v1, v162, v1
	buffer_store_dword v2, off, s[0:3], 0 offset:432
	buffer_store_dword v1, off, s[0:3], 0 offset:436
	v_cmpx_lt_u32_e32 53, v0
	s_cbranch_execz .LBB126_285
; %bb.284:
	s_clause 0x1
	buffer_load_dword v1, off, s[0:3], 0 offset:424
	buffer_load_dword v2, off, s[0:3], 0 offset:428
	v_mov_b32_e32 v3, 0
	buffer_store_dword v3, off, s[0:3], 0 offset:424
	buffer_store_dword v3, off, s[0:3], 0 offset:428
	s_waitcnt vmcnt(0)
	ds_write_b64 v139, v[1:2]
.LBB126_285:
	s_or_b32 exec_lo, exec_lo, s4
	s_waitcnt lgkmcnt(0)
	s_waitcnt_vscnt null, 0x0
	s_barrier
	buffer_gl0_inv
	s_clause 0x13
	buffer_load_dword v12, off, s[0:3], 0 offset:436
	buffer_load_dword v148, off, s[0:3], 0 offset:444
	;; [unrolled: 1-line block ×20, first 2 shown]
	v_mov_b32_e32 v1, 0
	ds_read_b128 v[2:5], v1 offset:944
	ds_read_b128 v[6:9], v1 offset:960
	;; [unrolled: 1-line block ×4, first 2 shown]
	ds_read_b64 v[10:11], v1 offset:1008
	s_mov_b32 s4, exec_lo
	s_waitcnt vmcnt(19) lgkmcnt(4)
	v_mul_f32_e32 v167, v2, v12
	v_mul_f32_e32 v12, v3, v12
	s_waitcnt vmcnt(18)
	v_mul_f32_e32 v168, v4, v148
	v_mul_f32_e32 v148, v5, v148
	s_waitcnt vmcnt(17) lgkmcnt(3)
	v_mul_f32_e32 v169, v6, v149
	s_waitcnt vmcnt(16)
	v_mul_f32_e32 v170, v8, v150
	s_waitcnt vmcnt(15) lgkmcnt(2)
	v_mul_f32_e32 v171, v140, v151
	s_waitcnt vmcnt(14)
	;; [unrolled: 4-line block ×3, first 2 shown]
	v_fma_f32 v2, v2, v156, -v12
	v_fmac_f32_e32 v167, v3, v156
	v_mul_f32_e32 v3, v7, v149
	s_waitcnt vmcnt(9)
	v_fma_f32 v4, v4, v157, -v148
	v_fmac_f32_e32 v168, v5, v157
	v_add_f32_e32 v2, 0, v2
	v_add_f32_e32 v5, 0, v167
	v_mul_f32_e32 v12, v9, v150
	s_waitcnt vmcnt(8)
	v_fma_f32 v3, v6, v158, -v3
	v_fmac_f32_e32 v169, v7, v158
	v_add_f32_e32 v2, v2, v4
	v_add_f32_e32 v4, v5, v168
	;; [unrolled: 6-line block ×5, first 2 shown]
	v_mul_f32_e32 v5, v147, v154
	s_waitcnt vmcnt(4)
	v_fma_f32 v6, v144, v162, -v6
	v_mul_f32_e32 v174, v146, v154
	v_add_f32_e32 v2, v2, v4
	v_fmac_f32_e32 v173, v145, v162
	v_add_f32_e32 v3, v3, v172
	s_waitcnt lgkmcnt(0)
	v_mul_f32_e32 v4, v11, v155
	s_waitcnt vmcnt(3)
	v_fma_f32 v5, v146, v163, -v5
	v_add_f32_e32 v2, v2, v6
	v_mul_f32_e32 v175, v10, v155
	v_fmac_f32_e32 v174, v147, v163
	v_add_f32_e32 v3, v3, v173
	s_waitcnt vmcnt(2)
	v_fma_f32 v4, v10, v164, -v4
	v_add_f32_e32 v2, v2, v5
	v_fmac_f32_e32 v175, v11, v164
	v_add_f32_e32 v3, v3, v174
	v_add_f32_e32 v2, v2, v4
	;; [unrolled: 1-line block ×3, first 2 shown]
	s_waitcnt vmcnt(1)
	v_sub_f32_e32 v2, v165, v2
	s_waitcnt vmcnt(0)
	v_sub_f32_e32 v3, v166, v3
	buffer_store_dword v2, off, s[0:3], 0 offset:424
	buffer_store_dword v3, off, s[0:3], 0 offset:428
	v_cmpx_lt_u32_e32 52, v0
	s_cbranch_execz .LBB126_287
; %bb.286:
	s_clause 0x1
	buffer_load_dword v2, off, s[0:3], 0 offset:416
	buffer_load_dword v3, off, s[0:3], 0 offset:420
	buffer_store_dword v1, off, s[0:3], 0 offset:416
	buffer_store_dword v1, off, s[0:3], 0 offset:420
	s_waitcnt vmcnt(0)
	ds_write_b64 v139, v[2:3]
.LBB126_287:
	s_or_b32 exec_lo, exec_lo, s4
	s_waitcnt lgkmcnt(0)
	s_waitcnt_vscnt null, 0x0
	s_barrier
	buffer_gl0_inv
	s_clause 0x15
	buffer_load_dword v10, off, s[0:3], 0 offset:428
	buffer_load_dword v11, off, s[0:3], 0 offset:436
	;; [unrolled: 1-line block ×22, first 2 shown]
	ds_read2_b64 v[2:5], v1 offset0:117 offset1:118
	ds_read2_b64 v[6:9], v1 offset0:119 offset1:120
	;; [unrolled: 1-line block ×5, first 2 shown]
	s_mov_b32 s4, exec_lo
	s_waitcnt vmcnt(21) lgkmcnt(4)
	v_mul_f32_e32 v1, v2, v10
	v_mul_f32_e32 v10, v3, v10
	s_waitcnt vmcnt(20)
	v_mul_f32_e32 v171, v4, v11
	v_mul_f32_e32 v11, v5, v11
	s_waitcnt vmcnt(19) lgkmcnt(3)
	v_mul_f32_e32 v172, v6, v12
	s_waitcnt vmcnt(18)
	v_mul_f32_e32 v173, v8, v152
	s_waitcnt vmcnt(17) lgkmcnt(2)
	v_mul_f32_e32 v174, v140, v153
	s_waitcnt vmcnt(16)
	;; [unrolled: 4-line block ×3, first 2 shown]
	v_mul_f32_e32 v177, v146, v156
	s_waitcnt vmcnt(11)
	v_fma_f32 v2, v2, v159, -v10
	v_fmac_f32_e32 v1, v3, v159
	v_mul_f32_e32 v3, v7, v12
	s_waitcnt vmcnt(10)
	v_fma_f32 v4, v4, v160, -v11
	v_fmac_f32_e32 v171, v5, v160
	v_add_f32_e32 v2, 0, v2
	v_add_f32_e32 v1, 0, v1
	v_mul_f32_e32 v5, v9, v152
	s_waitcnt vmcnt(9)
	v_fma_f32 v3, v6, v161, -v3
	v_fmac_f32_e32 v172, v7, v161
	v_add_f32_e32 v2, v2, v4
	v_add_f32_e32 v1, v1, v171
	v_mul_f32_e32 v4, v141, v153
	s_waitcnt vmcnt(8)
	v_fma_f32 v5, v8, v162, -v5
	v_fmac_f32_e32 v173, v9, v162
	v_add_f32_e32 v2, v2, v3
	v_add_f32_e32 v1, v1, v172
	v_mul_f32_e32 v3, v143, v154
	s_waitcnt vmcnt(7)
	v_fma_f32 v4, v140, v163, -v4
	v_fmac_f32_e32 v174, v141, v163
	v_add_f32_e32 v2, v2, v5
	v_add_f32_e32 v1, v1, v173
	v_mul_f32_e32 v5, v145, v155
	s_waitcnt vmcnt(6)
	v_fma_f32 v3, v142, v164, -v3
	v_fmac_f32_e32 v175, v143, v164
	v_add_f32_e32 v2, v2, v4
	v_add_f32_e32 v1, v1, v174
	v_mul_f32_e32 v4, v147, v156
	s_waitcnt vmcnt(5)
	v_fma_f32 v5, v144, v165, -v5
	v_fmac_f32_e32 v176, v145, v165
	v_add_f32_e32 v2, v2, v3
	v_add_f32_e32 v1, v1, v175
	s_waitcnt lgkmcnt(0)
	v_mul_f32_e32 v3, v149, v157
	s_waitcnt vmcnt(4)
	v_fma_f32 v4, v146, v166, -v4
	v_mul_f32_e32 v178, v148, v157
	v_add_f32_e32 v2, v2, v5
	v_fmac_f32_e32 v177, v147, v166
	v_add_f32_e32 v1, v1, v176
	v_mul_f32_e32 v5, v151, v158
	s_waitcnt vmcnt(3)
	v_fma_f32 v3, v148, v167, -v3
	v_add_f32_e32 v2, v2, v4
	v_mul_f32_e32 v179, v150, v158
	v_fmac_f32_e32 v178, v149, v167
	v_add_f32_e32 v1, v1, v177
	s_waitcnt vmcnt(2)
	v_fma_f32 v4, v150, v168, -v5
	v_add_f32_e32 v2, v2, v3
	v_fmac_f32_e32 v179, v151, v168
	v_add_f32_e32 v1, v1, v178
	v_add_f32_e32 v2, v2, v4
	;; [unrolled: 1-line block ×3, first 2 shown]
	s_waitcnt vmcnt(1)
	v_sub_f32_e32 v2, v169, v2
	s_waitcnt vmcnt(0)
	v_sub_f32_e32 v1, v170, v1
	buffer_store_dword v2, off, s[0:3], 0 offset:416
	buffer_store_dword v1, off, s[0:3], 0 offset:420
	v_cmpx_lt_u32_e32 51, v0
	s_cbranch_execz .LBB126_289
; %bb.288:
	s_clause 0x1
	buffer_load_dword v1, off, s[0:3], 0 offset:408
	buffer_load_dword v2, off, s[0:3], 0 offset:412
	v_mov_b32_e32 v3, 0
	buffer_store_dword v3, off, s[0:3], 0 offset:408
	buffer_store_dword v3, off, s[0:3], 0 offset:412
	s_waitcnt vmcnt(0)
	ds_write_b64 v139, v[1:2]
.LBB126_289:
	s_or_b32 exec_lo, exec_lo, s4
	s_waitcnt lgkmcnt(0)
	s_waitcnt_vscnt null, 0x0
	s_barrier
	buffer_gl0_inv
	s_clause 0x17
	buffer_load_dword v12, off, s[0:3], 0 offset:420
	buffer_load_dword v152, off, s[0:3], 0 offset:428
	;; [unrolled: 1-line block ×24, first 2 shown]
	v_mov_b32_e32 v1, 0
	ds_read_b128 v[2:5], v1 offset:928
	ds_read_b128 v[6:9], v1 offset:944
	;; [unrolled: 1-line block ×5, first 2 shown]
	ds_read_b64 v[10:11], v1 offset:1008
	s_mov_b32 s4, exec_lo
	s_waitcnt vmcnt(23) lgkmcnt(5)
	v_mul_f32_e32 v175, v2, v12
	v_mul_f32_e32 v12, v3, v12
	s_waitcnt vmcnt(22)
	v_mul_f32_e32 v176, v4, v152
	v_mul_f32_e32 v152, v5, v152
	s_waitcnt vmcnt(21) lgkmcnt(4)
	v_mul_f32_e32 v177, v6, v153
	s_waitcnt vmcnt(20)
	v_mul_f32_e32 v178, v8, v154
	s_waitcnt vmcnt(19) lgkmcnt(3)
	v_mul_f32_e32 v179, v140, v155
	s_waitcnt vmcnt(18)
	;; [unrolled: 4-line block ×4, first 2 shown]
	v_fma_f32 v2, v2, v162, -v12
	v_fmac_f32_e32 v175, v3, v162
	v_mul_f32_e32 v3, v7, v153
	s_waitcnt vmcnt(11)
	v_fma_f32 v4, v4, v163, -v152
	v_fmac_f32_e32 v176, v5, v163
	v_add_f32_e32 v2, 0, v2
	v_add_f32_e32 v5, 0, v175
	v_mul_f32_e32 v12, v9, v154
	s_waitcnt vmcnt(10)
	v_fma_f32 v3, v6, v164, -v3
	v_fmac_f32_e32 v177, v7, v164
	v_add_f32_e32 v2, v2, v4
	v_add_f32_e32 v4, v5, v176
	;; [unrolled: 6-line block ×7, first 2 shown]
	v_mul_f32_e32 v6, v151, v160
	s_waitcnt vmcnt(4)
	v_fma_f32 v4, v148, v170, -v4
	v_mul_f32_e32 v184, v150, v160
	v_add_f32_e32 v2, v2, v5
	v_fmac_f32_e32 v183, v149, v170
	v_add_f32_e32 v3, v3, v182
	s_waitcnt lgkmcnt(0)
	v_mul_f32_e32 v5, v11, v161
	s_waitcnt vmcnt(3)
	v_fma_f32 v6, v150, v171, -v6
	v_add_f32_e32 v2, v2, v4
	v_mul_f32_e32 v185, v10, v161
	v_fmac_f32_e32 v184, v151, v171
	v_add_f32_e32 v3, v3, v183
	s_waitcnt vmcnt(2)
	v_fma_f32 v4, v10, v172, -v5
	v_add_f32_e32 v2, v2, v6
	v_fmac_f32_e32 v185, v11, v172
	v_add_f32_e32 v3, v3, v184
	v_add_f32_e32 v2, v2, v4
	;; [unrolled: 1-line block ×3, first 2 shown]
	s_waitcnt vmcnt(1)
	v_sub_f32_e32 v2, v173, v2
	s_waitcnt vmcnt(0)
	v_sub_f32_e32 v3, v174, v3
	buffer_store_dword v2, off, s[0:3], 0 offset:408
	buffer_store_dword v3, off, s[0:3], 0 offset:412
	v_cmpx_lt_u32_e32 50, v0
	s_cbranch_execz .LBB126_291
; %bb.290:
	s_clause 0x1
	buffer_load_dword v2, off, s[0:3], 0 offset:400
	buffer_load_dword v3, off, s[0:3], 0 offset:404
	buffer_store_dword v1, off, s[0:3], 0 offset:400
	buffer_store_dword v1, off, s[0:3], 0 offset:404
	s_waitcnt vmcnt(0)
	ds_write_b64 v139, v[2:3]
.LBB126_291:
	s_or_b32 exec_lo, exec_lo, s4
	s_waitcnt lgkmcnt(0)
	s_waitcnt_vscnt null, 0x0
	s_barrier
	buffer_gl0_inv
	s_clause 0x19
	buffer_load_dword v10, off, s[0:3], 0 offset:412
	buffer_load_dword v11, off, s[0:3], 0 offset:420
	;; [unrolled: 1-line block ×26, first 2 shown]
	ds_read2_b64 v[2:5], v1 offset0:115 offset1:116
	ds_read2_b64 v[6:9], v1 offset0:117 offset1:118
	;; [unrolled: 1-line block ×6, first 2 shown]
	s_mov_b32 s4, exec_lo
	s_waitcnt vmcnt(25) lgkmcnt(5)
	v_mul_f32_e32 v1, v2, v10
	v_mul_f32_e32 v10, v3, v10
	s_waitcnt vmcnt(24)
	v_mul_f32_e32 v179, v4, v11
	v_mul_f32_e32 v11, v5, v11
	s_waitcnt vmcnt(23) lgkmcnt(4)
	v_mul_f32_e32 v180, v6, v12
	s_waitcnt vmcnt(22)
	v_mul_f32_e32 v181, v8, v156
	s_waitcnt vmcnt(21) lgkmcnt(3)
	v_mul_f32_e32 v182, v140, v157
	s_waitcnt vmcnt(20)
	v_mul_f32_e32 v183, v142, v158
	s_waitcnt vmcnt(19) lgkmcnt(2)
	v_mul_f32_e32 v184, v144, v159
	s_waitcnt vmcnt(18)
	v_mul_f32_e32 v185, v146, v160
	s_waitcnt vmcnt(17) lgkmcnt(1)
	v_mul_f32_e32 v186, v148, v161
	s_waitcnt vmcnt(16)
	v_mul_f32_e32 v187, v150, v162
	s_waitcnt vmcnt(13)
	v_fma_f32 v2, v2, v165, -v10
	v_fmac_f32_e32 v1, v3, v165
	v_mul_f32_e32 v3, v7, v12
	s_waitcnt vmcnt(12)
	v_fma_f32 v4, v4, v166, -v11
	v_fmac_f32_e32 v179, v5, v166
	v_add_f32_e32 v2, 0, v2
	v_add_f32_e32 v1, 0, v1
	v_mul_f32_e32 v5, v9, v156
	s_waitcnt vmcnt(11)
	v_fma_f32 v3, v6, v167, -v3
	v_fmac_f32_e32 v180, v7, v167
	v_add_f32_e32 v2, v2, v4
	v_add_f32_e32 v1, v1, v179
	;; [unrolled: 6-line block ×8, first 2 shown]
	s_waitcnt lgkmcnt(0)
	v_mul_f32_e32 v4, v153, v163
	s_waitcnt vmcnt(4)
	v_fma_f32 v5, v150, v174, -v5
	v_mul_f32_e32 v188, v152, v163
	v_add_f32_e32 v2, v2, v3
	v_fmac_f32_e32 v187, v151, v174
	v_add_f32_e32 v1, v1, v186
	v_mul_f32_e32 v3, v155, v164
	s_waitcnt vmcnt(3)
	v_fma_f32 v4, v152, v175, -v4
	v_add_f32_e32 v2, v2, v5
	v_mul_f32_e32 v189, v154, v164
	v_fmac_f32_e32 v188, v153, v175
	v_add_f32_e32 v1, v1, v187
	s_waitcnt vmcnt(2)
	v_fma_f32 v3, v154, v176, -v3
	v_add_f32_e32 v2, v2, v4
	v_fmac_f32_e32 v189, v155, v176
	v_add_f32_e32 v1, v1, v188
	v_add_f32_e32 v2, v2, v3
	;; [unrolled: 1-line block ×3, first 2 shown]
	s_waitcnt vmcnt(1)
	v_sub_f32_e32 v2, v177, v2
	s_waitcnt vmcnt(0)
	v_sub_f32_e32 v1, v178, v1
	buffer_store_dword v2, off, s[0:3], 0 offset:400
	buffer_store_dword v1, off, s[0:3], 0 offset:404
	v_cmpx_lt_u32_e32 49, v0
	s_cbranch_execz .LBB126_293
; %bb.292:
	s_clause 0x1
	buffer_load_dword v1, off, s[0:3], 0 offset:392
	buffer_load_dword v2, off, s[0:3], 0 offset:396
	v_mov_b32_e32 v3, 0
	buffer_store_dword v3, off, s[0:3], 0 offset:392
	buffer_store_dword v3, off, s[0:3], 0 offset:396
	s_waitcnt vmcnt(0)
	ds_write_b64 v139, v[1:2]
.LBB126_293:
	s_or_b32 exec_lo, exec_lo, s4
	s_waitcnt lgkmcnt(0)
	s_waitcnt_vscnt null, 0x0
	s_barrier
	buffer_gl0_inv
	s_clause 0x1b
	buffer_load_dword v12, off, s[0:3], 0 offset:404
	buffer_load_dword v156, off, s[0:3], 0 offset:412
	;; [unrolled: 1-line block ×28, first 2 shown]
	v_mov_b32_e32 v1, 0
	ds_read_b128 v[2:5], v1 offset:912
	ds_read_b128 v[6:9], v1 offset:928
	;; [unrolled: 1-line block ×6, first 2 shown]
	ds_read_b64 v[10:11], v1 offset:1008
	s_mov_b32 s4, exec_lo
	s_waitcnt vmcnt(27) lgkmcnt(6)
	v_mul_f32_e32 v183, v2, v12
	v_mul_f32_e32 v12, v3, v12
	s_waitcnt vmcnt(26)
	v_mul_f32_e32 v184, v4, v156
	v_mul_f32_e32 v156, v5, v156
	s_waitcnt vmcnt(25) lgkmcnt(5)
	v_mul_f32_e32 v185, v6, v157
	s_waitcnt vmcnt(24)
	v_mul_f32_e32 v186, v8, v158
	s_waitcnt vmcnt(23) lgkmcnt(4)
	v_mul_f32_e32 v187, v140, v159
	s_waitcnt vmcnt(22)
	;; [unrolled: 4-line block ×5, first 2 shown]
	v_fma_f32 v2, v2, v168, -v12
	v_fmac_f32_e32 v183, v3, v168
	v_mul_f32_e32 v3, v7, v157
	s_waitcnt vmcnt(13)
	v_fma_f32 v4, v4, v169, -v156
	v_fmac_f32_e32 v184, v5, v169
	v_add_f32_e32 v2, 0, v2
	v_add_f32_e32 v5, 0, v183
	v_mul_f32_e32 v12, v9, v158
	s_waitcnt vmcnt(12)
	v_fma_f32 v3, v6, v170, -v3
	v_fmac_f32_e32 v185, v7, v170
	v_add_f32_e32 v2, v2, v4
	v_add_f32_e32 v4, v5, v184
	;; [unrolled: 6-line block ×9, first 2 shown]
	v_mul_f32_e32 v4, v155, v166
	s_waitcnt vmcnt(4)
	v_fma_f32 v5, v152, v178, -v5
	v_mul_f32_e32 v194, v154, v166
	v_add_f32_e32 v2, v2, v6
	v_fmac_f32_e32 v193, v153, v178
	v_add_f32_e32 v3, v3, v192
	s_waitcnt lgkmcnt(0)
	v_mul_f32_e32 v6, v11, v167
	s_waitcnt vmcnt(3)
	v_fma_f32 v4, v154, v179, -v4
	v_add_f32_e32 v2, v2, v5
	v_mul_f32_e32 v195, v10, v167
	v_fmac_f32_e32 v194, v155, v179
	v_add_f32_e32 v3, v3, v193
	s_waitcnt vmcnt(2)
	v_fma_f32 v5, v10, v180, -v6
	v_add_f32_e32 v2, v2, v4
	v_fmac_f32_e32 v195, v11, v180
	v_add_f32_e32 v3, v3, v194
	v_add_f32_e32 v2, v2, v5
	;; [unrolled: 1-line block ×3, first 2 shown]
	s_waitcnt vmcnt(1)
	v_sub_f32_e32 v2, v181, v2
	s_waitcnt vmcnt(0)
	v_sub_f32_e32 v3, v182, v3
	buffer_store_dword v2, off, s[0:3], 0 offset:392
	buffer_store_dword v3, off, s[0:3], 0 offset:396
	v_cmpx_lt_u32_e32 48, v0
	s_cbranch_execz .LBB126_295
; %bb.294:
	s_clause 0x1
	buffer_load_dword v2, off, s[0:3], 0 offset:384
	buffer_load_dword v3, off, s[0:3], 0 offset:388
	buffer_store_dword v1, off, s[0:3], 0 offset:384
	buffer_store_dword v1, off, s[0:3], 0 offset:388
	s_waitcnt vmcnt(0)
	ds_write_b64 v139, v[2:3]
.LBB126_295:
	s_or_b32 exec_lo, exec_lo, s4
	s_waitcnt lgkmcnt(0)
	s_waitcnt_vscnt null, 0x0
	s_barrier
	buffer_gl0_inv
	s_clause 0x1d
	buffer_load_dword v10, off, s[0:3], 0 offset:396
	buffer_load_dword v11, off, s[0:3], 0 offset:404
	;; [unrolled: 1-line block ×30, first 2 shown]
	ds_read2_b64 v[2:5], v1 offset0:113 offset1:114
	ds_read2_b64 v[6:9], v1 offset0:115 offset1:116
	;; [unrolled: 1-line block ×7, first 2 shown]
	s_mov_b32 s4, exec_lo
	s_waitcnt vmcnt(29) lgkmcnt(6)
	v_mul_f32_e32 v1, v2, v10
	v_mul_f32_e32 v10, v3, v10
	s_waitcnt vmcnt(28)
	v_mul_f32_e32 v187, v4, v11
	v_mul_f32_e32 v11, v5, v11
	s_waitcnt vmcnt(27) lgkmcnt(5)
	v_mul_f32_e32 v188, v6, v12
	s_waitcnt vmcnt(26)
	v_mul_f32_e32 v189, v8, v160
	s_waitcnt vmcnt(25) lgkmcnt(4)
	v_mul_f32_e32 v190, v140, v161
	s_waitcnt vmcnt(24)
	;; [unrolled: 4-line block ×5, first 2 shown]
	v_mul_f32_e32 v197, v154, v168
	s_waitcnt vmcnt(15)
	v_fma_f32 v2, v2, v171, -v10
	v_fmac_f32_e32 v1, v3, v171
	v_mul_f32_e32 v3, v7, v12
	s_waitcnt vmcnt(14)
	v_fma_f32 v4, v4, v172, -v11
	v_fmac_f32_e32 v187, v5, v172
	v_add_f32_e32 v2, 0, v2
	v_add_f32_e32 v1, 0, v1
	v_mul_f32_e32 v5, v9, v160
	s_waitcnt vmcnt(13)
	v_fma_f32 v3, v6, v173, -v3
	v_fmac_f32_e32 v188, v7, v173
	v_add_f32_e32 v2, v2, v4
	v_add_f32_e32 v1, v1, v187
	;; [unrolled: 6-line block ×10, first 2 shown]
	s_waitcnt lgkmcnt(0)
	v_mul_f32_e32 v5, v157, v169
	s_waitcnt vmcnt(4)
	v_fma_f32 v3, v154, v182, -v3
	v_mul_f32_e32 v198, v156, v169
	v_add_f32_e32 v2, v2, v4
	v_fmac_f32_e32 v197, v155, v182
	v_add_f32_e32 v1, v1, v196
	v_mul_f32_e32 v4, v159, v170
	s_waitcnt vmcnt(3)
	v_fma_f32 v5, v156, v183, -v5
	v_add_f32_e32 v2, v2, v3
	v_mul_f32_e32 v199, v158, v170
	v_fmac_f32_e32 v198, v157, v183
	v_add_f32_e32 v1, v1, v197
	s_waitcnt vmcnt(2)
	v_fma_f32 v3, v158, v184, -v4
	v_add_f32_e32 v2, v2, v5
	v_fmac_f32_e32 v199, v159, v184
	v_add_f32_e32 v1, v1, v198
	v_add_f32_e32 v2, v2, v3
	;; [unrolled: 1-line block ×3, first 2 shown]
	s_waitcnt vmcnt(1)
	v_sub_f32_e32 v2, v185, v2
	s_waitcnt vmcnt(0)
	v_sub_f32_e32 v1, v186, v1
	buffer_store_dword v2, off, s[0:3], 0 offset:384
	buffer_store_dword v1, off, s[0:3], 0 offset:388
	v_cmpx_lt_u32_e32 47, v0
	s_cbranch_execz .LBB126_297
; %bb.296:
	s_clause 0x1
	buffer_load_dword v1, off, s[0:3], 0 offset:376
	buffer_load_dword v2, off, s[0:3], 0 offset:380
	v_mov_b32_e32 v3, 0
	buffer_store_dword v3, off, s[0:3], 0 offset:376
	buffer_store_dword v3, off, s[0:3], 0 offset:380
	s_waitcnt vmcnt(0)
	ds_write_b64 v139, v[1:2]
.LBB126_297:
	s_or_b32 exec_lo, exec_lo, s4
	s_waitcnt lgkmcnt(0)
	s_waitcnt_vscnt null, 0x0
	s_barrier
	buffer_gl0_inv
	s_clause 0x1f
	buffer_load_dword v12, off, s[0:3], 0 offset:388
	buffer_load_dword v160, off, s[0:3], 0 offset:396
	;; [unrolled: 1-line block ×32, first 2 shown]
	v_mov_b32_e32 v1, 0
	ds_read_b128 v[2:5], v1 offset:896
	ds_read_b128 v[6:9], v1 offset:912
	;; [unrolled: 1-line block ×7, first 2 shown]
	ds_read_b64 v[10:11], v1 offset:1008
	s_mov_b32 s4, exec_lo
	s_waitcnt vmcnt(31) lgkmcnt(7)
	v_mul_f32_e32 v191, v2, v12
	v_mul_f32_e32 v12, v3, v12
	s_waitcnt vmcnt(30)
	v_mul_f32_e32 v192, v4, v160
	v_mul_f32_e32 v160, v5, v160
	s_waitcnt vmcnt(29) lgkmcnt(6)
	v_mul_f32_e32 v193, v6, v161
	s_waitcnt vmcnt(28)
	v_mul_f32_e32 v194, v8, v162
	s_waitcnt vmcnt(27) lgkmcnt(5)
	v_mul_f32_e32 v195, v140, v163
	s_waitcnt vmcnt(26)
	;; [unrolled: 4-line block ×6, first 2 shown]
	v_fma_f32 v2, v2, v174, -v12
	v_fmac_f32_e32 v191, v3, v174
	v_mul_f32_e32 v3, v7, v161
	s_waitcnt vmcnt(15)
	v_fma_f32 v4, v4, v175, -v160
	v_fmac_f32_e32 v192, v5, v175
	v_add_f32_e32 v2, 0, v2
	v_add_f32_e32 v5, 0, v191
	v_mul_f32_e32 v12, v9, v162
	s_waitcnt vmcnt(14)
	v_fma_f32 v3, v6, v176, -v3
	v_fmac_f32_e32 v193, v7, v176
	v_add_f32_e32 v2, v2, v4
	v_add_f32_e32 v4, v5, v192
	;; [unrolled: 6-line block ×11, first 2 shown]
	v_mul_f32_e32 v5, v159, v172
	s_waitcnt vmcnt(4)
	v_fma_f32 v6, v156, v186, -v6
	v_mul_f32_e32 v204, v158, v172
	v_add_f32_e32 v2, v2, v4
	v_fmac_f32_e32 v203, v157, v186
	v_add_f32_e32 v3, v3, v202
	s_waitcnt lgkmcnt(0)
	v_mul_f32_e32 v4, v11, v173
	s_waitcnt vmcnt(3)
	v_fma_f32 v5, v158, v187, -v5
	v_add_f32_e32 v2, v2, v6
	v_mul_f32_e32 v205, v10, v173
	v_fmac_f32_e32 v204, v159, v187
	v_add_f32_e32 v3, v3, v203
	s_waitcnt vmcnt(2)
	v_fma_f32 v4, v10, v188, -v4
	v_add_f32_e32 v2, v2, v5
	v_fmac_f32_e32 v205, v11, v188
	v_add_f32_e32 v3, v3, v204
	v_add_f32_e32 v2, v2, v4
	;; [unrolled: 1-line block ×3, first 2 shown]
	s_waitcnt vmcnt(1)
	v_sub_f32_e32 v2, v189, v2
	s_waitcnt vmcnt(0)
	v_sub_f32_e32 v3, v190, v3
	buffer_store_dword v2, off, s[0:3], 0 offset:376
	buffer_store_dword v3, off, s[0:3], 0 offset:380
	v_cmpx_lt_u32_e32 46, v0
	s_cbranch_execz .LBB126_299
; %bb.298:
	s_clause 0x1
	buffer_load_dword v2, off, s[0:3], 0 offset:368
	buffer_load_dword v3, off, s[0:3], 0 offset:372
	buffer_store_dword v1, off, s[0:3], 0 offset:368
	buffer_store_dword v1, off, s[0:3], 0 offset:372
	s_waitcnt vmcnt(0)
	ds_write_b64 v139, v[2:3]
.LBB126_299:
	s_or_b32 exec_lo, exec_lo, s4
	s_waitcnt lgkmcnt(0)
	s_waitcnt_vscnt null, 0x0
	s_barrier
	buffer_gl0_inv
	s_clause 0x21
	buffer_load_dword v10, off, s[0:3], 0 offset:380
	buffer_load_dword v11, off, s[0:3], 0 offset:388
	;; [unrolled: 1-line block ×34, first 2 shown]
	ds_read2_b64 v[2:5], v1 offset0:111 offset1:112
	ds_read2_b64 v[6:9], v1 offset0:113 offset1:114
	ds_read2_b64 v[140:143], v1 offset0:115 offset1:116
	ds_read2_b64 v[144:147], v1 offset0:117 offset1:118
	ds_read2_b64 v[148:151], v1 offset0:119 offset1:120
	ds_read2_b64 v[152:155], v1 offset0:121 offset1:122
	ds_read2_b64 v[156:159], v1 offset0:123 offset1:124
	ds_read2_b64 v[160:163], v1 offset0:125 offset1:126
	s_mov_b32 s4, exec_lo
	s_waitcnt vmcnt(33) lgkmcnt(7)
	v_mul_f32_e32 v1, v2, v10
	v_mul_f32_e32 v10, v3, v10
	s_waitcnt vmcnt(32)
	v_mul_f32_e32 v195, v4, v11
	v_mul_f32_e32 v11, v5, v11
	s_waitcnt vmcnt(31) lgkmcnt(6)
	v_mul_f32_e32 v196, v6, v12
	s_waitcnt vmcnt(30)
	v_mul_f32_e32 v197, v8, v164
	s_waitcnt vmcnt(29) lgkmcnt(5)
	v_mul_f32_e32 v198, v140, v165
	s_waitcnt vmcnt(28)
	;; [unrolled: 4-line block ×6, first 2 shown]
	v_mul_f32_e32 v207, v158, v174
	s_waitcnt vmcnt(17)
	v_fma_f32 v2, v2, v177, -v10
	v_fmac_f32_e32 v1, v3, v177
	v_mul_f32_e32 v3, v7, v12
	s_waitcnt vmcnt(16)
	v_fma_f32 v4, v4, v178, -v11
	v_fmac_f32_e32 v195, v5, v178
	v_add_f32_e32 v2, 0, v2
	v_add_f32_e32 v1, 0, v1
	v_mul_f32_e32 v5, v9, v164
	s_waitcnt vmcnt(15)
	v_fma_f32 v3, v6, v179, -v3
	v_fmac_f32_e32 v196, v7, v179
	v_add_f32_e32 v2, v2, v4
	v_add_f32_e32 v1, v1, v195
	;; [unrolled: 6-line block ×12, first 2 shown]
	s_waitcnt lgkmcnt(0)
	v_mul_f32_e32 v3, v161, v175
	s_waitcnt vmcnt(4)
	v_fma_f32 v4, v158, v190, -v4
	v_mul_f32_e32 v208, v160, v175
	v_add_f32_e32 v2, v2, v5
	v_fmac_f32_e32 v207, v159, v190
	v_add_f32_e32 v1, v1, v206
	v_mul_f32_e32 v5, v163, v176
	s_waitcnt vmcnt(3)
	v_fma_f32 v3, v160, v191, -v3
	v_add_f32_e32 v2, v2, v4
	v_mul_f32_e32 v209, v162, v176
	v_fmac_f32_e32 v208, v161, v191
	v_add_f32_e32 v1, v1, v207
	s_waitcnt vmcnt(2)
	v_fma_f32 v4, v162, v192, -v5
	v_add_f32_e32 v2, v2, v3
	v_fmac_f32_e32 v209, v163, v192
	v_add_f32_e32 v1, v1, v208
	v_add_f32_e32 v2, v2, v4
	;; [unrolled: 1-line block ×3, first 2 shown]
	s_waitcnt vmcnt(1)
	v_sub_f32_e32 v2, v193, v2
	s_waitcnt vmcnt(0)
	v_sub_f32_e32 v1, v194, v1
	buffer_store_dword v2, off, s[0:3], 0 offset:368
	buffer_store_dword v1, off, s[0:3], 0 offset:372
	v_cmpx_lt_u32_e32 45, v0
	s_cbranch_execz .LBB126_301
; %bb.300:
	s_clause 0x1
	buffer_load_dword v1, off, s[0:3], 0 offset:360
	buffer_load_dword v2, off, s[0:3], 0 offset:364
	v_mov_b32_e32 v3, 0
	buffer_store_dword v3, off, s[0:3], 0 offset:360
	buffer_store_dword v3, off, s[0:3], 0 offset:364
	s_waitcnt vmcnt(0)
	ds_write_b64 v139, v[1:2]
.LBB126_301:
	s_or_b32 exec_lo, exec_lo, s4
	s_waitcnt lgkmcnt(0)
	s_waitcnt_vscnt null, 0x0
	s_barrier
	buffer_gl0_inv
	s_clause 0x23
	buffer_load_dword v12, off, s[0:3], 0 offset:372
	buffer_load_dword v164, off, s[0:3], 0 offset:380
	;; [unrolled: 1-line block ×36, first 2 shown]
	v_mov_b32_e32 v1, 0
	ds_read_b128 v[2:5], v1 offset:880
	ds_read_b128 v[6:9], v1 offset:896
	;; [unrolled: 1-line block ×8, first 2 shown]
	ds_read_b64 v[10:11], v1 offset:1008
	s_mov_b32 s4, exec_lo
	s_waitcnt vmcnt(35) lgkmcnt(8)
	v_mul_f32_e32 v199, v2, v12
	v_mul_f32_e32 v12, v3, v12
	s_waitcnt vmcnt(34)
	v_mul_f32_e32 v200, v4, v164
	v_mul_f32_e32 v164, v5, v164
	s_waitcnt vmcnt(33) lgkmcnt(7)
	v_mul_f32_e32 v201, v6, v165
	s_waitcnt vmcnt(32)
	v_mul_f32_e32 v202, v8, v166
	s_waitcnt vmcnt(31) lgkmcnt(6)
	v_mul_f32_e32 v203, v140, v167
	s_waitcnt vmcnt(30)
	;; [unrolled: 4-line block ×7, first 2 shown]
	v_fma_f32 v2, v2, v180, -v12
	v_fmac_f32_e32 v199, v3, v180
	v_mul_f32_e32 v3, v7, v165
	s_waitcnt vmcnt(17)
	v_fma_f32 v4, v4, v181, -v164
	v_fmac_f32_e32 v200, v5, v181
	v_add_f32_e32 v2, 0, v2
	v_add_f32_e32 v5, 0, v199
	v_mul_f32_e32 v12, v9, v166
	s_waitcnt vmcnt(16)
	v_fma_f32 v3, v6, v182, -v3
	v_fmac_f32_e32 v201, v7, v182
	v_add_f32_e32 v2, v2, v4
	v_add_f32_e32 v4, v5, v200
	;; [unrolled: 6-line block ×13, first 2 shown]
	v_mul_f32_e32 v6, v163, v178
	s_waitcnt vmcnt(4)
	v_fma_f32 v4, v160, v194, -v4
	v_mul_f32_e32 v214, v162, v178
	v_add_f32_e32 v2, v2, v5
	v_fmac_f32_e32 v213, v161, v194
	v_add_f32_e32 v3, v3, v212
	s_waitcnt lgkmcnt(0)
	v_mul_f32_e32 v5, v11, v179
	s_waitcnt vmcnt(3)
	v_fma_f32 v6, v162, v195, -v6
	v_add_f32_e32 v2, v2, v4
	v_mul_f32_e32 v215, v10, v179
	v_fmac_f32_e32 v214, v163, v195
	v_add_f32_e32 v3, v3, v213
	s_waitcnt vmcnt(2)
	v_fma_f32 v4, v10, v196, -v5
	v_add_f32_e32 v2, v2, v6
	v_fmac_f32_e32 v215, v11, v196
	v_add_f32_e32 v3, v3, v214
	v_add_f32_e32 v2, v2, v4
	;; [unrolled: 1-line block ×3, first 2 shown]
	s_waitcnt vmcnt(1)
	v_sub_f32_e32 v2, v197, v2
	s_waitcnt vmcnt(0)
	v_sub_f32_e32 v3, v198, v3
	buffer_store_dword v2, off, s[0:3], 0 offset:360
	buffer_store_dword v3, off, s[0:3], 0 offset:364
	v_cmpx_lt_u32_e32 44, v0
	s_cbranch_execz .LBB126_303
; %bb.302:
	s_clause 0x1
	buffer_load_dword v2, off, s[0:3], 0 offset:352
	buffer_load_dword v3, off, s[0:3], 0 offset:356
	buffer_store_dword v1, off, s[0:3], 0 offset:352
	buffer_store_dword v1, off, s[0:3], 0 offset:356
	s_waitcnt vmcnt(0)
	ds_write_b64 v139, v[2:3]
.LBB126_303:
	s_or_b32 exec_lo, exec_lo, s4
	s_waitcnt lgkmcnt(0)
	s_waitcnt_vscnt null, 0x0
	s_barrier
	buffer_gl0_inv
	s_clause 0x25
	buffer_load_dword v10, off, s[0:3], 0 offset:364
	buffer_load_dword v11, off, s[0:3], 0 offset:372
	;; [unrolled: 1-line block ×38, first 2 shown]
	ds_read2_b64 v[2:5], v1 offset0:109 offset1:110
	ds_read2_b64 v[6:9], v1 offset0:111 offset1:112
	;; [unrolled: 1-line block ×9, first 2 shown]
	s_mov_b32 s4, exec_lo
	s_waitcnt vmcnt(37) lgkmcnt(8)
	v_mul_f32_e32 v1, v2, v10
	v_mul_f32_e32 v10, v3, v10
	s_waitcnt vmcnt(36)
	v_mul_f32_e32 v203, v4, v11
	v_mul_f32_e32 v11, v5, v11
	s_waitcnt vmcnt(35) lgkmcnt(7)
	v_mul_f32_e32 v204, v6, v12
	s_waitcnt vmcnt(34)
	v_mul_f32_e32 v205, v8, v168
	s_waitcnt vmcnt(33) lgkmcnt(6)
	v_mul_f32_e32 v206, v140, v169
	s_waitcnt vmcnt(32)
	;; [unrolled: 4-line block ×7, first 2 shown]
	v_mul_f32_e32 v217, v162, v180
	s_waitcnt vmcnt(19)
	v_fma_f32 v2, v2, v183, -v10
	v_fmac_f32_e32 v1, v3, v183
	v_mul_f32_e32 v3, v7, v12
	s_waitcnt vmcnt(18)
	v_fma_f32 v4, v4, v184, -v11
	v_fmac_f32_e32 v203, v5, v184
	v_add_f32_e32 v2, 0, v2
	v_add_f32_e32 v1, 0, v1
	v_mul_f32_e32 v5, v9, v168
	s_waitcnt vmcnt(17)
	v_fma_f32 v3, v6, v185, -v3
	v_fmac_f32_e32 v204, v7, v185
	v_add_f32_e32 v2, v2, v4
	v_add_f32_e32 v1, v1, v203
	;; [unrolled: 6-line block ×14, first 2 shown]
	s_waitcnt lgkmcnt(0)
	v_mul_f32_e32 v4, v165, v181
	s_waitcnt vmcnt(4)
	v_fma_f32 v5, v162, v198, -v5
	v_mul_f32_e32 v218, v164, v181
	v_add_f32_e32 v2, v2, v3
	v_fmac_f32_e32 v217, v163, v198
	v_add_f32_e32 v1, v1, v216
	v_mul_f32_e32 v3, v167, v182
	s_waitcnt vmcnt(3)
	v_fma_f32 v4, v164, v199, -v4
	v_add_f32_e32 v2, v2, v5
	v_mul_f32_e32 v219, v166, v182
	v_fmac_f32_e32 v218, v165, v199
	v_add_f32_e32 v1, v1, v217
	s_waitcnt vmcnt(2)
	v_fma_f32 v3, v166, v200, -v3
	v_add_f32_e32 v2, v2, v4
	v_fmac_f32_e32 v219, v167, v200
	v_add_f32_e32 v1, v1, v218
	v_add_f32_e32 v2, v2, v3
	;; [unrolled: 1-line block ×3, first 2 shown]
	s_waitcnt vmcnt(1)
	v_sub_f32_e32 v2, v201, v2
	s_waitcnt vmcnt(0)
	v_sub_f32_e32 v1, v202, v1
	buffer_store_dword v2, off, s[0:3], 0 offset:352
	buffer_store_dword v1, off, s[0:3], 0 offset:356
	v_cmpx_lt_u32_e32 43, v0
	s_cbranch_execz .LBB126_305
; %bb.304:
	s_clause 0x1
	buffer_load_dword v1, off, s[0:3], 0 offset:344
	buffer_load_dword v2, off, s[0:3], 0 offset:348
	v_mov_b32_e32 v3, 0
	buffer_store_dword v3, off, s[0:3], 0 offset:344
	buffer_store_dword v3, off, s[0:3], 0 offset:348
	s_waitcnt vmcnt(0)
	ds_write_b64 v139, v[1:2]
.LBB126_305:
	s_or_b32 exec_lo, exec_lo, s4
	s_waitcnt lgkmcnt(0)
	s_waitcnt_vscnt null, 0x0
	s_barrier
	buffer_gl0_inv
	s_clause 0x27
	buffer_load_dword v12, off, s[0:3], 0 offset:356
	buffer_load_dword v168, off, s[0:3], 0 offset:364
	;; [unrolled: 1-line block ×40, first 2 shown]
	v_mov_b32_e32 v1, 0
	ds_read_b128 v[2:5], v1 offset:864
	ds_read_b128 v[6:9], v1 offset:880
	;; [unrolled: 1-line block ×9, first 2 shown]
	ds_read_b64 v[10:11], v1 offset:1008
	s_mov_b32 s4, exec_lo
	s_waitcnt vmcnt(39) lgkmcnt(9)
	v_mul_f32_e32 v207, v2, v12
	v_mul_f32_e32 v12, v3, v12
	s_waitcnt vmcnt(38)
	v_mul_f32_e32 v208, v4, v168
	v_mul_f32_e32 v168, v5, v168
	s_waitcnt vmcnt(37) lgkmcnt(8)
	v_mul_f32_e32 v209, v6, v169
	s_waitcnt vmcnt(36)
	v_mul_f32_e32 v210, v8, v170
	s_waitcnt vmcnt(35) lgkmcnt(7)
	v_mul_f32_e32 v211, v140, v171
	s_waitcnt vmcnt(34)
	;; [unrolled: 4-line block ×8, first 2 shown]
	v_fma_f32 v2, v2, v186, -v12
	v_fmac_f32_e32 v207, v3, v186
	v_mul_f32_e32 v3, v7, v169
	s_waitcnt vmcnt(19)
	v_fma_f32 v4, v4, v187, -v168
	v_fmac_f32_e32 v208, v5, v187
	v_add_f32_e32 v2, 0, v2
	v_add_f32_e32 v5, 0, v207
	v_mul_f32_e32 v12, v9, v170
	s_waitcnt vmcnt(18)
	v_fma_f32 v3, v6, v188, -v3
	v_fmac_f32_e32 v209, v7, v188
	v_add_f32_e32 v2, v2, v4
	v_add_f32_e32 v4, v5, v208
	;; [unrolled: 6-line block ×15, first 2 shown]
	v_mul_f32_e32 v4, v167, v184
	s_waitcnt vmcnt(4)
	v_fma_f32 v5, v164, v202, -v5
	v_mul_f32_e32 v224, v166, v184
	v_add_f32_e32 v2, v2, v6
	v_fmac_f32_e32 v223, v165, v202
	v_add_f32_e32 v3, v3, v222
	s_waitcnt lgkmcnt(0)
	v_mul_f32_e32 v6, v11, v185
	s_waitcnt vmcnt(3)
	v_fma_f32 v4, v166, v203, -v4
	v_add_f32_e32 v2, v2, v5
	v_mul_f32_e32 v225, v10, v185
	v_fmac_f32_e32 v224, v167, v203
	v_add_f32_e32 v3, v3, v223
	s_waitcnt vmcnt(2)
	v_fma_f32 v5, v10, v204, -v6
	v_add_f32_e32 v2, v2, v4
	v_fmac_f32_e32 v225, v11, v204
	v_add_f32_e32 v3, v3, v224
	v_add_f32_e32 v2, v2, v5
	;; [unrolled: 1-line block ×3, first 2 shown]
	s_waitcnt vmcnt(1)
	v_sub_f32_e32 v2, v205, v2
	s_waitcnt vmcnt(0)
	v_sub_f32_e32 v3, v206, v3
	buffer_store_dword v2, off, s[0:3], 0 offset:344
	buffer_store_dword v3, off, s[0:3], 0 offset:348
	v_cmpx_lt_u32_e32 42, v0
	s_cbranch_execz .LBB126_307
; %bb.306:
	s_clause 0x1
	buffer_load_dword v2, off, s[0:3], 0 offset:336
	buffer_load_dword v3, off, s[0:3], 0 offset:340
	buffer_store_dword v1, off, s[0:3], 0 offset:336
	buffer_store_dword v1, off, s[0:3], 0 offset:340
	s_waitcnt vmcnt(0)
	ds_write_b64 v139, v[2:3]
.LBB126_307:
	s_or_b32 exec_lo, exec_lo, s4
	s_waitcnt lgkmcnt(0)
	s_waitcnt_vscnt null, 0x0
	s_barrier
	buffer_gl0_inv
	s_clause 0x29
	buffer_load_dword v10, off, s[0:3], 0 offset:348
	buffer_load_dword v11, off, s[0:3], 0 offset:356
	;; [unrolled: 1-line block ×42, first 2 shown]
	ds_read2_b64 v[2:5], v1 offset0:107 offset1:108
	ds_read2_b64 v[6:9], v1 offset0:109 offset1:110
	;; [unrolled: 1-line block ×10, first 2 shown]
	s_mov_b32 s4, exec_lo
	s_waitcnt vmcnt(41) lgkmcnt(9)
	v_mul_f32_e32 v1, v2, v10
	v_mul_f32_e32 v10, v3, v10
	s_waitcnt vmcnt(40)
	v_mul_f32_e32 v211, v4, v11
	v_mul_f32_e32 v11, v5, v11
	s_waitcnt vmcnt(39) lgkmcnt(8)
	v_mul_f32_e32 v212, v6, v12
	s_waitcnt vmcnt(38)
	v_mul_f32_e32 v213, v8, v172
	s_waitcnt vmcnt(37) lgkmcnt(7)
	v_mul_f32_e32 v214, v140, v173
	s_waitcnt vmcnt(36)
	;; [unrolled: 4-line block ×8, first 2 shown]
	v_mul_f32_e32 v227, v166, v186
	s_waitcnt vmcnt(21)
	v_fma_f32 v2, v2, v189, -v10
	v_fmac_f32_e32 v1, v3, v189
	v_mul_f32_e32 v3, v7, v12
	s_waitcnt vmcnt(20)
	v_fma_f32 v4, v4, v190, -v11
	v_fmac_f32_e32 v211, v5, v190
	v_add_f32_e32 v2, 0, v2
	v_add_f32_e32 v1, 0, v1
	v_mul_f32_e32 v5, v9, v172
	s_waitcnt vmcnt(19)
	v_fma_f32 v3, v6, v191, -v3
	v_fmac_f32_e32 v212, v7, v191
	v_add_f32_e32 v2, v2, v4
	v_add_f32_e32 v1, v1, v211
	;; [unrolled: 6-line block ×16, first 2 shown]
	s_waitcnt lgkmcnt(0)
	v_mul_f32_e32 v5, v169, v187
	s_waitcnt vmcnt(4)
	v_fma_f32 v3, v166, v206, -v3
	v_mul_f32_e32 v228, v168, v187
	v_add_f32_e32 v2, v2, v4
	v_fmac_f32_e32 v227, v167, v206
	v_add_f32_e32 v1, v1, v226
	v_mul_f32_e32 v4, v171, v188
	s_waitcnt vmcnt(3)
	v_fma_f32 v5, v168, v207, -v5
	v_add_f32_e32 v2, v2, v3
	v_mul_f32_e32 v229, v170, v188
	v_fmac_f32_e32 v228, v169, v207
	v_add_f32_e32 v1, v1, v227
	s_waitcnt vmcnt(2)
	v_fma_f32 v3, v170, v208, -v4
	v_add_f32_e32 v2, v2, v5
	v_fmac_f32_e32 v229, v171, v208
	v_add_f32_e32 v1, v1, v228
	v_add_f32_e32 v2, v2, v3
	;; [unrolled: 1-line block ×3, first 2 shown]
	s_waitcnt vmcnt(1)
	v_sub_f32_e32 v2, v209, v2
	s_waitcnt vmcnt(0)
	v_sub_f32_e32 v1, v210, v1
	buffer_store_dword v2, off, s[0:3], 0 offset:336
	buffer_store_dword v1, off, s[0:3], 0 offset:340
	v_cmpx_lt_u32_e32 41, v0
	s_cbranch_execz .LBB126_309
; %bb.308:
	s_clause 0x1
	buffer_load_dword v1, off, s[0:3], 0 offset:328
	buffer_load_dword v2, off, s[0:3], 0 offset:332
	v_mov_b32_e32 v3, 0
	buffer_store_dword v3, off, s[0:3], 0 offset:328
	buffer_store_dword v3, off, s[0:3], 0 offset:332
	s_waitcnt vmcnt(0)
	ds_write_b64 v139, v[1:2]
.LBB126_309:
	s_or_b32 exec_lo, exec_lo, s4
	s_waitcnt lgkmcnt(0)
	s_waitcnt_vscnt null, 0x0
	s_barrier
	buffer_gl0_inv
	s_clause 0x2b
	buffer_load_dword v12, off, s[0:3], 0 offset:340
	buffer_load_dword v172, off, s[0:3], 0 offset:348
	;; [unrolled: 1-line block ×44, first 2 shown]
	v_mov_b32_e32 v1, 0
	ds_read_b128 v[2:5], v1 offset:848
	ds_read_b128 v[6:9], v1 offset:864
	ds_read_b128 v[140:143], v1 offset:880
	ds_read_b128 v[144:147], v1 offset:896
	ds_read_b128 v[148:151], v1 offset:912
	ds_read_b128 v[152:155], v1 offset:928
	ds_read_b128 v[156:159], v1 offset:944
	ds_read_b128 v[160:163], v1 offset:960
	ds_read_b128 v[164:167], v1 offset:976
	ds_read_b128 v[168:171], v1 offset:992
	ds_read_b64 v[10:11], v1 offset:1008
	s_mov_b32 s4, exec_lo
	s_waitcnt vmcnt(43) lgkmcnt(10)
	v_mul_f32_e32 v215, v2, v12
	v_mul_f32_e32 v12, v3, v12
	s_waitcnt vmcnt(42)
	v_mul_f32_e32 v216, v4, v172
	v_mul_f32_e32 v172, v5, v172
	s_waitcnt vmcnt(41) lgkmcnt(9)
	v_mul_f32_e32 v217, v6, v173
	s_waitcnt vmcnt(40)
	v_mul_f32_e32 v218, v8, v174
	s_waitcnt vmcnt(39) lgkmcnt(8)
	v_mul_f32_e32 v219, v140, v175
	s_waitcnt vmcnt(38)
	;; [unrolled: 4-line block ×9, first 2 shown]
	v_fma_f32 v2, v2, v192, -v12
	v_fmac_f32_e32 v215, v3, v192
	v_mul_f32_e32 v3, v7, v173
	s_waitcnt vmcnt(21)
	v_fma_f32 v4, v4, v193, -v172
	v_fmac_f32_e32 v216, v5, v193
	v_add_f32_e32 v2, 0, v2
	v_add_f32_e32 v5, 0, v215
	v_mul_f32_e32 v12, v9, v174
	s_waitcnt vmcnt(20)
	v_fma_f32 v3, v6, v194, -v3
	v_fmac_f32_e32 v217, v7, v194
	v_add_f32_e32 v2, v2, v4
	v_add_f32_e32 v4, v5, v216
	;; [unrolled: 6-line block ×17, first 2 shown]
	v_mul_f32_e32 v5, v171, v190
	s_waitcnt vmcnt(4)
	v_fma_f32 v6, v168, v210, -v6
	v_mul_f32_e32 v234, v170, v190
	v_add_f32_e32 v2, v2, v4
	v_fmac_f32_e32 v233, v169, v210
	v_add_f32_e32 v3, v3, v232
	s_waitcnt lgkmcnt(0)
	v_mul_f32_e32 v4, v11, v191
	s_waitcnt vmcnt(3)
	v_fma_f32 v5, v170, v211, -v5
	v_add_f32_e32 v2, v2, v6
	v_mul_f32_e32 v235, v10, v191
	v_fmac_f32_e32 v234, v171, v211
	v_add_f32_e32 v3, v3, v233
	s_waitcnt vmcnt(2)
	v_fma_f32 v4, v10, v212, -v4
	v_add_f32_e32 v2, v2, v5
	v_fmac_f32_e32 v235, v11, v212
	v_add_f32_e32 v3, v3, v234
	v_add_f32_e32 v2, v2, v4
	;; [unrolled: 1-line block ×3, first 2 shown]
	s_waitcnt vmcnt(1)
	v_sub_f32_e32 v2, v213, v2
	s_waitcnt vmcnt(0)
	v_sub_f32_e32 v3, v214, v3
	buffer_store_dword v2, off, s[0:3], 0 offset:328
	buffer_store_dword v3, off, s[0:3], 0 offset:332
	v_cmpx_lt_u32_e32 40, v0
	s_cbranch_execz .LBB126_311
; %bb.310:
	s_clause 0x1
	buffer_load_dword v2, off, s[0:3], 0 offset:320
	buffer_load_dword v3, off, s[0:3], 0 offset:324
	buffer_store_dword v1, off, s[0:3], 0 offset:320
	buffer_store_dword v1, off, s[0:3], 0 offset:324
	s_waitcnt vmcnt(0)
	ds_write_b64 v139, v[2:3]
.LBB126_311:
	s_or_b32 exec_lo, exec_lo, s4
	s_waitcnt lgkmcnt(0)
	s_waitcnt_vscnt null, 0x0
	s_barrier
	buffer_gl0_inv
	s_clause 0x2d
	buffer_load_dword v10, off, s[0:3], 0 offset:332
	buffer_load_dword v11, off, s[0:3], 0 offset:340
	;; [unrolled: 1-line block ×46, first 2 shown]
	ds_read2_b64 v[2:5], v1 offset0:105 offset1:106
	ds_read2_b64 v[6:9], v1 offset0:107 offset1:108
	;; [unrolled: 1-line block ×11, first 2 shown]
	s_mov_b32 s4, exec_lo
	s_waitcnt vmcnt(45) lgkmcnt(10)
	v_mul_f32_e32 v1, v2, v10
	v_mul_f32_e32 v10, v3, v10
	s_waitcnt vmcnt(44)
	v_mul_f32_e32 v219, v4, v11
	v_mul_f32_e32 v11, v5, v11
	s_waitcnt vmcnt(43) lgkmcnt(9)
	v_mul_f32_e32 v220, v6, v12
	s_waitcnt vmcnt(42)
	v_mul_f32_e32 v221, v8, v176
	s_waitcnt vmcnt(41) lgkmcnt(8)
	v_mul_f32_e32 v222, v140, v177
	s_waitcnt vmcnt(40)
	v_mul_f32_e32 v223, v142, v178
	s_waitcnt vmcnt(39) lgkmcnt(7)
	v_mul_f32_e32 v224, v144, v179
	s_waitcnt vmcnt(38)
	v_mul_f32_e32 v225, v146, v180
	s_waitcnt vmcnt(37) lgkmcnt(6)
	v_mul_f32_e32 v226, v148, v181
	s_waitcnt vmcnt(36)
	v_mul_f32_e32 v227, v150, v182
	s_waitcnt vmcnt(35) lgkmcnt(5)
	v_mul_f32_e32 v228, v152, v183
	s_waitcnt vmcnt(34)
	v_mul_f32_e32 v229, v154, v184
	s_waitcnt vmcnt(33) lgkmcnt(4)
	v_mul_f32_e32 v230, v156, v185
	s_waitcnt vmcnt(32)
	v_mul_f32_e32 v231, v158, v186
	s_waitcnt vmcnt(31) lgkmcnt(3)
	v_mul_f32_e32 v232, v160, v187
	s_waitcnt vmcnt(30)
	v_mul_f32_e32 v233, v162, v188
	s_waitcnt vmcnt(29) lgkmcnt(2)
	v_mul_f32_e32 v234, v164, v189
	s_waitcnt vmcnt(28)
	v_mul_f32_e32 v235, v166, v190
	s_waitcnt vmcnt(27) lgkmcnt(1)
	v_mul_f32_e32 v236, v168, v191
	s_waitcnt vmcnt(26)
	v_mul_f32_e32 v237, v170, v192
	s_waitcnt vmcnt(23)
	v_fma_f32 v2, v2, v195, -v10
	v_fmac_f32_e32 v1, v3, v195
	v_mul_f32_e32 v3, v7, v12
	s_waitcnt vmcnt(22)
	v_fma_f32 v4, v4, v196, -v11
	v_fmac_f32_e32 v219, v5, v196
	v_add_f32_e32 v2, 0, v2
	v_add_f32_e32 v1, 0, v1
	v_mul_f32_e32 v5, v9, v176
	s_waitcnt vmcnt(21)
	v_fma_f32 v3, v6, v197, -v3
	v_fmac_f32_e32 v220, v7, v197
	v_add_f32_e32 v2, v2, v4
	v_add_f32_e32 v1, v1, v219
	;; [unrolled: 6-line block ×18, first 2 shown]
	s_waitcnt lgkmcnt(0)
	v_mul_f32_e32 v3, v173, v193
	s_waitcnt vmcnt(4)
	v_fma_f32 v4, v170, v214, -v4
	v_mul_f32_e32 v238, v172, v193
	v_add_f32_e32 v2, v2, v5
	v_fmac_f32_e32 v237, v171, v214
	v_add_f32_e32 v1, v1, v236
	v_mul_f32_e32 v5, v175, v194
	s_waitcnt vmcnt(3)
	v_fma_f32 v3, v172, v215, -v3
	v_add_f32_e32 v2, v2, v4
	v_mul_f32_e32 v239, v174, v194
	v_fmac_f32_e32 v238, v173, v215
	v_add_f32_e32 v1, v1, v237
	s_waitcnt vmcnt(2)
	v_fma_f32 v4, v174, v216, -v5
	v_add_f32_e32 v2, v2, v3
	v_fmac_f32_e32 v239, v175, v216
	v_add_f32_e32 v1, v1, v238
	v_add_f32_e32 v2, v2, v4
	;; [unrolled: 1-line block ×3, first 2 shown]
	s_waitcnt vmcnt(1)
	v_sub_f32_e32 v2, v217, v2
	s_waitcnt vmcnt(0)
	v_sub_f32_e32 v1, v218, v1
	buffer_store_dword v2, off, s[0:3], 0 offset:320
	buffer_store_dword v1, off, s[0:3], 0 offset:324
	v_cmpx_lt_u32_e32 39, v0
	s_cbranch_execz .LBB126_313
; %bb.312:
	s_clause 0x1
	buffer_load_dword v1, off, s[0:3], 0 offset:312
	buffer_load_dword v2, off, s[0:3], 0 offset:316
	v_mov_b32_e32 v3, 0
	buffer_store_dword v3, off, s[0:3], 0 offset:312
	buffer_store_dword v3, off, s[0:3], 0 offset:316
	s_waitcnt vmcnt(0)
	ds_write_b64 v139, v[1:2]
.LBB126_313:
	s_or_b32 exec_lo, exec_lo, s4
	s_waitcnt lgkmcnt(0)
	s_waitcnt_vscnt null, 0x0
	s_barrier
	buffer_gl0_inv
	s_clause 0x2f
	buffer_load_dword v12, off, s[0:3], 0 offset:324
	buffer_load_dword v176, off, s[0:3], 0 offset:332
	;; [unrolled: 1-line block ×48, first 2 shown]
	v_mov_b32_e32 v1, 0
	ds_read_b128 v[2:5], v1 offset:832
	ds_read_b128 v[6:9], v1 offset:848
	ds_read_b128 v[140:143], v1 offset:864
	ds_read_b128 v[144:147], v1 offset:880
	ds_read_b128 v[148:151], v1 offset:896
	ds_read_b128 v[152:155], v1 offset:912
	ds_read_b128 v[156:159], v1 offset:928
	ds_read_b128 v[160:163], v1 offset:944
	ds_read_b128 v[164:167], v1 offset:960
	ds_read_b128 v[168:171], v1 offset:976
	ds_read_b128 v[172:175], v1 offset:992
	ds_read_b64 v[10:11], v1 offset:1008
	s_mov_b32 s4, exec_lo
	s_waitcnt vmcnt(47) lgkmcnt(11)
	v_mul_f32_e32 v223, v2, v12
	v_mul_f32_e32 v12, v3, v12
	s_waitcnt vmcnt(46)
	v_mul_f32_e32 v224, v4, v176
	v_mul_f32_e32 v176, v5, v176
	s_waitcnt vmcnt(45) lgkmcnt(10)
	v_mul_f32_e32 v225, v6, v177
	s_waitcnt vmcnt(44)
	v_mul_f32_e32 v226, v8, v178
	s_waitcnt vmcnt(43) lgkmcnt(9)
	v_mul_f32_e32 v227, v140, v179
	s_waitcnt vmcnt(42)
	;; [unrolled: 4-line block ×10, first 2 shown]
	v_fma_f32 v2, v2, v198, -v12
	v_fmac_f32_e32 v223, v3, v198
	v_mul_f32_e32 v3, v7, v177
	s_waitcnt vmcnt(23)
	v_fma_f32 v4, v4, v199, -v176
	v_fmac_f32_e32 v224, v5, v199
	v_add_f32_e32 v2, 0, v2
	v_add_f32_e32 v5, 0, v223
	v_mul_f32_e32 v12, v9, v178
	s_waitcnt vmcnt(22)
	v_fma_f32 v3, v6, v200, -v3
	v_fmac_f32_e32 v225, v7, v200
	v_add_f32_e32 v2, v2, v4
	v_add_f32_e32 v4, v5, v224
	;; [unrolled: 6-line block ×19, first 2 shown]
	v_mul_f32_e32 v6, v175, v196
	s_waitcnt vmcnt(4)
	v_fma_f32 v4, v172, v218, -v4
	v_mul_f32_e32 v244, v174, v196
	v_add_f32_e32 v2, v2, v5
	v_fmac_f32_e32 v243, v173, v218
	v_add_f32_e32 v3, v3, v242
	s_waitcnt lgkmcnt(0)
	v_mul_f32_e32 v5, v11, v197
	s_waitcnt vmcnt(3)
	v_fma_f32 v6, v174, v219, -v6
	v_add_f32_e32 v2, v2, v4
	v_mul_f32_e32 v245, v10, v197
	v_fmac_f32_e32 v244, v175, v219
	v_add_f32_e32 v3, v3, v243
	s_waitcnt vmcnt(2)
	v_fma_f32 v4, v10, v220, -v5
	v_add_f32_e32 v2, v2, v6
	v_fmac_f32_e32 v245, v11, v220
	v_add_f32_e32 v3, v3, v244
	v_add_f32_e32 v2, v2, v4
	;; [unrolled: 1-line block ×3, first 2 shown]
	s_waitcnt vmcnt(1)
	v_sub_f32_e32 v2, v221, v2
	s_waitcnt vmcnt(0)
	v_sub_f32_e32 v3, v222, v3
	buffer_store_dword v2, off, s[0:3], 0 offset:312
	buffer_store_dword v3, off, s[0:3], 0 offset:316
	v_cmpx_lt_u32_e32 38, v0
	s_cbranch_execz .LBB126_315
; %bb.314:
	s_clause 0x1
	buffer_load_dword v2, off, s[0:3], 0 offset:304
	buffer_load_dword v3, off, s[0:3], 0 offset:308
	buffer_store_dword v1, off, s[0:3], 0 offset:304
	buffer_store_dword v1, off, s[0:3], 0 offset:308
	s_waitcnt vmcnt(0)
	ds_write_b64 v139, v[2:3]
.LBB126_315:
	s_or_b32 exec_lo, exec_lo, s4
	s_waitcnt lgkmcnt(0)
	s_waitcnt_vscnt null, 0x0
	s_barrier
	buffer_gl0_inv
	s_clause 0x31
	buffer_load_dword v10, off, s[0:3], 0 offset:316
	buffer_load_dword v11, off, s[0:3], 0 offset:324
	;; [unrolled: 1-line block ×50, first 2 shown]
	ds_read2_b64 v[2:5], v1 offset0:103 offset1:104
	ds_read2_b64 v[6:9], v1 offset0:105 offset1:106
	;; [unrolled: 1-line block ×12, first 2 shown]
	s_mov_b32 s4, exec_lo
	s_waitcnt vmcnt(49) lgkmcnt(11)
	v_mul_f32_e32 v1, v2, v10
	v_mul_f32_e32 v10, v3, v10
	s_waitcnt vmcnt(48)
	v_mul_f32_e32 v227, v4, v11
	v_mul_f32_e32 v11, v5, v11
	s_waitcnt vmcnt(47) lgkmcnt(10)
	v_mul_f32_e32 v228, v6, v12
	s_waitcnt vmcnt(46)
	v_mul_f32_e32 v229, v8, v180
	s_waitcnt vmcnt(45) lgkmcnt(9)
	v_mul_f32_e32 v230, v140, v181
	s_waitcnt vmcnt(44)
	v_mul_f32_e32 v231, v142, v182
	s_waitcnt vmcnt(43) lgkmcnt(8)
	v_mul_f32_e32 v232, v144, v183
	s_waitcnt vmcnt(42)
	v_mul_f32_e32 v233, v146, v184
	s_waitcnt vmcnt(41) lgkmcnt(7)
	v_mul_f32_e32 v234, v148, v185
	s_waitcnt vmcnt(40)
	v_mul_f32_e32 v235, v150, v186
	s_waitcnt vmcnt(39) lgkmcnt(6)
	v_mul_f32_e32 v236, v152, v187
	s_waitcnt vmcnt(38)
	v_mul_f32_e32 v237, v154, v188
	s_waitcnt vmcnt(37) lgkmcnt(5)
	v_mul_f32_e32 v238, v156, v189
	s_waitcnt vmcnt(36)
	v_mul_f32_e32 v239, v158, v190
	s_waitcnt vmcnt(35) lgkmcnt(4)
	v_mul_f32_e32 v240, v160, v191
	s_waitcnt vmcnt(34)
	v_mul_f32_e32 v241, v162, v192
	s_waitcnt vmcnt(33) lgkmcnt(3)
	v_mul_f32_e32 v242, v164, v193
	s_waitcnt vmcnt(32)
	v_mul_f32_e32 v243, v166, v194
	s_waitcnt vmcnt(31) lgkmcnt(2)
	v_mul_f32_e32 v244, v168, v195
	s_waitcnt vmcnt(30)
	v_mul_f32_e32 v245, v170, v196
	s_waitcnt vmcnt(29) lgkmcnt(1)
	v_mul_f32_e32 v246, v172, v197
	s_waitcnt vmcnt(28)
	v_mul_f32_e32 v247, v174, v198
	s_waitcnt vmcnt(25)
	v_fma_f32 v2, v2, v201, -v10
	v_fmac_f32_e32 v1, v3, v201
	v_mul_f32_e32 v3, v7, v12
	s_waitcnt vmcnt(24)
	v_fma_f32 v4, v4, v202, -v11
	v_fmac_f32_e32 v227, v5, v202
	v_add_f32_e32 v2, 0, v2
	v_add_f32_e32 v1, 0, v1
	v_mul_f32_e32 v5, v9, v180
	s_waitcnt vmcnt(23)
	v_fma_f32 v3, v6, v203, -v3
	v_fmac_f32_e32 v228, v7, v203
	v_add_f32_e32 v2, v2, v4
	v_add_f32_e32 v1, v1, v227
	;; [unrolled: 6-line block ×20, first 2 shown]
	s_waitcnt lgkmcnt(0)
	v_mul_f32_e32 v4, v177, v199
	s_waitcnt vmcnt(4)
	v_fma_f32 v5, v174, v222, -v5
	v_mul_f32_e32 v248, v176, v199
	v_add_f32_e32 v2, v2, v3
	v_fmac_f32_e32 v247, v175, v222
	v_add_f32_e32 v1, v1, v246
	v_mul_f32_e32 v3, v179, v200
	s_waitcnt vmcnt(3)
	v_fma_f32 v4, v176, v223, -v4
	v_add_f32_e32 v2, v2, v5
	v_mul_f32_e32 v249, v178, v200
	v_fmac_f32_e32 v248, v177, v223
	v_add_f32_e32 v1, v1, v247
	s_waitcnt vmcnt(2)
	v_fma_f32 v3, v178, v224, -v3
	v_add_f32_e32 v2, v2, v4
	v_fmac_f32_e32 v249, v179, v224
	v_add_f32_e32 v1, v1, v248
	v_add_f32_e32 v2, v2, v3
	;; [unrolled: 1-line block ×3, first 2 shown]
	s_waitcnt vmcnt(1)
	v_sub_f32_e32 v2, v225, v2
	s_waitcnt vmcnt(0)
	v_sub_f32_e32 v1, v226, v1
	buffer_store_dword v2, off, s[0:3], 0 offset:304
	buffer_store_dword v1, off, s[0:3], 0 offset:308
	v_cmpx_lt_u32_e32 37, v0
	s_cbranch_execz .LBB126_317
; %bb.316:
	s_clause 0x1
	buffer_load_dword v1, off, s[0:3], 0 offset:296
	buffer_load_dword v2, off, s[0:3], 0 offset:300
	v_mov_b32_e32 v3, 0
	buffer_store_dword v3, off, s[0:3], 0 offset:296
	buffer_store_dword v3, off, s[0:3], 0 offset:300
	s_waitcnt vmcnt(0)
	ds_write_b64 v139, v[1:2]
.LBB126_317:
	s_or_b32 exec_lo, exec_lo, s4
	s_waitcnt lgkmcnt(0)
	s_waitcnt_vscnt null, 0x0
	s_barrier
	buffer_gl0_inv
	s_clause 0x33
	buffer_load_dword v10, off, s[0:3], 0 offset:308
	buffer_load_dword v11, off, s[0:3], 0 offset:316
	;; [unrolled: 1-line block ×52, first 2 shown]
	v_mov_b32_e32 v1, 0
	ds_read_b128 v[2:5], v1 offset:816
	ds_read_b128 v[6:9], v1 offset:832
	ds_read_b128 v[140:143], v1 offset:848
	ds_read_b128 v[144:147], v1 offset:864
	s_mov_b32 s4, exec_lo
	s_waitcnt vmcnt(51) lgkmcnt(3)
	v_mul_f32_e32 v197, v2, v10
	s_waitcnt vmcnt(50)
	v_mul_f32_e32 v198, v4, v11
	v_mul_f32_e32 v10, v3, v10
	;; [unrolled: 1-line block ×3, first 2 shown]
	s_waitcnt vmcnt(49) lgkmcnt(2)
	v_mul_f32_e32 v199, v6, v12
	s_waitcnt vmcnt(48)
	v_mul_f32_e32 v200, v8, v148
	v_mul_f32_e32 v12, v7, v12
	;; [unrolled: 1-line block ×3, first 2 shown]
	s_waitcnt vmcnt(43)
	v_fmac_f32_e32 v197, v3, v153
	v_fmac_f32_e32 v198, v5, v152
	v_fma_f32 v10, v2, v153, -v10
	v_fma_f32 v11, v4, v152, -v11
	v_fmac_f32_e32 v199, v7, v151
	s_waitcnt vmcnt(39)
	v_fmac_f32_e32 v200, v9, v157
	v_fma_f32 v12, v6, v151, -v12
	v_fma_f32 v157, v8, v157, -v148
	ds_read_b128 v[2:5], v1 offset:880
	ds_read_b128 v[6:9], v1 offset:896
	s_waitcnt lgkmcnt(3)
	v_mul_f32_e32 v202, v142, v150
	v_mul_f32_e32 v150, v143, v150
	v_add_f32_e32 v10, 0, v10
	s_waitcnt vmcnt(38) lgkmcnt(2)
	v_mul_f32_e32 v204, v144, v158
	v_mul_f32_e32 v152, v145, v158
	v_fmac_f32_e32 v202, v143, v155
	v_fma_f32 v203, v142, v155, -v150
	v_add_f32_e32 v155, 0, v197
	v_add_f32_e32 v10, v10, v11
	v_mul_f32_e32 v201, v140, v149
	v_mul_f32_e32 v149, v141, v149
	s_waitcnt vmcnt(37)
	v_mul_f32_e32 v205, v146, v159
	v_add_f32_e32 v158, v155, v198
	v_add_f32_e32 v10, v10, v12
	v_fmac_f32_e32 v201, v141, v156
	v_fma_f32 v156, v140, v156, -v149
	v_mul_f32_e32 v153, v147, v159
	v_add_f32_e32 v11, v158, v199
	s_waitcnt vmcnt(32) lgkmcnt(1)
	v_mul_f32_e32 v198, v2, v164
	v_add_f32_e32 v10, v10, v157
	v_mul_f32_e32 v158, v3, v164
	s_waitcnt vmcnt(31)
	v_mul_f32_e32 v12, v4, v165
	v_mul_f32_e32 v159, v5, v165
	v_fmac_f32_e32 v198, v3, v162
	v_add_f32_e32 v3, v11, v200
	v_add_f32_e32 v165, v10, v156
	v_fma_f32 v197, v144, v154, -v152
	v_fmac_f32_e32 v204, v145, v154
	v_fmac_f32_e32 v205, v147, v163
	v_add_f32_e32 v164, v3, v201
	v_add_f32_e32 v165, v165, v203
	v_fma_f32 v163, v146, v163, -v153
	ds_read_b128 v[140:143], v1 offset:912
	ds_read_b128 v[148:151], v1 offset:928
	s_waitcnt vmcnt(30) lgkmcnt(2)
	v_mul_f32_e32 v199, v6, v166
	v_add_f32_e32 v164, v164, v202
	v_add_f32_e32 v165, v165, v197
	v_mul_f32_e32 v166, v7, v166
	v_fma_f32 v162, v2, v162, -v158
	v_fmac_f32_e32 v199, v7, v160
	v_add_f32_e32 v164, v164, v204
	v_add_f32_e32 v163, v165, v163
	v_fma_f32 v6, v6, v160, -v166
	v_fmac_f32_e32 v12, v5, v161
	v_fma_f32 v161, v4, v161, -v159
	v_add_f32_e32 v160, v164, v205
	v_add_f32_e32 v162, v163, v162
	s_waitcnt vmcnt(29)
	v_mul_f32_e32 v200, v8, v167
	v_mul_f32_e32 v167, v9, v167
	ds_read_b128 v[144:147], v1 offset:944
	ds_read_b128 v[152:155], v1 offset:960
	v_add_f32_e32 v160, v160, v198
	v_add_f32_e32 v161, v162, v161
	s_waitcnt vmcnt(28) lgkmcnt(3)
	v_mul_f32_e32 v166, v141, v168
	s_waitcnt vmcnt(20)
	v_fma_f32 v8, v8, v176, -v167
	v_mul_f32_e32 v201, v140, v168
	v_add_f32_e32 v12, v160, v12
	v_add_f32_e32 v6, v161, v6
	v_fmac_f32_e32 v200, v9, v176
	v_mul_f32_e32 v160, v143, v169
	v_fma_f32 v140, v140, v175, -v166
	v_add_f32_e32 v12, v12, v199
	v_add_f32_e32 v6, v6, v8
	v_mul_f32_e32 v197, v142, v169
	v_fmac_f32_e32 v201, v141, v175
	v_fma_f32 v141, v142, v174, -v160
	v_add_f32_e32 v8, v12, v200
	s_waitcnt lgkmcnt(2)
	v_mul_f32_e32 v12, v149, v170
	v_add_f32_e32 v6, v6, v140
	v_mul_f32_e32 v7, v148, v170
	v_fmac_f32_e32 v197, v143, v174
	v_add_f32_e32 v8, v8, v201
	v_mul_f32_e32 v140, v151, v171
	v_fma_f32 v12, v148, v173, -v12
	v_add_f32_e32 v6, v6, v141
	v_mul_f32_e32 v164, v150, v171
	v_fmac_f32_e32 v7, v149, v173
	v_add_f32_e32 v8, v8, v197
	s_waitcnt lgkmcnt(1)
	v_mul_f32_e32 v141, v145, v172
	s_waitcnt vmcnt(8)
	v_fma_f32 v140, v150, v188, -v140
	v_add_f32_e32 v6, v6, v12
	v_mul_f32_e32 v165, v144, v172
	v_fmac_f32_e32 v164, v151, v188
	v_add_f32_e32 v7, v8, v7
	ds_read_b128 v[2:5], v1 offset:976
	ds_read_b128 v[156:159], v1 offset:992
	ds_read_b64 v[10:11], v1 offset:1008
	v_mul_f32_e32 v8, v147, v177
	v_fma_f32 v12, v144, v187, -v141
	v_add_f32_e32 v6, v6, v140
	v_mul_f32_e32 v9, v146, v177
	v_fmac_f32_e32 v165, v145, v187
	v_add_f32_e32 v7, v7, v164
	s_waitcnt lgkmcnt(3)
	v_mul_f32_e32 v140, v153, v178
	v_fma_f32 v8, v146, v186, -v8
	v_add_f32_e32 v6, v6, v12
	v_mul_f32_e32 v167, v152, v178
	v_fmac_f32_e32 v9, v147, v186
	v_add_f32_e32 v7, v7, v165
	v_mul_f32_e32 v12, v155, v179
	v_fma_f32 v140, v152, v185, -v140
	v_add_f32_e32 v6, v6, v8
	v_mul_f32_e32 v163, v154, v179
	v_fmac_f32_e32 v167, v153, v185
	v_add_f32_e32 v7, v7, v9
	s_waitcnt lgkmcnt(2)
	v_mul_f32_e32 v168, v2, v180
	v_mul_f32_e32 v8, v3, v180
	s_waitcnt vmcnt(4)
	v_fma_f32 v9, v154, v192, -v12
	v_add_f32_e32 v6, v6, v140
	v_fmac_f32_e32 v163, v155, v192
	v_add_f32_e32 v7, v7, v167
	v_mul_f32_e32 v12, v5, v181
	v_fmac_f32_e32 v168, v3, v191
	v_fma_f32 v2, v2, v191, -v8
	v_add_f32_e32 v3, v6, v9
	v_mul_f32_e32 v176, v4, v181
	v_add_f32_e32 v6, v7, v163
	s_waitcnt lgkmcnt(1)
	v_mul_f32_e32 v7, v157, v182
	v_fma_f32 v4, v4, v190, -v12
	v_add_f32_e32 v2, v3, v2
	v_mul_f32_e32 v162, v156, v182
	v_fmac_f32_e32 v176, v5, v190
	v_add_f32_e32 v3, v6, v168
	v_mul_f32_e32 v5, v159, v183
	v_fma_f32 v6, v156, v189, -v7
	v_add_f32_e32 v2, v2, v4
	v_mul_f32_e32 v169, v158, v183
	v_fmac_f32_e32 v162, v157, v189
	v_add_f32_e32 v3, v3, v176
	s_waitcnt lgkmcnt(0)
	v_mul_f32_e32 v4, v11, v184
	s_waitcnt vmcnt(2)
	v_fma_f32 v5, v158, v194, -v5
	v_add_f32_e32 v2, v2, v6
	v_mul_f32_e32 v161, v10, v184
	v_fmac_f32_e32 v169, v159, v194
	v_add_f32_e32 v3, v3, v162
	v_fma_f32 v4, v10, v193, -v4
	v_add_f32_e32 v2, v2, v5
	v_fmac_f32_e32 v161, v11, v193
	v_add_f32_e32 v3, v3, v169
	v_add_f32_e32 v2, v2, v4
	;; [unrolled: 1-line block ×3, first 2 shown]
	s_waitcnt vmcnt(1)
	v_sub_f32_e32 v2, v195, v2
	s_waitcnt vmcnt(0)
	v_sub_f32_e32 v3, v196, v3
	buffer_store_dword v2, off, s[0:3], 0 offset:296
	buffer_store_dword v3, off, s[0:3], 0 offset:300
	v_cmpx_lt_u32_e32 36, v0
	s_cbranch_execz .LBB126_319
; %bb.318:
	s_clause 0x1
	buffer_load_dword v2, off, s[0:3], 0 offset:288
	buffer_load_dword v3, off, s[0:3], 0 offset:292
	buffer_store_dword v1, off, s[0:3], 0 offset:288
	buffer_store_dword v1, off, s[0:3], 0 offset:292
	s_waitcnt vmcnt(0)
	ds_write_b64 v139, v[2:3]
.LBB126_319:
	s_or_b32 exec_lo, exec_lo, s4
	s_waitcnt lgkmcnt(0)
	s_waitcnt_vscnt null, 0x0
	s_barrier
	buffer_gl0_inv
	s_clause 0x35
	buffer_load_dword v12, off, s[0:3], 0 offset:300
	buffer_load_dword v144, off, s[0:3], 0 offset:308
	buffer_load_dword v148, off, s[0:3], 0 offset:312
	buffer_load_dword v149, off, s[0:3], 0 offset:304
	buffer_load_dword v150, off, s[0:3], 0 offset:296
	buffer_load_dword v151, off, s[0:3], 0 offset:316
	buffer_load_dword v152, off, s[0:3], 0 offset:324
	buffer_load_dword v2, off, s[0:3], 0 offset:344
	buffer_load_dword v3, off, s[0:3], 0 offset:336
	buffer_load_dword v153, off, s[0:3], 0 offset:328
	buffer_load_dword v154, off, s[0:3], 0 offset:320
	buffer_load_dword v155, off, s[0:3], 0 offset:332
	buffer_load_dword v156, off, s[0:3], 0 offset:340
	buffer_load_dword v157, off, s[0:3], 0 offset:348
	buffer_load_dword v158, off, s[0:3], 0 offset:356
	buffer_load_dword v159, off, s[0:3], 0 offset:364
	buffer_load_dword v160, off, s[0:3], 0 offset:376
	buffer_load_dword v161, off, s[0:3], 0 offset:368
	buffer_load_dword v162, off, s[0:3], 0 offset:360
	buffer_load_dword v163, off, s[0:3], 0 offset:352
	buffer_load_dword v164, off, s[0:3], 0 offset:372
	buffer_load_dword v165, off, s[0:3], 0 offset:380
	buffer_load_dword v166, off, s[0:3], 0 offset:388
	buffer_load_dword v167, off, s[0:3], 0 offset:408
	buffer_load_dword v168, off, s[0:3], 0 offset:400
	buffer_load_dword v169, off, s[0:3], 0 offset:392
	buffer_load_dword v170, off, s[0:3], 0 offset:384
	buffer_load_dword v171, off, s[0:3], 0 offset:396
	buffer_load_dword v172, off, s[0:3], 0 offset:404
	buffer_load_dword v173, off, s[0:3], 0 offset:412
	buffer_load_dword v174, off, s[0:3], 0 offset:420
	buffer_load_dword v175, off, s[0:3], 0 offset:428
	buffer_load_dword v176, off, s[0:3], 0 offset:436
	buffer_load_dword v177, off, s[0:3], 0 offset:444
	buffer_load_dword v178, off, s[0:3], 0 offset:452
	buffer_load_dword v179, off, s[0:3], 0 offset:460
	buffer_load_dword v180, off, s[0:3], 0 offset:468
	buffer_load_dword v181, off, s[0:3], 0 offset:476
	buffer_load_dword v182, off, s[0:3], 0 offset:484
	buffer_load_dword v183, off, s[0:3], 0 offset:492
	buffer_load_dword v184, off, s[0:3], 0 offset:500
	buffer_load_dword v185, off, s[0:3], 0 offset:440
	buffer_load_dword v186, off, s[0:3], 0 offset:432
	buffer_load_dword v187, off, s[0:3], 0 offset:424
	buffer_load_dword v188, off, s[0:3], 0 offset:416
	buffer_load_dword v189, off, s[0:3], 0 offset:472
	buffer_load_dword v190, off, s[0:3], 0 offset:464
	buffer_load_dword v191, off, s[0:3], 0 offset:456
	buffer_load_dword v192, off, s[0:3], 0 offset:448
	buffer_load_dword v193, off, s[0:3], 0 offset:496
	buffer_load_dword v194, off, s[0:3], 0 offset:488
	buffer_load_dword v195, off, s[0:3], 0 offset:480
	buffer_load_dword v196, off, s[0:3], 0 offset:288
	buffer_load_dword v197, off, s[0:3], 0 offset:292
	ds_read2_b64 v[4:7], v1 offset0:101 offset1:102
	ds_read2_b64 v[8:11], v1 offset0:103 offset1:104
	;; [unrolled: 1-line block ×3, first 2 shown]
	s_mov_b32 s4, exec_lo
	s_waitcnt vmcnt(53) lgkmcnt(2)
	v_mul_f32_e32 v198, v4, v12
	s_waitcnt vmcnt(52)
	v_mul_f32_e32 v199, v6, v144
	v_mul_f32_e32 v200, v7, v144
	ds_read2_b64 v[144:147], v1 offset0:107 offset1:108
	v_mul_f32_e32 v12, v5, v12
	s_waitcnt vmcnt(49)
	v_fmac_f32_e32 v198, v5, v150
	v_fmac_f32_e32 v199, v7, v149
	v_fma_f32 v149, v6, v149, -v200
	s_waitcnt vmcnt(48) lgkmcnt(2)
	v_mul_f32_e32 v200, v8, v151
	v_fma_f32 v12, v4, v150, -v12
	v_mul_f32_e32 v150, v9, v151
	s_waitcnt vmcnt(47)
	v_mul_f32_e32 v201, v10, v152
	v_mul_f32_e32 v151, v11, v152
	v_fmac_f32_e32 v200, v9, v148
	s_waitcnt vmcnt(42) lgkmcnt(1)
	v_mul_f32_e32 v202, v140, v155
	v_fma_f32 v152, v8, v148, -v150
	v_mul_f32_e32 v148, v141, v155
	ds_read2_b64 v[4:7], v1 offset0:109 offset1:110
	v_fmac_f32_e32 v201, v11, v154
	v_fma_f32 v154, v10, v154, -v151
	v_add_f32_e32 v12, 0, v12
	ds_read2_b64 v[8:11], v1 offset0:111 offset1:112
	s_waitcnt vmcnt(41)
	v_mul_f32_e32 v203, v142, v156
	s_waitcnt vmcnt(40) lgkmcnt(2)
	v_mul_f32_e32 v204, v144, v157
	v_mul_f32_e32 v151, v145, v157
	v_mul_f32_e32 v150, v143, v156
	v_fmac_f32_e32 v202, v141, v153
	v_fma_f32 v153, v140, v153, -v148
	v_add_f32_e32 v140, 0, v198
	v_fmac_f32_e32 v204, v145, v2
	v_fma_f32 v198, v144, v2, -v151
	v_add_f32_e32 v2, v12, v149
	s_waitcnt vmcnt(39)
	v_mul_f32_e32 v205, v146, v158
	v_mul_f32_e32 v155, v147, v158
	v_fmac_f32_e32 v203, v143, v3
	v_fma_f32 v156, v142, v3, -v150
	v_add_f32_e32 v3, v140, v199
	v_add_f32_e32 v152, v2, v152
	s_waitcnt vmcnt(34)
	v_fmac_f32_e32 v205, v147, v163
	v_fma_f32 v163, v146, v163, -v155
	s_waitcnt lgkmcnt(1)
	v_mul_f32_e32 v206, v4, v159
	v_add_f32_e32 v155, v3, v200
	v_add_f32_e32 v152, v152, v154
	v_mul_f32_e32 v12, v5, v159
	s_waitcnt vmcnt(31) lgkmcnt(0)
	v_mul_f32_e32 v199, v10, v166
	v_fmac_f32_e32 v206, v5, v162
	v_add_f32_e32 v155, v155, v201
	v_add_f32_e32 v152, v152, v153
	v_fma_f32 v12, v4, v162, -v12
	v_mul_f32_e32 v162, v6, v164
	v_mul_f32_e32 v154, v7, v164
	v_add_f32_e32 v158, v155, v202
	v_mul_f32_e32 v164, v8, v165
	v_mul_f32_e32 v153, v9, v165
	v_add_f32_e32 v165, v152, v156
	v_mul_f32_e32 v157, v11, v166
	s_waitcnt vmcnt(27)
	v_fmac_f32_e32 v199, v11, v170
	v_add_f32_e32 v11, v158, v203
	ds_read2_b64 v[140:143], v1 offset0:113 offset1:114
	ds_read2_b64 v[148:151], v1 offset0:115 offset1:116
	v_add_f32_e32 v165, v165, v198
	v_fmac_f32_e32 v162, v7, v161
	v_fma_f32 v161, v6, v161, -v154
	v_add_f32_e32 v11, v11, v204
	v_fmac_f32_e32 v164, v9, v160
	v_add_f32_e32 v163, v165, v163
	v_fma_f32 v160, v8, v160, -v153
	v_fma_f32 v10, v10, v170, -v157
	v_add_f32_e32 v11, v11, v205
	ds_read2_b64 v[2:5], v1 offset0:117 offset1:118
	ds_read2_b64 v[144:147], v1 offset0:119 offset1:120
	v_add_f32_e32 v12, v163, v12
	ds_read2_b64 v[6:9], v1 offset0:121 offset1:122
	ds_read2_b64 v[152:155], v1 offset0:123 offset1:124
	;; [unrolled: 1-line block ×3, first 2 shown]
	v_add_f32_e32 v11, v11, v206
	v_add_f32_e32 v12, v12, v161
	;; [unrolled: 1-line block ×3, first 2 shown]
	s_waitcnt vmcnt(26) lgkmcnt(6)
	v_mul_f32_e32 v166, v141, v171
	v_add_f32_e32 v12, v12, v160
	v_mul_f32_e32 v1, v140, v171
	s_waitcnt vmcnt(25)
	v_mul_f32_e32 v171, v143, v172
	v_add_f32_e32 v11, v11, v164
	v_fma_f32 v140, v140, v169, -v166
	v_add_f32_e32 v10, v12, v10
	v_mul_f32_e32 v170, v142, v172
	v_fmac_f32_e32 v1, v141, v169
	v_add_f32_e32 v11, v11, v199
	s_waitcnt vmcnt(24) lgkmcnt(5)
	v_mul_f32_e32 v12, v149, v173
	v_fma_f32 v142, v142, v168, -v171
	v_add_f32_e32 v10, v10, v140
	v_mul_f32_e32 v165, v148, v173
	v_fmac_f32_e32 v170, v143, v168
	v_add_f32_e32 v1, v11, v1
	s_waitcnt vmcnt(23)
	v_mul_f32_e32 v11, v151, v174
	v_fma_f32 v12, v148, v167, -v12
	v_add_f32_e32 v10, v10, v142
	v_mul_f32_e32 v172, v150, v174
	v_fmac_f32_e32 v165, v149, v167
	v_add_f32_e32 v1, v1, v170
	s_waitcnt vmcnt(22) lgkmcnt(4)
	v_mul_f32_e32 v198, v2, v175
	v_mul_f32_e32 v140, v3, v175
	s_waitcnt vmcnt(9)
	v_fma_f32 v11, v150, v188, -v11
	v_add_f32_e32 v10, v10, v12
	v_fmac_f32_e32 v172, v151, v188
	v_add_f32_e32 v1, v1, v165
	v_mul_f32_e32 v12, v5, v176
	v_fmac_f32_e32 v198, v3, v187
	v_fma_f32 v2, v2, v187, -v140
	v_add_f32_e32 v3, v10, v11
	v_mul_f32_e32 v163, v4, v176
	v_add_f32_e32 v1, v1, v172
	s_waitcnt lgkmcnt(3)
	v_mul_f32_e32 v10, v145, v177
	v_fma_f32 v4, v4, v186, -v12
	v_add_f32_e32 v2, v3, v2
	v_mul_f32_e32 v200, v144, v177
	v_fmac_f32_e32 v163, v5, v186
	v_add_f32_e32 v1, v1, v198
	v_mul_f32_e32 v3, v147, v178
	v_fma_f32 v5, v144, v185, -v10
	v_add_f32_e32 v2, v2, v4
	v_mul_f32_e32 v201, v146, v178
	v_fmac_f32_e32 v200, v145, v185
	v_add_f32_e32 v1, v1, v163
	s_waitcnt lgkmcnt(2)
	v_mul_f32_e32 v4, v7, v179
	s_waitcnt vmcnt(5)
	v_fma_f32 v3, v146, v192, -v3
	v_add_f32_e32 v2, v2, v5
	v_mul_f32_e32 v161, v6, v179
	v_fmac_f32_e32 v201, v147, v192
	v_add_f32_e32 v1, v1, v200
	v_mul_f32_e32 v5, v9, v180
	v_fma_f32 v4, v6, v191, -v4
	v_add_f32_e32 v2, v2, v3
	v_mul_f32_e32 v162, v8, v180
	v_fmac_f32_e32 v161, v7, v191
	v_add_f32_e32 v1, v1, v201
	s_waitcnt lgkmcnt(1)
	v_mul_f32_e32 v3, v153, v181
	v_fma_f32 v5, v8, v190, -v5
	v_add_f32_e32 v2, v2, v4
	v_mul_f32_e32 v202, v152, v181
	v_fmac_f32_e32 v162, v9, v190
	v_add_f32_e32 v1, v1, v161
	v_mul_f32_e32 v4, v155, v182
	v_fma_f32 v3, v152, v189, -v3
	v_add_f32_e32 v2, v2, v5
	v_mul_f32_e32 v160, v154, v182
	v_fmac_f32_e32 v202, v153, v189
	v_add_f32_e32 v1, v1, v162
	s_waitcnt lgkmcnt(0)
	v_mul_f32_e32 v5, v157, v183
	s_waitcnt vmcnt(2)
	v_fma_f32 v4, v154, v195, -v4
	v_add_f32_e32 v2, v2, v3
	v_mul_f32_e32 v164, v156, v183
	v_fmac_f32_e32 v160, v155, v195
	v_add_f32_e32 v1, v1, v202
	v_mul_f32_e32 v3, v159, v184
	v_fma_f32 v5, v156, v194, -v5
	v_add_f32_e32 v2, v2, v4
	v_mul_f32_e32 v141, v158, v184
	v_fmac_f32_e32 v164, v157, v194
	v_add_f32_e32 v1, v1, v160
	v_fma_f32 v3, v158, v193, -v3
	v_add_f32_e32 v2, v2, v5
	v_fmac_f32_e32 v141, v159, v193
	v_add_f32_e32 v1, v1, v164
	v_add_f32_e32 v2, v2, v3
	;; [unrolled: 1-line block ×3, first 2 shown]
	s_waitcnt vmcnt(1)
	v_sub_f32_e32 v2, v196, v2
	s_waitcnt vmcnt(0)
	v_sub_f32_e32 v1, v197, v1
	buffer_store_dword v2, off, s[0:3], 0 offset:288
	buffer_store_dword v1, off, s[0:3], 0 offset:292
	v_cmpx_lt_u32_e32 35, v0
	s_cbranch_execz .LBB126_321
; %bb.320:
	s_clause 0x1
	buffer_load_dword v1, off, s[0:3], 0 offset:280
	buffer_load_dword v2, off, s[0:3], 0 offset:284
	v_mov_b32_e32 v3, 0
	buffer_store_dword v3, off, s[0:3], 0 offset:280
	buffer_store_dword v3, off, s[0:3], 0 offset:284
	s_waitcnt vmcnt(0)
	ds_write_b64 v139, v[1:2]
.LBB126_321:
	s_or_b32 exec_lo, exec_lo, s4
	s_waitcnt lgkmcnt(0)
	s_waitcnt_vscnt null, 0x0
	s_barrier
	buffer_gl0_inv
	s_clause 0x37
	buffer_load_dword v153, off, s[0:3], 0 offset:292
	buffer_load_dword v157, off, s[0:3], 0 offset:300
	;; [unrolled: 1-line block ×56, first 2 shown]
	v_mov_b32_e32 v1, 0
	ds_read_b128 v[141:144], v1 offset:800
	ds_read_b128 v[145:148], v1 offset:816
	;; [unrolled: 1-line block ×3, first 2 shown]
	s_mov_b32 s4, exec_lo
	s_waitcnt vmcnt(55) lgkmcnt(2)
	v_mul_f32_e32 v200, v141, v153
	v_mul_f32_e32 v201, v142, v153
	ds_read_b128 v[153:156], v1 offset:848
	s_waitcnt vmcnt(54)
	v_mul_f32_e32 v202, v143, v157
	v_mul_f32_e32 v157, v144, v157
	s_waitcnt vmcnt(51)
	v_fmac_f32_e32 v200, v142, v160
	v_fma_f32 v160, v141, v160, -v201
	s_waitcnt vmcnt(50) lgkmcnt(2)
	v_mul_f32_e32 v201, v145, v161
	v_fmac_f32_e32 v202, v144, v159
	v_fma_f32 v157, v143, v159, -v157
	s_waitcnt vmcnt(49)
	v_mul_f32_e32 v203, v147, v162
	v_mul_f32_e32 v159, v146, v161
	;; [unrolled: 1-line block ×3, first 2 shown]
	ds_read_b128 v[141:144], v1 offset:864
	v_fmac_f32_e32 v201, v146, v158
	s_waitcnt vmcnt(45)
	v_fmac_f32_e32 v203, v148, v166
	v_fma_f32 v158, v145, v158, -v159
	v_fma_f32 v161, v147, v166, -v161
	s_waitcnt vmcnt(44) lgkmcnt(2)
	v_mul_f32_e32 v166, v149, v167
	v_mul_f32_e32 v159, v150, v167
	ds_read_b128 v[145:148], v1 offset:880
	s_waitcnt vmcnt(43)
	v_mul_f32_e32 v167, v151, v168
	v_mul_f32_e32 v162, v152, v168
	v_add_f32_e32 v168, 0, v200
	v_fmac_f32_e32 v166, v150, v165
	v_fma_f32 v165, v149, v165, -v159
	v_add_f32_e32 v149, 0, v160
	s_waitcnt vmcnt(42) lgkmcnt(2)
	v_mul_f32_e32 v200, v153, v169
	v_add_f32_e32 v150, v168, v202
	v_mul_f32_e32 v159, v154, v169
	s_waitcnt vmcnt(41)
	v_mul_f32_e32 v202, v155, v170
	v_add_f32_e32 v149, v149, v157
	v_mul_f32_e32 v168, v156, v170
	s_waitcnt vmcnt(40) lgkmcnt(1)
	v_mul_f32_e32 v204, v141, v171
	v_fma_f32 v169, v151, v164, -v162
	v_fmac_f32_e32 v200, v154, v163
	v_fma_f32 v170, v153, v163, -v159
	v_add_f32_e32 v153, v150, v201
	v_add_f32_e32 v154, v149, v158
	v_mul_f32_e32 v162, v142, v171
	s_waitcnt vmcnt(37)
	v_fmac_f32_e32 v204, v142, v174
	s_waitcnt vmcnt(36)
	v_fmac_f32_e32 v202, v156, v175
	v_add_f32_e32 v142, v153, v203
	v_fma_f32 v171, v155, v175, -v168
	v_fma_f32 v174, v141, v174, -v162
	v_add_f32_e32 v141, v154, v161
	s_waitcnt vmcnt(35)
	v_mul_f32_e32 v175, v143, v176
	v_add_f32_e32 v142, v142, v166
	v_mul_f32_e32 v166, v144, v176
	s_waitcnt vmcnt(34) lgkmcnt(0)
	v_mul_f32_e32 v176, v145, v177
	v_add_f32_e32 v141, v141, v165
	v_mul_f32_e32 v165, v146, v177
	v_fmac_f32_e32 v167, v152, v164
	s_waitcnt vmcnt(33)
	v_mul_f32_e32 v201, v147, v178
	v_mul_f32_e32 v177, v148, v178
	v_fmac_f32_e32 v176, v146, v172
	v_fma_f32 v172, v145, v172, -v165
	v_add_f32_e32 v145, v141, v169
	v_add_f32_e32 v142, v142, v167
	s_waitcnt vmcnt(29)
	v_fmac_f32_e32 v201, v148, v182
	v_fma_f32 v177, v147, v182, -v177
	ds_read_b128 v[149:152], v1 offset:896
	ds_read_b128 v[157:160], v1 offset:912
	v_add_f32_e32 v182, v145, v170
	v_add_f32_e32 v178, v142, v200
	v_fmac_f32_e32 v175, v144, v173
	v_fma_f32 v173, v143, v173, -v166
	ds_read_b128 v[153:156], v1 offset:928
	ds_read_b128 v[161:164], v1 offset:944
	v_add_f32_e32 v171, v182, v171
	v_add_f32_e32 v178, v178, v202
	ds_read_b128 v[141:144], v1 offset:960
	ds_read_b128 v[165:168], v1 offset:976
	ds_read_b128 v[145:148], v1 offset:992
	ds_read_b64 v[169:170], v1 offset:1008
	v_add_f32_e32 v171, v171, v174
	v_add_f32_e32 v178, v178, v204
	;; [unrolled: 1-line block ×4, first 2 shown]
	s_waitcnt vmcnt(28) lgkmcnt(7)
	v_mul_f32_e32 v200, v149, v183
	v_mul_f32_e32 v183, v150, v183
	v_add_f32_e32 v171, v171, v172
	v_add_f32_e32 v172, v175, v176
	s_waitcnt vmcnt(27)
	v_mul_f32_e32 v182, v151, v184
	v_mul_f32_e32 v184, v152, v184
	v_fma_f32 v149, v149, v181, -v183
	v_add_f32_e32 v171, v171, v177
	v_fmac_f32_e32 v200, v150, v181
	v_add_f32_e32 v172, v172, v201
	s_waitcnt vmcnt(26) lgkmcnt(6)
	v_mul_f32_e32 v181, v158, v185
	v_fma_f32 v151, v151, v180, -v184
	v_add_f32_e32 v149, v171, v149
	v_mul_f32_e32 v202, v157, v185
	v_fmac_f32_e32 v182, v152, v180
	v_add_f32_e32 v171, v172, v200
	s_waitcnt vmcnt(25)
	v_mul_f32_e32 v177, v160, v186
	v_fma_f32 v157, v157, v179, -v181
	v_add_f32_e32 v149, v149, v151
	v_mul_f32_e32 v174, v159, v186
	v_fmac_f32_e32 v202, v158, v179
	v_add_f32_e32 v151, v171, v182
	s_waitcnt vmcnt(24) lgkmcnt(5)
	v_mul_f32_e32 v158, v154, v187
	s_waitcnt vmcnt(10)
	v_fma_f32 v159, v159, v193, -v177
	v_add_f32_e32 v149, v149, v157
	v_mul_f32_e32 v150, v153, v187
	v_fmac_f32_e32 v174, v160, v193
	v_add_f32_e32 v151, v151, v202
	v_mul_f32_e32 v157, v156, v188
	v_fma_f32 v153, v153, v192, -v158
	v_add_f32_e32 v149, v149, v159
	v_mul_f32_e32 v178, v155, v188
	v_fmac_f32_e32 v150, v154, v192
	v_add_f32_e32 v151, v151, v174
	s_waitcnt lgkmcnt(4)
	v_mul_f32_e32 v154, v162, v189
	v_fma_f32 v155, v155, v191, -v157
	v_add_f32_e32 v149, v149, v153
	v_mul_f32_e32 v173, v161, v189
	v_fmac_f32_e32 v178, v156, v191
	v_add_f32_e32 v150, v151, v150
	v_mul_f32_e32 v152, v163, v140
	v_mul_f32_e32 v140, v164, v140
	v_fma_f32 v151, v161, v190, -v154
	v_add_f32_e32 v149, v149, v155
	v_fmac_f32_e32 v173, v162, v190
	v_add_f32_e32 v150, v150, v178
	s_waitcnt lgkmcnt(3)
	v_mul_f32_e32 v180, v141, v11
	v_mul_f32_e32 v11, v142, v11
	s_waitcnt vmcnt(6)
	v_fma_f32 v140, v163, v197, -v140
	v_add_f32_e32 v149, v149, v151
	v_fmac_f32_e32 v152, v164, v197
	v_add_f32_e32 v150, v150, v173
	v_mul_f32_e32 v175, v143, v10
	v_mul_f32_e32 v10, v144, v10
	v_fma_f32 v11, v141, v196, -v11
	v_add_f32_e32 v140, v149, v140
	v_fmac_f32_e32 v180, v142, v196
	v_add_f32_e32 v141, v150, v152
	s_waitcnt lgkmcnt(2)
	v_mul_f32_e32 v176, v165, v9
	v_mul_f32_e32 v9, v166, v9
	v_fma_f32 v10, v143, v195, -v10
	v_add_f32_e32 v11, v140, v11
	v_fmac_f32_e32 v175, v144, v195
	v_add_f32_e32 v140, v141, v180
	v_mul_f32_e32 v183, v167, v7
	v_mul_f32_e32 v7, v168, v7
	v_fma_f32 v9, v165, v194, -v9
	v_add_f32_e32 v10, v11, v10
	v_fmac_f32_e32 v176, v166, v194
	v_add_f32_e32 v11, v140, v175
	s_waitcnt lgkmcnt(1)
	v_mul_f32_e32 v184, v145, v6
	v_mul_f32_e32 v6, v146, v6
	s_waitcnt vmcnt(2)
	v_fma_f32 v7, v167, v199, -v7
	v_add_f32_e32 v9, v10, v9
	v_fmac_f32_e32 v183, v168, v199
	v_add_f32_e32 v10, v11, v176
	v_mul_f32_e32 v185, v147, v2
	v_mul_f32_e32 v2, v148, v2
	v_fma_f32 v6, v145, v198, -v6
	v_add_f32_e32 v7, v9, v7
	v_fmac_f32_e32 v184, v146, v198
	v_add_f32_e32 v9, v10, v183
	s_waitcnt lgkmcnt(0)
	v_mul_f32_e32 v172, v169, v3
	v_mul_f32_e32 v3, v170, v3
	v_fma_f32 v2, v147, v12, -v2
	v_add_f32_e32 v6, v7, v6
	v_fmac_f32_e32 v185, v148, v12
	v_add_f32_e32 v7, v9, v184
	v_fma_f32 v3, v169, v8, -v3
	v_fmac_f32_e32 v172, v170, v8
	v_add_f32_e32 v2, v6, v2
	v_add_f32_e32 v6, v7, v185
	;; [unrolled: 1-line block ×4, first 2 shown]
	s_waitcnt vmcnt(1)
	v_sub_f32_e32 v2, v4, v2
	s_waitcnt vmcnt(0)
	v_sub_f32_e32 v3, v5, v3
	buffer_store_dword v2, off, s[0:3], 0 offset:280
	buffer_store_dword v3, off, s[0:3], 0 offset:284
	v_cmpx_lt_u32_e32 34, v0
	s_cbranch_execz .LBB126_323
; %bb.322:
	s_clause 0x1
	buffer_load_dword v2, off, s[0:3], 0 offset:272
	buffer_load_dword v3, off, s[0:3], 0 offset:276
	buffer_store_dword v1, off, s[0:3], 0 offset:272
	buffer_store_dword v1, off, s[0:3], 0 offset:276
	s_waitcnt vmcnt(0)
	ds_write_b64 v139, v[2:3]
.LBB126_323:
	s_or_b32 exec_lo, exec_lo, s4
	s_waitcnt lgkmcnt(0)
	s_waitcnt_vscnt null, 0x0
	s_barrier
	buffer_gl0_inv
	s_clause 0x39
	buffer_load_dword v160, off, s[0:3], 0 offset:284
	buffer_load_dword v161, off, s[0:3], 0 offset:292
	;; [unrolled: 1-line block ×58, first 2 shown]
	ds_read2_b64 v[148:151], v1 offset0:99 offset1:100
	ds_read2_b64 v[152:155], v1 offset0:101 offset1:102
	;; [unrolled: 1-line block ×3, first 2 shown]
	s_mov_b32 s4, exec_lo
	s_waitcnt vmcnt(57) lgkmcnt(2)
	v_mul_f32_e32 v199, v148, v160
	v_mul_f32_e32 v160, v149, v160
	s_waitcnt vmcnt(56)
	v_mul_f32_e32 v200, v150, v161
	v_mul_f32_e32 v161, v151, v161
	s_waitcnt vmcnt(53)
	v_fmac_f32_e32 v199, v149, v164
	v_fma_f32 v160, v148, v164, -v160
	v_fmac_f32_e32 v200, v151, v163
	v_fma_f32 v164, v150, v163, -v161
	ds_read2_b64 v[148:151], v1 offset0:105 offset1:106
	s_waitcnt vmcnt(52) lgkmcnt(2)
	v_mul_f32_e32 v201, v152, v165
	v_mul_f32_e32 v161, v153, v165
	s_waitcnt vmcnt(51)
	v_mul_f32_e32 v165, v154, v166
	v_mul_f32_e32 v163, v155, v166
	s_waitcnt vmcnt(50) lgkmcnt(1)
	v_mul_f32_e32 v202, v156, v167
	v_mul_f32_e32 v166, v157, v167
	s_waitcnt vmcnt(49)
	v_mul_f32_e32 v203, v158, v168
	v_mul_f32_e32 v167, v159, v168
	v_fmac_f32_e32 v201, v153, v162
	v_fma_f32 v168, v152, v162, -v161
	s_waitcnt vmcnt(45)
	v_fmac_f32_e32 v165, v155, v171
	v_fma_f32 v171, v154, v171, -v163
	ds_read2_b64 v[152:155], v1 offset0:107 offset1:108
	v_fmac_f32_e32 v202, v157, v170
	v_fma_f32 v170, v156, v170, -v166
	v_fmac_f32_e32 v203, v159, v169
	v_fma_f32 v204, v158, v169, -v167
	ds_read2_b64 v[156:159], v1 offset0:109 offset1:110
	v_add_f32_e32 v166, 0, v199
	s_waitcnt vmcnt(44) lgkmcnt(2)
	v_mul_f32_e32 v205, v148, v172
	v_mul_f32_e32 v161, v149, v172
	s_waitcnt vmcnt(43)
	v_mul_f32_e32 v172, v150, v173
	v_mul_f32_e32 v162, v151, v173
	v_add_f32_e32 v166, v166, v200
	v_fmac_f32_e32 v205, v149, v147
	v_fma_f32 v173, v148, v147, -v161
	s_waitcnt vmcnt(39)
	v_fmac_f32_e32 v172, v151, v177
	v_add_f32_e32 v151, 0, v160
	v_fma_f32 v177, v150, v177, -v162
	ds_read2_b64 v[147:150], v1 offset0:111 offset1:112
	ds_read2_b64 v[160:163], v1 offset0:113 offset1:114
	v_add_f32_e32 v166, v166, v201
	v_add_f32_e32 v151, v151, v164
	s_waitcnt vmcnt(38) lgkmcnt(3)
	v_mul_f32_e32 v199, v152, v178
	v_mul_f32_e32 v164, v153, v178
	s_waitcnt vmcnt(37)
	v_mul_f32_e32 v178, v154, v179
	v_mul_f32_e32 v167, v155, v179
	v_add_f32_e32 v151, v151, v168
	s_waitcnt vmcnt(36) lgkmcnt(2)
	v_mul_f32_e32 v179, v156, v180
	s_waitcnt vmcnt(35)
	v_mul_f32_e32 v200, v158, v181
	v_mul_f32_e32 v168, v157, v180
	v_fmac_f32_e32 v178, v155, v175
	v_add_f32_e32 v155, v151, v171
	v_add_f32_e32 v169, v166, v165
	v_mul_f32_e32 v171, v159, v181
	v_fmac_f32_e32 v179, v157, v174
	s_waitcnt vmcnt(31)
	v_fmac_f32_e32 v200, v159, v184
	v_fma_f32 v159, v156, v174, -v168
	v_add_f32_e32 v174, v155, v170
	v_fma_f32 v180, v154, v175, -v167
	v_add_f32_e32 v175, v169, v202
	v_fma_f32 v181, v158, v184, -v171
	s_waitcnt vmcnt(30) lgkmcnt(1)
	v_mul_f32_e32 v184, v147, v185
	v_add_f32_e32 v174, v174, v204
	v_mul_f32_e32 v185, v148, v185
	v_add_f32_e32 v175, v175, v203
	v_fmac_f32_e32 v199, v153, v176
	v_fmac_f32_e32 v184, v148, v183
	v_add_f32_e32 v148, v174, v173
	v_fma_f32 v176, v152, v176, -v164
	v_add_f32_e32 v173, v175, v205
	v_fma_f32 v183, v147, v183, -v185
	ds_read2_b64 v[151:154], v1 offset0:115 offset1:116
	ds_read2_b64 v[164:167], v1 offset0:117 offset1:118
	v_add_f32_e32 v177, v148, v177
	s_waitcnt vmcnt(29)
	v_mul_f32_e32 v201, v149, v186
	v_add_f32_e32 v185, v173, v172
	v_mul_f32_e32 v186, v150, v186
	ds_read2_b64 v[155:158], v1 offset0:119 offset1:120
	ds_read2_b64 v[168:171], v1 offset0:121 offset1:122
	v_add_f32_e32 v176, v177, v176
	v_fmac_f32_e32 v201, v150, v182
	v_add_f32_e32 v185, v185, v199
	v_fma_f32 v182, v149, v182, -v186
	ds_read2_b64 v[147:150], v1 offset0:123 offset1:124
	ds_read2_b64 v[172:175], v1 offset0:125 offset1:126
	v_add_f32_e32 v176, v176, v180
	s_waitcnt vmcnt(28) lgkmcnt(6)
	v_mul_f32_e32 v1, v160, v187
	v_add_f32_e32 v178, v185, v178
	v_mul_f32_e32 v177, v161, v187
	s_waitcnt vmcnt(27)
	v_mul_f32_e32 v187, v163, v188
	v_add_f32_e32 v159, v176, v159
	v_fmac_f32_e32 v1, v161, v12
	v_add_f32_e32 v178, v178, v179
	v_fma_f32 v12, v160, v12, -v177
	v_mul_f32_e32 v186, v162, v188
	v_add_f32_e32 v159, v159, v181
	s_waitcnt vmcnt(26) lgkmcnt(5)
	v_mul_f32_e32 v180, v151, v145
	v_add_f32_e32 v178, v178, v200
	v_mul_f32_e32 v145, v152, v145
	s_waitcnt vmcnt(11)
	v_fma_f32 v162, v162, v192, -v187
	v_add_f32_e32 v159, v159, v183
	v_fmac_f32_e32 v186, v163, v192
	v_add_f32_e32 v178, v178, v184
	v_mul_f32_e32 v185, v153, v144
	v_mul_f32_e32 v144, v154, v144
	v_add_f32_e32 v159, v159, v182
	v_fma_f32 v145, v151, v191, -v145
	v_add_f32_e32 v161, v178, v201
	v_fmac_f32_e32 v180, v152, v191
	s_waitcnt lgkmcnt(4)
	v_mul_f32_e32 v188, v164, v143
	v_add_f32_e32 v12, v159, v12
	v_mul_f32_e32 v143, v165, v143
	v_add_f32_e32 v1, v161, v1
	v_fma_f32 v144, v153, v190, -v144
	v_fmac_f32_e32 v185, v154, v190
	v_add_f32_e32 v12, v12, v162
	v_mul_f32_e32 v176, v166, v142
	v_add_f32_e32 v1, v1, v186
	v_mul_f32_e32 v142, v167, v142
	v_fma_f32 v143, v164, v189, -v143
	v_add_f32_e32 v12, v12, v145
	v_fmac_f32_e32 v188, v165, v189
	v_add_f32_e32 v1, v1, v180
	s_waitcnt lgkmcnt(3)
	v_mul_f32_e32 v179, v155, v140
	v_mul_f32_e32 v140, v156, v140
	v_add_f32_e32 v12, v12, v144
	s_waitcnt vmcnt(7)
	v_fma_f32 v142, v166, v196, -v142
	v_add_f32_e32 v1, v1, v185
	v_fmac_f32_e32 v176, v167, v196
	v_mul_f32_e32 v199, v157, v11
	v_add_f32_e32 v12, v12, v143
	v_mul_f32_e32 v11, v158, v11
	v_add_f32_e32 v1, v1, v188
	v_fma_f32 v140, v155, v195, -v140
	v_fmac_f32_e32 v179, v156, v195
	v_add_f32_e32 v12, v12, v142
	s_waitcnt lgkmcnt(2)
	v_mul_f32_e32 v181, v168, v10
	v_add_f32_e32 v1, v1, v176
	v_mul_f32_e32 v10, v169, v10
	v_fma_f32 v11, v157, v194, -v11
	v_add_f32_e32 v12, v12, v140
	v_fmac_f32_e32 v199, v158, v194
	v_add_f32_e32 v1, v1, v179
	v_mul_f32_e32 v200, v170, v8
	v_mul_f32_e32 v8, v171, v8
	v_fma_f32 v10, v168, v193, -v10
	v_add_f32_e32 v11, v12, v11
	v_fmac_f32_e32 v181, v169, v193
	v_add_f32_e32 v1, v1, v199
	s_waitcnt lgkmcnt(1)
	v_mul_f32_e32 v202, v147, v7
	v_mul_f32_e32 v7, v148, v7
	s_waitcnt vmcnt(3)
	v_fma_f32 v8, v170, v198, -v8
	v_add_f32_e32 v10, v11, v10
	v_fmac_f32_e32 v200, v171, v198
	v_add_f32_e32 v1, v1, v181
	v_mul_f32_e32 v183, v149, v6
	v_mul_f32_e32 v6, v150, v6
	v_fma_f32 v7, v147, v197, -v7
	v_add_f32_e32 v8, v10, v8
	v_fmac_f32_e32 v202, v148, v197
	v_add_f32_e32 v1, v1, v200
	s_waitcnt lgkmcnt(0)
	v_mul_f32_e32 v184, v172, v5
	v_mul_f32_e32 v5, v173, v5
	v_fma_f32 v6, v149, v146, -v6
	v_add_f32_e32 v7, v8, v7
	v_fmac_f32_e32 v183, v150, v146
	v_add_f32_e32 v1, v1, v202
	v_mul_f32_e32 v160, v174, v2
	v_mul_f32_e32 v2, v175, v2
	v_fma_f32 v5, v172, v141, -v5
	v_add_f32_e32 v6, v7, v6
	v_fmac_f32_e32 v184, v173, v141
	v_add_f32_e32 v1, v1, v183
	s_waitcnt vmcnt(2)
	v_fma_f32 v2, v174, v9, -v2
	v_fmac_f32_e32 v160, v175, v9
	v_add_f32_e32 v5, v6, v5
	v_add_f32_e32 v1, v1, v184
	;; [unrolled: 1-line block ×4, first 2 shown]
	s_waitcnt vmcnt(1)
	v_sub_f32_e32 v2, v3, v2
	s_waitcnt vmcnt(0)
	v_sub_f32_e32 v1, v4, v1
	buffer_store_dword v2, off, s[0:3], 0 offset:272
	buffer_store_dword v1, off, s[0:3], 0 offset:276
	v_cmpx_lt_u32_e32 33, v0
	s_cbranch_execz .LBB126_325
; %bb.324:
	s_clause 0x1
	buffer_load_dword v1, off, s[0:3], 0 offset:264
	buffer_load_dword v2, off, s[0:3], 0 offset:268
	v_mov_b32_e32 v3, 0
	buffer_store_dword v3, off, s[0:3], 0 offset:264
	buffer_store_dword v3, off, s[0:3], 0 offset:268
	s_waitcnt vmcnt(0)
	ds_write_b64 v139, v[1:2]
.LBB126_325:
	s_or_b32 exec_lo, exec_lo, s4
	s_waitcnt lgkmcnt(0)
	s_waitcnt_vscnt null, 0x0
	s_barrier
	buffer_gl0_inv
	s_clause 0x3b
	buffer_load_dword v171, off, s[0:3], 0 offset:276
	buffer_load_dword v172, off, s[0:3], 0 offset:284
	;; [unrolled: 1-line block ×60, first 2 shown]
	v_mov_b32_e32 v1, 0
	ds_read_b128 v[159:162], v1 offset:784
	ds_read_b128 v[163:166], v1 offset:800
	;; [unrolled: 1-line block ×3, first 2 shown]
	s_mov_b32 s4, exec_lo
	s_waitcnt vmcnt(59) lgkmcnt(2)
	v_mul_f32_e32 v201, v159, v171
	s_waitcnt vmcnt(58)
	v_mul_f32_e32 v202, v161, v172
	v_mul_f32_e32 v171, v160, v171
	;; [unrolled: 1-line block ×3, first 2 shown]
	s_waitcnt vmcnt(55)
	v_fmac_f32_e32 v201, v160, v174
	v_fmac_f32_e32 v202, v162, v173
	v_fma_f32 v171, v159, v174, -v171
	v_fma_f32 v172, v161, v173, -v172
	ds_read_b128 v[159:162], v1 offset:832
	s_waitcnt vmcnt(54) lgkmcnt(2)
	v_mul_f32_e32 v203, v163, v158
	v_mul_f32_e32 v158, v164, v158
	s_waitcnt vmcnt(53)
	v_mul_f32_e32 v204, v165, v157
	v_mul_f32_e32 v157, v166, v157
	v_add_f32_e32 v173, 0, v201
	v_fmac_f32_e32 v203, v164, v152
	v_fma_f32 v152, v163, v152, -v158
	s_waitcnt vmcnt(48)
	v_fmac_f32_e32 v204, v166, v177
	v_fma_f32 v177, v165, v177, -v157
	s_waitcnt vmcnt(47) lgkmcnt(1)
	v_mul_f32_e32 v157, v170, v178
	ds_read_b128 v[163:166], v1 offset:848
	v_mul_f32_e32 v205, v167, v155
	v_mul_f32_e32 v155, v168, v155
	;; [unrolled: 1-line block ×3, first 2 shown]
	v_fma_f32 v207, v169, v175, -v157
	v_fmac_f32_e32 v205, v168, v176
	v_fma_f32 v155, v167, v176, -v155
	v_fmac_f32_e32 v206, v170, v175
	s_waitcnt vmcnt(46) lgkmcnt(1)
	v_mul_f32_e32 v208, v159, v179
	s_waitcnt vmcnt(45)
	v_mul_f32_e32 v209, v161, v180
	v_mul_f32_e32 v157, v160, v179
	;; [unrolled: 1-line block ×3, first 2 shown]
	ds_read_b128 v[167:170], v1 offset:864
	v_fmac_f32_e32 v208, v160, v154
	v_add_f32_e32 v160, 0, v171
	s_waitcnt vmcnt(41)
	v_fmac_f32_e32 v209, v162, v183
	v_fma_f32 v183, v161, v183, -v158
	v_add_f32_e32 v162, v173, v202
	v_fma_f32 v154, v159, v154, -v157
	v_add_f32_e32 v161, v160, v172
	s_waitcnt vmcnt(39) lgkmcnt(1)
	v_mul_f32_e32 v175, v166, v185
	v_mul_f32_e32 v202, v165, v185
	v_add_f32_e32 v162, v162, v203
	ds_read_b128 v[157:160], v1 offset:880
	ds_read_b128 v[171:174], v1 offset:896
	v_add_f32_e32 v152, v161, v152
	v_fma_f32 v210, v165, v181, -v175
	v_mul_f32_e32 v161, v164, v184
	v_add_f32_e32 v162, v162, v204
	v_mul_f32_e32 v201, v163, v184
	v_add_f32_e32 v152, v152, v177
	v_fmac_f32_e32 v202, v166, v181
	v_fma_f32 v184, v163, v182, -v161
	v_add_f32_e32 v165, v162, v205
	s_waitcnt vmcnt(37) lgkmcnt(2)
	v_mul_f32_e32 v204, v169, v150
	v_add_f32_e32 v152, v152, v155
	v_fmac_f32_e32 v201, v164, v182
	v_mul_f32_e32 v150, v170, v150
	v_add_f32_e32 v155, v165, v206
	v_mul_f32_e32 v203, v167, v186
	v_add_f32_e32 v152, v152, v207
	v_mul_f32_e32 v179, v168, v186
	s_waitcnt vmcnt(33)
	v_fmac_f32_e32 v204, v170, v189
	v_add_f32_e32 v155, v155, v208
	v_fma_f32 v150, v169, v189, -v150
	v_add_f32_e32 v152, v152, v154
	v_fmac_f32_e32 v203, v168, v147
	v_fma_f32 v147, v167, v147, -v179
	v_add_f32_e32 v155, v155, v209
	s_waitcnt vmcnt(32) lgkmcnt(1)
	v_mul_f32_e32 v169, v157, v190
	v_add_f32_e32 v152, v152, v183
	v_mul_f32_e32 v154, v158, v190
	ds_read_b128 v[161:164], v1 offset:912
	ds_read_b128 v[175:178], v1 offset:928
	v_add_f32_e32 v189, v155, v201
	s_waitcnt vmcnt(30) lgkmcnt(2)
	v_mul_f32_e32 v190, v171, v145
	v_add_f32_e32 v152, v152, v184
	v_mul_f32_e32 v145, v172, v145
	v_mul_f32_e32 v170, v159, v191
	v_add_f32_e32 v189, v189, v202
	v_mul_f32_e32 v185, v160, v191
	v_add_f32_e32 v152, v152, v210
	v_fmac_f32_e32 v169, v158, v188
	v_fma_f32 v188, v157, v188, -v154
	v_add_f32_e32 v189, v189, v203
	v_fmac_f32_e32 v190, v172, v141
	v_add_f32_e32 v147, v152, v147
	v_fma_f32 v141, v171, v141, -v145
	v_fmac_f32_e32 v170, v160, v187
	v_add_f32_e32 v171, v189, v204
	v_fma_f32 v187, v159, v187, -v185
	v_add_f32_e32 v147, v147, v150
	s_waitcnt vmcnt(29)
	v_mul_f32_e32 v191, v173, v146
	v_mul_f32_e32 v146, v174, v146
	v_add_f32_e32 v169, v171, v169
	s_waitcnt vmcnt(28) lgkmcnt(1)
	v_mul_f32_e32 v201, v161, v142
	v_add_f32_e32 v147, v147, v188
	v_mul_f32_e32 v142, v162, v142
	s_waitcnt vmcnt(20)
	v_fma_f32 v146, v173, v195, -v146
	v_add_f32_e32 v169, v169, v170
	ds_read_b128 v[165:168], v1 offset:944
	ds_read_b128 v[179:182], v1 offset:960
	v_add_f32_e32 v147, v147, v187
	v_fmac_f32_e32 v191, v174, v195
	v_mul_f32_e32 v152, v163, v10
	v_mul_f32_e32 v10, v164, v10
	v_fma_f32 v142, v161, v194, -v142
	v_add_f32_e32 v141, v147, v141
	v_add_f32_e32 v147, v169, v190
	v_fmac_f32_e32 v201, v162, v194
	s_waitcnt lgkmcnt(2)
	v_mul_f32_e32 v145, v175, v8
	v_mul_f32_e32 v8, v176, v8
	v_add_f32_e32 v141, v141, v146
	v_add_f32_e32 v146, v147, v191
	v_fma_f32 v10, v163, v193, -v10
	v_fmac_f32_e32 v152, v164, v193
	v_mul_f32_e32 v172, v177, v6
	v_add_f32_e32 v141, v141, v142
	v_add_f32_e32 v142, v146, v201
	v_mul_f32_e32 v6, v178, v6
	v_fma_f32 v8, v175, v192, -v8
	v_fmac_f32_e32 v145, v176, v192
	v_add_f32_e32 v10, v141, v10
	v_add_f32_e32 v141, v142, v152
	s_waitcnt lgkmcnt(1)
	v_mul_f32_e32 v150, v165, v5
	v_mul_f32_e32 v5, v166, v5
	s_waitcnt vmcnt(8)
	v_fma_f32 v6, v177, v200, -v6
	v_add_f32_e32 v8, v10, v8
	v_fmac_f32_e32 v172, v178, v200
	v_add_f32_e32 v10, v141, v145
	ds_read_b128 v[157:160], v1 offset:976
	ds_read_b128 v[183:186], v1 offset:992
	ds_read_b64 v[154:155], v1 offset:1008
	v_mul_f32_e32 v141, v168, v196
	v_fma_f32 v5, v165, v199, -v5
	v_add_f32_e32 v6, v8, v6
	v_mul_f32_e32 v173, v167, v196
	v_fmac_f32_e32 v150, v166, v199
	v_add_f32_e32 v8, v10, v172
	s_waitcnt lgkmcnt(3)
	v_mul_f32_e32 v10, v180, v197
	v_fma_f32 v141, v167, v198, -v141
	v_add_f32_e32 v5, v6, v5
	v_mul_f32_e32 v174, v179, v197
	v_fmac_f32_e32 v173, v168, v198
	v_add_f32_e32 v6, v8, v150
	v_mul_f32_e32 v8, v182, v151
	v_fma_f32 v10, v179, v156, -v10
	v_add_f32_e32 v5, v5, v141
	v_mul_f32_e32 v171, v181, v151
	v_fmac_f32_e32 v174, v180, v156
	v_add_f32_e32 v6, v6, v173
	s_waitcnt lgkmcnt(2)
	v_mul_f32_e32 v141, v158, v148
	s_waitcnt vmcnt(4)
	v_fma_f32 v8, v181, v153, -v8
	v_add_f32_e32 v5, v5, v10
	v_mul_f32_e32 v188, v157, v148
	v_fmac_f32_e32 v171, v182, v153
	v_add_f32_e32 v6, v6, v174
	v_mul_f32_e32 v10, v160, v144
	v_fma_f32 v141, v157, v149, -v141
	v_add_f32_e32 v5, v5, v8
	v_mul_f32_e32 v189, v159, v144
	v_fmac_f32_e32 v188, v158, v149
	v_add_f32_e32 v6, v6, v171
	s_waitcnt lgkmcnt(1)
	v_mul_f32_e32 v8, v184, v140
	v_fma_f32 v10, v159, v143, -v10
	v_add_f32_e32 v5, v5, v141
	v_mul_f32_e32 v170, v183, v140
	v_fmac_f32_e32 v189, v160, v143
	v_add_f32_e32 v6, v6, v188
	v_mul_f32_e32 v187, v185, v9
	v_mul_f32_e32 v9, v186, v9
	v_fma_f32 v8, v183, v12, -v8
	v_add_f32_e32 v5, v5, v10
	v_fmac_f32_e32 v170, v184, v12
	v_add_f32_e32 v6, v6, v189
	s_waitcnt lgkmcnt(0)
	v_mul_f32_e32 v169, v154, v4
	v_mul_f32_e32 v4, v155, v4
	s_waitcnt vmcnt(2)
	v_fma_f32 v9, v185, v11, -v9
	v_add_f32_e32 v5, v5, v8
	v_fmac_f32_e32 v187, v186, v11
	v_add_f32_e32 v6, v6, v170
	v_fma_f32 v4, v154, v7, -v4
	v_fmac_f32_e32 v169, v155, v7
	v_add_f32_e32 v5, v5, v9
	v_add_f32_e32 v6, v6, v187
	;; [unrolled: 1-line block ×4, first 2 shown]
	s_waitcnt vmcnt(1)
	v_sub_f32_e32 v2, v2, v4
	s_waitcnt vmcnt(0)
	v_sub_f32_e32 v3, v3, v5
	buffer_store_dword v2, off, s[0:3], 0 offset:264
	buffer_store_dword v3, off, s[0:3], 0 offset:268
	v_cmpx_lt_u32_e32 32, v0
	s_cbranch_execz .LBB126_327
; %bb.326:
	s_clause 0x1
	buffer_load_dword v2, off, s[0:3], 0 offset:256
	buffer_load_dword v3, off, s[0:3], 0 offset:260
	buffer_store_dword v1, off, s[0:3], 0 offset:256
	buffer_store_dword v1, off, s[0:3], 0 offset:260
	s_waitcnt vmcnt(0)
	ds_write_b64 v139, v[2:3]
.LBB126_327:
	s_or_b32 exec_lo, exec_lo, s4
	s_waitcnt lgkmcnt(0)
	s_waitcnt_vscnt null, 0x0
	s_barrier
	buffer_gl0_inv
	s_clause 0x3d
	buffer_load_dword v171, off, s[0:3], 0 offset:268
	buffer_load_dword v172, off, s[0:3], 0 offset:276
	buffer_load_dword v154, off, s[0:3], 0 offset:280
	buffer_load_dword v173, off, s[0:3], 0 offset:272
	buffer_load_dword v174, off, s[0:3], 0 offset:264
	buffer_load_dword v160, off, s[0:3], 0 offset:284
	buffer_load_dword v161, off, s[0:3], 0 offset:292
	buffer_load_dword v5, off, s[0:3], 0 offset:312
	buffer_load_dword v147, off, s[0:3], 0 offset:304
	buffer_load_dword v148, off, s[0:3], 0 offset:296
	buffer_load_dword v175, off, s[0:3], 0 offset:288
	buffer_load_dword v151, off, s[0:3], 0 offset:300
	buffer_load_dword v150, off, s[0:3], 0 offset:308
	buffer_load_dword v9, off, s[0:3], 0 offset:316
	buffer_load_dword v176, off, s[0:3], 0 offset:324
	buffer_load_dword v8, off, s[0:3], 0 offset:344
	buffer_load_dword v10, off, s[0:3], 0 offset:336
	buffer_load_dword v156, off, s[0:3], 0 offset:328
	buffer_load_dword v177, off, s[0:3], 0 offset:320
	buffer_load_dword v162, off, s[0:3], 0 offset:332
	buffer_load_dword v155, off, s[0:3], 0 offset:340
	buffer_load_dword v152, off, s[0:3], 0 offset:348
	buffer_load_dword v157, off, s[0:3], 0 offset:356
	buffer_load_dword v144, off, s[0:3], 0 offset:364
	buffer_load_dword v11, off, s[0:3], 0 offset:376
	buffer_load_dword v12, off, s[0:3], 0 offset:368
	buffer_load_dword v178, off, s[0:3], 0 offset:360
	buffer_load_dword v179, off, s[0:3], 0 offset:352
	buffer_load_dword v145, off, s[0:3], 0 offset:372
	buffer_load_dword v142, off, s[0:3], 0 offset:380
	buffer_load_dword v143, off, s[0:3], 0 offset:388
	buffer_load_dword v180, off, s[0:3], 0 offset:408
	buffer_load_dword v181, off, s[0:3], 0 offset:400
	buffer_load_dword v182, off, s[0:3], 0 offset:392
	buffer_load_dword v183, off, s[0:3], 0 offset:384
	buffer_load_dword v184, off, s[0:3], 0 offset:396
	buffer_load_dword v185, off, s[0:3], 0 offset:404
	buffer_load_dword v186, off, s[0:3], 0 offset:412
	buffer_load_dword v187, off, s[0:3], 0 offset:420
	buffer_load_dword v188, off, s[0:3], 0 offset:428
	buffer_load_dword v189, off, s[0:3], 0 offset:436
	buffer_load_dword v190, off, s[0:3], 0 offset:444
	buffer_load_dword v153, off, s[0:3], 0 offset:452
	buffer_load_dword v146, off, s[0:3], 0 offset:460
	buffer_load_dword v140, off, s[0:3], 0 offset:468
	buffer_load_dword v7, off, s[0:3], 0 offset:476
	buffer_load_dword v4, off, s[0:3], 0 offset:484
	buffer_load_dword v3, off, s[0:3], 0 offset:492
	buffer_load_dword v2, off, s[0:3], 0 offset:500
	buffer_load_dword v159, off, s[0:3], 0 offset:440
	buffer_load_dword v191, off, s[0:3], 0 offset:432
	buffer_load_dword v192, off, s[0:3], 0 offset:424
	buffer_load_dword v193, off, s[0:3], 0 offset:416
	buffer_load_dword v6, off, s[0:3], 0 offset:472
	buffer_load_dword v141, off, s[0:3], 0 offset:464
	buffer_load_dword v149, off, s[0:3], 0 offset:456
	buffer_load_dword v158, off, s[0:3], 0 offset:448
	buffer_load_dword v194, off, s[0:3], 0 offset:496
	buffer_load_dword v195, off, s[0:3], 0 offset:488
	buffer_load_dword v196, off, s[0:3], 0 offset:480
	buffer_load_dword v197, off, s[0:3], 0 offset:256
	buffer_load_dword v198, off, s[0:3], 0 offset:260
	ds_read2_b64 v[163:166], v1 offset0:97 offset1:98
	ds_read2_b64 v[167:170], v1 offset0:99 offset1:100
	s_mov_b32 s4, exec_lo
	s_waitcnt vmcnt(61) lgkmcnt(1)
	v_mul_f32_e32 v199, v163, v171
	s_waitcnt vmcnt(60)
	v_mul_f32_e32 v200, v165, v172
	v_mul_f32_e32 v171, v164, v171
	v_mul_f32_e32 v172, v166, v172
	s_waitcnt vmcnt(57)
	v_fmac_f32_e32 v199, v164, v174
	v_fmac_f32_e32 v200, v166, v173
	v_fma_f32 v171, v163, v174, -v171
	v_fma_f32 v201, v165, v173, -v172
	ds_read2_b64 v[163:166], v1 offset0:101 offset1:102
	s_waitcnt vmcnt(56) lgkmcnt(1)
	v_mul_f32_e32 v202, v167, v160
	v_mul_f32_e32 v160, v168, v160
	s_waitcnt vmcnt(55)
	v_mul_f32_e32 v203, v169, v161
	v_mul_f32_e32 v161, v170, v161
	v_fmac_f32_e32 v202, v168, v154
	v_fma_f32 v154, v167, v154, -v160
	s_waitcnt vmcnt(51)
	v_fmac_f32_e32 v203, v170, v175
	v_fma_f32 v175, v169, v175, -v161
	ds_read2_b64 v[167:170], v1 offset0:103 offset1:104
	v_add_f32_e32 v161, 0, v199
	v_add_f32_e32 v161, v161, v200
	s_waitcnt vmcnt(50) lgkmcnt(1)
	v_mul_f32_e32 v204, v163, v151
	v_mul_f32_e32 v151, v164, v151
	s_waitcnt vmcnt(49)
	v_mul_f32_e32 v205, v165, v150
	v_mul_f32_e32 v150, v166, v150
	v_fmac_f32_e32 v204, v164, v148
	v_fma_f32 v148, v163, v148, -v151
	v_fmac_f32_e32 v205, v166, v147
	v_fma_f32 v147, v165, v147, -v150
	ds_read2_b64 v[163:166], v1 offset0:105 offset1:106
	s_waitcnt vmcnt(48) lgkmcnt(1)
	v_mul_f32_e32 v150, v167, v9
	v_mul_f32_e32 v9, v168, v9
	s_waitcnt vmcnt(47)
	v_mul_f32_e32 v151, v169, v176
	v_mul_f32_e32 v160, v170, v176
	v_fmac_f32_e32 v150, v168, v5
	v_fma_f32 v5, v167, v5, -v9
	s_waitcnt vmcnt(43)
	v_fmac_f32_e32 v151, v170, v177
	v_fma_f32 v9, v169, v177, -v160
	ds_read2_b64 v[167:170], v1 offset0:107 offset1:108
	v_add_f32_e32 v160, 0, v171
	ds_read2_b64 v[171:174], v1 offset0:109 offset1:110
	v_add_f32_e32 v160, v160, v201
	s_waitcnt vmcnt(42) lgkmcnt(2)
	v_mul_f32_e32 v199, v163, v162
	v_mul_f32_e32 v162, v164, v162
	v_add_f32_e32 v154, v160, v154
	s_waitcnt vmcnt(41)
	v_mul_f32_e32 v201, v165, v155
	v_mul_f32_e32 v155, v166, v155
	v_fmac_f32_e32 v199, v164, v156
	v_fma_f32 v200, v163, v156, -v162
	v_add_f32_e32 v156, v161, v202
	v_add_f32_e32 v154, v154, v175
	ds_read2_b64 v[160:163], v1 offset0:111 offset1:112
	s_waitcnt vmcnt(40) lgkmcnt(2)
	v_mul_f32_e32 v202, v167, v152
	v_mul_f32_e32 v152, v168, v152
	v_add_f32_e32 v156, v156, v203
	v_add_f32_e32 v148, v154, v148
	s_waitcnt vmcnt(39)
	v_mul_f32_e32 v203, v169, v157
	v_fmac_f32_e32 v202, v168, v8
	v_fma_f32 v152, v167, v8, -v152
	v_add_f32_e32 v154, v156, v204
	v_add_f32_e32 v8, v148, v147
	v_mul_f32_e32 v175, v170, v157
	v_fmac_f32_e32 v201, v166, v10
	v_fma_f32 v10, v165, v10, -v155
	v_add_f32_e32 v147, v154, v205
	v_add_f32_e32 v5, v8, v5
	s_waitcnt vmcnt(34)
	v_fmac_f32_e32 v203, v170, v179
	v_fma_f32 v148, v169, v179, -v175
	s_waitcnt lgkmcnt(1)
	v_mul_f32_e32 v204, v171, v144
	v_add_f32_e32 v8, v147, v150
	v_add_f32_e32 v5, v5, v9
	s_waitcnt vmcnt(33)
	v_mul_f32_e32 v147, v173, v145
	v_mul_f32_e32 v9, v174, v145
	s_waitcnt vmcnt(32) lgkmcnt(0)
	v_mul_f32_e32 v150, v160, v142
	v_add_f32_e32 v8, v8, v151
	v_mul_f32_e32 v142, v161, v142
	v_add_f32_e32 v5, v5, v200
	s_waitcnt vmcnt(31)
	v_mul_f32_e32 v179, v163, v143
	v_fmac_f32_e32 v147, v174, v12
	v_fma_f32 v12, v173, v12, -v9
	v_fma_f32 v173, v160, v11, -v142
	v_add_f32_e32 v160, v8, v199
	v_add_f32_e32 v5, v5, v10
	s_waitcnt vmcnt(27)
	v_fma_f32 v174, v162, v183, -v179
	v_mul_f32_e32 v144, v172, v144
	ds_read2_b64 v[154:157], v1 offset0:113 offset1:114
	ds_read2_b64 v[164:167], v1 offset0:115 offset1:116
	v_add_f32_e32 v179, v160, v201
	v_add_f32_e32 v5, v5, v152
	v_fmac_f32_e32 v204, v172, v178
	v_fma_f32 v172, v171, v178, -v144
	v_mul_f32_e32 v151, v162, v143
	v_add_f32_e32 v179, v179, v202
	v_add_f32_e32 v5, v5, v148
	v_fmac_f32_e32 v150, v161, v11
	ds_read2_b64 v[168:171], v1 offset0:117 offset1:118
	ds_read2_b64 v[175:178], v1 offset0:119 offset1:120
	;; [unrolled: 1-line block ×4, first 2 shown]
	v_add_f32_e32 v179, v179, v203
	v_add_f32_e32 v5, v5, v172
	v_fmac_f32_e32 v151, v163, v183
	ds_read2_b64 v[160:163], v1 offset0:125 offset1:126
	v_add_f32_e32 v179, v179, v204
	v_add_f32_e32 v5, v5, v12
	s_waitcnt vmcnt(26) lgkmcnt(6)
	v_mul_f32_e32 v152, v155, v184
	v_mul_f32_e32 v1, v154, v184
	v_add_f32_e32 v147, v179, v147
	v_add_f32_e32 v5, v5, v173
	s_waitcnt vmcnt(25)
	v_mul_f32_e32 v184, v157, v185
	v_fma_f32 v152, v154, v182, -v152
	v_mul_f32_e32 v183, v156, v185
	v_add_f32_e32 v147, v147, v150
	v_add_f32_e32 v5, v5, v174
	v_fmac_f32_e32 v1, v155, v182
	v_fma_f32 v155, v156, v181, -v184
	s_waitcnt vmcnt(24) lgkmcnt(5)
	v_mul_f32_e32 v148, v164, v186
	v_add_f32_e32 v147, v147, v151
	v_mul_f32_e32 v151, v165, v186
	v_add_f32_e32 v5, v5, v152
	v_fmac_f32_e32 v183, v157, v181
	s_waitcnt vmcnt(23)
	v_mul_f32_e32 v185, v166, v187
	v_add_f32_e32 v1, v147, v1
	v_mul_f32_e32 v147, v167, v187
	v_fma_f32 v151, v164, v180, -v151
	v_add_f32_e32 v5, v5, v155
	v_fmac_f32_e32 v148, v165, v180
	v_add_f32_e32 v1, v1, v183
	s_waitcnt vmcnt(22) lgkmcnt(4)
	v_mul_f32_e32 v152, v169, v188
	s_waitcnt vmcnt(9)
	v_fma_f32 v147, v166, v193, -v147
	v_add_f32_e32 v5, v5, v151
	v_mul_f32_e32 v199, v168, v188
	v_fmac_f32_e32 v185, v167, v193
	v_add_f32_e32 v1, v1, v148
	v_mul_f32_e32 v148, v171, v189
	v_fma_f32 v151, v168, v192, -v152
	v_add_f32_e32 v5, v5, v147
	v_mul_f32_e32 v172, v170, v189
	v_fmac_f32_e32 v199, v169, v192
	v_add_f32_e32 v1, v1, v185
	s_waitcnt lgkmcnt(3)
	v_mul_f32_e32 v147, v176, v190
	v_fma_f32 v148, v170, v191, -v148
	v_add_f32_e32 v5, v5, v151
	v_mul_f32_e32 v200, v175, v190
	v_fmac_f32_e32 v172, v171, v191
	v_add_f32_e32 v1, v1, v199
	v_mul_f32_e32 v151, v178, v153
	v_fma_f32 v147, v175, v159, -v147
	v_add_f32_e32 v5, v5, v148
	v_mul_f32_e32 v201, v177, v153
	v_fmac_f32_e32 v200, v176, v159
	v_add_f32_e32 v1, v1, v172
	s_waitcnt lgkmcnt(2)
	v_mul_f32_e32 v12, v8, v146
	v_mul_f32_e32 v146, v9, v146
	s_waitcnt vmcnt(5)
	v_fma_f32 v148, v177, v158, -v151
	v_add_f32_e32 v5, v5, v147
	v_fmac_f32_e32 v201, v178, v158
	v_add_f32_e32 v1, v1, v200
	v_mul_f32_e32 v179, v10, v140
	v_mul_f32_e32 v140, v11, v140
	v_fma_f32 v8, v8, v149, -v146
	v_add_f32_e32 v5, v5, v148
	v_fmac_f32_e32 v12, v9, v149
	v_add_f32_e32 v1, v1, v201
	s_waitcnt lgkmcnt(1)
	v_mul_f32_e32 v202, v142, v7
	v_mul_f32_e32 v7, v143, v7
	v_fma_f32 v9, v10, v141, -v140
	v_add_f32_e32 v5, v5, v8
	v_fmac_f32_e32 v179, v11, v141
	v_add_f32_e32 v1, v1, v12
	v_mul_f32_e32 v173, v144, v4
	v_mul_f32_e32 v4, v145, v4
	v_fmac_f32_e32 v202, v143, v6
	v_fma_f32 v6, v142, v6, -v7
	v_add_f32_e32 v5, v5, v9
	v_add_f32_e32 v1, v1, v179
	s_waitcnt lgkmcnt(0)
	v_mul_f32_e32 v150, v160, v3
	v_mul_f32_e32 v3, v161, v3
	s_waitcnt vmcnt(2)
	v_fma_f32 v4, v144, v196, -v4
	v_add_f32_e32 v5, v5, v6
	v_fmac_f32_e32 v173, v145, v196
	v_add_f32_e32 v1, v1, v202
	v_mul_f32_e32 v154, v162, v2
	v_mul_f32_e32 v2, v163, v2
	v_fma_f32 v3, v160, v195, -v3
	v_add_f32_e32 v4, v5, v4
	v_fmac_f32_e32 v150, v161, v195
	v_add_f32_e32 v1, v1, v173
	v_fma_f32 v2, v162, v194, -v2
	v_fmac_f32_e32 v154, v163, v194
	v_add_f32_e32 v3, v4, v3
	v_add_f32_e32 v1, v1, v150
	v_add_f32_e32 v2, v3, v2
	v_add_f32_e32 v1, v1, v154
	s_waitcnt vmcnt(1)
	v_sub_f32_e32 v2, v197, v2
	s_waitcnt vmcnt(0)
	v_sub_f32_e32 v1, v198, v1
	buffer_store_dword v2, off, s[0:3], 0 offset:256
	buffer_store_dword v1, off, s[0:3], 0 offset:260
	v_cmpx_lt_u32_e32 31, v0
	s_cbranch_execz .LBB126_329
; %bb.328:
	s_clause 0x1
	buffer_load_dword v1, off, s[0:3], 0 offset:248
	buffer_load_dword v2, off, s[0:3], 0 offset:252
	v_mov_b32_e32 v3, 0
	buffer_store_dword v3, off, s[0:3], 0 offset:248
	buffer_store_dword v3, off, s[0:3], 0 offset:252
	s_waitcnt vmcnt(0)
	ds_write_b64 v139, v[1:2]
.LBB126_329:
	s_or_b32 exec_lo, exec_lo, s4
	s_waitcnt lgkmcnt(0)
	s_waitcnt_vscnt null, 0x0
	s_barrier
	buffer_gl0_inv
	s_clause 0x3e
	buffer_load_dword v10, off, s[0:3], 0 offset:260
	buffer_load_dword v11, off, s[0:3], 0 offset:268
	;; [unrolled: 1-line block ×64, first 2 shown]
	v_mov_b32_e32 v1, 0
	ds_read_b128 v[2:5], v1 offset:768
	ds_read_b128 v[6:9], v1 offset:784
	s_mov_b32 s4, exec_lo
	s_waitcnt vmcnt(62) lgkmcnt(1)
	v_mul_f32_e32 v201, v3, v10
	v_mul_f32_e32 v10, v2, v10
	;; [unrolled: 1-line block ×4, first 2 shown]
	s_waitcnt vmcnt(59)
	v_fma_f32 v201, v2, v141, -v201
	v_fmac_f32_e32 v10, v3, v141
	v_fmac_f32_e32 v202, v5, v140
	v_fma_f32 v11, v4, v140, -v11
	ds_read_b128 v[2:5], v1 offset:800
	s_waitcnt vmcnt(58) lgkmcnt(1)
	v_mul_f32_e32 v203, v6, v142
	v_mul_f32_e32 v140, v7, v142
	s_waitcnt vmcnt(57)
	v_mul_f32_e32 v204, v8, v143
	v_mul_f32_e32 v141, v9, v143
	v_add_f32_e32 v10, 0, v10
	v_fmac_f32_e32 v203, v7, v12
	v_fma_f32 v12, v6, v12, -v140
	s_waitcnt vmcnt(53)
	v_fmac_f32_e32 v204, v9, v147
	v_fma_f32 v147, v8, v147, -v141
	ds_read_b128 v[6:9], v1 offset:816
	v_add_f32_e32 v10, v10, v202
	v_add_f32_e32 v10, v10, v203
	s_waitcnt vmcnt(52) lgkmcnt(1)
	v_mul_f32_e32 v205, v2, v148
	v_mul_f32_e32 v140, v3, v148
	s_waitcnt vmcnt(51)
	v_mul_f32_e32 v148, v4, v149
	v_mul_f32_e32 v141, v5, v149
	v_fmac_f32_e32 v205, v3, v146
	v_fma_f32 v149, v2, v146, -v140
	v_fmac_f32_e32 v148, v5, v145
	v_fma_f32 v206, v4, v145, -v141
	ds_read_b128 v[2:5], v1 offset:832
	s_waitcnt vmcnt(50) lgkmcnt(1)
	v_mul_f32_e32 v140, v7, v150
	v_mul_f32_e32 v207, v6, v150
	s_waitcnt vmcnt(49)
	v_mul_f32_e32 v208, v8, v151
	v_mul_f32_e32 v141, v9, v151
	v_fma_f32 v150, v6, v144, -v140
	v_add_f32_e32 v140, 0, v201
	v_fmac_f32_e32 v207, v7, v144
	s_waitcnt vmcnt(45)
	v_fmac_f32_e32 v208, v9, v155
	v_fma_f32 v155, v8, v155, -v141
	ds_read_b128 v[6:9], v1 offset:848
	v_add_f32_e32 v11, v140, v11
	ds_read_b128 v[140:143], v1 offset:864
	v_add_f32_e32 v11, v11, v12
	s_waitcnt vmcnt(44) lgkmcnt(2)
	v_mul_f32_e32 v144, v3, v156
	v_mul_f32_e32 v12, v2, v156
	v_add_f32_e32 v11, v11, v147
	v_fma_f32 v156, v2, v154, -v144
	v_add_f32_e32 v2, v10, v204
	v_fmac_f32_e32 v12, v3, v154
	v_add_f32_e32 v3, v11, v149
	ds_read_b128 v[144:147], v1 offset:880
	s_waitcnt vmcnt(43)
	v_mul_f32_e32 v10, v4, v157
	v_add_f32_e32 v2, v2, v205
	s_waitcnt vmcnt(42) lgkmcnt(2)
	v_mul_f32_e32 v149, v7, v158
	v_add_f32_e32 v3, v3, v206
	v_mul_f32_e32 v201, v6, v158
	v_mul_f32_e32 v11, v5, v157
	v_add_f32_e32 v2, v2, v148
	s_waitcnt vmcnt(40) lgkmcnt(1)
	v_mul_f32_e32 v203, v140, v160
	v_fma_f32 v157, v6, v152, -v149
	v_add_f32_e32 v6, v3, v150
	v_fmac_f32_e32 v201, v7, v152
	v_add_f32_e32 v7, v2, v207
	v_mul_f32_e32 v152, v141, v160
	s_waitcnt vmcnt(37)
	v_fmac_f32_e32 v203, v141, v163
	v_add_f32_e32 v141, v6, v155
	v_fma_f32 v11, v4, v153, -v11
	v_fmac_f32_e32 v10, v5, v153
	v_fma_f32 v163, v140, v163, -v152
	v_add_f32_e32 v140, v7, v208
	v_add_f32_e32 v141, v141, v156
	v_mul_f32_e32 v154, v9, v159
	v_mul_f32_e32 v202, v8, v159
	ds_read_b128 v[2:5], v1 offset:896
	ds_read_b128 v[148:151], v1 offset:912
	v_add_f32_e32 v12, v140, v12
	v_add_f32_e32 v11, v141, v11
	s_waitcnt vmcnt(36)
	v_fma_f32 v160, v8, v164, -v154
	v_fmac_f32_e32 v202, v9, v164
	s_waitcnt vmcnt(35)
	v_mul_f32_e32 v164, v142, v165
	v_add_f32_e32 v10, v12, v10
	v_add_f32_e32 v12, v11, v157
	v_mul_f32_e32 v156, v143, v165
	s_waitcnt vmcnt(34) lgkmcnt(2)
	v_mul_f32_e32 v165, v144, v166
	s_waitcnt vmcnt(33)
	v_mul_f32_e32 v204, v146, v167
	v_mul_f32_e32 v140, v145, v166
	;; [unrolled: 1-line block ×3, first 2 shown]
	v_add_f32_e32 v167, v10, v201
	v_add_f32_e32 v12, v12, v160
	v_fmac_f32_e32 v164, v143, v162
	v_fma_f32 v162, v142, v162, -v156
	v_fmac_f32_e32 v165, v145, v161
	v_add_f32_e32 v167, v167, v202
	v_add_f32_e32 v12, v12, v163
	v_fma_f32 v161, v144, v161, -v140
	s_waitcnt vmcnt(29)
	v_fma_f32 v166, v146, v171, -v166
	s_waitcnt vmcnt(28) lgkmcnt(1)
	v_mul_f32_e32 v160, v2, v172
	v_add_f32_e32 v167, v167, v203
	v_add_f32_e32 v12, v12, v162
	v_mul_f32_e32 v172, v3, v172
	ds_read_b128 v[6:9], v1 offset:928
	ds_read_b128 v[152:155], v1 offset:944
	v_fmac_f32_e32 v204, v147, v171
	v_add_f32_e32 v164, v167, v164
	v_add_f32_e32 v12, v12, v161
	s_waitcnt vmcnt(27)
	v_mul_f32_e32 v171, v4, v173
	v_mul_f32_e32 v173, v5, v173
	v_fma_f32 v2, v2, v170, -v172
	v_add_f32_e32 v161, v164, v165
	v_add_f32_e32 v12, v12, v166
	v_fmac_f32_e32 v160, v3, v170
	s_waitcnt vmcnt(26) lgkmcnt(2)
	v_mul_f32_e32 v170, v149, v174
	v_fma_f32 v4, v4, v169, -v173
	v_add_f32_e32 v161, v161, v204
	v_add_f32_e32 v2, v12, v2
	v_mul_f32_e32 v163, v148, v174
	v_fmac_f32_e32 v171, v5, v169
	s_waitcnt vmcnt(25)
	v_mul_f32_e32 v166, v151, v175
	v_add_f32_e32 v12, v161, v160
	v_fma_f32 v148, v148, v168, -v170
	v_add_f32_e32 v2, v2, v4
	v_mul_f32_e32 v201, v150, v175
	v_fmac_f32_e32 v163, v149, v168
	v_add_f32_e32 v4, v12, v171
	s_waitcnt vmcnt(24) lgkmcnt(1)
	v_mul_f32_e32 v12, v7, v176
	s_waitcnt vmcnt(10)
	v_fma_f32 v149, v150, v190, -v166
	v_add_f32_e32 v2, v2, v148
	ds_read_b128 v[140:143], v1 offset:960
	ds_read_b128 v[156:159], v1 offset:976
	v_mul_f32_e32 v3, v6, v176
	v_fmac_f32_e32 v201, v151, v190
	v_add_f32_e32 v4, v4, v163
	v_mul_f32_e32 v148, v9, v177
	v_fma_f32 v6, v6, v189, -v12
	v_add_f32_e32 v2, v2, v149
	v_mul_f32_e32 v162, v8, v177
	v_fmac_f32_e32 v3, v7, v189
	v_add_f32_e32 v4, v4, v201
	s_waitcnt lgkmcnt(2)
	v_mul_f32_e32 v7, v153, v178
	v_fma_f32 v8, v8, v188, -v148
	v_add_f32_e32 v2, v2, v6
	v_mul_f32_e32 v167, v152, v178
	v_fmac_f32_e32 v162, v9, v188
	v_add_f32_e32 v3, v4, v3
	v_mul_f32_e32 v4, v155, v179
	v_fma_f32 v6, v152, v187, -v7
	v_add_f32_e32 v2, v2, v8
	v_mul_f32_e32 v5, v154, v179
	v_fmac_f32_e32 v167, v153, v187
	v_add_f32_e32 v3, v3, v162
	s_waitcnt lgkmcnt(1)
	v_mul_f32_e32 v7, v141, v180
	s_waitcnt vmcnt(6)
	v_fma_f32 v4, v154, v194, -v4
	v_add_f32_e32 v2, v2, v6
	ds_read_b128 v[144:147], v1 offset:992
	ds_read_b64 v[10:11], v1 offset:1008
	v_mul_f32_e32 v169, v140, v180
	v_fmac_f32_e32 v5, v155, v194
	v_add_f32_e32 v3, v3, v167
	v_mul_f32_e32 v6, v143, v181
	v_fma_f32 v7, v140, v193, -v7
	v_add_f32_e32 v2, v2, v4
	v_mul_f32_e32 v164, v142, v181
	v_fmac_f32_e32 v169, v141, v193
	v_add_f32_e32 v3, v3, v5
	s_waitcnt lgkmcnt(2)
	v_mul_f32_e32 v4, v157, v182
	v_fma_f32 v5, v142, v192, -v6
	v_add_f32_e32 v2, v2, v7
	v_mul_f32_e32 v165, v156, v182
	v_fmac_f32_e32 v164, v143, v192
	v_add_f32_e32 v3, v3, v169
	v_mul_f32_e32 v6, v159, v183
	v_fma_f32 v4, v156, v191, -v4
	v_add_f32_e32 v2, v2, v5
	v_mul_f32_e32 v172, v158, v183
	v_fmac_f32_e32 v165, v157, v191
	v_add_f32_e32 v3, v3, v164
	s_waitcnt lgkmcnt(1)
	v_mul_f32_e32 v5, v145, v184
	s_waitcnt vmcnt(2)
	v_fma_f32 v6, v158, v198, -v6
	v_add_f32_e32 v2, v2, v4
	v_mul_f32_e32 v173, v144, v184
	v_fmac_f32_e32 v172, v159, v198
	v_add_f32_e32 v3, v3, v165
	v_mul_f32_e32 v4, v147, v185
	v_fma_f32 v5, v144, v197, -v5
	v_add_f32_e32 v2, v2, v6
	v_mul_f32_e32 v174, v146, v185
	v_fmac_f32_e32 v173, v145, v197
	v_add_f32_e32 v3, v3, v172
	s_waitcnt lgkmcnt(0)
	v_mul_f32_e32 v6, v11, v186
	v_fma_f32 v4, v146, v196, -v4
	v_add_f32_e32 v2, v2, v5
	v_mul_f32_e32 v160, v10, v186
	v_fmac_f32_e32 v174, v147, v196
	v_add_f32_e32 v3, v3, v173
	v_fma_f32 v5, v10, v195, -v6
	v_add_f32_e32 v2, v2, v4
	v_fmac_f32_e32 v160, v11, v195
	v_add_f32_e32 v3, v3, v174
	v_add_f32_e32 v2, v2, v5
	;; [unrolled: 1-line block ×3, first 2 shown]
	s_waitcnt vmcnt(1)
	v_sub_f32_e32 v2, v199, v2
	s_waitcnt vmcnt(0)
	v_sub_f32_e32 v3, v200, v3
	buffer_store_dword v2, off, s[0:3], 0 offset:248
	buffer_store_dword v3, off, s[0:3], 0 offset:252
	v_cmpx_lt_u32_e32 30, v0
	s_cbranch_execz .LBB126_331
; %bb.330:
	s_clause 0x1
	buffer_load_dword v2, off, s[0:3], 0 offset:240
	buffer_load_dword v3, off, s[0:3], 0 offset:244
	buffer_store_dword v1, off, s[0:3], 0 offset:240
	buffer_store_dword v1, off, s[0:3], 0 offset:244
	s_waitcnt vmcnt(0)
	ds_write_b64 v139, v[2:3]
.LBB126_331:
	s_or_b32 exec_lo, exec_lo, s4
	s_waitcnt lgkmcnt(0)
	s_waitcnt_vscnt null, 0x0
	s_barrier
	buffer_gl0_inv
	s_clause 0x31
	buffer_load_dword v10, off, s[0:3], 0 offset:252
	buffer_load_dword v11, off, s[0:3], 0 offset:260
	buffer_load_dword v12, off, s[0:3], 0 offset:264
	buffer_load_dword v144, off, s[0:3], 0 offset:256
	buffer_load_dword v145, off, s[0:3], 0 offset:248
	buffer_load_dword v146, off, s[0:3], 0 offset:268
	buffer_load_dword v147, off, s[0:3], 0 offset:276
	buffer_load_dword v148, off, s[0:3], 0 offset:284
	buffer_load_dword v149, off, s[0:3], 0 offset:296
	buffer_load_dword v150, off, s[0:3], 0 offset:288
	buffer_load_dword v151, off, s[0:3], 0 offset:280
	buffer_load_dword v152, off, s[0:3], 0 offset:272
	buffer_load_dword v153, off, s[0:3], 0 offset:292
	buffer_load_dword v154, off, s[0:3], 0 offset:300
	buffer_load_dword v155, off, s[0:3], 0 offset:308
	buffer_load_dword v156, off, s[0:3], 0 offset:328
	buffer_load_dword v157, off, s[0:3], 0 offset:320
	buffer_load_dword v158, off, s[0:3], 0 offset:312
	buffer_load_dword v159, off, s[0:3], 0 offset:304
	buffer_load_dword v160, off, s[0:3], 0 offset:316
	buffer_load_dword v161, off, s[0:3], 0 offset:324
	buffer_load_dword v162, off, s[0:3], 0 offset:332
	buffer_load_dword v163, off, s[0:3], 0 offset:340
	buffer_load_dword v164, off, s[0:3], 0 offset:360
	buffer_load_dword v165, off, s[0:3], 0 offset:352
	buffer_load_dword v166, off, s[0:3], 0 offset:344
	buffer_load_dword v167, off, s[0:3], 0 offset:336
	buffer_load_dword v168, off, s[0:3], 0 offset:348
	buffer_load_dword v169, off, s[0:3], 0 offset:356
	buffer_load_dword v170, off, s[0:3], 0 offset:364
	buffer_load_dword v171, off, s[0:3], 0 offset:372
	buffer_load_dword v172, off, s[0:3], 0 offset:392
	buffer_load_dword v173, off, s[0:3], 0 offset:384
	buffer_load_dword v174, off, s[0:3], 0 offset:376
	buffer_load_dword v175, off, s[0:3], 0 offset:368
	buffer_load_dword v176, off, s[0:3], 0 offset:380
	buffer_load_dword v177, off, s[0:3], 0 offset:388
	buffer_load_dword v178, off, s[0:3], 0 offset:396
	buffer_load_dword v179, off, s[0:3], 0 offset:404
	buffer_load_dword v180, off, s[0:3], 0 offset:412
	buffer_load_dword v181, off, s[0:3], 0 offset:420
	buffer_load_dword v182, off, s[0:3], 0 offset:428
	buffer_load_dword v183, off, s[0:3], 0 offset:436
	buffer_load_dword v184, off, s[0:3], 0 offset:444
	buffer_load_dword v185, off, s[0:3], 0 offset:452
	buffer_load_dword v186, off, s[0:3], 0 offset:460
	buffer_load_dword v187, off, s[0:3], 0 offset:468
	buffer_load_dword v188, off, s[0:3], 0 offset:476
	buffer_load_dword v189, off, s[0:3], 0 offset:484
	buffer_load_dword v190, off, s[0:3], 0 offset:492
	ds_read2_b64 v[2:5], v1 offset0:95 offset1:96
	s_clause 0x4
	buffer_load_dword v191, off, s[0:3], 0 offset:500
	buffer_load_dword v192, off, s[0:3], 0 offset:424
	;; [unrolled: 1-line block ×5, first 2 shown]
	ds_read2_b64 v[6:9], v1 offset0:97 offset1:98
	ds_read2_b64 v[140:143], v1 offset0:99 offset1:100
	s_clause 0x4
	buffer_load_dword v196, off, s[0:3], 0 offset:456
	buffer_load_dword v197, off, s[0:3], 0 offset:448
	;; [unrolled: 1-line block ×5, first 2 shown]
	s_mov_b32 s4, exec_lo
	s_waitcnt vmcnt(59) lgkmcnt(2)
	v_mul_f32_e32 v200, v3, v10
	v_mul_f32_e32 v10, v2, v10
	s_waitcnt vmcnt(58)
	v_mul_f32_e32 v202, v4, v11
	v_mul_f32_e32 v11, v5, v11
	s_waitcnt vmcnt(55)
	v_fma_f32 v200, v2, v145, -v200
	v_fmac_f32_e32 v10, v3, v145
	s_waitcnt vmcnt(54) lgkmcnt(1)
	v_mul_f32_e32 v145, v6, v146
	v_mul_f32_e32 v146, v7, v146
	v_fmac_f32_e32 v202, v5, v144
	v_fma_f32 v11, v4, v144, -v11
	ds_read2_b64 v[2:5], v1 offset0:101 offset1:102
	s_clause 0x3
	buffer_load_dword v203, off, s[0:3], 0 offset:488
	buffer_load_dword v204, off, s[0:3], 0 offset:480
	;; [unrolled: 1-line block ×4, first 2 shown]
	s_waitcnt vmcnt(57)
	v_mul_f32_e32 v144, v8, v147
	v_mul_f32_e32 v147, v9, v147
	v_fmac_f32_e32 v145, v7, v12
	v_fma_f32 v12, v6, v12, -v146
	s_waitcnt vmcnt(56) lgkmcnt(1)
	v_mul_f32_e32 v146, v140, v148
	v_mul_f32_e32 v6, v141, v148
	s_waitcnt vmcnt(51)
	v_mul_f32_e32 v148, v142, v153
	v_mul_f32_e32 v7, v143, v153
	v_fmac_f32_e32 v144, v9, v152
	v_fma_f32 v147, v8, v152, -v147
	v_fmac_f32_e32 v146, v141, v151
	v_fma_f32 v151, v140, v151, -v6
	;; [unrolled: 2-line block ×3, first 2 shown]
	ds_read2_b64 v[6:9], v1 offset0:103 offset1:104
	buffer_load_dword v207, off, s[0:3], 0 offset:496
	s_waitcnt vmcnt(51) lgkmcnt(1)
	v_mul_f32_e32 v152, v2, v154
	v_mul_f32_e32 v140, v3, v154
	s_waitcnt vmcnt(50)
	v_mul_f32_e32 v153, v4, v155
	v_mul_f32_e32 v141, v5, v155
	v_fmac_f32_e32 v152, v3, v149
	v_fma_f32 v149, v2, v149, -v140
	s_waitcnt vmcnt(46)
	v_fmac_f32_e32 v153, v5, v159
	v_fma_f32 v154, v4, v159, -v141
	ds_read2_b64 v[2:5], v1 offset0:105 offset1:106
	s_waitcnt vmcnt(45) lgkmcnt(1)
	v_mul_f32_e32 v155, v6, v160
	v_mul_f32_e32 v140, v7, v160
	buffer_load_dword v160, off, s[0:3], 0 offset:240
	v_fmac_f32_e32 v155, v7, v158
	v_fma_f32 v158, v6, v158, -v140
	v_add_f32_e32 v6, 0, v200
	v_add_f32_e32 v7, 0, v10
	s_waitcnt vmcnt(45)
	v_mul_f32_e32 v10, v9, v161
	v_add_f32_e32 v6, v6, v11
	v_add_f32_e32 v140, v7, v202
	v_mul_f32_e32 v11, v8, v161
	v_fma_f32 v10, v8, v157, -v10
	s_waitcnt vmcnt(43) lgkmcnt(0)
	v_mul_f32_e32 v159, v4, v163
	v_add_f32_e32 v12, v6, v12
	v_add_f32_e32 v145, v140, v145
	v_fmac_f32_e32 v11, v9, v157
	v_mul_f32_e32 v157, v2, v162
	ds_read2_b64 v[6:9], v1 offset0:107 offset1:108
	ds_read2_b64 v[140:143], v1 offset0:109 offset1:110
	v_add_f32_e32 v12, v12, v147
	v_add_f32_e32 v144, v145, v144
	v_mul_f32_e32 v147, v3, v162
	v_mul_f32_e32 v145, v5, v163
	v_fmac_f32_e32 v157, v3, v156
	v_add_f32_e32 v12, v12, v151
	v_add_f32_e32 v151, v144, v146
	v_fma_f32 v156, v2, v156, -v147
	s_waitcnt vmcnt(39)
	v_fmac_f32_e32 v159, v5, v167
	v_fma_f32 v161, v4, v167, -v145
	v_add_f32_e32 v12, v12, v150
	ds_read2_b64 v[2:5], v1 offset0:111 offset1:112
	ds_read2_b64 v[144:147], v1 offset0:113 offset1:114
	v_add_f32_e32 v148, v151, v148
	v_add_f32_e32 v12, v12, v149
	;; [unrolled: 1-line block ×3, first 2 shown]
	s_waitcnt vmcnt(38) lgkmcnt(3)
	v_mul_f32_e32 v162, v6, v168
	v_mul_f32_e32 v150, v7, v168
	v_add_f32_e32 v12, v12, v154
	s_waitcnt vmcnt(37)
	v_mul_f32_e32 v163, v8, v169
	v_add_f32_e32 v152, v148, v153
	v_mul_f32_e32 v151, v9, v169
	v_fmac_f32_e32 v162, v7, v166
	v_add_f32_e32 v12, v12, v158
	v_fma_f32 v166, v6, v166, -v150
	v_add_f32_e32 v158, v152, v155
	s_waitcnt vmcnt(36) lgkmcnt(2)
	v_mul_f32_e32 v167, v140, v170
	v_mul_f32_e32 v168, v141, v170
	v_add_f32_e32 v10, v12, v10
	s_waitcnt vmcnt(30) lgkmcnt(1)
	v_mul_f32_e32 v12, v2, v176
	v_add_f32_e32 v11, v158, v11
	v_mul_f32_e32 v158, v3, v176
	v_fmac_f32_e32 v163, v9, v165
	v_fma_f32 v165, v8, v165, -v151
	v_fmac_f32_e32 v12, v3, v174
	v_add_f32_e32 v3, v10, v156
	v_add_f32_e32 v10, v11, v157
	v_mul_f32_e32 v153, v143, v171
	v_fmac_f32_e32 v167, v141, v164
	v_fma_f32 v164, v140, v164, -v168
	v_add_f32_e32 v161, v3, v161
	v_add_f32_e32 v10, v10, v159
	v_mul_f32_e32 v169, v142, v171
	v_fma_f32 v168, v142, v175, -v153
	ds_read2_b64 v[6:9], v1 offset0:115 offset1:116
	ds_read2_b64 v[148:151], v1 offset0:117 offset1:118
	v_add_f32_e32 v161, v161, v166
	v_add_f32_e32 v10, v10, v162
	v_fmac_f32_e32 v169, v143, v175
	s_waitcnt vmcnt(29)
	v_mul_f32_e32 v171, v5, v177
	v_fma_f32 v11, v2, v174, -v158
	v_add_f32_e32 v161, v161, v165
	v_add_f32_e32 v10, v10, v163
	v_mul_f32_e32 v170, v4, v177
	v_fma_f32 v171, v4, v173, -v171
	s_waitcnt vmcnt(28) lgkmcnt(2)
	v_mul_f32_e32 v166, v145, v178
	v_add_f32_e32 v161, v161, v164
	v_add_f32_e32 v10, v10, v167
	ds_read2_b64 v[140:143], v1 offset0:119 offset1:120
	ds_read2_b64 v[152:155], v1 offset0:121 offset1:122
	v_fmac_f32_e32 v170, v5, v173
	ds_read2_b64 v[2:5], v1 offset0:123 offset1:124
	ds_read2_b64 v[156:159], v1 offset0:125 offset1:126
	v_add_f32_e32 v161, v161, v168
	v_add_f32_e32 v10, v10, v169
	v_mul_f32_e32 v1, v144, v178
	s_waitcnt vmcnt(27)
	v_mul_f32_e32 v173, v147, v179
	v_fma_f32 v144, v144, v172, -v166
	v_add_f32_e32 v11, v161, v11
	v_add_f32_e32 v10, v10, v12
	v_mul_f32_e32 v162, v146, v179
	v_fmac_f32_e32 v1, v145, v172
	s_waitcnt vmcnt(26) lgkmcnt(5)
	v_mul_f32_e32 v165, v6, v180
	v_add_f32_e32 v11, v11, v171
	v_add_f32_e32 v10, v10, v170
	v_mul_f32_e32 v166, v7, v180
	s_waitcnt vmcnt(11)
	v_fma_f32 v146, v146, v195, -v173
	v_fmac_f32_e32 v162, v147, v195
	v_add_f32_e32 v11, v11, v144
	v_add_f32_e32 v1, v10, v1
	v_mul_f32_e32 v10, v9, v181
	v_fmac_f32_e32 v165, v7, v194
	v_fma_f32 v6, v6, v194, -v166
	v_add_f32_e32 v7, v11, v146
	v_mul_f32_e32 v163, v8, v181
	v_add_f32_e32 v1, v1, v162
	s_waitcnt lgkmcnt(4)
	v_mul_f32_e32 v11, v149, v182
	v_fma_f32 v8, v8, v193, -v10
	v_add_f32_e32 v6, v7, v6
	v_mul_f32_e32 v174, v148, v182
	v_fmac_f32_e32 v163, v9, v193
	v_add_f32_e32 v1, v1, v165
	v_mul_f32_e32 v7, v151, v183
	v_fma_f32 v9, v148, v192, -v11
	v_add_f32_e32 v6, v6, v8
	v_mul_f32_e32 v164, v150, v183
	v_fmac_f32_e32 v174, v149, v192
	v_add_f32_e32 v1, v1, v163
	s_waitcnt lgkmcnt(3)
	v_mul_f32_e32 v8, v141, v184
	s_waitcnt vmcnt(7)
	v_fma_f32 v7, v150, v199, -v7
	v_add_f32_e32 v6, v6, v9
	v_mul_f32_e32 v167, v140, v184
	v_fmac_f32_e32 v164, v151, v199
	v_add_f32_e32 v1, v1, v174
	v_mul_f32_e32 v9, v143, v185
	v_fma_f32 v8, v140, v198, -v8
	v_add_f32_e32 v6, v6, v7
	v_mul_f32_e32 v175, v142, v185
	v_fmac_f32_e32 v167, v141, v198
	v_add_f32_e32 v1, v1, v164
	s_waitcnt lgkmcnt(2)
	v_mul_f32_e32 v7, v153, v186
	v_fma_f32 v9, v142, v197, -v9
	v_add_f32_e32 v6, v6, v8
	v_mul_f32_e32 v168, v152, v186
	v_fmac_f32_e32 v175, v143, v197
	v_add_f32_e32 v1, v1, v167
	v_mul_f32_e32 v8, v155, v187
	v_fma_f32 v7, v152, v196, -v7
	v_add_f32_e32 v6, v6, v9
	v_mul_f32_e32 v169, v154, v187
	v_fmac_f32_e32 v168, v153, v196
	v_add_f32_e32 v1, v1, v175
	s_waitcnt lgkmcnt(1)
	v_mul_f32_e32 v176, v2, v188
	v_mul_f32_e32 v9, v3, v188
	v_add_f32_e32 v6, v6, v7
	v_mul_f32_e32 v7, v5, v189
	v_add_f32_e32 v1, v1, v168
	v_mul_f32_e32 v161, v4, v189
	s_waitcnt lgkmcnt(0)
	v_mul_f32_e32 v12, v156, v190
	v_mul_f32_e32 v145, v158, v191
	s_waitcnt vmcnt(5)
	v_fmac_f32_e32 v12, v157, v203
	s_waitcnt vmcnt(4)
	v_fma_f32 v4, v4, v204, -v7
	s_waitcnt vmcnt(3)
	v_fmac_f32_e32 v176, v3, v205
	s_waitcnt vmcnt(2)
	v_fma_f32 v8, v154, v206, -v8
	v_fmac_f32_e32 v169, v155, v206
	v_fma_f32 v2, v2, v205, -v9
	v_fmac_f32_e32 v161, v5, v204
	v_add_f32_e32 v3, v6, v8
	v_add_f32_e32 v1, v1, v169
	v_mul_f32_e32 v6, v157, v190
	v_add_f32_e32 v2, v3, v2
	v_add_f32_e32 v1, v1, v176
	v_mul_f32_e32 v3, v159, v191
	v_fma_f32 v5, v156, v203, -v6
	v_add_f32_e32 v2, v2, v4
	v_add_f32_e32 v1, v1, v161
	s_waitcnt vmcnt(1)
	v_fma_f32 v3, v158, v207, -v3
	v_fmac_f32_e32 v145, v159, v207
	v_add_f32_e32 v2, v2, v5
	v_add_f32_e32 v1, v1, v12
	;; [unrolled: 1-line block ×4, first 2 shown]
	v_sub_f32_e32 v1, v201, v1
	s_waitcnt vmcnt(0)
	v_sub_f32_e32 v2, v160, v2
	buffer_store_dword v2, off, s[0:3], 0 offset:240
	buffer_store_dword v1, off, s[0:3], 0 offset:244
	v_cmpx_lt_u32_e32 29, v0
	s_cbranch_execz .LBB126_333
; %bb.332:
	s_clause 0x1
	buffer_load_dword v1, off, s[0:3], 0 offset:232
	buffer_load_dword v2, off, s[0:3], 0 offset:236
	v_mov_b32_e32 v3, 0
	buffer_store_dword v3, off, s[0:3], 0 offset:232
	buffer_store_dword v3, off, s[0:3], 0 offset:236
	s_waitcnt vmcnt(0)
	ds_write_b64 v139, v[1:2]
.LBB126_333:
	s_or_b32 exec_lo, exec_lo, s4
	s_waitcnt lgkmcnt(0)
	s_waitcnt_vscnt null, 0x0
	s_barrier
	buffer_gl0_inv
	s_clause 0x26
	buffer_load_dword v2, off, s[0:3], 0 offset:244
	buffer_load_dword v3, off, s[0:3], 0 offset:252
	;; [unrolled: 1-line block ×39, first 2 shown]
	v_mov_b32_e32 v1, 0
	s_clause 0x2
	buffer_load_dword v180, off, s[0:3], 0 offset:404
	buffer_load_dword v181, off, s[0:3], 0 offset:412
	;; [unrolled: 1-line block ×3, first 2 shown]
	s_mov_b32 s4, exec_lo
	ds_read_b128 v[4:7], v1 offset:752
	s_clause 0x1
	buffer_load_dword v183, off, s[0:3], 0 offset:428
	buffer_load_dword v184, off, s[0:3], 0 offset:436
	ds_read_b128 v[8:11], v1 offset:768
	s_clause 0xc
	buffer_load_dword v185, off, s[0:3], 0 offset:416
	buffer_load_dword v186, off, s[0:3], 0 offset:408
	;; [unrolled: 1-line block ×13, first 2 shown]
	ds_read_b128 v[140:143], v1 offset:784
	s_waitcnt vmcnt(56) lgkmcnt(2)
	v_mul_f32_e32 v198, v5, v2
	v_mul_f32_e32 v199, v4, v2
	s_waitcnt vmcnt(55)
	v_mul_f32_e32 v200, v6, v3
	v_mul_f32_e32 v2, v7, v3
	s_waitcnt vmcnt(54) lgkmcnt(1)
	v_mul_f32_e32 v201, v8, v12
	s_waitcnt vmcnt(51)
	v_fma_f32 v198, v4, v146, -v198
	v_fmac_f32_e32 v199, v5, v146
	v_fmac_f32_e32 v200, v7, v145
	v_fma_f32 v145, v6, v145, -v2
	ds_read_b128 v[2:5], v1 offset:800
	s_clause 0x3
	buffer_load_dword v202, off, s[0:3], 0 offset:448
	buffer_load_dword v203, off, s[0:3], 0 offset:440
	;; [unrolled: 1-line block ×4, first 2 shown]
	s_waitcnt vmcnt(54)
	v_mul_f32_e32 v146, v10, v147
	v_mul_f32_e32 v6, v11, v147
	v_mul_f32_e32 v12, v9, v12
	v_fmac_f32_e32 v201, v9, v144
	s_waitcnt vmcnt(48) lgkmcnt(1)
	v_mul_f32_e32 v147, v143, v153
	v_fmac_f32_e32 v146, v11, v151
	v_fma_f32 v10, v10, v151, -v6
	v_mul_f32_e32 v11, v140, v152
	v_mul_f32_e32 v6, v141, v152
	v_fma_f32 v12, v8, v144, -v12
	v_mul_f32_e32 v144, v142, v153
	v_fma_f32 v147, v142, v149, -v147
	v_fmac_f32_e32 v11, v141, v150
	v_fma_f32 v150, v140, v150, -v6
	ds_read_b128 v[6:9], v1 offset:816
	s_clause 0x3
	buffer_load_dword v206, off, s[0:3], 0 offset:480
	buffer_load_dword v207, off, s[0:3], 0 offset:472
	;; [unrolled: 1-line block ×4, first 2 shown]
	v_fmac_f32_e32 v144, v143, v149
	v_add_f32_e32 v141, 0, v198
	s_waitcnt vmcnt(51) lgkmcnt(1)
	v_mul_f32_e32 v149, v2, v154
	v_mul_f32_e32 v140, v3, v154
	s_waitcnt vmcnt(50)
	v_mul_f32_e32 v151, v4, v155
	v_fmac_f32_e32 v149, v3, v148
	v_fma_f32 v148, v2, v148, -v140
	v_mul_f32_e32 v2, v5, v155
	s_waitcnt vmcnt(46)
	v_fmac_f32_e32 v151, v5, v159
	v_fma_f32 v152, v4, v159, -v2
	ds_read_b128 v[2:5], v1 offset:832
	s_waitcnt vmcnt(45) lgkmcnt(1)
	v_mul_f32_e32 v153, v6, v160
	v_mul_f32_e32 v140, v7, v160
	s_clause 0x1
	buffer_load_dword v160, off, s[0:3], 0 offset:496
	buffer_load_dword v198, off, s[0:3], 0 offset:488
	v_fmac_f32_e32 v153, v7, v158
	v_add_f32_e32 v7, 0, v199
	buffer_load_dword v199, off, s[0:3], 0 offset:232
	v_fma_f32 v154, v6, v158, -v140
	v_add_f32_e32 v6, v141, v145
	s_waitcnt vmcnt(47)
	v_mul_f32_e32 v140, v9, v161
	v_add_f32_e32 v7, v7, v200
	v_add_f32_e32 v6, v6, v12
	v_mul_f32_e32 v12, v8, v161
	v_add_f32_e32 v141, v7, v201
	v_fma_f32 v155, v8, v157, -v140
	s_waitcnt vmcnt(45) lgkmcnt(0)
	v_mul_f32_e32 v158, v4, v163
	v_add_f32_e32 v10, v6, v10
	v_fmac_f32_e32 v12, v9, v157
	v_add_f32_e32 v145, v141, v146
	v_mul_f32_e32 v157, v2, v162
	v_mul_f32_e32 v146, v3, v162
	v_add_f32_e32 v10, v10, v150
	ds_read_b128 v[6:9], v1 offset:848
	ds_read_b128 v[140:143], v1 offset:864
	v_add_f32_e32 v11, v145, v11
	v_mul_f32_e32 v145, v5, v163
	v_add_f32_e32 v10, v10, v147
	v_fmac_f32_e32 v157, v3, v156
	v_fma_f32 v156, v2, v156, -v146
	v_add_f32_e32 v11, v11, v144
	s_waitcnt vmcnt(41)
	v_fmac_f32_e32 v158, v5, v167
	v_add_f32_e32 v10, v10, v148
	v_fma_f32 v159, v4, v167, -v145
	ds_read_b128 v[2:5], v1 offset:880
	ds_read_b128 v[144:147], v1 offset:896
	v_add_f32_e32 v11, v11, v149
	v_add_f32_e32 v10, v10, v152
	;; [unrolled: 1-line block ×4, first 2 shown]
	s_waitcnt vmcnt(40) lgkmcnt(3)
	v_mul_f32_e32 v161, v6, v168
	v_mul_f32_e32 v148, v7, v168
	v_add_f32_e32 v11, v11, v153
	s_waitcnt vmcnt(39)
	v_mul_f32_e32 v162, v8, v169
	v_add_f32_e32 v10, v10, v155
	v_mul_f32_e32 v149, v9, v169
	v_fmac_f32_e32 v161, v7, v166
	v_add_f32_e32 v11, v11, v12
	v_fma_f32 v166, v6, v166, -v148
	v_add_f32_e32 v10, v10, v156
	s_waitcnt vmcnt(32) lgkmcnt(1)
	v_mul_f32_e32 v12, v2, v176
	v_mul_f32_e32 v156, v3, v176
	v_add_f32_e32 v11, v11, v157
	v_mul_f32_e32 v163, v140, v170
	v_mul_f32_e32 v152, v141, v170
	v_fmac_f32_e32 v12, v3, v174
	v_add_f32_e32 v3, v10, v159
	v_add_f32_e32 v10, v11, v158
	v_fmac_f32_e32 v162, v9, v165
	v_fma_f32 v165, v8, v165, -v149
	v_mul_f32_e32 v153, v143, v171
	v_add_f32_e32 v166, v3, v166
	v_add_f32_e32 v161, v10, v161
	v_fmac_f32_e32 v163, v141, v164
	v_fma_f32 v164, v140, v164, -v152
	v_mul_f32_e32 v167, v142, v171
	v_add_f32_e32 v165, v166, v165
	v_add_f32_e32 v161, v161, v162
	v_fma_f32 v168, v142, v175, -v153
	ds_read_b128 v[6:9], v1 offset:912
	ds_read_b128 v[148:151], v1 offset:928
	v_fmac_f32_e32 v167, v143, v175
	v_add_f32_e32 v164, v165, v164
	v_add_f32_e32 v161, v161, v163
	s_waitcnt vmcnt(31)
	v_mul_f32_e32 v169, v4, v177
	v_mul_f32_e32 v157, v5, v177
	v_fma_f32 v170, v2, v174, -v156
	v_add_f32_e32 v164, v164, v168
	v_add_f32_e32 v161, v161, v167
	v_fmac_f32_e32 v169, v5, v173
	v_fma_f32 v171, v4, v173, -v157
	s_waitcnt vmcnt(30) lgkmcnt(2)
	v_mul_f32_e32 v173, v145, v178
	v_add_f32_e32 v164, v164, v170
	v_mul_f32_e32 v166, v144, v178
	v_add_f32_e32 v12, v161, v12
	s_waitcnt vmcnt(29)
	v_mul_f32_e32 v174, v147, v179
	v_fma_f32 v144, v144, v172, -v173
	v_add_f32_e32 v164, v164, v171
	v_mul_f32_e32 v162, v146, v179
	v_fmac_f32_e32 v166, v145, v172
	v_add_f32_e32 v12, v12, v169
	s_waitcnt vmcnt(28) lgkmcnt(1)
	v_mul_f32_e32 v165, v6, v180
	v_mul_f32_e32 v172, v7, v180
	s_waitcnt vmcnt(20)
	v_fma_f32 v146, v146, v188, -v174
	v_add_f32_e32 v144, v164, v144
	ds_read_b128 v[140:143], v1 offset:944
	ds_read_b128 v[152:155], v1 offset:960
	v_fmac_f32_e32 v162, v147, v188
	v_add_f32_e32 v12, v12, v166
	v_mul_f32_e32 v169, v9, v181
	v_fmac_f32_e32 v165, v7, v187
	v_fma_f32 v6, v6, v187, -v172
	v_add_f32_e32 v7, v144, v146
	v_mul_f32_e32 v163, v8, v181
	v_add_f32_e32 v12, v12, v162
	s_waitcnt lgkmcnt(2)
	v_mul_f32_e32 v144, v149, v182
	v_fma_f32 v8, v8, v186, -v169
	v_add_f32_e32 v6, v7, v6
	v_mul_f32_e32 v145, v148, v182
	v_fmac_f32_e32 v163, v9, v186
	v_add_f32_e32 v7, v12, v165
	v_mul_f32_e32 v9, v151, v183
	v_fma_f32 v12, v148, v185, -v144
	v_add_f32_e32 v6, v6, v8
	v_mul_f32_e32 v168, v150, v183
	v_fmac_f32_e32 v145, v149, v185
	v_add_f32_e32 v7, v7, v163
	s_waitcnt lgkmcnt(1)
	v_mul_f32_e32 v8, v141, v184
	v_add_f32_e32 v6, v6, v12
	v_mul_f32_e32 v167, v140, v184
	ds_read_b128 v[2:5], v1 offset:976
	ds_read_b128 v[156:159], v1 offset:992
	ds_read_b64 v[10:11], v1 offset:1008
	v_add_f32_e32 v7, v7, v145
	s_waitcnt vmcnt(19)
	v_mul_f32_e32 v12, v143, v189
	v_mul_f32_e32 v147, v142, v189
	s_waitcnt vmcnt(18) lgkmcnt(3)
	v_mul_f32_e32 v173, v152, v190
	s_waitcnt vmcnt(17)
	v_mul_f32_e32 v161, v154, v191
	s_waitcnt vmcnt(16) lgkmcnt(2)
	v_mul_f32_e32 v170, v2, v192
	s_waitcnt vmcnt(15)
	;; [unrolled: 4-line block ×4, first 2 shown]
	v_fmac_f32_e32 v173, v153, v202
	s_waitcnt vmcnt(9)
	v_fma_f32 v12, v142, v203, -v12
	s_waitcnt vmcnt(8)
	v_fma_f32 v8, v140, v204, -v8
	;; [unrolled: 2-line block ×3, first 2 shown]
	v_fmac_f32_e32 v168, v151, v205
	v_fmac_f32_e32 v167, v141, v204
	;; [unrolled: 1-line block ×3, first 2 shown]
	v_add_f32_e32 v6, v6, v9
	v_add_f32_e32 v7, v7, v168
	v_mul_f32_e32 v9, v153, v190
	v_add_f32_e32 v6, v6, v8
	v_add_f32_e32 v7, v7, v167
	v_mul_f32_e32 v8, v155, v191
	v_fma_f32 v9, v152, v202, -v9
	s_waitcnt vmcnt(5)
	v_fmac_f32_e32 v174, v5, v207
	v_add_f32_e32 v6, v6, v12
	v_add_f32_e32 v7, v7, v147
	v_mul_f32_e32 v12, v3, v192
	s_waitcnt vmcnt(3)
	v_fma_f32 v8, v154, v209, -v8
	v_fmac_f32_e32 v161, v155, v209
	v_add_f32_e32 v6, v6, v9
	v_add_f32_e32 v7, v7, v173
	v_mul_f32_e32 v9, v5, v193
	v_fmac_f32_e32 v170, v3, v208
	v_fma_f32 v2, v2, v208, -v12
	v_add_f32_e32 v3, v6, v8
	v_add_f32_e32 v6, v7, v161
	v_mul_f32_e32 v7, v157, v194
	v_fma_f32 v4, v4, v207, -v9
	v_mul_f32_e32 v5, v159, v195
	v_add_f32_e32 v2, v3, v2
	v_add_f32_e32 v3, v6, v170
	v_fma_f32 v6, v156, v206, -v7
	v_fmac_f32_e32 v171, v157, v206
	v_add_f32_e32 v2, v2, v4
	v_add_f32_e32 v3, v3, v174
	v_mul_f32_e32 v4, v11, v196
	s_waitcnt vmcnt(1)
	v_fma_f32 v5, v158, v198, -v5
	v_fmac_f32_e32 v175, v159, v198
	v_add_f32_e32 v2, v2, v6
	v_add_f32_e32 v3, v3, v171
	v_fma_f32 v4, v10, v160, -v4
	v_fmac_f32_e32 v164, v11, v160
	v_add_f32_e32 v2, v2, v5
	v_add_f32_e32 v3, v3, v175
	;; [unrolled: 1-line block ×4, first 2 shown]
	s_waitcnt vmcnt(0)
	v_sub_f32_e32 v2, v199, v2
	v_sub_f32_e32 v3, v197, v3
	buffer_store_dword v2, off, s[0:3], 0 offset:232
	buffer_store_dword v3, off, s[0:3], 0 offset:236
	v_cmpx_lt_u32_e32 28, v0
	s_cbranch_execz .LBB126_335
; %bb.334:
	s_clause 0x1
	buffer_load_dword v2, off, s[0:3], 0 offset:224
	buffer_load_dword v3, off, s[0:3], 0 offset:228
	buffer_store_dword v1, off, s[0:3], 0 offset:224
	buffer_store_dword v1, off, s[0:3], 0 offset:228
	s_waitcnt vmcnt(0)
	ds_write_b64 v139, v[2:3]
.LBB126_335:
	s_or_b32 exec_lo, exec_lo, s4
	s_waitcnt lgkmcnt(0)
	s_waitcnt_vscnt null, 0x0
	s_barrier
	buffer_gl0_inv
	s_clause 0x24
	buffer_load_dword v10, off, s[0:3], 0 offset:236
	buffer_load_dword v11, off, s[0:3], 0 offset:244
	;; [unrolled: 1-line block ×37, first 2 shown]
	ds_read2_b64 v[2:5], v1 offset0:93 offset1:94
	s_clause 0x1
	buffer_load_dword v186, off, s[0:3], 0 offset:380
	buffer_load_dword v187, off, s[0:3], 0 offset:388
	ds_read2_b64 v[6:9], v1 offset0:95 offset1:96
	s_clause 0xa
	buffer_load_dword v188, off, s[0:3], 0 offset:396
	buffer_load_dword v189, off, s[0:3], 0 offset:404
	;; [unrolled: 1-line block ×11, first 2 shown]
	ds_read2_b64 v[140:143], v1 offset0:97 offset1:98
	ds_read2_b64 v[144:147], v1 offset0:99 offset1:100
	;; [unrolled: 1-line block ×3, first 2 shown]
	s_clause 0x7
	buffer_load_dword v201, off, s[0:3], 0 offset:228
	buffer_load_dword v202, off, s[0:3], 0 offset:452
	;; [unrolled: 1-line block ×8, first 2 shown]
	s_mov_b32 s4, exec_lo
	s_waitcnt vmcnt(57) lgkmcnt(4)
	v_mul_f32_e32 v199, v3, v10
	v_mul_f32_e32 v10, v2, v10
	s_waitcnt vmcnt(56)
	v_mul_f32_e32 v200, v4, v11
	v_mul_f32_e32 v11, v5, v11
	s_waitcnt vmcnt(53)
	v_fma_f32 v199, v2, v153, -v199
	v_fmac_f32_e32 v10, v3, v153
	v_fmac_f32_e32 v200, v5, v152
	v_fma_f32 v11, v4, v152, -v11
	s_waitcnt vmcnt(52) lgkmcnt(3)
	v_mul_f32_e32 v152, v6, v154
	v_mul_f32_e32 v2, v7, v154
	s_waitcnt vmcnt(51)
	v_mul_f32_e32 v3, v9, v155
	v_mul_f32_e32 v153, v8, v155
	s_waitcnt vmcnt(46) lgkmcnt(2)
	v_mul_f32_e32 v154, v140, v160
	v_fmac_f32_e32 v152, v7, v12
	v_fma_f32 v6, v6, v12, -v2
	v_fma_f32 v12, v8, v159, -v3
	v_mul_f32_e32 v2, v141, v160
	s_waitcnt vmcnt(45)
	v_mul_f32_e32 v155, v142, v161
	v_mul_f32_e32 v3, v143, v161
	s_clause 0x3
	buffer_load_dword v160, off, s[0:3], 0 offset:440
	buffer_load_dword v161, off, s[0:3], 0 offset:432
	;; [unrolled: 1-line block ×4, first 2 shown]
	v_fmac_f32_e32 v153, v9, v159
	v_fmac_f32_e32 v154, v141, v158
	v_fma_f32 v140, v140, v158, -v2
	v_fmac_f32_e32 v155, v143, v157
	v_fma_f32 v157, v142, v157, -v3
	s_waitcnt vmcnt(48) lgkmcnt(1)
	v_mul_f32_e32 v158, v144, v162
	v_mul_f32_e32 v2, v145, v162
	s_waitcnt vmcnt(47)
	v_mul_f32_e32 v159, v146, v163
	v_mul_f32_e32 v3, v147, v163
	s_waitcnt vmcnt(42) lgkmcnt(0)
	v_mul_f32_e32 v162, v148, v168
	v_mul_f32_e32 v7, v149, v168
	s_waitcnt vmcnt(41)
	v_mul_f32_e32 v163, v150, v169
	v_mul_f32_e32 v8, v151, v169
	v_fmac_f32_e32 v158, v145, v156
	v_fma_f32 v144, v144, v156, -v2
	v_fmac_f32_e32 v159, v147, v167
	v_fma_f32 v156, v146, v167, -v3
	ds_read2_b64 v[2:5], v1 offset0:103 offset1:104
	v_fmac_f32_e32 v162, v149, v166
	v_fma_f32 v148, v148, v166, -v7
	v_fmac_f32_e32 v163, v151, v165
	v_fma_f32 v149, v150, v165, -v8
	s_clause 0x7
	buffer_load_dword v165, off, s[0:3], 0 offset:472
	buffer_load_dword v166, off, s[0:3], 0 offset:464
	;; [unrolled: 1-line block ×8, first 2 shown]
	v_add_f32_e32 v7, 0, v199
	v_add_f32_e32 v8, 0, v10
	;; [unrolled: 1-line block ×4, first 2 shown]
	s_waitcnt vmcnt(48) lgkmcnt(0)
	v_mul_f32_e32 v10, v2, v170
	v_mul_f32_e32 v9, v3, v170
	v_fmac_f32_e32 v10, v3, v164
	v_fma_f32 v11, v2, v164, -v9
	v_add_f32_e32 v2, v7, v6
	v_add_f32_e32 v3, v8, v152
	ds_read2_b64 v[6:9], v1 offset0:105 offset1:106
	s_waitcnt vmcnt(47)
	v_mul_f32_e32 v164, v4, v171
	v_add_f32_e32 v12, v2, v12
	v_mul_f32_e32 v2, v5, v171
	v_add_f32_e32 v141, v3, v153
	s_waitcnt vmcnt(43)
	v_fmac_f32_e32 v164, v5, v175
	v_add_f32_e32 v12, v12, v140
	v_fma_f32 v170, v4, v175, -v2
	ds_read2_b64 v[2:5], v1 offset0:107 offset1:108
	v_add_f32_e32 v145, v141, v154
	ds_read2_b64 v[140:143], v1 offset0:109 offset1:110
	v_add_f32_e32 v12, v12, v157
	v_add_f32_e32 v145, v145, v155
	;; [unrolled: 1-line block ×3, first 2 shown]
	s_waitcnt vmcnt(42) lgkmcnt(2)
	v_mul_f32_e32 v146, v7, v176
	v_mul_f32_e32 v157, v6, v176
	s_waitcnt vmcnt(41)
	v_mul_f32_e32 v150, v9, v177
	v_fma_f32 v171, v6, v174, -v146
	v_add_f32_e32 v6, v145, v158
	v_fmac_f32_e32 v157, v7, v174
	v_add_f32_e32 v7, v12, v156
	v_mul_f32_e32 v12, v8, v177
	s_waitcnt vmcnt(40) lgkmcnt(1)
	v_mul_f32_e32 v174, v2, v178
	v_add_f32_e32 v6, v6, v159
	v_mul_f32_e32 v151, v3, v178
	v_add_f32_e32 v7, v7, v148
	ds_read2_b64 v[144:147], v1 offset0:111 offset1:112
	v_fmac_f32_e32 v174, v3, v172
	v_add_f32_e32 v6, v6, v162
	v_fma_f32 v172, v2, v172, -v151
	v_add_f32_e32 v2, v7, v149
	v_fma_f32 v156, v8, v173, -v150
	v_fmac_f32_e32 v12, v9, v173
	v_add_f32_e32 v3, v6, v163
	s_waitcnt vmcnt(39)
	v_mul_f32_e32 v152, v5, v179
	v_add_f32_e32 v11, v2, v11
	v_mul_f32_e32 v175, v4, v179
	s_waitcnt vmcnt(38) lgkmcnt(1)
	v_mul_f32_e32 v153, v141, v180
	v_add_f32_e32 v10, v3, v10
	s_waitcnt vmcnt(34)
	v_fma_f32 v163, v4, v184, -v152
	v_add_f32_e32 v11, v11, v170
	v_mul_f32_e32 v162, v140, v180
	ds_read2_b64 v[6:9], v1 offset0:113 offset1:114
	ds_read2_b64 v[148:151], v1 offset0:115 offset1:116
	v_add_f32_e32 v10, v10, v164
	v_fmac_f32_e32 v175, v5, v184
	v_add_f32_e32 v11, v11, v171
	v_fma_f32 v173, v140, v183, -v153
	s_waitcnt vmcnt(33)
	v_mul_f32_e32 v140, v143, v185
	v_add_f32_e32 v10, v10, v157
	v_fmac_f32_e32 v162, v141, v183
	v_add_f32_e32 v11, v11, v156
	v_mul_f32_e32 v170, v142, v185
	s_waitcnt vmcnt(32) lgkmcnt(2)
	v_mul_f32_e32 v141, v145, v186
	v_add_f32_e32 v10, v10, v12
	v_fma_f32 v177, v142, v182, -v140
	v_add_f32_e32 v11, v11, v172
	v_mul_f32_e32 v164, v144, v186
	v_fmac_f32_e32 v170, v143, v182
	v_add_f32_e32 v10, v10, v174
	s_waitcnt vmcnt(31)
	v_mul_f32_e32 v176, v147, v187
	v_add_f32_e32 v11, v11, v163
	v_fma_f32 v178, v144, v181, -v141
	v_mul_f32_e32 v171, v146, v187
	v_add_f32_e32 v10, v10, v175
	v_fmac_f32_e32 v164, v145, v181
	v_add_f32_e32 v11, v11, v173
	s_waitcnt vmcnt(24)
	v_fma_f32 v176, v146, v194, -v176
	s_waitcnt lgkmcnt(1)
	v_mul_f32_e32 v12, v7, v188
	v_add_f32_e32 v10, v10, v162
	ds_read2_b64 v[2:5], v1 offset0:117 offset1:118
	ds_read2_b64 v[152:155], v1 offset0:119 offset1:120
	v_add_f32_e32 v11, v11, v177
	ds_read2_b64 v[140:143], v1 offset0:121 offset1:122
	ds_read2_b64 v[156:159], v1 offset0:123 offset1:124
	v_fmac_f32_e32 v171, v147, v194
	v_add_f32_e32 v10, v10, v170
	ds_read2_b64 v[144:147], v1 offset0:125 offset1:126
	v_add_f32_e32 v11, v11, v178
	v_mul_f32_e32 v1, v6, v188
	v_mul_f32_e32 v174, v9, v189
	v_add_f32_e32 v10, v10, v164
	v_fma_f32 v6, v6, v193, -v12
	v_add_f32_e32 v11, v11, v176
	v_mul_f32_e32 v172, v8, v189
	v_fmac_f32_e32 v1, v7, v193
	v_add_f32_e32 v10, v10, v171
	s_waitcnt lgkmcnt(5)
	v_mul_f32_e32 v12, v149, v190
	v_fma_f32 v8, v8, v192, -v174
	v_add_f32_e32 v6, v11, v6
	v_mul_f32_e32 v163, v148, v190
	v_fmac_f32_e32 v172, v9, v192
	v_add_f32_e32 v1, v10, v1
	s_waitcnt vmcnt(23)
	v_mul_f32_e32 v9, v151, v195
	v_fma_f32 v10, v148, v191, -v12
	v_add_f32_e32 v6, v6, v8
	v_mul_f32_e32 v175, v150, v195
	v_fmac_f32_e32 v163, v149, v191
	v_add_f32_e32 v1, v1, v172
	s_waitcnt vmcnt(22) lgkmcnt(4)
	v_mul_f32_e32 v179, v2, v196
	v_mul_f32_e32 v8, v3, v196
	v_add_f32_e32 v6, v6, v10
	s_waitcnt vmcnt(21)
	v_mul_f32_e32 v10, v5, v197
	v_add_f32_e32 v1, v1, v163
	v_mul_f32_e32 v173, v4, v197
	s_waitcnt vmcnt(20) lgkmcnt(3)
	v_mul_f32_e32 v162, v152, v198
	s_waitcnt vmcnt(18)
	v_mul_f32_e32 v180, v154, v202
	s_waitcnt vmcnt(17) lgkmcnt(2)
	v_mul_f32_e32 v177, v140, v203
	s_waitcnt vmcnt(16)
	;; [unrolled: 4-line block ×4, first 2 shown]
	v_mul_f32_e32 v7, v146, v208
	s_waitcnt vmcnt(11)
	v_fmac_f32_e32 v162, v153, v160
	s_waitcnt vmcnt(10)
	v_fma_f32 v4, v4, v161, -v10
	s_waitcnt vmcnt(9)
	v_fmac_f32_e32 v179, v3, v209
	s_waitcnt vmcnt(8)
	v_fma_f32 v9, v150, v210, -v9
	v_fmac_f32_e32 v175, v151, v210
	v_fma_f32 v2, v2, v209, -v8
	v_fmac_f32_e32 v173, v5, v161
	v_add_f32_e32 v3, v6, v9
	v_add_f32_e32 v1, v1, v175
	v_mul_f32_e32 v6, v153, v198
	v_add_f32_e32 v2, v3, v2
	v_add_f32_e32 v1, v1, v179
	v_mul_f32_e32 v3, v155, v202
	v_fma_f32 v5, v152, v160, -v6
	v_add_f32_e32 v2, v2, v4
	v_add_f32_e32 v1, v1, v173
	v_mul_f32_e32 v4, v141, v203
	s_waitcnt vmcnt(5)
	v_fmac_f32_e32 v177, v141, v167
	s_waitcnt vmcnt(4)
	v_fma_f32 v3, v154, v168, -v3
	v_add_f32_e32 v2, v2, v5
	v_fmac_f32_e32 v180, v155, v168
	v_add_f32_e32 v1, v1, v162
	v_mul_f32_e32 v5, v143, v204
	v_fma_f32 v4, v140, v167, -v4
	v_add_f32_e32 v2, v2, v3
	v_mul_f32_e32 v3, v157, v205
	v_add_f32_e32 v1, v1, v180
	v_fma_f32 v5, v142, v166, -v5
	v_fmac_f32_e32 v170, v143, v166
	v_add_f32_e32 v2, v2, v4
	v_mul_f32_e32 v4, v159, v206
	v_add_f32_e32 v1, v1, v177
	v_fma_f32 v3, v156, v165, -v3
	v_fmac_f32_e32 v181, v157, v165
	v_add_f32_e32 v2, v2, v5
	v_mul_f32_e32 v5, v145, v207
	v_add_f32_e32 v1, v1, v170
	s_waitcnt vmcnt(1)
	v_fma_f32 v4, v158, v212, -v4
	v_fmac_f32_e32 v178, v159, v212
	v_add_f32_e32 v2, v2, v3
	v_mul_f32_e32 v3, v147, v208
	v_add_f32_e32 v1, v1, v181
	v_fma_f32 v5, v144, v211, -v5
	v_fmac_f32_e32 v164, v145, v211
	v_add_f32_e32 v2, v2, v4
	v_fma_f32 v3, v146, v169, -v3
	v_add_f32_e32 v1, v1, v178
	v_fmac_f32_e32 v7, v147, v169
	v_add_f32_e32 v2, v2, v5
	v_add_f32_e32 v1, v1, v164
	;; [unrolled: 1-line block ×4, first 2 shown]
	s_waitcnt vmcnt(0)
	v_sub_f32_e32 v2, v213, v2
	v_sub_f32_e32 v1, v201, v1
	buffer_store_dword v2, off, s[0:3], 0 offset:224
	buffer_store_dword v1, off, s[0:3], 0 offset:228
	v_cmpx_lt_u32_e32 27, v0
	s_cbranch_execz .LBB126_337
; %bb.336:
	s_clause 0x1
	buffer_load_dword v1, off, s[0:3], 0 offset:216
	buffer_load_dword v2, off, s[0:3], 0 offset:220
	v_mov_b32_e32 v3, 0
	buffer_store_dword v3, off, s[0:3], 0 offset:216
	buffer_store_dword v3, off, s[0:3], 0 offset:220
	s_waitcnt vmcnt(0)
	ds_write_b64 v139, v[1:2]
.LBB126_337:
	s_or_b32 exec_lo, exec_lo, s4
	s_waitcnt lgkmcnt(0)
	s_waitcnt_vscnt null, 0x0
	s_barrier
	buffer_gl0_inv
	s_clause 0x23
	buffer_load_dword v2, off, s[0:3], 0 offset:228
	buffer_load_dword v3, off, s[0:3], 0 offset:236
	;; [unrolled: 1-line block ×36, first 2 shown]
	v_mov_b32_e32 v1, 0
	s_clause 0x1
	buffer_load_dword v181, off, s[0:3], 0 offset:364
	buffer_load_dword v182, off, s[0:3], 0 offset:372
	s_mov_b32 s4, exec_lo
	ds_read_b128 v[4:7], v1 offset:736
	s_clause 0x7
	buffer_load_dword v183, off, s[0:3], 0 offset:380
	buffer_load_dword v184, off, s[0:3], 0 offset:388
	;; [unrolled: 1-line block ×8, first 2 shown]
	ds_read_b128 v[8:11], v1 offset:752
	s_clause 0x3
	buffer_load_dword v191, off, s[0:3], 0 offset:412
	buffer_load_dword v192, off, s[0:3], 0 offset:420
	;; [unrolled: 1-line block ×4, first 2 shown]
	ds_read_b128 v[140:143], v1 offset:768
	s_clause 0x4
	buffer_load_dword v195, off, s[0:3], 0 offset:444
	buffer_load_dword v196, off, s[0:3], 0 offset:452
	;; [unrolled: 1-line block ×5, first 2 shown]
	ds_read_b128 v[144:147], v1 offset:784
	s_waitcnt vmcnt(54) lgkmcnt(3)
	v_mul_f32_e32 v200, v5, v2
	v_mul_f32_e32 v201, v4, v2
	s_waitcnt vmcnt(53)
	v_mul_f32_e32 v202, v6, v3
	v_mul_f32_e32 v2, v7, v3
	s_waitcnt vmcnt(50)
	v_fma_f32 v200, v4, v149, -v200
	v_fmac_f32_e32 v201, v5, v149
	v_fmac_f32_e32 v202, v7, v148
	v_fma_f32 v148, v6, v148, -v2
	ds_read_b128 v[2:5], v1 offset:800
	s_waitcnt vmcnt(49) lgkmcnt(3)
	v_mul_f32_e32 v149, v8, v150
	v_mul_f32_e32 v6, v9, v150
	s_clause 0x7
	buffer_load_dword v204, off, s[0:3], 0 offset:476
	buffer_load_dword v205, off, s[0:3], 0 offset:484
	;; [unrolled: 1-line block ×8, first 2 shown]
	s_waitcnt vmcnt(56)
	v_mul_f32_e32 v150, v10, v151
	v_mul_f32_e32 v7, v11, v151
	s_waitcnt vmcnt(55) lgkmcnt(2)
	v_mul_f32_e32 v151, v140, v152
	v_mul_f32_e32 v152, v141, v152
	v_fmac_f32_e32 v149, v9, v12
	v_fma_f32 v12, v8, v12, -v6
	s_waitcnt vmcnt(54)
	v_mul_f32_e32 v6, v143, v153
	v_mul_f32_e32 v203, v142, v153
	s_waitcnt vmcnt(50)
	v_fmac_f32_e32 v150, v11, v157
	v_fma_f32 v11, v140, v156, -v152
	s_waitcnt vmcnt(49) lgkmcnt(1)
	v_mul_f32_e32 v152, v144, v158
	v_fma_f32 v140, v142, v155, -v6
	v_mul_f32_e32 v6, v145, v158
	v_fma_f32 v10, v10, v157, -v7
	v_fmac_f32_e32 v151, v141, v156
	v_fmac_f32_e32 v203, v143, v155
	s_waitcnt vmcnt(48)
	v_mul_f32_e32 v153, v146, v159
	v_mul_f32_e32 v7, v147, v159
	v_fmac_f32_e32 v152, v145, v154
	v_fma_f32 v144, v144, v154, -v6
	s_waitcnt vmcnt(43) lgkmcnt(0)
	v_mul_f32_e32 v154, v2, v164
	v_mul_f32_e32 v141, v3, v164
	s_waitcnt vmcnt(42)
	v_mul_f32_e32 v155, v4, v165
	v_mul_f32_e32 v142, v5, v165
	v_fmac_f32_e32 v153, v147, v163
	v_fma_f32 v145, v146, v163, -v7
	ds_read_b128 v[6:9], v1 offset:816
	v_fmac_f32_e32 v154, v3, v162
	v_fma_f32 v156, v2, v162, -v141
	v_fmac_f32_e32 v155, v5, v161
	v_fma_f32 v157, v4, v161, -v142
	s_clause 0x3
	buffer_load_dword v161, off, s[0:3], 0 offset:464
	buffer_load_dword v162, off, s[0:3], 0 offset:456
	;; [unrolled: 1-line block ×4, first 2 shown]
	v_add_f32_e32 v2, 0, v200
	s_clause 0x3
	buffer_load_dword v165, off, s[0:3], 0 offset:496
	buffer_load_dword v200, off, s[0:3], 0 offset:488
	;; [unrolled: 1-line block ×4, first 2 shown]
	v_add_f32_e32 v3, 0, v201
	buffer_load_dword v201, off, s[0:3], 0 offset:216
	v_add_f32_e32 v2, v2, v148
	v_add_f32_e32 v3, v3, v202
	;; [unrolled: 1-line block ×4, first 2 shown]
	s_waitcnt vmcnt(50) lgkmcnt(0)
	v_mul_f32_e32 v12, v6, v166
	v_mul_f32_e32 v4, v7, v166
	v_fmac_f32_e32 v12, v7, v160
	v_fma_f32 v148, v6, v160, -v4
	v_add_f32_e32 v6, v2, v10
	v_add_f32_e32 v7, v3, v150
	ds_read_b128 v[2:5], v1 offset:832
	v_add_f32_e32 v10, v6, v11
	s_waitcnt vmcnt(49)
	v_mul_f32_e32 v11, v8, v167
	v_mul_f32_e32 v6, v9, v167
	v_add_f32_e32 v141, v7, v151
	v_add_f32_e32 v10, v10, v140
	s_waitcnt vmcnt(45)
	v_fmac_f32_e32 v11, v9, v171
	v_fma_f32 v158, v8, v171, -v6
	ds_read_b128 v[6:9], v1 offset:848
	v_add_f32_e32 v146, v141, v203
	ds_read_b128 v[140:143], v1 offset:864
	v_add_f32_e32 v10, v10, v144
	v_add_f32_e32 v146, v146, v152
	;; [unrolled: 1-line block ×3, first 2 shown]
	s_waitcnt vmcnt(44) lgkmcnt(2)
	v_mul_f32_e32 v144, v3, v172
	v_mul_f32_e32 v159, v2, v172
	s_waitcnt vmcnt(43)
	v_mul_f32_e32 v149, v5, v173
	v_fma_f32 v160, v2, v170, -v144
	v_add_f32_e32 v2, v146, v153
	v_fmac_f32_e32 v159, v3, v170
	v_add_f32_e32 v3, v10, v156
	ds_read_b128 v[144:147], v1 offset:880
	v_mul_f32_e32 v10, v4, v173
	v_add_f32_e32 v2, v2, v154
	s_waitcnt vmcnt(42) lgkmcnt(2)
	v_mul_f32_e32 v150, v7, v174
	v_add_f32_e32 v3, v3, v157
	v_mul_f32_e32 v166, v6, v174
	s_waitcnt vmcnt(40) lgkmcnt(1)
	v_mul_f32_e32 v170, v140, v176
	v_add_f32_e32 v2, v2, v155
	v_fma_f32 v157, v6, v168, -v150
	v_add_f32_e32 v6, v3, v148
	v_fmac_f32_e32 v166, v7, v168
	s_waitcnt vmcnt(37)
	v_fmac_f32_e32 v170, v141, v179
	v_add_f32_e32 v7, v2, v12
	v_mul_f32_e32 v12, v141, v176
	v_add_f32_e32 v141, v6, v158
	v_fma_f32 v156, v4, v169, -v149
	v_fmac_f32_e32 v10, v5, v169
	v_add_f32_e32 v11, v7, v11
	v_fma_f32 v12, v140, v179, -v12
	v_add_f32_e32 v140, v141, v160
	v_mul_f32_e32 v152, v9, v175
	v_mul_f32_e32 v167, v8, v175
	v_add_f32_e32 v11, v11, v159
	ds_read_b128 v[2:5], v1 offset:896
	ds_read_b128 v[148:151], v1 offset:912
	v_add_f32_e32 v140, v140, v156
	s_waitcnt vmcnt(36)
	v_fma_f32 v168, v8, v180, -v152
	v_fmac_f32_e32 v167, v9, v180
	v_add_f32_e32 v10, v11, v10
	s_waitcnt vmcnt(35)
	v_mul_f32_e32 v141, v143, v181
	v_add_f32_e32 v175, v140, v157
	v_mul_f32_e32 v160, v142, v181
	s_waitcnt vmcnt(34) lgkmcnt(2)
	v_mul_f32_e32 v156, v145, v182
	v_add_f32_e32 v166, v10, v166
	v_fma_f32 v173, v142, v178, -v141
	v_add_f32_e32 v168, v175, v168
	v_mul_f32_e32 v169, v144, v182
	v_fmac_f32_e32 v160, v143, v178
	v_add_f32_e32 v166, v166, v167
	s_waitcnt vmcnt(33)
	v_mul_f32_e32 v172, v147, v183
	v_add_f32_e32 v12, v168, v12
	v_fma_f32 v174, v144, v177, -v156
	v_mul_f32_e32 v171, v146, v183
	v_add_f32_e32 v166, v166, v170
	v_fmac_f32_e32 v169, v145, v177
	v_add_f32_e32 v12, v12, v173
	s_waitcnt vmcnt(26)
	v_fma_f32 v172, v146, v190, -v172
	s_waitcnt lgkmcnt(1)
	v_mul_f32_e32 v176, v3, v184
	v_add_f32_e32 v160, v166, v160
	ds_read_b128 v[6:9], v1 offset:928
	ds_read_b128 v[152:155], v1 offset:944
	v_add_f32_e32 v12, v12, v174
	v_fmac_f32_e32 v171, v147, v190
	v_mul_f32_e32 v175, v2, v184
	v_add_f32_e32 v160, v160, v169
	v_mul_f32_e32 v177, v5, v185
	v_fma_f32 v2, v2, v189, -v176
	v_add_f32_e32 v12, v12, v172
	v_mul_f32_e32 v167, v4, v185
	v_fmac_f32_e32 v175, v3, v189
	v_add_f32_e32 v160, v160, v171
	s_waitcnt lgkmcnt(2)
	v_mul_f32_e32 v176, v149, v186
	v_fma_f32 v4, v4, v188, -v177
	v_add_f32_e32 v2, v12, v2
	v_mul_f32_e32 v168, v148, v186
	v_fmac_f32_e32 v167, v5, v188
	v_add_f32_e32 v12, v160, v175
	s_waitcnt vmcnt(25)
	v_mul_f32_e32 v171, v151, v191
	v_fma_f32 v148, v148, v187, -v176
	v_add_f32_e32 v2, v2, v4
	v_mul_f32_e32 v170, v150, v191
	v_fmac_f32_e32 v168, v149, v187
	v_add_f32_e32 v4, v12, v167
	s_waitcnt vmcnt(24) lgkmcnt(1)
	v_mul_f32_e32 v12, v7, v192
	v_add_f32_e32 v2, v2, v148
	ds_read_b128 v[140:143], v1 offset:960
	ds_read_b128 v[156:159], v1 offset:976
	v_mul_f32_e32 v3, v6, v192
	v_add_f32_e32 v4, v4, v168
	s_waitcnt vmcnt(23)
	v_mul_f32_e32 v148, v9, v193
	v_mul_f32_e32 v173, v8, v193
	s_waitcnt vmcnt(22) lgkmcnt(2)
	v_mul_f32_e32 v166, v152, v194
	s_waitcnt vmcnt(21)
	v_mul_f32_e32 v5, v154, v195
	ds_read_b128 v[144:147], v1 offset:992
	ds_read_b64 v[10:11], v1 offset:1008
	s_waitcnt vmcnt(20) lgkmcnt(3)
	v_mul_f32_e32 v177, v140, v196
	s_waitcnt vmcnt(19)
	v_mul_f32_e32 v169, v142, v197
	s_waitcnt vmcnt(18) lgkmcnt(2)
	v_mul_f32_e32 v174, v156, v198
	s_waitcnt vmcnt(16)
	v_mul_f32_e32 v178, v158, v204
	s_waitcnt vmcnt(12)
	v_fmac_f32_e32 v166, v153, v208
	s_waitcnt vmcnt(11)
	v_fma_f32 v8, v8, v209, -v148
	s_waitcnt vmcnt(10)
	v_fma_f32 v6, v6, v210, -v12
	;; [unrolled: 2-line block ×3, first 2 shown]
	v_fmac_f32_e32 v170, v151, v211
	v_fmac_f32_e32 v3, v7, v210
	v_mul_f32_e32 v7, v153, v194
	v_fmac_f32_e32 v173, v9, v209
	v_add_f32_e32 v2, v2, v149
	v_add_f32_e32 v4, v4, v170
	s_waitcnt lgkmcnt(1)
	v_mul_f32_e32 v172, v144, v205
	v_mul_f32_e32 v179, v146, v206
	s_waitcnt lgkmcnt(0)
	v_mul_f32_e32 v160, v10, v207
	v_add_f32_e32 v2, v2, v6
	v_add_f32_e32 v3, v4, v3
	v_mul_f32_e32 v4, v155, v195
	v_fma_f32 v6, v152, v208, -v7
	v_mul_f32_e32 v7, v141, v196
	v_add_f32_e32 v2, v2, v8
	v_add_f32_e32 v3, v3, v173
	;; [unrolled: 1-line block ×4, first 2 shown]
	v_mul_f32_e32 v6, v143, v197
	s_waitcnt vmcnt(8)
	v_fmac_f32_e32 v174, v157, v161
	s_waitcnt vmcnt(7)
	v_fmac_f32_e32 v169, v143, v162
	s_waitcnt vmcnt(6)
	v_fma_f32 v7, v140, v163, -v7
	s_waitcnt vmcnt(5)
	v_fma_f32 v4, v154, v164, -v4
	v_fmac_f32_e32 v5, v155, v164
	v_fmac_f32_e32 v177, v141, v163
	s_waitcnt vmcnt(1)
	v_fmac_f32_e32 v178, v159, v213
	v_fmac_f32_e32 v172, v145, v212
	v_add_f32_e32 v2, v2, v4
	v_add_f32_e32 v3, v3, v5
	v_mul_f32_e32 v4, v157, v198
	v_fma_f32 v5, v142, v162, -v6
	v_mul_f32_e32 v6, v159, v204
	v_add_f32_e32 v2, v2, v7
	v_add_f32_e32 v3, v3, v177
	v_fma_f32 v4, v156, v161, -v4
	v_fmac_f32_e32 v179, v147, v200
	v_fma_f32 v6, v158, v213, -v6
	v_add_f32_e32 v2, v2, v5
	v_add_f32_e32 v3, v3, v169
	v_mul_f32_e32 v5, v145, v205
	v_fmac_f32_e32 v160, v11, v165
	v_add_f32_e32 v2, v2, v4
	v_add_f32_e32 v3, v3, v174
	v_mul_f32_e32 v4, v147, v206
	v_fma_f32 v5, v144, v212, -v5
	v_add_f32_e32 v2, v2, v6
	v_add_f32_e32 v3, v3, v178
	v_mul_f32_e32 v6, v11, v207
	v_fma_f32 v4, v146, v200, -v4
	v_add_f32_e32 v2, v2, v5
	v_add_f32_e32 v3, v3, v172
	v_fma_f32 v5, v10, v165, -v6
	v_add_f32_e32 v2, v2, v4
	v_add_f32_e32 v3, v3, v179
	;; [unrolled: 1-line block ×4, first 2 shown]
	s_waitcnt vmcnt(0)
	v_sub_f32_e32 v2, v201, v2
	v_sub_f32_e32 v3, v199, v3
	buffer_store_dword v2, off, s[0:3], 0 offset:216
	buffer_store_dword v3, off, s[0:3], 0 offset:220
	v_cmpx_lt_u32_e32 26, v0
	s_cbranch_execz .LBB126_339
; %bb.338:
	s_clause 0x1
	buffer_load_dword v2, off, s[0:3], 0 offset:208
	buffer_load_dword v3, off, s[0:3], 0 offset:212
	buffer_store_dword v1, off, s[0:3], 0 offset:208
	buffer_store_dword v1, off, s[0:3], 0 offset:212
	s_waitcnt vmcnt(0)
	ds_write_b64 v139, v[2:3]
.LBB126_339:
	s_or_b32 exec_lo, exec_lo, s4
	s_waitcnt lgkmcnt(0)
	s_waitcnt_vscnt null, 0x0
	s_barrier
	buffer_gl0_inv
	s_clause 0x23
	buffer_load_dword v148, off, s[0:3], 0 offset:220
	buffer_load_dword v149, off, s[0:3], 0 offset:228
	;; [unrolled: 1-line block ×36, first 2 shown]
	ds_read2_b64 v[5:8], v1 offset0:91 offset1:92
	s_clause 0x2
	buffer_load_dword v184, off, s[0:3], 0 offset:356
	buffer_load_dword v185, off, s[0:3], 0 offset:364
	;; [unrolled: 1-line block ×3, first 2 shown]
	ds_read2_b64 v[9:12], v1 offset0:93 offset1:94
	s_clause 0x3
	buffer_load_dword v187, off, s[0:3], 0 offset:404
	buffer_load_dword v4, off, s[0:3], 0 offset:412
	;; [unrolled: 1-line block ×4, first 2 shown]
	ds_read2_b64 v[140:143], v1 offset0:95 offset1:96
	s_clause 0x6
	buffer_load_dword v188, off, s[0:3], 0 offset:380
	buffer_load_dword v189, off, s[0:3], 0 offset:388
	;; [unrolled: 1-line block ×7, first 2 shown]
	ds_read2_b64 v[144:147], v1 offset0:97 offset1:98
	buffer_load_dword v198, off, s[0:3], 0 offset:212
	s_mov_b32 s4, exec_lo
	s_waitcnt vmcnt(50) lgkmcnt(3)
	v_mul_f32_e32 v195, v6, v148
	v_mul_f32_e32 v196, v5, v148
	s_waitcnt vmcnt(49)
	v_mul_f32_e32 v197, v7, v149
	v_mul_f32_e32 v148, v8, v149
	s_waitcnt vmcnt(46)
	v_fma_f32 v195, v5, v151, -v195
	v_fmac_f32_e32 v196, v6, v151
	v_fmac_f32_e32 v197, v8, v150
	v_fma_f32 v199, v7, v150, -v148
	ds_read2_b64 v[5:8], v1 offset0:99 offset1:100
	ds_read2_b64 v[148:151], v1 offset0:101 offset1:102
	s_waitcnt vmcnt(45) lgkmcnt(4)
	v_mul_f32_e32 v200, v9, v153
	v_mul_f32_e32 v153, v10, v153
	s_waitcnt vmcnt(43) lgkmcnt(3)
	v_mul_f32_e32 v202, v140, v155
	v_mul_f32_e32 v155, v141, v155
	;; [unrolled: 1-line block ×3, first 2 shown]
	v_fmac_f32_e32 v200, v10, v152
	v_fma_f32 v152, v9, v152, -v153
	s_waitcnt vmcnt(42)
	v_mul_f32_e32 v9, v143, v156
	v_mul_f32_e32 v154, v12, v154
	;; [unrolled: 1-line block ×3, first 2 shown]
	s_waitcnt vmcnt(39)
	v_fmac_f32_e32 v202, v141, v159
	v_fma_f32 v140, v140, v159, -v155
	v_fma_f32 v141, v142, v158, -v9
	s_waitcnt vmcnt(37) lgkmcnt(2)
	v_mul_f32_e32 v142, v144, v161
	v_mul_f32_e32 v9, v145, v161
	s_waitcnt vmcnt(36)
	v_mul_f32_e32 v155, v146, v162
	v_mul_f32_e32 v10, v147, v162
	v_fmac_f32_e32 v201, v12, v160
	v_fma_f32 v154, v11, v160, -v154
	s_clause 0x3
	buffer_load_dword v160, off, s[0:3], 0 offset:436
	buffer_load_dword v203, off, s[0:3], 0 offset:444
	;; [unrolled: 1-line block ×4, first 2 shown]
	v_fmac_f32_e32 v153, v143, v158
	s_clause 0x4
	buffer_load_dword v206, off, s[0:3], 0 offset:468
	buffer_load_dword v207, off, s[0:3], 0 offset:476
	;; [unrolled: 1-line block ×5, first 2 shown]
	v_fmac_f32_e32 v142, v145, v157
	v_fma_f32 v143, v144, v157, -v9
	s_waitcnt vmcnt(44) lgkmcnt(1)
	v_mul_f32_e32 v144, v5, v163
	v_mul_f32_e32 v9, v6, v163
	s_waitcnt vmcnt(40)
	v_fmac_f32_e32 v155, v147, v167
	v_fma_f32 v145, v146, v167, -v10
	s_waitcnt vmcnt(39)
	v_mul_f32_e32 v156, v7, v168
	v_mul_f32_e32 v10, v8, v168
	s_clause 0x3
	buffer_load_dword v162, off, s[0:3], 0 offset:424
	buffer_load_dword v163, off, s[0:3], 0 offset:416
	;; [unrolled: 1-line block ×4, first 2 shown]
	v_fmac_f32_e32 v144, v6, v166
	v_fma_f32 v146, v5, v166, -v9
	v_fmac_f32_e32 v156, v8, v165
	v_fma_f32 v157, v7, v165, -v10
	ds_read2_b64 v[5:8], v1 offset0:103 offset1:104
	s_waitcnt vmcnt(42) lgkmcnt(1)
	v_mul_f32_e32 v158, v148, v169
	v_mul_f32_e32 v9, v149, v169
	s_waitcnt vmcnt(41)
	v_mul_f32_e32 v159, v150, v170
	v_mul_f32_e32 v10, v151, v170
	v_fmac_f32_e32 v158, v149, v164
	v_fma_f32 v148, v148, v164, -v9
	s_clause 0x3
	buffer_load_dword v164, off, s[0:3], 0 offset:456
	buffer_load_dword v165, off, s[0:3], 0 offset:448
	;; [unrolled: 1-line block ×4, first 2 shown]
	v_add_f32_e32 v9, 0, v195
	s_waitcnt vmcnt(41)
	v_fmac_f32_e32 v159, v151, v174
	v_fma_f32 v149, v150, v174, -v10
	v_add_f32_e32 v10, 0, v196
	v_add_f32_e32 v147, v9, v199
	;; [unrolled: 1-line block ×3, first 2 shown]
	ds_read2_b64 v[9:12], v1 offset0:105 offset1:106
	v_add_f32_e32 v147, v147, v152
	s_waitcnt vmcnt(40) lgkmcnt(1)
	v_mul_f32_e32 v152, v5, v175
	v_mul_f32_e32 v151, v6, v175
	v_add_f32_e32 v150, v150, v200
	s_waitcnt vmcnt(39)
	v_mul_f32_e32 v199, v7, v176
	v_fmac_f32_e32 v152, v6, v173
	v_fma_f32 v170, v5, v173, -v151
	s_clause 0x5
	buffer_load_dword v173, off, s[0:3], 0 offset:488
	buffer_load_dword v174, off, s[0:3], 0 offset:480
	;; [unrolled: 1-line block ×6, first 2 shown]
	v_add_f32_e32 v5, v147, v154
	v_add_f32_e32 v6, v150, v201
	v_fmac_f32_e32 v199, v8, v172
	v_add_f32_e32 v5, v5, v140
	v_add_f32_e32 v6, v6, v202
	v_mul_f32_e32 v140, v8, v176
	s_waitcnt vmcnt(43) lgkmcnt(0)
	v_mul_f32_e32 v151, v12, v178
	v_mul_f32_e32 v176, v9, v177
	v_add_f32_e32 v5, v5, v141
	v_add_f32_e32 v141, v6, v153
	v_fma_f32 v172, v7, v172, -v140
	v_fmac_f32_e32 v176, v10, v171
	v_add_f32_e32 v147, v5, v143
	ds_read2_b64 v[5:8], v1 offset0:107 offset1:108
	v_add_f32_e32 v150, v141, v142
	ds_read2_b64 v[140:143], v1 offset0:109 offset1:110
	v_add_f32_e32 v145, v147, v145
	v_mul_f32_e32 v147, v10, v177
	v_add_f32_e32 v150, v150, v155
	v_mul_f32_e32 v177, v11, v178
	s_waitcnt vmcnt(39)
	v_fma_f32 v178, v11, v182, -v151
	v_add_f32_e32 v153, v145, v146
	v_fma_f32 v171, v9, v171, -v147
	v_add_f32_e32 v150, v150, v144
	v_fmac_f32_e32 v177, v12, v182
	ds_read2_b64 v[9:12], v1 offset0:111 offset1:112
	ds_read2_b64 v[144:147], v1 offset0:113 offset1:114
	v_add_f32_e32 v151, v153, v157
	v_add_f32_e32 v150, v150, v156
	;; [unrolled: 1-line block ×3, first 2 shown]
	s_waitcnt vmcnt(38) lgkmcnt(3)
	v_mul_f32_e32 v182, v5, v183
	v_mul_f32_e32 v153, v6, v183
	s_waitcnt vmcnt(37)
	v_mul_f32_e32 v183, v7, v184
	v_mul_f32_e32 v154, v8, v184
	v_add_f32_e32 v150, v150, v158
	v_fmac_f32_e32 v182, v6, v181
	v_fma_f32 v181, v5, v181, -v153
	v_add_f32_e32 v153, v148, v149
	v_fmac_f32_e32 v183, v8, v180
	v_fma_f32 v180, v7, v180, -v154
	v_add_f32_e32 v154, v150, v159
	s_waitcnt vmcnt(35) lgkmcnt(2)
	v_mul_f32_e32 v156, v143, v186
	v_add_f32_e32 v157, v153, v170
	s_waitcnt vmcnt(30) lgkmcnt(1)
	v_mul_f32_e32 v158, v10, v188
	v_mul_f32_e32 v184, v140, v185
	;; [unrolled: 1-line block ×3, first 2 shown]
	s_waitcnt vmcnt(24)
	v_fma_f32 v170, v142, v194, -v156
	v_add_f32_e32 v156, v154, v152
	v_add_f32_e32 v157, v157, v172
	v_mul_f32_e32 v172, v9, v188
	v_fmac_f32_e32 v184, v141, v179
	v_fma_f32 v179, v140, v179, -v155
	v_add_f32_e32 v156, v156, v199
	v_mul_f32_e32 v185, v142, v186
	v_fmac_f32_e32 v172, v10, v193
	v_add_f32_e32 v10, v157, v171
	ds_read2_b64 v[5:8], v1 offset0:115 offset1:116
	ds_read2_b64 v[148:151], v1 offset0:117 offset1:118
	v_add_f32_e32 v156, v156, v176
	v_fmac_f32_e32 v185, v143, v194
	v_mul_f32_e32 v159, v12, v189
	v_add_f32_e32 v178, v10, v178
	v_fma_f32 v171, v9, v193, -v158
	v_add_f32_e32 v177, v156, v177
	v_mul_f32_e32 v186, v11, v189
	v_fma_f32 v176, v11, v192, -v159
	v_add_f32_e32 v178, v178, v181
	s_waitcnt lgkmcnt(2)
	v_mul_f32_e32 v181, v145, v190
	v_add_f32_e32 v177, v177, v182
	ds_read2_b64 v[140:143], v1 offset0:119 offset1:120
	ds_read2_b64 v[152:155], v1 offset0:121 offset1:122
	v_fmac_f32_e32 v186, v12, v192
	v_add_f32_e32 v178, v178, v180
	ds_read2_b64 v[9:12], v1 offset0:123 offset1:124
	ds_read2_b64 v[156:159], v1 offset0:125 offset1:126
	v_add_f32_e32 v177, v177, v183
	v_mul_f32_e32 v1, v144, v190
	v_mul_f32_e32 v182, v146, v187
	v_add_f32_e32 v178, v178, v179
	v_mul_f32_e32 v187, v147, v187
	v_add_f32_e32 v177, v177, v184
	v_fma_f32 v144, v144, v191, -v181
	v_fmac_f32_e32 v1, v145, v191
	v_add_f32_e32 v170, v178, v170
	s_waitcnt lgkmcnt(5)
	v_mul_f32_e32 v180, v5, v4
	v_add_f32_e32 v177, v177, v185
	v_mul_f32_e32 v4, v6, v4
	v_mul_f32_e32 v183, v7, v3
	v_add_f32_e32 v170, v170, v171
	v_mul_f32_e32 v3, v8, v3
	v_add_f32_e32 v172, v177, v172
	s_waitcnt lgkmcnt(4)
	v_mul_f32_e32 v188, v148, v2
	v_mul_f32_e32 v2, v149, v2
	v_add_f32_e32 v170, v170, v176
	v_add_f32_e32 v172, v172, v186
	;; [unrolled: 1-line block ×4, first 2 shown]
	s_waitcnt vmcnt(22)
	v_mul_f32_e32 v179, v150, v160
	s_waitcnt vmcnt(21) lgkmcnt(3)
	v_mul_f32_e32 v184, v140, v203
	s_waitcnt vmcnt(20)
	v_mul_f32_e32 v189, v142, v204
	s_waitcnt vmcnt(19) lgkmcnt(2)
	v_mul_f32_e32 v178, v152, v205
	;; [unrolled: 4-line block ×4, first 2 shown]
	s_waitcnt vmcnt(14)
	v_mul_f32_e32 v145, v158, v161
	s_waitcnt vmcnt(13)
	v_fma_f32 v2, v148, v162, -v2
	s_waitcnt vmcnt(12)
	v_fma_f32 v3, v7, v163, -v3
	;; [unrolled: 2-line block ×4, first 2 shown]
	v_fmac_f32_e32 v182, v147, v168
	v_fmac_f32_e32 v180, v6, v167
	v_fmac_f32_e32 v183, v8, v163
	v_fmac_f32_e32 v188, v149, v162
	v_add_f32_e32 v5, v144, v146
	v_add_f32_e32 v1, v1, v182
	;; [unrolled: 1-line block ×4, first 2 shown]
	v_mul_f32_e32 v5, v151, v160
	s_waitcnt vmcnt(6)
	v_fmac_f32_e32 v179, v151, v169
	v_fmac_f32_e32 v184, v141, v166
	v_add_f32_e32 v3, v4, v3
	v_add_f32_e32 v1, v1, v183
	v_mul_f32_e32 v4, v141, v203
	v_fma_f32 v5, v150, v169, -v5
	v_fmac_f32_e32 v189, v143, v165
	v_add_f32_e32 v2, v3, v2
	v_add_f32_e32 v1, v1, v188
	v_mul_f32_e32 v3, v143, v204
	v_fma_f32 v4, v140, v166, -v4
	;; [unrolled: 5-line block ×3, first 2 shown]
	s_waitcnt vmcnt(5)
	v_fmac_f32_e32 v177, v157, v173
	v_add_f32_e32 v2, v2, v4
	v_add_f32_e32 v1, v1, v184
	v_mul_f32_e32 v4, v155, v206
	v_fma_f32 v5, v152, v164, -v5
	s_waitcnt vmcnt(2)
	v_fmac_f32_e32 v185, v155, v195
	v_add_f32_e32 v2, v2, v3
	v_add_f32_e32 v1, v1, v189
	v_mul_f32_e32 v3, v10, v207
	v_fma_f32 v4, v154, v195, -v4
	v_fmac_f32_e32 v190, v10, v175
	v_add_f32_e32 v2, v2, v5
	v_add_f32_e32 v1, v1, v178
	v_mul_f32_e32 v5, v12, v208
	v_fma_f32 v3, v9, v175, -v3
	;; [unrolled: 5-line block ×3, first 2 shown]
	s_waitcnt vmcnt(1)
	v_fmac_f32_e32 v145, v159, v196
	v_add_f32_e32 v2, v2, v3
	v_add_f32_e32 v1, v1, v190
	v_mul_f32_e32 v3, v159, v161
	v_fma_f32 v4, v156, v173, -v4
	v_add_f32_e32 v2, v2, v5
	v_add_f32_e32 v1, v1, v171
	v_fma_f32 v3, v158, v196, -v3
	v_add_f32_e32 v2, v2, v4
	v_add_f32_e32 v1, v1, v177
	;; [unrolled: 1-line block ×4, first 2 shown]
	s_waitcnt vmcnt(0)
	v_sub_f32_e32 v2, v197, v2
	v_sub_f32_e32 v1, v198, v1
	buffer_store_dword v2, off, s[0:3], 0 offset:208
	buffer_store_dword v1, off, s[0:3], 0 offset:212
	v_cmpx_lt_u32_e32 25, v0
	s_cbranch_execz .LBB126_341
; %bb.340:
	s_clause 0x1
	buffer_load_dword v1, off, s[0:3], 0 offset:200
	buffer_load_dword v2, off, s[0:3], 0 offset:204
	v_mov_b32_e32 v3, 0
	buffer_store_dword v3, off, s[0:3], 0 offset:200
	buffer_store_dword v3, off, s[0:3], 0 offset:204
	s_waitcnt vmcnt(0)
	ds_write_b64 v139, v[1:2]
.LBB126_341:
	s_or_b32 exec_lo, exec_lo, s4
	s_waitcnt lgkmcnt(0)
	s_waitcnt_vscnt null, 0x0
	s_barrier
	buffer_gl0_inv
	s_clause 0x25
	buffer_load_dword v2, off, s[0:3], 0 offset:212
	buffer_load_dword v3, off, s[0:3], 0 offset:220
	;; [unrolled: 1-line block ×38, first 2 shown]
	v_mov_b32_e32 v1, 0
	ds_read_b128 v[4:7], v1 offset:720
	ds_read_b128 v[8:11], v1 offset:736
	s_clause 0x10
	buffer_load_dword v183, off, s[0:3], 0 offset:364
	buffer_load_dword v184, off, s[0:3], 0 offset:372
	;; [unrolled: 1-line block ×17, first 2 shown]
	ds_read_b128 v[140:143], v1 offset:752
	ds_read_b128 v[144:147], v1 offset:768
	s_mov_b32 s4, exec_lo
	s_waitcnt vmcnt(54) lgkmcnt(3)
	v_mul_f32_e32 v200, v5, v2
	v_mul_f32_e32 v201, v4, v2
	s_waitcnt vmcnt(53)
	v_mul_f32_e32 v202, v6, v3
	v_mul_f32_e32 v2, v7, v3
	s_waitcnt vmcnt(52) lgkmcnt(2)
	v_mul_f32_e32 v203, v8, v12
	v_mul_f32_e32 v3, v9, v12
	s_waitcnt vmcnt(49)
	v_fma_f32 v12, v4, v150, -v200
	s_waitcnt vmcnt(48)
	v_mul_f32_e32 v4, v11, v151
	v_fmac_f32_e32 v201, v5, v150
	v_mul_f32_e32 v150, v10, v151
	v_fmac_f32_e32 v202, v7, v149
	v_fma_f32 v149, v6, v149, -v2
	v_fmac_f32_e32 v203, v9, v148
	v_fma_f32 v148, v8, v148, -v3
	s_waitcnt vmcnt(44)
	v_fma_f32 v10, v10, v155, -v4
	ds_read_b128 v[2:5], v1 offset:784
	ds_read_b128 v[6:9], v1 offset:800
	v_fmac_f32_e32 v150, v11, v155
	s_waitcnt vmcnt(43) lgkmcnt(3)
	v_mul_f32_e32 v11, v140, v156
	v_mul_f32_e32 v151, v141, v156
	s_waitcnt vmcnt(42)
	v_mul_f32_e32 v155, v142, v157
	v_mul_f32_e32 v156, v143, v157
	s_waitcnt vmcnt(41) lgkmcnt(2)
	v_mul_f32_e32 v157, v144, v158
	v_mul_f32_e32 v158, v145, v158
	v_fmac_f32_e32 v11, v141, v154
	v_fma_f32 v140, v140, v154, -v151
	s_waitcnt vmcnt(40)
	v_mul_f32_e32 v141, v146, v159
	v_mul_f32_e32 v151, v147, v159
	v_fmac_f32_e32 v155, v143, v153
	v_fma_f32 v142, v142, v153, -v156
	v_fmac_f32_e32 v157, v145, v152
	v_fma_f32 v143, v144, v152, -v158
	s_waitcnt vmcnt(36)
	v_fmac_f32_e32 v141, v147, v163
	v_fma_f32 v144, v146, v163, -v151
	s_clause 0x3
	buffer_load_dword v200, off, s[0:3], 0 offset:428
	buffer_load_dword v204, off, s[0:3], 0 offset:436
	;; [unrolled: 1-line block ×4, first 2 shown]
	s_waitcnt vmcnt(39) lgkmcnt(1)
	v_mul_f32_e32 v145, v2, v164
	v_mul_f32_e32 v146, v3, v164
	s_waitcnt vmcnt(38)
	v_mul_f32_e32 v147, v4, v165
	v_mul_f32_e32 v151, v5, v165
	s_waitcnt vmcnt(37) lgkmcnt(0)
	v_mul_f32_e32 v153, v7, v166
	s_clause 0x3
	buffer_load_dword v163, off, s[0:3], 0 offset:460
	buffer_load_dword v207, off, s[0:3], 0 offset:468
	;; [unrolled: 1-line block ×4, first 2 shown]
	v_fmac_f32_e32 v145, v3, v162
	v_fma_f32 v146, v2, v162, -v146
	v_mul_f32_e32 v152, v6, v166
	v_fmac_f32_e32 v147, v5, v161
	v_fma_f32 v151, v4, v161, -v151
	ds_read_b128 v[2:5], v1 offset:816
	v_fma_f32 v153, v6, v160, -v153
	s_waitcnt vmcnt(40)
	v_mul_f32_e32 v6, v9, v167
	s_clause 0x1
	buffer_load_dword v164, off, s[0:3], 0 offset:492
	buffer_load_dword v161, off, s[0:3], 0 offset:500
	v_fmac_f32_e32 v152, v7, v160
	v_mul_f32_e32 v154, v8, v167
	s_waitcnt vmcnt(38)
	v_fma_f32 v156, v8, v171, -v6
	v_add_f32_e32 v6, 0, v12
	s_clause 0x3
	buffer_load_dword v12, off, s[0:3], 0 offset:448
	buffer_load_dword v160, off, s[0:3], 0 offset:440
	;; [unrolled: 1-line block ×4, first 2 shown]
	v_add_f32_e32 v7, 0, v201
	v_fmac_f32_e32 v154, v9, v171
	v_add_f32_e32 v6, v6, v149
	v_add_f32_e32 v149, v7, v202
	;; [unrolled: 1-line block ×3, first 2 shown]
	ds_read_b128 v[6:9], v1 offset:832
	s_waitcnt vmcnt(41) lgkmcnt(1)
	v_mul_f32_e32 v158, v2, v172
	v_mul_f32_e32 v159, v3, v172
	v_add_f32_e32 v149, v149, v203
	v_add_f32_e32 v10, v148, v10
	v_fmac_f32_e32 v158, v3, v170
	v_fma_f32 v148, v2, v170, -v159
	s_clause 0x6
	buffer_load_dword v166, off, s[0:3], 0 offset:480
	buffer_load_dword v167, off, s[0:3], 0 offset:472
	;; [unrolled: 1-line block ×7, first 2 shown]
	v_add_f32_e32 v2, v149, v150
	v_add_f32_e32 v3, v10, v140
	s_waitcnt vmcnt(47)
	v_mul_f32_e32 v10, v4, v173
	v_add_f32_e32 v2, v2, v11
	v_add_f32_e32 v3, v3, v142
	v_mul_f32_e32 v11, v5, v173
	v_fmac_f32_e32 v10, v5, v169
	s_waitcnt vmcnt(45) lgkmcnt(0)
	v_mul_f32_e32 v159, v8, v175
	v_add_f32_e32 v2, v2, v155
	v_add_f32_e32 v3, v3, v143
	v_fma_f32 v11, v4, v169, -v11
	s_waitcnt vmcnt(41)
	v_fmac_f32_e32 v159, v9, v179
	v_add_f32_e32 v140, v2, v157
	v_add_f32_e32 v144, v3, v144
	ds_read_b128 v[2:5], v1 offset:848
	v_mul_f32_e32 v157, v6, v174
	v_add_f32_e32 v149, v140, v141
	v_add_f32_e32 v144, v144, v146
	v_mul_f32_e32 v146, v7, v174
	ds_read_b128 v[140:143], v1 offset:864
	v_fmac_f32_e32 v157, v7, v168
	v_add_f32_e32 v145, v149, v145
	v_mul_f32_e32 v149, v9, v175
	v_add_f32_e32 v150, v144, v151
	v_fma_f32 v168, v6, v168, -v146
	v_fma_f32 v169, v8, v179, -v149
	v_add_f32_e32 v149, v145, v147
	v_add_f32_e32 v150, v150, v153
	ds_read_b128 v[6:9], v1 offset:880
	ds_read_b128 v[144:147], v1 offset:896
	v_add_f32_e32 v149, v149, v152
	s_waitcnt vmcnt(39) lgkmcnt(3)
	v_mul_f32_e32 v174, v4, v181
	v_mul_f32_e32 v152, v5, v181
	v_add_f32_e32 v150, v150, v156
	v_mul_f32_e32 v151, v3, v180
	v_add_f32_e32 v149, v149, v154
	v_fmac_f32_e32 v174, v5, v177
	v_fma_f32 v177, v4, v177, -v152
	v_add_f32_e32 v152, v150, v148
	v_mul_f32_e32 v173, v2, v180
	v_add_f32_e32 v154, v149, v158
	v_fma_f32 v156, v2, v178, -v151
	s_waitcnt vmcnt(38) lgkmcnt(2)
	v_mul_f32_e32 v175, v140, v182
	v_add_f32_e32 v11, v152, v11
	v_fmac_f32_e32 v173, v3, v178
	v_add_f32_e32 v10, v154, v10
	v_mul_f32_e32 v153, v141, v182
	s_waitcnt vmcnt(37)
	v_mul_f32_e32 v155, v143, v183
	v_add_f32_e32 v11, v11, v168
	s_waitcnt vmcnt(36) lgkmcnt(1)
	v_mul_f32_e32 v168, v6, v184
	v_add_f32_e32 v10, v10, v157
	v_mul_f32_e32 v157, v7, v184
	v_fmac_f32_e32 v175, v141, v176
	v_fma_f32 v176, v140, v176, -v153
	s_waitcnt vmcnt(31)
	v_fmac_f32_e32 v168, v7, v189
	v_add_f32_e32 v7, v11, v169
	v_add_f32_e32 v10, v10, v159
	v_mul_f32_e32 v179, v142, v183
	s_waitcnt vmcnt(30)
	v_fma_f32 v178, v142, v190, -v155
	ds_read_b128 v[2:5], v1 offset:912
	ds_read_b128 v[148:151], v1 offset:928
	v_add_f32_e32 v182, v7, v156
	v_add_f32_e32 v173, v10, v173
	v_fmac_f32_e32 v179, v143, v190
	v_mul_f32_e32 v158, v9, v185
	v_fma_f32 v169, v6, v189, -v157
	v_add_f32_e32 v177, v182, v177
	v_add_f32_e32 v173, v173, v174
	v_mul_f32_e32 v180, v8, v185
	v_fma_f32 v181, v8, v188, -v158
	s_waitcnt lgkmcnt(2)
	v_mul_f32_e32 v183, v145, v186
	v_add_f32_e32 v176, v177, v176
	v_add_f32_e32 v173, v173, v175
	v_fmac_f32_e32 v180, v9, v188
	v_mul_f32_e32 v182, v144, v186
	s_waitcnt vmcnt(29)
	v_mul_f32_e32 v184, v147, v191
	v_add_f32_e32 v176, v176, v178
	v_add_f32_e32 v173, v173, v179
	v_fma_f32 v144, v144, v187, -v183
	v_mul_f32_e32 v174, v146, v191
	v_fmac_f32_e32 v182, v145, v187
	v_add_f32_e32 v169, v176, v169
	v_add_f32_e32 v168, v173, v168
	s_waitcnt vmcnt(28) lgkmcnt(1)
	v_mul_f32_e32 v177, v2, v192
	v_mul_f32_e32 v183, v3, v192
	s_waitcnt vmcnt(22)
	v_fma_f32 v146, v146, v198, -v184
	v_add_f32_e32 v169, v169, v181
	v_add_f32_e32 v168, v168, v180
	ds_read_b128 v[140:143], v1 offset:944
	ds_read_b128 v[152:155], v1 offset:960
	v_fmac_f32_e32 v174, v147, v198
	v_mul_f32_e32 v180, v5, v193
	v_add_f32_e32 v144, v169, v144
	v_add_f32_e32 v168, v168, v182
	v_fmac_f32_e32 v177, v3, v197
	v_fma_f32 v2, v2, v197, -v183
	v_mul_f32_e32 v175, v4, v193
	v_add_f32_e32 v3, v144, v146
	v_add_f32_e32 v144, v168, v174
	s_waitcnt lgkmcnt(2)
	v_mul_f32_e32 v146, v149, v194
	v_fma_f32 v4, v4, v196, -v180
	v_mul_f32_e32 v145, v148, v194
	v_add_f32_e32 v2, v3, v2
	v_fmac_f32_e32 v175, v5, v196
	v_add_f32_e32 v3, v144, v177
	v_fma_f32 v144, v148, v195, -v146
	v_fmac_f32_e32 v145, v149, v195
	v_add_f32_e32 v2, v2, v4
	ds_read_b128 v[6:9], v1 offset:976
	ds_read_b128 v[156:159], v1 offset:992
	ds_read_b64 v[10:11], v1 offset:1008
	v_add_f32_e32 v3, v3, v175
	v_add_f32_e32 v2, v2, v144
	;; [unrolled: 1-line block ×3, first 2 shown]
	s_waitcnt vmcnt(20)
	v_mul_f32_e32 v5, v151, v200
	v_mul_f32_e32 v178, v150, v200
	s_waitcnt vmcnt(19) lgkmcnt(4)
	v_mul_f32_e32 v4, v141, v204
	v_mul_f32_e32 v179, v140, v204
	s_waitcnt vmcnt(18)
	v_mul_f32_e32 v144, v143, v205
	v_mul_f32_e32 v147, v142, v205
	s_waitcnt vmcnt(17) lgkmcnt(3)
	v_mul_f32_e32 v184, v152, v206
	s_waitcnt vmcnt(16)
	v_mul_f32_e32 v173, v154, v163
	s_waitcnt vmcnt(15) lgkmcnt(2)
	v_mul_f32_e32 v176, v6, v207
	s_waitcnt vmcnt(14)
	v_mul_f32_e32 v185, v8, v208
	s_waitcnt vmcnt(13) lgkmcnt(1)
	v_mul_f32_e32 v181, v156, v209
	s_waitcnt vmcnt(12)
	v_mul_f32_e32 v186, v158, v164
	s_waitcnt vmcnt(11) lgkmcnt(0)
	v_mul_f32_e32 v169, v10, v161
	s_waitcnt vmcnt(10)
	v_fmac_f32_e32 v184, v153, v12
	s_waitcnt vmcnt(9)
	v_fmac_f32_e32 v147, v143, v160
	s_waitcnt vmcnt(8)
	v_fma_f32 v4, v140, v162, -v4
	s_waitcnt vmcnt(7)
	v_fma_f32 v5, v150, v165, -v5
	v_fmac_f32_e32 v178, v151, v165
	v_fmac_f32_e32 v179, v141, v162
	v_fma_f32 v140, v142, v160, -v144
	v_add_f32_e32 v2, v2, v5
	v_add_f32_e32 v3, v3, v178
	v_mul_f32_e32 v5, v153, v206
	v_add_f32_e32 v2, v2, v4
	v_add_f32_e32 v3, v3, v179
	v_mul_f32_e32 v4, v155, v163
	v_fma_f32 v5, v152, v12, -v5
	v_mul_f32_e32 v12, v7, v207
	v_add_f32_e32 v2, v2, v140
	v_add_f32_e32 v3, v3, v147
	s_waitcnt vmcnt(4)
	v_fmac_f32_e32 v176, v7, v170
	s_waitcnt vmcnt(3)
	v_fma_f32 v4, v154, v171, -v4
	v_fmac_f32_e32 v173, v155, v171
	v_add_f32_e32 v2, v2, v5
	v_add_f32_e32 v3, v3, v184
	v_mul_f32_e32 v5, v9, v208
	v_fma_f32 v6, v6, v170, -v12
	v_fmac_f32_e32 v185, v9, v167
	v_add_f32_e32 v2, v2, v4
	v_add_f32_e32 v3, v3, v173
	v_mul_f32_e32 v4, v157, v209
	;; [unrolled: 5-line block ×3, first 2 shown]
	v_fma_f32 v4, v156, v166, -v4
	s_waitcnt vmcnt(1)
	v_fmac_f32_e32 v186, v159, v201
	v_add_f32_e32 v2, v2, v5
	v_add_f32_e32 v3, v3, v185
	v_mul_f32_e32 v5, v11, v161
	v_fma_f32 v6, v158, v201, -v6
	v_fmac_f32_e32 v169, v11, v172
	v_add_f32_e32 v2, v2, v4
	v_add_f32_e32 v3, v3, v181
	v_fma_f32 v4, v10, v172, -v5
	v_add_f32_e32 v2, v2, v6
	v_add_f32_e32 v3, v3, v186
	;; [unrolled: 1-line block ×4, first 2 shown]
	s_waitcnt vmcnt(0)
	v_sub_f32_e32 v2, v202, v2
	v_sub_f32_e32 v3, v199, v3
	buffer_store_dword v2, off, s[0:3], 0 offset:200
	buffer_store_dword v3, off, s[0:3], 0 offset:204
	v_cmpx_lt_u32_e32 24, v0
	s_cbranch_execz .LBB126_343
; %bb.342:
	s_clause 0x1
	buffer_load_dword v2, off, s[0:3], 0 offset:192
	buffer_load_dword v3, off, s[0:3], 0 offset:196
	buffer_store_dword v1, off, s[0:3], 0 offset:192
	buffer_store_dword v1, off, s[0:3], 0 offset:196
	s_waitcnt vmcnt(0)
	ds_write_b64 v139, v[2:3]
.LBB126_343:
	s_or_b32 exec_lo, exec_lo, s4
	s_waitcnt lgkmcnt(0)
	s_waitcnt_vscnt null, 0x0
	s_barrier
	buffer_gl0_inv
	s_clause 0x1e
	buffer_load_dword v2, off, s[0:3], 0 offset:204
	buffer_load_dword v3, off, s[0:3], 0 offset:212
	;; [unrolled: 1-line block ×31, first 2 shown]
	ds_read2_b64 v[4:7], v1 offset0:89 offset1:90
	s_clause 0x3
	buffer_load_dword v184, off, s[0:3], 0 offset:344
	buffer_load_dword v185, off, s[0:3], 0 offset:336
	;; [unrolled: 1-line block ×4, first 2 shown]
	ds_read2_b64 v[8:11], v1 offset0:91 offset1:92
	s_clause 0xa
	buffer_load_dword v188, off, s[0:3], 0 offset:332
	buffer_load_dword v189, off, s[0:3], 0 offset:340
	;; [unrolled: 1-line block ×11, first 2 shown]
	ds_read2_b64 v[140:143], v1 offset0:93 offset1:94
	ds_read2_b64 v[144:147], v1 offset0:95 offset1:96
	;; [unrolled: 1-line block ×4, first 2 shown]
	buffer_load_dword v199, off, s[0:3], 0 offset:196
	s_mov_b32 s4, exec_lo
	s_waitcnt vmcnt(46) lgkmcnt(5)
	v_mul_f32_e32 v200, v5, v2
	v_mul_f32_e32 v201, v4, v2
	s_waitcnt vmcnt(45)
	v_mul_f32_e32 v202, v6, v3
	v_mul_f32_e32 v2, v7, v3
	s_waitcnt vmcnt(44) lgkmcnt(4)
	v_mul_f32_e32 v203, v8, v12
	v_mul_f32_e32 v3, v9, v12
	s_waitcnt vmcnt(41)
	v_fma_f32 v12, v4, v158, -v200
	v_fmac_f32_e32 v201, v5, v158
	s_waitcnt vmcnt(40)
	v_mul_f32_e32 v158, v10, v159
	v_mul_f32_e32 v4, v11, v159
	v_fmac_f32_e32 v202, v7, v157
	s_waitcnt vmcnt(35) lgkmcnt(3)
	v_mul_f32_e32 v159, v141, v164
	v_fma_f32 v157, v6, v157, -v2
	v_fmac_f32_e32 v158, v11, v163
	v_mul_f32_e32 v11, v140, v164
	v_fma_f32 v10, v10, v163, -v4
	s_waitcnt vmcnt(34)
	v_mul_f32_e32 v163, v142, v165
	v_mul_f32_e32 v164, v143, v165
	s_waitcnt vmcnt(33) lgkmcnt(2)
	v_mul_f32_e32 v165, v144, v166
	v_mul_f32_e32 v166, v145, v166
	v_fmac_f32_e32 v11, v141, v162
	v_fma_f32 v140, v140, v162, -v159
	s_waitcnt vmcnt(32)
	v_mul_f32_e32 v141, v146, v167
	v_mul_f32_e32 v159, v147, v167
	v_fmac_f32_e32 v203, v9, v156
	v_fma_f32 v156, v8, v156, -v3
	ds_read2_b64 v[2:5], v1 offset0:101 offset1:102
	ds_read2_b64 v[6:9], v1 offset0:103 offset1:104
	v_fmac_f32_e32 v163, v143, v161
	v_fma_f32 v142, v142, v161, -v164
	v_fmac_f32_e32 v165, v145, v160
	v_fma_f32 v143, v144, v160, -v166
	s_waitcnt vmcnt(28)
	v_fmac_f32_e32 v141, v147, v171
	v_fma_f32 v144, v146, v171, -v159
	s_clause 0x7
	buffer_load_dword v159, off, s[0:3], 0 offset:388
	buffer_load_dword v160, off, s[0:3], 0 offset:396
	;; [unrolled: 1-line block ×8, first 2 shown]
	s_waitcnt vmcnt(35) lgkmcnt(3)
	v_mul_f32_e32 v145, v148, v172
	v_mul_f32_e32 v146, v149, v172
	s_waitcnt vmcnt(34)
	v_mul_f32_e32 v147, v150, v173
	v_mul_f32_e32 v172, v151, v173
	s_waitcnt vmcnt(33) lgkmcnt(2)
	v_mul_f32_e32 v173, v152, v174
	v_mul_f32_e32 v174, v153, v174
	v_fmac_f32_e32 v145, v149, v170
	v_fma_f32 v146, v148, v170, -v146
	s_waitcnt vmcnt(32)
	v_mul_f32_e32 v148, v154, v175
	v_mul_f32_e32 v149, v155, v175
	v_fmac_f32_e32 v147, v151, v169
	v_fmac_f32_e32 v173, v153, v168
	v_fma_f32 v151, v152, v168, -v174
	s_waitcnt vmcnt(28)
	v_fmac_f32_e32 v148, v155, v179
	v_fma_f32 v149, v154, v179, -v149
	s_waitcnt vmcnt(27) lgkmcnt(1)
	v_mul_f32_e32 v152, v2, v180
	v_mul_f32_e32 v153, v3, v180
	s_waitcnt vmcnt(26)
	v_mul_f32_e32 v154, v4, v181
	v_mul_f32_e32 v155, v5, v181
	v_fma_f32 v150, v150, v169, -v172
	s_clause 0x8
	buffer_load_dword v169, off, s[0:3], 0 offset:420
	buffer_load_dword v170, off, s[0:3], 0 offset:428
	;; [unrolled: 1-line block ×9, first 2 shown]
	v_fmac_f32_e32 v152, v3, v178
	v_fma_f32 v153, v2, v178, -v153
	buffer_load_dword v178, off, s[0:3], 0 offset:492
	v_fmac_f32_e32 v154, v5, v177
	v_fma_f32 v155, v4, v177, -v155
	s_clause 0x4
	buffer_load_dword v177, off, s[0:3], 0 offset:500
	buffer_load_dword v181, off, s[0:3], 0 offset:440
	buffer_load_dword v204, off, s[0:3], 0 offset:432
	buffer_load_dword v205, off, s[0:3], 0 offset:424
	buffer_load_dword v206, off, s[0:3], 0 offset:416
	v_add_f32_e32 v3, 0, v201
	v_add_f32_e32 v2, 0, v12
	s_waitcnt vmcnt(40) lgkmcnt(0)
	v_mul_f32_e32 v4, v7, v182
	v_add_f32_e32 v3, v3, v202
	v_add_f32_e32 v2, v2, v157
	v_fma_f32 v157, v6, v176, -v4
	v_add_f32_e32 v3, v3, v203
	s_clause 0x3
	buffer_load_dword v12, off, s[0:3], 0 offset:472
	buffer_load_dword v201, off, s[0:3], 0 offset:464
	;; [unrolled: 1-line block ×4, first 2 shown]
	v_add_f32_e32 v2, v2, v156
	v_mul_f32_e32 v156, v6, v182
	v_add_f32_e32 v3, v3, v158
	s_waitcnt vmcnt(43)
	v_mul_f32_e32 v158, v8, v183
	v_add_f32_e32 v2, v2, v10
	s_clause 0x2
	buffer_load_dword v10, off, s[0:3], 0 offset:496
	buffer_load_dword v207, off, s[0:3], 0 offset:488
	;; [unrolled: 1-line block ×3, first 2 shown]
	v_fmac_f32_e32 v156, v7, v176
	v_add_f32_e32 v3, v3, v11
	buffer_load_dword v11, off, s[0:3], 0 offset:192
	v_add_f32_e32 v2, v2, v140
	s_waitcnt vmcnt(43)
	v_fmac_f32_e32 v158, v9, v187
	v_add_f32_e32 v3, v3, v163
	v_add_f32_e32 v2, v2, v142
	;; [unrolled: 1-line block ×4, first 2 shown]
	ds_read2_b64 v[2:5], v1 offset0:105 offset1:106
	v_add_f32_e32 v141, v7, v141
	v_add_f32_e32 v140, v6, v144
	v_mul_f32_e32 v6, v9, v183
	v_add_f32_e32 v145, v141, v145
	v_add_f32_e32 v144, v140, v146
	v_fma_f32 v163, v8, v187, -v6
	ds_read2_b64 v[6:9], v1 offset0:107 offset1:108
	ds_read2_b64 v[140:143], v1 offset0:109 offset1:110
	v_add_f32_e32 v145, v145, v147
	v_add_f32_e32 v144, v144, v150
	;; [unrolled: 1-line block ×3, first 2 shown]
	s_waitcnt vmcnt(42) lgkmcnt(2)
	v_mul_f32_e32 v146, v3, v188
	v_mul_f32_e32 v165, v2, v188
	v_fma_f32 v176, v2, v186, -v146
	v_add_f32_e32 v2, v145, v173
	v_fmac_f32_e32 v165, v3, v186
	v_add_f32_e32 v3, v150, v149
	ds_read2_b64 v[144:147], v1 offset0:111 offset1:112
	s_waitcnt vmcnt(41)
	v_mul_f32_e32 v173, v4, v189
	v_add_f32_e32 v2, v2, v148
	s_waitcnt vmcnt(40) lgkmcnt(2)
	v_mul_f32_e32 v182, v6, v190
	v_mul_f32_e32 v148, v7, v190
	v_add_f32_e32 v3, v3, v153
	s_waitcnt vmcnt(38) lgkmcnt(1)
	v_mul_f32_e32 v186, v140, v192
	v_add_f32_e32 v2, v2, v152
	v_fmac_f32_e32 v182, v7, v184
	v_fma_f32 v184, v6, v184, -v148
	v_add_f32_e32 v6, v3, v155
	v_mul_f32_e32 v152, v141, v192
	v_add_f32_e32 v7, v2, v154
	s_waitcnt vmcnt(33)
	v_fmac_f32_e32 v186, v141, v197
	v_mul_f32_e32 v149, v5, v189
	v_add_f32_e32 v141, v6, v157
	v_fma_f32 v188, v140, v197, -v152
	v_add_f32_e32 v140, v7, v156
	v_fmac_f32_e32 v173, v5, v185
	v_fma_f32 v185, v4, v185, -v149
	v_add_f32_e32 v141, v141, v163
	s_waitcnt lgkmcnt(0)
	v_mul_f32_e32 v157, v145, v194
	v_add_f32_e32 v140, v140, v158
	v_mul_f32_e32 v189, v144, v194
	v_mul_f32_e32 v153, v9, v191
	v_add_f32_e32 v141, v141, v176
	v_fma_f32 v192, v144, v195, -v157
	v_add_f32_e32 v144, v140, v165
	v_mul_f32_e32 v183, v8, v191
	s_waitcnt vmcnt(32)
	v_fma_f32 v187, v8, v198, -v153
	v_add_f32_e32 v165, v141, v185
	ds_read2_b64 v[2:5], v1 offset0:113 offset1:114
	ds_read2_b64 v[148:151], v1 offset0:115 offset1:116
	v_add_f32_e32 v173, v144, v173
	v_fmac_f32_e32 v183, v9, v198
	v_mul_f32_e32 v156, v143, v193
	v_add_f32_e32 v165, v165, v184
	v_mul_f32_e32 v163, v142, v193
	v_add_f32_e32 v173, v173, v182
	v_fmac_f32_e32 v189, v145, v195
	v_fma_f32 v191, v142, v196, -v156
	v_add_f32_e32 v165, v165, v187
	v_fmac_f32_e32 v163, v143, v196
	v_add_f32_e32 v173, v173, v183
	ds_read2_b64 v[6:9], v1 offset0:117 offset1:118
	ds_read2_b64 v[152:155], v1 offset0:119 offset1:120
	v_add_f32_e32 v165, v165, v188
	v_add_f32_e32 v173, v173, v186
	;; [unrolled: 1-line block ×6, first 2 shown]
	s_waitcnt vmcnt(30)
	v_mul_f32_e32 v176, v146, v159
	v_mul_f32_e32 v190, v147, v159
	ds_read2_b64 v[140:143], v1 offset0:121 offset1:122
	ds_read2_b64 v[156:159], v1 offset0:123 offset1:124
	s_waitcnt vmcnt(28) lgkmcnt(5)
	v_mul_f32_e32 v182, v4, v161
	v_mul_f32_e32 v161, v5, v161
	s_waitcnt vmcnt(27) lgkmcnt(4)
	v_mul_f32_e32 v184, v148, v162
	v_mul_f32_e32 v162, v149, v162
	s_waitcnt vmcnt(23)
	v_fmac_f32_e32 v176, v147, v171
	v_fma_f32 v171, v146, v171, -v190
	ds_read2_b64 v[144:147], v1 offset0:125 offset1:126
	v_mul_f32_e32 v1, v2, v160
	v_mul_f32_e32 v160, v3, v160
	v_add_f32_e32 v163, v163, v176
	v_fma_f32 v4, v4, v166, -v161
	v_fmac_f32_e32 v182, v5, v166
	v_fmac_f32_e32 v1, v3, v167
	v_fma_f32 v2, v2, v167, -v160
	v_add_f32_e32 v160, v165, v171
	v_fma_f32 v148, v148, v164, -v162
	v_fmac_f32_e32 v184, v149, v164
	v_add_f32_e32 v1, v163, v1
	v_add_f32_e32 v2, v160, v2
	s_waitcnt vmcnt(22)
	v_mul_f32_e32 v5, v151, v169
	v_mul_f32_e32 v183, v150, v169
	v_add_f32_e32 v2, v2, v4
	v_add_f32_e32 v1, v1, v182
	s_waitcnt vmcnt(21) lgkmcnt(4)
	v_mul_f32_e32 v4, v7, v170
	v_mul_f32_e32 v185, v6, v170
	s_waitcnt vmcnt(20)
	v_mul_f32_e32 v187, v8, v172
	v_add_f32_e32 v2, v2, v148
	v_add_f32_e32 v1, v1, v184
	v_mul_f32_e32 v148, v9, v172
	s_waitcnt vmcnt(9)
	v_fma_f32 v4, v6, v205, -v4
	s_waitcnt vmcnt(8)
	v_fma_f32 v5, v150, v206, -v5
	v_fmac_f32_e32 v183, v151, v206
	v_fmac_f32_e32 v185, v7, v205
	v_fma_f32 v6, v8, v204, -v148
	s_waitcnt lgkmcnt(3)
	v_mul_f32_e32 v186, v152, v175
	v_add_f32_e32 v2, v2, v5
	v_add_f32_e32 v1, v1, v183
	v_mul_f32_e32 v5, v153, v175
	v_fmac_f32_e32 v187, v9, v204
	v_mul_f32_e32 v188, v154, v168
	v_add_f32_e32 v2, v2, v4
	v_add_f32_e32 v1, v1, v185
	v_mul_f32_e32 v4, v155, v168
	v_fma_f32 v5, v152, v181, -v5
	v_fmac_f32_e32 v186, v153, v181
	v_add_f32_e32 v2, v2, v6
	v_add_f32_e32 v1, v1, v187
	s_waitcnt lgkmcnt(2)
	v_mul_f32_e32 v6, v141, v174
	s_waitcnt vmcnt(4)
	v_fma_f32 v4, v154, v203, -v4
	v_mul_f32_e32 v190, v140, v174
	v_add_f32_e32 v2, v2, v5
	v_fmac_f32_e32 v188, v155, v203
	v_add_f32_e32 v1, v1, v186
	v_mul_f32_e32 v5, v143, v179
	v_fma_f32 v6, v140, v202, -v6
	v_add_f32_e32 v2, v2, v4
	v_mul_f32_e32 v173, v142, v179
	v_fmac_f32_e32 v190, v141, v202
	v_add_f32_e32 v1, v1, v188
	s_waitcnt lgkmcnt(1)
	v_mul_f32_e32 v4, v157, v200
	v_fma_f32 v5, v142, v201, -v5
	v_add_f32_e32 v2, v2, v6
	v_mul_f32_e32 v191, v156, v200
	v_fmac_f32_e32 v173, v143, v201
	v_add_f32_e32 v1, v1, v190
	v_mul_f32_e32 v6, v159, v180
	v_fma_f32 v4, v156, v12, -v4
	v_add_f32_e32 v2, v2, v5
	v_mul_f32_e32 v192, v158, v180
	v_fmac_f32_e32 v191, v157, v12
	v_add_f32_e32 v1, v1, v173
	s_waitcnt lgkmcnt(0)
	v_mul_f32_e32 v5, v145, v178
	s_waitcnt vmcnt(1)
	v_fma_f32 v6, v158, v208, -v6
	v_add_f32_e32 v2, v2, v4
	v_mul_f32_e32 v189, v144, v178
	v_fmac_f32_e32 v192, v159, v208
	v_add_f32_e32 v1, v1, v191
	v_mul_f32_e32 v4, v147, v177
	v_fma_f32 v5, v144, v207, -v5
	v_add_f32_e32 v2, v2, v6
	v_mul_f32_e32 v3, v146, v177
	v_fmac_f32_e32 v189, v145, v207
	v_add_f32_e32 v1, v1, v192
	v_fma_f32 v4, v146, v10, -v4
	v_add_f32_e32 v2, v2, v5
	v_fmac_f32_e32 v3, v147, v10
	v_add_f32_e32 v1, v1, v189
	v_add_f32_e32 v2, v2, v4
	;; [unrolled: 1-line block ×3, first 2 shown]
	s_waitcnt vmcnt(0)
	v_sub_f32_e32 v2, v11, v2
	v_sub_f32_e32 v1, v199, v1
	buffer_store_dword v2, off, s[0:3], 0 offset:192
	buffer_store_dword v1, off, s[0:3], 0 offset:196
	v_cmpx_lt_u32_e32 23, v0
	s_cbranch_execz .LBB126_345
; %bb.344:
	s_clause 0x1
	buffer_load_dword v1, off, s[0:3], 0 offset:184
	buffer_load_dword v2, off, s[0:3], 0 offset:188
	v_mov_b32_e32 v3, 0
	buffer_store_dword v3, off, s[0:3], 0 offset:184
	buffer_store_dword v3, off, s[0:3], 0 offset:188
	s_waitcnt vmcnt(0)
	ds_write_b64 v139, v[1:2]
.LBB126_345:
	s_or_b32 exec_lo, exec_lo, s4
	s_waitcnt lgkmcnt(0)
	s_waitcnt_vscnt null, 0x0
	s_barrier
	buffer_gl0_inv
	s_clause 0x25
	buffer_load_dword v2, off, s[0:3], 0 offset:196
	buffer_load_dword v3, off, s[0:3], 0 offset:204
	;; [unrolled: 1-line block ×38, first 2 shown]
	v_mov_b32_e32 v1, 0
	ds_read_b128 v[4:7], v1 offset:704
	ds_read_b128 v[8:11], v1 offset:720
	s_clause 0x10
	buffer_load_dword v183, off, s[0:3], 0 offset:348
	buffer_load_dword v184, off, s[0:3], 0 offset:356
	;; [unrolled: 1-line block ×17, first 2 shown]
	ds_read_b128 v[140:143], v1 offset:736
	ds_read_b128 v[144:147], v1 offset:752
	s_mov_b32 s4, exec_lo
	s_waitcnt vmcnt(54) lgkmcnt(3)
	v_mul_f32_e32 v200, v5, v2
	v_mul_f32_e32 v201, v4, v2
	s_waitcnt vmcnt(53)
	v_mul_f32_e32 v202, v6, v3
	v_mul_f32_e32 v2, v7, v3
	s_waitcnt vmcnt(52) lgkmcnt(2)
	v_mul_f32_e32 v203, v8, v12
	v_mul_f32_e32 v3, v9, v12
	s_waitcnt vmcnt(49)
	v_fma_f32 v12, v4, v150, -v200
	v_fmac_f32_e32 v201, v5, v150
	s_waitcnt vmcnt(48)
	v_mul_f32_e32 v150, v10, v151
	v_mul_f32_e32 v4, v11, v151
	v_fmac_f32_e32 v202, v7, v149
	s_waitcnt vmcnt(43) lgkmcnt(1)
	v_mul_f32_e32 v151, v141, v156
	v_fma_f32 v149, v6, v149, -v2
	v_fmac_f32_e32 v203, v9, v148
	v_fma_f32 v148, v8, v148, -v3
	v_fmac_f32_e32 v150, v11, v155
	v_fma_f32 v10, v10, v155, -v4
	ds_read_b128 v[2:5], v1 offset:768
	ds_read_b128 v[6:9], v1 offset:784
	v_mul_f32_e32 v11, v140, v156
	s_waitcnt vmcnt(42)
	v_mul_f32_e32 v155, v142, v157
	v_mul_f32_e32 v156, v143, v157
	s_waitcnt vmcnt(41) lgkmcnt(2)
	v_mul_f32_e32 v157, v144, v158
	v_fma_f32 v151, v140, v154, -v151
	s_waitcnt vmcnt(40)
	v_mul_f32_e32 v140, v147, v159
	v_mul_f32_e32 v158, v145, v158
	v_fmac_f32_e32 v11, v141, v154
	v_fmac_f32_e32 v155, v143, v153
	v_fma_f32 v153, v142, v153, -v156
	s_clause 0x3
	buffer_load_dword v200, off, s[0:3], 0 offset:412
	buffer_load_dword v204, off, s[0:3], 0 offset:420
	;; [unrolled: 1-line block ×4, first 2 shown]
	v_fmac_f32_e32 v157, v145, v152
	s_waitcnt vmcnt(40)
	v_fma_f32 v145, v146, v163, -v140
	ds_read_b128 v[140:143], v1 offset:800
	v_mul_f32_e32 v154, v146, v159
	v_fma_f32 v144, v144, v152, -v158
	s_waitcnt vmcnt(39) lgkmcnt(2)
	v_mul_f32_e32 v146, v2, v164
	v_fmac_f32_e32 v154, v147, v163
	v_mul_f32_e32 v147, v3, v164
	s_waitcnt vmcnt(37) lgkmcnt(1)
	v_mul_f32_e32 v159, v7, v166
	v_mul_f32_e32 v152, v4, v165
	;; [unrolled: 1-line block ×4, first 2 shown]
	v_fmac_f32_e32 v146, v3, v162
	v_fma_f32 v147, v2, v162, -v147
	s_waitcnt vmcnt(36)
	v_mul_f32_e32 v162, v8, v167
	v_mul_f32_e32 v2, v9, v167
	v_fma_f32 v159, v6, v160, -v159
	v_fmac_f32_e32 v152, v5, v161
	v_fma_f32 v156, v4, v161, -v156
	s_clause 0x3
	buffer_load_dword v161, off, s[0:3], 0 offset:444
	buffer_load_dword v163, off, s[0:3], 0 offset:452
	buffer_load_dword v164, off, s[0:3], 0 offset:460
	buffer_load_dword v165, off, s[0:3], 0 offset:468
	s_waitcnt vmcnt(35) lgkmcnt(0)
	v_mul_f32_e32 v166, v140, v172
	v_mul_f32_e32 v6, v141, v172
	v_fmac_f32_e32 v158, v7, v160
	v_fmac_f32_e32 v162, v9, v171
	v_fma_f32 v160, v8, v171, -v2
	ds_read_b128 v[2:5], v1 offset:816
	s_waitcnt vmcnt(34)
	v_mul_f32_e32 v167, v142, v173
	v_mul_f32_e32 v7, v143, v173
	buffer_load_dword v171, off, s[0:3], 0 offset:476
	v_fmac_f32_e32 v166, v141, v170
	v_fma_f32 v170, v140, v170, -v6
	v_add_f32_e32 v6, 0, v12
	s_clause 0x6
	buffer_load_dword v12, off, s[0:3], 0 offset:484
	buffer_load_dword v172, off, s[0:3], 0 offset:492
	;; [unrolled: 1-line block ×7, first 2 shown]
	v_fmac_f32_e32 v167, v143, v169
	v_fma_f32 v169, v142, v169, -v7
	v_add_f32_e32 v7, 0, v201
	v_add_f32_e32 v6, v6, v149
	;; [unrolled: 1-line block ×4, first 2 shown]
	s_waitcnt vmcnt(41) lgkmcnt(0)
	v_mul_f32_e32 v8, v3, v174
	v_add_f32_e32 v7, v7, v203
	s_clause 0x8
	buffer_load_dword v201, off, s[0:3], 0 offset:464
	buffer_load_dword v202, off, s[0:3], 0 offset:456
	;; [unrolled: 1-line block ×9, first 2 shown]
	v_add_f32_e32 v6, v6, v10
	v_add_f32_e32 v7, v7, v150
	v_mul_f32_e32 v10, v2, v174
	v_add_f32_e32 v6, v6, v151
	v_add_f32_e32 v7, v7, v11
	v_fmac_f32_e32 v10, v3, v168
	v_fma_f32 v11, v2, v168, -v8
	v_add_f32_e32 v6, v6, v153
	v_add_f32_e32 v7, v7, v155
	s_waitcnt vmcnt(49)
	v_mul_f32_e32 v153, v4, v175
	v_add_f32_e32 v6, v6, v144
	v_add_f32_e32 v7, v7, v157
	s_waitcnt vmcnt(45)
	v_fmac_f32_e32 v153, v5, v179
	v_add_f32_e32 v2, v6, v145
	v_add_f32_e32 v3, v7, v154
	ds_read_b128 v[6:9], v1 offset:832
	v_add_f32_e32 v140, v2, v147
	v_mul_f32_e32 v2, v5, v175
	v_add_f32_e32 v141, v3, v146
	v_add_f32_e32 v144, v140, v156
	v_fma_f32 v154, v4, v179, -v2
	ds_read_b128 v[2:5], v1 offset:848
	v_add_f32_e32 v145, v141, v152
	ds_read_b128 v[140:143], v1 offset:864
	v_add_f32_e32 v144, v144, v159
	v_add_f32_e32 v145, v145, v158
	;; [unrolled: 1-line block ×3, first 2 shown]
	s_waitcnt vmcnt(44) lgkmcnt(2)
	v_mul_f32_e32 v146, v7, v180
	v_mul_f32_e32 v156, v6, v180
	s_waitcnt vmcnt(43)
	v_mul_f32_e32 v158, v8, v181
	v_fma_f32 v157, v6, v178, -v146
	v_add_f32_e32 v6, v145, v162
	v_fmac_f32_e32 v156, v7, v178
	v_add_f32_e32 v7, v148, v170
	ds_read_b128 v[144:147], v1 offset:880
	s_waitcnt vmcnt(42) lgkmcnt(2)
	v_mul_f32_e32 v149, v3, v182
	v_add_f32_e32 v6, v6, v166
	v_mul_f32_e32 v160, v2, v182
	v_add_f32_e32 v7, v7, v169
	v_mul_f32_e32 v148, v9, v181
	v_fmac_f32_e32 v158, v9, v177
	v_add_f32_e32 v6, v6, v167
	v_fma_f32 v167, v2, v176, -v149
	v_add_f32_e32 v2, v7, v11
	v_fmac_f32_e32 v160, v3, v176
	v_fma_f32 v159, v8, v177, -v148
	v_add_f32_e32 v3, v6, v10
	s_waitcnt vmcnt(40) lgkmcnt(1)
	v_mul_f32_e32 v10, v141, v184
	v_add_f32_e32 v11, v2, v154
	v_mul_f32_e32 v152, v5, v183
	v_mul_f32_e32 v162, v4, v183
	;; [unrolled: 1-line block ×3, first 2 shown]
	s_waitcnt vmcnt(35)
	v_fma_f32 v169, v140, v189, -v10
	v_add_f32_e32 v10, v3, v153
	v_add_f32_e32 v11, v11, v157
	s_waitcnt vmcnt(34)
	v_fma_f32 v168, v4, v190, -v152
	ds_read_b128 v[6:9], v1 offset:896
	ds_read_b128 v[148:151], v1 offset:912
	v_fmac_f32_e32 v162, v5, v190
	v_add_f32_e32 v10, v10, v156
	v_add_f32_e32 v11, v11, v159
	v_mul_f32_e32 v140, v143, v185
	v_fmac_f32_e32 v166, v141, v189
	v_mul_f32_e32 v170, v142, v185
	v_add_f32_e32 v10, v10, v158
	v_add_f32_e32 v167, v11, v167
	s_waitcnt lgkmcnt(2)
	v_mul_f32_e32 v141, v145, v186
	v_fma_f32 v177, v142, v188, -v140
	v_mul_f32_e32 v174, v144, v186
	v_add_f32_e32 v160, v10, v160
	v_add_f32_e32 v167, v167, v168
	v_fmac_f32_e32 v170, v143, v188
	s_waitcnt vmcnt(33)
	v_mul_f32_e32 v176, v147, v191
	v_fma_f32 v178, v144, v187, -v141
	v_add_f32_e32 v160, v160, v162
	v_add_f32_e32 v167, v167, v169
	v_mul_f32_e32 v175, v146, v191
	v_fmac_f32_e32 v174, v145, v187
	s_waitcnt vmcnt(26)
	v_fma_f32 v176, v146, v198, -v176
	v_add_f32_e32 v160, v160, v166
	v_add_f32_e32 v167, v167, v177
	s_waitcnt lgkmcnt(1)
	v_mul_f32_e32 v179, v7, v192
	ds_read_b128 v[2:5], v1 offset:928
	ds_read_b128 v[152:155], v1 offset:944
	v_fmac_f32_e32 v175, v147, v198
	v_add_f32_e32 v160, v160, v170
	v_add_f32_e32 v167, v167, v178
	v_mul_f32_e32 v168, v6, v192
	v_mul_f32_e32 v180, v9, v193
	v_fma_f32 v6, v6, v197, -v179
	v_add_f32_e32 v160, v160, v174
	v_add_f32_e32 v167, v167, v176
	v_mul_f32_e32 v162, v8, v193
	v_fmac_f32_e32 v168, v7, v197
	s_waitcnt lgkmcnt(2)
	v_mul_f32_e32 v179, v149, v194
	v_add_f32_e32 v160, v160, v175
	v_fma_f32 v8, v8, v196, -v180
	v_add_f32_e32 v6, v167, v6
	v_mul_f32_e32 v169, v148, v194
	v_fmac_f32_e32 v162, v9, v196
	v_add_f32_e32 v160, v160, v168
	v_fma_f32 v148, v148, v195, -v179
	v_add_f32_e32 v6, v6, v8
	v_fmac_f32_e32 v169, v149, v195
	ds_read_b128 v[140:143], v1 offset:960
	ds_read_b128 v[156:159], v1 offset:976
	v_add_f32_e32 v8, v160, v162
	ds_read_b128 v[144:147], v1 offset:992
	ds_read_b64 v[10:11], v1 offset:1008
	v_add_f32_e32 v6, v6, v148
	v_add_f32_e32 v8, v8, v169
	s_waitcnt vmcnt(24)
	v_mul_f32_e32 v175, v151, v200
	v_mul_f32_e32 v166, v150, v200
	s_waitcnt vmcnt(23) lgkmcnt(5)
	v_mul_f32_e32 v7, v2, v204
	v_mul_f32_e32 v149, v3, v204
	s_waitcnt vmcnt(22)
	v_mul_f32_e32 v148, v5, v205
	v_mul_f32_e32 v177, v4, v205
	s_waitcnt vmcnt(21) lgkmcnt(4)
	v_mul_f32_e32 v170, v152, v206
	s_waitcnt vmcnt(20)
	v_mul_f32_e32 v9, v154, v161
	s_waitcnt vmcnt(19) lgkmcnt(3)
	v_mul_f32_e32 v180, v140, v163
	s_waitcnt vmcnt(18)
	;; [unrolled: 4-line block ×3, first 2 shown]
	v_mul_f32_e32 v181, v158, v171
	s_waitcnt vmcnt(12)
	v_fmac_f32_e32 v170, v153, v207
	s_waitcnt vmcnt(11)
	v_fma_f32 v4, v4, v208, -v148
	s_waitcnt vmcnt(10)
	v_fmac_f32_e32 v7, v3, v209
	s_waitcnt vmcnt(9)
	v_fma_f32 v150, v150, v210, -v175
	v_fmac_f32_e32 v166, v151, v210
	v_fma_f32 v2, v2, v209, -v149
	v_fmac_f32_e32 v177, v5, v208
	v_mul_f32_e32 v5, v155, v161
	v_add_f32_e32 v3, v6, v150
	v_add_f32_e32 v6, v8, v166
	v_mul_f32_e32 v8, v153, v206
	s_waitcnt lgkmcnt(1)
	v_mul_f32_e32 v176, v144, v12
	v_mul_f32_e32 v182, v146, v172
	v_add_f32_e32 v2, v3, v2
	v_add_f32_e32 v3, v6, v7
	v_fma_f32 v6, v152, v207, -v8
	s_waitcnt vmcnt(6)
	v_fmac_f32_e32 v180, v141, v203
	s_waitcnt vmcnt(5)
	v_fma_f32 v5, v154, v211, -v5
	v_add_f32_e32 v2, v2, v4
	v_add_f32_e32 v3, v3, v177
	v_mul_f32_e32 v4, v141, v163
	v_fmac_f32_e32 v9, v155, v211
	v_fmac_f32_e32 v174, v143, v202
	v_add_f32_e32 v2, v2, v6
	v_add_f32_e32 v3, v3, v170
	v_mul_f32_e32 v6, v143, v164
	v_fma_f32 v4, v140, v203, -v4
	v_fmac_f32_e32 v178, v157, v201
	v_add_f32_e32 v2, v2, v5
	v_add_f32_e32 v3, v3, v9
	v_mul_f32_e32 v5, v157, v165
	v_fma_f32 v6, v142, v202, -v6
	s_waitcnt vmcnt(1)
	v_fmac_f32_e32 v181, v159, v215
	v_add_f32_e32 v2, v2, v4
	v_add_f32_e32 v3, v3, v180
	v_mul_f32_e32 v4, v159, v171
	v_fma_f32 v5, v156, v201, -v5
	v_fmac_f32_e32 v176, v145, v214
	v_add_f32_e32 v2, v2, v6
	v_add_f32_e32 v3, v3, v174
	v_mul_f32_e32 v6, v145, v12
	v_fma_f32 v4, v158, v215, -v4
	s_waitcnt lgkmcnt(0)
	v_mul_f32_e32 v167, v10, v173
	v_add_f32_e32 v2, v2, v5
	v_add_f32_e32 v3, v3, v178
	v_mul_f32_e32 v5, v147, v172
	v_fma_f32 v6, v144, v214, -v6
	v_fmac_f32_e32 v182, v147, v213
	v_add_f32_e32 v2, v2, v4
	v_add_f32_e32 v3, v3, v181
	v_mul_f32_e32 v4, v11, v173
	v_fma_f32 v5, v146, v213, -v5
	v_fmac_f32_e32 v167, v11, v212
	v_add_f32_e32 v2, v2, v6
	v_add_f32_e32 v3, v3, v176
	v_fma_f32 v4, v10, v212, -v4
	v_add_f32_e32 v2, v2, v5
	v_add_f32_e32 v3, v3, v182
	;; [unrolled: 1-line block ×4, first 2 shown]
	s_waitcnt vmcnt(0)
	v_sub_f32_e32 v2, v216, v2
	v_sub_f32_e32 v3, v199, v3
	buffer_store_dword v2, off, s[0:3], 0 offset:184
	buffer_store_dword v3, off, s[0:3], 0 offset:188
	v_cmpx_lt_u32_e32 22, v0
	s_cbranch_execz .LBB126_347
; %bb.346:
	s_clause 0x1
	buffer_load_dword v2, off, s[0:3], 0 offset:176
	buffer_load_dword v3, off, s[0:3], 0 offset:180
	buffer_store_dword v1, off, s[0:3], 0 offset:176
	buffer_store_dword v1, off, s[0:3], 0 offset:180
	s_waitcnt vmcnt(0)
	ds_write_b64 v139, v[2:3]
.LBB126_347:
	s_or_b32 exec_lo, exec_lo, s4
	s_waitcnt lgkmcnt(0)
	s_waitcnt_vscnt null, 0x0
	s_barrier
	buffer_gl0_inv
	s_clause 0x23
	buffer_load_dword v10, off, s[0:3], 0 offset:188
	buffer_load_dword v11, off, s[0:3], 0 offset:196
	buffer_load_dword v12, off, s[0:3], 0 offset:200
	buffer_load_dword v156, off, s[0:3], 0 offset:192
	buffer_load_dword v157, off, s[0:3], 0 offset:184
	buffer_load_dword v158, off, s[0:3], 0 offset:204
	buffer_load_dword v159, off, s[0:3], 0 offset:212
	buffer_load_dword v160, off, s[0:3], 0 offset:220
	buffer_load_dword v161, off, s[0:3], 0 offset:228
	buffer_load_dword v162, off, s[0:3], 0 offset:232
	buffer_load_dword v163, off, s[0:3], 0 offset:224
	buffer_load_dword v164, off, s[0:3], 0 offset:216
	buffer_load_dword v165, off, s[0:3], 0 offset:208
	buffer_load_dword v166, off, s[0:3], 0 offset:236
	buffer_load_dword v167, off, s[0:3], 0 offset:244
	buffer_load_dword v168, off, s[0:3], 0 offset:252
	buffer_load_dword v169, off, s[0:3], 0 offset:260
	buffer_load_dword v170, off, s[0:3], 0 offset:264
	buffer_load_dword v171, off, s[0:3], 0 offset:256
	buffer_load_dword v172, off, s[0:3], 0 offset:248
	buffer_load_dword v173, off, s[0:3], 0 offset:240
	buffer_load_dword v174, off, s[0:3], 0 offset:268
	buffer_load_dword v175, off, s[0:3], 0 offset:276
	buffer_load_dword v176, off, s[0:3], 0 offset:284
	buffer_load_dword v177, off, s[0:3], 0 offset:292
	buffer_load_dword v178, off, s[0:3], 0 offset:296
	buffer_load_dword v179, off, s[0:3], 0 offset:288
	buffer_load_dword v180, off, s[0:3], 0 offset:280
	buffer_load_dword v181, off, s[0:3], 0 offset:272
	buffer_load_dword v182, off, s[0:3], 0 offset:300
	buffer_load_dword v183, off, s[0:3], 0 offset:308
	buffer_load_dword v184, off, s[0:3], 0 offset:328
	buffer_load_dword v185, off, s[0:3], 0 offset:320
	buffer_load_dword v186, off, s[0:3], 0 offset:312
	buffer_load_dword v187, off, s[0:3], 0 offset:304
	buffer_load_dword v188, off, s[0:3], 0 offset:316
	ds_read2_b64 v[2:5], v1 offset0:87 offset1:88
	s_clause 0x1
	buffer_load_dword v189, off, s[0:3], 0 offset:324
	buffer_load_dword v190, off, s[0:3], 0 offset:332
	ds_read2_b64 v[6:9], v1 offset0:89 offset1:90
	ds_read2_b64 v[140:143], v1 offset0:91 offset1:92
	s_clause 0x7
	buffer_load_dword v191, off, s[0:3], 0 offset:340
	buffer_load_dword v192, off, s[0:3], 0 offset:348
	;; [unrolled: 1-line block ×8, first 2 shown]
	ds_read2_b64 v[144:147], v1 offset0:93 offset1:94
	ds_read2_b64 v[148:151], v1 offset0:95 offset1:96
	;; [unrolled: 1-line block ×3, first 2 shown]
	buffer_load_dword v201, off, s[0:3], 0 offset:180
	s_mov_b32 s4, exec_lo
	s_waitcnt vmcnt(46) lgkmcnt(5)
	v_mul_f32_e32 v199, v3, v10
	v_mul_f32_e32 v10, v2, v10
	s_waitcnt vmcnt(45)
	v_mul_f32_e32 v200, v4, v11
	v_mul_f32_e32 v11, v5, v11
	s_waitcnt vmcnt(42)
	v_fma_f32 v199, v2, v157, -v199
	v_fmac_f32_e32 v10, v3, v157
	v_fmac_f32_e32 v200, v5, v156
	v_fma_f32 v11, v4, v156, -v11
	s_waitcnt vmcnt(41) lgkmcnt(4)
	v_mul_f32_e32 v156, v6, v158
	v_mul_f32_e32 v157, v7, v158
	s_waitcnt vmcnt(40)
	v_mul_f32_e32 v158, v8, v159
	v_mul_f32_e32 v159, v9, v159
	s_waitcnt vmcnt(39) lgkmcnt(3)
	v_mul_f32_e32 v202, v140, v160
	v_mul_f32_e32 v160, v141, v160
	v_fmac_f32_e32 v156, v7, v12
	v_fma_f32 v12, v6, v12, -v157
	s_waitcnt vmcnt(38)
	v_mul_f32_e32 v157, v142, v161
	v_mul_f32_e32 v6, v143, v161
	ds_read2_b64 v[2:5], v1 offset0:99 offset1:100
	s_waitcnt vmcnt(34)
	v_fmac_f32_e32 v158, v9, v165
	v_fma_f32 v159, v8, v165, -v159
	v_fmac_f32_e32 v202, v141, v164
	v_fma_f32 v140, v140, v164, -v160
	v_fmac_f32_e32 v157, v143, v163
	v_fma_f32 v141, v142, v163, -v6
	s_clause 0x7
	buffer_load_dword v160, off, s[0:3], 0 offset:372
	buffer_load_dword v161, off, s[0:3], 0 offset:380
	;; [unrolled: 1-line block ×8, first 2 shown]
	s_waitcnt vmcnt(41) lgkmcnt(3)
	v_mul_f32_e32 v6, v145, v166
	s_waitcnt vmcnt(40)
	v_mul_f32_e32 v7, v147, v167
	v_mul_f32_e32 v142, v144, v166
	;; [unrolled: 1-line block ×3, first 2 shown]
	s_waitcnt vmcnt(39) lgkmcnt(2)
	v_mul_f32_e32 v166, v148, v168
	v_fma_f32 v144, v144, v162, -v6
	s_waitcnt vmcnt(34)
	v_fma_f32 v146, v146, v173, -v7
	ds_read2_b64 v[6:9], v1 offset0:101 offset1:102
	v_mul_f32_e32 v167, v149, v168
	v_fmac_f32_e32 v142, v145, v162
	v_mul_f32_e32 v145, v150, v169
	v_mul_f32_e32 v162, v151, v169
	v_fmac_f32_e32 v143, v147, v173
	v_fmac_f32_e32 v166, v149, v172
	v_fma_f32 v147, v148, v172, -v167
	v_fmac_f32_e32 v145, v151, v171
	v_fma_f32 v148, v150, v171, -v162
	s_waitcnt vmcnt(33) lgkmcnt(2)
	v_mul_f32_e32 v149, v152, v174
	v_mul_f32_e32 v150, v153, v174
	s_waitcnt vmcnt(32)
	v_mul_f32_e32 v151, v154, v175
	s_waitcnt vmcnt(31) lgkmcnt(1)
	v_mul_f32_e32 v172, v2, v176
	v_mul_f32_e32 v173, v3, v176
	;; [unrolled: 1-line block ×3, first 2 shown]
	v_fmac_f32_e32 v149, v153, v170
	v_fma_f32 v150, v152, v170, -v150
	s_waitcnt vmcnt(30)
	v_mul_f32_e32 v152, v4, v177
	v_mul_f32_e32 v153, v5, v177
	s_waitcnt vmcnt(26)
	v_fmac_f32_e32 v151, v155, v181
	v_fmac_f32_e32 v172, v3, v180
	v_fma_f32 v155, v2, v180, -v173
	s_waitcnt vmcnt(25) lgkmcnt(0)
	v_mul_f32_e32 v180, v6, v182
	v_mul_f32_e32 v2, v7, v182
	v_add_f32_e32 v3, 0, v199
	s_clause 0x3
	buffer_load_dword v162, off, s[0:3], 0 offset:404
	buffer_load_dword v167, off, s[0:3], 0 offset:412
	;; [unrolled: 1-line block ×4, first 2 shown]
	v_fma_f32 v154, v154, v181, -v171
	s_clause 0x3
	buffer_load_dword v170, off, s[0:3], 0 offset:436
	buffer_load_dword v171, off, s[0:3], 0 offset:444
	buffer_load_dword v174, off, s[0:3], 0 offset:452
	buffer_load_dword v175, off, s[0:3], 0 offset:460
	v_fmac_f32_e32 v152, v5, v179
	v_fma_f32 v153, v4, v179, -v153
	s_clause 0x3
	buffer_load_dword v173, off, s[0:3], 0 offset:468
	buffer_load_dword v176, off, s[0:3], 0 offset:476
	;; [unrolled: 1-line block ×4, first 2 shown]
	v_add_f32_e32 v4, 0, v10
	buffer_load_dword v10, off, s[0:3], 0 offset:500
	v_fmac_f32_e32 v180, v7, v178
	v_fma_f32 v178, v6, v178, -v2
	v_add_f32_e32 v2, v3, v11
	s_clause 0x3
	buffer_load_dword v11, off, s[0:3], 0 offset:424
	buffer_load_dword v181, off, s[0:3], 0 offset:416
	;; [unrolled: 1-line block ×4, first 2 shown]
	v_add_f32_e32 v6, v4, v200
	v_add_f32_e32 v7, v2, v12
	s_waitcnt vmcnt(41)
	v_mul_f32_e32 v2, v9, v183
	v_mul_f32_e32 v12, v8, v183
	v_add_f32_e32 v6, v6, v156
	v_add_f32_e32 v7, v7, v159
	s_waitcnt vmcnt(37)
	v_fma_f32 v183, v8, v187, -v2
	ds_read2_b64 v[2:5], v1 offset0:103 offset1:104
	v_fmac_f32_e32 v12, v9, v187
	s_clause 0x3
	buffer_load_dword v187, off, s[0:3], 0 offset:456
	buffer_load_dword v200, off, s[0:3], 0 offset:448
	;; [unrolled: 1-line block ×4, first 2 shown]
	v_add_f32_e32 v7, v7, v140
	v_add_f32_e32 v6, v6, v158
	;; [unrolled: 1-line block ×6, first 2 shown]
	ds_read2_b64 v[6:9], v1 offset0:105 offset1:106
	v_add_f32_e32 v141, v141, v142
	s_waitcnt vmcnt(40) lgkmcnt(1)
	v_mul_f32_e32 v156, v2, v188
	v_mul_f32_e32 v144, v3, v188
	s_waitcnt vmcnt(39)
	v_mul_f32_e32 v158, v4, v189
	v_fmac_f32_e32 v156, v3, v186
	v_fma_f32 v157, v2, v186, -v144
	s_clause 0x4
	buffer_load_dword v186, off, s[0:3], 0 offset:488
	buffer_load_dword v188, off, s[0:3], 0 offset:480
	;; [unrolled: 1-line block ×5, first 2 shown]
	v_add_f32_e32 v3, v141, v143
	v_add_f32_e32 v2, v140, v146
	v_mul_f32_e32 v140, v5, v189
	v_fmac_f32_e32 v158, v5, v185
	v_add_f32_e32 v3, v3, v166
	buffer_load_dword v166, off, s[0:3], 0 offset:176
	v_add_f32_e32 v2, v2, v147
	v_fma_f32 v159, v4, v185, -v140
	s_waitcnt vmcnt(44) lgkmcnt(0)
	v_mul_f32_e32 v185, v6, v190
	v_add_f32_e32 v141, v3, v145
	v_mul_f32_e32 v146, v7, v190
	v_add_f32_e32 v2, v2, v148
	s_waitcnt vmcnt(43)
	v_mul_f32_e32 v189, v8, v191
	v_mul_f32_e32 v147, v9, v191
	v_add_f32_e32 v145, v141, v149
	ds_read2_b64 v[140:143], v1 offset0:109 offset1:110
	v_add_f32_e32 v144, v2, v150
	ds_read2_b64 v[2:5], v1 offset0:107 offset1:108
	v_fmac_f32_e32 v185, v7, v184
	v_add_f32_e32 v145, v145, v151
	v_fma_f32 v184, v6, v184, -v146
	v_add_f32_e32 v144, v144, v154
	s_waitcnt vmcnt(36)
	v_fmac_f32_e32 v189, v9, v198
	v_fma_f32 v190, v8, v198, -v147
	v_add_f32_e32 v149, v145, v172
	v_add_f32_e32 v148, v144, v155
	ds_read2_b64 v[6:9], v1 offset0:111 offset1:112
	ds_read2_b64 v[144:147], v1 offset0:113 offset1:114
	v_add_f32_e32 v149, v149, v152
	v_add_f32_e32 v148, v148, v153
	;; [unrolled: 1-line block ×3, first 2 shown]
	s_waitcnt lgkmcnt(3)
	v_mul_f32_e32 v152, v141, v194
	v_add_f32_e32 v148, v148, v178
	v_mul_f32_e32 v178, v140, v194
	s_waitcnt lgkmcnt(2)
	v_mul_f32_e32 v150, v3, v192
	v_add_f32_e32 v12, v149, v12
	v_mul_f32_e32 v172, v2, v192
	v_add_f32_e32 v153, v148, v183
	v_mul_f32_e32 v151, v5, v193
	v_fma_f32 v192, v2, v197, -v150
	v_add_f32_e32 v12, v12, v156
	v_mul_f32_e32 v191, v4, v193
	v_add_f32_e32 v157, v153, v157
	v_fmac_f32_e32 v172, v3, v197
	v_fma_f32 v193, v4, v196, -v151
	v_add_f32_e32 v12, v12, v158
	v_fmac_f32_e32 v191, v5, v196
	v_add_f32_e32 v156, v157, v159
	v_fmac_f32_e32 v178, v141, v195
	ds_read2_b64 v[2:5], v1 offset0:115 offset1:116
	ds_read2_b64 v[148:151], v1 offset0:117 offset1:118
	v_add_f32_e32 v12, v12, v185
	v_add_f32_e32 v12, v12, v189
	;; [unrolled: 1-line block ×5, first 2 shown]
	s_waitcnt vmcnt(34)
	v_mul_f32_e32 v180, v142, v160
	s_waitcnt vmcnt(33) lgkmcnt(3)
	v_mul_f32_e32 v194, v6, v161
	v_mul_f32_e32 v157, v7, v161
	;; [unrolled: 1-line block ×3, first 2 shown]
	v_fma_f32 v160, v140, v195, -v152
	s_waitcnt vmcnt(32)
	v_mul_f32_e32 v195, v8, v163
	s_waitcnt vmcnt(28)
	v_fmac_f32_e32 v194, v7, v204
	v_add_f32_e32 v7, v156, v184
	s_waitcnt vmcnt(27)
	v_fma_f32 v183, v142, v205, -v154
	v_fmac_f32_e32 v180, v143, v205
	v_mul_f32_e32 v158, v9, v163
	v_fma_f32 v161, v6, v204, -v157
	v_add_f32_e32 v184, v7, v190
	ds_read2_b64 v[140:143], v1 offset0:119 offset1:120
	ds_read2_b64 v[152:155], v1 offset0:121 offset1:122
	v_add_f32_e32 v12, v12, v180
	v_fmac_f32_e32 v195, v9, v203
	v_fma_f32 v163, v8, v203, -v158
	v_add_f32_e32 v184, v184, v192
	ds_read2_b64 v[6:9], v1 offset0:123 offset1:124
	ds_read2_b64 v[156:159], v1 offset0:125 offset1:126
	s_waitcnt lgkmcnt(6)
	v_mul_f32_e32 v1, v144, v164
	v_mul_f32_e32 v164, v145, v164
	v_add_f32_e32 v12, v12, v194
	v_add_f32_e32 v184, v184, v193
	v_fmac_f32_e32 v1, v145, v165
	v_fma_f32 v144, v144, v165, -v164
	v_add_f32_e32 v12, v12, v195
	v_add_f32_e32 v160, v184, v160
	;; [unrolled: 1-line block ×5, first 2 shown]
	s_waitcnt vmcnt(26)
	v_mul_f32_e32 v172, v146, v162
	v_mul_f32_e32 v162, v147, v162
	s_waitcnt vmcnt(25) lgkmcnt(5)
	v_mul_f32_e32 v185, v2, v167
	s_waitcnt vmcnt(24)
	v_mul_f32_e32 v12, v5, v168
	v_add_f32_e32 v160, v160, v163
	v_mul_f32_e32 v163, v3, v167
	v_mul_f32_e32 v189, v4, v168
	s_waitcnt vmcnt(23) lgkmcnt(4)
	v_mul_f32_e32 v190, v148, v169
	s_waitcnt vmcnt(22)
	v_mul_f32_e32 v184, v150, v170
	v_add_f32_e32 v144, v160, v144
	s_waitcnt vmcnt(21) lgkmcnt(3)
	v_mul_f32_e32 v178, v140, v171
	s_waitcnt vmcnt(20)
	v_mul_f32_e32 v191, v142, v174
	s_waitcnt vmcnt(12)
	v_fma_f32 v4, v4, v181, -v12
	s_waitcnt vmcnt(11)
	v_fmac_f32_e32 v185, v3, v182
	s_waitcnt vmcnt(10)
	v_fma_f32 v146, v146, v199, -v162
	v_fmac_f32_e32 v172, v147, v199
	v_fma_f32 v2, v2, v182, -v163
	v_fmac_f32_e32 v189, v5, v181
	v_fmac_f32_e32 v190, v149, v11
	v_add_f32_e32 v3, v144, v146
	v_add_f32_e32 v1, v1, v172
	v_mul_f32_e32 v144, v149, v169
	s_waitcnt lgkmcnt(2)
	v_mul_f32_e32 v183, v152, v175
	v_mul_f32_e32 v180, v154, v173
	v_add_f32_e32 v2, v3, v2
	v_add_f32_e32 v1, v1, v185
	v_mul_f32_e32 v3, v151, v170
	v_fma_f32 v5, v148, v11, -v144
	s_waitcnt vmcnt(6)
	v_fmac_f32_e32 v184, v151, v207
	v_add_f32_e32 v2, v2, v4
	v_add_f32_e32 v1, v1, v189
	v_mul_f32_e32 v4, v141, v171
	v_fma_f32 v3, v150, v207, -v3
	v_fmac_f32_e32 v178, v141, v206
	v_add_f32_e32 v2, v2, v5
	v_add_f32_e32 v1, v1, v190
	v_mul_f32_e32 v5, v143, v174
	v_fma_f32 v4, v140, v206, -v4
	;; [unrolled: 5-line block ×4, first 2 shown]
	s_waitcnt lgkmcnt(1)
	v_mul_f32_e32 v192, v6, v176
	v_add_f32_e32 v2, v2, v5
	v_add_f32_e32 v1, v1, v191
	v_mul_f32_e32 v5, v7, v176
	s_waitcnt vmcnt(2)
	v_fma_f32 v4, v154, v208, -v4
	v_fmac_f32_e32 v180, v155, v208
	v_add_f32_e32 v2, v2, v3
	v_add_f32_e32 v1, v1, v183
	v_mul_f32_e32 v3, v9, v177
	v_fma_f32 v5, v6, v202, -v5
	v_mul_f32_e32 v161, v8, v177
	v_add_f32_e32 v2, v2, v4
	v_fmac_f32_e32 v192, v7, v202
	v_add_f32_e32 v1, v1, v180
	s_waitcnt lgkmcnt(0)
	v_mul_f32_e32 v4, v157, v179
	v_fma_f32 v3, v8, v188, -v3
	v_add_f32_e32 v2, v2, v5
	v_mul_f32_e32 v193, v156, v179
	v_fmac_f32_e32 v161, v9, v188
	v_add_f32_e32 v1, v1, v192
	v_mul_f32_e32 v5, v159, v10
	v_fma_f32 v4, v156, v186, -v4
	v_add_f32_e32 v2, v2, v3
	v_mul_f32_e32 v145, v158, v10
	v_fmac_f32_e32 v193, v157, v186
	v_add_f32_e32 v1, v1, v161
	s_waitcnt vmcnt(1)
	v_fma_f32 v3, v158, v209, -v5
	v_add_f32_e32 v2, v2, v4
	v_fmac_f32_e32 v145, v159, v209
	v_add_f32_e32 v1, v1, v193
	v_add_f32_e32 v2, v2, v3
	;; [unrolled: 1-line block ×3, first 2 shown]
	s_waitcnt vmcnt(0)
	v_sub_f32_e32 v2, v166, v2
	v_sub_f32_e32 v1, v201, v1
	buffer_store_dword v2, off, s[0:3], 0 offset:176
	buffer_store_dword v1, off, s[0:3], 0 offset:180
	v_cmpx_lt_u32_e32 21, v0
	s_cbranch_execz .LBB126_349
; %bb.348:
	s_clause 0x1
	buffer_load_dword v1, off, s[0:3], 0 offset:168
	buffer_load_dword v2, off, s[0:3], 0 offset:172
	v_mov_b32_e32 v3, 0
	buffer_store_dword v3, off, s[0:3], 0 offset:168
	buffer_store_dword v3, off, s[0:3], 0 offset:172
	s_waitcnt vmcnt(0)
	ds_write_b64 v139, v[1:2]
.LBB126_349:
	s_or_b32 exec_lo, exec_lo, s4
	s_waitcnt lgkmcnt(0)
	s_waitcnt_vscnt null, 0x0
	s_barrier
	buffer_gl0_inv
	s_clause 0x23
	buffer_load_dword v143, off, s[0:3], 0 offset:180
	buffer_load_dword v142, off, s[0:3], 0 offset:188
	;; [unrolled: 1-line block ×36, first 2 shown]
	v_mov_b32_e32 v140, 0
	s_mov_b32 s4, exec_lo
	ds_read_b128 v[5:8], v140 offset:688
	s_clause 0x1
	buffer_load_dword v185, off, s[0:3], 0 offset:316
	buffer_load_dword v184, off, s[0:3], 0 offset:324
	ds_read_b128 v[1:4], v140 offset:704
	s_clause 0x8
	buffer_load_dword v182, off, s[0:3], 0 offset:332
	buffer_load_dword v168, off, s[0:3], 0 offset:340
	;; [unrolled: 1-line block ×9, first 2 shown]
	ds_read_b128 v[9:12], v140 offset:720
	ds_read_b128 v[188:191], v140 offset:736
	buffer_load_dword v200, off, s[0:3], 0 offset:172
	ds_read_b128 v[192:195], v140 offset:752
	ds_read_b128 v[196:199], v140 offset:768
	s_waitcnt vmcnt(47) lgkmcnt(5)
	v_mul_f32_e32 v201, v5, v143
	v_mul_f32_e32 v143, v6, v143
	s_waitcnt vmcnt(46)
	v_mul_f32_e32 v202, v7, v142
	v_mul_f32_e32 v142, v8, v142
	s_waitcnt vmcnt(43)
	v_fmac_f32_e32 v201, v6, v148
	v_fma_f32 v143, v5, v148, -v143
	s_waitcnt vmcnt(42) lgkmcnt(4)
	v_mul_f32_e32 v148, v1, v147
	v_mul_f32_e32 v147, v2, v147
	v_fmac_f32_e32 v202, v8, v145
	v_fma_f32 v142, v7, v145, -v142
	s_waitcnt vmcnt(41)
	v_mul_f32_e32 v145, v3, v146
	v_mul_f32_e32 v146, v4, v146
	v_fmac_f32_e32 v148, v2, v141
	v_fma_f32 v141, v1, v141, -v147
	s_waitcnt vmcnt(40) lgkmcnt(3)
	v_mul_f32_e32 v147, v9, v144
	v_mul_f32_e32 v1, v10, v144
	s_waitcnt vmcnt(36)
	v_fma_f32 v144, v3, v155, -v146
	s_waitcnt vmcnt(35)
	v_mul_f32_e32 v146, v11, v154
	v_mul_f32_e32 v2, v12, v154
	ds_read_b128 v[5:8], v140 offset:784
	v_fmac_f32_e32 v145, v4, v155
	v_fmac_f32_e32 v147, v10, v151
	;; [unrolled: 1-line block ×3, first 2 shown]
	v_fma_f32 v10, v11, v150, -v2
	s_clause 0x6
	buffer_load_dword v150, off, s[0:3], 0 offset:360
	buffer_load_dword v155, off, s[0:3], 0 offset:368
	;; [unrolled: 1-line block ×7, first 2 shown]
	s_waitcnt vmcnt(41) lgkmcnt(3)
	v_mul_f32_e32 v3, v189, v153
	s_waitcnt vmcnt(40)
	v_mul_f32_e32 v4, v191, v152
	v_fma_f32 v9, v9, v151, -v1
	v_mul_f32_e32 v154, v188, v153
	v_mul_f32_e32 v153, v190, v152
	v_fma_f32 v11, v188, v149, -v3
	s_waitcnt vmcnt(36)
	v_fma_f32 v12, v190, v167, -v4
	ds_read_b128 v[1:4], v140 offset:800
	v_fmac_f32_e32 v154, v189, v149
	s_waitcnt vmcnt(35) lgkmcnt(3)
	v_mul_f32_e32 v149, v192, v164
	v_mul_f32_e32 v151, v193, v164
	s_waitcnt vmcnt(34)
	v_mul_f32_e32 v152, v194, v163
	v_mul_f32_e32 v163, v195, v163
	v_fmac_f32_e32 v153, v191, v167
	s_waitcnt vmcnt(33) lgkmcnt(2)
	v_mul_f32_e32 v164, v196, v162
	v_mul_f32_e32 v162, v197, v162
	v_fmac_f32_e32 v149, v193, v159
	v_fma_f32 v151, v192, v159, -v151
	s_waitcnt vmcnt(32)
	v_mul_f32_e32 v159, v198, v160
	v_mul_f32_e32 v160, v199, v160
	v_fmac_f32_e32 v152, v195, v158
	v_fma_f32 v158, v194, v158, -v163
	s_waitcnt vmcnt(31) lgkmcnt(1)
	v_mul_f32_e32 v163, v5, v169
	v_mul_f32_e32 v167, v6, v169
	s_waitcnt vmcnt(26)
	v_mul_f32_e32 v193, v7, v179
	v_mul_f32_e32 v179, v8, v179
	v_fmac_f32_e32 v164, v197, v157
	v_fma_f32 v157, v196, v157, -v162
	v_fmac_f32_e32 v159, v199, v181
	v_fma_f32 v160, v198, v181, -v160
	s_clause 0x7
	buffer_load_dword v162, off, s[0:3], 0 offset:396
	buffer_load_dword v169, off, s[0:3], 0 offset:404
	;; [unrolled: 1-line block ×8, first 2 shown]
	v_fmac_f32_e32 v163, v6, v178
	v_fma_f32 v167, v5, v178, -v167
	v_fmac_f32_e32 v193, v8, v176
	v_fma_f32 v176, v7, v176, -v179
	s_waitcnt vmcnt(33) lgkmcnt(0)
	v_mul_f32_e32 v179, v1, v177
	v_mul_f32_e32 v5, v2, v177
	v_add_f32_e32 v6, 0, v201
	s_clause 0x3
	buffer_load_dword v178, off, s[0:3], 0 offset:428
	buffer_load_dword v194, off, s[0:3], 0 offset:436
	;; [unrolled: 1-line block ×4, first 2 shown]
	v_fmac_f32_e32 v179, v2, v174
	v_fma_f32 v174, v1, v174, -v5
	v_add_f32_e32 v1, 0, v143
	v_add_f32_e32 v2, v6, v202
	s_clause 0x4
	buffer_load_dword v196, off, s[0:3], 0 offset:460
	buffer_load_dword v197, off, s[0:3], 0 offset:468
	;; [unrolled: 1-line block ×5, first 2 shown]
	v_add_f32_e32 v1, v1, v142
	v_add_f32_e32 v5, v2, v148
	s_waitcnt vmcnt(41)
	v_mul_f32_e32 v148, v3, v171
	v_mul_f32_e32 v2, v4, v171
	buffer_load_dword v171, off, s[0:3], 0 offset:500
	v_add_f32_e32 v6, v1, v141
	v_add_f32_e32 v5, v5, v145
	s_waitcnt vmcnt(38)
	v_fmac_f32_e32 v148, v4, v187
	v_fma_f32 v187, v3, v187, -v2
	ds_read_b128 v[1:4], v140 offset:816
	v_add_f32_e32 v6, v6, v144
	s_clause 0x3
	buffer_load_dword v202, off, s[0:3], 0 offset:448
	buffer_load_dword v208, off, s[0:3], 0 offset:440
	;; [unrolled: 1-line block ×4, first 2 shown]
	v_add_f32_e32 v5, v5, v147
	v_add_f32_e32 v6, v6, v9
	;; [unrolled: 1-line block ×5, first 2 shown]
	ds_read_b128 v[5:8], v140 offset:832
	v_add_f32_e32 v9, v9, v11
	v_add_f32_e32 v10, v10, v153
	s_waitcnt vmcnt(41) lgkmcnt(1)
	v_mul_f32_e32 v145, v1, v183
	v_mul_f32_e32 v11, v2, v183
	v_fmac_f32_e32 v145, v2, v180
	v_fma_f32 v146, v1, v180, -v11
	s_clause 0x6
	buffer_load_dword v180, off, s[0:3], 0 offset:480
	buffer_load_dword v183, off, s[0:3], 0 offset:472
	;; [unrolled: 1-line block ×7, first 2 shown]
	v_add_f32_e32 v1, v9, v12
	v_add_f32_e32 v2, v10, v149
	s_waitcnt vmcnt(47)
	v_mul_f32_e32 v149, v3, v185
	v_mul_f32_e32 v9, v4, v185
	s_waitcnt vmcnt(46) lgkmcnt(0)
	v_mul_f32_e32 v153, v5, v184
	v_add_f32_e32 v1, v1, v151
	v_add_f32_e32 v2, v2, v152
	v_fmac_f32_e32 v149, v4, v175
	v_fma_f32 v151, v3, v175, -v9
	v_mul_f32_e32 v143, v6, v184
	v_add_f32_e32 v1, v1, v158
	v_add_f32_e32 v2, v2, v164
	s_waitcnt vmcnt(45)
	v_mul_f32_e32 v154, v7, v182
	v_mul_f32_e32 v144, v8, v182
	v_fmac_f32_e32 v153, v6, v165
	v_add_f32_e32 v10, v1, v157
	v_add_f32_e32 v141, v2, v159
	ds_read_b128 v[1:4], v140 offset:848
	v_fma_f32 v157, v5, v165, -v143
	s_waitcnt vmcnt(38)
	v_fmac_f32_e32 v154, v8, v186
	v_add_f32_e32 v142, v10, v160
	ds_read_b128 v[9:12], v140 offset:864
	v_add_f32_e32 v141, v141, v163
	v_fma_f32 v158, v7, v186, -v144
	v_add_f32_e32 v142, v142, v167
	v_add_f32_e32 v147, v141, v193
	;; [unrolled: 1-line block ×3, first 2 shown]
	ds_read_b128 v[5:8], v140 offset:880
	ds_read_b128 v[141:144], v140 offset:896
	v_add_f32_e32 v147, v147, v179
	v_add_f32_e32 v152, v152, v174
	;; [unrolled: 1-line block ×3, first 2 shown]
	s_waitcnt lgkmcnt(3)
	v_mul_f32_e32 v159, v1, v168
	v_mul_f32_e32 v160, v2, v168
	v_add_f32_e32 v148, v152, v187
	v_mul_f32_e32 v163, v3, v166
	v_mul_f32_e32 v164, v4, v166
	s_waitcnt lgkmcnt(2)
	v_mul_f32_e32 v165, v9, v173
	v_mul_f32_e32 v152, v10, v173
	v_add_f32_e32 v167, v147, v145
	v_add_f32_e32 v168, v148, v146
	v_fmac_f32_e32 v163, v4, v170
	v_fma_f32 v164, v3, v170, -v164
	v_fmac_f32_e32 v165, v10, v156
	v_fma_f32 v170, v9, v156, -v152
	v_add_f32_e32 v156, v167, v149
	v_add_f32_e32 v167, v168, v151
	v_fma_f32 v160, v1, v172, -v160
	v_fmac_f32_e32 v159, v2, v172
	s_waitcnt vmcnt(37)
	v_mul_f32_e32 v166, v11, v161
	v_add_f32_e32 v153, v156, v153
	v_add_f32_e32 v156, v167, v157
	v_mul_f32_e32 v161, v12, v161
	ds_read_b128 v[1:4], v140 offset:912
	ds_read_b128 v[145:148], v140 offset:928
	s_waitcnt vmcnt(35)
	v_fma_f32 v161, v11, v150, -v161
	v_fmac_f32_e32 v166, v12, v150
	s_waitcnt vmcnt(33) lgkmcnt(3)
	v_mul_f32_e32 v168, v5, v203
	v_mul_f32_e32 v157, v6, v203
	s_waitcnt vmcnt(31)
	v_mul_f32_e32 v172, v8, v205
	v_mul_f32_e32 v167, v7, v205
	s_waitcnt vmcnt(30) lgkmcnt(2)
	v_mul_f32_e32 v174, v142, v206
	v_fmac_f32_e32 v168, v6, v155
	v_add_f32_e32 v6, v153, v154
	v_add_f32_e32 v153, v156, v158
	v_fma_f32 v173, v5, v155, -v157
	v_fma_f32 v172, v7, v204, -v172
	v_fmac_f32_e32 v167, v8, v204
	v_add_f32_e32 v159, v6, v159
	v_add_f32_e32 v160, v153, v160
	ds_read_b128 v[9:12], v140 offset:944
	ds_read_b128 v[149:152], v140 offset:960
	;; [unrolled: 1-line block ×4, first 2 shown]
	ds_read_b64 v[157:158], v140 offset:1008
	v_add_f32_e32 v159, v159, v163
	v_add_f32_e32 v160, v160, v164
	v_mul_f32_e32 v163, v141, v206
	s_waitcnt vmcnt(29)
	v_fma_f32 v141, v141, v207, -v174
	v_add_f32_e32 v159, v159, v165
	v_add_f32_e32 v160, v160, v170
	v_fmac_f32_e32 v163, v142, v207
	v_add_f32_e32 v159, v159, v166
	v_add_f32_e32 v160, v160, v161
	s_waitcnt vmcnt(28)
	v_mul_f32_e32 v164, v143, v162
	v_mul_f32_e32 v162, v144, v162
	s_waitcnt vmcnt(27) lgkmcnt(6)
	v_mul_f32_e32 v165, v1, v169
	v_add_f32_e32 v159, v159, v168
	v_add_f32_e32 v160, v160, v173
	v_mul_f32_e32 v169, v2, v169
	s_waitcnt vmcnt(26)
	v_mul_f32_e32 v170, v3, v181
	s_waitcnt vmcnt(21)
	v_fma_f32 v143, v143, v192, -v162
	v_add_f32_e32 v159, v159, v167
	v_add_f32_e32 v160, v160, v172
	v_fmac_f32_e32 v164, v144, v192
	v_mul_f32_e32 v167, v4, v181
	v_fmac_f32_e32 v165, v2, v191
	v_add_f32_e32 v159, v159, v163
	v_add_f32_e32 v141, v160, v141
	v_fma_f32 v1, v1, v191, -v169
	v_fma_f32 v3, v3, v190, -v167
	s_waitcnt lgkmcnt(5)
	v_mul_f32_e32 v142, v145, v188
	v_fmac_f32_e32 v170, v4, v190
	v_add_f32_e32 v2, v141, v143
	v_add_f32_e32 v141, v159, v164
	v_mul_f32_e32 v143, v146, v188
	s_waitcnt vmcnt(20)
	v_mul_f32_e32 v4, v148, v178
	v_mul_f32_e32 v166, v147, v178
	v_add_f32_e32 v1, v2, v1
	v_add_f32_e32 v2, v141, v165
	v_fma_f32 v141, v145, v189, -v143
	v_fmac_f32_e32 v142, v146, v189
	s_waitcnt vmcnt(19) lgkmcnt(4)
	v_mul_f32_e32 v161, v9, v194
	v_add_f32_e32 v1, v1, v3
	v_add_f32_e32 v2, v2, v170
	v_mul_f32_e32 v3, v10, v194
	s_waitcnt vmcnt(18)
	v_mul_f32_e32 v144, v11, v177
	s_waitcnt vmcnt(17) lgkmcnt(3)
	v_mul_f32_e32 v162, v149, v195
	v_add_f32_e32 v1, v1, v141
	s_waitcnt vmcnt(7)
	v_fma_f32 v4, v147, v210, -v4
	v_fmac_f32_e32 v166, v148, v210
	v_add_f32_e32 v2, v2, v142
	v_mul_f32_e32 v141, v12, v177
	v_fma_f32 v3, v9, v209, -v3
	v_add_f32_e32 v1, v1, v4
	v_fmac_f32_e32 v161, v10, v209
	v_add_f32_e32 v2, v2, v166
	v_mul_f32_e32 v4, v150, v195
	v_fma_f32 v9, v11, v208, -v141
	v_add_f32_e32 v1, v1, v3
	;; [unrolled: 5-line block ×3, first 2 shown]
	v_mul_f32_e32 v168, v151, v196
	v_fmac_f32_e32 v162, v150, v202
	v_add_f32_e32 v2, v2, v144
	s_waitcnt lgkmcnt(2)
	v_mul_f32_e32 v9, v6, v197
	v_add_f32_e32 v1, v1, v4
	v_mul_f32_e32 v173, v5, v197
	v_mul_f32_e32 v4, v8, v198
	v_add_f32_e32 v2, v2, v162
	s_waitcnt vmcnt(4)
	v_fma_f32 v5, v5, v211, -v9
	s_waitcnt vmcnt(3)
	v_fma_f32 v3, v151, v212, -v3
	v_fmac_f32_e32 v168, v152, v212
	v_mul_f32_e32 v174, v7, v198
	v_fmac_f32_e32 v173, v6, v211
	v_fma_f32 v4, v7, v183, -v4
	v_add_f32_e32 v1, v1, v3
	v_add_f32_e32 v2, v2, v168
	s_waitcnt lgkmcnt(1)
	v_mul_f32_e32 v3, v154, v199
	v_mul_f32_e32 v172, v153, v199
	v_fmac_f32_e32 v174, v8, v183
	v_add_f32_e32 v1, v1, v5
	v_add_f32_e32 v2, v2, v173
	v_mul_f32_e32 v5, v156, v201
	v_fma_f32 v3, v153, v180, -v3
	v_mul_f32_e32 v175, v155, v201
	v_add_f32_e32 v1, v1, v4
	v_fmac_f32_e32 v172, v154, v180
	v_add_f32_e32 v2, v2, v174
	s_waitcnt lgkmcnt(0)
	v_mul_f32_e32 v4, v158, v171
	s_waitcnt vmcnt(1)
	v_fma_f32 v5, v155, v214, -v5
	v_add_f32_e32 v1, v1, v3
	v_mul_f32_e32 v160, v157, v171
	v_fmac_f32_e32 v175, v156, v214
	v_add_f32_e32 v2, v2, v172
	v_fma_f32 v3, v157, v213, -v4
	v_add_f32_e32 v1, v1, v5
	v_fmac_f32_e32 v160, v158, v213
	v_add_f32_e32 v2, v2, v175
	v_add_f32_e32 v1, v1, v3
	;; [unrolled: 1-line block ×3, first 2 shown]
	s_waitcnt vmcnt(0)
	v_sub_f32_e32 v1, v215, v1
	v_sub_f32_e32 v2, v200, v2
	buffer_store_dword v1, off, s[0:3], 0 offset:168
	buffer_store_dword v2, off, s[0:3], 0 offset:172
	v_cmpx_lt_u32_e32 20, v0
	s_cbranch_execz .LBB126_351
; %bb.350:
	s_clause 0x1
	buffer_load_dword v1, off, s[0:3], 0 offset:160
	buffer_load_dword v2, off, s[0:3], 0 offset:164
	buffer_store_dword v140, off, s[0:3], 0 offset:160
	buffer_store_dword v140, off, s[0:3], 0 offset:164
	s_waitcnt vmcnt(0)
	ds_write_b64 v139, v[1:2]
.LBB126_351:
	s_or_b32 exec_lo, exec_lo, s4
	s_waitcnt lgkmcnt(0)
	s_waitcnt_vscnt null, 0x0
	s_barrier
	buffer_gl0_inv
	s_clause 0x24
	buffer_load_dword v141, off, s[0:3], 0 offset:172
	buffer_load_dword v142, off, s[0:3], 0 offset:180
	;; [unrolled: 1-line block ×37, first 2 shown]
	ds_read2_b64 v[9:12], v140 offset0:85 offset1:86
	ds_read2_b64 v[5:8], v140 offset0:87 offset1:88
	s_clause 0x8
	buffer_load_dword v186, off, s[0:3], 0 offset:316
	buffer_load_dword v181, off, s[0:3], 0 offset:324
	;; [unrolled: 1-line block ×9, first 2 shown]
	ds_read2_b64 v[1:4], v140 offset0:89 offset1:90
	ds_read2_b64 v[187:190], v140 offset0:91 offset1:92
	;; [unrolled: 1-line block ×4, first 2 shown]
	buffer_load_dword v199, off, s[0:3], 0 offset:164
	s_mov_b32 s4, exec_lo
	s_waitcnt vmcnt(46) lgkmcnt(5)
	v_mul_f32_e32 v200, v9, v141
	s_waitcnt vmcnt(45)
	v_mul_f32_e32 v201, v11, v142
	v_mul_f32_e32 v141, v10, v141
	;; [unrolled: 1-line block ×3, first 2 shown]
	s_waitcnt vmcnt(44) lgkmcnt(4)
	v_mul_f32_e32 v202, v5, v144
	v_mul_f32_e32 v144, v6, v144
	s_waitcnt vmcnt(41)
	v_fmac_f32_e32 v200, v10, v147
	v_fma_f32 v141, v9, v147, -v141
	s_waitcnt vmcnt(40)
	v_mul_f32_e32 v147, v7, v146
	v_mul_f32_e32 v9, v8, v146
	v_fmac_f32_e32 v201, v12, v145
	v_fma_f32 v142, v11, v145, -v142
	s_waitcnt vmcnt(35) lgkmcnt(3)
	v_mul_f32_e32 v145, v1, v154
	v_mul_f32_e32 v154, v2, v154
	v_fmac_f32_e32 v202, v6, v143
	v_fma_f32 v143, v5, v143, -v144
	v_fmac_f32_e32 v147, v8, v157
	v_fma_f32 v144, v7, v157, -v9
	s_waitcnt vmcnt(34)
	v_mul_f32_e32 v146, v3, v155
	v_mul_f32_e32 v155, v4, v155
	s_waitcnt vmcnt(33) lgkmcnt(2)
	v_mul_f32_e32 v157, v187, v153
	v_mul_f32_e32 v153, v188, v153
	v_fmac_f32_e32 v145, v2, v151
	v_fma_f32 v151, v1, v151, -v154
	s_waitcnt vmcnt(32)
	v_mul_f32_e32 v154, v189, v152
	v_mul_f32_e32 v1, v190, v152
	ds_read2_b64 v[5:8], v140 offset0:97 offset1:98
	ds_read2_b64 v[9:12], v140 offset0:99 offset1:100
	v_fmac_f32_e32 v146, v4, v149
	v_fma_f32 v149, v3, v149, -v155
	s_waitcnt vmcnt(31) lgkmcnt(3)
	v_mul_f32_e32 v155, v191, v150
	s_waitcnt vmcnt(30)
	v_mul_f32_e32 v152, v193, v156
	v_mul_f32_e32 v2, v192, v150
	;; [unrolled: 1-line block ×3, first 2 shown]
	v_fmac_f32_e32 v157, v188, v148
	v_fma_f32 v148, v187, v148, -v153
	s_waitcnt vmcnt(26)
	v_fmac_f32_e32 v154, v190, v168
	v_fma_f32 v150, v189, v168, -v1
	s_clause 0x7
	buffer_load_dword v153, off, s[0:3], 0 offset:356
	buffer_load_dword v156, off, s[0:3], 0 offset:360
	;; [unrolled: 1-line block ×8, first 2 shown]
	v_fmac_f32_e32 v155, v192, v163
	v_fmac_f32_e32 v152, v194, v161
	v_fma_f32 v163, v191, v163, -v2
	v_fma_f32 v161, v193, v161, -v3
	ds_read2_b64 v[1:4], v140 offset0:101 offset1:102
	s_waitcnt vmcnt(33) lgkmcnt(3)
	v_mul_f32_e32 v191, v195, v162
	v_mul_f32_e32 v162, v196, v162
	s_waitcnt vmcnt(32)
	v_mul_f32_e32 v193, v197, v160
	v_mul_f32_e32 v160, v198, v160
	buffer_load_dword v192, off, s[0:3], 0 offset:388
	v_fmac_f32_e32 v191, v196, v158
	v_fma_f32 v158, v195, v158, -v162
	s_waitcnt vmcnt(32) lgkmcnt(2)
	v_mul_f32_e32 v162, v5, v159
	s_waitcnt vmcnt(28)
	v_fmac_f32_e32 v193, v198, v174
	v_fma_f32 v160, v197, v174, -v160
	s_waitcnt vmcnt(27)
	v_mul_f32_e32 v174, v7, v173
	v_mul_f32_e32 v159, v6, v159
	;; [unrolled: 1-line block ×3, first 2 shown]
	s_waitcnt vmcnt(26) lgkmcnt(1)
	v_mul_f32_e32 v194, v9, v172
	v_mul_f32_e32 v172, v10, v172
	v_fmac_f32_e32 v162, v6, v171
	v_fmac_f32_e32 v174, v8, v170
	v_fma_f32 v159, v5, v171, -v159
	v_fma_f32 v170, v7, v170, -v173
	s_clause 0x4
	buffer_load_dword v171, off, s[0:3], 0 offset:396
	buffer_load_dword v173, off, s[0:3], 0 offset:408
	;; [unrolled: 1-line block ×5, first 2 shown]
	s_waitcnt vmcnt(30)
	v_mul_f32_e32 v198, v11, v169
	v_mul_f32_e32 v169, v12, v169
	v_fmac_f32_e32 v194, v10, v166
	v_fma_f32 v166, v9, v166, -v172
	s_waitcnt vmcnt(25) lgkmcnt(0)
	v_mul_f32_e32 v172, v1, v184
	v_mul_f32_e32 v9, v2, v184
	ds_read2_b64 v[5:8], v140 offset0:103 offset1:104
	v_fmac_f32_e32 v198, v12, v185
	v_fma_f32 v169, v11, v185, -v169
	s_clause 0x1
	buffer_load_dword v184, off, s[0:3], 0 offset:404
	buffer_load_dword v185, off, s[0:3], 0 offset:412
	v_fmac_f32_e32 v172, v2, v180
	v_fma_f32 v180, v1, v180, -v9
	v_add_f32_e32 v1, 0, v200
	s_waitcnt vmcnt(26)
	v_mul_f32_e32 v204, v3, v182
	v_mul_f32_e32 v10, v4, v182
	s_clause 0x2
	buffer_load_dword v182, off, s[0:3], 0 offset:420
	buffer_load_dword v205, off, s[0:3], 0 offset:428
	;; [unrolled: 1-line block ×3, first 2 shown]
	v_add_f32_e32 v1, v1, v201
	s_clause 0x6
	buffer_load_dword v200, off, s[0:3], 0 offset:444
	buffer_load_dword v207, off, s[0:3], 0 offset:452
	;; [unrolled: 1-line block ×7, first 2 shown]
	v_add_f32_e32 v1, v1, v202
	s_clause 0x4
	buffer_load_dword v202, off, s[0:3], 0 offset:492
	buffer_load_dword v212, off, s[0:3], 0 offset:440
	;; [unrolled: 1-line block ×5, first 2 shown]
	v_add_f32_e32 v2, 0, v141
	v_fmac_f32_e32 v204, v4, v179
	v_add_f32_e32 v1, v1, v147
	v_fma_f32 v179, v3, v179, -v10
	s_waitcnt vmcnt(40) lgkmcnt(0)
	v_mul_f32_e32 v3, v6, v186
	v_add_f32_e32 v2, v2, v142
	v_add_f32_e32 v1, v1, v145
	;; [unrolled: 1-line block ×6, first 2 shown]
	s_clause 0x6
	buffer_load_dword v157, off, s[0:3], 0 offset:472
	buffer_load_dword v216, off, s[0:3], 0 offset:464
	buffer_load_dword v217, off, s[0:3], 0 offset:456
	buffer_load_dword v218, off, s[0:3], 0 offset:448
	buffer_load_dword v219, off, s[0:3], 0 offset:496
	buffer_load_dword v220, off, s[0:3], 0 offset:488
	buffer_load_dword v221, off, s[0:3], 0 offset:480
	v_add_f32_e32 v2, v2, v151
	v_add_f32_e32 v1, v1, v154
	s_waitcnt vmcnt(46)
	v_mul_f32_e32 v154, v7, v181
	v_add_f32_e32 v2, v2, v149
	v_mul_f32_e32 v149, v5, v186
	v_add_f32_e32 v1, v1, v155
	s_waitcnt vmcnt(39)
	v_fmac_f32_e32 v154, v8, v183
	v_add_f32_e32 v2, v2, v148
	v_fmac_f32_e32 v149, v6, v164
	v_add_f32_e32 v1, v1, v152
	v_add_f32_e32 v2, v2, v150
	v_fma_f32 v150, v5, v164, -v3
	v_add_f32_e32 v6, v1, v191
	v_add_f32_e32 v2, v2, v163
	buffer_load_dword v163, off, s[0:3], 0 offset:160
	v_add_f32_e32 v10, v6, v193
	v_add_f32_e32 v2, v2, v161
	;; [unrolled: 1-line block ×4, first 2 shown]
	ds_read2_b64 v[1:4], v140 offset0:105 offset1:106
	v_add_f32_e32 v142, v142, v174
	v_add_f32_e32 v9, v5, v160
	v_mul_f32_e32 v5, v8, v181
	v_add_f32_e32 v141, v9, v159
	v_fma_f32 v155, v7, v183, -v5
	ds_read2_b64 v[5:8], v140 offset0:107 offset1:108
	ds_read2_b64 v[9:12], v140 offset0:109 offset1:110
	v_add_f32_e32 v141, v141, v170
	v_add_f32_e32 v145, v141, v166
	s_waitcnt lgkmcnt(2)
	v_mul_f32_e32 v143, v2, v177
	v_mul_f32_e32 v158, v1, v177
	;; [unrolled: 1-line block ×3, first 2 shown]
	v_fma_f32 v159, v1, v178, -v143
	v_add_f32_e32 v1, v142, v194
	v_fmac_f32_e32 v158, v2, v178
	v_add_f32_e32 v2, v145, v169
	ds_read2_b64 v[141:144], v140 offset0:111 offset1:112
	v_mul_f32_e32 v145, v4, v176
	v_add_f32_e32 v1, v1, v198
	s_waitcnt lgkmcnt(2)
	v_mul_f32_e32 v161, v5, v175
	v_mul_f32_e32 v146, v6, v175
	v_add_f32_e32 v2, v2, v180
	v_fmac_f32_e32 v160, v4, v167
	v_add_f32_e32 v1, v1, v172
	v_fmac_f32_e32 v161, v6, v165
	v_fma_f32 v165, v5, v165, -v146
	v_add_f32_e32 v5, v2, v179
	v_add_f32_e32 v6, v1, v204
	s_waitcnt vmcnt(38)
	v_mul_f32_e32 v162, v7, v153
	v_mul_f32_e32 v151, v8, v153
	s_waitcnt vmcnt(36) lgkmcnt(1)
	v_mul_f32_e32 v164, v9, v168
	v_mul_f32_e32 v152, v10, v168
	v_fma_f32 v153, v3, v167, -v145
	s_waitcnt vmcnt(33) lgkmcnt(0)
	v_mul_f32_e32 v169, v141, v189
	ds_read2_b64 v[1:4], v140 offset0:113 offset1:114
	ds_read2_b64 v[145:148], v140 offset0:115 offset1:116
	v_fmac_f32_e32 v164, v10, v156
	v_add_f32_e32 v10, v5, v150
	v_fma_f32 v167, v9, v156, -v152
	v_add_f32_e32 v9, v6, v149
	s_waitcnt vmcnt(31)
	v_fma_f32 v166, v7, v203, -v151
	v_fmac_f32_e32 v162, v8, v203
	v_add_f32_e32 v10, v10, v155
	v_mul_f32_e32 v155, v12, v188
	v_add_f32_e32 v9, v9, v154
	v_mul_f32_e32 v154, v142, v189
	v_mul_f32_e32 v168, v11, v188
	v_add_f32_e32 v10, v10, v159
	v_fma_f32 v172, v11, v187, -v155
	s_waitcnt vmcnt(30)
	v_mul_f32_e32 v159, v143, v192
	v_fma_f32 v174, v141, v190, -v154
	v_add_f32_e32 v141, v9, v158
	v_add_f32_e32 v158, v10, v153
	v_fmac_f32_e32 v168, v12, v187
	v_mul_f32_e32 v170, v144, v192
	v_fmac_f32_e32 v169, v142, v190
	v_add_f32_e32 v160, v141, v160
	v_add_f32_e32 v158, v158, v165
	s_waitcnt vmcnt(29) lgkmcnt(1)
	v_mul_f32_e32 v165, v2, v171
	ds_read2_b64 v[5:8], v140 offset0:117 offset1:118
	ds_read2_b64 v[149:152], v140 offset0:119 offset1:120
	;; [unrolled: 1-line block ×4, first 2 shown]
	v_add_f32_e32 v160, v160, v161
	v_add_f32_e32 v158, v158, v166
	s_waitcnt vmcnt(25)
	v_fmac_f32_e32 v159, v144, v197
	v_fma_f32 v144, v143, v197, -v170
	v_mul_f32_e32 v170, v1, v171
	v_add_f32_e32 v160, v160, v162
	v_add_f32_e32 v158, v158, v167
	v_fma_f32 v1, v1, v196, -v165
	ds_read2_b64 v[140:143], v140 offset0:125 offset1:126
	s_waitcnt vmcnt(24)
	v_mul_f32_e32 v171, v4, v184
	v_add_f32_e32 v160, v160, v164
	v_add_f32_e32 v158, v158, v172
	v_mul_f32_e32 v161, v3, v184
	v_fmac_f32_e32 v170, v2, v196
	v_fma_f32 v3, v3, v195, -v171
	v_add_f32_e32 v160, v160, v168
	v_add_f32_e32 v158, v158, v174
	s_waitcnt vmcnt(23) lgkmcnt(5)
	v_mul_f32_e32 v166, v145, v185
	v_fmac_f32_e32 v161, v4, v195
	s_waitcnt vmcnt(22)
	v_mul_f32_e32 v162, v147, v182
	v_add_f32_e32 v160, v160, v169
	v_add_f32_e32 v144, v158, v144
	v_fmac_f32_e32 v166, v146, v173
	s_waitcnt vmcnt(21) lgkmcnt(4)
	v_mul_f32_e32 v175, v5, v205
	s_waitcnt vmcnt(20)
	v_mul_f32_e32 v167, v7, v206
	v_add_f32_e32 v158, v160, v159
	v_mul_f32_e32 v159, v146, v185
	v_add_f32_e32 v1, v144, v1
	v_mul_f32_e32 v144, v148, v182
	s_waitcnt vmcnt(8)
	v_fmac_f32_e32 v162, v148, v215
	v_add_f32_e32 v4, v158, v170
	v_fma_f32 v145, v145, v173, -v159
	v_add_f32_e32 v1, v1, v3
	v_fma_f32 v144, v147, v215, -v144
	v_fmac_f32_e32 v175, v6, v214
	v_add_f32_e32 v3, v4, v161
	v_mul_f32_e32 v4, v6, v205
	v_add_f32_e32 v1, v1, v145
	v_mul_f32_e32 v145, v8, v206
	s_waitcnt lgkmcnt(3)
	v_mul_f32_e32 v164, v149, v200
	v_add_f32_e32 v3, v3, v166
	v_fma_f32 v4, v5, v214, -v4
	v_add_f32_e32 v1, v1, v144
	v_mul_f32_e32 v5, v150, v200
	v_fma_f32 v6, v7, v213, -v145
	v_add_f32_e32 v3, v3, v162
	v_fmac_f32_e32 v167, v8, v213
	v_add_f32_e32 v1, v1, v4
	v_mul_f32_e32 v4, v152, v207
	v_fma_f32 v5, v149, v212, -v5
	v_add_f32_e32 v3, v3, v175
	v_mul_f32_e32 v176, v151, v207
	v_add_f32_e32 v1, v1, v6
	v_fmac_f32_e32 v164, v150, v212
	s_waitcnt lgkmcnt(2)
	v_mul_f32_e32 v6, v10, v208
	v_add_f32_e32 v3, v3, v167
	s_waitcnt vmcnt(4)
	v_fma_f32 v4, v151, v218, -v4
	v_add_f32_e32 v1, v1, v5
	v_mul_f32_e32 v172, v9, v208
	v_fmac_f32_e32 v176, v152, v218
	v_add_f32_e32 v3, v3, v164
	v_mul_f32_e32 v5, v12, v201
	v_fma_f32 v6, v9, v217, -v6
	v_add_f32_e32 v1, v1, v4
	v_mul_f32_e32 v168, v11, v201
	v_fmac_f32_e32 v172, v10, v217
	v_add_f32_e32 v3, v3, v176
	s_waitcnt lgkmcnt(1)
	v_mul_f32_e32 v4, v154, v209
	v_fma_f32 v5, v11, v216, -v5
	v_add_f32_e32 v1, v1, v6
	v_mul_f32_e32 v177, v153, v209
	v_fmac_f32_e32 v168, v12, v216
	v_add_f32_e32 v3, v3, v172
	v_mul_f32_e32 v6, v156, v210
	v_fma_f32 v4, v153, v157, -v4
	v_add_f32_e32 v1, v1, v5
	v_mul_f32_e32 v174, v155, v210
	v_fmac_f32_e32 v177, v154, v157
	v_add_f32_e32 v3, v3, v168
	s_waitcnt lgkmcnt(0)
	v_mul_f32_e32 v5, v141, v202
	s_waitcnt vmcnt(1)
	v_fma_f32 v6, v155, v221, -v6
	v_add_f32_e32 v1, v1, v4
	v_mul_f32_e32 v169, v140, v202
	v_fmac_f32_e32 v174, v156, v221
	v_add_f32_e32 v3, v3, v177
	v_mul_f32_e32 v4, v143, v211
	v_fma_f32 v5, v140, v220, -v5
	v_add_f32_e32 v1, v1, v6
	v_mul_f32_e32 v2, v142, v211
	v_fmac_f32_e32 v169, v141, v220
	v_add_f32_e32 v3, v3, v174
	v_fma_f32 v4, v142, v219, -v4
	v_add_f32_e32 v1, v1, v5
	v_fmac_f32_e32 v2, v143, v219
	v_add_f32_e32 v3, v3, v169
	v_add_f32_e32 v1, v1, v4
	;; [unrolled: 1-line block ×3, first 2 shown]
	s_waitcnt vmcnt(0)
	v_sub_f32_e32 v1, v163, v1
	v_sub_f32_e32 v2, v199, v2
	buffer_store_dword v1, off, s[0:3], 0 offset:160
	buffer_store_dword v2, off, s[0:3], 0 offset:164
	v_cmpx_lt_u32_e32 19, v0
	s_cbranch_execz .LBB126_353
; %bb.352:
	s_clause 0x1
	buffer_load_dword v1, off, s[0:3], 0 offset:152
	buffer_load_dword v2, off, s[0:3], 0 offset:156
	v_mov_b32_e32 v3, 0
	buffer_store_dword v3, off, s[0:3], 0 offset:152
	buffer_store_dword v3, off, s[0:3], 0 offset:156
	s_waitcnt vmcnt(0)
	ds_write_b64 v139, v[1:2]
.LBB126_353:
	s_or_b32 exec_lo, exec_lo, s4
	s_waitcnt lgkmcnt(0)
	s_waitcnt_vscnt null, 0x0
	s_barrier
	buffer_gl0_inv
	s_clause 0x25
	buffer_load_dword v142, off, s[0:3], 0 offset:164
	buffer_load_dword v143, off, s[0:3], 0 offset:172
	;; [unrolled: 1-line block ×38, first 2 shown]
	v_mov_b32_e32 v140, 0
	ds_read_b128 v[9:12], v140 offset:672
	ds_read_b128 v[1:4], v140 offset:688
	s_clause 0x7
	buffer_load_dword v183, off, s[0:3], 0 offset:316
	buffer_load_dword v180, off, s[0:3], 0 offset:324
	;; [unrolled: 1-line block ×8, first 2 shown]
	ds_read_b128 v[5:8], v140 offset:704
	s_clause 0x9
	buffer_load_dword v178, off, s[0:3], 0 offset:348
	buffer_load_dword v165, off, s[0:3], 0 offset:352
	;; [unrolled: 1-line block ×10, first 2 shown]
	ds_read_b128 v[190:193], v140 offset:720
	s_mov_b32 s4, exec_lo
	s_waitcnt vmcnt(55) lgkmcnt(3)
	v_mul_f32_e32 v201, v9, v142
	v_mul_f32_e32 v142, v10, v142
	s_waitcnt vmcnt(54)
	v_mul_f32_e32 v202, v11, v143
	v_mul_f32_e32 v143, v12, v143
	s_waitcnt vmcnt(51)
	v_fmac_f32_e32 v201, v10, v148
	v_fma_f32 v148, v9, v148, -v142
	s_waitcnt vmcnt(50) lgkmcnt(2)
	v_mul_f32_e32 v203, v1, v147
	v_mul_f32_e32 v142, v2, v147
	v_fmac_f32_e32 v202, v12, v145
	v_fma_f32 v145, v11, v145, -v143
	ds_read_b128 v[9:12], v140 offset:736
	s_waitcnt vmcnt(49)
	v_mul_f32_e32 v147, v3, v146
	v_mul_f32_e32 v143, v4, v146
	v_fmac_f32_e32 v203, v2, v141
	v_fma_f32 v146, v1, v141, -v142
	s_waitcnt vmcnt(48) lgkmcnt(2)
	v_mul_f32_e32 v204, v5, v144
	v_mul_f32_e32 v141, v6, v144
	s_waitcnt vmcnt(44)
	v_fmac_f32_e32 v147, v4, v156
	v_fma_f32 v156, v3, v156, -v143
	ds_read_b128 v[1:4], v140 offset:752
	s_waitcnt vmcnt(43)
	v_mul_f32_e32 v205, v7, v154
	v_mul_f32_e32 v142, v8, v154
	v_fmac_f32_e32 v204, v6, v152
	v_fma_f32 v152, v5, v152, -v141
	s_waitcnt vmcnt(42) lgkmcnt(2)
	v_mul_f32_e32 v154, v190, v153
	v_fmac_f32_e32 v205, v8, v150
	v_fma_f32 v150, v7, v150, -v142
	ds_read_b128 v[5:8], v140 offset:768
	v_mul_f32_e32 v141, v191, v153
	s_waitcnt vmcnt(41)
	v_mul_f32_e32 v153, v192, v151
	v_mul_f32_e32 v142, v193, v151
	s_waitcnt vmcnt(40) lgkmcnt(2)
	v_mul_f32_e32 v151, v9, v155
	v_mul_f32_e32 v155, v10, v155
	v_fmac_f32_e32 v154, v191, v149
	v_fma_f32 v149, v190, v149, -v141
	s_waitcnt vmcnt(36)
	v_fmac_f32_e32 v153, v193, v164
	v_fma_f32 v164, v192, v164, -v142
	ds_read_b128 v[141:144], v140 offset:784
	s_waitcnt vmcnt(35)
	v_mul_f32_e32 v190, v11, v163
	v_mul_f32_e32 v163, v12, v163
	v_fmac_f32_e32 v151, v10, v160
	v_fma_f32 v155, v9, v160, -v155
	s_waitcnt vmcnt(34) lgkmcnt(2)
	v_mul_f32_e32 v160, v1, v161
	v_mul_f32_e32 v161, v2, v161
	v_fmac_f32_e32 v190, v12, v158
	v_fma_f32 v158, v11, v158, -v163
	ds_read_b128 v[9:12], v140 offset:800
	v_fmac_f32_e32 v160, v2, v157
	v_fma_f32 v157, v1, v157, -v161
	s_waitcnt vmcnt(32) lgkmcnt(2)
	v_mul_f32_e32 v161, v5, v162
	v_mul_f32_e32 v1, v6, v162
	;; [unrolled: 1-line block ×4, first 2 shown]
	s_waitcnt vmcnt(27)
	v_mul_f32_e32 v2, v8, v174
	v_fmac_f32_e32 v161, v6, v171
	v_add_f32_e32 v6, 0, v201
	v_fmac_f32_e32 v163, v4, v175
	v_fma_f32 v159, v3, v175, -v159
	v_mul_f32_e32 v175, v7, v174
	s_waitcnt vmcnt(26) lgkmcnt(1)
	v_mul_f32_e32 v162, v141, v173
	v_add_f32_e32 v6, v6, v202
	v_mul_f32_e32 v3, v142, v173
	s_waitcnt vmcnt(25)
	v_mul_f32_e32 v173, v143, v172
	v_mul_f32_e32 v4, v144, v172
	s_clause 0x6
	buffer_load_dword v172, off, s[0:3], 0 offset:388
	buffer_load_dword v174, off, s[0:3], 0 offset:400
	buffer_load_dword v191, off, s[0:3], 0 offset:392
	buffer_load_dword v192, off, s[0:3], 0 offset:384
	buffer_load_dword v193, off, s[0:3], 0 offset:376
	buffer_load_dword v206, off, s[0:3], 0 offset:396
	buffer_load_dword v207, off, s[0:3], 0 offset:404
	v_add_f32_e32 v6, v6, v203
	v_fma_f32 v171, v5, v171, -v1
	v_fmac_f32_e32 v162, v142, v168
	v_fma_f32 v141, v141, v168, -v3
	s_waitcnt vmcnt(27) lgkmcnt(0)
	v_mul_f32_e32 v168, v9, v187
	v_mul_f32_e32 v5, v10, v187
	v_add_f32_e32 v6, v6, v147
	v_fmac_f32_e32 v175, v8, v170
	v_fma_f32 v170, v7, v170, -v2
	v_fmac_f32_e32 v173, v144, v188
	v_fma_f32 v142, v143, v188, -v4
	buffer_load_dword v187, off, s[0:3], 0 offset:412
	s_waitcnt vmcnt(27)
	v_mul_f32_e32 v188, v11, v182
	v_fmac_f32_e32 v168, v10, v184
	v_fma_f32 v184, v9, v184, -v5
	v_add_f32_e32 v5, 0, v148
	v_mul_f32_e32 v7, v12, v182
	v_add_f32_e32 v6, v6, v204
	ds_read_b128 v[1:4], v140 offset:816
	s_clause 0x1
	buffer_load_dword v201, off, s[0:3], 0 offset:420
	buffer_load_dword v202, off, s[0:3], 0 offset:428
	v_add_f32_e32 v5, v5, v145
	buffer_load_dword v182, off, s[0:3], 0 offset:436
	v_fmac_f32_e32 v188, v12, v179
	v_fma_f32 v145, v11, v179, -v7
	s_clause 0x7
	buffer_load_dword v179, off, s[0:3], 0 offset:444
	buffer_load_dword v203, off, s[0:3], 0 offset:452
	;; [unrolled: 1-line block ×8, first 2 shown]
	v_add_f32_e32 v6, v6, v205
	s_clause 0x3
	buffer_load_dword v205, off, s[0:3], 0 offset:432
	buffer_load_dword v213, off, s[0:3], 0 offset:424
	;; [unrolled: 1-line block ×4, first 2 shown]
	v_add_f32_e32 v5, v5, v146
	s_clause 0x3
	buffer_load_dword v216, off, s[0:3], 0 offset:464
	buffer_load_dword v217, off, s[0:3], 0 offset:456
	;; [unrolled: 1-line block ×4, first 2 shown]
	v_add_f32_e32 v6, v6, v154
	v_add_f32_e32 v5, v5, v156
	;; [unrolled: 1-line block ×3, first 2 shown]
	s_waitcnt vmcnt(45) lgkmcnt(0)
	v_mul_f32_e32 v146, v1, v186
	v_add_f32_e32 v5, v5, v152
	v_mul_f32_e32 v7, v2, v186
	v_add_f32_e32 v6, v6, v151
	v_fmac_f32_e32 v146, v2, v166
	v_add_f32_e32 v5, v5, v150
	v_fma_f32 v147, v1, v166, -v7
	v_add_f32_e32 v6, v6, v190
	v_add_f32_e32 v5, v5, v149
	s_waitcnt vmcnt(44)
	v_mul_f32_e32 v149, v3, v183
	v_add_f32_e32 v6, v6, v160
	v_add_f32_e32 v5, v5, v164
	s_clause 0x4
	buffer_load_dword v164, off, s[0:3], 0 offset:496
	buffer_load_dword v190, off, s[0:3], 0 offset:488
	;; [unrolled: 1-line block ×5, first 2 shown]
	v_add_f32_e32 v1, v6, v163
	s_waitcnt vmcnt(42)
	v_fmac_f32_e32 v149, v4, v185
	v_add_f32_e32 v5, v5, v155
	v_add_f32_e32 v9, v1, v161
	v_mul_f32_e32 v1, v4, v183
	v_add_f32_e32 v5, v5, v158
	v_add_f32_e32 v143, v9, v175
	v_fma_f32 v150, v3, v185, -v1
	v_add_f32_e32 v5, v5, v157
	v_add_f32_e32 v143, v143, v162
	;; [unrolled: 1-line block ×3, first 2 shown]
	ds_read_b128 v[5:8], v140 offset:832
	v_add_f32_e32 v151, v143, v173
	v_add_f32_e32 v10, v2, v171
	ds_read_b128 v[1:4], v140 offset:848
	v_add_f32_e32 v144, v10, v170
	ds_read_b128 v[9:12], v140 offset:864
	v_add_f32_e32 v141, v144, v141
	s_waitcnt lgkmcnt(2)
	v_mul_f32_e32 v148, v6, v180
	v_mul_f32_e32 v153, v5, v180
	;; [unrolled: 1-line block ×3, first 2 shown]
	v_fma_f32 v154, v5, v181, -v148
	v_add_f32_e32 v5, v141, v142
	ds_read_b128 v[141:144], v140 offset:880
	v_fmac_f32_e32 v153, v6, v181
	v_add_f32_e32 v6, v151, v168
	s_waitcnt lgkmcnt(2)
	v_mul_f32_e32 v156, v1, v176
	v_add_f32_e32 v5, v5, v184
	v_mul_f32_e32 v151, v2, v176
	s_waitcnt vmcnt(39) lgkmcnt(1)
	v_mul_f32_e32 v160, v9, v194
	v_add_f32_e32 v6, v6, v188
	v_fmac_f32_e32 v156, v2, v167
	v_add_f32_e32 v5, v5, v145
	v_fma_f32 v158, v1, v167, -v151
	v_mul_f32_e32 v151, v10, v194
	v_add_f32_e32 v1, v6, v146
	v_mul_f32_e32 v148, v8, v177
	v_add_f32_e32 v2, v5, v147
	v_fmac_f32_e32 v160, v10, v165
	v_fma_f32 v162, v9, v165, -v151
	v_add_f32_e32 v10, v1, v149
	v_fma_f32 v157, v7, v169, -v148
	v_add_f32_e32 v9, v2, v150
	v_fmac_f32_e32 v155, v8, v169
	v_mul_f32_e32 v152, v4, v178
	v_add_f32_e32 v10, v10, v153
	s_waitcnt vmcnt(36) lgkmcnt(0)
	v_mul_f32_e32 v165, v141, v197
	v_add_f32_e32 v9, v9, v154
	v_mul_f32_e32 v154, v142, v197
	v_mul_f32_e32 v159, v3, v178
	v_add_f32_e32 v10, v10, v155
	s_waitcnt vmcnt(34)
	v_fma_f32 v161, v3, v199, -v152
	ds_read_b128 v[5:8], v140 offset:896
	ds_read_b128 v[145:148], v140 offset:912
	v_fma_f32 v169, v141, v198, -v154
	v_add_f32_e32 v141, v9, v157
	v_fmac_f32_e32 v159, v4, v199
	v_add_f32_e32 v170, v10, v156
	v_mul_f32_e32 v153, v12, v196
	v_mul_f32_e32 v163, v11, v196
	v_add_f32_e32 v171, v141, v158
	s_waitcnt vmcnt(33)
	v_mul_f32_e32 v167, v144, v200
	v_add_f32_e32 v159, v170, v159
	v_fma_f32 v168, v11, v195, -v153
	v_fmac_f32_e32 v163, v12, v195
	v_add_f32_e32 v161, v171, v161
	v_mul_f32_e32 v166, v143, v200
	v_add_f32_e32 v159, v159, v160
	v_fmac_f32_e32 v165, v142, v198
	ds_read_b128 v[1:4], v140 offset:928
	ds_read_b128 v[149:152], v140 offset:944
	v_add_f32_e32 v161, v161, v162
	ds_read_b128 v[9:12], v140 offset:960
	ds_read_b128 v[153:156], v140 offset:976
	v_add_f32_e32 v159, v159, v163
	v_add_f32_e32 v161, v161, v168
	;; [unrolled: 1-line block ×4, first 2 shown]
	s_waitcnt vmcnt(31) lgkmcnt(5)
	v_mul_f32_e32 v170, v5, v172
	v_mul_f32_e32 v172, v6, v172
	s_waitcnt vmcnt(27)
	v_fma_f32 v167, v143, v193, -v167
	v_fmac_f32_e32 v166, v144, v193
	s_waitcnt vmcnt(26)
	v_mul_f32_e32 v173, v8, v206
	v_fma_f32 v5, v5, v192, -v172
	v_mul_f32_e32 v171, v7, v206
	v_add_f32_e32 v161, v161, v167
	v_fmac_f32_e32 v170, v6, v192
	v_add_f32_e32 v159, v159, v166
	s_waitcnt vmcnt(25) lgkmcnt(4)
	v_mul_f32_e32 v172, v146, v207
	v_fma_f32 v7, v7, v191, -v173
	v_add_f32_e32 v5, v161, v5
	v_mul_f32_e32 v160, v145, v207
	v_fmac_f32_e32 v171, v8, v191
	v_add_f32_e32 v159, v159, v170
	s_waitcnt vmcnt(24)
	v_mul_f32_e32 v166, v148, v187
	v_fma_f32 v145, v145, v174, -v172
	v_add_f32_e32 v5, v5, v7
	v_mul_f32_e32 v162, v147, v187
	v_fmac_f32_e32 v160, v146, v174
	v_add_f32_e32 v7, v159, v171
	ds_read_b128 v[141:144], v140 offset:992
	ds_read_b64 v[157:158], v140 offset:1008
	s_waitcnt vmcnt(23) lgkmcnt(5)
	v_mul_f32_e32 v6, v1, v201
	v_mul_f32_e32 v146, v2, v201
	v_add_f32_e32 v5, v5, v145
	v_add_f32_e32 v7, v7, v160
	s_waitcnt vmcnt(22)
	v_mul_f32_e32 v145, v4, v202
	v_mul_f32_e32 v163, v3, v202
	s_waitcnt vmcnt(21) lgkmcnt(4)
	v_mul_f32_e32 v168, v149, v182
	s_waitcnt vmcnt(20)
	v_mul_f32_e32 v8, v151, v179
	s_waitcnt vmcnt(19) lgkmcnt(3)
	v_mul_f32_e32 v173, v9, v203
	s_waitcnt vmcnt(10)
	v_fmac_f32_e32 v6, v2, v214
	s_waitcnt vmcnt(9)
	v_fma_f32 v147, v147, v215, -v166
	v_fmac_f32_e32 v162, v148, v215
	v_fma_f32 v1, v1, v214, -v146
	v_fma_f32 v3, v3, v213, -v145
	v_fmac_f32_e32 v163, v4, v213
	v_add_f32_e32 v2, v5, v147
	v_add_f32_e32 v5, v7, v162
	v_mul_f32_e32 v7, v150, v182
	v_mul_f32_e32 v4, v152, v179
	v_fmac_f32_e32 v168, v150, v205
	v_add_f32_e32 v1, v2, v1
	v_add_f32_e32 v2, v5, v6
	v_fma_f32 v5, v149, v205, -v7
	s_waitcnt vmcnt(5)
	v_fma_f32 v4, v151, v219, -v4
	v_fmac_f32_e32 v8, v152, v219
	v_add_f32_e32 v1, v1, v3
	v_add_f32_e32 v2, v2, v163
	v_mul_f32_e32 v3, v10, v203
	v_mul_f32_e32 v165, v11, v208
	v_fmac_f32_e32 v173, v10, v218
	v_add_f32_e32 v1, v1, v5
	v_add_f32_e32 v2, v2, v168
	v_mul_f32_e32 v5, v12, v208
	v_fma_f32 v3, v9, v218, -v3
	s_waitcnt lgkmcnt(2)
	v_mul_f32_e32 v169, v153, v209
	v_add_f32_e32 v1, v1, v4
	v_add_f32_e32 v2, v2, v8
	v_mul_f32_e32 v4, v154, v209
	v_fma_f32 v5, v11, v217, -v5
	v_fmac_f32_e32 v165, v12, v217
	v_add_f32_e32 v1, v1, v3
	v_add_f32_e32 v2, v2, v173
	v_mul_f32_e32 v3, v156, v210
	v_fma_f32 v4, v153, v216, -v4
	v_mul_f32_e32 v175, v155, v210
	v_add_f32_e32 v1, v1, v5
	v_fmac_f32_e32 v169, v154, v216
	v_add_f32_e32 v2, v2, v165
	s_waitcnt lgkmcnt(1)
	v_mul_f32_e32 v5, v142, v204
	s_waitcnt vmcnt(1)
	v_fma_f32 v3, v155, v221, -v3
	v_add_f32_e32 v1, v1, v4
	v_mul_f32_e32 v167, v141, v204
	v_fmac_f32_e32 v175, v156, v221
	v_add_f32_e32 v2, v2, v169
	v_mul_f32_e32 v4, v144, v211
	v_fma_f32 v5, v141, v220, -v5
	v_add_f32_e32 v1, v1, v3
	v_mul_f32_e32 v176, v143, v211
	v_fmac_f32_e32 v167, v142, v220
	v_add_f32_e32 v2, v2, v175
	s_waitcnt lgkmcnt(0)
	v_mul_f32_e32 v3, v158, v212
	v_fma_f32 v4, v143, v190, -v4
	v_add_f32_e32 v1, v1, v5
	v_mul_f32_e32 v161, v157, v212
	v_fmac_f32_e32 v176, v144, v190
	v_add_f32_e32 v2, v2, v167
	v_fma_f32 v3, v157, v164, -v3
	v_add_f32_e32 v1, v1, v4
	v_fmac_f32_e32 v161, v158, v164
	v_add_f32_e32 v2, v2, v176
	v_add_f32_e32 v1, v1, v3
	;; [unrolled: 1-line block ×3, first 2 shown]
	s_waitcnt vmcnt(0)
	v_sub_f32_e32 v1, v222, v1
	v_sub_f32_e32 v2, v189, v2
	buffer_store_dword v1, off, s[0:3], 0 offset:152
	buffer_store_dword v2, off, s[0:3], 0 offset:156
	v_cmpx_lt_u32_e32 18, v0
	s_cbranch_execz .LBB126_355
; %bb.354:
	s_clause 0x1
	buffer_load_dword v1, off, s[0:3], 0 offset:144
	buffer_load_dword v2, off, s[0:3], 0 offset:148
	buffer_store_dword v140, off, s[0:3], 0 offset:144
	buffer_store_dword v140, off, s[0:3], 0 offset:148
	s_waitcnt vmcnt(0)
	ds_write_b64 v139, v[1:2]
.LBB126_355:
	s_or_b32 exec_lo, exec_lo, s4
	s_waitcnt lgkmcnt(0)
	s_waitcnt_vscnt null, 0x0
	s_barrier
	buffer_gl0_inv
	s_clause 0x2b
	buffer_load_dword v161, off, s[0:3], 0 offset:156
	buffer_load_dword v162, off, s[0:3], 0 offset:164
	;; [unrolled: 1-line block ×44, first 2 shown]
	ds_read2_b64 v[9:12], v140 offset0:83 offset1:84
	s_clause 0x1
	buffer_load_dword v189, off, s[0:3], 0 offset:324
	buffer_load_dword v183, off, s[0:3], 0 offset:332
	ds_read2_b64 v[5:8], v140 offset0:85 offset1:86
	ds_read2_b64 v[1:4], v140 offset0:87 offset1:88
	s_clause 0x7
	buffer_load_dword v184, off, s[0:3], 0 offset:340
	buffer_load_dword v173, off, s[0:3], 0 offset:348
	;; [unrolled: 1-line block ×8, first 2 shown]
	ds_read2_b64 v[190:193], v140 offset0:89 offset1:90
	buffer_load_dword v201, off, s[0:3], 0 offset:148
	s_mov_b32 s4, exec_lo
	s_waitcnt vmcnt(54) lgkmcnt(3)
	v_mul_f32_e32 v199, v9, v161
	s_waitcnt vmcnt(53)
	v_mul_f32_e32 v200, v11, v162
	v_mul_f32_e32 v161, v10, v161
	v_mul_f32_e32 v162, v12, v162
	s_waitcnt vmcnt(50)
	v_fmac_f32_e32 v199, v10, v147
	v_fmac_f32_e32 v200, v12, v146
	v_fma_f32 v147, v9, v147, -v161
	v_fma_f32 v146, v11, v146, -v162
	ds_read2_b64 v[9:12], v140 offset0:91 offset1:92
	s_waitcnt vmcnt(49) lgkmcnt(3)
	v_mul_f32_e32 v161, v5, v144
	v_mul_f32_e32 v144, v6, v144
	s_waitcnt vmcnt(48)
	v_mul_f32_e32 v162, v7, v143
	v_mul_f32_e32 v143, v8, v143
	s_waitcnt vmcnt(47) lgkmcnt(2)
	v_mul_f32_e32 v202, v1, v142
	v_fmac_f32_e32 v161, v6, v141
	v_fma_f32 v203, v5, v141, -v144
	s_waitcnt vmcnt(46)
	v_mul_f32_e32 v204, v3, v145
	v_mul_f32_e32 v141, v2, v142
	;; [unrolled: 1-line block ×3, first 2 shown]
	s_waitcnt vmcnt(42)
	v_fmac_f32_e32 v162, v8, v153
	v_fma_f32 v145, v7, v153, -v143
	ds_read2_b64 v[5:8], v140 offset0:93 offset1:94
	v_fmac_f32_e32 v202, v2, v152
	v_fmac_f32_e32 v204, v4, v150
	v_fma_f32 v152, v1, v152, -v141
	v_fma_f32 v150, v3, v150, -v142
	ds_read2_b64 v[1:4], v140 offset0:95 offset1:96
	s_waitcnt vmcnt(41) lgkmcnt(3)
	v_mul_f32_e32 v153, v190, v151
	v_mul_f32_e32 v141, v191, v151
	s_waitcnt vmcnt(40)
	v_mul_f32_e32 v151, v192, v149
	v_mul_f32_e32 v142, v193, v149
	s_waitcnt vmcnt(39) lgkmcnt(2)
	v_mul_f32_e32 v149, v9, v154
	v_fmac_f32_e32 v153, v191, v148
	v_fma_f32 v148, v190, v148, -v141
	s_waitcnt vmcnt(34)
	v_fmac_f32_e32 v151, v193, v163
	v_fma_f32 v163, v192, v163, -v142
	ds_read2_b64 v[141:144], v140 offset0:97 offset1:98
	v_mul_f32_e32 v190, v11, v155
	v_mul_f32_e32 v155, v12, v155
	;; [unrolled: 1-line block ×3, first 2 shown]
	v_fmac_f32_e32 v149, v10, v160
	s_waitcnt vmcnt(32) lgkmcnt(2)
	v_mul_f32_e32 v191, v7, v157
	v_fmac_f32_e32 v190, v12, v158
	v_fma_f32 v155, v11, v158, -v155
	v_mul_f32_e32 v158, v5, v159
	v_mul_f32_e32 v159, v6, v159
	;; [unrolled: 1-line block ×3, first 2 shown]
	v_fma_f32 v154, v9, v160, -v154
	ds_read2_b64 v[9:12], v140 offset0:99 offset1:100
	v_fmac_f32_e32 v158, v6, v156
	v_fma_f32 v156, v5, v156, -v159
	s_waitcnt vmcnt(31) lgkmcnt(2)
	v_mul_f32_e32 v159, v1, v164
	v_mul_f32_e32 v5, v2, v164
	buffer_load_dword v160, off, s[0:3], 0 offset:372
	s_waitcnt vmcnt(28)
	v_fmac_f32_e32 v191, v8, v177
	v_fma_f32 v157, v7, v177, -v157
	s_clause 0x3
	buffer_load_dword v164, off, s[0:3], 0 offset:392
	buffer_load_dword v177, off, s[0:3], 0 offset:384
	;; [unrolled: 1-line block ×4, first 2 shown]
	s_waitcnt vmcnt(31)
	v_mul_f32_e32 v205, v3, v176
	v_mul_f32_e32 v6, v4, v176
	v_fmac_f32_e32 v159, v2, v171
	v_fma_f32 v171, v1, v171, -v5
	s_waitcnt vmcnt(30) lgkmcnt(1)
	v_mul_f32_e32 v176, v141, v168
	s_waitcnt vmcnt(29)
	v_mul_f32_e32 v206, v143, v169
	v_mul_f32_e32 v1, v142, v168
	;; [unrolled: 1-line block ×3, first 2 shown]
	s_clause 0x2
	buffer_load_dword v168, off, s[0:3], 0 offset:380
	buffer_load_dword v169, off, s[0:3], 0 offset:388
	buffer_load_dword v207, off, s[0:3], 0 offset:396
	v_fmac_f32_e32 v205, v4, v167
	v_fma_f32 v167, v3, v167, -v6
	v_fmac_f32_e32 v176, v142, v165
	v_fma_f32 v141, v141, v165, -v1
	s_waitcnt vmcnt(28)
	v_fma_f32 v142, v143, v188, -v2
	ds_read2_b64 v[1:4], v140 offset0:101 offset1:102
	s_waitcnt vmcnt(27) lgkmcnt(1)
	v_mul_f32_e32 v5, v10, v186
	v_add_f32_e32 v6, 0, v199
	v_fmac_f32_e32 v206, v144, v188
	v_add_f32_e32 v7, 0, v147
	v_mul_f32_e32 v143, v9, v186
	v_fma_f32 v144, v9, v182, -v5
	v_add_f32_e32 v5, v6, v200
	s_waitcnt vmcnt(26)
	v_mul_f32_e32 v165, v11, v185
	v_add_f32_e32 v6, v7, v146
	v_mul_f32_e32 v8, v12, v185
	v_fmac_f32_e32 v143, v10, v182
	v_add_f32_e32 v5, v5, v161
	s_clause 0x3
	buffer_load_dword v182, off, s[0:3], 0 offset:404
	buffer_load_dword v185, off, s[0:3], 0 offset:412
	;; [unrolled: 1-line block ×4, first 2 shown]
	v_add_f32_e32 v6, v6, v203
	v_fmac_f32_e32 v165, v12, v180
	v_fma_f32 v146, v11, v180, -v8
	v_add_f32_e32 v5, v5, v162
	s_clause 0x3
	buffer_load_dword v161, off, s[0:3], 0 offset:436
	buffer_load_dword v180, off, s[0:3], 0 offset:444
	;; [unrolled: 1-line block ×4, first 2 shown]
	v_add_f32_e32 v6, v6, v145
	s_waitcnt vmcnt(33) lgkmcnt(0)
	v_mul_f32_e32 v145, v1, v178
	v_mul_f32_e32 v7, v2, v178
	v_add_f32_e32 v5, v5, v202
	s_clause 0x3
	buffer_load_dword v162, off, s[0:3], 0 offset:468
	buffer_load_dword v203, off, s[0:3], 0 offset:476
	;; [unrolled: 1-line block ×4, first 2 shown]
	v_add_f32_e32 v6, v6, v152
	buffer_load_dword v178, off, s[0:3], 0 offset:500
	v_fmac_f32_e32 v145, v2, v174
	v_fma_f32 v147, v1, v174, -v7
	v_add_f32_e32 v5, v5, v204
	s_clause 0x3
	buffer_load_dword v174, off, s[0:3], 0 offset:424
	buffer_load_dword v202, off, s[0:3], 0 offset:416
	buffer_load_dword v204, off, s[0:3], 0 offset:408
	buffer_load_dword v210, off, s[0:3], 0 offset:400
	v_add_f32_e32 v1, v6, v150
	v_add_f32_e32 v5, v5, v153
	v_add_f32_e32 v6, v1, v148
	s_waitcnt vmcnt(41)
	v_mul_f32_e32 v148, v3, v172
	v_mul_f32_e32 v1, v4, v172
	v_add_f32_e32 v5, v5, v151
	v_add_f32_e32 v6, v6, v163
	s_waitcnt vmcnt(37)
	v_fmac_f32_e32 v148, v4, v187
	v_fma_f32 v150, v3, v187, -v1
	ds_read2_b64 v[1:4], v140 offset0:103 offset1:104
	s_clause 0x3
	buffer_load_dword v163, off, s[0:3], 0 offset:456
	buffer_load_dword v172, off, s[0:3], 0 offset:448
	;; [unrolled: 1-line block ×4, first 2 shown]
	v_add_f32_e32 v6, v6, v154
	v_add_f32_e32 v5, v5, v149
	;; [unrolled: 1-line block ×4, first 2 shown]
	ds_read2_b64 v[5:8], v140 offset0:105 offset1:106
	v_add_f32_e32 v9, v9, v156
	v_add_f32_e32 v10, v10, v158
	s_waitcnt vmcnt(40) lgkmcnt(1)
	v_mul_f32_e32 v149, v1, v181
	v_mul_f32_e32 v11, v2, v181
	s_waitcnt vmcnt(39)
	v_mul_f32_e32 v153, v3, v189
	v_fmac_f32_e32 v149, v2, v179
	v_fma_f32 v151, v1, v179, -v11
	v_add_f32_e32 v1, v9, v157
	s_clause 0x3
	buffer_load_dword v157, off, s[0:3], 0 offset:488
	buffer_load_dword v158, off, s[0:3], 0 offset:480
	;; [unrolled: 1-line block ×4, first 2 shown]
	v_add_f32_e32 v2, v10, v191
	v_mul_f32_e32 v9, v4, v189
	v_fmac_f32_e32 v153, v4, v175
	v_add_f32_e32 v1, v1, v171
	buffer_load_dword v171, off, s[0:3], 0 offset:496
	v_add_f32_e32 v2, v2, v159
	buffer_load_dword v159, off, s[0:3], 0 offset:144
	v_fma_f32 v154, v3, v175, -v9
	v_add_f32_e32 v1, v1, v167
	s_waitcnt vmcnt(44) lgkmcnt(0)
	v_mul_f32_e32 v155, v5, v183
	v_add_f32_e32 v10, v2, v205
	s_waitcnt vmcnt(43)
	v_mul_f32_e32 v156, v7, v184
	v_mul_f32_e32 v167, v8, v184
	v_add_f32_e32 v141, v1, v141
	ds_read2_b64 v[1:4], v140 offset0:107 offset1:108
	v_add_f32_e32 v152, v10, v176
	ds_read2_b64 v[9:12], v140 offset0:109 offset1:110
	v_fmac_f32_e32 v155, v6, v166
	v_add_f32_e32 v141, v141, v142
	v_mul_f32_e32 v142, v6, v183
	v_add_f32_e32 v152, v152, v206
	s_waitcnt vmcnt(36)
	v_fmac_f32_e32 v156, v8, v198
	v_fma_f32 v167, v7, v198, -v167
	v_add_f32_e32 v175, v141, v144
	v_fma_f32 v166, v5, v166, -v142
	v_add_f32_e32 v152, v152, v143
	ds_read2_b64 v[5:8], v140 offset0:111 offset1:112
	ds_read2_b64 v[141:144], v140 offset0:113 offset1:114
	v_add_f32_e32 v146, v175, v146
	v_add_f32_e32 v152, v152, v165
	;; [unrolled: 1-line block ×3, first 2 shown]
	s_waitcnt lgkmcnt(3)
	v_mul_f32_e32 v175, v1, v173
	v_add_f32_e32 v145, v152, v145
	v_mul_f32_e32 v173, v2, v173
	v_mul_f32_e32 v165, v3, v170
	v_add_f32_e32 v150, v146, v150
	v_mul_f32_e32 v170, v4, v170
	v_add_f32_e32 v184, v145, v148
	v_fma_f32 v173, v1, v197, -v173
	v_fmac_f32_e32 v175, v2, v197
	v_add_f32_e32 v190, v150, v151
	s_waitcnt lgkmcnt(2)
	v_mul_f32_e32 v152, v10, v194
	v_add_f32_e32 v184, v184, v149
	v_fma_f32 v170, v3, v196, -v170
	v_mul_f32_e32 v176, v9, v194
	v_add_f32_e32 v154, v190, v154
	v_fmac_f32_e32 v165, v4, v196
	v_add_f32_e32 v153, v184, v153
	v_fma_f32 v189, v9, v195, -v152
	v_fmac_f32_e32 v176, v10, v195
	ds_read2_b64 v[1:4], v140 offset0:115 offset1:116
	ds_read2_b64 v[145:148], v140 offset0:117 offset1:118
	v_add_f32_e32 v153, v153, v155
	s_waitcnt vmcnt(34)
	v_mul_f32_e32 v183, v11, v160
	v_mul_f32_e32 v160, v12, v160
	s_waitcnt vmcnt(30)
	v_fmac_f32_e32 v183, v12, v193
	v_fma_f32 v160, v11, v193, -v160
	ds_read2_b64 v[9:12], v140 offset0:119 offset1:120
	ds_read2_b64 v[149:152], v140 offset0:121 offset1:122
	s_waitcnt vmcnt(29) lgkmcnt(5)
	v_mul_f32_e32 v190, v5, v168
	v_mul_f32_e32 v168, v6, v168
	s_waitcnt vmcnt(28)
	v_mul_f32_e32 v184, v7, v169
	v_mul_f32_e32 v169, v8, v169
	v_fmac_f32_e32 v190, v6, v192
	v_add_f32_e32 v6, v154, v166
	v_fma_f32 v166, v5, v192, -v168
	v_fma_f32 v168, v7, v177, -v169
	v_add_f32_e32 v169, v153, v156
	v_fmac_f32_e32 v184, v8, v177
	v_add_f32_e32 v167, v6, v167
	ds_read2_b64 v[5:8], v140 offset0:123 offset1:124
	ds_read2_b64 v[153:156], v140 offset0:125 offset1:126
	s_waitcnt vmcnt(27) lgkmcnt(6)
	v_mul_f32_e32 v140, v141, v207
	v_add_f32_e32 v169, v169, v175
	v_add_f32_e32 v167, v167, v173
	v_mul_f32_e32 v173, v142, v207
	s_waitcnt vmcnt(26)
	v_mul_f32_e32 v177, v144, v182
	v_add_f32_e32 v165, v169, v165
	v_mul_f32_e32 v175, v143, v182
	v_add_f32_e32 v167, v167, v170
	v_fma_f32 v141, v141, v164, -v173
	v_fmac_f32_e32 v140, v142, v164
	v_add_f32_e32 v165, v165, v176
	s_waitcnt vmcnt(25) lgkmcnt(5)
	v_mul_f32_e32 v170, v1, v185
	v_add_f32_e32 v167, v167, v189
	s_waitcnt vmcnt(24)
	v_mul_f32_e32 v169, v3, v186
	s_waitcnt vmcnt(23) lgkmcnt(4)
	v_mul_f32_e32 v182, v145, v188
	v_add_f32_e32 v165, v165, v183
	s_waitcnt vmcnt(22)
	v_mul_f32_e32 v189, v147, v161
	v_add_f32_e32 v160, v167, v160
	s_waitcnt vmcnt(21) lgkmcnt(3)
	v_mul_f32_e32 v176, v9, v180
	s_waitcnt vmcnt(20)
	v_mul_f32_e32 v191, v11, v199
	v_add_f32_e32 v165, v165, v190
	s_waitcnt vmcnt(12)
	v_fmac_f32_e32 v169, v4, v202
	v_add_f32_e32 v160, v160, v166
	s_waitcnt vmcnt(10)
	v_fma_f32 v143, v143, v210, -v177
	v_fmac_f32_e32 v175, v144, v210
	v_add_f32_e32 v164, v165, v184
	v_mul_f32_e32 v165, v2, v185
	v_add_f32_e32 v160, v160, v168
	v_mul_f32_e32 v144, v4, v186
	v_fmac_f32_e32 v170, v2, v204
	v_add_f32_e32 v140, v164, v140
	v_fma_f32 v1, v1, v204, -v165
	v_add_f32_e32 v141, v160, v141
	v_fma_f32 v3, v3, v202, -v144
	v_mul_f32_e32 v4, v148, v161
	v_add_f32_e32 v140, v140, v175
	v_fmac_f32_e32 v182, v146, v174
	v_add_f32_e32 v2, v141, v143
	v_mul_f32_e32 v141, v146, v188
	s_waitcnt vmcnt(6)
	v_fma_f32 v4, v147, v211, -v4
	v_fmac_f32_e32 v189, v148, v211
	v_fmac_f32_e32 v176, v10, v187
	v_add_f32_e32 v1, v2, v1
	v_add_f32_e32 v2, v140, v170
	v_fma_f32 v140, v145, v174, -v141
	s_waitcnt lgkmcnt(2)
	v_mul_f32_e32 v167, v149, v200
	v_fmac_f32_e32 v191, v12, v172
	v_add_f32_e32 v1, v1, v3
	v_add_f32_e32 v2, v2, v169
	v_mul_f32_e32 v3, v10, v180
	v_mul_f32_e32 v183, v151, v162
	v_fmac_f32_e32 v167, v150, v163
	v_add_f32_e32 v1, v1, v140
	v_add_f32_e32 v2, v2, v182
	v_mul_f32_e32 v140, v12, v199
	v_fma_f32 v3, v9, v187, -v3
	s_waitcnt lgkmcnt(1)
	v_mul_f32_e32 v192, v5, v203
	v_add_f32_e32 v1, v1, v4
	v_add_f32_e32 v2, v2, v189
	v_mul_f32_e32 v4, v150, v200
	v_fma_f32 v9, v11, v172, -v140
	v_mul_f32_e32 v166, v7, v208
	v_add_f32_e32 v1, v1, v3
	v_add_f32_e32 v2, v2, v176
	v_mul_f32_e32 v3, v152, v162
	v_fma_f32 v4, v149, v163, -v4
	s_waitcnt vmcnt(2)
	v_fmac_f32_e32 v183, v152, v181
	v_add_f32_e32 v1, v1, v9
	v_add_f32_e32 v2, v2, v191
	v_mul_f32_e32 v9, v6, v203
	v_fma_f32 v3, v151, v181, -v3
	v_fmac_f32_e32 v192, v6, v179
	v_add_f32_e32 v1, v1, v4
	v_add_f32_e32 v2, v2, v167
	v_mul_f32_e32 v4, v8, v208
	v_fma_f32 v5, v5, v179, -v9
	s_waitcnt lgkmcnt(0)
	v_mul_f32_e32 v190, v153, v209
	v_add_f32_e32 v1, v1, v3
	v_add_f32_e32 v2, v2, v183
	v_mul_f32_e32 v3, v154, v209
	v_fma_f32 v4, v7, v158, -v4
	v_fmac_f32_e32 v166, v8, v158
	v_add_f32_e32 v1, v1, v5
	v_add_f32_e32 v2, v2, v192
	v_mul_f32_e32 v5, v156, v178
	v_fma_f32 v3, v153, v157, -v3
	v_mul_f32_e32 v142, v155, v178
	v_add_f32_e32 v1, v1, v4
	v_fmac_f32_e32 v190, v154, v157
	v_add_f32_e32 v2, v2, v166
	s_waitcnt vmcnt(1)
	v_fma_f32 v4, v155, v171, -v5
	v_fmac_f32_e32 v142, v156, v171
	v_add_f32_e32 v1, v1, v3
	v_add_f32_e32 v2, v2, v190
	;; [unrolled: 1-line block ×4, first 2 shown]
	s_waitcnt vmcnt(0)
	v_sub_f32_e32 v1, v159, v1
	v_sub_f32_e32 v2, v201, v2
	buffer_store_dword v1, off, s[0:3], 0 offset:144
	buffer_store_dword v2, off, s[0:3], 0 offset:148
	v_cmpx_lt_u32_e32 17, v0
	s_cbranch_execz .LBB126_357
; %bb.356:
	s_clause 0x1
	buffer_load_dword v1, off, s[0:3], 0 offset:136
	buffer_load_dword v2, off, s[0:3], 0 offset:140
	v_mov_b32_e32 v3, 0
	buffer_store_dword v3, off, s[0:3], 0 offset:136
	buffer_store_dword v3, off, s[0:3], 0 offset:140
	s_waitcnt vmcnt(0)
	ds_write_b64 v139, v[1:2]
.LBB126_357:
	s_or_b32 exec_lo, exec_lo, s4
	s_waitcnt lgkmcnt(0)
	s_waitcnt_vscnt null, 0x0
	s_barrier
	buffer_gl0_inv
	s_clause 0x2b
	buffer_load_dword v142, off, s[0:3], 0 offset:148
	buffer_load_dword v143, off, s[0:3], 0 offset:156
	;; [unrolled: 1-line block ×44, first 2 shown]
	v_mov_b32_e32 v140, 0
	ds_read_b128 v[9:12], v140 offset:656
	ds_read_b128 v[5:8], v140 offset:672
	s_clause 0x1
	buffer_load_dword v189, off, s[0:3], 0 offset:316
	buffer_load_dword v184, off, s[0:3], 0 offset:324
	ds_read_b128 v[1:4], v140 offset:688
	s_clause 0x9
	buffer_load_dword v183, off, s[0:3], 0 offset:332
	buffer_load_dword v171, off, s[0:3], 0 offset:340
	;; [unrolled: 1-line block ×10, first 2 shown]
	ds_read_b128 v[191:194], v140 offset:704
	s_mov_b32 s4, exec_lo
	s_waitcnt vmcnt(55) lgkmcnt(3)
	v_mul_f32_e32 v201, v9, v142
	v_mul_f32_e32 v142, v10, v142
	s_waitcnt vmcnt(54)
	v_mul_f32_e32 v202, v11, v143
	v_mul_f32_e32 v143, v12, v143
	s_waitcnt vmcnt(51)
	v_fmac_f32_e32 v201, v10, v148
	v_fma_f32 v148, v9, v148, -v142
	s_waitcnt vmcnt(50) lgkmcnt(2)
	v_mul_f32_e32 v203, v5, v147
	v_mul_f32_e32 v142, v6, v147
	v_fmac_f32_e32 v202, v12, v144
	v_fma_f32 v147, v11, v144, -v143
	ds_read_b128 v[9:12], v140 offset:720
	s_waitcnt vmcnt(49)
	v_mul_f32_e32 v204, v7, v145
	v_mul_f32_e32 v143, v8, v145
	v_fmac_f32_e32 v203, v6, v141
	v_fma_f32 v145, v5, v141, -v142
	s_waitcnt vmcnt(48) lgkmcnt(2)
	v_mul_f32_e32 v205, v1, v146
	v_mul_f32_e32 v141, v2, v146
	s_waitcnt vmcnt(44)
	v_fmac_f32_e32 v204, v8, v155
	v_fma_f32 v146, v7, v155, -v143
	ds_read_b128 v[5:8], v140 offset:736
	s_waitcnt vmcnt(43)
	v_mul_f32_e32 v155, v3, v154
	v_mul_f32_e32 v142, v4, v154
	v_fmac_f32_e32 v205, v2, v152
	v_fma_f32 v152, v1, v152, -v141
	s_waitcnt vmcnt(42) lgkmcnt(2)
	v_mul_f32_e32 v154, v191, v153
	v_mul_f32_e32 v141, v192, v153
	v_fmac_f32_e32 v155, v4, v150
	v_fma_f32 v150, v3, v150, -v142
	ds_read_b128 v[1:4], v140 offset:752
	s_waitcnt vmcnt(41)
	v_mul_f32_e32 v153, v193, v151
	v_mul_f32_e32 v142, v194, v151
	v_fmac_f32_e32 v154, v192, v149
	v_fma_f32 v149, v191, v149, -v141
	s_waitcnt vmcnt(40) lgkmcnt(2)
	v_mul_f32_e32 v151, v9, v156
	s_waitcnt vmcnt(36)
	v_fmac_f32_e32 v153, v194, v163
	v_fma_f32 v163, v193, v163, -v142
	ds_read_b128 v[141:144], v140 offset:768
	v_mul_f32_e32 v156, v10, v156
	s_waitcnt vmcnt(35)
	v_mul_f32_e32 v191, v11, v162
	v_mul_f32_e32 v162, v12, v162
	v_fmac_f32_e32 v151, v10, v160
	v_fma_f32 v156, v9, v160, -v156
	s_waitcnt vmcnt(34) lgkmcnt(2)
	v_mul_f32_e32 v160, v5, v161
	v_mul_f32_e32 v161, v6, v161
	v_fmac_f32_e32 v191, v12, v158
	v_fma_f32 v158, v11, v158, -v162
	s_waitcnt vmcnt(33)
	v_mul_f32_e32 v162, v7, v159
	v_mul_f32_e32 v159, v8, v159
	v_fmac_f32_e32 v160, v6, v157
	v_fma_f32 v157, v5, v157, -v161
	s_waitcnt vmcnt(32) lgkmcnt(1)
	v_mul_f32_e32 v161, v1, v164
	v_mul_f32_e32 v5, v2, v164
	ds_read_b128 v[9:12], v140 offset:784
	s_waitcnt vmcnt(28)
	v_fmac_f32_e32 v162, v8, v177
	v_fma_f32 v159, v7, v177, -v159
	s_clause 0x3
	buffer_load_dword v164, off, s[0:3], 0 offset:384
	buffer_load_dword v177, off, s[0:3], 0 offset:376
	;; [unrolled: 1-line block ×4, first 2 shown]
	s_waitcnt vmcnt(31)
	v_mul_f32_e32 v194, v3, v175
	v_mul_f32_e32 v6, v4, v175
	v_fmac_f32_e32 v161, v2, v173
	v_fma_f32 v173, v1, v173, -v5
	s_waitcnt vmcnt(30) lgkmcnt(1)
	v_mul_f32_e32 v175, v141, v169
	s_waitcnt vmcnt(29)
	v_mul_f32_e32 v206, v143, v170
	v_mul_f32_e32 v1, v142, v169
	;; [unrolled: 1-line block ×3, first 2 shown]
	s_clause 0x2
	buffer_load_dword v169, off, s[0:3], 0 offset:372
	buffer_load_dword v170, off, s[0:3], 0 offset:380
	;; [unrolled: 1-line block ×3, first 2 shown]
	v_fmac_f32_e32 v194, v4, v167
	v_fma_f32 v167, v3, v167, -v6
	v_fmac_f32_e32 v175, v142, v166
	v_fma_f32 v141, v141, v166, -v1
	s_waitcnt vmcnt(28)
	v_fma_f32 v142, v143, v188, -v2
	ds_read_b128 v[1:4], v140 offset:800
	v_add_f32_e32 v5, 0, v201
	s_waitcnt vmcnt(27) lgkmcnt(1)
	v_mul_f32_e32 v6, v10, v185
	v_add_f32_e32 v8, 0, v148
	v_fmac_f32_e32 v206, v144, v188
	v_mul_f32_e32 v143, v9, v185
	v_add_f32_e32 v5, v5, v202
	v_fma_f32 v148, v9, v182, -v6
	v_add_f32_e32 v6, v8, v147
	s_waitcnt vmcnt(26)
	v_mul_f32_e32 v144, v11, v186
	v_mul_f32_e32 v7, v12, v186
	v_add_f32_e32 v5, v5, v203
	v_fmac_f32_e32 v143, v10, v182
	v_add_f32_e32 v6, v6, v145
	v_fmac_f32_e32 v144, v12, v181
	v_fma_f32 v166, v11, v181, -v7
	v_add_f32_e32 v5, v5, v204
	s_clause 0x7
	buffer_load_dword v181, off, s[0:3], 0 offset:396
	buffer_load_dword v182, off, s[0:3], 0 offset:404
	;; [unrolled: 1-line block ×8, first 2 shown]
	v_add_f32_e32 v6, v6, v146
	s_clause 0x1
	buffer_load_dword v204, off, s[0:3], 0 offset:428
	buffer_load_dword v208, off, s[0:3], 0 offset:436
	s_waitcnt vmcnt(35) lgkmcnt(0)
	v_mul_f32_e32 v145, v1, v178
	v_mul_f32_e32 v7, v2, v178
	v_add_f32_e32 v5, v5, v205
	s_waitcnt vmcnt(34)
	v_mul_f32_e32 v147, v3, v174
	s_clause 0x1
	buffer_load_dword v178, off, s[0:3], 0 offset:444
	buffer_load_dword v205, off, s[0:3], 0 offset:452
	v_fmac_f32_e32 v145, v2, v176
	v_fma_f32 v146, v1, v176, -v7
	v_add_f32_e32 v1, v6, v152
	v_add_f32_e32 v2, v5, v155
	s_clause 0x3
	buffer_load_dword v176, off, s[0:3], 0 offset:460
	buffer_load_dword v209, off, s[0:3], 0 offset:468
	;; [unrolled: 1-line block ×4, first 2 shown]
	s_waitcnt vmcnt(36)
	v_fmac_f32_e32 v147, v4, v187
	buffer_load_dword v212, off, s[0:3], 0 offset:492
	v_add_f32_e32 v1, v1, v150
	v_add_f32_e32 v5, v2, v154
	v_mul_f32_e32 v2, v4, v174
	buffer_load_dword v174, off, s[0:3], 0 offset:500
	v_add_f32_e32 v6, v1, v149
	v_add_f32_e32 v5, v5, v153
	v_fma_f32 v149, v3, v187, -v2
	ds_read_b128 v[1:4], v140 offset:816
	v_add_f32_e32 v6, v6, v163
	v_add_f32_e32 v5, v5, v151
	s_clause 0x3
	buffer_load_dword v163, off, s[0:3], 0 offset:448
	buffer_load_dword v187, off, s[0:3], 0 offset:440
	;; [unrolled: 1-line block ×4, first 2 shown]
	v_add_f32_e32 v6, v6, v156
	v_add_f32_e32 v5, v5, v191
	;; [unrolled: 1-line block ×4, first 2 shown]
	ds_read_b128 v[5:8], v140 offset:832
	v_add_f32_e32 v9, v9, v157
	v_add_f32_e32 v10, v10, v162
	s_waitcnt vmcnt(41) lgkmcnt(1)
	v_mul_f32_e32 v150, v1, v180
	v_mul_f32_e32 v11, v2, v180
	s_waitcnt vmcnt(40)
	v_mul_f32_e32 v152, v3, v189
	v_fmac_f32_e32 v150, v2, v179
	v_fma_f32 v151, v1, v179, -v11
	v_add_f32_e32 v1, v9, v159
	v_add_f32_e32 v2, v10, v161
	s_clause 0x3
	buffer_load_dword v159, off, s[0:3], 0 offset:480
	buffer_load_dword v160, off, s[0:3], 0 offset:472
	;; [unrolled: 1-line block ×4, first 2 shown]
	v_mul_f32_e32 v9, v4, v189
	v_fmac_f32_e32 v152, v4, v172
	v_add_f32_e32 v1, v1, v173
	s_clause 0x1
	buffer_load_dword v173, off, s[0:3], 0 offset:496
	buffer_load_dword v179, off, s[0:3], 0 offset:488
	v_add_f32_e32 v2, v2, v194
	s_waitcnt vmcnt(45) lgkmcnt(0)
	v_mul_f32_e32 v154, v5, v184
	s_waitcnt vmcnt(44)
	v_mul_f32_e32 v155, v7, v183
	v_add_f32_e32 v1, v1, v167
	buffer_load_dword v167, off, s[0:3], 0 offset:136
	v_add_f32_e32 v2, v2, v175
	v_fma_f32 v153, v3, v172, -v9
	v_fmac_f32_e32 v154, v6, v165
	v_add_f32_e32 v10, v1, v141
	s_waitcnt vmcnt(38)
	v_fmac_f32_e32 v155, v8, v199
	v_add_f32_e32 v141, v2, v206
	ds_read_b128 v[1:4], v140 offset:848
	v_add_f32_e32 v142, v10, v142
	ds_read_b128 v[9:12], v140 offset:864
	v_add_f32_e32 v141, v141, v143
	v_mul_f32_e32 v143, v6, v184
	v_add_f32_e32 v142, v142, v148
	v_mul_f32_e32 v148, v8, v183
	v_add_f32_e32 v157, v141, v144
	v_fma_f32 v156, v5, v165, -v143
	v_fma_f32 v158, v7, v199, -v148
	v_add_f32_e32 v148, v142, v166
	v_add_f32_e32 v145, v157, v145
	ds_read_b128 v[5:8], v140 offset:880
	ds_read_b128 v[141:144], v140 offset:896
	v_add_f32_e32 v146, v148, v146
	v_add_f32_e32 v145, v145, v147
	s_waitcnt lgkmcnt(3)
	v_mul_f32_e32 v165, v2, v171
	v_mul_f32_e32 v157, v1, v171
	;; [unrolled: 1-line block ×3, first 2 shown]
	v_add_f32_e32 v146, v146, v149
	v_add_f32_e32 v150, v145, v150
	v_fma_f32 v165, v1, v198, -v165
	v_mul_f32_e32 v166, v3, v168
	v_fmac_f32_e32 v157, v2, v198
	v_add_f32_e32 v151, v146, v151
	v_add_f32_e32 v183, v150, v152
	s_waitcnt lgkmcnt(2)
	v_mul_f32_e32 v149, v10, v196
	v_fma_f32 v172, v3, v197, -v148
	v_mul_f32_e32 v168, v9, v196
	v_add_f32_e32 v153, v151, v153
	v_add_f32_e32 v154, v183, v154
	v_fmac_f32_e32 v166, v4, v197
	s_waitcnt vmcnt(37)
	v_mul_f32_e32 v175, v12, v200
	v_fma_f32 v180, v9, v195, -v149
	v_add_f32_e32 v153, v153, v156
	v_mul_f32_e32 v171, v11, v200
	v_fmac_f32_e32 v168, v10, v195
	ds_read_b128 v[1:4], v140 offset:912
	ds_read_b128 v[145:148], v140 offset:928
	v_add_f32_e32 v153, v153, v158
	v_add_f32_e32 v165, v153, v165
	;; [unrolled: 1-line block ×4, first 2 shown]
	s_waitcnt vmcnt(32)
	v_fma_f32 v175, v11, v193, -v175
	v_fmac_f32_e32 v171, v12, v193
	ds_read_b128 v[9:12], v140 offset:944
	ds_read_b128 v[149:152], v140 offset:960
	v_add_f32_e32 v165, v165, v175
	s_waitcnt vmcnt(31) lgkmcnt(5)
	v_mul_f32_e32 v183, v5, v169
	s_waitcnt vmcnt(30)
	v_mul_f32_e32 v184, v7, v170
	v_mul_f32_e32 v156, v6, v169
	;; [unrolled: 1-line block ×3, first 2 shown]
	s_waitcnt vmcnt(29) lgkmcnt(4)
	v_mul_f32_e32 v189, v142, v207
	v_fmac_f32_e32 v183, v6, v192
	v_add_f32_e32 v6, v154, v155
	v_fmac_f32_e32 v184, v8, v177
	v_fma_f32 v169, v7, v177, -v169
	v_fma_f32 v170, v5, v192, -v156
	v_add_f32_e32 v177, v6, v157
	ds_read_b128 v[5:8], v140 offset:976
	ds_read_b128 v[153:156], v140 offset:992
	ds_read_b64 v[157:158], v140 offset:1008
	v_add_f32_e32 v165, v165, v170
	v_add_f32_e32 v166, v177, v166
	v_mul_f32_e32 v177, v141, v207
	v_fma_f32 v141, v141, v164, -v189
	s_waitcnt vmcnt(28)
	v_mul_f32_e32 v172, v143, v181
	v_mul_f32_e32 v181, v144, v181
	v_add_f32_e32 v166, v166, v168
	v_fmac_f32_e32 v177, v142, v164
	v_add_f32_e32 v165, v165, v169
	s_waitcnt vmcnt(27) lgkmcnt(6)
	v_mul_f32_e32 v168, v1, v182
	v_mul_f32_e32 v175, v2, v182
	v_add_f32_e32 v164, v166, v171
	s_waitcnt vmcnt(21)
	v_fma_f32 v143, v143, v203, -v181
	v_add_f32_e32 v141, v165, v141
	v_fmac_f32_e32 v172, v144, v203
	v_mul_f32_e32 v169, v4, v185
	v_add_f32_e32 v164, v164, v183
	v_fmac_f32_e32 v168, v2, v202
	v_fma_f32 v1, v1, v202, -v175
	v_add_f32_e32 v2, v141, v143
	v_mul_f32_e32 v180, v3, v185
	v_add_f32_e32 v164, v164, v184
	s_waitcnt lgkmcnt(5)
	v_mul_f32_e32 v143, v146, v186
	v_fma_f32 v3, v3, v201, -v169
	v_add_f32_e32 v1, v2, v1
	v_mul_f32_e32 v142, v145, v186
	v_add_f32_e32 v164, v164, v177
	v_fmac_f32_e32 v180, v4, v201
	s_waitcnt vmcnt(20)
	v_mul_f32_e32 v4, v148, v204
	v_add_f32_e32 v1, v1, v3
	v_mul_f32_e32 v166, v147, v204
	v_add_f32_e32 v141, v164, v172
	v_fmac_f32_e32 v142, v146, v188
	s_waitcnt vmcnt(19) lgkmcnt(4)
	v_mul_f32_e32 v3, v10, v208
	v_mul_f32_e32 v171, v9, v208
	s_waitcnt vmcnt(18)
	v_mul_f32_e32 v144, v11, v178
	v_add_f32_e32 v2, v141, v168
	v_fma_f32 v141, v145, v188, -v143
	s_waitcnt vmcnt(7)
	v_fma_f32 v4, v147, v214, -v4
	v_fmac_f32_e32 v166, v148, v214
	v_fma_f32 v3, v9, v213, -v3
	v_add_f32_e32 v2, v2, v180
	v_add_f32_e32 v1, v1, v141
	v_mul_f32_e32 v141, v12, v178
	v_fmac_f32_e32 v171, v10, v213
	s_waitcnt lgkmcnt(3)
	v_mul_f32_e32 v181, v149, v205
	v_add_f32_e32 v2, v2, v142
	v_add_f32_e32 v1, v1, v4
	v_mul_f32_e32 v4, v150, v205
	v_fma_f32 v9, v11, v187, -v141
	v_fmac_f32_e32 v144, v12, v187
	v_add_f32_e32 v2, v2, v166
	v_add_f32_e32 v1, v1, v3
	v_mul_f32_e32 v3, v152, v176
	v_fma_f32 v4, v149, v163, -v4
	v_mul_f32_e32 v170, v151, v176
	v_add_f32_e32 v2, v2, v171
	v_add_f32_e32 v1, v1, v9
	v_fmac_f32_e32 v181, v150, v163
	s_waitcnt lgkmcnt(2)
	v_mul_f32_e32 v9, v6, v209
	v_mul_f32_e32 v182, v5, v209
	v_add_f32_e32 v2, v2, v144
	s_waitcnt vmcnt(3)
	v_fma_f32 v3, v151, v162, -v3
	v_add_f32_e32 v1, v1, v4
	v_fmac_f32_e32 v170, v152, v162
	v_mul_f32_e32 v4, v8, v210
	v_add_f32_e32 v2, v2, v181
	v_fma_f32 v5, v5, v161, -v9
	v_add_f32_e32 v1, v1, v3
	v_mul_f32_e32 v183, v7, v210
	v_fmac_f32_e32 v182, v6, v161
	v_add_f32_e32 v2, v2, v170
	s_waitcnt lgkmcnt(1)
	v_mul_f32_e32 v3, v154, v211
	v_fma_f32 v4, v7, v160, -v4
	v_add_f32_e32 v1, v1, v5
	v_mul_f32_e32 v184, v153, v211
	v_fmac_f32_e32 v183, v8, v160
	v_add_f32_e32 v2, v2, v182
	v_mul_f32_e32 v5, v156, v212
	v_fma_f32 v3, v153, v159, -v3
	v_add_f32_e32 v1, v1, v4
	v_mul_f32_e32 v185, v155, v212
	v_fmac_f32_e32 v184, v154, v159
	v_add_f32_e32 v2, v2, v183
	s_waitcnt lgkmcnt(0)
	v_mul_f32_e32 v4, v158, v174
	s_waitcnt vmcnt(1)
	v_fma_f32 v5, v155, v179, -v5
	v_add_f32_e32 v1, v1, v3
	v_mul_f32_e32 v165, v157, v174
	v_fmac_f32_e32 v185, v156, v179
	v_add_f32_e32 v2, v2, v184
	v_fma_f32 v3, v157, v173, -v4
	v_add_f32_e32 v1, v1, v5
	v_fmac_f32_e32 v165, v158, v173
	v_add_f32_e32 v2, v2, v185
	v_add_f32_e32 v1, v1, v3
	;; [unrolled: 1-line block ×3, first 2 shown]
	s_waitcnt vmcnt(0)
	v_sub_f32_e32 v1, v167, v1
	v_sub_f32_e32 v2, v190, v2
	buffer_store_dword v1, off, s[0:3], 0 offset:136
	buffer_store_dword v2, off, s[0:3], 0 offset:140
	v_cmpx_lt_u32_e32 16, v0
	s_cbranch_execz .LBB126_359
; %bb.358:
	s_clause 0x1
	buffer_load_dword v1, off, s[0:3], 0 offset:128
	buffer_load_dword v2, off, s[0:3], 0 offset:132
	buffer_store_dword v140, off, s[0:3], 0 offset:128
	buffer_store_dword v140, off, s[0:3], 0 offset:132
	s_waitcnt vmcnt(0)
	ds_write_b64 v139, v[1:2]
.LBB126_359:
	s_or_b32 exec_lo, exec_lo, s4
	s_waitcnt lgkmcnt(0)
	s_waitcnt_vscnt null, 0x0
	s_barrier
	buffer_gl0_inv
	s_clause 0x2c
	buffer_load_dword v181, off, s[0:3], 0 offset:140
	buffer_load_dword v182, off, s[0:3], 0 offset:148
	;; [unrolled: 1-line block ×45, first 2 shown]
	ds_read2_b64 v[5:8], v140 offset0:81 offset1:82
	buffer_load_dword v175, off, s[0:3], 0 offset:316
	ds_read2_b64 v[1:4], v140 offset0:83 offset1:84
	ds_read2_b64 v[191:194], v140 offset0:85 offset1:86
	s_clause 0x7
	buffer_load_dword v189, off, s[0:3], 0 offset:324
	buffer_load_dword v187, off, s[0:3], 0 offset:332
	buffer_load_dword v186, off, s[0:3], 0 offset:340
	buffer_load_dword v185, off, s[0:3], 0 offset:348
	buffer_load_dword v183, off, s[0:3], 0 offset:344
	buffer_load_dword v184, off, s[0:3], 0 offset:336
	buffer_load_dword v188, off, s[0:3], 0 offset:328
	buffer_load_dword v190, off, s[0:3], 0 offset:320
	ds_read2_b64 v[195:198], v140 offset0:87 offset1:88
	s_mov_b32 s4, exec_lo
	s_waitcnt vmcnt(53) lgkmcnt(3)
	v_mul_f32_e32 v199, v5, v181
	s_waitcnt vmcnt(52)
	v_mul_f32_e32 v200, v7, v182
	v_mul_f32_e32 v201, v6, v181
	;; [unrolled: 1-line block ×3, first 2 shown]
	buffer_load_dword v181, off, s[0:3], 0 offset:132
	s_waitcnt vmcnt(50)
	v_fmac_f32_e32 v199, v6, v143
	v_fmac_f32_e32 v200, v8, v142
	v_fma_f32 v201, v5, v143, -v201
	v_fma_f32 v182, v7, v142, -v182
	ds_read2_b64 v[5:8], v140 offset0:89 offset1:90
	s_waitcnt vmcnt(49) lgkmcnt(3)
	v_mul_f32_e32 v202, v1, v12
	v_mul_f32_e32 v12, v2, v12
	s_waitcnt vmcnt(48)
	v_mul_f32_e32 v203, v3, v11
	v_mul_f32_e32 v11, v4, v11
	s_waitcnt vmcnt(47) lgkmcnt(2)
	v_mul_f32_e32 v204, v191, v10
	v_fmac_f32_e32 v202, v2, v9
	v_fma_f32 v205, v1, v9, -v12
	s_waitcnt vmcnt(46)
	v_mul_f32_e32 v206, v193, v141
	v_mul_f32_e32 v9, v192, v10
	;; [unrolled: 1-line block ×3, first 2 shown]
	s_waitcnt vmcnt(42)
	v_fmac_f32_e32 v203, v4, v149
	v_fma_f32 v149, v3, v149, -v11
	ds_read2_b64 v[1:4], v140 offset0:91 offset1:92
	v_fmac_f32_e32 v204, v192, v148
	v_fmac_f32_e32 v206, v194, v146
	v_fma_f32 v148, v191, v148, -v9
	v_fma_f32 v146, v193, v146, -v10
	ds_read2_b64 v[9:12], v140 offset0:93 offset1:94
	s_waitcnt vmcnt(41) lgkmcnt(3)
	v_mul_f32_e32 v191, v195, v147
	v_mul_f32_e32 v141, v196, v147
	s_waitcnt vmcnt(40)
	v_mul_f32_e32 v147, v197, v145
	v_mul_f32_e32 v142, v198, v145
	s_waitcnt vmcnt(39) lgkmcnt(2)
	v_mul_f32_e32 v145, v5, v150
	v_fmac_f32_e32 v191, v196, v144
	v_fma_f32 v192, v195, v144, -v141
	s_waitcnt vmcnt(34)
	v_fmac_f32_e32 v147, v198, v157
	v_fma_f32 v157, v197, v157, -v142
	ds_read2_b64 v[141:144], v140 offset0:95 offset1:96
	v_mul_f32_e32 v193, v7, v151
	v_mul_f32_e32 v150, v6, v150
	;; [unrolled: 1-line block ×3, first 2 shown]
	v_fmac_f32_e32 v145, v6, v156
	v_fmac_f32_e32 v193, v8, v154
	v_fma_f32 v150, v5, v156, -v150
	v_fma_f32 v151, v7, v154, -v151
	ds_read2_b64 v[5:8], v140 offset0:97 offset1:98
	s_waitcnt vmcnt(33) lgkmcnt(3)
	v_mul_f32_e32 v154, v1, v155
	v_mul_f32_e32 v155, v2, v155
	s_waitcnt vmcnt(32)
	v_mul_f32_e32 v156, v3, v153
	v_mul_f32_e32 v153, v4, v153
	s_waitcnt vmcnt(31) lgkmcnt(2)
	v_mul_f32_e32 v194, v9, v158
	v_fmac_f32_e32 v154, v2, v152
	v_fma_f32 v152, v1, v152, -v155
	s_waitcnt vmcnt(30)
	v_mul_f32_e32 v155, v11, v159
	v_mul_f32_e32 v159, v12, v159
	s_waitcnt vmcnt(26)
	v_fmac_f32_e32 v156, v4, v166
	v_fma_f32 v153, v3, v166, -v153
	ds_read2_b64 v[1:4], v140 offset0:99 offset1:100
	v_mul_f32_e32 v158, v10, v158
	v_fmac_f32_e32 v155, v12, v163
	v_fma_f32 v159, v11, v163, -v159
	s_waitcnt vmcnt(25) lgkmcnt(2)
	v_mul_f32_e32 v163, v141, v161
	v_mul_f32_e32 v161, v142, v161
	v_fmac_f32_e32 v194, v10, v165
	v_fma_f32 v158, v9, v165, -v158
	ds_read2_b64 v[9:12], v140 offset0:101 offset1:102
	v_fmac_f32_e32 v163, v142, v160
	v_fma_f32 v141, v141, v160, -v161
	s_clause 0x1
	buffer_load_dword v160, off, s[0:3], 0 offset:356
	buffer_load_dword v161, off, s[0:3], 0 offset:364
	s_waitcnt vmcnt(26)
	v_mul_f32_e32 v165, v143, v162
	v_mul_f32_e32 v162, v144, v162
	s_waitcnt vmcnt(25) lgkmcnt(2)
	v_mul_f32_e32 v166, v5, v167
	v_mul_f32_e32 v167, v6, v167
	s_waitcnt vmcnt(21)
	v_fmac_f32_e32 v165, v144, v174
	v_fma_f32 v142, v143, v174, -v162
	s_waitcnt vmcnt(20)
	v_mul_f32_e32 v143, v7, v173
	v_mul_f32_e32 v144, v8, v173
	v_fmac_f32_e32 v166, v6, v172
	v_fma_f32 v162, v5, v172, -v167
	s_clause 0x3
	buffer_load_dword v167, off, s[0:3], 0 offset:376
	buffer_load_dword v172, off, s[0:3], 0 offset:368
	;; [unrolled: 1-line block ×4, first 2 shown]
	v_fmac_f32_e32 v143, v8, v169
	v_fma_f32 v144, v7, v169, -v144
	s_waitcnt vmcnt(23) lgkmcnt(1)
	v_mul_f32_e32 v169, v1, v170
	s_waitcnt vmcnt(22)
	v_mul_f32_e32 v195, v3, v171
	v_mul_f32_e32 v5, v2, v170
	;; [unrolled: 1-line block ×3, first 2 shown]
	s_clause 0x1
	buffer_load_dword v170, off, s[0:3], 0 offset:372
	buffer_load_dword v171, off, s[0:3], 0 offset:380
	s_waitcnt vmcnt(18) lgkmcnt(0)
	v_mul_f32_e32 v198, v11, v179
	v_fmac_f32_e32 v195, v4, v180
	v_fmac_f32_e32 v169, v2, v168
	v_fma_f32 v180, v3, v180, -v6
	v_mul_f32_e32 v6, v12, v179
	v_fma_f32 v168, v1, v168, -v5
	v_mul_f32_e32 v197, v9, v178
	v_mul_f32_e32 v5, v10, v178
	v_fmac_f32_e32 v198, v12, v176
	v_fma_f32 v176, v11, v176, -v6
	v_add_f32_e32 v6, 0, v201
	v_fmac_f32_e32 v197, v10, v177
	v_fma_f32 v177, v9, v177, -v5
	v_add_f32_e32 v5, 0, v199
	buffer_load_dword v196, off, s[0:3], 0 offset:388
	v_add_f32_e32 v6, v6, v182
	ds_read2_b64 v[1:4], v140 offset0:103 offset1:104
	s_clause 0x3
	buffer_load_dword v178, off, s[0:3], 0 offset:408
	buffer_load_dword v179, off, s[0:3], 0 offset:400
	;; [unrolled: 1-line block ×4, first 2 shown]
	v_add_f32_e32 v5, v5, v200
	s_clause 0x2
	buffer_load_dword v200, off, s[0:3], 0 offset:396
	buffer_load_dword v182, off, s[0:3], 0 offset:404
	;; [unrolled: 1-line block ×3, first 2 shown]
	v_add_f32_e32 v6, v6, v205
	v_add_f32_e32 v5, v5, v202
	;; [unrolled: 1-line block ×4, first 2 shown]
	s_clause 0x2
	buffer_load_dword v202, off, s[0:3], 0 offset:420
	buffer_load_dword v203, off, s[0:3], 0 offset:428
	;; [unrolled: 1-line block ×3, first 2 shown]
	v_add_f32_e32 v6, v6, v148
	v_add_f32_e32 v5, v5, v204
	s_clause 0x2
	buffer_load_dword v204, off, s[0:3], 0 offset:444
	buffer_load_dword v208, off, s[0:3], 0 offset:452
	;; [unrolled: 1-line block ×3, first 2 shown]
	s_waitcnt vmcnt(31) lgkmcnt(0)
	v_mul_f32_e32 v149, v1, v175
	v_add_f32_e32 v6, v6, v146
	v_add_f32_e32 v5, v5, v206
	s_clause 0x2
	buffer_load_dword v206, off, s[0:3], 0 offset:468
	buffer_load_dword v210, off, s[0:3], 0 offset:476
	;; [unrolled: 1-line block ×3, first 2 shown]
	v_mul_f32_e32 v7, v2, v175
	v_add_f32_e32 v6, v6, v192
	v_add_f32_e32 v5, v5, v191
	s_clause 0x1
	buffer_load_dword v191, off, s[0:3], 0 offset:492
	buffer_load_dword v192, off, s[0:3], 0 offset:500
	v_fmac_f32_e32 v149, v2, v164
	v_add_f32_e32 v6, v6, v157
	s_clause 0x3
	buffer_load_dword v157, off, s[0:3], 0 offset:440
	buffer_load_dword v212, off, s[0:3], 0 offset:432
	;; [unrolled: 1-line block ×4, first 2 shown]
	v_add_f32_e32 v5, v5, v147
	v_add_f32_e32 v6, v6, v150
	v_fma_f32 v150, v1, v164, -v7
	v_add_f32_e32 v5, v5, v145
	v_add_f32_e32 v6, v6, v151
	;; [unrolled: 1-line block ×3, first 2 shown]
	s_clause 0x3
	buffer_load_dword v193, off, s[0:3], 0 offset:472
	buffer_load_dword v215, off, s[0:3], 0 offset:464
	;; [unrolled: 1-line block ×4, first 2 shown]
	v_add_f32_e32 v6, v6, v152
	v_add_f32_e32 v5, v5, v154
	;; [unrolled: 1-line block ×3, first 2 shown]
	s_waitcnt vmcnt(43)
	v_mul_f32_e32 v153, v3, v189
	v_add_f32_e32 v5, v5, v156
	v_add_f32_e32 v6, v6, v158
	s_waitcnt vmcnt(36)
	v_fmac_f32_e32 v153, v4, v190
	v_add_f32_e32 v5, v5, v194
	s_clause 0x3
	buffer_load_dword v194, off, s[0:3], 0 offset:496
	buffer_load_dword v218, off, s[0:3], 0 offset:488
	;; [unrolled: 1-line block ×4, first 2 shown]
	v_add_f32_e32 v6, v6, v159
	v_add_f32_e32 v5, v5, v155
	;; [unrolled: 1-line block ×4, first 2 shown]
	ds_read2_b64 v[5:8], v140 offset0:105 offset1:106
	v_add_f32_e32 v9, v1, v142
	v_mul_f32_e32 v1, v4, v189
	v_add_f32_e32 v10, v2, v165
	v_add_f32_e32 v141, v9, v162
	v_fma_f32 v154, v3, v190, -v1
	ds_read2_b64 v[1:4], v140 offset0:107 offset1:108
	v_add_f32_e32 v142, v10, v166
	ds_read2_b64 v[9:12], v140 offset0:109 offset1:110
	v_add_f32_e32 v141, v141, v144
	v_add_f32_e32 v142, v142, v143
	;; [unrolled: 1-line block ×3, first 2 shown]
	s_waitcnt lgkmcnt(2)
	v_mul_f32_e32 v144, v6, v187
	v_mul_f32_e32 v155, v5, v187
	;; [unrolled: 1-line block ×3, first 2 shown]
	v_fma_f32 v156, v5, v188, -v144
	v_add_f32_e32 v5, v142, v169
	v_fmac_f32_e32 v155, v6, v188
	v_add_f32_e32 v6, v145, v180
	ds_read2_b64 v[141:144], v140 offset0:111 offset1:112
	s_waitcnt lgkmcnt(2)
	v_mul_f32_e32 v146, v2, v185
	v_add_f32_e32 v5, v5, v195
	v_mul_f32_e32 v162, v1, v185
	v_add_f32_e32 v6, v6, v177
	v_mul_f32_e32 v145, v8, v186
	v_fma_f32 v165, v1, v183, -v146
	v_add_f32_e32 v5, v5, v197
	v_fmac_f32_e32 v162, v2, v183
	v_add_f32_e32 v1, v6, v176
	v_fma_f32 v164, v7, v184, -v145
	v_fmac_f32_e32 v159, v8, v184
	v_add_f32_e32 v2, v5, v198
	ds_read2_b64 v[5:8], v140 offset0:113 offset1:114
	ds_read2_b64 v[145:148], v140 offset0:115 offset1:116
	s_waitcnt vmcnt(38)
	v_mul_f32_e32 v163, v3, v160
	v_mul_f32_e32 v151, v4, v160
	s_waitcnt vmcnt(37) lgkmcnt(3)
	v_mul_f32_e32 v160, v9, v161
	v_mul_f32_e32 v152, v10, v161
	s_waitcnt vmcnt(34)
	v_fmac_f32_e32 v160, v10, v173
	v_add_f32_e32 v10, v1, v150
	v_fma_f32 v166, v9, v173, -v152
	v_add_f32_e32 v9, v2, v149
	s_waitcnt vmcnt(33)
	v_fma_f32 v161, v3, v174, -v151
	v_fmac_f32_e32 v163, v4, v174
	v_add_f32_e32 v10, v10, v154
	s_waitcnt vmcnt(32)
	v_mul_f32_e32 v168, v11, v170
	v_add_f32_e32 v9, v9, v153
	s_waitcnt vmcnt(31) lgkmcnt(2)
	v_mul_f32_e32 v169, v141, v171
	v_mul_f32_e32 v153, v142, v171
	v_add_f32_e32 v10, v10, v156
	v_mul_f32_e32 v154, v12, v170
	v_fmac_f32_e32 v168, v12, v172
	v_fmac_f32_e32 v169, v142, v167
	v_fma_f32 v167, v141, v167, -v153
	v_add_f32_e32 v141, v9, v155
	v_add_f32_e32 v164, v10, v164
	v_fma_f32 v172, v11, v172, -v154
	ds_read2_b64 v[1:4], v140 offset0:117 offset1:118
	ds_read2_b64 v[149:152], v140 offset0:119 offset1:120
	;; [unrolled: 1-line block ×4, first 2 shown]
	v_add_f32_e32 v159, v141, v159
	v_add_f32_e32 v164, v164, v165
	s_waitcnt vmcnt(30)
	v_mul_f32_e32 v170, v143, v196
	v_mul_f32_e32 v171, v144, v196
	v_add_f32_e32 v159, v159, v162
	v_add_f32_e32 v161, v164, v161
	s_waitcnt vmcnt(26)
	v_fmac_f32_e32 v170, v144, v207
	v_fma_f32 v144, v143, v207, -v171
	s_waitcnt vmcnt(25) lgkmcnt(5)
	v_mul_f32_e32 v165, v6, v200
	v_add_f32_e32 v159, v159, v163
	v_add_f32_e32 v161, v161, v166
	v_mul_f32_e32 v171, v5, v200
	s_waitcnt vmcnt(24)
	v_mul_f32_e32 v173, v8, v182
	v_fma_f32 v5, v5, v199, -v165
	v_add_f32_e32 v159, v159, v160
	v_add_f32_e32 v161, v161, v172
	v_mul_f32_e32 v162, v7, v182
	v_fmac_f32_e32 v171, v6, v199
	v_fma_f32 v7, v7, v179, -v173
	v_add_f32_e32 v159, v159, v168
	v_add_f32_e32 v161, v161, v167
	s_waitcnt vmcnt(23) lgkmcnt(4)
	v_mul_f32_e32 v164, v145, v201
	v_fmac_f32_e32 v162, v8, v179
	s_waitcnt vmcnt(22)
	v_mul_f32_e32 v163, v147, v202
	v_add_f32_e32 v159, v159, v169
	v_add_f32_e32 v144, v161, v144
	v_mul_f32_e32 v161, v146, v201
	v_fmac_f32_e32 v164, v146, v178
	s_waitcnt vmcnt(21) lgkmcnt(3)
	v_mul_f32_e32 v174, v1, v203
	v_add_f32_e32 v159, v159, v170
	v_add_f32_e32 v5, v144, v5
	v_mul_f32_e32 v144, v148, v202
	v_fma_f32 v145, v145, v178, -v161
	s_waitcnt vmcnt(20)
	v_mul_f32_e32 v166, v3, v205
	v_add_f32_e32 v8, v159, v171
	v_add_f32_e32 v5, v5, v7
	s_waitcnt vmcnt(8)
	v_fma_f32 v144, v147, v214, -v144
	v_fmac_f32_e32 v163, v148, v214
	v_fmac_f32_e32 v174, v2, v213
	v_add_f32_e32 v7, v8, v162
	v_mul_f32_e32 v8, v2, v203
	v_add_f32_e32 v5, v5, v145
	v_mul_f32_e32 v145, v4, v205
	s_waitcnt lgkmcnt(2)
	v_mul_f32_e32 v160, v149, v204
	v_add_f32_e32 v7, v7, v164
	v_fma_f32 v1, v1, v213, -v8
	v_add_f32_e32 v2, v5, v144
	v_fma_f32 v3, v3, v212, -v145
	v_fmac_f32_e32 v166, v4, v212
	v_add_f32_e32 v5, v7, v163
	v_mul_f32_e32 v7, v150, v204
	v_add_f32_e32 v1, v2, v1
	v_mul_f32_e32 v4, v152, v208
	v_mul_f32_e32 v175, v151, v208
	v_add_f32_e32 v2, v5, v174
	v_fma_f32 v5, v149, v157, -v7
	v_add_f32_e32 v1, v1, v3
	v_fmac_f32_e32 v160, v150, v157
	ds_read2_b64 v[140:143], v140 offset0:125 offset1:126
	v_add_f32_e32 v2, v2, v166
	s_waitcnt lgkmcnt(2)
	v_mul_f32_e32 v3, v10, v209
	s_waitcnt vmcnt(4)
	v_fma_f32 v4, v151, v217, -v4
	v_add_f32_e32 v1, v1, v5
	v_mul_f32_e32 v172, v9, v209
	v_fmac_f32_e32 v175, v152, v217
	v_add_f32_e32 v2, v2, v160
	v_mul_f32_e32 v5, v12, v206
	v_fma_f32 v3, v9, v216, -v3
	v_add_f32_e32 v1, v1, v4
	v_mul_f32_e32 v168, v11, v206
	v_fmac_f32_e32 v172, v10, v216
	v_add_f32_e32 v2, v2, v175
	s_waitcnt lgkmcnt(1)
	v_mul_f32_e32 v4, v154, v210
	v_fma_f32 v5, v11, v215, -v5
	v_add_f32_e32 v1, v1, v3
	v_mul_f32_e32 v176, v153, v210
	v_fmac_f32_e32 v168, v12, v215
	v_add_f32_e32 v2, v2, v172
	v_mul_f32_e32 v3, v156, v211
	v_fma_f32 v4, v153, v193, -v4
	v_add_f32_e32 v1, v1, v5
	v_mul_f32_e32 v167, v155, v211
	v_fmac_f32_e32 v176, v154, v193
	v_add_f32_e32 v2, v2, v168
	s_waitcnt lgkmcnt(0)
	v_mul_f32_e32 v5, v141, v191
	s_waitcnt vmcnt(1)
	v_fma_f32 v3, v155, v219, -v3
	v_add_f32_e32 v1, v1, v4
	v_mul_f32_e32 v169, v140, v191
	v_fmac_f32_e32 v167, v156, v219
	v_add_f32_e32 v2, v2, v176
	v_mul_f32_e32 v4, v143, v192
	v_fma_f32 v5, v140, v218, -v5
	v_add_f32_e32 v1, v1, v3
	v_mul_f32_e32 v6, v142, v192
	v_fmac_f32_e32 v169, v141, v218
	v_add_f32_e32 v2, v2, v167
	v_fma_f32 v3, v142, v194, -v4
	v_add_f32_e32 v1, v1, v5
	v_fmac_f32_e32 v6, v143, v194
	v_add_f32_e32 v2, v2, v169
	v_add_f32_e32 v1, v1, v3
	;; [unrolled: 1-line block ×3, first 2 shown]
	s_waitcnt vmcnt(0)
	v_sub_f32_e32 v1, v158, v1
	v_sub_f32_e32 v2, v181, v2
	buffer_store_dword v1, off, s[0:3], 0 offset:128
	buffer_store_dword v2, off, s[0:3], 0 offset:132
	v_cmpx_lt_u32_e32 15, v0
	s_cbranch_execz .LBB126_361
; %bb.360:
	s_clause 0x1
	buffer_load_dword v1, off, s[0:3], 0 offset:120
	buffer_load_dword v2, off, s[0:3], 0 offset:124
	v_mov_b32_e32 v3, 0
	buffer_store_dword v3, off, s[0:3], 0 offset:120
	buffer_store_dword v3, off, s[0:3], 0 offset:124
	s_waitcnt vmcnt(0)
	ds_write_b64 v139, v[1:2]
.LBB126_361:
	s_or_b32 exec_lo, exec_lo, s4
	s_waitcnt lgkmcnt(0)
	s_waitcnt_vscnt null, 0x0
	s_barrier
	buffer_gl0_inv
	s_clause 0x2c
	buffer_load_dword v11, off, s[0:3], 0 offset:132
	buffer_load_dword v12, off, s[0:3], 0 offset:140
	;; [unrolled: 1-line block ×45, first 2 shown]
	v_mov_b32_e32 v9, 0
	ds_read_b128 v[5:8], v9 offset:640
	ds_read_b128 v[1:4], v9 offset:656
	s_clause 0x9
	buffer_load_dword v188, off, s[0:3], 0 offset:308
	buffer_load_dword v185, off, s[0:3], 0 offset:316
	;; [unrolled: 1-line block ×10, first 2 shown]
	ds_read_b128 v[192:195], v9 offset:672
	ds_read_b128 v[196:199], v9 offset:688
	s_mov_b32 s4, exec_lo
	s_waitcnt vmcnt(54) lgkmcnt(3)
	v_mul_f32_e32 v200, v5, v11
	v_mul_f32_e32 v11, v6, v11
	s_waitcnt vmcnt(53)
	v_mul_f32_e32 v201, v7, v12
	v_mul_f32_e32 v12, v8, v12
	s_waitcnt vmcnt(52) lgkmcnt(2)
	v_mul_f32_e32 v202, v1, v140
	s_waitcnt vmcnt(49)
	v_fmac_f32_e32 v200, v6, v143
	v_fma_f32 v11, v5, v143, -v11
	s_waitcnt vmcnt(48)
	v_mul_f32_e32 v203, v3, v142
	v_mul_f32_e32 v5, v2, v140
	;; [unrolled: 1-line block ×3, first 2 shown]
	v_fmac_f32_e32 v201, v8, v141
	s_waitcnt vmcnt(43) lgkmcnt(1)
	v_mul_f32_e32 v204, v192, v150
	v_mul_f32_e32 v140, v193, v150
	v_fma_f32 v12, v7, v141, -v12
	v_fmac_f32_e32 v202, v2, v10
	v_fmac_f32_e32 v203, v4, v151
	v_fma_f32 v10, v1, v10, -v5
	v_fma_f32 v151, v3, v151, -v6
	ds_read_b128 v[1:4], v9 offset:704
	ds_read_b128 v[5:8], v9 offset:720
	s_waitcnt vmcnt(42)
	v_mul_f32_e32 v150, v194, v149
	v_mul_f32_e32 v141, v195, v149
	s_waitcnt vmcnt(41) lgkmcnt(2)
	v_mul_f32_e32 v149, v196, v147
	v_fmac_f32_e32 v204, v193, v146
	v_fma_f32 v192, v192, v146, -v140
	s_waitcnt vmcnt(40)
	v_mul_f32_e32 v193, v198, v148
	v_mul_f32_e32 v140, v197, v147
	;; [unrolled: 1-line block ×3, first 2 shown]
	v_fmac_f32_e32 v150, v195, v145
	v_fma_f32 v148, v194, v145, -v141
	v_fmac_f32_e32 v149, v197, v144
	s_waitcnt vmcnt(36)
	v_fmac_f32_e32 v193, v199, v159
	v_fma_f32 v194, v196, v144, -v140
	v_fma_f32 v159, v198, v159, -v142
	ds_read_b128 v[140:143], v9 offset:736
	ds_read_b128 v[144:147], v9 offset:752
	s_waitcnt vmcnt(35) lgkmcnt(3)
	v_mul_f32_e32 v195, v1, v157
	s_waitcnt vmcnt(34)
	v_mul_f32_e32 v196, v3, v158
	v_mul_f32_e32 v157, v2, v157
	;; [unrolled: 1-line block ×3, first 2 shown]
	s_waitcnt vmcnt(33) lgkmcnt(2)
	v_mul_f32_e32 v197, v5, v156
	v_mul_f32_e32 v156, v6, v156
	v_fmac_f32_e32 v195, v2, v154
	v_fmac_f32_e32 v196, v4, v153
	v_fma_f32 v154, v1, v154, -v157
	v_fma_f32 v153, v3, v153, -v158
	s_clause 0x1
	buffer_load_dword v157, off, s[0:3], 0 offset:348
	buffer_load_dword v158, off, s[0:3], 0 offset:356
	s_waitcnt vmcnt(34)
	v_mul_f32_e32 v198, v7, v155
	v_mul_f32_e32 v155, v8, v155
	v_fmac_f32_e32 v197, v6, v152
	v_fma_f32 v152, v5, v152, -v156
	ds_read_b128 v[1:4], v9 offset:768
	s_waitcnt vmcnt(29) lgkmcnt(2)
	v_mul_f32_e32 v156, v140, v167
	v_mul_f32_e32 v5, v141, v167
	s_waitcnt vmcnt(28)
	v_mul_f32_e32 v6, v143, v168
	v_fmac_f32_e32 v198, v8, v170
	v_fma_f32 v155, v7, v170, -v155
	v_fmac_f32_e32 v156, v141, v162
	v_fma_f32 v140, v140, v162, -v5
	v_fma_f32 v141, v142, v161, -v6
	ds_read_b128 v[5:8], v9 offset:784
	v_mul_f32_e32 v170, v142, v168
	s_waitcnt vmcnt(27) lgkmcnt(2)
	v_mul_f32_e32 v167, v144, v164
	s_waitcnt vmcnt(26)
	v_mul_f32_e32 v168, v146, v165
	v_mul_f32_e32 v164, v145, v164
	;; [unrolled: 1-line block ×3, first 2 shown]
	v_fmac_f32_e32 v170, v143, v161
	v_fmac_f32_e32 v167, v145, v160
	s_waitcnt vmcnt(22)
	v_fmac_f32_e32 v168, v147, v183
	v_fma_f32 v142, v144, v160, -v164
	v_fma_f32 v143, v146, v183, -v165
	s_clause 0x5
	buffer_load_dword v160, off, s[0:3], 0 offset:364
	buffer_load_dword v161, off, s[0:3], 0 offset:372
	;; [unrolled: 1-line block ×6, first 2 shown]
	s_waitcnt vmcnt(27) lgkmcnt(1)
	v_mul_f32_e32 v144, v1, v178
	s_waitcnt vmcnt(26)
	v_mul_f32_e32 v145, v3, v179
	v_mul_f32_e32 v146, v2, v178
	;; [unrolled: 1-line block ×3, first 2 shown]
	v_add_f32_e32 v179, 0, v200
	v_fmac_f32_e32 v144, v2, v176
	v_fmac_f32_e32 v145, v4, v172
	v_fma_f32 v146, v1, v176, -v146
	v_fma_f32 v147, v3, v172, -v147
	ds_read_b128 v[1:4], v9 offset:800
	s_waitcnt vmcnt(25) lgkmcnt(1)
	v_mul_f32_e32 v172, v5, v173
	v_mul_f32_e32 v173, v6, v173
	buffer_load_dword v178, off, s[0:3], 0 offset:380
	s_waitcnt vmcnt(25)
	v_mul_f32_e32 v176, v7, v174
	v_mul_f32_e32 v174, v8, v174
	v_fmac_f32_e32 v172, v6, v171
	v_add_f32_e32 v6, 0, v11
	v_add_f32_e32 v11, v179, v201
	v_fma_f32 v171, v5, v171, -v173
	s_waitcnt vmcnt(21)
	v_fmac_f32_e32 v176, v8, v190
	v_fma_f32 v173, v7, v190, -v174
	v_add_f32_e32 v5, v6, v12
	v_add_f32_e32 v11, v11, v202
	s_clause 0x4
	buffer_load_dword v12, off, s[0:3], 0 offset:400
	buffer_load_dword v174, off, s[0:3], 0 offset:392
	;; [unrolled: 1-line block ×5, first 2 shown]
	v_add_f32_e32 v10, v5, v10
	v_add_f32_e32 v11, v11, v203
	ds_read_b128 v[5:8], v9 offset:816
	s_waitcnt vmcnt(25) lgkmcnt(1)
	v_mul_f32_e32 v200, v1, v189
	v_mul_f32_e32 v189, v2, v189
	v_add_f32_e32 v10, v10, v151
	v_add_f32_e32 v11, v11, v204
	s_clause 0x1
	buffer_load_dword v201, off, s[0:3], 0 offset:396
	buffer_load_dword v202, off, s[0:3], 0 offset:404
	v_fmac_f32_e32 v200, v2, v186
	v_fma_f32 v151, v1, v186, -v189
	v_add_f32_e32 v1, v10, v192
	v_add_f32_e32 v2, v11, v150
	buffer_load_dword v203, off, s[0:3], 0 offset:412
	s_waitcnt vmcnt(27)
	v_mul_f32_e32 v186, v3, v184
	v_mul_f32_e32 v10, v4, v184
	v_add_f32_e32 v1, v1, v148
	v_add_f32_e32 v2, v2, v149
	s_clause 0x2
	buffer_load_dword v189, off, s[0:3], 0 offset:420
	buffer_load_dword v192, off, s[0:3], 0 offset:428
	;; [unrolled: 1-line block ×3, first 2 shown]
	v_fmac_f32_e32 v186, v4, v180
	v_fma_f32 v10, v3, v180, -v10
	v_add_f32_e32 v2, v2, v193
	s_clause 0x1
	buffer_load_dword v180, off, s[0:3], 0 offset:444
	buffer_load_dword v204, off, s[0:3], 0 offset:452
	v_add_f32_e32 v1, v1, v194
	s_clause 0x2
	buffer_load_dword v193, off, s[0:3], 0 offset:460
	buffer_load_dword v194, off, s[0:3], 0 offset:468
	buffer_load_dword v205, off, s[0:3], 0 offset:476
	s_waitcnt vmcnt(34) lgkmcnt(0)
	v_mul_f32_e32 v11, v5, v188
	v_add_f32_e32 v2, v2, v195
	s_clause 0x2
	buffer_load_dword v195, off, s[0:3], 0 offset:484
	buffer_load_dword v206, off, s[0:3], 0 offset:492
	buffer_load_dword v207, off, s[0:3], 0 offset:500
	v_add_f32_e32 v1, v1, v159
	v_mul_f32_e32 v3, v6, v188
	v_fmac_f32_e32 v11, v6, v163
	v_add_f32_e32 v2, v2, v196
	s_clause 0x3
	buffer_load_dword v196, off, s[0:3], 0 offset:432
	buffer_load_dword v208, off, s[0:3], 0 offset:424
	;; [unrolled: 1-line block ×4, first 2 shown]
	v_add_f32_e32 v1, v1, v154
	v_fma_f32 v148, v5, v163, -v3
	v_add_f32_e32 v2, v2, v197
	v_add_f32_e32 v1, v1, v153
	;; [unrolled: 1-line block ×3, first 2 shown]
	s_clause 0x3
	buffer_load_dword v197, off, s[0:3], 0 offset:464
	buffer_load_dword v198, off, s[0:3], 0 offset:456
	;; [unrolled: 1-line block ×4, first 2 shown]
	v_add_f32_e32 v1, v1, v152
	s_waitcnt vmcnt(44)
	v_mul_f32_e32 v152, v7, v185
	v_add_f32_e32 v2, v2, v156
	v_add_f32_e32 v1, v1, v155
	s_waitcnt vmcnt(37)
	v_fmac_f32_e32 v152, v8, v187
	v_add_f32_e32 v2, v2, v170
	s_clause 0x4
	buffer_load_dword v170, off, s[0:3], 0 offset:496
	buffer_load_dword v213, off, s[0:3], 0 offset:488
	;; [unrolled: 1-line block ×5, first 2 shown]
	v_add_f32_e32 v1, v1, v140
	v_add_f32_e32 v2, v2, v167
	;; [unrolled: 1-line block ×6, first 2 shown]
	v_mul_f32_e32 v5, v8, v185
	v_add_f32_e32 v6, v1, v143
	ds_read_b128 v[1:4], v9 offset:832
	v_add_f32_e32 v144, v140, v145
	v_fma_f32 v153, v7, v187, -v5
	v_add_f32_e32 v141, v6, v146
	ds_read_b128 v[5:8], v9 offset:848
	v_add_f32_e32 v144, v144, v172
	v_add_f32_e32 v145, v141, v147
	ds_read_b128 v[140:143], v9 offset:864
	v_add_f32_e32 v149, v144, v176
	v_add_f32_e32 v145, v145, v171
	s_waitcnt lgkmcnt(2)
	v_mul_f32_e32 v146, v2, v181
	v_mul_f32_e32 v156, v1, v181
	;; [unrolled: 1-line block ×3, first 2 shown]
	v_fma_f32 v159, v1, v182, -v146
	v_add_f32_e32 v1, v145, v173
	v_fmac_f32_e32 v156, v2, v182
	v_add_f32_e32 v2, v149, v200
	s_waitcnt lgkmcnt(1)
	v_mul_f32_e32 v167, v5, v175
	v_mul_f32_e32 v150, v6, v175
	v_add_f32_e32 v1, v1, v151
	ds_read_b128 v[144:147], v9 offset:880
	v_add_f32_e32 v2, v2, v186
	v_fmac_f32_e32 v167, v6, v166
	v_fma_f32 v166, v5, v166, -v150
	v_add_f32_e32 v1, v1, v10
	v_mul_f32_e32 v149, v4, v177
	v_add_f32_e32 v5, v2, v11
	v_fmac_f32_e32 v163, v4, v169
	v_add_f32_e32 v6, v1, v148
	v_fma_f32 v10, v3, v169, -v149
	ds_read_b128 v[1:4], v9 offset:896
	ds_read_b128 v[148:151], v9 offset:912
	s_waitcnt vmcnt(40)
	v_mul_f32_e32 v154, v8, v157
	s_waitcnt vmcnt(39) lgkmcnt(3)
	v_mul_f32_e32 v171, v140, v158
	v_mul_f32_e32 v11, v141, v158
	;; [unrolled: 1-line block ×3, first 2 shown]
	s_waitcnt vmcnt(38)
	v_mul_f32_e32 v172, v142, v160
	s_waitcnt vmcnt(34)
	v_fmac_f32_e32 v171, v141, v165
	v_fma_f32 v165, v140, v165, -v11
	v_add_f32_e32 v11, v6, v153
	v_add_f32_e32 v141, v5, v152
	s_waitcnt vmcnt(33)
	v_fma_f32 v169, v7, v183, -v154
	v_fmac_f32_e32 v168, v8, v183
	v_fmac_f32_e32 v172, v143, v164
	v_add_f32_e32 v11, v11, v159
	v_add_f32_e32 v140, v141, v156
	v_mul_f32_e32 v141, v143, v160
	s_waitcnt lgkmcnt(2)
	v_mul_f32_e32 v160, v144, v161
	v_mul_f32_e32 v156, v145, v161
	v_add_f32_e32 v10, v11, v10
	v_add_f32_e32 v140, v140, v163
	v_fma_f32 v164, v142, v164, -v141
	s_waitcnt vmcnt(32)
	v_mul_f32_e32 v161, v147, v178
	v_fmac_f32_e32 v160, v145, v162
	v_add_f32_e32 v166, v10, v166
	v_add_f32_e32 v167, v140, v167
	v_fma_f32 v162, v144, v162, -v156
	v_mul_f32_e32 v163, v146, v178
	ds_read_b128 v[5:8], v9 offset:928
	ds_read_b128 v[152:155], v9 offset:944
	v_add_f32_e32 v166, v166, v169
	v_add_f32_e32 v167, v167, v168
	s_waitcnt vmcnt(28)
	v_fma_f32 v161, v146, v190, -v161
	s_waitcnt vmcnt(27) lgkmcnt(3)
	v_mul_f32_e32 v173, v2, v199
	v_fmac_f32_e32 v163, v147, v190
	v_add_f32_e32 v165, v166, v165
	v_add_f32_e32 v167, v167, v171
	v_mul_f32_e32 v168, v1, v199
	v_fma_f32 v1, v1, v179, -v173
	ds_read_b128 v[140:143], v9 offset:960
	ds_read_b128 v[156:159], v9 offset:976
	v_add_f32_e32 v164, v165, v164
	v_add_f32_e32 v167, v167, v172
	s_waitcnt vmcnt(26)
	v_mul_f32_e32 v175, v4, v201
	v_mul_f32_e32 v169, v3, v201
	v_fmac_f32_e32 v168, v2, v179
	v_add_f32_e32 v162, v164, v162
	v_add_f32_e32 v160, v167, v160
	s_waitcnt vmcnt(25) lgkmcnt(4)
	v_mul_f32_e32 v171, v148, v202
	v_mul_f32_e32 v173, v149, v202
	v_fma_f32 v3, v3, v174, -v175
	v_add_f32_e32 v161, v162, v161
	v_add_f32_e32 v160, v160, v163
	v_fmac_f32_e32 v169, v4, v174
	s_waitcnt vmcnt(24)
	v_mul_f32_e32 v162, v151, v203
	v_fmac_f32_e32 v171, v149, v12
	v_add_f32_e32 v1, v161, v1
	v_add_f32_e32 v160, v160, v168
	v_fma_f32 v12, v148, v12, -v173
	v_mul_f32_e32 v166, v150, v203
	s_waitcnt vmcnt(23) lgkmcnt(3)
	v_mul_f32_e32 v148, v6, v189
	v_add_f32_e32 v1, v1, v3
	v_add_f32_e32 v3, v160, v169
	v_mul_f32_e32 v2, v5, v189
	s_waitcnt vmcnt(22)
	v_mul_f32_e32 v172, v7, v192
	s_waitcnt vmcnt(21) lgkmcnt(2)
	v_mul_f32_e32 v165, v152, v184
	v_add_f32_e32 v1, v1, v12
	v_add_f32_e32 v3, v3, v171
	v_mul_f32_e32 v12, v8, v192
	s_waitcnt vmcnt(9)
	v_fma_f32 v149, v150, v210, -v162
	v_fmac_f32_e32 v166, v151, v210
	v_fma_f32 v5, v5, v209, -v148
	v_fmac_f32_e32 v2, v6, v209
	v_mul_f32_e32 v6, v153, v184
	v_add_f32_e32 v1, v1, v149
	v_add_f32_e32 v3, v3, v166
	v_fma_f32 v7, v7, v208, -v12
	v_fmac_f32_e32 v172, v8, v208
	v_mul_f32_e32 v4, v154, v180
	v_add_f32_e32 v1, v1, v5
	v_add_f32_e32 v2, v3, v2
	v_mul_f32_e32 v3, v155, v180
	v_fma_f32 v5, v152, v196, -v6
	v_fmac_f32_e32 v165, v153, v196
	v_add_f32_e32 v1, v1, v7
	v_add_f32_e32 v2, v2, v172
	s_waitcnt lgkmcnt(1)
	v_mul_f32_e32 v6, v141, v204
	s_waitcnt vmcnt(5)
	v_fma_f32 v3, v154, v212, -v3
	ds_read_b128 v[144:147], v9 offset:992
	ds_read_b64 v[10:11], v9 offset:1008
	v_add_f32_e32 v1, v1, v5
	v_mul_f32_e32 v174, v140, v204
	v_fmac_f32_e32 v4, v155, v212
	v_add_f32_e32 v2, v2, v165
	v_mul_f32_e32 v5, v143, v193
	v_fma_f32 v6, v140, v211, -v6
	v_add_f32_e32 v1, v1, v3
	v_mul_f32_e32 v164, v142, v193
	v_fmac_f32_e32 v174, v141, v211
	v_add_f32_e32 v2, v2, v4
	s_waitcnt lgkmcnt(2)
	v_mul_f32_e32 v3, v157, v194
	v_fma_f32 v4, v142, v198, -v5
	v_add_f32_e32 v1, v1, v6
	v_mul_f32_e32 v167, v156, v194
	v_fmac_f32_e32 v164, v143, v198
	v_add_f32_e32 v2, v2, v174
	v_mul_f32_e32 v5, v159, v205
	v_fma_f32 v3, v156, v197, -v3
	v_add_f32_e32 v1, v1, v4
	v_mul_f32_e32 v175, v158, v205
	v_fmac_f32_e32 v167, v157, v197
	v_add_f32_e32 v2, v2, v164
	s_waitcnt lgkmcnt(1)
	v_mul_f32_e32 v4, v145, v195
	s_waitcnt vmcnt(1)
	v_fma_f32 v5, v158, v215, -v5
	v_add_f32_e32 v1, v1, v3
	v_mul_f32_e32 v163, v144, v195
	v_fmac_f32_e32 v175, v159, v215
	v_add_f32_e32 v2, v2, v167
	v_mul_f32_e32 v3, v147, v206
	v_fma_f32 v4, v144, v214, -v4
	v_add_f32_e32 v1, v1, v5
	v_mul_f32_e32 v176, v146, v206
	v_fmac_f32_e32 v163, v145, v214
	v_add_f32_e32 v2, v2, v175
	s_waitcnt lgkmcnt(0)
	v_mul_f32_e32 v5, v11, v207
	v_fma_f32 v3, v146, v213, -v3
	v_add_f32_e32 v1, v1, v4
	v_mul_f32_e32 v161, v10, v207
	v_fmac_f32_e32 v176, v147, v213
	v_add_f32_e32 v2, v2, v163
	v_fma_f32 v4, v10, v170, -v5
	v_add_f32_e32 v1, v1, v3
	v_fmac_f32_e32 v161, v11, v170
	v_add_f32_e32 v2, v2, v176
	v_add_f32_e32 v1, v1, v4
	;; [unrolled: 1-line block ×3, first 2 shown]
	s_waitcnt vmcnt(0)
	v_sub_f32_e32 v1, v216, v1
	v_sub_f32_e32 v2, v191, v2
	buffer_store_dword v1, off, s[0:3], 0 offset:120
	buffer_store_dword v2, off, s[0:3], 0 offset:124
	v_cmpx_lt_u32_e32 14, v0
	s_cbranch_execz .LBB126_363
; %bb.362:
	s_clause 0x1
	buffer_load_dword v1, off, s[0:3], 0 offset:112
	buffer_load_dword v2, off, s[0:3], 0 offset:116
	buffer_store_dword v9, off, s[0:3], 0 offset:112
	buffer_store_dword v9, off, s[0:3], 0 offset:116
	s_waitcnt vmcnt(0)
	ds_write_b64 v139, v[1:2]
.LBB126_363:
	s_or_b32 exec_lo, exec_lo, s4
	s_waitcnt lgkmcnt(0)
	s_waitcnt_vscnt null, 0x0
	s_barrier
	buffer_gl0_inv
	s_clause 0x33
	buffer_load_dword v174, off, s[0:3], 0 offset:124
	buffer_load_dword v175, off, s[0:3], 0 offset:132
	;; [unrolled: 1-line block ×52, first 2 shown]
	ds_read2_b64 v[183:186], v9 offset0:79 offset1:80
	ds_read2_b64 v[187:190], v9 offset0:81 offset1:82
	;; [unrolled: 1-line block ×3, first 2 shown]
	s_clause 0x1
	buffer_load_dword v180, off, s[0:3], 0 offset:316
	buffer_load_dword v181, off, s[0:3], 0 offset:324
	ds_read2_b64 v[195:198], v9 offset0:85 offset1:86
	s_mov_b32 s4, exec_lo
	s_waitcnt vmcnt(53) lgkmcnt(3)
	v_mul_f32_e32 v199, v183, v174
	v_mul_f32_e32 v200, v184, v174
	s_waitcnt vmcnt(52)
	v_mul_f32_e32 v201, v185, v175
	v_mul_f32_e32 v175, v186, v175
	buffer_load_dword v174, off, s[0:3], 0 offset:116
	s_waitcnt vmcnt(50)
	v_fmac_f32_e32 v199, v184, v7
	v_fma_f32 v200, v183, v7, -v200
	v_fmac_f32_e32 v201, v186, v5
	v_fma_f32 v175, v185, v5, -v175
	ds_read2_b64 v[183:186], v9 offset0:87 offset1:88
	s_waitcnt vmcnt(49) lgkmcnt(3)
	v_mul_f32_e32 v202, v187, v2
	s_waitcnt vmcnt(48)
	v_mul_f32_e32 v203, v189, v3
	v_mul_f32_e32 v2, v188, v2
	;; [unrolled: 1-line block ×3, first 2 shown]
	s_waitcnt vmcnt(47) lgkmcnt(2)
	v_mul_f32_e32 v204, v191, v6
	v_mul_f32_e32 v5, v192, v6
	v_fmac_f32_e32 v202, v188, v1
	v_fma_f32 v205, v187, v1, -v2
	s_waitcnt vmcnt(46)
	v_mul_f32_e32 v206, v193, v4
	v_mul_f32_e32 v6, v194, v4
	s_waitcnt vmcnt(42)
	v_fma_f32 v207, v189, v141, -v3
	ds_read2_b64 v[1:4], v9 offset0:89 offset1:90
	v_fmac_f32_e32 v203, v190, v141
	v_fmac_f32_e32 v204, v192, v140
	v_fma_f32 v191, v191, v140, -v5
	v_fmac_f32_e32 v206, v194, v11
	v_fma_f32 v11, v193, v11, -v6
	ds_read2_b64 v[187:190], v9 offset0:91 offset1:92
	s_waitcnt vmcnt(41) lgkmcnt(3)
	v_mul_f32_e32 v192, v195, v12
	v_mul_f32_e32 v5, v196, v12
	s_waitcnt vmcnt(40)
	v_mul_f32_e32 v12, v197, v10
	v_mul_f32_e32 v6, v198, v10
	s_waitcnt vmcnt(39) lgkmcnt(2)
	v_mul_f32_e32 v10, v183, v142
	v_fmac_f32_e32 v192, v196, v8
	v_fma_f32 v193, v195, v8, -v5
	v_mul_f32_e32 v140, v184, v142
	s_waitcnt vmcnt(38)
	v_mul_f32_e32 v141, v186, v143
	s_waitcnt vmcnt(34)
	v_fmac_f32_e32 v12, v198, v149
	v_fma_f32 v149, v197, v149, -v6
	ds_read2_b64 v[5:8], v9 offset0:93 offset1:94
	v_mul_f32_e32 v194, v185, v143
	v_fmac_f32_e32 v10, v184, v148
	v_fma_f32 v148, v183, v148, -v140
	v_fma_f32 v183, v185, v146, -v141
	ds_read2_b64 v[140:143], v9 offset0:95 offset1:96
	v_fmac_f32_e32 v194, v186, v146
	s_waitcnt vmcnt(33) lgkmcnt(3)
	v_mul_f32_e32 v184, v1, v147
	v_mul_f32_e32 v146, v2, v147
	s_waitcnt vmcnt(32)
	v_mul_f32_e32 v185, v3, v145
	v_mul_f32_e32 v145, v4, v145
	s_waitcnt vmcnt(31) lgkmcnt(2)
	v_mul_f32_e32 v186, v187, v150
	v_fmac_f32_e32 v184, v2, v144
	v_fma_f32 v195, v1, v144, -v146
	v_mul_f32_e32 v144, v188, v150
	s_waitcnt vmcnt(30)
	v_mul_f32_e32 v196, v189, v151
	v_mul_f32_e32 v146, v190, v151
	s_waitcnt vmcnt(26)
	v_fmac_f32_e32 v185, v4, v157
	v_fma_f32 v150, v3, v157, -v145
	ds_read2_b64 v[1:4], v9 offset0:97 offset1:98
	v_fmac_f32_e32 v186, v188, v156
	v_fma_f32 v151, v187, v156, -v144
	s_waitcnt vmcnt(25) lgkmcnt(2)
	v_mul_f32_e32 v156, v5, v155
	v_fmac_f32_e32 v196, v190, v154
	v_fma_f32 v154, v189, v154, -v146
	ds_read2_b64 v[144:147], v9 offset0:99 offset1:100
	v_mul_f32_e32 v155, v6, v155
	s_waitcnt vmcnt(24)
	v_mul_f32_e32 v157, v7, v153
	v_mul_f32_e32 v153, v8, v153
	s_waitcnt vmcnt(23) lgkmcnt(2)
	v_mul_f32_e32 v187, v140, v158
	v_fmac_f32_e32 v156, v6, v152
	v_mul_f32_e32 v6, v141, v158
	v_fma_f32 v5, v5, v152, -v155
	s_waitcnt vmcnt(22)
	v_mul_f32_e32 v152, v142, v159
	v_mul_f32_e32 v155, v143, v159
	s_waitcnt vmcnt(18)
	v_fmac_f32_e32 v157, v8, v166
	v_fma_f32 v7, v7, v166, -v153
	v_fmac_f32_e32 v187, v141, v165
	v_fma_f32 v6, v140, v165, -v6
	s_clause 0x5
	buffer_load_dword v153, off, s[0:3], 0 offset:340
	buffer_load_dword v158, off, s[0:3], 0 offset:344
	;; [unrolled: 1-line block ×6, first 2 shown]
	v_fma_f32 v140, v142, v161, -v155
	s_waitcnt vmcnt(23) lgkmcnt(1)
	v_mul_f32_e32 v141, v1, v162
	s_waitcnt vmcnt(22)
	v_mul_f32_e32 v155, v3, v163
	v_mul_f32_e32 v8, v2, v162
	;; [unrolled: 1-line block ×3, first 2 shown]
	v_fmac_f32_e32 v152, v143, v161
	v_fmac_f32_e32 v141, v2, v160
	s_waitcnt vmcnt(18)
	v_fmac_f32_e32 v155, v4, v173
	v_fma_f32 v143, v1, v160, -v8
	v_fma_f32 v160, v3, v173, -v142
	s_waitcnt vmcnt(17) lgkmcnt(0)
	v_mul_f32_e32 v173, v144, v171
	v_mul_f32_e32 v8, v145, v171
	s_clause 0x1
	buffer_load_dword v161, off, s[0:3], 0 offset:356
	buffer_load_dword v162, off, s[0:3], 0 offset:364
	ds_read2_b64 v[1:4], v9 offset0:101 offset1:102
	buffer_load_dword v163, off, s[0:3], 0 offset:372
	s_waitcnt vmcnt(19)
	v_mul_f32_e32 v189, v146, v172
	v_mul_f32_e32 v142, v147, v172
	v_fmac_f32_e32 v173, v145, v170
	v_fma_f32 v144, v144, v170, -v8
	s_clause 0x5
	buffer_load_dword v170, off, s[0:3], 0 offset:392
	buffer_load_dword v171, off, s[0:3], 0 offset:384
	buffer_load_dword v172, off, s[0:3], 0 offset:376
	buffer_load_dword v190, off, s[0:3], 0 offset:368
	buffer_load_dword v197, off, s[0:3], 0 offset:380
	buffer_load_dword v198, off, s[0:3], 0 offset:388
	v_fmac_f32_e32 v189, v147, v169
	v_fma_f32 v169, v146, v169, -v142
	v_add_f32_e32 v8, 0, v199
	v_add_f32_e32 v142, 0, v200
	;; [unrolled: 1-line block ×4, first 2 shown]
	buffer_load_dword v175, off, s[0:3], 0 offset:396
	s_waitcnt vmcnt(25) lgkmcnt(0)
	v_mul_f32_e32 v145, v2, v168
	v_add_f32_e32 v8, v8, v202
	v_add_f32_e32 v142, v142, v205
	s_waitcnt vmcnt(24)
	v_mul_f32_e32 v146, v4, v167
	s_clause 0x3
	buffer_load_dword v199, off, s[0:3], 0 offset:404
	buffer_load_dword v200, off, s[0:3], 0 offset:412
	;; [unrolled: 1-line block ×4, first 2 shown]
	v_add_f32_e32 v8, v8, v203
	v_add_f32_e32 v142, v142, v207
	v_mul_f32_e32 v203, v1, v168
	v_mul_f32_e32 v168, v3, v167
	v_add_f32_e32 v8, v8, v204
	v_add_f32_e32 v142, v142, v191
	v_fmac_f32_e32 v203, v2, v164
	v_fma_f32 v164, v1, v164, -v145
	s_clause 0x3
	buffer_load_dword v167, off, s[0:3], 0 offset:436
	buffer_load_dword v191, off, s[0:3], 0 offset:444
	;; [unrolled: 1-line block ×4, first 2 shown]
	v_add_f32_e32 v1, v8, v206
	v_add_f32_e32 v2, v142, v11
	s_waitcnt vmcnt(27)
	v_fmac_f32_e32 v168, v4, v182
	v_fma_f32 v11, v3, v182, -v146
	s_clause 0x1
	buffer_load_dword v182, off, s[0:3], 0 offset:468
	buffer_load_dword v206, off, s[0:3], 0 offset:476
	v_add_f32_e32 v1, v1, v192
	v_add_f32_e32 v2, v2, v193
	s_clause 0x6
	buffer_load_dword v192, off, s[0:3], 0 offset:484
	buffer_load_dword v193, off, s[0:3], 0 offset:492
	;; [unrolled: 1-line block ×7, first 2 shown]
	v_add_f32_e32 v1, v1, v12
	v_add_f32_e32 v2, v2, v149
	;; [unrolled: 1-line block ×6, first 2 shown]
	s_clause 0x3
	buffer_load_dword v183, off, s[0:3], 0 offset:456
	buffer_load_dword v194, off, s[0:3], 0 offset:448
	;; [unrolled: 1-line block ×4, first 2 shown]
	v_add_f32_e32 v1, v1, v184
	v_add_f32_e32 v2, v2, v195
	;; [unrolled: 1-line block ×3, first 2 shown]
	s_clause 0x4
	buffer_load_dword v184, off, s[0:3], 0 offset:488
	buffer_load_dword v185, off, s[0:3], 0 offset:480
	;; [unrolled: 1-line block ×5, first 2 shown]
	v_add_f32_e32 v2, v2, v150
	v_add_f32_e32 v1, v1, v186
	buffer_load_dword v186, off, s[0:3], 0 offset:496
	v_add_f32_e32 v2, v2, v151
	v_add_f32_e32 v1, v1, v196
	;; [unrolled: 1-line block ×5, first 2 shown]
	ds_read2_b64 v[1:4], v9 offset0:103 offset1:104
	v_add_f32_e32 v5, v5, v7
	v_add_f32_e32 v7, v8, v157
	;; [unrolled: 1-line block ×4, first 2 shown]
	ds_read2_b64 v[5:8], v9 offset0:105 offset1:106
	v_add_f32_e32 v10, v10, v140
	v_add_f32_e32 v12, v12, v152
	;; [unrolled: 1-line block ×4, first 2 shown]
	s_waitcnt vmcnt(44) lgkmcnt(1)
	v_mul_f32_e32 v156, v3, v181
	v_mul_f32_e32 v142, v4, v181
	;; [unrolled: 1-line block ×3, first 2 shown]
	v_add_f32_e32 v10, v10, v160
	v_add_f32_e32 v12, v12, v155
	v_mul_f32_e32 v140, v2, v180
	v_fmac_f32_e32 v156, v4, v178
	v_fma_f32 v157, v3, v178, -v142
	v_add_f32_e32 v10, v10, v144
	v_add_f32_e32 v12, v12, v173
	s_waitcnt lgkmcnt(0)
	v_mul_f32_e32 v160, v5, v177
	v_mul_f32_e32 v145, v6, v177
	v_fmac_f32_e32 v154, v2, v179
	v_fma_f32 v152, v1, v179, -v140
	ds_read2_b64 v[1:4], v9 offset0:107 offset1:108
	ds_read2_b64 v[140:143], v9 offset0:109 offset1:110
	v_add_f32_e32 v10, v10, v169
	v_fmac_f32_e32 v160, v6, v176
	v_fma_f32 v176, v5, v176, -v145
	v_add_f32_e32 v12, v12, v189
	v_add_f32_e32 v10, v10, v164
	;; [unrolled: 1-line block ×9, first 2 shown]
	s_waitcnt vmcnt(42)
	v_mul_f32_e32 v178, v7, v153
	v_mul_f32_e32 v146, v8, v153
	s_waitcnt vmcnt(40) lgkmcnt(1)
	v_mul_f32_e32 v169, v1, v159
	v_mul_f32_e32 v148, v2, v159
	s_waitcnt vmcnt(37)
	v_fmac_f32_e32 v178, v8, v188
	v_fma_f32 v177, v7, v188, -v146
	ds_read2_b64 v[5:8], v9 offset0:111 offset1:112
	ds_read2_b64 v[144:147], v9 offset0:113 offset1:114
	v_fmac_f32_e32 v169, v2, v158
	v_fma_f32 v158, v1, v158, -v148
	s_waitcnt vmcnt(36)
	v_mul_f32_e32 v159, v3, v161
	v_mul_f32_e32 v149, v4, v161
	s_waitcnt vmcnt(35) lgkmcnt(2)
	v_mul_f32_e32 v161, v140, v162
	v_mul_f32_e32 v153, v141, v162
	s_waitcnt vmcnt(34)
	v_mul_f32_e32 v12, v143, v163
	v_mul_f32_e32 v164, v142, v163
	v_fmac_f32_e32 v159, v4, v166
	v_fmac_f32_e32 v161, v141, v165
	v_fma_f32 v163, v140, v165, -v153
	s_waitcnt vmcnt(29) lgkmcnt(1)
	v_mul_f32_e32 v157, v5, v197
	v_fma_f32 v165, v142, v190, -v12
	v_mul_f32_e32 v12, v6, v197
	v_fma_f32 v162, v3, v166, -v149
	s_waitcnt vmcnt(28)
	v_mul_f32_e32 v156, v7, v198
	v_fmac_f32_e32 v157, v6, v172
	v_add_f32_e32 v6, v10, v176
	v_mul_f32_e32 v166, v8, v198
	v_add_f32_e32 v10, v11, v160
	v_fmac_f32_e32 v156, v8, v171
	ds_read2_b64 v[1:4], v9 offset0:115 offset1:116
	ds_read2_b64 v[148:151], v9 offset0:117 offset1:118
	v_add_f32_e32 v168, v6, v177
	v_fma_f32 v166, v7, v171, -v166
	v_add_f32_e32 v171, v10, v178
	v_fmac_f32_e32 v164, v143, v190
	v_fma_f32 v160, v5, v172, -v12
	v_add_f32_e32 v158, v168, v158
	s_waitcnt vmcnt(27) lgkmcnt(2)
	v_mul_f32_e32 v168, v145, v175
	v_add_f32_e32 v169, v171, v169
	v_mul_f32_e32 v172, v144, v175
	s_waitcnt vmcnt(26)
	v_mul_f32_e32 v173, v147, v199
	v_add_f32_e32 v158, v158, v162
	v_fma_f32 v144, v144, v170, -v168
	v_add_f32_e32 v159, v169, v159
	v_mul_f32_e32 v171, v146, v199
	v_fmac_f32_e32 v172, v145, v170
	v_add_f32_e32 v158, v158, v163
	ds_read2_b64 v[140:143], v9 offset0:119 offset1:120
	ds_read2_b64 v[152:155], v9 offset0:121 offset1:122
	v_add_f32_e32 v159, v159, v161
	s_waitcnt vmcnt(25) lgkmcnt(3)
	v_mul_f32_e32 v162, v1, v200
	s_waitcnt vmcnt(24)
	v_mul_f32_e32 v169, v3, v201
	v_add_f32_e32 v158, v158, v165
	s_waitcnt vmcnt(23) lgkmcnt(2)
	v_mul_f32_e32 v175, v148, v202
	v_add_f32_e32 v159, v159, v164
	s_waitcnt vmcnt(22)
	v_mul_f32_e32 v163, v150, v167
	s_waitcnt vmcnt(12)
	v_fmac_f32_e32 v169, v4, v209
	v_add_f32_e32 v158, v158, v160
	s_waitcnt vmcnt(10)
	v_fma_f32 v146, v146, v211, -v173
	v_add_f32_e32 v157, v159, v157
	v_fmac_f32_e32 v171, v147, v211
	v_fmac_f32_e32 v162, v2, v210
	v_add_f32_e32 v158, v158, v166
	v_fmac_f32_e32 v175, v149, v208
	v_add_f32_e32 v156, v157, v156
	v_mul_f32_e32 v157, v2, v200
	ds_read2_b64 v[5:8], v9 offset0:123 offset1:124
	ds_read2_b64 v[9:12], v9 offset0:125 offset1:126
	v_add_f32_e32 v144, v158, v144
	s_waitcnt lgkmcnt(3)
	v_mul_f32_e32 v161, v140, v191
	v_add_f32_e32 v147, v156, v172
	v_mul_f32_e32 v156, v4, v201
	v_fma_f32 v1, v1, v210, -v157
	v_add_f32_e32 v2, v144, v146
	v_mul_f32_e32 v146, v149, v202
	v_add_f32_e32 v144, v147, v171
	v_fma_f32 v3, v3, v209, -v156
	v_mul_f32_e32 v4, v151, v167
	v_add_f32_e32 v1, v2, v1
	s_waitcnt vmcnt(6)
	v_fmac_f32_e32 v163, v151, v213
	v_add_f32_e32 v2, v144, v162
	v_fma_f32 v144, v148, v208, -v146
	v_fma_f32 v4, v150, v213, -v4
	v_add_f32_e32 v1, v1, v3
	v_mul_f32_e32 v3, v141, v191
	v_add_f32_e32 v2, v2, v169
	v_mul_f32_e32 v176, v142, v204
	v_fmac_f32_e32 v161, v141, v212
	v_add_f32_e32 v1, v1, v144
	v_mul_f32_e32 v144, v143, v204
	v_add_f32_e32 v2, v2, v175
	v_fma_f32 v3, v140, v212, -v3
	s_waitcnt lgkmcnt(2)
	v_mul_f32_e32 v165, v152, v205
	v_add_f32_e32 v1, v1, v4
	v_mul_f32_e32 v4, v153, v205
	v_add_f32_e32 v2, v2, v163
	v_fma_f32 v140, v142, v194, -v144
	v_fmac_f32_e32 v176, v143, v194
	v_add_f32_e32 v1, v1, v3
	v_mul_f32_e32 v3, v155, v182
	v_add_f32_e32 v2, v2, v161
	v_fma_f32 v4, v152, v183, -v4
	v_mul_f32_e32 v164, v154, v182
	v_add_f32_e32 v1, v1, v140
	v_fmac_f32_e32 v165, v153, v183
	v_add_f32_e32 v2, v2, v176
	s_waitcnt lgkmcnt(1)
	v_mul_f32_e32 v140, v6, v206
	s_waitcnt vmcnt(2)
	v_fma_f32 v3, v154, v214, -v3
	v_add_f32_e32 v1, v1, v4
	v_mul_f32_e32 v177, v5, v206
	v_fmac_f32_e32 v164, v155, v214
	v_add_f32_e32 v2, v2, v165
	v_mul_f32_e32 v4, v8, v192
	v_fma_f32 v5, v5, v195, -v140
	v_add_f32_e32 v1, v1, v3
	v_mul_f32_e32 v160, v7, v192
	v_fmac_f32_e32 v177, v6, v195
	v_add_f32_e32 v2, v2, v164
	s_waitcnt lgkmcnt(0)
	v_mul_f32_e32 v3, v10, v193
	v_fma_f32 v4, v7, v185, -v4
	v_add_f32_e32 v1, v1, v5
	v_mul_f32_e32 v159, v9, v193
	v_fmac_f32_e32 v160, v8, v185
	v_add_f32_e32 v2, v2, v177
	v_mul_f32_e32 v5, v12, v207
	v_fma_f32 v3, v9, v184, -v3
	v_add_f32_e32 v1, v1, v4
	v_mul_f32_e32 v145, v11, v207
	v_fmac_f32_e32 v159, v10, v184
	v_add_f32_e32 v2, v2, v160
	s_waitcnt vmcnt(0)
	v_fma_f32 v4, v11, v186, -v5
	v_add_f32_e32 v1, v1, v3
	v_fmac_f32_e32 v145, v12, v186
	v_add_f32_e32 v2, v2, v159
	v_add_f32_e32 v1, v1, v4
	;; [unrolled: 1-line block ×3, first 2 shown]
	v_sub_f32_e32 v1, v215, v1
	v_sub_f32_e32 v2, v174, v2
	buffer_store_dword v1, off, s[0:3], 0 offset:112
	buffer_store_dword v2, off, s[0:3], 0 offset:116
	v_cmpx_lt_u32_e32 13, v0
	s_cbranch_execz .LBB126_365
; %bb.364:
	s_clause 0x1
	buffer_load_dword v1, off, s[0:3], 0 offset:104
	buffer_load_dword v2, off, s[0:3], 0 offset:108
	v_mov_b32_e32 v3, 0
	buffer_store_dword v3, off, s[0:3], 0 offset:104
	buffer_store_dword v3, off, s[0:3], 0 offset:108
	s_waitcnt vmcnt(0)
	ds_write_b64 v139, v[1:2]
.LBB126_365:
	s_or_b32 exec_lo, exec_lo, s4
	s_waitcnt lgkmcnt(0)
	s_waitcnt_vscnt null, 0x0
	s_barrier
	buffer_gl0_inv
	s_clause 0x33
	buffer_load_dword v11, off, s[0:3], 0 offset:116
	buffer_load_dword v12, off, s[0:3], 0 offset:124
	;; [unrolled: 1-line block ×52, first 2 shown]
	v_mov_b32_e32 v9, 0
	ds_read_b128 v[5:8], v9 offset:624
	ds_read_b128 v[1:4], v9 offset:640
	;; [unrolled: 1-line block ×3, first 2 shown]
	s_clause 0x2
	buffer_load_dword v189, off, s[0:3], 0 offset:308
	buffer_load_dword v190, off, s[0:3], 0 offset:316
	;; [unrolled: 1-line block ×3, first 2 shown]
	ds_read_b128 v[196:199], v9 offset:672
	s_mov_b32 s4, exec_lo
	s_waitcnt vmcnt(54) lgkmcnt(3)
	v_mul_f32_e32 v200, v5, v11
	s_waitcnt vmcnt(53)
	v_mul_f32_e32 v201, v7, v12
	v_mul_f32_e32 v11, v6, v11
	;; [unrolled: 1-line block ×3, first 2 shown]
	s_waitcnt vmcnt(50)
	v_fmac_f32_e32 v200, v6, v145
	v_fmac_f32_e32 v201, v8, v143
	v_fma_f32 v11, v5, v145, -v11
	v_fma_f32 v12, v7, v143, -v12
	ds_read_b128 v[5:8], v9 offset:688
	s_waitcnt vmcnt(49) lgkmcnt(3)
	v_mul_f32_e32 v202, v1, v140
	s_waitcnt vmcnt(48)
	v_mul_f32_e32 v203, v3, v141
	v_mul_f32_e32 v140, v2, v140
	;; [unrolled: 1-line block ×3, first 2 shown]
	s_waitcnt vmcnt(47) lgkmcnt(2)
	v_mul_f32_e32 v204, v192, v144
	v_mul_f32_e32 v143, v193, v144
	v_fmac_f32_e32 v202, v2, v10
	v_fma_f32 v10, v1, v10, -v140
	s_waitcnt vmcnt(46)
	v_mul_f32_e32 v205, v194, v142
	v_mul_f32_e32 v140, v195, v142
	s_waitcnt vmcnt(42)
	v_fmac_f32_e32 v203, v4, v151
	v_fma_f32 v151, v3, v151, -v141
	ds_read_b128 v[1:4], v9 offset:704
	v_fmac_f32_e32 v204, v193, v150
	v_fma_f32 v150, v192, v150, -v143
	v_fmac_f32_e32 v205, v195, v148
	v_fma_f32 v148, v194, v148, -v140
	ds_read_b128 v[140:143], v9 offset:720
	s_waitcnt vmcnt(41) lgkmcnt(3)
	v_mul_f32_e32 v192, v196, v149
	v_mul_f32_e32 v144, v197, v149
	s_waitcnt vmcnt(40)
	v_mul_f32_e32 v149, v198, v147
	v_mul_f32_e32 v145, v199, v147
	s_waitcnt vmcnt(39) lgkmcnt(2)
	v_mul_f32_e32 v193, v5, v152
	v_fmac_f32_e32 v192, v197, v146
	v_fma_f32 v194, v196, v146, -v144
	s_waitcnt vmcnt(38)
	v_mul_f32_e32 v195, v7, v153
	v_mul_f32_e32 v152, v6, v152
	;; [unrolled: 1-line block ×3, first 2 shown]
	s_waitcnt vmcnt(34)
	v_fmac_f32_e32 v149, v199, v159
	v_fma_f32 v159, v198, v159, -v145
	ds_read_b128 v[144:147], v9 offset:736
	v_fmac_f32_e32 v193, v6, v158
	v_fmac_f32_e32 v195, v8, v156
	v_fma_f32 v152, v5, v158, -v152
	v_fma_f32 v153, v7, v156, -v153
	ds_read_b128 v[5:8], v9 offset:752
	s_waitcnt vmcnt(33) lgkmcnt(3)
	v_mul_f32_e32 v156, v1, v157
	v_mul_f32_e32 v157, v2, v157
	s_waitcnt vmcnt(32)
	v_mul_f32_e32 v158, v3, v155
	v_mul_f32_e32 v155, v4, v155
	s_waitcnt vmcnt(31) lgkmcnt(2)
	v_mul_f32_e32 v196, v140, v160
	v_fmac_f32_e32 v156, v2, v154
	v_fma_f32 v154, v1, v154, -v157
	s_waitcnt vmcnt(30)
	v_mul_f32_e32 v157, v142, v161
	v_mul_f32_e32 v161, v143, v161
	;; [unrolled: 1-line block ×3, first 2 shown]
	s_waitcnt vmcnt(26)
	v_fmac_f32_e32 v158, v4, v168
	v_fma_f32 v155, v3, v168, -v155
	v_fmac_f32_e32 v157, v143, v165
	v_fma_f32 v161, v142, v165, -v161
	s_waitcnt vmcnt(25) lgkmcnt(1)
	v_mul_f32_e32 v165, v144, v166
	v_mul_f32_e32 v166, v145, v166
	ds_read_b128 v[1:4], v9 offset:768
	v_fmac_f32_e32 v196, v141, v167
	v_fma_f32 v160, v140, v167, -v160
	s_waitcnt vmcnt(24)
	v_mul_f32_e32 v167, v146, v164
	v_mul_f32_e32 v164, v147, v164
	s_waitcnt vmcnt(23) lgkmcnt(1)
	v_mul_f32_e32 v168, v5, v169
	v_fmac_f32_e32 v165, v145, v162
	v_fma_f32 v144, v144, v162, -v166
	v_mul_f32_e32 v162, v6, v169
	ds_read_b128 v[140:143], v9 offset:784
	s_waitcnt vmcnt(22)
	v_mul_f32_e32 v145, v7, v171
	v_mul_f32_e32 v166, v8, v171
	s_waitcnt vmcnt(18)
	v_fmac_f32_e32 v167, v147, v179
	v_fma_f32 v146, v146, v179, -v164
	v_fmac_f32_e32 v168, v6, v178
	v_fma_f32 v5, v5, v178, -v162
	s_clause 0x5
	buffer_load_dword v147, off, s[0:3], 0 offset:332
	buffer_load_dword v162, off, s[0:3], 0 offset:336
	;; [unrolled: 1-line block ×6, first 2 shown]
	v_fmac_f32_e32 v145, v8, v177
	v_fma_f32 v6, v7, v177, -v166
	s_clause 0x1
	buffer_load_dword v166, off, s[0:3], 0 offset:348
	buffer_load_dword v177, off, s[0:3], 0 offset:356
	s_waitcnt vmcnt(25) lgkmcnt(1)
	v_mul_f32_e32 v179, v1, v175
	s_waitcnt vmcnt(24)
	v_mul_f32_e32 v197, v3, v176
	v_mul_f32_e32 v7, v2, v175
	v_mul_f32_e32 v8, v4, v176
	buffer_load_dword v175, off, s[0:3], 0 offset:364
	v_fmac_f32_e32 v179, v2, v173
	s_waitcnt vmcnt(21)
	v_fmac_f32_e32 v197, v4, v187
	v_fma_f32 v173, v1, v173, -v7
	v_fma_f32 v176, v3, v187, -v8
	ds_read_b128 v[1:4], v9 offset:800
	s_waitcnt vmcnt(20) lgkmcnt(1)
	v_mul_f32_e32 v187, v140, v185
	s_waitcnt vmcnt(19)
	v_mul_f32_e32 v198, v142, v186
	v_mul_f32_e32 v7, v141, v185
	;; [unrolled: 1-line block ×3, first 2 shown]
	s_clause 0x4
	buffer_load_dword v185, off, s[0:3], 0 offset:384
	buffer_load_dword v186, off, s[0:3], 0 offset:376
	;; [unrolled: 1-line block ×5, first 2 shown]
	v_fmac_f32_e32 v187, v141, v184
	v_fmac_f32_e32 v198, v143, v183
	v_fma_f32 v184, v140, v184, -v7
	v_add_f32_e32 v7, 0, v200
	v_fma_f32 v183, v142, v183, -v8
	buffer_load_dword v200, off, s[0:3], 0 offset:380
	v_add_f32_e32 v8, 0, v11
	v_add_f32_e32 v7, v7, v201
	buffer_load_dword v201, off, s[0:3], 0 offset:388
	v_add_f32_e32 v8, v8, v12
	v_add_f32_e32 v7, v7, v202
	s_waitcnt vmcnt(25) lgkmcnt(0)
	v_mul_f32_e32 v11, v1, v182
	v_mul_f32_e32 v12, v2, v182
	s_waitcnt vmcnt(24)
	v_mul_f32_e32 v182, v3, v181
	v_mul_f32_e32 v140, v4, v181
	v_fmac_f32_e32 v11, v2, v180
	v_add_f32_e32 v2, v7, v203
	v_fma_f32 v12, v1, v180, -v12
	s_clause 0x2
	buffer_load_dword v180, off, s[0:3], 0 offset:396
	buffer_load_dword v181, off, s[0:3], 0 offset:404
	;; [unrolled: 1-line block ×3, first 2 shown]
	v_add_f32_e32 v1, v8, v10
	buffer_load_dword v203, off, s[0:3], 0 offset:428
	v_add_f32_e32 v2, v2, v204
	s_waitcnt vmcnt(23)
	v_fmac_f32_e32 v182, v4, v188
	v_fma_f32 v10, v3, v188, -v140
	s_clause 0x5
	buffer_load_dword v188, off, s[0:3], 0 offset:420
	buffer_load_dword v204, off, s[0:3], 0 offset:416
	;; [unrolled: 1-line block ×6, first 2 shown]
	v_add_f32_e32 v1, v1, v151
	v_add_f32_e32 v2, v2, v205
	s_clause 0x1
	buffer_load_dword v205, off, s[0:3], 0 offset:444
	buffer_load_dword v212, off, s[0:3], 0 offset:452
	v_add_f32_e32 v1, v1, v150
	v_add_f32_e32 v2, v2, v192
	;; [unrolled: 1-line block ×6, first 2 shown]
	s_clause 0x5
	buffer_load_dword v192, off, s[0:3], 0 offset:460
	buffer_load_dword v194, off, s[0:3], 0 offset:468
	;; [unrolled: 1-line block ×6, first 2 shown]
	v_add_f32_e32 v2, v2, v195
	s_clause 0x3
	buffer_load_dword v195, off, s[0:3], 0 offset:448
	buffer_load_dword v216, off, s[0:3], 0 offset:440
	;; [unrolled: 1-line block ×4, first 2 shown]
	v_add_f32_e32 v1, v1, v159
	v_add_f32_e32 v2, v2, v156
	;; [unrolled: 1-line block ×6, first 2 shown]
	s_clause 0x3
	buffer_load_dword v196, off, s[0:3], 0 offset:480
	buffer_load_dword v219, off, s[0:3], 0 offset:472
	;; [unrolled: 1-line block ×4, first 2 shown]
	v_add_f32_e32 v1, v1, v154
	v_add_f32_e32 v2, v2, v157
	;; [unrolled: 1-line block ×5, first 2 shown]
	s_clause 0x1
	buffer_load_dword v160, off, s[0:3], 0 offset:496
	buffer_load_dword v222, off, s[0:3], 0 offset:488
	v_add_f32_e32 v7, v2, v167
	v_add_f32_e32 v1, v1, v161
	buffer_load_dword v161, off, s[0:3], 0 offset:104
	v_add_f32_e32 v7, v7, v168
	v_add_f32_e32 v1, v1, v144
	;; [unrolled: 1-line block ×4, first 2 shown]
	ds_read_b128 v[1:4], v9 offset:816
	v_add_f32_e32 v140, v140, v179
	v_add_f32_e32 v5, v8, v5
	;; [unrolled: 1-line block ×4, first 2 shown]
	ds_read_b128 v[5:8], v9 offset:832
	v_add_f32_e32 v144, v144, v187
	v_add_f32_e32 v141, v141, v173
	;; [unrolled: 1-line block ×4, first 2 shown]
	s_waitcnt vmcnt(47) lgkmcnt(1)
	v_mul_f32_e32 v148, v1, v189
	s_waitcnt vmcnt(46)
	v_mul_f32_e32 v152, v3, v190
	v_mul_f32_e32 v142, v2, v189
	;; [unrolled: 1-line block ×3, first 2 shown]
	v_add_f32_e32 v145, v145, v184
	v_fmac_f32_e32 v148, v2, v174
	v_fmac_f32_e32 v152, v4, v172
	v_fma_f32 v149, v1, v174, -v142
	v_fma_f32 v153, v3, v172, -v143
	v_add_f32_e32 v151, v145, v183
	ds_read_b128 v[1:4], v9 offset:848
	ds_read_b128 v[140:143], v9 offset:864
	s_waitcnt lgkmcnt(2)
	v_mul_f32_e32 v156, v5, v170
	v_mul_f32_e32 v146, v6, v170
	v_add_f32_e32 v12, v151, v12
	v_add_f32_e32 v11, v150, v11
	v_fmac_f32_e32 v156, v6, v163
	v_fma_f32 v158, v5, v163, -v146
	v_add_f32_e32 v10, v12, v10
	v_add_f32_e32 v11, v11, v182
	;; [unrolled: 1-line block ×8, first 2 shown]
	s_waitcnt vmcnt(44)
	v_mul_f32_e32 v157, v7, v147
	v_mul_f32_e32 v147, v8, v147
	s_waitcnt vmcnt(42) lgkmcnt(1)
	v_mul_f32_e32 v163, v1, v164
	v_mul_f32_e32 v150, v2, v164
	s_waitcnt vmcnt(39)
	v_fmac_f32_e32 v157, v8, v178
	v_fma_f32 v159, v7, v178, -v147
	ds_read_b128 v[5:8], v9 offset:880
	ds_read_b128 v[144:147], v9 offset:896
	s_waitcnt vmcnt(37) lgkmcnt(2)
	v_mul_f32_e32 v165, v140, v177
	v_mul_f32_e32 v154, v141, v177
	v_mul_f32_e32 v151, v4, v166
	v_fmac_f32_e32 v163, v2, v162
	v_fma_f32 v162, v1, v162, -v150
	v_fmac_f32_e32 v165, v141, v169
	v_fma_f32 v167, v140, v169, -v154
	v_add_f32_e32 v10, v10, v159
	v_mul_f32_e32 v164, v3, v166
	v_fma_f32 v166, v3, v171, -v151
	s_waitcnt vmcnt(36)
	v_mul_f32_e32 v155, v143, v175
	v_mul_f32_e32 v12, v142, v175
	v_add_f32_e32 v162, v10, v162
	v_fmac_f32_e32 v164, v4, v171
	ds_read_b128 v[1:4], v9 offset:912
	ds_read_b128 v[148:151], v9 offset:928
	s_waitcnt vmcnt(32)
	v_fma_f32 v168, v142, v206, -v155
	v_fmac_f32_e32 v12, v143, v206
	v_add_f32_e32 v162, v162, v166
	s_waitcnt vmcnt(31) lgkmcnt(3)
	v_mul_f32_e32 v169, v5, v207
	v_mul_f32_e32 v156, v6, v207
	ds_read_b128 v[140:143], v9 offset:944
	ds_read_b128 v[152:155], v9 offset:960
	s_waitcnt vmcnt(30)
	v_mul_f32_e32 v158, v8, v200
	v_add_f32_e32 v162, v162, v167
	v_fmac_f32_e32 v169, v6, v199
	v_add_f32_e32 v6, v11, v157
	v_fma_f32 v171, v5, v199, -v156
	v_mul_f32_e32 v170, v7, v200
	v_add_f32_e32 v162, v162, v168
	v_fma_f32 v172, v7, v186, -v158
	v_add_f32_e32 v163, v6, v163
	s_waitcnt vmcnt(29) lgkmcnt(4)
	v_mul_f32_e32 v173, v145, v201
	v_fmac_f32_e32 v170, v8, v186
	v_add_f32_e32 v162, v162, v171
	ds_read_b128 v[5:8], v9 offset:976
	ds_read_b128 v[156:159], v9 offset:992
	ds_read_b64 v[10:11], v9 offset:1008
	v_add_f32_e32 v163, v163, v164
	v_mul_f32_e32 v164, v144, v201
	s_waitcnt vmcnt(28)
	v_mul_f32_e32 v174, v147, v180
	v_fma_f32 v144, v144, v185, -v173
	v_add_f32_e32 v162, v162, v172
	v_add_f32_e32 v163, v163, v165
	v_mul_f32_e32 v166, v146, v180
	v_fmac_f32_e32 v164, v145, v185
	s_waitcnt vmcnt(27) lgkmcnt(6)
	v_mul_f32_e32 v165, v1, v181
	v_mul_f32_e32 v173, v2, v181
	v_add_f32_e32 v12, v163, v12
	s_waitcnt vmcnt(20)
	v_fma_f32 v146, v146, v210, -v174
	v_add_f32_e32 v144, v162, v144
	v_fmac_f32_e32 v166, v147, v210
	v_fmac_f32_e32 v165, v2, v209
	v_add_f32_e32 v12, v12, v169
	v_fma_f32 v1, v1, v209, -v173
	v_add_f32_e32 v2, v144, v146
	v_mul_f32_e32 v167, v3, v202
	s_waitcnt lgkmcnt(5)
	v_mul_f32_e32 v144, v149, v188
	v_add_f32_e32 v12, v12, v170
	v_mul_f32_e32 v170, v4, v202
	v_add_f32_e32 v1, v2, v1
	v_mul_f32_e32 v145, v148, v188
	v_fmac_f32_e32 v167, v4, v208
	v_add_f32_e32 v12, v12, v164
	v_fma_f32 v3, v3, v208, -v170
	v_mul_f32_e32 v4, v151, v203
	v_mul_f32_e32 v163, v150, v203
	v_fmac_f32_e32 v145, v149, v204
	v_add_f32_e32 v12, v12, v166
	v_add_f32_e32 v1, v1, v3
	s_waitcnt vmcnt(19) lgkmcnt(4)
	v_mul_f32_e32 v3, v141, v211
	s_waitcnt vmcnt(7)
	v_fma_f32 v4, v150, v218, -v4
	v_mul_f32_e32 v168, v140, v211
	v_add_f32_e32 v2, v12, v165
	v_fma_f32 v12, v148, v204, -v144
	v_fmac_f32_e32 v163, v151, v218
	v_fma_f32 v3, v140, v217, -v3
	v_mul_f32_e32 v147, v142, v205
	v_add_f32_e32 v2, v2, v167
	v_add_f32_e32 v1, v1, v12
	v_mul_f32_e32 v12, v143, v205
	v_fmac_f32_e32 v168, v141, v217
	s_waitcnt lgkmcnt(3)
	v_mul_f32_e32 v174, v152, v212
	v_add_f32_e32 v2, v2, v145
	v_add_f32_e32 v1, v1, v4
	v_mul_f32_e32 v4, v153, v212
	v_fma_f32 v12, v142, v216, -v12
	v_fmac_f32_e32 v147, v143, v216
	v_add_f32_e32 v2, v2, v163
	v_add_f32_e32 v1, v1, v3
	v_mul_f32_e32 v3, v155, v192
	v_fma_f32 v4, v152, v195, -v4
	v_mul_f32_e32 v169, v154, v192
	v_add_f32_e32 v2, v2, v168
	v_add_f32_e32 v1, v1, v12
	v_fmac_f32_e32 v174, v153, v195
	s_waitcnt lgkmcnt(2)
	v_mul_f32_e32 v12, v6, v194
	s_waitcnt vmcnt(3)
	v_fma_f32 v3, v154, v221, -v3
	v_add_f32_e32 v2, v2, v147
	v_add_f32_e32 v1, v1, v4
	v_mul_f32_e32 v171, v5, v194
	v_fmac_f32_e32 v169, v155, v221
	v_mul_f32_e32 v4, v8, v213
	v_add_f32_e32 v2, v2, v174
	v_fma_f32 v5, v5, v220, -v12
	v_add_f32_e32 v1, v1, v3
	v_mul_f32_e32 v175, v7, v213
	v_fmac_f32_e32 v171, v6, v220
	v_add_f32_e32 v2, v2, v169
	s_waitcnt lgkmcnt(1)
	v_mul_f32_e32 v3, v157, v214
	v_fma_f32 v4, v7, v219, -v4
	v_add_f32_e32 v1, v1, v5
	v_mul_f32_e32 v172, v156, v214
	v_fmac_f32_e32 v175, v8, v219
	v_add_f32_e32 v2, v2, v171
	v_mul_f32_e32 v5, v159, v215
	v_fma_f32 v3, v156, v196, -v3
	v_add_f32_e32 v1, v1, v4
	v_mul_f32_e32 v176, v158, v215
	v_fmac_f32_e32 v172, v157, v196
	v_add_f32_e32 v2, v2, v175
	s_waitcnt lgkmcnt(0)
	v_mul_f32_e32 v4, v11, v193
	s_waitcnt vmcnt(1)
	v_fma_f32 v5, v158, v222, -v5
	v_add_f32_e32 v1, v1, v3
	v_mul_f32_e32 v162, v10, v193
	v_fmac_f32_e32 v176, v159, v222
	v_add_f32_e32 v2, v2, v172
	v_fma_f32 v3, v10, v160, -v4
	v_add_f32_e32 v1, v1, v5
	v_fmac_f32_e32 v162, v11, v160
	v_add_f32_e32 v2, v2, v176
	v_add_f32_e32 v1, v1, v3
	;; [unrolled: 1-line block ×3, first 2 shown]
	s_waitcnt vmcnt(0)
	v_sub_f32_e32 v1, v161, v1
	v_sub_f32_e32 v2, v191, v2
	buffer_store_dword v1, off, s[0:3], 0 offset:104
	buffer_store_dword v2, off, s[0:3], 0 offset:108
	v_cmpx_lt_u32_e32 12, v0
	s_cbranch_execz .LBB126_367
; %bb.366:
	s_clause 0x1
	buffer_load_dword v1, off, s[0:3], 0 offset:96
	buffer_load_dword v2, off, s[0:3], 0 offset:100
	buffer_store_dword v9, off, s[0:3], 0 offset:96
	buffer_store_dword v9, off, s[0:3], 0 offset:100
	s_waitcnt vmcnt(0)
	ds_write_b64 v139, v[1:2]
.LBB126_367:
	s_or_b32 exec_lo, exec_lo, s4
	s_waitcnt lgkmcnt(0)
	s_waitcnt_vscnt null, 0x0
	s_barrier
	buffer_gl0_inv
	s_clause 0x35
	buffer_load_dword v1, off, s[0:3], 0 offset:108
	buffer_load_dword v3, off, s[0:3], 0 offset:116
	;; [unrolled: 1-line block ×54, first 2 shown]
	ds_read2_b64 v[184:187], v9 offset0:77 offset1:78
	ds_read2_b64 v[188:191], v9 offset0:79 offset1:80
	;; [unrolled: 1-line block ×4, first 2 shown]
	buffer_load_dword v178, off, s[0:3], 0 offset:100
	s_mov_b32 s4, exec_lo
	s_waitcnt vmcnt(54) lgkmcnt(3)
	v_mul_f32_e32 v200, v184, v1
	v_mul_f32_e32 v1, v185, v1
	s_waitcnt vmcnt(53)
	v_mul_f32_e32 v201, v186, v3
	v_mul_f32_e32 v3, v187, v3
	s_waitcnt vmcnt(52) lgkmcnt(2)
	v_mul_f32_e32 v202, v188, v5
	v_mul_f32_e32 v5, v189, v5
	s_waitcnt vmcnt(49)
	v_fma_f32 v203, v184, v7, -v1
	s_waitcnt vmcnt(48)
	v_mul_f32_e32 v1, v191, v6
	v_fmac_f32_e32 v200, v185, v7
	v_fmac_f32_e32 v201, v187, v4
	v_fma_f32 v205, v186, v4, -v3
	v_fmac_f32_e32 v202, v189, v2
	v_fma_f32 v188, v188, v2, -v5
	s_waitcnt vmcnt(44)
	v_fma_f32 v189, v190, v143, -v1
	ds_read2_b64 v[1:4], v9 offset0:85 offset1:86
	ds_read2_b64 v[184:187], v9 offset0:87 offset1:88
	v_mul_f32_e32 v204, v190, v6
	s_waitcnt vmcnt(43) lgkmcnt(3)
	v_mul_f32_e32 v190, v192, v142
	v_mul_f32_e32 v5, v193, v142
	s_waitcnt vmcnt(42)
	v_mul_f32_e32 v6, v195, v141
	s_waitcnt vmcnt(41) lgkmcnt(2)
	v_mul_f32_e32 v206, v196, v12
	v_fmac_f32_e32 v204, v191, v143
	v_mul_f32_e32 v191, v194, v141
	v_fmac_f32_e32 v190, v193, v11
	v_fma_f32 v11, v192, v11, -v5
	s_waitcnt vmcnt(40)
	v_mul_f32_e32 v192, v198, v140
	v_mul_f32_e32 v5, v197, v12
	;; [unrolled: 1-line block ×3, first 2 shown]
	v_fmac_f32_e32 v191, v195, v10
	v_fma_f32 v10, v194, v10, -v6
	v_fmac_f32_e32 v206, v197, v8
	s_waitcnt vmcnt(36)
	v_fmac_f32_e32 v192, v199, v151
	v_fma_f32 v12, v196, v8, -v5
	v_fma_f32 v151, v198, v151, -v7
	ds_read2_b64 v[5:8], v9 offset0:89 offset1:90
	ds_read2_b64 v[140:143], v9 offset0:91 offset1:92
	s_waitcnt vmcnt(35) lgkmcnt(3)
	v_mul_f32_e32 v193, v1, v150
	v_mul_f32_e32 v150, v2, v150
	s_waitcnt vmcnt(34)
	v_mul_f32_e32 v194, v3, v149
	v_mul_f32_e32 v149, v4, v149
	s_waitcnt vmcnt(33) lgkmcnt(2)
	v_mul_f32_e32 v195, v184, v147
	v_fmac_f32_e32 v193, v2, v146
	v_fma_f32 v150, v1, v146, -v150
	s_waitcnt vmcnt(32)
	v_mul_f32_e32 v196, v186, v148
	v_mul_f32_e32 v1, v185, v147
	;; [unrolled: 1-line block ×3, first 2 shown]
	v_fmac_f32_e32 v194, v4, v145
	v_fma_f32 v148, v3, v145, -v149
	v_fmac_f32_e32 v195, v185, v144
	s_waitcnt vmcnt(28)
	v_fmac_f32_e32 v196, v187, v158
	v_fma_f32 v149, v184, v144, -v1
	v_fma_f32 v158, v186, v158, -v2
	ds_read2_b64 v[1:4], v9 offset0:93 offset1:94
	ds_read2_b64 v[144:147], v9 offset0:95 offset1:96
	s_waitcnt vmcnt(27) lgkmcnt(3)
	v_mul_f32_e32 v184, v5, v157
	v_mul_f32_e32 v157, v6, v157
	s_waitcnt vmcnt(26)
	v_mul_f32_e32 v185, v7, v156
	v_mul_f32_e32 v156, v8, v156
	s_waitcnt vmcnt(25) lgkmcnt(2)
	v_mul_f32_e32 v186, v140, v155
	v_mul_f32_e32 v155, v141, v155
	v_fmac_f32_e32 v184, v6, v154
	v_fma_f32 v154, v5, v154, -v157
	s_waitcnt vmcnt(24)
	v_mul_f32_e32 v157, v142, v159
	v_mul_f32_e32 v5, v143, v159
	v_fmac_f32_e32 v185, v8, v153
	v_fma_f32 v153, v7, v153, -v156
	v_fmac_f32_e32 v186, v141, v152
	v_fma_f32 v152, v140, v152, -v155
	s_waitcnt vmcnt(20)
	v_fmac_f32_e32 v157, v143, v166
	v_fma_f32 v155, v142, v166, -v5
	ds_read2_b64 v[5:8], v9 offset0:97 offset1:98
	ds_read2_b64 v[140:143], v9 offset0:99 offset1:100
	s_waitcnt vmcnt(19) lgkmcnt(3)
	v_mul_f32_e32 v159, v2, v165
	v_mul_f32_e32 v156, v1, v165
	s_waitcnt vmcnt(18)
	v_mul_f32_e32 v165, v3, v164
	v_mul_f32_e32 v164, v4, v164
	s_waitcnt vmcnt(17) lgkmcnt(2)
	v_mul_f32_e32 v166, v144, v163
	v_fma_f32 v159, v1, v162, -v159
	s_waitcnt vmcnt(16)
	v_mul_f32_e32 v1, v147, v167
	v_mul_f32_e32 v163, v145, v163
	v_fmac_f32_e32 v156, v2, v162
	v_mul_f32_e32 v162, v146, v167
	v_fmac_f32_e32 v165, v4, v161
	v_fma_f32 v161, v3, v161, -v164
	s_clause 0x4
	buffer_load_dword v164, off, s[0:3], 0 offset:324
	buffer_load_dword v167, off, s[0:3], 0 offset:344
	buffer_load_dword v187, off, s[0:3], 0 offset:336
	buffer_load_dword v197, off, s[0:3], 0 offset:328
	buffer_load_dword v198, off, s[0:3], 0 offset:320
	v_fmac_f32_e32 v166, v145, v160
	s_waitcnt vmcnt(17)
	v_fma_f32 v145, v146, v175, -v1
	ds_read2_b64 v[1:4], v9 offset0:101 offset1:102
	v_fmac_f32_e32 v162, v147, v175
	v_fma_f32 v144, v144, v160, -v163
	s_waitcnt vmcnt(16) lgkmcnt(2)
	v_mul_f32_e32 v146, v5, v173
	v_mul_f32_e32 v147, v6, v173
	s_waitcnt vmcnt(15)
	v_mul_f32_e32 v160, v7, v172
	v_mul_f32_e32 v163, v8, v172
	buffer_load_dword v172, off, s[0:3], 0 offset:340
	v_fmac_f32_e32 v146, v6, v171
	v_fma_f32 v147, v5, v171, -v147
	buffer_load_dword v171, off, s[0:3], 0 offset:332
	v_fmac_f32_e32 v160, v8, v169
	v_fma_f32 v163, v7, v169, -v163
	s_waitcnt vmcnt(16) lgkmcnt(1)
	v_mul_f32_e32 v169, v140, v170
	v_mul_f32_e32 v5, v141, v170
	s_waitcnt vmcnt(15)
	v_mul_f32_e32 v6, v143, v174
	v_mul_f32_e32 v170, v142, v174
	v_fmac_f32_e32 v169, v141, v168
	v_fma_f32 v168, v140, v168, -v5
	s_waitcnt vmcnt(10)
	v_fma_f32 v173, v142, v183, -v6
	ds_read2_b64 v[5:8], v9 offset0:103 offset1:104
	s_waitcnt vmcnt(9) lgkmcnt(1)
	v_mul_f32_e32 v174, v1, v182
	v_mul_f32_e32 v140, v2, v182
	s_waitcnt vmcnt(8)
	v_mul_f32_e32 v199, v3, v181
	v_fmac_f32_e32 v170, v143, v183
	s_clause 0x2
	buffer_load_dword v175, off, s[0:3], 0 offset:348
	buffer_load_dword v182, off, s[0:3], 0 offset:356
	;; [unrolled: 1-line block ×3, first 2 shown]
	v_fmac_f32_e32 v174, v2, v180
	v_fma_f32 v180, v1, v180, -v140
	v_mul_f32_e32 v1, v4, v181
	v_fmac_f32_e32 v199, v4, v179
	v_add_f32_e32 v2, 0, v203
	s_clause 0x3
	buffer_load_dword v181, off, s[0:3], 0 offset:376
	buffer_load_dword v207, off, s[0:3], 0 offset:368
	;; [unrolled: 1-line block ×4, first 2 shown]
	v_fma_f32 v179, v3, v179, -v1
	v_add_f32_e32 v1, 0, v200
	v_add_f32_e32 v2, v2, v205
	buffer_load_dword v200, off, s[0:3], 0 offset:372
	v_add_f32_e32 v1, v1, v201
	v_add_f32_e32 v2, v2, v188
	s_waitcnt lgkmcnt(0)
	v_mul_f32_e32 v3, v6, v177
	v_add_f32_e32 v1, v1, v202
	s_clause 0x1
	buffer_load_dword v201, off, s[0:3], 0 offset:380
	buffer_load_dword v202, off, s[0:3], 0 offset:388
	v_add_f32_e32 v2, v2, v189
	v_add_f32_e32 v1, v1, v204
	v_add_f32_e32 v2, v2, v11
	v_fma_f32 v11, v5, v176, -v3
	v_add_f32_e32 v1, v1, v190
	s_clause 0x5
	buffer_load_dword v188, off, s[0:3], 0 offset:408
	buffer_load_dword v189, off, s[0:3], 0 offset:400
	;; [unrolled: 1-line block ×6, first 2 shown]
	v_add_f32_e32 v2, v2, v10
	v_add_f32_e32 v1, v1, v191
	buffer_load_dword v191, off, s[0:3], 0 offset:396
	v_mul_f32_e32 v10, v5, v177
	v_add_f32_e32 v2, v2, v12
	v_add_f32_e32 v1, v1, v206
	v_fmac_f32_e32 v10, v6, v176
	v_add_f32_e32 v2, v2, v151
	v_add_f32_e32 v1, v1, v192
	s_clause 0x2
	buffer_load_dword v192, off, s[0:3], 0 offset:420
	buffer_load_dword v206, off, s[0:3], 0 offset:428
	buffer_load_dword v210, off, s[0:3], 0 offset:436
	v_add_f32_e32 v2, v2, v150
	v_add_f32_e32 v1, v1, v193
	s_clause 0x2
	buffer_load_dword v193, off, s[0:3], 0 offset:444
	buffer_load_dword v211, off, s[0:3], 0 offset:452
	buffer_load_dword v212, off, s[0:3], 0 offset:460
	;; [unrolled: 6-line block ×3, first 2 shown]
	buffer_load_dword v215, off, s[0:3], 0 offset:500
	v_add_f32_e32 v2, v2, v149
	v_add_f32_e32 v1, v1, v195
	buffer_load_dword v195, off, s[0:3], 0 offset:492
	v_add_f32_e32 v2, v2, v158
	v_add_f32_e32 v1, v1, v196
	;; [unrolled: 1-line block ×4, first 2 shown]
	s_clause 0x3
	buffer_load_dword v184, off, s[0:3], 0 offset:440
	buffer_load_dword v196, off, s[0:3], 0 offset:432
	;; [unrolled: 1-line block ×4, first 2 shown]
	v_add_f32_e32 v2, v2, v153
	v_add_f32_e32 v1, v1, v185
	v_add_f32_e32 v2, v2, v152
	v_add_f32_e32 v1, v1, v186
	s_clause 0x7
	buffer_load_dword v185, off, s[0:3], 0 offset:472
	buffer_load_dword v186, off, s[0:3], 0 offset:464
	;; [unrolled: 1-line block ×8, first 2 shown]
	v_add_f32_e32 v2, v2, v155
	v_add_f32_e32 v1, v1, v157
	v_add_f32_e32 v2, v2, v159
	v_add_f32_e32 v1, v1, v156
	v_add_f32_e32 v2, v2, v161
	v_add_f32_e32 v1, v1, v165
	v_add_f32_e32 v5, v2, v144
	v_add_f32_e32 v6, v1, v166
	ds_read2_b64 v[1:4], v9 offset0:105 offset1:106
	v_add_f32_e32 v12, v5, v145
	v_add_f32_e32 v140, v6, v162
	;; [unrolled: 1-line block ×4, first 2 shown]
	ds_read2_b64 v[140:143], v9 offset0:109 offset1:110
	v_add_f32_e32 v12, v12, v163
	v_add_f32_e32 v144, v144, v160
	;; [unrolled: 1-line block ×3, first 2 shown]
	s_waitcnt vmcnt(46)
	v_mul_f32_e32 v156, v7, v164
	v_mul_f32_e32 v5, v8, v164
	s_waitcnt vmcnt(42)
	v_fmac_f32_e32 v156, v8, v198
	v_fma_f32 v157, v7, v198, -v5
	ds_read2_b64 v[5:8], v9 offset0:107 offset1:108
	s_waitcnt vmcnt(41) lgkmcnt(2)
	v_mul_f32_e32 v148, v4, v172
	s_waitcnt vmcnt(40)
	v_mul_f32_e32 v145, v2, v171
	v_mul_f32_e32 v158, v1, v171
	v_fma_f32 v163, v3, v187, -v148
	v_fma_f32 v159, v1, v197, -v145
	v_add_f32_e32 v1, v144, v169
	v_fmac_f32_e32 v158, v2, v197
	v_add_f32_e32 v2, v12, v173
	ds_read2_b64 v[144:147], v9 offset0:111 offset1:112
	v_mul_f32_e32 v12, v3, v172
	v_add_f32_e32 v1, v1, v170
	v_add_f32_e32 v2, v2, v180
	s_waitcnt vmcnt(39) lgkmcnt(1)
	v_mul_f32_e32 v149, v6, v175
	v_mul_f32_e32 v160, v5, v175
	v_add_f32_e32 v1, v1, v174
	s_waitcnt vmcnt(37)
	v_mul_f32_e32 v162, v140, v183
	v_fmac_f32_e32 v12, v4, v187
	v_fma_f32 v164, v5, v167, -v149
	v_add_f32_e32 v5, v2, v179
	v_fmac_f32_e32 v160, v6, v167
	v_add_f32_e32 v6, v1, v199
	v_mul_f32_e32 v152, v8, v182
	v_mul_f32_e32 v153, v141, v183
	v_add_f32_e32 v11, v5, v11
	s_waitcnt vmcnt(34)
	v_fmac_f32_e32 v162, v141, v208
	v_add_f32_e32 v10, v6, v10
	v_mul_f32_e32 v161, v7, v182
	s_waitcnt vmcnt(33)
	v_fma_f32 v165, v7, v209, -v152
	v_add_f32_e32 v11, v11, v157
	ds_read2_b64 v[1:4], v9 offset0:113 offset1:114
	ds_read2_b64 v[148:151], v9 offset0:115 offset1:116
	v_add_f32_e32 v10, v10, v156
	v_fmac_f32_e32 v161, v8, v209
	v_fma_f32 v166, v140, v208, -v153
	s_waitcnt vmcnt(31) lgkmcnt(2)
	v_mul_f32_e32 v168, v144, v201
	v_add_f32_e32 v11, v11, v159
	s_waitcnt vmcnt(30)
	v_mul_f32_e32 v169, v146, v202
	v_add_f32_e32 v10, v10, v158
	v_mul_f32_e32 v141, v145, v201
	v_fmac_f32_e32 v168, v145, v181
	v_add_f32_e32 v145, v11, v163
	v_mul_f32_e32 v170, v147, v202
	v_mul_f32_e32 v140, v143, v200
	v_mul_f32_e32 v167, v142, v200
	v_fma_f32 v144, v144, v181, -v141
	s_waitcnt vmcnt(26)
	v_fmac_f32_e32 v169, v147, v203
	v_add_f32_e32 v147, v10, v12
	v_add_f32_e32 v145, v145, v164
	v_fma_f32 v171, v142, v207, -v140
	v_fmac_f32_e32 v167, v143, v207
	v_fma_f32 v146, v146, v203, -v170
	v_add_f32_e32 v147, v147, v160
	v_add_f32_e32 v145, v145, v165
	s_waitcnt vmcnt(23) lgkmcnt(1)
	v_mul_f32_e32 v164, v2, v191
	ds_read2_b64 v[5:8], v9 offset0:117 offset1:118
	ds_read2_b64 v[152:155], v9 offset0:119 offset1:120
	v_mul_f32_e32 v163, v1, v191
	v_add_f32_e32 v147, v147, v161
	v_add_f32_e32 v145, v145, v166
	v_mul_f32_e32 v170, v4, v204
	v_fma_f32 v1, v1, v190, -v164
	v_mul_f32_e32 v160, v3, v204
	v_add_f32_e32 v147, v147, v162
	v_add_f32_e32 v145, v145, v171
	v_fmac_f32_e32 v163, v2, v190
	v_fma_f32 v3, v3, v189, -v170
	s_waitcnt lgkmcnt(2)
	v_mul_f32_e32 v165, v148, v205
	v_add_f32_e32 v147, v147, v167
	v_add_f32_e32 v144, v145, v144
	v_fmac_f32_e32 v160, v4, v189
	s_waitcnt vmcnt(22)
	v_mul_f32_e32 v161, v150, v192
	v_fmac_f32_e32 v165, v149, v188
	v_add_f32_e32 v147, v147, v168
	v_add_f32_e32 v144, v144, v146
	ds_read2_b64 v[140:143], v9 offset0:121 offset1:122
	ds_read2_b64 v[156:159], v9 offset0:123 offset1:124
	s_waitcnt vmcnt(21) lgkmcnt(3)
	v_mul_f32_e32 v172, v5, v206
	s_waitcnt vmcnt(20)
	v_mul_f32_e32 v166, v7, v210
	v_add_f32_e32 v146, v147, v169
	v_mul_f32_e32 v147, v149, v205
	v_add_f32_e32 v1, v144, v1
	v_mul_f32_e32 v144, v151, v192
	s_waitcnt vmcnt(19) lgkmcnt(2)
	v_mul_f32_e32 v162, v152, v193
	v_add_f32_e32 v4, v146, v163
	v_fma_f32 v146, v148, v188, -v147
	v_add_f32_e32 v1, v1, v3
	s_waitcnt vmcnt(9)
	v_fmac_f32_e32 v172, v6, v216
	s_waitcnt vmcnt(8)
	v_fma_f32 v144, v150, v217, -v144
	v_add_f32_e32 v3, v4, v160
	v_mul_f32_e32 v4, v6, v206
	v_add_f32_e32 v1, v1, v146
	v_fmac_f32_e32 v161, v151, v217
	v_mul_f32_e32 v146, v8, v210
	v_add_f32_e32 v3, v3, v165
	v_fma_f32 v4, v5, v216, -v4
	v_add_f32_e32 v1, v1, v144
	v_mul_f32_e32 v5, v153, v193
	v_fma_f32 v6, v7, v196, -v146
	v_add_f32_e32 v3, v3, v161
	v_fmac_f32_e32 v166, v8, v196
	v_add_f32_e32 v1, v1, v4
	v_mul_f32_e32 v4, v155, v211
	v_fma_f32 v5, v152, v184, -v5
	v_add_f32_e32 v3, v3, v172
	v_mul_f32_e32 v173, v154, v211
	v_add_f32_e32 v1, v1, v6
	v_fmac_f32_e32 v162, v153, v184
	ds_read2_b64 v[9:12], v9 offset0:125 offset1:126
	v_add_f32_e32 v3, v3, v166
	s_waitcnt lgkmcnt(2)
	v_mul_f32_e32 v6, v141, v212
	s_waitcnt vmcnt(4)
	v_fma_f32 v4, v154, v219, -v4
	v_add_f32_e32 v1, v1, v5
	v_mul_f32_e32 v171, v140, v212
	v_fmac_f32_e32 v173, v155, v219
	v_add_f32_e32 v3, v3, v162
	v_mul_f32_e32 v5, v143, v194
	v_fma_f32 v6, v140, v218, -v6
	v_add_f32_e32 v1, v1, v4
	v_mul_f32_e32 v167, v142, v194
	v_fmac_f32_e32 v171, v141, v218
	v_add_f32_e32 v3, v3, v173
	s_waitcnt lgkmcnt(1)
	v_mul_f32_e32 v4, v157, v213
	v_fma_f32 v5, v142, v186, -v5
	v_add_f32_e32 v1, v1, v6
	v_mul_f32_e32 v174, v156, v213
	v_fmac_f32_e32 v167, v143, v186
	v_add_f32_e32 v3, v3, v171
	v_mul_f32_e32 v6, v159, v214
	v_fma_f32 v4, v156, v185, -v4
	v_add_f32_e32 v1, v1, v5
	v_mul_f32_e32 v145, v158, v214
	v_fmac_f32_e32 v174, v157, v185
	v_add_f32_e32 v3, v3, v167
	s_waitcnt lgkmcnt(0)
	v_mul_f32_e32 v5, v10, v195
	s_waitcnt vmcnt(1)
	v_fma_f32 v6, v158, v222, -v6
	v_add_f32_e32 v1, v1, v4
	v_mul_f32_e32 v168, v9, v195
	v_fmac_f32_e32 v145, v159, v222
	v_add_f32_e32 v3, v3, v174
	v_mul_f32_e32 v4, v12, v215
	v_fma_f32 v5, v9, v221, -v5
	v_add_f32_e32 v1, v1, v6
	v_mul_f32_e32 v2, v11, v215
	v_fmac_f32_e32 v168, v10, v221
	v_add_f32_e32 v3, v3, v145
	v_fma_f32 v4, v11, v220, -v4
	v_add_f32_e32 v1, v1, v5
	v_fmac_f32_e32 v2, v12, v220
	v_add_f32_e32 v3, v3, v168
	v_add_f32_e32 v1, v1, v4
	;; [unrolled: 1-line block ×3, first 2 shown]
	s_waitcnt vmcnt(0)
	v_sub_f32_e32 v1, v223, v1
	v_sub_f32_e32 v2, v178, v2
	buffer_store_dword v1, off, s[0:3], 0 offset:96
	buffer_store_dword v2, off, s[0:3], 0 offset:100
	v_cmpx_lt_u32_e32 11, v0
	s_cbranch_execz .LBB126_369
; %bb.368:
	s_clause 0x1
	buffer_load_dword v1, off, s[0:3], 0 offset:88
	buffer_load_dword v2, off, s[0:3], 0 offset:92
	v_mov_b32_e32 v3, 0
	buffer_store_dword v3, off, s[0:3], 0 offset:88
	buffer_store_dword v3, off, s[0:3], 0 offset:92
	s_waitcnt vmcnt(0)
	ds_write_b64 v139, v[1:2]
.LBB126_369:
	s_or_b32 exec_lo, exec_lo, s4
	s_waitcnt lgkmcnt(0)
	s_waitcnt_vscnt null, 0x0
	s_barrier
	buffer_gl0_inv
	s_clause 0x34
	buffer_load_dword v2, off, s[0:3], 0 offset:100
	buffer_load_dword v3, off, s[0:3], 0 offset:108
	;; [unrolled: 1-line block ×53, first 2 shown]
	v_mov_b32_e32 v1, 0
	ds_read_b128 v[178:181], v1 offset:608
	ds_read_b128 v[182:185], v1 offset:624
	s_clause 0x1
	buffer_load_dword v177, off, s[0:3], 0 offset:308
	buffer_load_dword v199, off, s[0:3], 0 offset:92
	ds_read_b128 v[186:189], v1 offset:640
	ds_read_b128 v[190:193], v1 offset:656
	s_mov_b32 s4, exec_lo
	s_waitcnt vmcnt(54) lgkmcnt(3)
	v_mul_f32_e32 v200, v178, v2
	v_mul_f32_e32 v2, v179, v2
	s_waitcnt vmcnt(53)
	v_mul_f32_e32 v201, v180, v3
	v_mul_f32_e32 v3, v181, v3
	s_waitcnt vmcnt(52) lgkmcnt(2)
	v_mul_f32_e32 v202, v182, v5
	v_mul_f32_e32 v5, v183, v5
	s_waitcnt vmcnt(49)
	v_fmac_f32_e32 v200, v179, v161
	v_fma_f32 v2, v178, v161, -v2
	s_waitcnt vmcnt(48)
	v_mul_f32_e32 v161, v184, v159
	v_mul_f32_e32 v159, v185, v159
	v_fmac_f32_e32 v201, v181, v156
	v_fma_f32 v3, v180, v156, -v3
	v_fmac_f32_e32 v202, v183, v151
	v_fma_f32 v5, v182, v151, -v5
	s_waitcnt vmcnt(44)
	v_fmac_f32_e32 v161, v185, v175
	v_fma_f32 v175, v184, v175, -v159
	ds_read_b128 v[178:181], v1 offset:672
	ds_read_b128 v[182:185], v1 offset:688
	s_waitcnt vmcnt(43) lgkmcnt(3)
	v_mul_f32_e32 v203, v186, v173
	v_mul_f32_e32 v151, v187, v173
	s_waitcnt vmcnt(41) lgkmcnt(2)
	v_mul_f32_e32 v205, v190, v171
	v_mul_f32_e32 v204, v188, v172
	;; [unrolled: 1-line block ×3, first 2 shown]
	v_fmac_f32_e32 v203, v187, v162
	v_fma_f32 v162, v186, v162, -v151
	s_waitcnt vmcnt(40)
	v_mul_f32_e32 v151, v193, v166
	v_mul_f32_e32 v206, v192, v166
	;; [unrolled: 1-line block ×3, first 2 shown]
	v_fmac_f32_e32 v205, v191, v152
	v_fmac_f32_e32 v204, v189, v157
	s_waitcnt vmcnt(36)
	v_fma_f32 v191, v192, v174, -v151
	v_fma_f32 v207, v188, v157, -v156
	v_fmac_f32_e32 v206, v193, v174
	ds_read_b128 v[171:174], v1 offset:704
	ds_read_b128 v[186:189], v1 offset:720
	v_fma_f32 v190, v190, v152, -v159
	v_add_f32_e32 v2, 0, v2
	s_waitcnt vmcnt(35) lgkmcnt(3)
	v_mul_f32_e32 v192, v178, v170
	v_mul_f32_e32 v151, v179, v170
	s_waitcnt vmcnt(34)
	v_mul_f32_e32 v170, v180, v168
	v_mul_f32_e32 v152, v181, v168
	s_waitcnt vmcnt(33) lgkmcnt(2)
	v_mul_f32_e32 v156, v183, v167
	v_fmac_f32_e32 v192, v179, v158
	v_fma_f32 v178, v178, v158, -v151
	s_waitcnt vmcnt(32)
	v_mul_f32_e32 v179, v184, v163
	v_mul_f32_e32 v151, v185, v163
	;; [unrolled: 1-line block ×3, first 2 shown]
	v_fmac_f32_e32 v170, v181, v153
	v_fma_f32 v163, v180, v153, -v152
	v_fma_f32 v180, v182, v147, -v156
	s_waitcnt vmcnt(28)
	v_fmac_f32_e32 v179, v185, v169
	v_fma_f32 v181, v184, v169, -v151
	ds_read_b128 v[156:159], v1 offset:736
	ds_read_b128 v[166:169], v1 offset:752
	v_fmac_f32_e32 v193, v183, v147
	s_waitcnt vmcnt(27) lgkmcnt(3)
	v_mul_f32_e32 v182, v171, v165
	v_mul_f32_e32 v147, v172, v165
	s_waitcnt vmcnt(26)
	v_mul_f32_e32 v165, v173, v164
	v_mul_f32_e32 v151, v174, v164
	s_waitcnt vmcnt(25) lgkmcnt(2)
	v_mul_f32_e32 v164, v186, v160
	v_mul_f32_e32 v152, v187, v160
	v_fmac_f32_e32 v182, v172, v154
	v_fma_f32 v154, v171, v154, -v147
	v_fmac_f32_e32 v165, v174, v149
	v_fma_f32 v160, v173, v149, -v151
	s_clause 0x4
	buffer_load_dword v171, off, s[0:3], 0 offset:316
	buffer_load_dword v172, off, s[0:3], 0 offset:336
	;; [unrolled: 1-line block ×5, first 2 shown]
	s_waitcnt vmcnt(29)
	v_mul_f32_e32 v184, v188, v148
	v_mul_f32_e32 v147, v189, v148
	v_fmac_f32_e32 v164, v187, v11
	v_fma_f32 v185, v186, v11, -v152
	v_add_f32_e32 v2, v2, v3
	s_waitcnt vmcnt(24)
	v_fmac_f32_e32 v184, v189, v155
	s_waitcnt lgkmcnt(1)
	v_mul_f32_e32 v186, v156, v146
	v_mul_f32_e32 v11, v157, v146
	v_fma_f32 v155, v188, v155, -v147
	ds_read_b128 v[146:149], v1 offset:768
	s_waitcnt vmcnt(23)
	v_mul_f32_e32 v187, v158, v150
	v_fmac_f32_e32 v186, v157, v145
	v_fma_f32 v145, v156, v145, -v11
	buffer_load_dword v156, off, s[0:3], 0 offset:324
	v_mul_f32_e32 v150, v159, v150
	v_fmac_f32_e32 v187, v159, v141
	s_waitcnt vmcnt(23) lgkmcnt(1)
	v_mul_f32_e32 v157, v166, v143
	v_mul_f32_e32 v11, v167, v143
	s_waitcnt vmcnt(22)
	v_mul_f32_e32 v143, v168, v140
	v_fma_f32 v141, v158, v141, -v150
	s_clause 0x1
	buffer_load_dword v158, off, s[0:3], 0 offset:332
	buffer_load_dword v159, off, s[0:3], 0 offset:340
	v_mul_f32_e32 v140, v169, v140
	v_fmac_f32_e32 v157, v167, v9
	v_fma_f32 v166, v166, v9, -v11
	s_clause 0x1
	buffer_load_dword v167, off, s[0:3], 0 offset:348
	buffer_load_dword v188, off, s[0:3], 0 offset:356
	ds_read_b128 v[150:153], v1 offset:784
	v_add_f32_e32 v11, 0, v200
	s_waitcnt vmcnt(22)
	v_fmac_f32_e32 v143, v169, v144
	v_fma_f32 v140, v168, v144, -v140
	s_waitcnt vmcnt(21) lgkmcnt(1)
	v_mul_f32_e32 v9, v147, v142
	s_waitcnt vmcnt(20)
	v_mul_f32_e32 v3, v149, v12
	v_mul_f32_e32 v144, v146, v142
	;; [unrolled: 1-line block ×3, first 2 shown]
	v_add_f32_e32 v2, v2, v5
	v_fma_f32 v12, v146, v10, -v9
	v_fma_f32 v146, v148, v8, -v3
	v_add_f32_e32 v3, v11, v201
	s_clause 0x3
	buffer_load_dword v168, off, s[0:3], 0 offset:368
	buffer_load_dword v169, off, s[0:3], 0 offset:360
	;; [unrolled: 1-line block ×4, first 2 shown]
	v_add_f32_e32 v2, v2, v175
	v_fmac_f32_e32 v144, v147, v10
	v_fmac_f32_e32 v142, v149, v8
	v_add_f32_e32 v3, v3, v202
	s_clause 0x2
	buffer_load_dword v175, off, s[0:3], 0 offset:364
	buffer_load_dword v201, off, s[0:3], 0 offset:372
	;; [unrolled: 1-line block ×3, first 2 shown]
	v_add_f32_e32 v2, v2, v162
	ds_read_b128 v[8:11], v1 offset:800
	s_waitcnt vmcnt(26) lgkmcnt(1)
	v_mul_f32_e32 v5, v151, v7
	v_add_f32_e32 v3, v3, v161
	s_waitcnt vmcnt(25)
	v_mul_f32_e32 v148, v152, v6
	v_mul_f32_e32 v6, v153, v6
	v_add_f32_e32 v2, v2, v207
	v_mul_f32_e32 v147, v150, v7
	v_add_f32_e32 v3, v3, v203
	v_fma_f32 v149, v150, v4, -v5
	s_waitcnt vmcnt(21)
	v_fma_f32 v150, v152, v196, -v6
	v_add_f32_e32 v6, v2, v190
	v_fmac_f32_e32 v148, v153, v196
	v_add_f32_e32 v3, v3, v204
	s_clause 0x4
	buffer_load_dword v161, off, s[0:3], 0 offset:400
	buffer_load_dword v162, off, s[0:3], 0 offset:392
	buffer_load_dword v190, off, s[0:3], 0 offset:384
	buffer_load_dword v196, off, s[0:3], 0 offset:376
	buffer_load_dword v203, off, s[0:3], 0 offset:388
	v_fmac_f32_e32 v147, v151, v4
	v_add_f32_e32 v6, v6, v191
	v_add_f32_e32 v7, v3, v205
	ds_read_b128 v[2:5], v1 offset:816
	v_add_f32_e32 v6, v6, v178
	s_waitcnt vmcnt(25) lgkmcnt(1)
	v_mul_f32_e32 v151, v8, v197
	v_add_f32_e32 v7, v7, v206
	v_mul_f32_e32 v152, v9, v197
	s_clause 0x1
	buffer_load_dword v191, off, s[0:3], 0 offset:396
	buffer_load_dword v197, off, s[0:3], 0 offset:404
	v_add_f32_e32 v6, v6, v163
	buffer_load_dword v178, off, s[0:3], 0 offset:412
	v_add_f32_e32 v7, v7, v192
	v_fma_f32 v152, v8, v195, -v152
	s_waitcnt vmcnt(27)
	v_mul_f32_e32 v153, v10, v198
	v_add_f32_e32 v6, v6, v180
	v_mul_f32_e32 v8, v11, v198
	v_add_f32_e32 v7, v7, v170
	v_fmac_f32_e32 v151, v9, v195
	s_clause 0x1
	buffer_load_dword v163, off, s[0:3], 0 offset:420
	buffer_load_dword v192, off, s[0:3], 0 offset:428
	v_add_f32_e32 v6, v6, v181
	buffer_load_dword v170, off, s[0:3], 0 offset:436
	v_add_f32_e32 v7, v7, v193
	v_fmac_f32_e32 v153, v11, v194
	v_fma_f32 v10, v10, v194, -v8
	v_add_f32_e32 v6, v6, v154
	s_clause 0x1
	buffer_load_dword v180, off, s[0:3], 0 offset:444
	buffer_load_dword v194, off, s[0:3], 0 offset:452
	v_add_f32_e32 v7, v7, v179
	s_clause 0x5
	buffer_load_dword v181, off, s[0:3], 0 offset:460
	buffer_load_dword v193, off, s[0:3], 0 offset:468
	;; [unrolled: 1-line block ×6, first 2 shown]
	v_add_f32_e32 v6, v6, v160
	s_waitcnt vmcnt(37) lgkmcnt(0)
	v_mul_f32_e32 v11, v2, v177
	v_add_f32_e32 v7, v7, v182
	s_clause 0x3
	buffer_load_dword v160, off, s[0:3], 0 offset:432
	buffer_load_dword v182, off, s[0:3], 0 offset:424
	;; [unrolled: 1-line block ×4, first 2 shown]
	v_mul_f32_e32 v8, v3, v177
	v_add_f32_e32 v6, v6, v185
	v_fmac_f32_e32 v11, v3, v176
	v_add_f32_e32 v7, v7, v165
	v_fma_f32 v154, v2, v176, -v8
	v_add_f32_e32 v6, v6, v155
	v_add_f32_e32 v7, v7, v164
	s_clause 0x3
	buffer_load_dword v164, off, s[0:3], 0 offset:464
	buffer_load_dword v165, off, s[0:3], 0 offset:456
	buffer_load_dword v185, off, s[0:3], 0 offset:448
	buffer_load_dword v207, off, s[0:3], 0 offset:440
	v_add_f32_e32 v6, v6, v145
	v_add_f32_e32 v7, v7, v184
	;; [unrolled: 1-line block ×4, first 2 shown]
	s_clause 0x3
	buffer_load_dword v184, off, s[0:3], 0 offset:496
	buffer_load_dword v186, off, s[0:3], 0 offset:488
	;; [unrolled: 1-line block ×4, first 2 shown]
	v_add_f32_e32 v6, v6, v166
	v_add_f32_e32 v7, v7, v187
	buffer_load_dword v187, off, s[0:3], 0 offset:88
	v_add_f32_e32 v2, v6, v140
	v_add_f32_e32 v7, v7, v157
	;; [unrolled: 1-line block ×4, first 2 shown]
	ds_read_b128 v[6:9], v1 offset:832
	v_add_f32_e32 v12, v12, v146
	v_add_f32_e32 v140, v3, v144
	;; [unrolled: 1-line block ×4, first 2 shown]
	ds_read_b128 v[140:143], v1 offset:864
	v_add_f32_e32 v12, v12, v150
	v_add_f32_e32 v144, v144, v147
	s_waitcnt vmcnt(48)
	v_mul_f32_e32 v155, v4, v171
	v_mul_f32_e32 v2, v5, v171
	s_waitcnt vmcnt(44)
	v_fmac_f32_e32 v155, v5, v183
	v_fma_f32 v157, v4, v183, -v2
	ds_read_b128 v[2:5], v1 offset:848
	s_waitcnt vmcnt(43) lgkmcnt(2)
	v_mul_f32_e32 v145, v7, v156
	v_mul_f32_e32 v166, v6, v156
	v_fma_f32 v156, v6, v174, -v145
	v_add_f32_e32 v6, v144, v148
	v_fmac_f32_e32 v166, v7, v174
	v_add_f32_e32 v7, v12, v152
	s_waitcnt vmcnt(41) lgkmcnt(0)
	v_mul_f32_e32 v149, v3, v159
	v_mul_f32_e32 v171, v2, v159
	v_add_f32_e32 v6, v6, v151
	ds_read_b128 v[144:147], v1 offset:880
	v_add_f32_e32 v7, v7, v10
	s_waitcnt vmcnt(40)
	v_mul_f32_e32 v10, v5, v167
	v_fma_f32 v159, v2, v172, -v149
	v_add_f32_e32 v6, v6, v153
	v_mul_f32_e32 v12, v8, v158
	v_add_f32_e32 v2, v7, v154
	v_mul_f32_e32 v148, v9, v158
	v_fmac_f32_e32 v171, v3, v172
	v_add_f32_e32 v3, v6, v11
	s_waitcnt vmcnt(39)
	v_mul_f32_e32 v11, v141, v188
	v_fmac_f32_e32 v12, v9, v173
	s_waitcnt vmcnt(35)
	v_fma_f32 v172, v4, v200, -v10
	v_add_f32_e32 v10, v2, v157
	v_fma_f32 v158, v8, v173, -v148
	v_fma_f32 v173, v140, v189, -v11
	v_add_f32_e32 v11, v3, v155
	v_mul_f32_e32 v174, v4, v167
	v_add_f32_e32 v10, v10, v156
	v_mul_f32_e32 v167, v140, v188
	ds_read_b128 v[6:9], v1 offset:896
	ds_read_b128 v[148:151], v1 offset:912
	v_add_f32_e32 v11, v11, v166
	v_fmac_f32_e32 v174, v5, v200
	v_add_f32_e32 v10, v10, v158
	s_waitcnt vmcnt(34)
	v_mul_f32_e32 v176, v142, v175
	v_mul_f32_e32 v140, v143, v175
	v_add_f32_e32 v11, v11, v12
	v_fmac_f32_e32 v167, v141, v189
	v_add_f32_e32 v12, v10, v159
	s_waitcnt vmcnt(33) lgkmcnt(2)
	v_mul_f32_e32 v166, v144, v201
	v_mul_f32_e32 v141, v145, v201
	v_add_f32_e32 v171, v11, v171
	v_fmac_f32_e32 v176, v143, v169
	v_add_f32_e32 v12, v12, v172
	v_fma_f32 v169, v142, v169, -v140
	s_waitcnt vmcnt(32)
	v_mul_f32_e32 v177, v147, v202
	v_add_f32_e32 v171, v171, v174
	v_fmac_f32_e32 v166, v145, v168
	v_add_f32_e32 v12, v12, v173
	v_fma_f32 v168, v144, v168, -v141
	v_mul_f32_e32 v175, v146, v202
	v_add_f32_e32 v167, v171, v167
	s_waitcnt vmcnt(28)
	v_fma_f32 v177, v146, v196, -v177
	v_add_f32_e32 v12, v12, v169
	s_waitcnt vmcnt(27) lgkmcnt(1)
	v_mul_f32_e32 v183, v7, v203
	ds_read_b128 v[2:5], v1 offset:928
	ds_read_b128 v[152:155], v1 offset:944
	v_add_f32_e32 v167, v167, v176
	v_fmac_f32_e32 v175, v147, v196
	v_add_f32_e32 v12, v12, v168
	v_mul_f32_e32 v172, v6, v203
	s_waitcnt vmcnt(26)
	v_mul_f32_e32 v188, v9, v191
	v_add_f32_e32 v166, v167, v166
	v_fma_f32 v6, v6, v190, -v183
	v_add_f32_e32 v12, v12, v177
	v_mul_f32_e32 v174, v8, v191
	v_fmac_f32_e32 v172, v7, v190
	v_add_f32_e32 v166, v166, v175
	s_waitcnt vmcnt(25) lgkmcnt(2)
	v_mul_f32_e32 v183, v149, v197
	v_fma_f32 v8, v8, v162, -v188
	v_add_f32_e32 v6, v12, v6
	v_mul_f32_e32 v173, v148, v197
	v_fmac_f32_e32 v174, v9, v162
	v_add_f32_e32 v12, v166, v172
	s_waitcnt vmcnt(24)
	v_mul_f32_e32 v175, v151, v178
	v_fma_f32 v148, v148, v161, -v183
	v_add_f32_e32 v6, v6, v8
	v_mul_f32_e32 v171, v150, v178
	v_fmac_f32_e32 v173, v149, v161
	v_add_f32_e32 v8, v12, v174
	s_waitcnt vmcnt(23) lgkmcnt(1)
	v_mul_f32_e32 v7, v2, v163
	v_mul_f32_e32 v12, v3, v163
	s_waitcnt vmcnt(9)
	v_fma_f32 v149, v150, v206, -v175
	v_add_f32_e32 v6, v6, v148
	ds_read_b128 v[140:143], v1 offset:960
	ds_read_b128 v[156:159], v1 offset:976
	v_fmac_f32_e32 v171, v151, v206
	v_add_f32_e32 v8, v8, v173
	v_mul_f32_e32 v148, v5, v192
	v_fmac_f32_e32 v7, v3, v205
	v_fma_f32 v2, v2, v205, -v12
	v_add_f32_e32 v3, v6, v149
	v_mul_f32_e32 v169, v4, v192
	v_add_f32_e32 v6, v8, v171
	s_waitcnt lgkmcnt(2)
	v_mul_f32_e32 v8, v153, v170
	v_fma_f32 v4, v4, v182, -v148
	v_add_f32_e32 v2, v3, v2
	v_mul_f32_e32 v176, v152, v170
	v_fmac_f32_e32 v169, v5, v182
	v_add_f32_e32 v3, v6, v7
	v_mul_f32_e32 v5, v155, v180
	v_fma_f32 v6, v152, v160, -v8
	v_add_f32_e32 v2, v2, v4
	v_mul_f32_e32 v9, v154, v180
	v_fmac_f32_e32 v176, v153, v160
	v_add_f32_e32 v3, v3, v169
	s_waitcnt lgkmcnt(1)
	v_mul_f32_e32 v4, v141, v194
	s_waitcnt vmcnt(5)
	v_fma_f32 v5, v154, v207, -v5
	v_add_f32_e32 v2, v2, v6
	ds_read_b128 v[144:147], v1 offset:992
	ds_read_b64 v[10:11], v1 offset:1008
	v_mul_f32_e32 v162, v140, v194
	v_fmac_f32_e32 v9, v155, v207
	v_add_f32_e32 v3, v3, v176
	v_mul_f32_e32 v6, v143, v181
	v_fma_f32 v4, v140, v185, -v4
	v_add_f32_e32 v2, v2, v5
	v_mul_f32_e32 v167, v142, v181
	v_fmac_f32_e32 v162, v141, v185
	v_add_f32_e32 v3, v3, v9
	s_waitcnt lgkmcnt(2)
	v_mul_f32_e32 v5, v157, v193
	v_fma_f32 v6, v142, v165, -v6
	v_add_f32_e32 v2, v2, v4
	v_mul_f32_e32 v168, v156, v193
	v_fmac_f32_e32 v167, v143, v165
	v_add_f32_e32 v3, v3, v162
	v_mul_f32_e32 v4, v159, v195
	v_fma_f32 v5, v156, v164, -v5
	v_add_f32_e32 v2, v2, v6
	v_mul_f32_e32 v188, v158, v195
	v_fmac_f32_e32 v168, v157, v164
	v_add_f32_e32 v3, v3, v167
	s_waitcnt lgkmcnt(1)
	v_mul_f32_e32 v6, v145, v179
	s_waitcnt vmcnt(1)
	v_fma_f32 v4, v158, v209, -v4
	v_add_f32_e32 v2, v2, v5
	v_mul_f32_e32 v177, v144, v179
	v_fmac_f32_e32 v188, v159, v209
	v_add_f32_e32 v3, v3, v168
	v_mul_f32_e32 v5, v147, v198
	v_fma_f32 v6, v144, v208, -v6
	v_add_f32_e32 v2, v2, v4
	v_mul_f32_e32 v178, v146, v198
	v_fmac_f32_e32 v177, v145, v208
	v_add_f32_e32 v3, v3, v188
	s_waitcnt lgkmcnt(0)
	v_mul_f32_e32 v4, v11, v204
	v_fma_f32 v5, v146, v186, -v5
	v_add_f32_e32 v2, v2, v6
	v_mul_f32_e32 v166, v10, v204
	v_fmac_f32_e32 v178, v147, v186
	v_add_f32_e32 v3, v3, v177
	v_fma_f32 v4, v10, v184, -v4
	v_add_f32_e32 v2, v2, v5
	v_fmac_f32_e32 v166, v11, v184
	v_add_f32_e32 v3, v3, v178
	v_add_f32_e32 v2, v2, v4
	;; [unrolled: 1-line block ×3, first 2 shown]
	s_waitcnt vmcnt(0)
	v_sub_f32_e32 v2, v187, v2
	v_sub_f32_e32 v3, v199, v3
	buffer_store_dword v2, off, s[0:3], 0 offset:88
	buffer_store_dword v3, off, s[0:3], 0 offset:92
	v_cmpx_lt_u32_e32 10, v0
	s_cbranch_execz .LBB126_371
; %bb.370:
	s_clause 0x1
	buffer_load_dword v2, off, s[0:3], 0 offset:80
	buffer_load_dword v3, off, s[0:3], 0 offset:84
	buffer_store_dword v1, off, s[0:3], 0 offset:80
	buffer_store_dword v1, off, s[0:3], 0 offset:84
	s_waitcnt vmcnt(0)
	ds_write_b64 v139, v[2:3]
.LBB126_371:
	s_or_b32 exec_lo, exec_lo, s4
	s_waitcnt lgkmcnt(0)
	s_waitcnt_vscnt null, 0x0
	s_barrier
	buffer_gl0_inv
	s_clause 0x3b
	buffer_load_dword v4, off, s[0:3], 0 offset:92
	buffer_load_dword v3, off, s[0:3], 0 offset:104
	;; [unrolled: 1-line block ×60, first 2 shown]
	ds_read2_b64 v[185:188], v1 offset0:75 offset1:76
	ds_read2_b64 v[189:192], v1 offset0:77 offset1:78
	;; [unrolled: 1-line block ×3, first 2 shown]
	buffer_load_dword v202, off, s[0:3], 0 offset:84
	s_mov_b32 s4, exec_lo
	s_waitcnt vmcnt(60) lgkmcnt(2)
	v_mul_f32_e32 v201, v185, v4
	v_mul_f32_e32 v4, v186, v4
	s_waitcnt vmcnt(56)
	v_mul_f32_e32 v203, v187, v10
	v_mul_f32_e32 v10, v188, v10
	v_fmac_f32_e32 v201, v186, v11
	v_fma_f32 v4, v185, v11, -v4
	s_waitcnt vmcnt(55) lgkmcnt(1)
	v_mul_f32_e32 v204, v189, v9
	v_fmac_f32_e32 v203, v188, v7
	v_fma_f32 v7, v187, v7, -v10
	ds_read2_b64 v[185:188], v1 offset0:81 offset1:82
	v_mul_f32_e32 v9, v190, v9
	s_waitcnt vmcnt(54)
	v_mul_f32_e32 v205, v191, v5
	v_mul_f32_e32 v5, v192, v5
	v_fmac_f32_e32 v204, v190, v3
	s_waitcnt vmcnt(48) lgkmcnt(1)
	v_mul_f32_e32 v206, v195, v171
	v_fma_f32 v3, v189, v3, -v9
	v_fmac_f32_e32 v205, v192, v175
	v_fma_f32 v5, v191, v175, -v5
	v_mul_f32_e32 v9, v194, v174
	ds_read2_b64 v[189:192], v1 offset0:83 offset1:84
	v_mul_f32_e32 v175, v193, v174
	v_fmac_f32_e32 v206, v196, v162
	v_add_f32_e32 v4, 0, v4
	v_fma_f32 v174, v193, v170, -v9
	v_mul_f32_e32 v9, v196, v171
	v_fmac_f32_e32 v175, v194, v170
	v_add_f32_e32 v4, v4, v7
	v_fma_f32 v207, v195, v162, -v9
	s_waitcnt vmcnt(47) lgkmcnt(1)
	v_mul_f32_e32 v208, v185, v166
	v_mul_f32_e32 v9, v186, v166
	ds_read2_b64 v[193:196], v1 offset0:85 offset1:86
	s_waitcnt vmcnt(46)
	v_mul_f32_e32 v209, v187, v159
	v_add_f32_e32 v3, v4, v3
	v_fmac_f32_e32 v208, v186, v150
	v_fma_f32 v150, v185, v150, -v9
	v_mul_f32_e32 v9, v188, v159
	s_waitcnt vmcnt(42)
	v_fmac_f32_e32 v209, v188, v173
	s_waitcnt vmcnt(41) lgkmcnt(1)
	v_mul_f32_e32 v211, v189, v172
	v_fma_f32 v210, v187, v173, -v9
	v_mul_f32_e32 v9, v190, v172
	ds_read2_b64 v[170:173], v1 offset0:87 offset1:88
	ds_read2_b64 v[185:188], v1 offset0:89 offset1:90
	v_fmac_f32_e32 v211, v190, v165
	s_waitcnt vmcnt(40)
	v_mul_f32_e32 v190, v191, v167
	v_fma_f32 v189, v189, v165, -v9
	v_mul_f32_e32 v9, v192, v167
	v_fmac_f32_e32 v190, v192, v157
	s_waitcnt vmcnt(39) lgkmcnt(2)
	v_mul_f32_e32 v192, v193, v163
	v_fma_f32 v191, v191, v157, -v9
	v_mul_f32_e32 v9, v194, v163
	s_waitcnt vmcnt(38)
	v_mul_f32_e32 v163, v195, v155
	v_fmac_f32_e32 v192, v194, v145
	v_fma_f32 v145, v193, v145, -v9
	v_mul_f32_e32 v9, v196, v155
	s_waitcnt vmcnt(34)
	v_fmac_f32_e32 v163, v196, v169
	s_waitcnt vmcnt(33) lgkmcnt(1)
	v_mul_f32_e32 v193, v170, v168
	s_waitcnt vmcnt(30) lgkmcnt(0)
	v_mul_f32_e32 v10, v188, v152
	v_fma_f32 v169, v195, v169, -v9
	v_mul_f32_e32 v9, v171, v168
	ds_read2_b64 v[165:168], v1 offset0:91 offset1:92
	v_fmac_f32_e32 v193, v171, v158
	v_mul_f32_e32 v171, v172, v160
	v_fma_f32 v170, v170, v158, -v9
	v_mul_f32_e32 v9, v173, v160
	v_fmac_f32_e32 v171, v173, v148
	v_mul_f32_e32 v173, v187, v152
	s_waitcnt vmcnt(26)
	v_fma_f32 v152, v187, v164, -v10
	v_fma_f32 v148, v172, v148, -v9
	v_mul_f32_e32 v172, v185, v156
	v_mul_f32_e32 v9, v186, v156
	ds_read2_b64 v[155:158], v1 offset0:93 offset1:94
	v_fmac_f32_e32 v173, v188, v164
	v_fmac_f32_e32 v172, v186, v141
	v_fma_f32 v141, v185, v141, -v9
	s_waitcnt vmcnt(25) lgkmcnt(1)
	v_mul_f32_e32 v164, v165, v161
	v_mul_f32_e32 v9, v166, v161
	ds_read2_b64 v[159:162], v1 offset0:95 offset1:96
	v_fmac_f32_e32 v164, v166, v151
	v_fma_f32 v151, v165, v151, -v9
	s_waitcnt vmcnt(24)
	v_mul_f32_e32 v165, v167, v153
	v_mul_f32_e32 v9, v168, v153
	buffer_load_dword v153, off, s[0:3], 0 offset:324
	v_fmac_f32_e32 v165, v168, v143
	v_fma_f32 v143, v167, v143, -v9
	s_waitcnt vmcnt(24) lgkmcnt(1)
	v_mul_f32_e32 v166, v155, v146
	v_mul_f32_e32 v9, v156, v146
	s_waitcnt vmcnt(23)
	v_mul_f32_e32 v146, v157, v144
	v_mul_f32_e32 v10, v158, v144
	buffer_load_dword v144, off, s[0:3], 0 offset:332
	v_fmac_f32_e32 v166, v156, v12
	v_fma_f32 v155, v155, v12, -v9
	s_waitcnt vmcnt(20)
	v_fmac_f32_e32 v146, v158, v154
	v_fma_f32 v154, v157, v154, -v10
	ds_read2_b64 v[9:12], v1 offset0:97 offset1:98
	s_waitcnt vmcnt(18) lgkmcnt(1)
	v_mul_f32_e32 v157, v161, v147
	v_mul_f32_e32 v147, v162, v147
	;; [unrolled: 1-line block ×4, first 2 shown]
	buffer_load_dword v158, off, s[0:3], 0 offset:340
	v_fmac_f32_e32 v157, v162, v140
	v_fma_f32 v140, v161, v140, -v147
	v_add_f32_e32 v161, 0, v201
	v_fmac_f32_e32 v156, v160, v142
	v_fma_f32 v142, v159, v142, -v149
	s_clause 0x6
	buffer_load_dword v159, off, s[0:3], 0 offset:360
	buffer_load_dword v149, off, s[0:3], 0 offset:352
	;; [unrolled: 1-line block ×7, first 2 shown]
	v_add_f32_e32 v7, v161, v203
	buffer_load_dword v161, off, s[0:3], 0 offset:372
	v_add_f32_e32 v7, v7, v204
	s_waitcnt vmcnt(26) lgkmcnt(0)
	v_mul_f32_e32 v185, v9, v8
	v_mul_f32_e32 v4, v10, v8
	s_waitcnt vmcnt(25)
	v_mul_f32_e32 v186, v11, v6
	v_mul_f32_e32 v6, v12, v6
	v_add_f32_e32 v8, v3, v5
	v_add_f32_e32 v7, v7, v205
	v_fmac_f32_e32 v185, v10, v2
	v_fma_f32 v10, v9, v2, -v4
	s_waitcnt vmcnt(21)
	v_fma_f32 v11, v11, v197, -v6
	ds_read2_b64 v[2:5], v1 offset0:99 offset1:100
	v_add_f32_e32 v6, v8, v174
	v_add_f32_e32 v7, v7, v175
	v_fmac_f32_e32 v186, v12, v197
	s_clause 0x6
	buffer_load_dword v12, off, s[0:3], 0 offset:392
	buffer_load_dword v174, off, s[0:3], 0 offset:384
	;; [unrolled: 1-line block ×7, first 2 shown]
	v_add_f32_e32 v6, v6, v207
	v_add_f32_e32 v7, v7, v206
	;; [unrolled: 1-line block ×6, first 2 shown]
	ds_read2_b64 v[6:9], v1 offset0:101 offset1:102
	s_waitcnt vmcnt(27) lgkmcnt(1)
	v_mul_f32_e32 v197, v2, v184
	v_mul_f32_e32 v184, v3, v184
	v_add_f32_e32 v150, v150, v211
	v_add_f32_e32 v189, v196, v189
	s_waitcnt vmcnt(26)
	v_mul_f32_e32 v196, v4, v183
	v_fmac_f32_e32 v197, v3, v181
	v_fma_f32 v181, v2, v181, -v184
	v_add_f32_e32 v3, v150, v190
	v_add_f32_e32 v2, v189, v191
	v_mul_f32_e32 v183, v5, v183
	s_clause 0x3
	buffer_load_dword v184, off, s[0:3], 0 offset:404
	buffer_load_dword v189, off, s[0:3], 0 offset:412
	;; [unrolled: 1-line block ×4, first 2 shown]
	v_fmac_f32_e32 v196, v5, v180
	v_add_f32_e32 v3, v3, v192
	v_add_f32_e32 v2, v2, v145
	v_fma_f32 v150, v4, v180, -v183
	s_clause 0x3
	buffer_load_dword v180, off, s[0:3], 0 offset:436
	buffer_load_dword v183, off, s[0:3], 0 offset:444
	;; [unrolled: 1-line block ×4, first 2 shown]
	v_add_f32_e32 v3, v3, v163
	v_add_f32_e32 v2, v2, v169
	s_waitcnt vmcnt(33) lgkmcnt(0)
	v_mul_f32_e32 v205, v6, v178
	v_mul_f32_e32 v4, v7, v178
	s_clause 0x3
	buffer_load_dword v163, off, s[0:3], 0 offset:468
	buffer_load_dword v169, off, s[0:3], 0 offset:476
	;; [unrolled: 1-line block ×4, first 2 shown]
	v_add_f32_e32 v3, v3, v193
	v_add_f32_e32 v2, v2, v170
	buffer_load_dword v170, off, s[0:3], 0 offset:500
	v_fmac_f32_e32 v205, v7, v177
	v_fma_f32 v177, v6, v177, -v4
	v_add_f32_e32 v6, v3, v171
	s_clause 0x3
	buffer_load_dword v171, off, s[0:3], 0 offset:424
	buffer_load_dword v178, off, s[0:3], 0 offset:416
	;; [unrolled: 1-line block ×4, first 2 shown]
	v_add_f32_e32 v2, v2, v148
	s_waitcnt vmcnt(41)
	v_mul_f32_e32 v148, v8, v176
	v_add_f32_e32 v6, v6, v172
	v_add_f32_e32 v7, v2, v141
	v_mul_f32_e32 v2, v9, v176
	s_waitcnt vmcnt(37)
	v_fmac_f32_e32 v148, v9, v199
	v_add_f32_e32 v6, v6, v173
	v_add_f32_e32 v7, v7, v152
	v_fma_f32 v176, v8, v199, -v2
	ds_read2_b64 v[2:5], v1 offset0:103 offset1:104
	s_clause 0x3
	buffer_load_dword v172, off, s[0:3], 0 offset:456
	buffer_load_dword v173, off, s[0:3], 0 offset:448
	;; [unrolled: 1-line block ×4, first 2 shown]
	v_add_f32_e32 v6, v6, v164
	v_add_f32_e32 v7, v7, v151
	;; [unrolled: 1-line block ×4, first 2 shown]
	ds_read2_b64 v[6:9], v1 offset0:105 offset1:106
	v_add_f32_e32 v141, v141, v155
	v_add_f32_e32 v143, v143, v166
	s_waitcnt vmcnt(40) lgkmcnt(1)
	v_mul_f32_e32 v152, v2, v200
	v_mul_f32_e32 v145, v3, v200
	v_fmac_f32_e32 v152, v3, v198
	v_fma_f32 v155, v2, v198, -v145
	s_clause 0x5
	buffer_load_dword v164, off, s[0:3], 0 offset:488
	buffer_load_dword v165, off, s[0:3], 0 offset:480
	buffer_load_dword v166, off, s[0:3], 0 offset:472
	buffer_load_dword v198, off, s[0:3], 0 offset:464
	buffer_load_dword v200, off, s[0:3], 0 offset:496
	buffer_load_dword v208, off, s[0:3], 0 offset:80
	v_add_f32_e32 v2, v141, v154
	v_add_f32_e32 v3, v143, v146
	;; [unrolled: 1-line block ×18, first 2 shown]
	s_waitcnt vmcnt(44)
	v_mul_f32_e32 v156, v4, v153
	v_mul_f32_e32 v140, v5, v153
	v_fmac_f32_e32 v156, v5, v182
	v_fma_f32 v157, v4, v182, -v140
	ds_read2_b64 v[2:5], v1 offset0:107 offset1:108
	ds_read2_b64 v[140:143], v1 offset0:109 offset1:110
	s_waitcnt vmcnt(43) lgkmcnt(2)
	v_mul_f32_e32 v11, v6, v144
	v_mul_f32_e32 v144, v7, v144
	v_add_f32_e32 v10, v10, v157
	v_fmac_f32_e32 v11, v7, v179
	s_waitcnt vmcnt(42)
	v_mul_f32_e32 v182, v8, v158
	v_mul_f32_e32 v146, v9, v158
	v_fma_f32 v158, v6, v179, -v144
	s_waitcnt vmcnt(38)
	v_fmac_f32_e32 v182, v9, v147
	v_fma_f32 v179, v8, v147, -v146
	ds_read2_b64 v[6:9], v1 offset0:111 offset1:112
	ds_read2_b64 v[144:147], v1 offset0:113 offset1:114
	s_waitcnt vmcnt(36) lgkmcnt(3)
	v_mul_f32_e32 v153, v5, v167
	v_mul_f32_e32 v181, v2, v162
	v_mul_f32_e32 v150, v3, v162
	v_mul_f32_e32 v162, v4, v167
	s_waitcnt vmcnt(35) lgkmcnt(2)
	v_mul_f32_e32 v167, v140, v168
	v_mul_f32_e32 v154, v141, v168
	v_fma_f32 v177, v4, v149, -v153
	v_add_f32_e32 v153, v151, v148
	v_fmac_f32_e32 v181, v3, v160
	v_fmac_f32_e32 v167, v141, v159
	v_fma_f32 v176, v140, v159, -v154
	v_fma_f32 v160, v2, v160, -v150
	v_add_f32_e32 v159, v153, v152
	v_fmac_f32_e32 v162, v5, v149
	s_waitcnt vmcnt(34)
	v_mul_f32_e32 v168, v142, v161
	v_mul_f32_e32 v161, v143, v161
	ds_read2_b64 v[2:5], v1 offset0:115 offset1:116
	ds_read2_b64 v[148:151], v1 offset0:117 offset1:118
	v_add_f32_e32 v156, v159, v156
	s_waitcnt vmcnt(29) lgkmcnt(3)
	v_mul_f32_e32 v185, v6, v188
	v_mul_f32_e32 v157, v7, v188
	v_fma_f32 v161, v142, v187, -v161
	v_fmac_f32_e32 v168, v143, v187
	s_waitcnt vmcnt(28)
	v_mul_f32_e32 v186, v8, v194
	v_fmac_f32_e32 v185, v7, v175
	v_add_f32_e32 v7, v10, v158
	v_add_f32_e32 v10, v156, v11
	v_fma_f32 v11, v6, v175, -v157
	v_mul_f32_e32 v159, v9, v194
	ds_read2_b64 v[140:143], v1 offset0:119 offset1:120
	ds_read2_b64 v[152:155], v1 offset0:121 offset1:122
	v_add_f32_e32 v175, v7, v179
	v_add_f32_e32 v10, v10, v182
	v_fmac_f32_e32 v186, v9, v174
	v_fma_f32 v174, v8, v174, -v159
	ds_read2_b64 v[6:9], v1 offset0:123 offset1:124
	ds_read2_b64 v[156:159], v1 offset0:125 offset1:126
	v_add_f32_e32 v160, v175, v160
	v_add_f32_e32 v10, v10, v181
	s_waitcnt vmcnt(27) lgkmcnt(6)
	v_mul_f32_e32 v1, v144, v195
	v_mul_f32_e32 v175, v145, v195
	v_add_f32_e32 v160, v160, v177
	v_add_f32_e32 v10, v10, v162
	v_fmac_f32_e32 v1, v145, v12
	s_waitcnt vmcnt(26)
	v_mul_f32_e32 v181, v147, v184
	v_fma_f32 v12, v144, v12, -v175
	v_add_f32_e32 v160, v160, v176
	v_add_f32_e32 v10, v10, v167
	v_mul_f32_e32 v179, v146, v184
	s_waitcnt vmcnt(25) lgkmcnt(5)
	v_mul_f32_e32 v177, v2, v189
	v_mul_f32_e32 v145, v3, v189
	v_add_f32_e32 v160, v160, v161
	v_add_f32_e32 v10, v10, v168
	s_waitcnt vmcnt(24)
	v_mul_f32_e32 v162, v4, v190
	s_waitcnt vmcnt(23) lgkmcnt(4)
	v_mul_f32_e32 v182, v148, v191
	s_waitcnt vmcnt(22)
	v_mul_f32_e32 v176, v150, v180
	v_add_f32_e32 v11, v160, v11
	v_add_f32_e32 v10, v10, v185
	s_waitcnt vmcnt(21) lgkmcnt(3)
	v_mul_f32_e32 v167, v140, v183
	s_waitcnt vmcnt(20)
	v_mul_f32_e32 v184, v142, v192
	s_waitcnt vmcnt(19) lgkmcnt(2)
	v_mul_f32_e32 v161, v152, v201
	v_add_f32_e32 v11, v11, v174
	v_add_f32_e32 v10, v10, v186
	s_waitcnt vmcnt(12)
	v_fmac_f32_e32 v162, v5, v178
	s_waitcnt vmcnt(11)
	v_fmac_f32_e32 v177, v3, v193
	s_waitcnt vmcnt(10)
	v_fma_f32 v146, v146, v206, -v181
	v_add_f32_e32 v11, v11, v12
	v_fmac_f32_e32 v179, v147, v206
	v_add_f32_e32 v1, v10, v1
	v_mul_f32_e32 v10, v5, v190
	v_fma_f32 v2, v2, v193, -v145
	v_add_f32_e32 v3, v11, v146
	v_mul_f32_e32 v11, v149, v191
	v_add_f32_e32 v1, v1, v179
	v_fma_f32 v4, v4, v178, -v10
	v_fmac_f32_e32 v182, v149, v171
	v_add_f32_e32 v2, v3, v2
	v_mul_f32_e32 v3, v151, v180
	v_add_f32_e32 v1, v1, v177
	v_fma_f32 v5, v148, v171, -v11
	s_waitcnt vmcnt(6)
	v_fmac_f32_e32 v176, v151, v207
	v_add_f32_e32 v2, v2, v4
	v_mul_f32_e32 v4, v141, v183
	v_add_f32_e32 v1, v1, v162
	v_fma_f32 v3, v150, v207, -v3
	v_fmac_f32_e32 v167, v141, v199
	v_add_f32_e32 v2, v2, v5
	v_mul_f32_e32 v5, v143, v192
	v_add_f32_e32 v1, v1, v182
	v_fma_f32 v4, v140, v199, -v4
	;; [unrolled: 5-line block ×3, first 2 shown]
	v_mul_f32_e32 v168, v154, v163
	v_add_f32_e32 v2, v2, v4
	v_mul_f32_e32 v4, v155, v163
	v_add_f32_e32 v1, v1, v167
	v_fma_f32 v3, v152, v172, -v3
	v_fmac_f32_e32 v161, v153, v172
	v_add_f32_e32 v2, v2, v5
	s_waitcnt lgkmcnt(1)
	v_mul_f32_e32 v5, v7, v169
	v_add_f32_e32 v1, v1, v184
	v_mul_f32_e32 v187, v6, v169
	s_waitcnt vmcnt(2)
	v_fma_f32 v4, v154, v198, -v4
	v_add_f32_e32 v2, v2, v3
	v_fmac_f32_e32 v168, v155, v198
	v_add_f32_e32 v1, v1, v161
	v_mul_f32_e32 v3, v9, v203
	v_fma_f32 v5, v6, v166, -v5
	v_add_f32_e32 v2, v2, v4
	v_mul_f32_e32 v160, v8, v203
	v_fmac_f32_e32 v187, v7, v166
	v_add_f32_e32 v1, v1, v168
	s_waitcnt lgkmcnt(0)
	v_mul_f32_e32 v4, v157, v204
	v_fma_f32 v3, v8, v165, -v3
	v_add_f32_e32 v2, v2, v5
	v_mul_f32_e32 v185, v156, v204
	v_fmac_f32_e32 v160, v9, v165
	v_add_f32_e32 v1, v1, v187
	v_mul_f32_e32 v5, v159, v170
	v_fma_f32 v4, v156, v164, -v4
	v_add_f32_e32 v2, v2, v3
	v_mul_f32_e32 v144, v158, v170
	v_fmac_f32_e32 v185, v157, v164
	v_add_f32_e32 v1, v1, v160
	s_waitcnt vmcnt(1)
	v_fma_f32 v3, v158, v200, -v5
	v_add_f32_e32 v2, v2, v4
	v_fmac_f32_e32 v144, v159, v200
	v_add_f32_e32 v1, v1, v185
	v_add_f32_e32 v2, v2, v3
	v_add_f32_e32 v1, v1, v144
	s_waitcnt vmcnt(0)
	v_sub_f32_e32 v2, v208, v2
	v_sub_f32_e32 v1, v202, v1
	buffer_store_dword v2, off, s[0:3], 0 offset:80
	buffer_store_dword v1, off, s[0:3], 0 offset:84
	v_cmpx_lt_u32_e32 9, v0
	s_cbranch_execz .LBB126_373
; %bb.372:
	s_clause 0x1
	buffer_load_dword v1, off, s[0:3], 0 offset:72
	buffer_load_dword v2, off, s[0:3], 0 offset:76
	v_mov_b32_e32 v3, 0
	buffer_store_dword v3, off, s[0:3], 0 offset:72
	buffer_store_dword v3, off, s[0:3], 0 offset:76
	s_waitcnt vmcnt(0)
	ds_write_b64 v139, v[1:2]
.LBB126_373:
	s_or_b32 exec_lo, exec_lo, s4
	s_waitcnt lgkmcnt(0)
	s_waitcnt_vscnt null, 0x0
	s_barrier
	buffer_gl0_inv
	s_clause 0x3b
	buffer_load_dword v9, off, s[0:3], 0 offset:84
	buffer_load_dword v2, off, s[0:3], 0 offset:96
	;; [unrolled: 1-line block ×60, first 2 shown]
	v_mov_b32_e32 v1, 0
	ds_read_b128 v[185:188], v1 offset:592
	ds_read_b128 v[189:192], v1 offset:608
	;; [unrolled: 1-line block ×3, first 2 shown]
	buffer_load_dword v202, off, s[0:3], 0 offset:76
	s_mov_b32 s4, exec_lo
	s_waitcnt vmcnt(60) lgkmcnt(2)
	v_mul_f32_e32 v201, v185, v9
	v_mul_f32_e32 v9, v186, v9
	s_waitcnt vmcnt(56)
	v_mul_f32_e32 v203, v187, v6
	v_mul_f32_e32 v6, v188, v6
	v_fmac_f32_e32 v201, v186, v7
	v_fma_f32 v9, v185, v7, -v9
	s_waitcnt vmcnt(55) lgkmcnt(1)
	v_mul_f32_e32 v205, v189, v5
	v_fmac_f32_e32 v203, v188, v4
	v_fma_f32 v204, v187, v4, -v6
	v_mul_f32_e32 v185, v190, v5
	ds_read_b128 v[4:7], v1 offset:640
	v_fmac_f32_e32 v205, v190, v2
	s_waitcnt vmcnt(54)
	v_mul_f32_e32 v207, v191, v3
	s_waitcnt vmcnt(49) lgkmcnt(1)
	v_mul_f32_e32 v208, v193, v174
	v_fma_f32 v206, v189, v2, -v185
	v_mul_f32_e32 v2, v192, v3
	ds_read_b128 v[185:188], v1 offset:656
	v_fmac_f32_e32 v207, v192, v175
	v_fmac_f32_e32 v208, v194, v170
	v_add_f32_e32 v9, 0, v9
	v_fma_f32 v175, v191, v175, -v2
	v_mul_f32_e32 v2, v194, v174
	ds_read_b128 v[189:192], v1 offset:672
	v_add_f32_e32 v9, v9, v204
	v_fma_f32 v174, v193, v170, -v2
	s_waitcnt vmcnt(48)
	v_mul_f32_e32 v193, v195, v171
	v_mul_f32_e32 v2, v196, v171
	v_add_f32_e32 v9, v9, v206
	s_waitcnt vmcnt(47) lgkmcnt(2)
	v_mul_f32_e32 v194, v4, v166
	v_fmac_f32_e32 v193, v196, v162
	v_fma_f32 v162, v195, v162, -v2
	v_mul_f32_e32 v2, v5, v166
	v_fmac_f32_e32 v194, v5, v150
	s_waitcnt vmcnt(46)
	v_mul_f32_e32 v195, v6, v159
	v_fma_f32 v150, v4, v150, -v2
	v_mul_f32_e32 v2, v7, v159
	s_waitcnt vmcnt(42)
	v_fmac_f32_e32 v195, v7, v173
	s_waitcnt vmcnt(41) lgkmcnt(1)
	v_mul_f32_e32 v159, v185, v172
	v_mul_f32_e32 v7, v186, v172
	v_fma_f32 v6, v6, v173, -v2
	ds_read_b128 v[2:5], v1 offset:688
	ds_read_b128 v[170:173], v1 offset:704
	v_fmac_f32_e32 v159, v186, v165
	v_fma_f32 v185, v185, v165, -v7
	s_waitcnt vmcnt(40)
	v_mul_f32_e32 v186, v187, v167
	v_mul_f32_e32 v7, v188, v167
	v_fmac_f32_e32 v186, v188, v157
	v_fma_f32 v187, v187, v157, -v7
	s_waitcnt vmcnt(39) lgkmcnt(2)
	v_mul_f32_e32 v188, v189, v163
	v_mul_f32_e32 v7, v190, v163
	s_waitcnt vmcnt(38)
	v_mul_f32_e32 v163, v191, v155
	v_fmac_f32_e32 v188, v190, v145
	v_fma_f32 v145, v189, v145, -v7
	v_mul_f32_e32 v7, v192, v155
	s_waitcnt vmcnt(34)
	v_fmac_f32_e32 v163, v192, v169
	s_waitcnt vmcnt(33) lgkmcnt(1)
	v_mul_f32_e32 v189, v2, v168
	s_waitcnt vmcnt(30) lgkmcnt(0)
	v_mul_f32_e32 v192, v172, v152
	v_fma_f32 v169, v191, v169, -v7
	v_mul_f32_e32 v7, v3, v168
	ds_read_b128 v[165:168], v1 offset:720
	v_mul_f32_e32 v191, v4, v160
	v_fmac_f32_e32 v189, v3, v158
	s_waitcnt vmcnt(26)
	v_fmac_f32_e32 v192, v173, v164
	v_fma_f32 v190, v2, v158, -v7
	v_mul_f32_e32 v2, v5, v160
	v_fmac_f32_e32 v191, v5, v148
	v_mul_f32_e32 v160, v170, v156
	v_mul_f32_e32 v7, v173, v152
	v_fma_f32 v148, v4, v148, -v2
	v_mul_f32_e32 v2, v171, v156
	v_fmac_f32_e32 v160, v171, v141
	v_fma_f32 v152, v172, v164, -v7
	ds_read_b128 v[155:158], v1 offset:752
	v_fma_f32 v141, v170, v141, -v2
	ds_read_b128 v[2:5], v1 offset:736
	s_waitcnt vmcnt(25) lgkmcnt(2)
	v_mul_f32_e32 v164, v165, v161
	v_mul_f32_e32 v7, v166, v161
	s_waitcnt vmcnt(24)
	v_mul_f32_e32 v161, v167, v153
	v_fmac_f32_e32 v164, v166, v151
	v_fma_f32 v151, v165, v151, -v7
	v_mul_f32_e32 v7, v168, v153
	v_fmac_f32_e32 v161, v168, v143
	s_clause 0x1
	buffer_load_dword v153, off, s[0:3], 0 offset:316
	buffer_load_dword v166, off, s[0:3], 0 offset:324
	v_fma_f32 v143, v167, v143, -v7
	buffer_load_dword v167, off, s[0:3], 0 offset:332
	s_waitcnt vmcnt(26) lgkmcnt(0)
	v_mul_f32_e32 v165, v2, v146
	v_mul_f32_e32 v7, v3, v146
	s_waitcnt vmcnt(25)
	v_mul_f32_e32 v146, v4, v144
	v_mul_f32_e32 v144, v5, v144
	v_fmac_f32_e32 v165, v3, v12
	v_fma_f32 v12, v2, v12, -v7
	s_waitcnt vmcnt(21)
	v_fmac_f32_e32 v146, v5, v154
	v_fma_f32 v144, v4, v154, -v144
	ds_read_b128 v[2:5], v1 offset:768
	s_waitcnt vmcnt(20)
	v_mul_f32_e32 v154, v155, v149
	v_mul_f32_e32 v7, v156, v149
	s_waitcnt vmcnt(19)
	v_mul_f32_e32 v149, v157, v147
	v_mul_f32_e32 v147, v158, v147
	v_fmac_f32_e32 v154, v156, v142
	v_fma_f32 v142, v155, v142, -v7
	v_add_f32_e32 v7, 0, v201
	v_fmac_f32_e32 v149, v158, v140
	v_fma_f32 v140, v157, v140, -v147
	s_clause 0x6
	buffer_load_dword v155, off, s[0:3], 0 offset:352
	buffer_load_dword v156, off, s[0:3], 0 offset:344
	;; [unrolled: 1-line block ×7, first 2 shown]
	v_add_f32_e32 v7, v7, v203
	buffer_load_dword v171, off, s[0:3], 0 offset:364
	v_add_f32_e32 v7, v7, v205
	s_waitcnt vmcnt(26) lgkmcnt(0)
	v_mul_f32_e32 v172, v2, v11
	v_mul_f32_e32 v11, v3, v11
	s_waitcnt vmcnt(25)
	v_mul_f32_e32 v173, v4, v10
	v_add_f32_e32 v7, v7, v207
	v_mul_f32_e32 v10, v5, v10
	v_fmac_f32_e32 v172, v3, v8
	v_fma_f32 v11, v2, v8, -v11
	v_add_f32_e32 v8, v9, v175
	v_add_f32_e32 v7, v7, v208
	s_waitcnt vmcnt(21)
	v_fmac_f32_e32 v173, v5, v197
	v_fma_f32 v10, v4, v197, -v10
	ds_read_b128 v[2:5], v1 offset:784
	v_add_f32_e32 v8, v8, v174
	v_add_f32_e32 v7, v7, v193
	s_clause 0x3
	buffer_load_dword v174, off, s[0:3], 0 offset:384
	buffer_load_dword v175, off, s[0:3], 0 offset:376
	;; [unrolled: 1-line block ×4, first 2 shown]
	v_add_f32_e32 v8, v8, v162
	v_add_f32_e32 v8, v8, v150
	;; [unrolled: 1-line block ×3, first 2 shown]
	s_clause 0x2
	buffer_load_dword v162, off, s[0:3], 0 offset:372
	buffer_load_dword v193, off, s[0:3], 0 offset:380
	;; [unrolled: 1-line block ×3, first 2 shown]
	v_add_f32_e32 v201, v8, v6
	v_add_f32_e32 v150, v150, v195
	ds_read_b128 v[6:9], v1 offset:800
	s_waitcnt vmcnt(27) lgkmcnt(1)
	v_mul_f32_e32 v195, v2, v184
	v_mul_f32_e32 v184, v3, v184
	v_add_f32_e32 v185, v201, v185
	s_waitcnt vmcnt(26)
	v_mul_f32_e32 v201, v4, v183
	v_mul_f32_e32 v183, v5, v183
	v_fmac_f32_e32 v195, v3, v182
	v_add_f32_e32 v3, v150, v159
	v_add_f32_e32 v150, v185, v187
	v_fma_f32 v159, v2, v182, -v184
	v_fmac_f32_e32 v201, v5, v180
	v_fma_f32 v180, v4, v180, -v183
	v_add_f32_e32 v2, v3, v186
	v_add_f32_e32 v3, v150, v145
	s_clause 0x7
	buffer_load_dword v182, off, s[0:3], 0 offset:396
	buffer_load_dword v183, off, s[0:3], 0 offset:404
	;; [unrolled: 1-line block ×8, first 2 shown]
	v_add_f32_e32 v2, v2, v188
	v_add_f32_e32 v3, v3, v169
	s_waitcnt vmcnt(33) lgkmcnt(0)
	v_mul_f32_e32 v150, v6, v179
	v_mul_f32_e32 v4, v7, v179
	s_clause 0x1
	buffer_load_dword v169, off, s[0:3], 0 offset:428
	buffer_load_dword v188, off, s[0:3], 0 offset:436
	v_add_f32_e32 v2, v2, v163
	v_add_f32_e32 v3, v3, v190
	v_fmac_f32_e32 v150, v7, v177
	v_fma_f32 v177, v6, v177, -v4
	s_clause 0x1
	buffer_load_dword v163, off, s[0:3], 0 offset:444
	buffer_load_dword v179, off, s[0:3], 0 offset:452
	v_add_f32_e32 v2, v2, v189
	v_add_f32_e32 v3, v3, v148
	s_clause 0x3
	buffer_load_dword v189, off, s[0:3], 0 offset:460
	buffer_load_dword v190, off, s[0:3], 0 offset:468
	buffer_load_dword v205, off, s[0:3], 0 offset:476
	buffer_load_dword v206, off, s[0:3], 0 offset:484
	s_waitcnt vmcnt(40)
	v_mul_f32_e32 v148, v8, v176
	v_add_f32_e32 v2, v2, v191
	v_add_f32_e32 v6, v3, v141
	v_mul_f32_e32 v3, v9, v176
	buffer_load_dword v191, off, s[0:3], 0 offset:492
	s_waitcnt vmcnt(37)
	v_fmac_f32_e32 v148, v9, v199
	v_add_f32_e32 v7, v2, v160
	v_add_f32_e32 v6, v6, v152
	v_fma_f32 v176, v8, v199, -v3
	ds_read_b128 v[2:5], v1 offset:816
	buffer_load_dword v160, off, s[0:3], 0 offset:500
	v_add_f32_e32 v7, v7, v192
	v_add_f32_e32 v6, v6, v151
	;; [unrolled: 1-line block ×3, first 2 shown]
	s_clause 0x3
	buffer_load_dword v164, off, s[0:3], 0 offset:448
	buffer_load_dword v192, off, s[0:3], 0 offset:440
	;; [unrolled: 1-line block ×4, first 2 shown]
	v_add_f32_e32 v6, v6, v143
	v_add_f32_e32 v141, v7, v161
	;; [unrolled: 1-line block ×3, first 2 shown]
	ds_read_b128 v[6:9], v1 offset:832
	v_add_f32_e32 v141, v141, v165
	v_add_f32_e32 v12, v12, v144
	s_waitcnt vmcnt(41) lgkmcnt(1)
	v_mul_f32_e32 v151, v2, v200
	v_mul_f32_e32 v143, v3, v200
	v_fmac_f32_e32 v151, v3, v198
	v_fma_f32 v152, v2, v198, -v143
	v_add_f32_e32 v3, v12, v142
	s_clause 0x6
	buffer_load_dword v12, off, s[0:3], 0 offset:480
	buffer_load_dword v161, off, s[0:3], 0 offset:472
	buffer_load_dword v165, off, s[0:3], 0 offset:464
	buffer_load_dword v198, off, s[0:3], 0 offset:456
	buffer_load_dword v200, off, s[0:3], 0 offset:496
	buffer_load_dword v208, off, s[0:3], 0 offset:488
	buffer_load_dword v209, off, s[0:3], 0 offset:72
	v_add_f32_e32 v2, v141, v146
	v_add_f32_e32 v3, v3, v140
	;; [unrolled: 1-line block ×18, first 2 shown]
	s_waitcnt vmcnt(46)
	v_mul_f32_e32 v11, v4, v153
	v_mul_f32_e32 v140, v5, v153
	s_waitcnt vmcnt(45) lgkmcnt(0)
	v_mul_f32_e32 v159, v6, v166
	v_mul_f32_e32 v145, v7, v166
	s_waitcnt vmcnt(44)
	v_mul_f32_e32 v166, v8, v167
	v_mul_f32_e32 v146, v9, v167
	v_fmac_f32_e32 v11, v5, v181
	v_fma_f32 v153, v4, v181, -v140
	ds_read_b128 v[2:5], v1 offset:848
	ds_read_b128 v[140:143], v1 offset:864
	v_fmac_f32_e32 v159, v7, v178
	v_fma_f32 v167, v6, v178, -v145
	v_add_f32_e32 v10, v10, v153
	v_add_f32_e32 v11, v152, v11
	v_add_f32_e32 v10, v10, v167
	v_add_f32_e32 v11, v11, v159
	s_waitcnt vmcnt(40)
	v_fmac_f32_e32 v166, v9, v147
	v_fma_f32 v172, v8, v147, -v146
	ds_read_b128 v[6:9], v1 offset:880
	ds_read_b128 v[144:147], v1 offset:896
	s_waitcnt vmcnt(39) lgkmcnt(3)
	v_mul_f32_e32 v173, v2, v158
	v_mul_f32_e32 v154, v3, v158
	s_waitcnt vmcnt(38)
	v_mul_f32_e32 v177, v4, v168
	v_mul_f32_e32 v150, v5, v168
	s_waitcnt vmcnt(37) lgkmcnt(2)
	v_mul_f32_e32 v168, v140, v170
	v_mul_f32_e32 v158, v141, v170
	v_fmac_f32_e32 v173, v3, v157
	v_fma_f32 v157, v2, v157, -v154
	v_fmac_f32_e32 v177, v5, v156
	v_fma_f32 v170, v4, v156, -v150
	s_waitcnt vmcnt(36)
	v_mul_f32_e32 v176, v142, v171
	v_mul_f32_e32 v154, v143, v171
	v_fma_f32 v171, v140, v155, -v158
	v_fmac_f32_e32 v168, v141, v155
	ds_read_b128 v[2:5], v1 offset:912
	ds_read_b128 v[148:151], v1 offset:928
	s_waitcnt vmcnt(32)
	v_fma_f32 v178, v142, v197, -v154
	v_fmac_f32_e32 v176, v143, v197
	ds_read_b128 v[140:143], v1 offset:944
	ds_read_b128 v[152:155], v1 offset:960
	s_waitcnt vmcnt(31) lgkmcnt(5)
	v_mul_f32_e32 v167, v6, v162
	v_mul_f32_e32 v156, v7, v162
	s_waitcnt vmcnt(30)
	v_mul_f32_e32 v158, v9, v193
	v_mul_f32_e32 v180, v8, v193
	v_fmac_f32_e32 v167, v7, v196
	v_add_f32_e32 v7, v10, v172
	v_add_f32_e32 v10, v11, v166
	v_fma_f32 v162, v6, v196, -v156
	v_fma_f32 v166, v8, v175, -v158
	v_fmac_f32_e32 v180, v9, v175
	v_add_f32_e32 v172, v7, v157
	v_add_f32_e32 v173, v10, v173
	ds_read_b128 v[6:9], v1 offset:976
	ds_read_b128 v[156:159], v1 offset:992
	ds_read_b64 v[10:11], v1 offset:1008
	s_waitcnt vmcnt(28) lgkmcnt(7)
	v_mul_f32_e32 v181, v147, v182
	v_add_f32_e32 v170, v172, v170
	v_add_f32_e32 v173, v173, v177
	v_mul_f32_e32 v177, v145, v194
	v_mul_f32_e32 v172, v144, v194
	;; [unrolled: 1-line block ×3, first 2 shown]
	v_add_f32_e32 v170, v170, v171
	v_add_f32_e32 v168, v173, v168
	v_fma_f32 v144, v144, v174, -v177
	v_fmac_f32_e32 v172, v145, v174
	s_waitcnt vmcnt(27) lgkmcnt(6)
	v_mul_f32_e32 v171, v2, v183
	v_add_f32_e32 v170, v170, v178
	v_add_f32_e32 v168, v168, v176
	v_mul_f32_e32 v177, v3, v183
	s_waitcnt vmcnt(21)
	v_fma_f32 v146, v146, v204, -v181
	v_fmac_f32_e32 v175, v147, v204
	v_add_f32_e32 v162, v170, v162
	v_add_f32_e32 v167, v168, v167
	v_fmac_f32_e32 v171, v3, v203
	v_fma_f32 v2, v2, v203, -v177
	v_mul_f32_e32 v173, v4, v184
	v_add_f32_e32 v162, v162, v166
	v_add_f32_e32 v166, v167, v180
	v_mul_f32_e32 v167, v5, v184
	s_waitcnt lgkmcnt(5)
	v_mul_f32_e32 v145, v148, v185
	v_fmac_f32_e32 v173, v5, v187
	v_add_f32_e32 v144, v162, v144
	v_add_f32_e32 v162, v166, v172
	v_fma_f32 v4, v4, v187, -v167
	s_waitcnt vmcnt(20)
	v_mul_f32_e32 v5, v151, v169
	v_mul_f32_e32 v174, v150, v169
	v_add_f32_e32 v3, v144, v146
	v_add_f32_e32 v144, v162, v175
	v_mul_f32_e32 v146, v149, v185
	v_fmac_f32_e32 v145, v149, v186
	s_waitcnt vmcnt(19) lgkmcnt(4)
	v_mul_f32_e32 v176, v140, v188
	v_add_f32_e32 v2, v3, v2
	v_add_f32_e32 v3, v144, v171
	v_fma_f32 v144, v148, v186, -v146
	s_waitcnt vmcnt(18)
	v_mul_f32_e32 v147, v142, v163
	s_waitcnt vmcnt(8)
	v_fmac_f32_e32 v176, v141, v199
	v_add_f32_e32 v2, v2, v4
	v_add_f32_e32 v3, v3, v173
	v_mul_f32_e32 v4, v141, v188
	s_waitcnt vmcnt(7)
	v_fma_f32 v5, v150, v207, -v5
	v_fmac_f32_e32 v174, v151, v207
	v_add_f32_e32 v2, v2, v144
	v_add_f32_e32 v3, v3, v145
	v_mul_f32_e32 v144, v143, v163
	v_fma_f32 v4, v140, v199, -v4
	s_waitcnt lgkmcnt(3)
	v_mul_f32_e32 v178, v152, v179
	v_add_f32_e32 v2, v2, v5
	v_add_f32_e32 v3, v3, v174
	v_mul_f32_e32 v5, v153, v179
	v_fma_f32 v140, v142, v192, -v144
	v_fmac_f32_e32 v147, v143, v192
	v_add_f32_e32 v2, v2, v4
	v_add_f32_e32 v3, v3, v176
	v_mul_f32_e32 v4, v155, v189
	v_fma_f32 v5, v152, v164, -v5
	v_mul_f32_e32 v168, v154, v189
	v_add_f32_e32 v2, v2, v140
	v_fmac_f32_e32 v178, v153, v164
	v_add_f32_e32 v3, v3, v147
	s_waitcnt lgkmcnt(2)
	v_mul_f32_e32 v140, v7, v190
	s_waitcnt vmcnt(3)
	v_fma_f32 v4, v154, v198, -v4
	v_add_f32_e32 v2, v2, v5
	v_mul_f32_e32 v170, v6, v190
	v_fmac_f32_e32 v168, v155, v198
	v_add_f32_e32 v3, v3, v178
	v_mul_f32_e32 v5, v9, v205
	v_fma_f32 v6, v6, v165, -v140
	v_add_f32_e32 v2, v2, v4
	v_mul_f32_e32 v181, v8, v205
	v_fmac_f32_e32 v170, v7, v165
	v_add_f32_e32 v3, v3, v168
	s_waitcnt lgkmcnt(1)
	v_mul_f32_e32 v4, v157, v206
	v_fma_f32 v5, v8, v161, -v5
	v_add_f32_e32 v2, v2, v6
	v_mul_f32_e32 v180, v156, v206
	v_fmac_f32_e32 v181, v9, v161
	v_add_f32_e32 v3, v3, v170
	v_mul_f32_e32 v6, v159, v191
	v_fma_f32 v4, v156, v12, -v4
	v_add_f32_e32 v2, v2, v5
	v_mul_f32_e32 v182, v158, v191
	v_fmac_f32_e32 v180, v157, v12
	v_add_f32_e32 v3, v3, v181
	s_waitcnt lgkmcnt(0)
	v_mul_f32_e32 v5, v11, v160
	s_waitcnt vmcnt(1)
	v_fma_f32 v6, v158, v208, -v6
	v_add_f32_e32 v2, v2, v4
	v_mul_f32_e32 v166, v10, v160
	v_fmac_f32_e32 v182, v159, v208
	v_add_f32_e32 v3, v3, v180
	v_fma_f32 v4, v10, v200, -v5
	v_add_f32_e32 v2, v2, v6
	v_fmac_f32_e32 v166, v11, v200
	v_add_f32_e32 v3, v3, v182
	v_add_f32_e32 v2, v2, v4
	;; [unrolled: 1-line block ×3, first 2 shown]
	s_waitcnt vmcnt(0)
	v_sub_f32_e32 v2, v209, v2
	v_sub_f32_e32 v3, v202, v3
	buffer_store_dword v2, off, s[0:3], 0 offset:72
	buffer_store_dword v3, off, s[0:3], 0 offset:76
	v_cmpx_lt_u32_e32 8, v0
	s_cbranch_execz .LBB126_375
; %bb.374:
	s_clause 0x1
	buffer_load_dword v2, off, s[0:3], 0 offset:64
	buffer_load_dword v3, off, s[0:3], 0 offset:68
	buffer_store_dword v1, off, s[0:3], 0 offset:64
	buffer_store_dword v1, off, s[0:3], 0 offset:68
	s_waitcnt vmcnt(0)
	ds_write_b64 v139, v[2:3]
.LBB126_375:
	s_or_b32 exec_lo, exec_lo, s4
	s_waitcnt lgkmcnt(0)
	s_waitcnt_vscnt null, 0x0
	s_barrier
	buffer_gl0_inv
	s_clause 0x3c
	buffer_load_dword v9, off, s[0:3], 0 offset:76
	buffer_load_dword v10, off, s[0:3], 0 offset:84
	;; [unrolled: 1-line block ×61, first 2 shown]
	ds_read2_b64 v[185:188], v1 offset0:73 offset1:74
	ds_read2_b64 v[189:192], v1 offset0:75 offset1:76
	buffer_load_dword v200, off, s[0:3], 0 offset:68
	s_mov_b32 s4, exec_lo
	s_waitcnt vmcnt(61) lgkmcnt(1)
	v_mul_f32_e32 v198, v185, v9
	v_mul_f32_e32 v9, v186, v9
	s_waitcnt vmcnt(60)
	v_mul_f32_e32 v199, v187, v10
	v_mul_f32_e32 v10, v188, v10
	s_waitcnt vmcnt(57)
	v_fmac_f32_e32 v198, v186, v6
	v_fma_f32 v201, v185, v6, -v9
	v_fmac_f32_e32 v199, v188, v5
	v_fma_f32 v202, v187, v5, -v10
	ds_read2_b64 v[185:188], v1 offset0:77 offset1:78
	s_waitcnt vmcnt(56) lgkmcnt(1)
	v_mul_f32_e32 v203, v189, v4
	v_mul_f32_e32 v4, v190, v4
	s_waitcnt vmcnt(55)
	v_mul_f32_e32 v204, v191, v3
	v_mul_f32_e32 v3, v192, v3
	v_fmac_f32_e32 v203, v190, v2
	v_fma_f32 v189, v189, v2, -v4
	s_waitcnt vmcnt(51)
	v_fmac_f32_e32 v204, v192, v175
	v_fma_f32 v175, v191, v175, -v3
	ds_read2_b64 v[2:5], v1 offset0:79 offset1:80
	s_waitcnt vmcnt(50) lgkmcnt(1)
	v_mul_f32_e32 v190, v185, v174
	v_mul_f32_e32 v6, v186, v174
	s_waitcnt vmcnt(49)
	v_mul_f32_e32 v174, v187, v172
	v_mul_f32_e32 v9, v188, v172
	v_fmac_f32_e32 v190, v186, v168
	v_fma_f32 v168, v185, v168, -v6
	v_fmac_f32_e32 v174, v188, v161
	v_fma_f32 v161, v187, v161, -v9
	ds_read2_b64 v[185:188], v1 offset0:81 offset1:82
	s_waitcnt vmcnt(48) lgkmcnt(1)
	v_mul_f32_e32 v191, v2, v166
	v_mul_f32_e32 v6, v3, v166
	s_waitcnt vmcnt(47)
	v_mul_f32_e32 v192, v4, v164
	v_mul_f32_e32 v9, v5, v164
	v_fmac_f32_e32 v191, v3, v147
	v_fma_f32 v147, v2, v147, -v6
	s_waitcnt vmcnt(43)
	v_fmac_f32_e32 v192, v5, v173
	v_fma_f32 v205, v4, v173, -v9
	ds_read2_b64 v[2:5], v1 offset0:83 offset1:84
	s_waitcnt vmcnt(42) lgkmcnt(1)
	v_mul_f32_e32 v206, v185, v171
	v_mul_f32_e32 v6, v186, v171
	s_waitcnt vmcnt(41)
	v_mul_f32_e32 v207, v187, v170
	v_mul_f32_e32 v9, v188, v170
	ds_read2_b64 v[170:173], v1 offset0:85 offset1:86
	v_fmac_f32_e32 v206, v186, v162
	v_fma_f32 v162, v185, v162, -v6
	v_fmac_f32_e32 v207, v188, v156
	v_fma_f32 v185, v187, v156, -v9
	s_waitcnt vmcnt(40) lgkmcnt(1)
	v_mul_f32_e32 v186, v2, v160
	v_mul_f32_e32 v6, v3, v160
	s_waitcnt vmcnt(39)
	v_mul_f32_e32 v160, v4, v158
	v_mul_f32_e32 v9, v5, v158
	v_fmac_f32_e32 v186, v3, v143
	v_fma_f32 v143, v2, v143, -v6
	s_waitcnt vmcnt(35)
	v_fmac_f32_e32 v160, v5, v169
	v_fma_f32 v169, v4, v169, -v9
	ds_read2_b64 v[2:5], v1 offset0:87 offset1:88
	s_waitcnt vmcnt(34) lgkmcnt(1)
	v_mul_f32_e32 v187, v170, v167
	v_mul_f32_e32 v6, v171, v167
	s_waitcnt vmcnt(33)
	v_mul_f32_e32 v188, v172, v165
	v_mul_f32_e32 v9, v173, v165
	ds_read2_b64 v[164:167], v1 offset0:89 offset1:90
	v_fmac_f32_e32 v187, v171, v154
	v_fma_f32 v154, v170, v154, -v6
	v_fmac_f32_e32 v188, v173, v149
	v_fma_f32 v149, v172, v149, -v9
	;; [unrolled: 23-line block ×3, first 2 shown]
	s_waitcnt vmcnt(24) lgkmcnt(1)
	v_mul_f32_e32 v164, v2, v146
	v_mul_f32_e32 v6, v3, v146
	s_waitcnt vmcnt(23)
	v_mul_f32_e32 v146, v4, v145
	v_mul_f32_e32 v9, v5, v145
	v_fmac_f32_e32 v164, v3, v8
	v_fma_f32 v145, v2, v8, -v6
	s_waitcnt vmcnt(19)
	v_fmac_f32_e32 v146, v5, v155
	v_fma_f32 v155, v4, v155, -v9
	ds_read2_b64 v[2:5], v1 offset0:95 offset1:96
	s_waitcnt vmcnt(18) lgkmcnt(1)
	v_mul_f32_e32 v165, v156, v152
	v_mul_f32_e32 v6, v157, v152
	s_waitcnt vmcnt(17)
	v_mul_f32_e32 v152, v158, v150
	v_mul_f32_e32 v8, v159, v150
	v_fmac_f32_e32 v165, v157, v142
	v_fma_f32 v142, v156, v142, -v6
	v_fmac_f32_e32 v152, v159, v12
	v_fma_f32 v12, v158, v12, -v8
	ds_read2_b64 v[8:11], v1 offset0:97 offset1:98
	s_waitcnt vmcnt(16) lgkmcnt(1)
	v_mul_f32_e32 v150, v2, v141
	v_mul_f32_e32 v6, v3, v141
	s_waitcnt vmcnt(15)
	v_mul_f32_e32 v141, v4, v140
	v_mul_f32_e32 v140, v5, v140
	v_fmac_f32_e32 v150, v3, v7
	v_fma_f32 v156, v2, v7, -v6
	s_waitcnt vmcnt(11)
	v_fmac_f32_e32 v141, v5, v184
	v_fma_f32 v140, v4, v184, -v140
	ds_read2_b64 v[2:5], v1 offset0:99 offset1:100
	s_waitcnt vmcnt(10) lgkmcnt(1)
	v_mul_f32_e32 v157, v8, v183
	v_mul_f32_e32 v6, v9, v183
	s_waitcnt vmcnt(9)
	v_mul_f32_e32 v7, v11, v182
	v_mul_f32_e32 v158, v10, v182
	buffer_load_dword v182, off, s[0:3], 0 offset:324
	v_fmac_f32_e32 v157, v9, v181
	v_fma_f32 v159, v8, v181, -v6
	v_fma_f32 v10, v10, v178, -v7
	ds_read2_b64 v[6:9], v1 offset0:101 offset1:102
	v_fmac_f32_e32 v158, v11, v178
	buffer_load_dword v11, off, s[0:3], 0 offset:316
	s_waitcnt vmcnt(10) lgkmcnt(1)
	v_mul_f32_e32 v166, v2, v180
	v_mul_f32_e32 v167, v3, v180
	s_waitcnt vmcnt(9)
	v_mul_f32_e32 v173, v4, v179
	v_mul_f32_e32 v178, v5, v179
	v_fmac_f32_e32 v166, v3, v177
	v_fma_f32 v167, v2, v177, -v167
	s_waitcnt vmcnt(5)
	v_fmac_f32_e32 v173, v5, v195
	v_fma_f32 v177, v4, v195, -v178
	ds_read2_b64 v[2:5], v1 offset0:103 offset1:104
	s_waitcnt vmcnt(4) lgkmcnt(1)
	v_mul_f32_e32 v178, v6, v196
	v_mul_f32_e32 v179, v7, v196
	s_waitcnt vmcnt(3)
	v_mul_f32_e32 v180, v8, v197
	v_mul_f32_e32 v181, v9, v197
	v_fmac_f32_e32 v178, v7, v194
	v_fma_f32 v179, v6, v194, -v179
	v_fmac_f32_e32 v180, v9, v193
	v_fma_f32 v181, v8, v193, -v181
	s_clause 0x4
	buffer_load_dword v183, off, s[0:3], 0 offset:344
	buffer_load_dword v184, off, s[0:3], 0 offset:336
	buffer_load_dword v193, off, s[0:3], 0 offset:328
	buffer_load_dword v194, off, s[0:3], 0 offset:320
	buffer_load_dword v195, off, s[0:3], 0 offset:332
	v_add_f32_e32 v7, 0, v198
	v_add_f32_e32 v6, 0, v201
	s_clause 0x1
	buffer_load_dword v196, off, s[0:3], 0 offset:340
	buffer_load_dword v197, off, s[0:3], 0 offset:348
	v_add_f32_e32 v7, v7, v199
	v_add_f32_e32 v6, v6, v202
	;; [unrolled: 1-line block ×4, first 2 shown]
	s_clause 0x1
	buffer_load_dword v189, off, s[0:3], 0 offset:356
	buffer_load_dword v198, off, s[0:3], 0 offset:364
	v_add_f32_e32 v7, v7, v204
	v_add_f32_e32 v6, v6, v175
	;; [unrolled: 1-line block ×4, first 2 shown]
	s_clause 0x3
	buffer_load_dword v168, off, s[0:3], 0 offset:376
	buffer_load_dword v175, off, s[0:3], 0 offset:368
	;; [unrolled: 1-line block ×4, first 2 shown]
	v_add_f32_e32 v7, v7, v174
	v_add_f32_e32 v6, v6, v161
	s_clause 0x2
	buffer_load_dword v161, off, s[0:3], 0 offset:372
	buffer_load_dword v174, off, s[0:3], 0 offset:380
	;; [unrolled: 1-line block ×3, first 2 shown]
	v_add_f32_e32 v7, v7, v191
	v_add_f32_e32 v6, v6, v147
	v_add_f32_e32 v7, v7, v192
	v_add_f32_e32 v6, v6, v205
	v_add_f32_e32 v7, v7, v206
	v_add_f32_e32 v6, v6, v162
	s_clause 0x4
	buffer_load_dword v162, off, s[0:3], 0 offset:408
	buffer_load_dword v191, off, s[0:3], 0 offset:400
	;; [unrolled: 1-line block ×5, first 2 shown]
	v_add_f32_e32 v7, v7, v207
	v_add_f32_e32 v6, v6, v185
	buffer_load_dword v185, off, s[0:3], 0 offset:396
	v_add_f32_e32 v7, v7, v186
	v_add_f32_e32 v6, v6, v143
	buffer_load_dword v186, off, s[0:3], 0 offset:412
	v_add_f32_e32 v7, v7, v160
	v_add_f32_e32 v6, v6, v169
	s_clause 0x4
	buffer_load_dword v169, off, s[0:3], 0 offset:420
	buffer_load_dword v204, off, s[0:3], 0 offset:428
	;; [unrolled: 1-line block ×5, first 2 shown]
	v_add_f32_e32 v7, v7, v187
	v_add_f32_e32 v6, v6, v154
	s_clause 0x3
	buffer_load_dword v187, off, s[0:3], 0 offset:460
	buffer_load_dword v207, off, s[0:3], 0 offset:468
	;; [unrolled: 1-line block ×4, first 2 shown]
	v_add_f32_e32 v7, v7, v188
	v_add_f32_e32 v6, v6, v149
	buffer_load_dword v188, off, s[0:3], 0 offset:484
	v_add_f32_e32 v7, v7, v170
	v_add_f32_e32 v6, v6, v151
	buffer_load_dword v170, off, s[0:3], 0 offset:500
	v_add_f32_e32 v7, v7, v153
	v_add_f32_e32 v6, v6, v163
	;; [unrolled: 1-line block ×3, first 2 shown]
	s_clause 0x3
	buffer_load_dword v163, off, s[0:3], 0 offset:440
	buffer_load_dword v171, off, s[0:3], 0 offset:432
	;; [unrolled: 1-line block ×4, first 2 shown]
	v_add_f32_e32 v6, v6, v148
	v_add_f32_e32 v7, v7, v172
	;; [unrolled: 1-line block ×4, first 2 shown]
	s_clause 0x6
	buffer_load_dword v164, off, s[0:3], 0 offset:472
	buffer_load_dword v172, off, s[0:3], 0 offset:464
	;; [unrolled: 1-line block ×7, first 2 shown]
	v_add_f32_e32 v6, v6, v145
	v_add_f32_e32 v7, v7, v146
	;; [unrolled: 1-line block ×4, first 2 shown]
	buffer_load_dword v165, off, s[0:3], 0 offset:64
	v_add_f32_e32 v6, v6, v142
	v_add_f32_e32 v7, v7, v152
	;; [unrolled: 1-line block ×3, first 2 shown]
	s_waitcnt vmcnt(46) lgkmcnt(0)
	v_mul_f32_e32 v12, v2, v11
	v_mul_f32_e32 v8, v3, v11
	v_fmac_f32_e32 v12, v3, v176
	v_fma_f32 v11, v2, v176, -v8
	v_add_f32_e32 v2, v6, v156
	v_add_f32_e32 v3, v7, v150
	ds_read2_b64 v[6:9], v1 offset0:105 offset1:106
	v_mul_f32_e32 v156, v4, v182
	v_add_f32_e32 v140, v2, v140
	v_mul_f32_e32 v2, v5, v182
	v_add_f32_e32 v141, v3, v141
	v_add_f32_e32 v144, v140, v159
	;; [unrolled: 1-line block ×3, first 2 shown]
	ds_read2_b64 v[140:143], v1 offset0:109 offset1:110
	v_add_f32_e32 v10, v144, v10
	v_add_f32_e32 v145, v145, v158
	s_waitcnt vmcnt(42)
	v_fmac_f32_e32 v156, v5, v194
	v_fma_f32 v176, v4, v194, -v2
	ds_read2_b64 v[2:5], v1 offset0:107 offset1:108
	s_waitcnt vmcnt(41) lgkmcnt(2)
	v_mul_f32_e32 v144, v7, v195
	v_mul_f32_e32 v157, v6, v195
	v_add_f32_e32 v10, v10, v167
	s_waitcnt vmcnt(40)
	v_mul_f32_e32 v148, v9, v196
	v_fma_f32 v158, v6, v193, -v144
	v_add_f32_e32 v6, v145, v166
	v_fmac_f32_e32 v157, v7, v193
	v_add_f32_e32 v7, v10, v177
	v_mul_f32_e32 v10, v8, v196
	ds_read2_b64 v[144:147], v1 offset0:111 offset1:112
	v_add_f32_e32 v6, v6, v173
	v_fma_f32 v159, v8, v184, -v148
	v_add_f32_e32 v7, v7, v179
	v_fmac_f32_e32 v10, v9, v184
	s_waitcnt vmcnt(37) lgkmcnt(2)
	v_mul_f32_e32 v153, v141, v198
	v_add_f32_e32 v6, v6, v178
	v_mul_f32_e32 v173, v140, v198
	s_waitcnt lgkmcnt(1)
	v_mul_f32_e32 v149, v3, v197
	v_mul_f32_e32 v166, v2, v197
	;; [unrolled: 1-line block ×4, first 2 shown]
	s_waitcnt vmcnt(34)
	v_fma_f32 v179, v140, v199, -v153
	v_fma_f32 v177, v2, v183, -v149
	v_add_f32_e32 v2, v7, v181
	v_fmac_f32_e32 v166, v3, v183
	v_add_f32_e32 v3, v6, v180
	s_waitcnt vmcnt(33)
	v_fma_f32 v178, v4, v201, -v152
	ds_read2_b64 v[6:9], v1 offset0:113 offset1:114
	ds_read2_b64 v[148:151], v1 offset0:115 offset1:116
	v_add_f32_e32 v11, v2, v11
	v_fmac_f32_e32 v167, v5, v201
	v_add_f32_e32 v12, v3, v12
	s_waitcnt vmcnt(32)
	v_mul_f32_e32 v140, v143, v161
	v_fmac_f32_e32 v173, v141, v199
	v_add_f32_e32 v11, v11, v176
	v_mul_f32_e32 v176, v142, v161
	v_add_f32_e32 v12, v12, v156
	s_waitcnt vmcnt(31) lgkmcnt(2)
	v_mul_f32_e32 v161, v144, v174
	v_mul_f32_e32 v141, v145, v174
	v_add_f32_e32 v11, v11, v158
	v_fmac_f32_e32 v176, v143, v175
	v_add_f32_e32 v12, v12, v157
	v_fma_f32 v175, v142, v175, -v140
	s_waitcnt vmcnt(30)
	v_mul_f32_e32 v174, v147, v190
	v_add_f32_e32 v11, v11, v159
	v_fmac_f32_e32 v161, v145, v168
	v_add_f32_e32 v10, v12, v10
	v_fma_f32 v168, v144, v168, -v141
	v_mul_f32_e32 v180, v146, v190
	v_add_f32_e32 v11, v11, v177
	s_waitcnt vmcnt(26)
	v_fma_f32 v174, v146, v202, -v174
	v_add_f32_e32 v10, v10, v166
	s_waitcnt vmcnt(24) lgkmcnt(1)
	v_mul_f32_e32 v12, v7, v185
	ds_read2_b64 v[2:5], v1 offset0:117 offset1:118
	ds_read2_b64 v[152:155], v1 offset0:119 offset1:120
	v_add_f32_e32 v11, v11, v178
	ds_read2_b64 v[140:143], v1 offset0:121 offset1:122
	ds_read2_b64 v[156:159], v1 offset0:123 offset1:124
	v_add_f32_e32 v10, v10, v167
	v_fmac_f32_e32 v180, v147, v202
	ds_read2_b64 v[144:147], v1 offset0:125 offset1:126
	v_add_f32_e32 v11, v11, v179
	v_mul_f32_e32 v1, v6, v185
	v_add_f32_e32 v10, v10, v173
	v_mul_f32_e32 v177, v9, v203
	v_fma_f32 v6, v6, v192, -v12
	v_add_f32_e32 v11, v11, v175
	v_mul_f32_e32 v166, v8, v203
	v_add_f32_e32 v10, v10, v176
	v_fmac_f32_e32 v1, v7, v192
	s_waitcnt vmcnt(23) lgkmcnt(5)
	v_mul_f32_e32 v12, v149, v186
	v_add_f32_e32 v11, v11, v168
	v_fma_f32 v8, v8, v191, -v177
	v_add_f32_e32 v10, v10, v161
	v_mul_f32_e32 v178, v148, v186
	v_fmac_f32_e32 v166, v9, v191
	v_add_f32_e32 v11, v11, v174
	s_waitcnt vmcnt(22)
	v_mul_f32_e32 v9, v151, v169
	v_add_f32_e32 v10, v10, v180
	v_mul_f32_e32 v167, v150, v169
	v_fmac_f32_e32 v178, v149, v162
	v_add_f32_e32 v6, v11, v6
	s_waitcnt vmcnt(21) lgkmcnt(4)
	v_mul_f32_e32 v181, v2, v204
	v_add_f32_e32 v1, v10, v1
	v_fma_f32 v10, v148, v162, -v12
	s_waitcnt vmcnt(8)
	v_fma_f32 v9, v150, v211, -v9
	v_add_f32_e32 v6, v6, v8
	v_mul_f32_e32 v8, v3, v204
	v_add_f32_e32 v1, v1, v166
	v_fmac_f32_e32 v167, v151, v211
	v_fmac_f32_e32 v181, v3, v210
	v_add_f32_e32 v6, v6, v10
	v_mul_f32_e32 v10, v5, v160
	v_add_f32_e32 v1, v1, v178
	v_fma_f32 v2, v2, v210, -v8
	v_mul_f32_e32 v179, v4, v160
	v_add_f32_e32 v3, v6, v9
	s_waitcnt lgkmcnt(3)
	v_mul_f32_e32 v6, v153, v205
	v_add_f32_e32 v1, v1, v167
	v_fma_f32 v4, v4, v171, -v10
	v_mul_f32_e32 v173, v152, v205
	v_add_f32_e32 v2, v3, v2
	v_fmac_f32_e32 v179, v5, v171
	v_add_f32_e32 v1, v1, v181
	v_mul_f32_e32 v3, v155, v206
	v_fma_f32 v5, v152, v163, -v6
	v_add_f32_e32 v2, v2, v4
	v_mul_f32_e32 v182, v154, v206
	v_fmac_f32_e32 v173, v153, v163
	v_add_f32_e32 v1, v1, v179
	s_waitcnt lgkmcnt(2)
	v_mul_f32_e32 v4, v141, v187
	s_waitcnt vmcnt(4)
	v_fma_f32 v3, v154, v213, -v3
	v_add_f32_e32 v2, v2, v5
	v_mul_f32_e32 v175, v140, v187
	v_fmac_f32_e32 v182, v155, v213
	v_add_f32_e32 v1, v1, v173
	v_mul_f32_e32 v5, v143, v207
	v_fma_f32 v4, v140, v212, -v4
	v_add_f32_e32 v2, v2, v3
	v_mul_f32_e32 v176, v142, v207
	v_fmac_f32_e32 v175, v141, v212
	v_add_f32_e32 v1, v1, v182
	s_waitcnt lgkmcnt(1)
	v_mul_f32_e32 v3, v157, v208
	v_fma_f32 v5, v142, v172, -v5
	v_add_f32_e32 v2, v2, v4
	v_mul_f32_e32 v183, v156, v208
	v_fmac_f32_e32 v176, v143, v172
	v_add_f32_e32 v1, v1, v175
	v_mul_f32_e32 v4, v159, v188
	v_fma_f32 v3, v156, v164, -v3
	v_add_f32_e32 v2, v2, v5
	v_mul_f32_e32 v168, v158, v188
	v_fmac_f32_e32 v183, v157, v164
	v_add_f32_e32 v1, v1, v176
	s_waitcnt lgkmcnt(0)
	v_mul_f32_e32 v5, v145, v209
	s_waitcnt vmcnt(1)
	v_fma_f32 v4, v158, v216, -v4
	v_add_f32_e32 v2, v2, v3
	v_mul_f32_e32 v161, v144, v209
	v_fmac_f32_e32 v168, v159, v216
	v_add_f32_e32 v1, v1, v183
	v_mul_f32_e32 v3, v147, v170
	v_fma_f32 v5, v144, v215, -v5
	v_add_f32_e32 v2, v2, v4
	v_mul_f32_e32 v7, v146, v170
	v_fmac_f32_e32 v161, v145, v215
	v_add_f32_e32 v1, v1, v168
	v_fma_f32 v3, v146, v214, -v3
	v_add_f32_e32 v2, v2, v5
	v_fmac_f32_e32 v7, v147, v214
	v_add_f32_e32 v1, v1, v161
	v_add_f32_e32 v2, v2, v3
	;; [unrolled: 1-line block ×3, first 2 shown]
	s_waitcnt vmcnt(0)
	v_sub_f32_e32 v2, v165, v2
	v_sub_f32_e32 v1, v200, v1
	buffer_store_dword v2, off, s[0:3], 0 offset:64
	buffer_store_dword v1, off, s[0:3], 0 offset:68
	v_cmpx_lt_u32_e32 7, v0
	s_cbranch_execz .LBB126_377
; %bb.376:
	s_clause 0x1
	buffer_load_dword v1, off, s[0:3], 0 offset:56
	buffer_load_dword v2, off, s[0:3], 0 offset:60
	v_mov_b32_e32 v3, 0
	buffer_store_dword v3, off, s[0:3], 0 offset:56
	buffer_store_dword v3, off, s[0:3], 0 offset:60
	s_waitcnt vmcnt(0)
	ds_write_b64 v139, v[1:2]
.LBB126_377:
	s_or_b32 exec_lo, exec_lo, s4
	s_waitcnt lgkmcnt(0)
	s_waitcnt_vscnt null, 0x0
	s_barrier
	buffer_gl0_inv
	s_clause 0x3c
	buffer_load_dword v2, off, s[0:3], 0 offset:68
	buffer_load_dword v3, off, s[0:3], 0 offset:76
	;; [unrolled: 1-line block ×61, first 2 shown]
	v_mov_b32_e32 v1, 0
	ds_read_b128 v[188:191], v1 offset:576
	ds_read_b128 v[192:195], v1 offset:592
	buffer_load_dword v186, off, s[0:3], 0 offset:60
	s_mov_b32 s4, exec_lo
	s_waitcnt vmcnt(61) lgkmcnt(1)
	v_mul_f32_e32 v199, v188, v2
	v_mul_f32_e32 v2, v189, v2
	s_waitcnt vmcnt(60)
	v_mul_f32_e32 v200, v190, v3
	v_mul_f32_e32 v3, v191, v3
	s_waitcnt vmcnt(59) lgkmcnt(0)
	v_mul_f32_e32 v201, v192, v4
	v_mul_f32_e32 v202, v193, v4
	s_waitcnt vmcnt(58)
	v_mul_f32_e32 v203, v194, v5
	v_mul_f32_e32 v204, v195, v5
	s_waitcnt vmcnt(55)
	v_fmac_f32_e32 v199, v189, v8
	v_fma_f32 v8, v188, v8, -v2
	v_fmac_f32_e32 v200, v191, v7
	v_fma_f32 v7, v190, v7, -v3
	ds_read_b128 v[2:5], v1 offset:608
	ds_read_b128 v[188:191], v1 offset:624
	v_fmac_f32_e32 v201, v193, v6
	v_fma_f32 v6, v192, v6, -v202
	s_waitcnt vmcnt(51)
	v_fma_f32 v192, v194, v170, -v204
	v_fmac_f32_e32 v203, v195, v170
	v_add_f32_e32 v8, 0, v8
	v_add_f32_e32 v7, v8, v7
	;; [unrolled: 1-line block ×3, first 2 shown]
	s_waitcnt vmcnt(50) lgkmcnt(1)
	v_mul_f32_e32 v193, v2, v167
	v_mul_f32_e32 v167, v3, v167
	s_waitcnt vmcnt(49)
	v_mul_f32_e32 v194, v4, v165
	v_mul_f32_e32 v165, v5, v165
	s_waitcnt vmcnt(48) lgkmcnt(0)
	v_mul_f32_e32 v195, v188, v162
	v_fmac_f32_e32 v193, v3, v149
	v_fma_f32 v149, v2, v149, -v167
	v_fmac_f32_e32 v194, v5, v145
	v_fma_f32 v165, v4, v145, -v165
	ds_read_b128 v[2:5], v1 offset:640
	v_mul_f32_e32 v162, v189, v162
	s_waitcnt vmcnt(47)
	v_mul_f32_e32 v202, v190, v160
	v_mul_f32_e32 v160, v191, v160
	v_fmac_f32_e32 v195, v189, v140
	v_fma_f32 v140, v188, v140, -v162
	s_waitcnt vmcnt(43)
	v_fmac_f32_e32 v202, v191, v175
	v_fma_f32 v167, v190, v175, -v160
	ds_read_b128 v[188:191], v1 offset:656
	s_waitcnt vmcnt(42) lgkmcnt(1)
	v_mul_f32_e32 v175, v2, v174
	v_mul_f32_e32 v145, v3, v174
	s_waitcnt vmcnt(41)
	v_mul_f32_e32 v174, v4, v173
	v_mul_f32_e32 v160, v5, v173
	v_fmac_f32_e32 v175, v3, v155
	v_fma_f32 v155, v2, v155, -v145
	v_fmac_f32_e32 v174, v5, v152
	v_fma_f32 v152, v4, v152, -v160
	ds_read_b128 v[2:5], v1 offset:672
	s_waitcnt vmcnt(40) lgkmcnt(1)
	v_mul_f32_e32 v173, v188, v171
	s_waitcnt vmcnt(39)
	v_mul_f32_e32 v204, v190, v169
	v_mul_f32_e32 v169, v191, v169
	;; [unrolled: 1-line block ×3, first 2 shown]
	v_fmac_f32_e32 v173, v189, v146
	s_waitcnt vmcnt(35)
	v_fmac_f32_e32 v204, v191, v172
	v_fma_f32 v189, v190, v172, -v169
	ds_read_b128 v[169:172], v1 offset:688
	v_fma_f32 v188, v188, v146, -v162
	s_waitcnt vmcnt(34) lgkmcnt(1)
	v_mul_f32_e32 v190, v2, v168
	v_mul_f32_e32 v145, v3, v168
	s_waitcnt vmcnt(33)
	v_mul_f32_e32 v168, v4, v166
	v_mul_f32_e32 v146, v5, v166
	v_fmac_f32_e32 v190, v3, v150
	v_fma_f32 v150, v2, v150, -v145
	v_fmac_f32_e32 v168, v5, v147
	v_fma_f32 v205, v4, v147, -v146
	ds_read_b128 v[2:5], v1 offset:704
	s_waitcnt vmcnt(32) lgkmcnt(1)
	v_mul_f32_e32 v166, v169, v163
	v_mul_f32_e32 v160, v170, v163
	s_waitcnt vmcnt(31)
	v_mul_f32_e32 v191, v171, v161
	v_mul_f32_e32 v161, v172, v161
	v_fmac_f32_e32 v166, v170, v141
	v_fma_f32 v141, v169, v141, -v160
	s_waitcnt vmcnt(27)
	v_fmac_f32_e32 v191, v172, v164
	v_fma_f32 v164, v171, v164, -v161
	ds_read_b128 v[160:163], v1 offset:720
	s_waitcnt vmcnt(26) lgkmcnt(1)
	v_mul_f32_e32 v169, v2, v159
	v_mul_f32_e32 v145, v3, v159
	s_waitcnt vmcnt(25)
	v_mul_f32_e32 v159, v4, v158
	v_mul_f32_e32 v146, v5, v158
	v_fmac_f32_e32 v169, v3, v144
	v_fma_f32 v170, v2, v144, -v145
	v_fmac_f32_e32 v159, v5, v142
	v_fma_f32 v142, v4, v142, -v146
	ds_read_b128 v[2:5], v1 offset:736
	s_waitcnt vmcnt(24) lgkmcnt(1)
	v_mul_f32_e32 v158, v160, v156
	v_mul_f32_e32 v147, v161, v156
	s_waitcnt vmcnt(23)
	v_mul_f32_e32 v156, v162, v154
	v_mul_f32_e32 v154, v163, v154
	v_fmac_f32_e32 v158, v161, v10
	v_fma_f32 v10, v160, v10, -v147
	ds_read_b128 v[144:147], v1 offset:752
	s_waitcnt vmcnt(19)
	v_fmac_f32_e32 v156, v163, v157
	v_fma_f32 v154, v162, v157, -v154
	buffer_load_dword v157, off, s[0:3], 0 offset:308
	s_waitcnt vmcnt(18) lgkmcnt(1)
	v_mul_f32_e32 v161, v4, v151
	v_mul_f32_e32 v151, v5, v151
	v_mul_f32_e32 v160, v2, v153
	v_mul_f32_e32 v153, v3, v153
	v_fmac_f32_e32 v161, v5, v11
	v_fma_f32 v11, v4, v11, -v151
	s_clause 0x4
	buffer_load_dword v151, off, s[0:3], 0 offset:316
	buffer_load_dword v163, off, s[0:3], 0 offset:336
	;; [unrolled: 1-line block ×5, first 2 shown]
	s_waitcnt vmcnt(22) lgkmcnt(0)
	v_mul_f32_e32 v162, v144, v148
	v_mul_f32_e32 v148, v145, v148
	v_fmac_f32_e32 v160, v3, v143
	v_fma_f32 v143, v2, v143, -v153
	s_waitcnt vmcnt(21)
	v_mul_f32_e32 v2, v147, v12
	v_mul_f32_e32 v153, v146, v12
	v_fmac_f32_e32 v162, v145, v9
	v_fma_f32 v12, v144, v9, -v148
	v_add_f32_e32 v9, 0, v199
	s_waitcnt vmcnt(17)
	v_fma_f32 v144, v146, v184, -v2
	ds_read_b128 v[2:5], v1 offset:768
	buffer_load_dword v145, off, s[0:3], 0 offset:324
	v_add_f32_e32 v146, v6, v192
	v_add_f32_e32 v8, v9, v200
	v_fmac_f32_e32 v153, v147, v184
	s_clause 0x2
	buffer_load_dword v148, off, s[0:3], 0 offset:332
	buffer_load_dword v184, off, s[0:3], 0 offset:340
	;; [unrolled: 1-line block ×3, first 2 shown]
	v_add_f32_e32 v146, v146, v149
	v_add_f32_e32 v7, v8, v201
	;; [unrolled: 1-line block ×4, first 2 shown]
	ds_read_b128 v[6:9], v1 offset:784
	buffer_load_dword v165, off, s[0:3], 0 offset:356
	v_add_f32_e32 v147, v147, v193
	s_waitcnt vmcnt(21) lgkmcnt(1)
	v_mul_f32_e32 v149, v2, v183
	v_mul_f32_e32 v183, v3, v183
	s_waitcnt vmcnt(20)
	v_mul_f32_e32 v193, v4, v182
	v_mul_f32_e32 v182, v5, v182
	v_fmac_f32_e32 v149, v3, v181
	v_fma_f32 v181, v2, v181, -v183
	v_add_f32_e32 v2, v147, v194
	v_fmac_f32_e32 v193, v5, v180
	v_fma_f32 v180, v4, v180, -v182
	s_clause 0x3
	buffer_load_dword v182, off, s[0:3], 0 offset:368
	buffer_load_dword v183, off, s[0:3], 0 offset:360
	;; [unrolled: 1-line block ×4, first 2 shown]
	v_add_f32_e32 v3, v146, v140
	v_add_f32_e32 v2, v2, v195
	s_waitcnt vmcnt(23) lgkmcnt(0)
	v_mul_f32_e32 v147, v6, v178
	v_add_f32_e32 v140, v3, v167
	s_clause 0x2
	buffer_load_dword v167, off, s[0:3], 0 offset:364
	buffer_load_dword v195, off, s[0:3], 0 offset:372
	;; [unrolled: 1-line block ×3, first 2 shown]
	v_add_f32_e32 v146, v2, v202
	ds_read_b128 v[2:5], v1 offset:800
	v_fmac_f32_e32 v147, v7, v176
	v_add_f32_e32 v140, v140, v155
	v_mul_f32_e32 v155, v7, v178
	v_add_f32_e32 v146, v146, v175
	s_waitcnt vmcnt(25)
	v_mul_f32_e32 v175, v8, v177
	v_mul_f32_e32 v177, v9, v177
	v_add_f32_e32 v7, v140, v152
	v_fma_f32 v152, v6, v176, -v155
	v_add_f32_e32 v6, v146, v174
	s_waitcnt vmcnt(21)
	v_fmac_f32_e32 v175, v9, v197
	v_fma_f32 v155, v8, v197, -v177
	v_add_f32_e32 v140, v7, v188
	s_clause 0x4
	buffer_load_dword v174, off, s[0:3], 0 offset:400
	buffer_load_dword v176, off, s[0:3], 0 offset:392
	;; [unrolled: 1-line block ×5, first 2 shown]
	v_add_f32_e32 v146, v6, v173
	ds_read_b128 v[6:9], v1 offset:816
	v_add_f32_e32 v140, v140, v189
	v_add_f32_e32 v146, v146, v204
	s_waitcnt vmcnt(25) lgkmcnt(1)
	v_mul_f32_e32 v189, v3, v198
	v_mul_f32_e32 v173, v2, v198
	v_add_f32_e32 v140, v140, v150
	s_clause 0x2
	buffer_load_dword v197, off, s[0:3], 0 offset:396
	buffer_load_dword v198, off, s[0:3], 0 offset:404
	;; [unrolled: 1-line block ×3, first 2 shown]
	v_fma_f32 v150, v2, v196, -v189
	v_add_f32_e32 v2, v146, v190
	v_fmac_f32_e32 v173, v3, v196
	v_add_f32_e32 v3, v140, v205
	s_waitcnt vmcnt(27)
	v_mul_f32_e32 v189, v4, v187
	s_clause 0x1
	buffer_load_dword v190, off, s[0:3], 0 offset:420
	buffer_load_dword v196, off, s[0:3], 0 offset:428
	v_add_f32_e32 v2, v2, v168
	v_mul_f32_e32 v140, v5, v187
	v_add_f32_e32 v3, v3, v141
	s_clause 0x2
	buffer_load_dword v168, off, s[0:3], 0 offset:436
	buffer_load_dword v187, off, s[0:3], 0 offset:444
	;; [unrolled: 1-line block ×3, first 2 shown]
	v_add_f32_e32 v2, v2, v166
	v_fmac_f32_e32 v189, v5, v185
	v_add_f32_e32 v3, v3, v164
	s_clause 0x2
	buffer_load_dword v164, off, s[0:3], 0 offset:460
	buffer_load_dword v166, off, s[0:3], 0 offset:468
	buffer_load_dword v203, off, s[0:3], 0 offset:476
	v_fma_f32 v185, v4, v185, -v140
	v_add_f32_e32 v2, v2, v191
	v_add_f32_e32 v3, v3, v170
	s_clause 0x2
	buffer_load_dword v170, off, s[0:3], 0 offset:484
	buffer_load_dword v191, off, s[0:3], 0 offset:492
	;; [unrolled: 1-line block ×3, first 2 shown]
	v_add_f32_e32 v2, v2, v169
	s_clause 0x7
	buffer_load_dword v169, off, s[0:3], 0 offset:432
	buffer_load_dword v205, off, s[0:3], 0 offset:424
	;; [unrolled: 1-line block ×8, first 2 shown]
	v_add_f32_e32 v3, v3, v142
	v_add_f32_e32 v2, v2, v159
	;; [unrolled: 1-line block ×8, first 2 shown]
	s_clause 0x3
	buffer_load_dword v160, off, s[0:3], 0 offset:496
	buffer_load_dword v213, off, s[0:3], 0 offset:488
	;; [unrolled: 1-line block ×4, first 2 shown]
	v_add_f32_e32 v3, v3, v11
	v_add_f32_e32 v2, v2, v161
	buffer_load_dword v161, off, s[0:3], 0 offset:56
	v_add_f32_e32 v3, v3, v12
	v_add_f32_e32 v2, v2, v162
	s_waitcnt vmcnt(49) lgkmcnt(0)
	v_mul_f32_e32 v10, v6, v157
	v_mul_f32_e32 v4, v7, v157
	v_fmac_f32_e32 v10, v7, v179
	v_fma_f32 v11, v6, v179, -v4
	v_add_f32_e32 v6, v3, v144
	v_add_f32_e32 v7, v2, v153
	ds_read_b128 v[2:5], v1 offset:832
	v_add_f32_e32 v12, v6, v181
	s_waitcnt vmcnt(48)
	v_mul_f32_e32 v153, v8, v151
	v_mul_f32_e32 v6, v9, v151
	v_add_f32_e32 v140, v7, v149
	v_add_f32_e32 v12, v12, v180
	s_waitcnt vmcnt(44)
	v_fmac_f32_e32 v153, v9, v206
	v_fma_f32 v154, v8, v206, -v6
	ds_read_b128 v[6:9], v1 offset:848
	v_add_f32_e32 v144, v140, v193
	v_add_f32_e32 v12, v12, v152
	ds_read_b128 v[140:143], v1 offset:864
	v_add_f32_e32 v144, v144, v147
	v_add_f32_e32 v12, v12, v155
	s_waitcnt vmcnt(43) lgkmcnt(2)
	v_mul_f32_e32 v156, v2, v145
	v_mul_f32_e32 v145, v3, v145
	v_fmac_f32_e32 v156, v3, v172
	v_fma_f32 v157, v2, v172, -v145
	v_add_f32_e32 v2, v144, v175
	v_add_f32_e32 v3, v12, v150
	ds_read_b128 v[144:147], v1 offset:880
	s_waitcnt vmcnt(42)
	v_mul_f32_e32 v12, v4, v148
	s_waitcnt vmcnt(41) lgkmcnt(2)
	v_mul_f32_e32 v149, v7, v184
	v_add_f32_e32 v2, v2, v173
	v_add_f32_e32 v3, v3, v185
	v_mul_f32_e32 v162, v6, v184
	v_mul_f32_e32 v148, v5, v148
	v_fma_f32 v159, v6, v163, -v149
	v_add_f32_e32 v2, v2, v189
	v_add_f32_e32 v6, v3, v11
	v_fmac_f32_e32 v162, v7, v163
	s_waitcnt vmcnt(39) lgkmcnt(1)
	v_mul_f32_e32 v173, v140, v165
	v_fma_f32 v158, v4, v171, -v148
	v_add_f32_e32 v7, v2, v10
	v_mul_f32_e32 v10, v141, v165
	v_add_f32_e32 v11, v6, v154
	v_fmac_f32_e32 v12, v5, v171
	v_mul_f32_e32 v152, v9, v192
	v_mul_f32_e32 v172, v8, v192
	s_waitcnt vmcnt(36)
	v_fma_f32 v165, v140, v194, -v10
	v_add_f32_e32 v10, v7, v153
	v_add_f32_e32 v11, v11, v157
	s_waitcnt vmcnt(35)
	v_fma_f32 v163, v8, v199, -v152
	ds_read_b128 v[2:5], v1 offset:896
	ds_read_b128 v[148:151], v1 offset:912
	v_fmac_f32_e32 v172, v9, v199
	v_add_f32_e32 v10, v10, v156
	v_add_f32_e32 v11, v11, v158
	s_waitcnt vmcnt(34)
	v_mul_f32_e32 v140, v143, v167
	v_fmac_f32_e32 v173, v141, v194
	v_mul_f32_e32 v171, v142, v167
	v_add_f32_e32 v10, v10, v12
	v_add_f32_e32 v12, v11, v159
	s_waitcnt vmcnt(33) lgkmcnt(2)
	v_mul_f32_e32 v141, v145, v195
	v_fma_f32 v180, v142, v183, -v140
	v_mul_f32_e32 v167, v144, v195
	v_add_f32_e32 v162, v10, v162
	v_add_f32_e32 v12, v12, v163
	v_fmac_f32_e32 v171, v143, v183
	s_waitcnt vmcnt(32)
	v_mul_f32_e32 v175, v146, v200
	v_mul_f32_e32 v179, v147, v200
	v_add_f32_e32 v162, v162, v172
	v_add_f32_e32 v12, v12, v165
	v_fma_f32 v181, v144, v182, -v141
	v_fmac_f32_e32 v167, v145, v182
	s_waitcnt vmcnt(28)
	v_fmac_f32_e32 v175, v147, v178
	v_add_f32_e32 v162, v162, v173
	v_add_f32_e32 v12, v12, v180
	v_fma_f32 v178, v146, v178, -v179
	s_waitcnt vmcnt(27) lgkmcnt(1)
	v_mul_f32_e32 v179, v3, v188
	ds_read_b128 v[6:9], v1 offset:928
	ds_read_b128 v[152:155], v1 offset:944
	v_add_f32_e32 v162, v162, v171
	v_add_f32_e32 v12, v12, v181
	v_mul_f32_e32 v163, v2, v188
	s_waitcnt vmcnt(26)
	v_mul_f32_e32 v182, v5, v197
	v_fma_f32 v2, v2, v177, -v179
	v_add_f32_e32 v162, v162, v167
	v_add_f32_e32 v12, v12, v178
	v_mul_f32_e32 v172, v4, v197
	v_fmac_f32_e32 v163, v3, v177
	s_waitcnt vmcnt(25) lgkmcnt(2)
	v_mul_f32_e32 v179, v149, v198
	v_add_f32_e32 v162, v162, v175
	v_fma_f32 v4, v4, v176, -v182
	v_add_f32_e32 v2, v12, v2
	v_mul_f32_e32 v165, v148, v198
	v_fmac_f32_e32 v172, v5, v176
	v_add_f32_e32 v12, v162, v163
	s_waitcnt vmcnt(24)
	v_mul_f32_e32 v175, v151, v201
	v_fma_f32 v148, v148, v174, -v179
	v_add_f32_e32 v2, v2, v4
	v_mul_f32_e32 v173, v150, v201
	v_fmac_f32_e32 v165, v149, v174
	v_add_f32_e32 v4, v12, v172
	s_waitcnt vmcnt(23) lgkmcnt(1)
	v_mul_f32_e32 v12, v7, v190
	v_add_f32_e32 v2, v2, v148
	ds_read_b128 v[140:143], v1 offset:960
	ds_read_b128 v[156:159], v1 offset:976
	s_waitcnt vmcnt(9)
	v_fma_f32 v149, v150, v208, -v175
	v_mul_f32_e32 v3, v6, v190
	v_fmac_f32_e32 v173, v151, v208
	v_add_f32_e32 v4, v4, v165
	v_mul_f32_e32 v148, v9, v196
	v_fma_f32 v6, v6, v207, -v12
	v_add_f32_e32 v2, v2, v149
	v_mul_f32_e32 v177, v8, v196
	v_fmac_f32_e32 v3, v7, v207
	v_add_f32_e32 v4, v4, v173
	s_waitcnt lgkmcnt(2)
	v_mul_f32_e32 v7, v153, v168
	v_fma_f32 v8, v8, v205, -v148
	v_add_f32_e32 v2, v2, v6
	v_mul_f32_e32 v171, v152, v168
	v_fmac_f32_e32 v177, v9, v205
	v_add_f32_e32 v3, v4, v3
	v_mul_f32_e32 v4, v155, v187
	v_fma_f32 v6, v152, v169, -v7
	v_add_f32_e32 v2, v2, v8
	v_mul_f32_e32 v5, v154, v187
	v_fmac_f32_e32 v171, v153, v169
	v_add_f32_e32 v3, v3, v177
	s_waitcnt lgkmcnt(1)
	v_mul_f32_e32 v7, v141, v202
	s_waitcnt vmcnt(5)
	v_fma_f32 v4, v154, v212, -v4
	v_add_f32_e32 v2, v2, v6
	ds_read_b128 v[144:147], v1 offset:992
	ds_read_b64 v[10:11], v1 offset:1008
	v_mul_f32_e32 v176, v140, v202
	v_fmac_f32_e32 v5, v155, v212
	v_add_f32_e32 v3, v3, v171
	v_mul_f32_e32 v6, v143, v164
	v_fma_f32 v7, v140, v211, -v7
	v_add_f32_e32 v2, v2, v4
	v_mul_f32_e32 v167, v142, v164
	v_fmac_f32_e32 v176, v141, v211
	v_add_f32_e32 v3, v3, v5
	s_waitcnt lgkmcnt(2)
	v_mul_f32_e32 v4, v157, v166
	v_fma_f32 v5, v142, v210, -v6
	v_add_f32_e32 v2, v2, v7
	v_mul_f32_e32 v180, v156, v166
	v_fmac_f32_e32 v167, v143, v210
	v_add_f32_e32 v3, v3, v176
	v_mul_f32_e32 v6, v159, v203
	v_fma_f32 v4, v156, v209, -v4
	v_add_f32_e32 v2, v2, v5
	v_mul_f32_e32 v181, v158, v203
	v_fmac_f32_e32 v180, v157, v209
	v_add_f32_e32 v3, v3, v167
	s_waitcnt lgkmcnt(1)
	v_mul_f32_e32 v5, v145, v170
	s_waitcnt vmcnt(1)
	v_fma_f32 v6, v158, v215, -v6
	v_add_f32_e32 v2, v2, v4
	v_mul_f32_e32 v178, v144, v170
	v_fmac_f32_e32 v181, v159, v215
	v_add_f32_e32 v3, v3, v180
	v_mul_f32_e32 v4, v147, v191
	v_fma_f32 v5, v144, v214, -v5
	v_add_f32_e32 v2, v2, v6
	v_mul_f32_e32 v182, v146, v191
	v_fmac_f32_e32 v178, v145, v214
	v_add_f32_e32 v3, v3, v181
	s_waitcnt lgkmcnt(0)
	v_mul_f32_e32 v6, v11, v204
	v_fma_f32 v4, v146, v213, -v4
	v_add_f32_e32 v2, v2, v5
	v_mul_f32_e32 v162, v10, v204
	v_fmac_f32_e32 v182, v147, v213
	v_add_f32_e32 v3, v3, v178
	v_fma_f32 v5, v10, v160, -v6
	v_add_f32_e32 v2, v2, v4
	v_fmac_f32_e32 v162, v11, v160
	v_add_f32_e32 v3, v3, v182
	v_add_f32_e32 v2, v2, v5
	;; [unrolled: 1-line block ×3, first 2 shown]
	s_waitcnt vmcnt(0)
	v_sub_f32_e32 v2, v161, v2
	v_sub_f32_e32 v3, v186, v3
	buffer_store_dword v2, off, s[0:3], 0 offset:56
	buffer_store_dword v3, off, s[0:3], 0 offset:60
	v_cmpx_lt_u32_e32 6, v0
	s_cbranch_execz .LBB126_379
; %bb.378:
	s_clause 0x1
	buffer_load_dword v2, off, s[0:3], 0 offset:48
	buffer_load_dword v3, off, s[0:3], 0 offset:52
	buffer_store_dword v1, off, s[0:3], 0 offset:48
	buffer_store_dword v1, off, s[0:3], 0 offset:52
	s_waitcnt vmcnt(0)
	ds_write_b64 v139, v[2:3]
.LBB126_379:
	s_or_b32 exec_lo, exec_lo, s4
	s_waitcnt lgkmcnt(0)
	s_waitcnt_vscnt null, 0x0
	s_barrier
	buffer_gl0_inv
	s_clause 0x34
	buffer_load_dword v175, off, s[0:3], 0 offset:60
	buffer_load_dword v176, off, s[0:3], 0 offset:68
	buffer_load_dword v2, off, s[0:3], 0 offset:72
	buffer_load_dword v5, off, s[0:3], 0 offset:64
	buffer_load_dword v6, off, s[0:3], 0 offset:56
	buffer_load_dword v4, off, s[0:3], 0 offset:76
	buffer_load_dword v3, off, s[0:3], 0 offset:84
	buffer_load_dword v8, off, s[0:3], 0 offset:92
	buffer_load_dword v7, off, s[0:3], 0 offset:100
	buffer_load_dword v9, off, s[0:3], 0 offset:104
	buffer_load_dword v11, off, s[0:3], 0 offset:96
	buffer_load_dword v140, off, s[0:3], 0 offset:88
	buffer_load_dword v141, off, s[0:3], 0 offset:80
	buffer_load_dword v12, off, s[0:3], 0 offset:108
	buffer_load_dword v10, off, s[0:3], 0 offset:116
	buffer_load_dword v151, off, s[0:3], 0 offset:136
	buffer_load_dword v161, off, s[0:3], 0 offset:128
	buffer_load_dword v165, off, s[0:3], 0 offset:120
	buffer_load_dword v173, off, s[0:3], 0 offset:112
	buffer_load_dword v172, off, s[0:3], 0 offset:124
	buffer_load_dword v171, off, s[0:3], 0 offset:132
	buffer_load_dword v170, off, s[0:3], 0 offset:140
	buffer_load_dword v169, off, s[0:3], 0 offset:148
	buffer_load_dword v166, off, s[0:3], 0 offset:156
	buffer_load_dword v167, off, s[0:3], 0 offset:164
	buffer_load_dword v147, off, s[0:3], 0 offset:168
	buffer_load_dword v162, off, s[0:3], 0 offset:160
	buffer_load_dword v164, off, s[0:3], 0 offset:152
	buffer_load_dword v168, off, s[0:3], 0 offset:144
	buffer_load_dword v157, off, s[0:3], 0 offset:172
	buffer_load_dword v155, off, s[0:3], 0 offset:180
	buffer_load_dword v143, off, s[0:3], 0 offset:200
	buffer_load_dword v148, off, s[0:3], 0 offset:192
	buffer_load_dword v152, off, s[0:3], 0 offset:184
	buffer_load_dword v163, off, s[0:3], 0 offset:176
	buffer_load_dword v160, off, s[0:3], 0 offset:188
	buffer_load_dword v159, off, s[0:3], 0 offset:196
	buffer_load_dword v156, off, s[0:3], 0 offset:204
	buffer_load_dword v150, off, s[0:3], 0 offset:212
	buffer_load_dword v142, off, s[0:3], 0 offset:232
	buffer_load_dword v144, off, s[0:3], 0 offset:224
	buffer_load_dword v149, off, s[0:3], 0 offset:216
	buffer_load_dword v158, off, s[0:3], 0 offset:208
	buffer_load_dword v154, off, s[0:3], 0 offset:220
	buffer_load_dword v153, off, s[0:3], 0 offset:228
	buffer_load_dword v146, off, s[0:3], 0 offset:236
	buffer_load_dword v145, off, s[0:3], 0 offset:244
	buffer_load_dword v174, off, s[0:3], 0 offset:264
	buffer_load_dword v177, off, s[0:3], 0 offset:256
	buffer_load_dword v179, off, s[0:3], 0 offset:248
	buffer_load_dword v182, off, s[0:3], 0 offset:240
	buffer_load_dword v181, off, s[0:3], 0 offset:252
	buffer_load_dword v180, off, s[0:3], 0 offset:260
	ds_read2_b64 v[183:186], v1 offset0:71 offset1:72
	ds_read2_b64 v[187:190], v1 offset0:73 offset1:74
	ds_read2_b64 v[191:194], v1 offset0:75 offset1:76
	ds_read2_b64 v[195:198], v1 offset0:77 offset1:78
	s_mov_b32 s4, exec_lo
	s_waitcnt vmcnt(52) lgkmcnt(3)
	v_mul_f32_e32 v178, v183, v175
	v_mul_f32_e32 v199, v184, v175
	s_waitcnt vmcnt(51)
	v_mul_f32_e32 v175, v185, v176
	v_mul_f32_e32 v200, v186, v176
	buffer_load_dword v176, off, s[0:3], 0 offset:52
	s_waitcnt vmcnt(49)
	v_fmac_f32_e32 v178, v184, v6
	v_fma_f32 v199, v183, v6, -v199
	v_fmac_f32_e32 v175, v186, v5
	v_fma_f32 v200, v185, v5, -v200
	ds_read2_b64 v[183:186], v1 offset0:79 offset1:80
	s_waitcnt vmcnt(48) lgkmcnt(3)
	v_mul_f32_e32 v201, v187, v4
	v_mul_f32_e32 v4, v188, v4
	s_waitcnt vmcnt(47)
	v_mul_f32_e32 v202, v189, v3
	v_mul_f32_e32 v3, v190, v3
	s_waitcnt vmcnt(46) lgkmcnt(2)
	v_mul_f32_e32 v203, v191, v8
	v_fmac_f32_e32 v201, v188, v2
	v_fma_f32 v205, v187, v2, -v4
	s_waitcnt vmcnt(41)
	v_fmac_f32_e32 v202, v190, v141
	v_fma_f32 v141, v189, v141, -v3
	ds_read2_b64 v[2:5], v1 offset0:81 offset1:82
	ds_read2_b64 v[187:190], v1 offset0:83 offset1:84
	v_mul_f32_e32 v6, v192, v8
	v_mul_f32_e32 v204, v193, v7
	;; [unrolled: 1-line block ×3, first 2 shown]
	v_fmac_f32_e32 v203, v192, v140
	v_fma_f32 v140, v191, v140, -v6
	v_fmac_f32_e32 v204, v194, v11
	v_fma_f32 v11, v193, v11, -v7
	s_waitcnt vmcnt(40) lgkmcnt(3)
	v_mul_f32_e32 v191, v195, v12
	v_mul_f32_e32 v6, v196, v12
	s_waitcnt vmcnt(39)
	v_mul_f32_e32 v12, v197, v10
	v_mul_f32_e32 v7, v198, v10
	s_waitcnt vmcnt(34) lgkmcnt(2)
	v_mul_f32_e32 v193, v183, v172
	v_fmac_f32_e32 v191, v196, v9
	v_fma_f32 v192, v195, v9, -v6
	v_fmac_f32_e32 v12, v198, v173
	v_fma_f32 v173, v197, v173, -v7
	ds_read2_b64 v[6:9], v1 offset0:85 offset1:86
	v_mul_f32_e32 v172, v184, v172
	s_waitcnt vmcnt(33)
	v_mul_f32_e32 v194, v185, v171
	v_mul_f32_e32 v171, v186, v171
	s_waitcnt vmcnt(32) lgkmcnt(2)
	v_mul_f32_e32 v195, v2, v170
	v_mul_f32_e32 v170, v3, v170
	v_fmac_f32_e32 v193, v184, v165
	v_fma_f32 v172, v183, v165, -v172
	s_waitcnt vmcnt(31)
	v_mul_f32_e32 v183, v4, v169
	v_mul_f32_e32 v165, v5, v169
	v_fmac_f32_e32 v194, v186, v161
	v_fma_f32 v161, v185, v161, -v171
	s_waitcnt vmcnt(30) lgkmcnt(1)
	v_mul_f32_e32 v169, v187, v166
	v_mul_f32_e32 v171, v188, v166
	s_waitcnt vmcnt(29)
	v_mul_f32_e32 v184, v189, v167
	v_mul_f32_e32 v185, v190, v167
	buffer_load_dword v10, off, s[0:3], 0 offset:268
	v_fmac_f32_e32 v195, v3, v151
	v_fma_f32 v151, v2, v151, -v170
	s_waitcnt vmcnt(26)
	v_fmac_f32_e32 v183, v5, v168
	v_fma_f32 v170, v4, v168, -v165
	ds_read2_b64 v[2:5], v1 offset0:87 offset1:88
	ds_read2_b64 v[165:168], v1 offset0:89 offset1:90
	v_fmac_f32_e32 v169, v188, v164
	v_fma_f32 v164, v187, v164, -v171
	v_fmac_f32_e32 v184, v190, v162
	v_fma_f32 v162, v189, v162, -v185
	s_clause 0x4
	buffer_load_dword v171, off, s[0:3], 0 offset:276
	buffer_load_dword v185, off, s[0:3], 0 offset:296
	;; [unrolled: 1-line block ×5, first 2 shown]
	s_waitcnt vmcnt(30) lgkmcnt(2)
	v_mul_f32_e32 v189, v6, v157
	v_mul_f32_e32 v157, v7, v157
	s_waitcnt vmcnt(29)
	v_mul_f32_e32 v190, v8, v155
	v_mul_f32_e32 v155, v9, v155
	v_fmac_f32_e32 v189, v7, v147
	v_fma_f32 v147, v6, v147, -v157
	s_waitcnt vmcnt(25)
	v_fmac_f32_e32 v190, v9, v163
	v_fma_f32 v155, v8, v163, -v155
	ds_read2_b64 v[6:9], v1 offset0:91 offset1:92
	s_waitcnt vmcnt(24) lgkmcnt(2)
	v_mul_f32_e32 v157, v2, v160
	v_mul_f32_e32 v160, v3, v160
	s_waitcnt vmcnt(23)
	v_mul_f32_e32 v163, v4, v159
	v_mul_f32_e32 v159, v5, v159
	v_fmac_f32_e32 v157, v3, v152
	v_fma_f32 v152, v2, v152, -v160
	s_waitcnt vmcnt(22) lgkmcnt(1)
	v_mul_f32_e32 v160, v165, v156
	v_mul_f32_e32 v2, v166, v156
	v_fmac_f32_e32 v163, v5, v148
	v_fma_f32 v148, v4, v148, -v159
	s_waitcnt vmcnt(21)
	v_mul_f32_e32 v156, v167, v150
	v_mul_f32_e32 v3, v168, v150
	s_clause 0x1
	buffer_load_dword v150, off, s[0:3], 0 offset:284
	buffer_load_dword v159, off, s[0:3], 0 offset:292
	v_fmac_f32_e32 v160, v166, v143
	v_fma_f32 v143, v165, v143, -v2
	s_waitcnt vmcnt(19)
	v_fmac_f32_e32 v156, v168, v158
	v_fma_f32 v158, v167, v158, -v3
	ds_read2_b64 v[2:5], v1 offset0:93 offset1:94
	s_waitcnt vmcnt(18) lgkmcnt(1)
	v_mul_f32_e32 v165, v6, v154
	v_mul_f32_e32 v154, v7, v154
	s_waitcnt vmcnt(17)
	v_mul_f32_e32 v166, v8, v153
	v_mul_f32_e32 v153, v9, v153
	v_fmac_f32_e32 v165, v7, v149
	v_fma_f32 v149, v6, v149, -v154
	v_fmac_f32_e32 v166, v9, v144
	v_fma_f32 v144, v8, v144, -v153
	ds_read2_b64 v[6:9], v1 offset0:95 offset1:96
	buffer_load_dword v153, off, s[0:3], 0 offset:300
	s_waitcnt vmcnt(16) lgkmcnt(1)
	v_mul_f32_e32 v167, v4, v145
	v_mul_f32_e32 v145, v5, v145
	;; [unrolled: 1-line block ×4, first 2 shown]
	s_waitcnt vmcnt(12)
	v_fmac_f32_e32 v167, v5, v182
	v_fma_f32 v145, v4, v182, -v145
	buffer_load_dword v182, off, s[0:3], 0 offset:308
	v_fmac_f32_e32 v154, v3, v142
	v_fma_f32 v142, v2, v142, -v146
	s_waitcnt vmcnt(12) lgkmcnt(0)
	v_mul_f32_e32 v146, v6, v181
	v_mul_f32_e32 v168, v7, v181
	s_waitcnt vmcnt(11)
	v_mul_f32_e32 v181, v8, v180
	v_mul_f32_e32 v180, v9, v180
	ds_read2_b64 v[2:5], v1 offset0:97 offset1:98
	v_fmac_f32_e32 v146, v7, v179
	v_fma_f32 v168, v6, v179, -v168
	v_fmac_f32_e32 v181, v9, v177
	v_fma_f32 v177, v8, v177, -v180
	s_clause 0x4
	buffer_load_dword v179, off, s[0:3], 0 offset:328
	buffer_load_dword v180, off, s[0:3], 0 offset:320
	;; [unrolled: 1-line block ×5, first 2 shown]
	v_add_f32_e32 v6, 0, v199
	v_add_f32_e32 v7, 0, v178
	buffer_load_dword v199, off, s[0:3], 0 offset:324
	v_add_f32_e32 v6, v6, v200
	v_add_f32_e32 v7, v7, v175
	s_clause 0x1
	buffer_load_dword v175, off, s[0:3], 0 offset:332
	buffer_load_dword v178, off, s[0:3], 0 offset:340
	v_add_f32_e32 v6, v6, v205
	v_add_f32_e32 v7, v7, v201
	;; [unrolled: 1-line block ×4, first 2 shown]
	s_clause 0x3
	buffer_load_dword v200, off, s[0:3], 0 offset:360
	buffer_load_dword v201, off, s[0:3], 0 offset:352
	;; [unrolled: 1-line block ×4, first 2 shown]
	v_add_f32_e32 v6, v6, v140
	v_add_f32_e32 v7, v7, v203
	;; [unrolled: 1-line block ×4, first 2 shown]
	s_clause 0x3
	buffer_load_dword v11, off, s[0:3], 0 offset:348
	buffer_load_dword v203, off, s[0:3], 0 offset:356
	;; [unrolled: 1-line block ×4, first 2 shown]
	v_add_f32_e32 v6, v6, v192
	v_add_f32_e32 v7, v7, v191
	;; [unrolled: 1-line block ×14, first 2 shown]
	s_waitcnt vmcnt(25) lgkmcnt(0)
	v_mul_f32_e32 v140, v2, v10
	v_mul_f32_e32 v8, v3, v10
	v_fmac_f32_e32 v140, v3, v174
	s_waitcnt vmcnt(24)
	v_mul_f32_e32 v10, v4, v171
	v_mul_f32_e32 v9, v5, v171
	v_fma_f32 v141, v2, v174, -v8
	s_waitcnt vmcnt(20)
	v_fmac_f32_e32 v10, v5, v188
	v_fma_f32 v12, v4, v188, -v9
	ds_read2_b64 v[2:5], v1 offset0:99 offset1:100
	s_clause 0x6
	buffer_load_dword v171, off, s[0:3], 0 offset:392
	buffer_load_dword v172, off, s[0:3], 0 offset:384
	;; [unrolled: 1-line block ×7, first 2 shown]
	ds_read2_b64 v[6:9], v1 offset0:101 offset1:102
	s_waitcnt vmcnt(26) lgkmcnt(1)
	v_mul_f32_e32 v183, v2, v150
	v_mul_f32_e32 v150, v3, v150
	s_waitcnt vmcnt(25)
	v_mul_f32_e32 v170, v4, v159
	v_mul_f32_e32 v159, v5, v159
	v_fmac_f32_e32 v183, v3, v187
	v_add_f32_e32 v3, v151, v184
	v_fma_f32 v150, v2, v187, -v150
	v_add_f32_e32 v2, v164, v162
	v_fma_f32 v151, v4, v186, -v159
	s_clause 0x3
	buffer_load_dword v162, off, s[0:3], 0 offset:404
	buffer_load_dword v164, off, s[0:3], 0 offset:412
	;; [unrolled: 1-line block ×4, first 2 shown]
	v_add_f32_e32 v3, v3, v189
	v_fmac_f32_e32 v170, v5, v186
	v_add_f32_e32 v2, v2, v147
	s_clause 0x3
	buffer_load_dword v186, off, s[0:3], 0 offset:436
	buffer_load_dword v187, off, s[0:3], 0 offset:444
	;; [unrolled: 1-line block ×4, first 2 shown]
	v_add_f32_e32 v3, v3, v190
	s_waitcnt vmcnt(32) lgkmcnt(0)
	v_mul_f32_e32 v4, v7, v153
	v_add_f32_e32 v2, v2, v155
	v_mul_f32_e32 v155, v6, v153
	s_clause 0x3
	buffer_load_dword v190, off, s[0:3], 0 offset:468
	buffer_load_dword v193, off, s[0:3], 0 offset:476
	;; [unrolled: 1-line block ×4, first 2 shown]
	v_add_f32_e32 v3, v3, v157
	buffer_load_dword v207, off, s[0:3], 0 offset:500
	v_add_f32_e32 v2, v2, v152
	v_fmac_f32_e32 v155, v7, v185
	v_fma_f32 v152, v6, v185, -v4
	v_add_f32_e32 v6, v3, v163
	s_clause 0x3
	buffer_load_dword v163, off, s[0:3], 0 offset:424
	buffer_load_dword v185, off, s[0:3], 0 offset:416
	;; [unrolled: 1-line block ×4, first 2 shown]
	v_add_f32_e32 v2, v2, v148
	v_add_f32_e32 v6, v6, v160
	;; [unrolled: 1-line block ×3, first 2 shown]
	s_waitcnt vmcnt(40)
	v_mul_f32_e32 v2, v9, v182
	v_mul_f32_e32 v148, v8, v182
	v_add_f32_e32 v6, v6, v156
	v_add_f32_e32 v7, v7, v158
	;; [unrolled: 1-line block ×4, first 2 shown]
	s_waitcnt vmcnt(36)
	v_fma_f32 v153, v8, v197, -v2
	ds_read2_b64 v[2:5], v1 offset0:103 offset1:104
	v_fmac_f32_e32 v148, v9, v197
	s_clause 0x3
	buffer_load_dword v160, off, s[0:3], 0 offset:456
	buffer_load_dword v182, off, s[0:3], 0 offset:448
	;; [unrolled: 1-line block ×4, first 2 shown]
	v_add_f32_e32 v143, v7, v144
	v_add_f32_e32 v144, v6, v166
	ds_read2_b64 v[6:9], v1 offset0:105 offset1:106
	v_add_f32_e32 v142, v143, v142
	v_add_f32_e32 v144, v144, v154
	s_waitcnt vmcnt(39) lgkmcnt(1)
	v_mul_f32_e32 v156, v2, v198
	v_mul_f32_e32 v143, v3, v198
	s_waitcnt vmcnt(38)
	v_mul_f32_e32 v157, v4, v199
	v_fmac_f32_e32 v156, v3, v196
	v_fma_f32 v154, v2, v196, -v143
	v_add_f32_e32 v3, v144, v167
	s_clause 0x3
	buffer_load_dword v165, off, s[0:3], 0 offset:488
	buffer_load_dword v166, off, s[0:3], 0 offset:480
	;; [unrolled: 1-line block ×4, first 2 shown]
	v_add_f32_e32 v2, v142, v145
	buffer_load_dword v198, off, s[0:3], 0 offset:48
	v_mul_f32_e32 v142, v5, v199
	v_add_f32_e32 v3, v3, v146
	v_fmac_f32_e32 v157, v5, v180
	v_add_f32_e32 v2, v2, v168
	buffer_load_dword v168, off, s[0:3], 0 offset:496
	v_fma_f32 v158, v4, v180, -v142
	v_add_f32_e32 v143, v3, v181
	s_waitcnt vmcnt(43) lgkmcnt(0)
	v_mul_f32_e32 v159, v6, v175
	v_add_f32_e32 v2, v2, v177
	v_add_f32_e32 v145, v143, v140
	v_fmac_f32_e32 v159, v7, v179
	v_add_f32_e32 v144, v2, v141
	ds_read2_b64 v[2:5], v1 offset0:107 offset1:108
	ds_read2_b64 v[140:143], v1 offset0:109 offset1:110
	v_add_f32_e32 v10, v145, v10
	s_waitcnt vmcnt(42)
	v_mul_f32_e32 v145, v9, v178
	v_add_f32_e32 v12, v144, v12
	v_mul_f32_e32 v144, v7, v175
	v_mul_f32_e32 v175, v8, v178
	v_add_f32_e32 v10, v10, v183
	s_waitcnt vmcnt(38)
	v_fma_f32 v178, v8, v205, -v145
	v_add_f32_e32 v12, v12, v150
	v_fma_f32 v177, v6, v179, -v144
	v_fmac_f32_e32 v175, v9, v205
	ds_read2_b64 v[6:9], v1 offset0:111 offset1:112
	ds_read2_b64 v[144:147], v1 offset0:113 offset1:114
	v_add_f32_e32 v10, v10, v170
	v_add_f32_e32 v12, v12, v151
	;; [unrolled: 1-line block ×4, first 2 shown]
	s_waitcnt vmcnt(36) lgkmcnt(3)
	v_mul_f32_e32 v170, v4, v203
	s_waitcnt vmcnt(35) lgkmcnt(2)
	v_mul_f32_e32 v180, v140, v206
	v_mul_f32_e32 v152, v141, v206
	v_add_f32_e32 v10, v10, v148
	v_add_f32_e32 v12, v12, v153
	v_mul_f32_e32 v149, v5, v203
	v_fmac_f32_e32 v180, v141, v200
	v_fma_f32 v199, v140, v200, -v152
	v_add_f32_e32 v10, v10, v156
	v_add_f32_e32 v12, v12, v154
	v_mul_f32_e32 v179, v2, v11
	v_mul_f32_e32 v11, v3, v11
	v_fmac_f32_e32 v170, v5, v201
	v_add_f32_e32 v10, v10, v157
	v_add_f32_e32 v12, v12, v158
	v_fma_f32 v183, v4, v201, -v149
	v_fma_f32 v11, v2, v202, -v11
	v_fmac_f32_e32 v179, v3, v202
	v_add_f32_e32 v10, v10, v159
	s_waitcnt vmcnt(34)
	v_mul_f32_e32 v181, v142, v204
	v_mul_f32_e32 v153, v143, v204
	ds_read2_b64 v[2:5], v1 offset0:115 offset1:116
	ds_read2_b64 v[148:151], v1 offset0:117 offset1:118
	v_add_f32_e32 v10, v10, v175
	v_add_f32_e32 v10, v10, v179
	;; [unrolled: 1-line block ×4, first 2 shown]
	s_waitcnt vmcnt(29) lgkmcnt(3)
	v_mul_f32_e32 v200, v6, v161
	s_waitcnt vmcnt(28)
	v_mul_f32_e32 v201, v8, v188
	v_mul_f32_e32 v156, v7, v161
	;; [unrolled: 1-line block ×3, first 2 shown]
	v_fmac_f32_e32 v181, v143, v174
	v_fmac_f32_e32 v200, v7, v173
	v_add_f32_e32 v7, v12, v177
	v_fmac_f32_e32 v201, v9, v172
	v_fma_f32 v161, v8, v172, -v157
	v_fma_f32 v174, v142, v174, -v153
	;; [unrolled: 1-line block ×3, first 2 shown]
	v_add_f32_e32 v172, v7, v178
	v_add_f32_e32 v10, v10, v181
	ds_read2_b64 v[140:143], v1 offset0:119 offset1:120
	ds_read2_b64 v[152:155], v1 offset0:121 offset1:122
	;; [unrolled: 1-line block ×4, first 2 shown]
	s_waitcnt vmcnt(27) lgkmcnt(6)
	v_mul_f32_e32 v1, v144, v191
	v_add_f32_e32 v11, v172, v11
	v_mul_f32_e32 v172, v145, v191
	v_add_f32_e32 v10, v10, v200
	v_fmac_f32_e32 v1, v145, v171
	v_add_f32_e32 v11, v11, v183
	v_fma_f32 v144, v144, v171, -v172
	v_add_f32_e32 v10, v10, v201
	v_add_f32_e32 v11, v11, v199
	;; [unrolled: 1-line block ×3, first 2 shown]
	s_waitcnt vmcnt(26)
	v_mul_f32_e32 v173, v146, v162
	v_add_f32_e32 v11, v11, v174
	v_mul_f32_e32 v162, v147, v162
	s_waitcnt vmcnt(25) lgkmcnt(5)
	v_mul_f32_e32 v175, v2, v164
	s_waitcnt vmcnt(24)
	v_mul_f32_e32 v10, v5, v169
	v_mul_f32_e32 v170, v4, v169
	v_add_f32_e32 v11, v11, v12
	s_waitcnt vmcnt(23) lgkmcnt(4)
	v_mul_f32_e32 v177, v148, v184
	s_waitcnt vmcnt(22)
	v_mul_f32_e32 v178, v150, v186
	s_waitcnt vmcnt(21) lgkmcnt(3)
	v_mul_f32_e32 v179, v140, v187
	s_waitcnt vmcnt(20)
	v_mul_f32_e32 v180, v142, v189
	v_add_f32_e32 v11, v11, v161
	v_mul_f32_e32 v161, v3, v164
	s_waitcnt vmcnt(19) lgkmcnt(2)
	v_mul_f32_e32 v174, v152, v192
	s_waitcnt vmcnt(18)
	v_mul_f32_e32 v181, v154, v190
	s_waitcnt vmcnt(17) lgkmcnt(1)
	v_mul_f32_e32 v183, v6, v193
	v_add_f32_e32 v11, v11, v144
	s_waitcnt vmcnt(13)
	v_fmac_f32_e32 v177, v149, v163
	s_waitcnt vmcnt(12)
	v_fma_f32 v4, v4, v185, -v10
	s_waitcnt vmcnt(11)
	v_fmac_f32_e32 v175, v3, v208
	s_waitcnt vmcnt(10)
	v_fma_f32 v146, v146, v209, -v162
	v_fmac_f32_e32 v173, v147, v209
	v_fma_f32 v2, v2, v208, -v161
	v_fmac_f32_e32 v170, v5, v185
	v_mul_f32_e32 v12, v8, v194
	v_add_f32_e32 v3, v11, v146
	v_add_f32_e32 v1, v1, v173
	v_mul_f32_e32 v11, v149, v184
	s_waitcnt lgkmcnt(0)
	v_mul_f32_e32 v188, v156, v195
	v_mul_f32_e32 v145, v158, v207
	v_add_f32_e32 v2, v3, v2
	v_add_f32_e32 v1, v1, v175
	v_mul_f32_e32 v3, v151, v186
	v_fma_f32 v5, v148, v163, -v11
	v_add_f32_e32 v2, v2, v4
	v_add_f32_e32 v1, v1, v170
	v_mul_f32_e32 v4, v141, v187
	s_waitcnt vmcnt(8)
	v_fmac_f32_e32 v180, v143, v182
	s_waitcnt vmcnt(7)
	v_fmac_f32_e32 v179, v141, v197
	s_waitcnt vmcnt(6)
	v_fma_f32 v3, v150, v210, -v3
	v_add_f32_e32 v2, v2, v5
	v_fmac_f32_e32 v178, v151, v210
	v_add_f32_e32 v1, v1, v177
	v_mul_f32_e32 v5, v143, v189
	v_fma_f32 v4, v140, v197, -v4
	v_add_f32_e32 v2, v2, v3
	v_mul_f32_e32 v3, v153, v192
	v_add_f32_e32 v1, v1, v178
	v_fma_f32 v5, v142, v182, -v5
	v_fmac_f32_e32 v174, v153, v160
	v_add_f32_e32 v2, v2, v4
	v_mul_f32_e32 v4, v155, v190
	v_add_f32_e32 v1, v1, v179
	v_fma_f32 v3, v152, v160, -v3
	v_add_f32_e32 v2, v2, v5
	v_mul_f32_e32 v5, v7, v193
	v_add_f32_e32 v1, v1, v180
	v_add_f32_e32 v2, v2, v3
	v_mul_f32_e32 v3, v9, v194
	v_add_f32_e32 v1, v1, v174
	s_waitcnt vmcnt(4)
	v_fmac_f32_e32 v12, v9, v166
	s_waitcnt vmcnt(3)
	v_fma_f32 v5, v6, v167, -v5
	s_waitcnt vmcnt(2)
	v_fma_f32 v4, v154, v196, -v4
	v_fmac_f32_e32 v181, v155, v196
	v_fmac_f32_e32 v183, v7, v167
	v_fma_f32 v3, v8, v166, -v3
	v_fmac_f32_e32 v188, v157, v165
	v_add_f32_e32 v2, v2, v4
	v_add_f32_e32 v1, v1, v181
	v_mul_f32_e32 v4, v157, v195
	s_waitcnt vmcnt(0)
	v_fmac_f32_e32 v145, v159, v168
	v_add_f32_e32 v2, v2, v5
	v_add_f32_e32 v1, v1, v183
	v_mul_f32_e32 v5, v159, v207
	v_fma_f32 v4, v156, v165, -v4
	v_add_f32_e32 v2, v2, v3
	v_add_f32_e32 v1, v1, v12
	v_fma_f32 v3, v158, v168, -v5
	v_add_f32_e32 v2, v2, v4
	v_add_f32_e32 v1, v1, v188
	;; [unrolled: 1-line block ×4, first 2 shown]
	v_sub_f32_e32 v2, v198, v2
	v_sub_f32_e32 v1, v176, v1
	buffer_store_dword v2, off, s[0:3], 0 offset:48
	buffer_store_dword v1, off, s[0:3], 0 offset:52
	v_cmpx_lt_u32_e32 5, v0
	s_cbranch_execz .LBB126_381
; %bb.380:
	s_clause 0x1
	buffer_load_dword v1, off, s[0:3], 0 offset:40
	buffer_load_dword v2, off, s[0:3], 0 offset:44
	v_mov_b32_e32 v3, 0
	buffer_store_dword v3, off, s[0:3], 0 offset:40
	buffer_store_dword v3, off, s[0:3], 0 offset:44
	s_waitcnt vmcnt(0)
	ds_write_b64 v139, v[1:2]
.LBB126_381:
	s_or_b32 exec_lo, exec_lo, s4
	s_waitcnt lgkmcnt(0)
	s_waitcnt_vscnt null, 0x0
	s_barrier
	buffer_gl0_inv
	s_clause 0x34
	buffer_load_dword v2, off, s[0:3], 0 offset:52
	buffer_load_dword v3, off, s[0:3], 0 offset:60
	;; [unrolled: 1-line block ×53, first 2 shown]
	v_mov_b32_e32 v1, 0
	ds_read_b128 v[183:186], v1 offset:560
	ds_read_b128 v[187:190], v1 offset:576
	ds_read_b128 v[191:194], v1 offset:592
	ds_read_b128 v[195:198], v1 offset:608
	buffer_load_dword v182, off, s[0:3], 0 offset:44
	s_mov_b32 s4, exec_lo
	s_waitcnt vmcnt(53) lgkmcnt(3)
	v_mul_f32_e32 v199, v183, v2
	v_mul_f32_e32 v2, v184, v2
	s_waitcnt vmcnt(52)
	v_mul_f32_e32 v200, v185, v3
	v_mul_f32_e32 v3, v186, v3
	s_waitcnt vmcnt(49)
	v_fmac_f32_e32 v199, v184, v8
	v_fma_f32 v201, v183, v8, -v2
	v_fmac_f32_e32 v200, v186, v7
	v_fma_f32 v202, v185, v7, -v3
	ds_read_b128 v[183:186], v1 offset:624
	s_waitcnt vmcnt(48) lgkmcnt(3)
	v_mul_f32_e32 v203, v187, v6
	v_mul_f32_e32 v2, v188, v6
	s_waitcnt vmcnt(47)
	v_mul_f32_e32 v3, v190, v5
	v_mul_f32_e32 v204, v189, v5
	s_waitcnt vmcnt(46) lgkmcnt(2)
	v_mul_f32_e32 v6, v192, v10
	s_waitcnt vmcnt(45)
	v_mul_f32_e32 v7, v194, v9
	v_fmac_f32_e32 v203, v188, v4
	v_fma_f32 v187, v187, v4, -v2
	s_waitcnt vmcnt(41)
	v_fma_f32 v188, v189, v143, -v3
	ds_read_b128 v[2:5], v1 offset:640
	v_mul_f32_e32 v205, v191, v10
	v_mul_f32_e32 v10, v193, v9
	v_fmac_f32_e32 v204, v190, v143
	v_fma_f32 v189, v191, v142, -v6
	v_fma_f32 v190, v193, v140, -v7
	ds_read_b128 v[6:9], v1 offset:656
	v_fmac_f32_e32 v10, v194, v140
	s_waitcnt vmcnt(40) lgkmcnt(3)
	v_mul_f32_e32 v191, v195, v141
	v_mul_f32_e32 v140, v196, v141
	v_fmac_f32_e32 v205, v192, v142
	s_waitcnt vmcnt(39)
	v_mul_f32_e32 v192, v197, v12
	v_mul_f32_e32 v12, v198, v12
	v_fmac_f32_e32 v191, v196, v11
	v_fma_f32 v11, v195, v11, -v140
	ds_read_b128 v[140:143], v1 offset:672
	s_waitcnt vmcnt(35)
	v_fmac_f32_e32 v192, v198, v175
	v_fma_f32 v12, v197, v175, -v12
	s_waitcnt vmcnt(34) lgkmcnt(3)
	v_mul_f32_e32 v175, v183, v174
	v_mul_f32_e32 v174, v184, v174
	s_waitcnt vmcnt(33)
	v_mul_f32_e32 v194, v185, v173
	v_mul_f32_e32 v173, v186, v173
	s_waitcnt vmcnt(32) lgkmcnt(2)
	v_mul_f32_e32 v195, v2, v172
	v_mul_f32_e32 v172, v3, v172
	v_fmac_f32_e32 v175, v184, v167
	v_fma_f32 v174, v183, v167, -v174
	s_waitcnt vmcnt(31)
	v_mul_f32_e32 v183, v4, v171
	v_mul_f32_e32 v167, v5, v171
	v_fmac_f32_e32 v194, v186, v163
	v_fma_f32 v163, v185, v163, -v173
	s_waitcnt vmcnt(30) lgkmcnt(1)
	v_mul_f32_e32 v171, v6, v168
	v_mul_f32_e32 v173, v7, v168
	s_waitcnt vmcnt(29)
	v_mul_f32_e32 v184, v8, v169
	v_mul_f32_e32 v185, v9, v169
	buffer_load_dword v193, off, s[0:3], 0 offset:260
	v_fmac_f32_e32 v195, v3, v153
	v_fma_f32 v153, v2, v153, -v172
	s_waitcnt vmcnt(26)
	v_fmac_f32_e32 v183, v5, v170
	v_fma_f32 v172, v4, v170, -v167
	ds_read_b128 v[2:5], v1 offset:688
	ds_read_b128 v[167:170], v1 offset:704
	v_fmac_f32_e32 v171, v7, v166
	v_fma_f32 v166, v6, v166, -v173
	v_fmac_f32_e32 v184, v9, v164
	v_fma_f32 v164, v8, v164, -v185
	s_clause 0x4
	buffer_load_dword v173, off, s[0:3], 0 offset:268
	buffer_load_dword v185, off, s[0:3], 0 offset:288
	;; [unrolled: 1-line block ×5, first 2 shown]
	s_waitcnt vmcnt(30) lgkmcnt(2)
	v_mul_f32_e32 v198, v140, v159
	v_mul_f32_e32 v6, v141, v159
	s_waitcnt vmcnt(29)
	v_mul_f32_e32 v7, v143, v157
	v_mul_f32_e32 v159, v142, v157
	v_fmac_f32_e32 v198, v141, v149
	v_fma_f32 v140, v140, v149, -v6
	s_waitcnt vmcnt(25)
	v_fma_f32 v141, v142, v165, -v7
	ds_read_b128 v[6:9], v1 offset:720
	v_fmac_f32_e32 v159, v143, v165
	s_waitcnt vmcnt(24) lgkmcnt(2)
	v_mul_f32_e32 v142, v2, v162
	v_mul_f32_e32 v143, v3, v162
	s_waitcnt vmcnt(23)
	v_mul_f32_e32 v149, v4, v161
	v_mul_f32_e32 v157, v5, v161
	v_fmac_f32_e32 v142, v3, v154
	v_fma_f32 v143, v2, v154, -v143
	s_waitcnt vmcnt(22) lgkmcnt(1)
	v_mul_f32_e32 v154, v167, v158
	v_mul_f32_e32 v2, v168, v158
	v_fmac_f32_e32 v149, v5, v150
	v_fma_f32 v150, v4, v150, -v157
	s_waitcnt vmcnt(21)
	v_mul_f32_e32 v157, v169, v152
	v_mul_f32_e32 v3, v170, v152
	s_clause 0x1
	buffer_load_dword v152, off, s[0:3], 0 offset:276
	buffer_load_dword v158, off, s[0:3], 0 offset:284
	v_fmac_f32_e32 v154, v168, v145
	v_fma_f32 v145, v167, v145, -v2
	s_waitcnt vmcnt(19)
	v_fmac_f32_e32 v157, v170, v160
	v_fma_f32 v160, v169, v160, -v3
	ds_read_b128 v[2:5], v1 offset:736
	s_waitcnt vmcnt(18) lgkmcnt(1)
	v_mul_f32_e32 v161, v6, v156
	v_mul_f32_e32 v156, v7, v156
	s_waitcnt vmcnt(17)
	v_mul_f32_e32 v162, v8, v155
	v_mul_f32_e32 v155, v9, v155
	buffer_load_dword v170, off, s[0:3], 0 offset:300
	v_fmac_f32_e32 v161, v7, v151
	v_fma_f32 v151, v6, v151, -v156
	v_fmac_f32_e32 v162, v9, v146
	v_fma_f32 v146, v8, v146, -v155
	ds_read_b128 v[6:9], v1 offset:752
	buffer_load_dword v155, off, s[0:3], 0 offset:292
	s_waitcnt vmcnt(18) lgkmcnt(1)
	v_mul_f32_e32 v156, v2, v148
	v_mul_f32_e32 v148, v3, v148
	s_waitcnt vmcnt(17)
	v_mul_f32_e32 v165, v4, v147
	v_mul_f32_e32 v147, v5, v147
	v_fmac_f32_e32 v156, v3, v144
	v_fma_f32 v144, v2, v144, -v148
	s_waitcnt vmcnt(13)
	v_fmac_f32_e32 v165, v5, v181
	v_fma_f32 v147, v4, v181, -v147
	ds_read_b128 v[2:5], v1 offset:768
	s_waitcnt vmcnt(12) lgkmcnt(1)
	v_mul_f32_e32 v148, v6, v180
	v_mul_f32_e32 v167, v7, v180
	s_waitcnt vmcnt(11)
	v_mul_f32_e32 v168, v8, v179
	v_mul_f32_e32 v169, v9, v179
	v_fmac_f32_e32 v148, v7, v178
	v_fma_f32 v167, v6, v178, -v167
	v_fmac_f32_e32 v168, v9, v177
	v_fma_f32 v169, v8, v177, -v169
	s_clause 0x4
	buffer_load_dword v177, off, s[0:3], 0 offset:320
	buffer_load_dword v178, off, s[0:3], 0 offset:312
	;; [unrolled: 1-line block ×5, first 2 shown]
	v_add_f32_e32 v6, 0, v199
	v_add_f32_e32 v7, 0, v201
	buffer_load_dword v199, off, s[0:3], 0 offset:316
	v_add_f32_e32 v6, v6, v200
	v_add_f32_e32 v7, v7, v202
	;; [unrolled: 1-line block ×4, first 2 shown]
	s_clause 0x1
	buffer_load_dword v187, off, s[0:3], 0 offset:324
	buffer_load_dword v200, off, s[0:3], 0 offset:332
	v_add_f32_e32 v6, v6, v204
	v_add_f32_e32 v7, v7, v188
	s_clause 0x3
	buffer_load_dword v188, off, s[0:3], 0 offset:352
	buffer_load_dword v201, off, s[0:3], 0 offset:344
	buffer_load_dword v202, off, s[0:3], 0 offset:336
	buffer_load_dword v203, off, s[0:3], 0 offset:328
	v_add_f32_e32 v6, v6, v205
	v_add_f32_e32 v7, v7, v189
	;; [unrolled: 1-line block ×4, first 2 shown]
	s_clause 0x3
	buffer_load_dword v10, off, s[0:3], 0 offset:340
	buffer_load_dword v189, off, s[0:3], 0 offset:348
	;; [unrolled: 1-line block ×4, first 2 shown]
	v_add_f32_e32 v6, v6, v191
	v_add_f32_e32 v7, v7, v11
	;; [unrolled: 1-line block ×13, first 2 shown]
	s_waitcnt vmcnt(25) lgkmcnt(0)
	v_mul_f32_e32 v191, v2, v193
	v_mul_f32_e32 v8, v3, v193
	v_fmac_f32_e32 v191, v3, v176
	s_waitcnt vmcnt(24)
	v_mul_f32_e32 v11, v4, v173
	v_mul_f32_e32 v9, v5, v173
	v_fma_f32 v173, v2, v176, -v8
	s_waitcnt vmcnt(20)
	v_fmac_f32_e32 v11, v5, v197
	v_fma_f32 v12, v4, v197, -v9
	ds_read_b128 v[2:5], v1 offset:784
	s_clause 0x6
	buffer_load_dword v174, off, s[0:3], 0 offset:384
	buffer_load_dword v175, off, s[0:3], 0 offset:376
	;; [unrolled: 1-line block ×7, first 2 shown]
	ds_read_b128 v[6:9], v1 offset:800
	s_waitcnt vmcnt(26) lgkmcnt(1)
	v_mul_f32_e32 v183, v2, v152
	v_mul_f32_e32 v152, v3, v152
	s_waitcnt vmcnt(25)
	v_mul_f32_e32 v172, v4, v158
	v_mul_f32_e32 v158, v5, v158
	v_fmac_f32_e32 v183, v3, v196
	v_add_f32_e32 v3, v153, v171
	v_add_f32_e32 v153, v166, v164
	v_fma_f32 v152, v2, v196, -v152
	v_fmac_f32_e32 v172, v5, v186
	v_fma_f32 v158, v4, v186, -v158
	v_add_f32_e32 v2, v3, v184
	v_add_f32_e32 v3, v153, v140
	s_clause 0x7
	buffer_load_dword v164, off, s[0:3], 0 offset:396
	buffer_load_dword v166, off, s[0:3], 0 offset:404
	;; [unrolled: 1-line block ×8, first 2 shown]
	v_add_f32_e32 v2, v2, v198
	v_add_f32_e32 v3, v3, v141
	s_waitcnt vmcnt(31) lgkmcnt(0)
	v_mul_f32_e32 v153, v6, v155
	v_mul_f32_e32 v4, v7, v155
	s_clause 0x1
	buffer_load_dword v198, off, s[0:3], 0 offset:428
	buffer_load_dword v205, off, s[0:3], 0 offset:436
	v_add_f32_e32 v2, v2, v159
	v_add_f32_e32 v3, v3, v143
	v_fmac_f32_e32 v153, v7, v185
	v_fma_f32 v155, v6, v185, -v4
	s_clause 0x1
	buffer_load_dword v206, off, s[0:3], 0 offset:444
	buffer_load_dword v207, off, s[0:3], 0 offset:452
	v_add_f32_e32 v2, v2, v142
	v_add_f32_e32 v3, v3, v150
	s_clause 0x4
	buffer_load_dword v185, off, s[0:3], 0 offset:460
	buffer_load_dword v208, off, s[0:3], 0 offset:468
	;; [unrolled: 1-line block ×5, first 2 shown]
	v_add_f32_e32 v2, v2, v149
	v_add_f32_e32 v6, v3, v145
	v_mul_f32_e32 v3, v9, v170
	v_mul_f32_e32 v149, v8, v170
	buffer_load_dword v170, off, s[0:3], 0 offset:500
	v_add_f32_e32 v7, v2, v154
	v_add_f32_e32 v6, v6, v160
	;; [unrolled: 1-line block ×4, first 2 shown]
	s_waitcnt vmcnt(37)
	v_fma_f32 v150, v8, v180, -v3
	ds_read_b128 v[2:5], v1 offset:816
	v_fmac_f32_e32 v149, v9, v180
	v_add_f32_e32 v7, v7, v161
	s_clause 0x3
	buffer_load_dword v160, off, s[0:3], 0 offset:448
	buffer_load_dword v161, off, s[0:3], 0 offset:440
	;; [unrolled: 1-line block ×4, first 2 shown]
	v_add_f32_e32 v6, v6, v146
	v_add_f32_e32 v140, v7, v162
	v_add_f32_e32 v141, v6, v144
	ds_read_b128 v[6:9], v1 offset:832
	v_add_f32_e32 v140, v140, v156
	v_add_f32_e32 v141, v141, v147
	s_waitcnt vmcnt(40) lgkmcnt(1)
	v_mul_f32_e32 v151, v2, v181
	v_mul_f32_e32 v142, v3, v181
	s_waitcnt vmcnt(39)
	v_mul_f32_e32 v156, v4, v199
	v_fmac_f32_e32 v151, v3, v179
	v_fma_f32 v154, v2, v179, -v142
	v_add_f32_e32 v2, v140, v165
	v_add_f32_e32 v3, v141, v167
	s_clause 0x3
	buffer_load_dword v162, off, s[0:3], 0 offset:480
	buffer_load_dword v165, off, s[0:3], 0 offset:472
	;; [unrolled: 1-line block ×4, first 2 shown]
	v_mul_f32_e32 v140, v5, v199
	s_waitcnt vmcnt(42) lgkmcnt(0)
	v_mul_f32_e32 v159, v6, v187
	v_add_f32_e32 v2, v2, v148
	v_add_f32_e32 v3, v3, v169
	s_clause 0x1
	buffer_load_dword v169, off, s[0:3], 0 offset:496
	buffer_load_dword v181, off, s[0:3], 0 offset:488
	v_mul_f32_e32 v144, v7, v187
	s_waitcnt vmcnt(43)
	v_mul_f32_e32 v145, v9, v200
	v_add_f32_e32 v2, v2, v168
	buffer_load_dword v168, off, s[0:3], 0 offset:40
	v_add_f32_e32 v3, v3, v173
	v_mul_f32_e32 v173, v8, v200
	v_fmac_f32_e32 v156, v5, v178
	v_add_f32_e32 v141, v2, v191
	v_fma_f32 v157, v4, v178, -v140
	v_add_f32_e32 v12, v3, v12
	ds_read_b128 v[2:5], v1 offset:848
	v_fmac_f32_e32 v159, v7, v177
	v_add_f32_e32 v11, v141, v11
	ds_read_b128 v[140:143], v1 offset:864
	v_add_f32_e32 v12, v12, v152
	v_fma_f32 v177, v6, v177, -v144
	s_waitcnt vmcnt(40)
	v_fmac_f32_e32 v173, v9, v203
	v_add_f32_e32 v11, v11, v183
	v_add_f32_e32 v12, v12, v158
	v_fma_f32 v158, v8, v203, -v145
	ds_read_b128 v[6:9], v1 offset:880
	ds_read_b128 v[144:147], v1 offset:896
	v_add_f32_e32 v11, v11, v172
	v_add_f32_e32 v12, v12, v155
	;; [unrolled: 1-line block ×4, first 2 shown]
	s_waitcnt vmcnt(39) lgkmcnt(3)
	v_mul_f32_e32 v172, v2, v10
	v_mul_f32_e32 v10, v3, v10
	v_add_f32_e32 v11, v11, v149
	s_waitcnt vmcnt(38)
	v_mul_f32_e32 v148, v5, v189
	v_add_f32_e32 v12, v12, v154
	v_mul_f32_e32 v178, v4, v189
	v_fma_f32 v10, v2, v202, -v10
	v_add_f32_e32 v11, v11, v151
	v_fmac_f32_e32 v172, v3, v202
	v_add_f32_e32 v12, v12, v157
	s_waitcnt vmcnt(37) lgkmcnt(2)
	v_mul_f32_e32 v183, v140, v204
	v_mul_f32_e32 v152, v141, v204
	v_add_f32_e32 v11, v11, v156
	v_fma_f32 v189, v4, v201, -v148
	v_add_f32_e32 v12, v12, v177
	v_fmac_f32_e32 v178, v5, v201
	s_waitcnt vmcnt(36)
	v_mul_f32_e32 v153, v143, v190
	v_add_f32_e32 v11, v11, v159
	v_fmac_f32_e32 v183, v141, v188
	v_fma_f32 v188, v140, v188, -v152
	v_mul_f32_e32 v187, v142, v190
	ds_read_b128 v[2:5], v1 offset:912
	ds_read_b128 v[148:151], v1 offset:928
	v_add_f32_e32 v11, v11, v173
	v_add_f32_e32 v172, v11, v172
	v_add_f32_e32 v172, v172, v178
	v_add_f32_e32 v172, v172, v183
	s_waitcnt vmcnt(31) lgkmcnt(3)
	v_mul_f32_e32 v177, v6, v163
	v_mul_f32_e32 v156, v7, v163
	v_fma_f32 v190, v142, v192, -v153
	v_fmac_f32_e32 v187, v143, v192
	s_waitcnt vmcnt(30)
	v_mul_f32_e32 v157, v9, v193
	v_fmac_f32_e32 v177, v7, v176
	v_add_f32_e32 v7, v12, v158
	v_fma_f32 v12, v6, v176, -v156
	v_mul_f32_e32 v191, v8, v193
	v_add_f32_e32 v172, v172, v187
	v_fma_f32 v163, v8, v175, -v157
	v_add_f32_e32 v173, v7, v10
	s_waitcnt vmcnt(29) lgkmcnt(2)
	v_mul_f32_e32 v178, v145, v194
	v_fmac_f32_e32 v191, v9, v175
	v_mul_f32_e32 v175, v144, v194
	v_add_f32_e32 v172, v172, v177
	v_add_f32_e32 v173, v173, v189
	v_fma_f32 v144, v144, v174, -v178
	ds_read_b128 v[140:143], v1 offset:944
	ds_read_b128 v[152:155], v1 offset:960
	v_fmac_f32_e32 v175, v145, v174
	ds_read_b128 v[6:9], v1 offset:976
	ds_read_b128 v[156:159], v1 offset:992
	ds_read_b64 v[10:11], v1 offset:1008
	v_add_f32_e32 v173, v173, v188
	v_add_f32_e32 v173, v173, v190
	s_waitcnt vmcnt(28)
	v_mul_f32_e32 v176, v146, v164
	v_mul_f32_e32 v164, v147, v164
	v_add_f32_e32 v12, v173, v12
	s_waitcnt vmcnt(27) lgkmcnt(6)
	v_mul_f32_e32 v188, v2, v166
	v_mul_f32_e32 v166, v3, v166
	s_waitcnt vmcnt(26)
	v_mul_f32_e32 v183, v4, v171
	v_mul_f32_e32 v171, v5, v171
	v_add_f32_e32 v12, v12, v163
	v_add_f32_e32 v163, v172, v191
	s_waitcnt vmcnt(21)
	v_fma_f32 v146, v146, v197, -v164
	v_fmac_f32_e32 v176, v147, v197
	v_fmac_f32_e32 v188, v3, v196
	v_add_f32_e32 v12, v12, v144
	v_add_f32_e32 v144, v163, v175
	v_fma_f32 v2, v2, v196, -v166
	v_fma_f32 v4, v4, v195, -v171
	s_waitcnt lgkmcnt(5)
	v_mul_f32_e32 v145, v148, v184
	v_add_f32_e32 v3, v12, v146
	v_add_f32_e32 v12, v144, v176
	v_mul_f32_e32 v144, v149, v184
	v_fmac_f32_e32 v183, v5, v195
	s_waitcnt vmcnt(20)
	v_mul_f32_e32 v5, v151, v198
	v_add_f32_e32 v2, v3, v2
	v_add_f32_e32 v3, v12, v188
	v_fma_f32 v12, v148, v186, -v144
	v_mul_f32_e32 v174, v150, v198
	v_fmac_f32_e32 v145, v149, v186
	v_add_f32_e32 v2, v2, v4
	v_add_f32_e32 v3, v3, v183
	s_waitcnt vmcnt(19) lgkmcnt(4)
	v_mul_f32_e32 v4, v141, v205
	v_mul_f32_e32 v178, v140, v205
	s_waitcnt vmcnt(18)
	v_mul_f32_e32 v147, v142, v206
	v_add_f32_e32 v2, v2, v12
	v_add_f32_e32 v3, v3, v145
	v_mul_f32_e32 v12, v143, v206
	s_waitcnt vmcnt(17) lgkmcnt(3)
	v_mul_f32_e32 v164, v152, v207
	s_waitcnt vmcnt(16)
	v_mul_f32_e32 v173, v154, v185
	s_waitcnt vmcnt(15) lgkmcnt(2)
	v_mul_f32_e32 v177, v6, v208
	s_waitcnt vmcnt(14)
	;; [unrolled: 4-line block ×3, first 2 shown]
	v_fma_f32 v12, v142, v161, -v12
	s_waitcnt vmcnt(8)
	v_fma_f32 v4, v140, v180, -v4
	s_waitcnt vmcnt(7)
	v_fma_f32 v5, v150, v212, -v5
	v_fmac_f32_e32 v174, v151, v212
	v_fmac_f32_e32 v178, v141, v180
	;; [unrolled: 1-line block ×4, first 2 shown]
	v_add_f32_e32 v2, v2, v5
	v_add_f32_e32 v3, v3, v174
	v_mul_f32_e32 v5, v153, v207
	v_mul_f32_e32 v189, v158, v211
	s_waitcnt lgkmcnt(0)
	v_mul_f32_e32 v163, v10, v170
	v_add_f32_e32 v2, v2, v4
	v_add_f32_e32 v3, v3, v178
	v_mul_f32_e32 v4, v155, v185
	v_fma_f32 v5, v152, v160, -v5
	v_add_f32_e32 v2, v2, v12
	v_add_f32_e32 v3, v3, v147
	v_mul_f32_e32 v12, v7, v208
	v_add_f32_e32 v2, v2, v5
	v_add_f32_e32 v3, v3, v164
	v_mul_f32_e32 v5, v9, v209
	s_waitcnt vmcnt(6)
	v_fmac_f32_e32 v172, v157, v162
	s_waitcnt vmcnt(5)
	v_fmac_f32_e32 v187, v9, v165
	s_waitcnt vmcnt(4)
	v_fma_f32 v6, v6, v167, -v12
	s_waitcnt vmcnt(3)
	v_fma_f32 v4, v154, v179, -v4
	v_fmac_f32_e32 v173, v155, v179
	v_fmac_f32_e32 v177, v7, v167
	v_fma_f32 v5, v8, v165, -v5
	s_waitcnt vmcnt(2)
	v_fmac_f32_e32 v163, v11, v169
	v_add_f32_e32 v2, v2, v4
	v_add_f32_e32 v3, v3, v173
	v_mul_f32_e32 v4, v157, v210
	s_waitcnt vmcnt(1)
	v_fmac_f32_e32 v189, v159, v181
	v_add_f32_e32 v2, v2, v6
	v_add_f32_e32 v3, v3, v177
	v_mul_f32_e32 v6, v159, v211
	v_fma_f32 v4, v156, v162, -v4
	v_add_f32_e32 v2, v2, v5
	v_add_f32_e32 v3, v3, v187
	v_mul_f32_e32 v5, v11, v170
	v_fma_f32 v6, v158, v181, -v6
	v_add_f32_e32 v2, v2, v4
	v_add_f32_e32 v3, v3, v172
	v_fma_f32 v4, v10, v169, -v5
	v_add_f32_e32 v2, v2, v6
	v_add_f32_e32 v3, v3, v189
	;; [unrolled: 1-line block ×4, first 2 shown]
	s_waitcnt vmcnt(0)
	v_sub_f32_e32 v2, v168, v2
	v_sub_f32_e32 v3, v182, v3
	buffer_store_dword v2, off, s[0:3], 0 offset:40
	buffer_store_dword v3, off, s[0:3], 0 offset:44
	v_cmpx_lt_u32_e32 4, v0
	s_cbranch_execz .LBB126_383
; %bb.382:
	s_clause 0x1
	buffer_load_dword v2, off, s[0:3], 0 offset:32
	buffer_load_dword v3, off, s[0:3], 0 offset:36
	buffer_store_dword v1, off, s[0:3], 0 offset:32
	buffer_store_dword v1, off, s[0:3], 0 offset:36
	s_waitcnt vmcnt(0)
	ds_write_b64 v139, v[2:3]
.LBB126_383:
	s_or_b32 exec_lo, exec_lo, s4
	s_waitcnt lgkmcnt(0)
	s_waitcnt_vscnt null, 0x0
	s_barrier
	buffer_gl0_inv
	s_clause 0x3c
	buffer_load_dword v174, off, s[0:3], 0 offset:44
	buffer_load_dword v175, off, s[0:3], 0 offset:52
	;; [unrolled: 1-line block ×61, first 2 shown]
	ds_read2_b64 v[188:191], v1 offset0:69 offset1:70
	ds_read2_b64 v[192:195], v1 offset0:71 offset1:72
	s_mov_b32 s4, exec_lo
	s_waitcnt vmcnt(60) lgkmcnt(1)
	v_mul_f32_e32 v184, v188, v174
	v_mul_f32_e32 v199, v189, v174
	s_waitcnt vmcnt(59)
	v_mul_f32_e32 v174, v190, v175
	v_mul_f32_e32 v200, v191, v175
	buffer_load_dword v175, off, s[0:3], 0 offset:36
	s_waitcnt vmcnt(57)
	v_fmac_f32_e32 v184, v189, v6
	v_fma_f32 v199, v188, v6, -v199
	v_fmac_f32_e32 v174, v191, v5
	v_fma_f32 v200, v190, v5, -v200
	ds_read2_b64 v[188:191], v1 offset0:73 offset1:74
	s_waitcnt vmcnt(56) lgkmcnt(1)
	v_mul_f32_e32 v201, v192, v4
	v_mul_f32_e32 v4, v193, v4
	s_waitcnt vmcnt(55)
	v_mul_f32_e32 v202, v194, v3
	v_mul_f32_e32 v3, v195, v3
	v_fmac_f32_e32 v201, v193, v2
	v_fma_f32 v192, v192, v2, -v4
	s_waitcnt vmcnt(51)
	v_fmac_f32_e32 v202, v195, v141
	v_fma_f32 v141, v194, v141, -v3
	ds_read2_b64 v[2:5], v1 offset0:75 offset1:76
	s_waitcnt vmcnt(50) lgkmcnt(1)
	v_mul_f32_e32 v193, v188, v140
	v_mul_f32_e32 v6, v189, v140
	s_waitcnt vmcnt(49)
	v_mul_f32_e32 v140, v190, v12
	v_mul_f32_e32 v12, v191, v12
	v_fmac_f32_e32 v193, v189, v11
	v_fma_f32 v11, v188, v11, -v6
	v_fmac_f32_e32 v140, v191, v8
	v_fma_f32 v12, v190, v8, -v12
	ds_read2_b64 v[188:191], v1 offset0:77 offset1:78
	s_waitcnt vmcnt(48) lgkmcnt(1)
	v_mul_f32_e32 v194, v2, v10
	v_mul_f32_e32 v6, v3, v10
	s_waitcnt vmcnt(47)
	v_mul_f32_e32 v10, v4, v9
	v_mul_f32_e32 v8, v5, v9
	v_fmac_f32_e32 v194, v3, v7
	v_fma_f32 v195, v2, v7, -v6
	s_waitcnt vmcnt(43)
	v_fmac_f32_e32 v10, v5, v173
	v_fma_f32 v173, v4, v173, -v8
	ds_read2_b64 v[2:5], v1 offset0:79 offset1:80
	s_waitcnt vmcnt(42) lgkmcnt(1)
	v_mul_f32_e32 v203, v188, v172
	v_mul_f32_e32 v6, v189, v172
	s_waitcnt vmcnt(41)
	v_mul_f32_e32 v172, v190, v171
	v_mul_f32_e32 v7, v191, v171
	v_fmac_f32_e32 v203, v189, v166
	v_fma_f32 v166, v188, v166, -v6
	v_fmac_f32_e32 v172, v191, v161
	v_fma_f32 v161, v190, v161, -v7
	ds_read2_b64 v[6:9], v1 offset0:81 offset1:82
	s_waitcnt vmcnt(40) lgkmcnt(1)
	v_mul_f32_e32 v171, v2, v165
	v_mul_f32_e32 v165, v3, v165
	s_waitcnt vmcnt(39)
	v_mul_f32_e32 v188, v4, v163
	v_mul_f32_e32 v163, v5, v163
	buffer_load_dword v189, off, s[0:3], 0 offset:284
	v_fmac_f32_e32 v171, v3, v149
	v_fma_f32 v149, v2, v149, -v165
	s_waitcnt vmcnt(36)
	v_fmac_f32_e32 v188, v5, v170
	v_fma_f32 v163, v4, v170, -v163
	ds_read2_b64 v[2:5], v1 offset0:83 offset1:84
	s_waitcnt vmcnt(35) lgkmcnt(1)
	v_mul_f32_e32 v165, v6, v169
	v_mul_f32_e32 v169, v7, v169
	s_waitcnt vmcnt(34)
	v_mul_f32_e32 v170, v8, v168
	v_mul_f32_e32 v168, v9, v168
	v_fmac_f32_e32 v165, v7, v159
	v_fma_f32 v159, v6, v159, -v169
	v_fmac_f32_e32 v170, v9, v154
	v_fma_f32 v154, v8, v154, -v168
	ds_read2_b64 v[6:9], v1 offset0:85 offset1:86
	s_waitcnt vmcnt(33) lgkmcnt(1)
	v_mul_f32_e32 v168, v2, v158
	v_mul_f32_e32 v158, v3, v158
	s_waitcnt vmcnt(32)
	v_mul_f32_e32 v169, v4, v156
	v_mul_f32_e32 v156, v5, v156
	v_fmac_f32_e32 v168, v3, v144
	v_fma_f32 v144, v2, v144, -v158
	s_waitcnt vmcnt(28)
	v_fmac_f32_e32 v169, v5, v167
	v_fma_f32 v156, v4, v167, -v156
	ds_read2_b64 v[2:5], v1 offset0:87 offset1:88
	s_waitcnt vmcnt(27) lgkmcnt(1)
	v_mul_f32_e32 v158, v6, v164
	v_mul_f32_e32 v164, v7, v164
	s_waitcnt vmcnt(26)
	v_mul_f32_e32 v167, v8, v162
	v_mul_f32_e32 v162, v9, v162
	v_fmac_f32_e32 v158, v7, v153
	v_fma_f32 v153, v6, v153, -v164
	v_fmac_f32_e32 v167, v9, v150
	v_fma_f32 v150, v8, v150, -v162
	ds_read2_b64 v[6:9], v1 offset0:89 offset1:90
	s_waitcnt vmcnt(25) lgkmcnt(1)
	v_mul_f32_e32 v162, v2, v152
	v_mul_f32_e32 v152, v3, v152
	s_waitcnt vmcnt(24)
	v_mul_f32_e32 v164, v4, v151
	v_mul_f32_e32 v151, v5, v151
	;; [unrolled: 23-line block ×4, first 2 shown]
	v_fmac_f32_e32 v181, v3, v176
	v_fma_f32 v176, v2, v176, -v179
	s_waitcnt vmcnt(4)
	v_fmac_f32_e32 v182, v5, v196
	v_fma_f32 v178, v4, v196, -v178
	ds_read2_b64 v[2:5], v1 offset0:99 offset1:100
	s_waitcnt vmcnt(3) lgkmcnt(1)
	v_mul_f32_e32 v179, v6, v197
	v_mul_f32_e32 v190, v7, v197
	buffer_load_dword v197, off, s[0:3], 0 offset:292
	s_waitcnt vmcnt(3)
	v_mul_f32_e32 v191, v8, v198
	v_mul_f32_e32 v196, v9, v198
	v_fmac_f32_e32 v179, v7, v187
	v_fma_f32 v187, v6, v187, -v190
	v_fmac_f32_e32 v191, v9, v186
	v_fma_f32 v186, v8, v186, -v196
	s_clause 0x4
	buffer_load_dword v190, off, s[0:3], 0 offset:312
	buffer_load_dword v196, off, s[0:3], 0 offset:304
	;; [unrolled: 1-line block ×5, first 2 shown]
	s_waitcnt vmcnt(6) lgkmcnt(0)
	v_mul_f32_e32 v205, v2, v189
	v_mul_f32_e32 v7, v3, v189
	v_fmac_f32_e32 v205, v3, v185
	v_fma_f32 v185, v2, v185, -v7
	s_waitcnt vmcnt(5)
	v_mul_f32_e32 v189, v4, v197
	v_mul_f32_e32 v2, v5, v197
	s_waitcnt vmcnt(1)
	v_fmac_f32_e32 v189, v5, v6
	v_fma_f32 v197, v4, v6, -v2
	ds_read2_b64 v[2:5], v1 offset0:101 offset1:102
	ds_read2_b64 v[6:9], v1 offset0:103 offset1:104
	s_waitcnt vmcnt(0) lgkmcnt(1)
	v_mul_f32_e32 v206, v2, v204
	v_mul_f32_e32 v204, v3, v204
	v_fmac_f32_e32 v206, v3, v198
	v_fma_f32 v198, v2, v198, -v204
	s_clause 0x1
	buffer_load_dword v2, off, s[0:3], 0 offset:308
	buffer_load_dword v3, off, s[0:3], 0 offset:316
	s_waitcnt vmcnt(1)
	v_mul_f32_e32 v204, v4, v2
	v_mul_f32_e32 v2, v5, v2
	v_fmac_f32_e32 v204, v5, v196
	v_fma_f32 v196, v4, v196, -v2
	v_add_f32_e32 v2, 0, v199
	v_add_f32_e32 v4, 0, v184
	;; [unrolled: 1-line block ×4, first 2 shown]
	buffer_load_dword v174, off, s[0:3], 0 offset:324
	v_add_f32_e32 v2, v2, v192
	v_add_f32_e32 v4, v4, v201
	;; [unrolled: 1-line block ×3, first 2 shown]
	s_clause 0x3
	buffer_load_dword v184, off, s[0:3], 0 offset:344
	buffer_load_dword v192, off, s[0:3], 0 offset:336
	;; [unrolled: 1-line block ×4, first 2 shown]
	v_add_f32_e32 v4, v4, v202
	v_add_f32_e32 v2, v2, v11
	buffer_load_dword v11, off, s[0:3], 0 offset:332
	v_add_f32_e32 v4, v4, v193
	v_add_f32_e32 v2, v2, v12
	s_clause 0x1
	buffer_load_dword v12, off, s[0:3], 0 offset:340
	buffer_load_dword v193, off, s[0:3], 0 offset:348
	v_add_f32_e32 v4, v4, v140
	v_add_f32_e32 v2, v2, v195
	s_clause 0x1
	buffer_load_dword v195, off, s[0:3], 0 offset:356
	buffer_load_dword v200, off, s[0:3], 0 offset:364
	v_add_f32_e32 v4, v4, v194
	v_add_f32_e32 v2, v2, v173
	;; [unrolled: 1-line block ×4, first 2 shown]
	s_clause 0x3
	buffer_load_dword v10, off, s[0:3], 0 offset:376
	buffer_load_dword v166, off, s[0:3], 0 offset:368
	;; [unrolled: 1-line block ×4, first 2 shown]
	v_add_f32_e32 v4, v4, v203
	v_add_f32_e32 v2, v2, v161
	buffer_load_dword v161, off, s[0:3], 0 offset:372
	v_add_f32_e32 v4, v4, v172
	s_clause 0x1
	buffer_load_dword v172, off, s[0:3], 0 offset:380
	buffer_load_dword v201, off, s[0:3], 0 offset:388
	v_add_f32_e32 v2, v2, v149
	v_add_f32_e32 v4, v4, v171
	;; [unrolled: 1-line block ×4, first 2 shown]
	s_clause 0x3
	buffer_load_dword v163, off, s[0:3], 0 offset:408
	buffer_load_dword v171, off, s[0:3], 0 offset:400
	;; [unrolled: 1-line block ×4, first 2 shown]
	v_add_f32_e32 v2, v2, v159
	v_add_f32_e32 v4, v4, v165
	buffer_load_dword v165, off, s[0:3], 0 offset:396
	v_add_f32_e32 v2, v2, v154
	v_add_f32_e32 v4, v4, v170
	buffer_load_dword v170, off, s[0:3], 0 offset:404
	v_add_f32_e32 v2, v2, v144
	v_add_f32_e32 v4, v4, v168
	s_clause 0x2
	buffer_load_dword v168, off, s[0:3], 0 offset:412
	buffer_load_dword v203, off, s[0:3], 0 offset:420
	;; [unrolled: 1-line block ×3, first 2 shown]
	v_add_f32_e32 v2, v2, v156
	v_add_f32_e32 v4, v4, v169
	s_clause 0x2
	buffer_load_dword v169, off, s[0:3], 0 offset:436
	buffer_load_dword v208, off, s[0:3], 0 offset:444
	;; [unrolled: 1-line block ×3, first 2 shown]
	v_add_f32_e32 v2, v2, v153
	buffer_load_dword v210, off, s[0:3], 0 offset:460
	v_add_f32_e32 v4, v4, v158
	s_clause 0x2
	buffer_load_dword v211, off, s[0:3], 0 offset:468
	buffer_load_dword v212, off, s[0:3], 0 offset:476
	;; [unrolled: 1-line block ×3, first 2 shown]
	v_add_f32_e32 v2, v2, v150
	v_add_f32_e32 v4, v4, v167
	buffer_load_dword v167, off, s[0:3], 0 offset:484
	v_add_f32_e32 v2, v2, v143
	v_add_f32_e32 v4, v4, v162
	buffer_load_dword v162, off, s[0:3], 0 offset:500
	v_add_f32_e32 v2, v2, v151
	v_add_f32_e32 v4, v4, v164
	s_clause 0x3
	buffer_load_dword v164, off, s[0:3], 0 offset:440
	buffer_load_dword v214, off, s[0:3], 0 offset:432
	;; [unrolled: 1-line block ×4, first 2 shown]
	v_add_f32_e32 v2, v2, v148
	v_add_f32_e32 v4, v4, v152
	s_waitcnt vmcnt(39) lgkmcnt(0)
	v_mul_f32_e32 v152, v6, v3
	v_mul_f32_e32 v3, v7, v3
	v_add_f32_e32 v2, v2, v145
	v_add_f32_e32 v4, v4, v160
	s_clause 0x3
	buffer_load_dword v160, off, s[0:3], 0 offset:472
	buffer_load_dword v217, off, s[0:3], 0 offset:464
	;; [unrolled: 1-line block ×4, first 2 shown]
	v_fmac_f32_e32 v152, v7, v190
	v_add_f32_e32 v2, v2, v142
	v_fma_f32 v153, v6, v190, -v3
	v_add_f32_e32 v4, v4, v155
	v_add_f32_e32 v2, v2, v146
	v_add_f32_e32 v4, v4, v157
	v_add_f32_e32 v2, v2, v180
	s_clause 0x3
	buffer_load_dword v180, off, s[0:3], 0 offset:496
	buffer_load_dword v220, off, s[0:3], 0 offset:488
	;; [unrolled: 1-line block ×4, first 2 shown]
	v_add_f32_e32 v4, v4, v147
	v_add_f32_e32 v2, v2, v177
	;; [unrolled: 1-line block ×5, first 2 shown]
	ds_read2_b64 v[2:5], v1 offset0:105 offset1:106
	v_add_f32_e32 v140, v6, v178
	v_add_f32_e32 v144, v140, v187
	;; [unrolled: 1-line block ×4, first 2 shown]
	s_waitcnt vmcnt(46)
	v_mul_f32_e32 v156, v8, v174
	v_mul_f32_e32 v6, v9, v174
	s_waitcnt vmcnt(42)
	v_fmac_f32_e32 v156, v9, v141
	v_fma_f32 v157, v8, v141, -v6
	v_add_f32_e32 v141, v7, v182
	ds_read2_b64 v[6:9], v1 offset0:107 offset1:108
	s_waitcnt vmcnt(41) lgkmcnt(1)
	v_mul_f32_e32 v158, v2, v11
	v_mul_f32_e32 v11, v3, v11
	v_add_f32_e32 v145, v141, v179
	ds_read2_b64 v[140:143], v1 offset0:109 offset1:110
	s_waitcnt vmcnt(40)
	v_mul_f32_e32 v174, v4, v12
	v_fmac_f32_e32 v158, v3, v199
	v_fma_f32 v11, v2, v199, -v11
	v_add_f32_e32 v145, v145, v191
	v_add_f32_e32 v3, v148, v197
	v_mul_f32_e32 v12, v5, v12
	v_fmac_f32_e32 v174, v5, v192
	v_add_f32_e32 v2, v145, v205
	ds_read2_b64 v[144:147], v1 offset0:111 offset1:112
	v_add_f32_e32 v3, v3, v198
	v_fma_f32 v12, v4, v192, -v12
	v_add_f32_e32 v2, v2, v189
	s_waitcnt vmcnt(39) lgkmcnt(2)
	v_mul_f32_e32 v148, v7, v193
	v_mul_f32_e32 v176, v6, v193
	s_waitcnt vmcnt(38)
	v_mul_f32_e32 v154, v9, v195
	v_mul_f32_e32 v177, v8, v195
	v_add_f32_e32 v2, v2, v206
	s_waitcnt vmcnt(37) lgkmcnt(1)
	v_mul_f32_e32 v178, v140, v200
	v_fma_f32 v179, v6, v184, -v148
	v_add_f32_e32 v6, v3, v196
	v_fmac_f32_e32 v176, v7, v184
	v_add_f32_e32 v7, v2, v204
	v_mul_f32_e32 v155, v141, v200
	s_waitcnt vmcnt(34)
	v_fmac_f32_e32 v178, v141, v173
	v_add_f32_e32 v141, v6, v153
	s_waitcnt vmcnt(32)
	v_mul_f32_e32 v182, v142, v161
	v_fma_f32 v181, v8, v194, -v154
	v_fma_f32 v173, v140, v173, -v155
	v_add_f32_e32 v140, v7, v152
	v_add_f32_e32 v141, v141, v157
	v_mul_f32_e32 v157, v143, v161
	s_waitcnt vmcnt(31) lgkmcnt(0)
	v_mul_f32_e32 v161, v144, v172
	ds_read2_b64 v[2:5], v1 offset0:113 offset1:114
	ds_read2_b64 v[148:151], v1 offset0:115 offset1:116
	v_add_f32_e32 v140, v140, v156
	v_add_f32_e32 v11, v141, v11
	v_mul_f32_e32 v141, v145, v172
	s_waitcnt vmcnt(30)
	v_mul_f32_e32 v172, v147, v201
	v_fmac_f32_e32 v161, v145, v10
	v_fmac_f32_e32 v177, v9, v194
	v_add_f32_e32 v11, v11, v12
	v_fma_f32 v10, v144, v10, -v141
	v_add_f32_e32 v144, v140, v158
	s_waitcnt vmcnt(26)
	v_fma_f32 v12, v146, v202, -v172
	v_fmac_f32_e32 v182, v143, v166
	v_add_f32_e32 v11, v11, v179
	v_fma_f32 v166, v142, v166, -v157
	v_add_f32_e32 v172, v144, v174
	v_mul_f32_e32 v183, v146, v201
	ds_read2_b64 v[6:9], v1 offset0:117 offset1:118
	ds_read2_b64 v[152:155], v1 offset0:119 offset1:120
	v_add_f32_e32 v11, v11, v181
	ds_read2_b64 v[140:143], v1 offset0:121 offset1:122
	ds_read2_b64 v[156:159], v1 offset0:123 offset1:124
	v_add_f32_e32 v172, v172, v176
	v_fmac_f32_e32 v183, v147, v202
	ds_read2_b64 v[144:147], v1 offset0:125 offset1:126
	v_add_f32_e32 v11, v11, v173
	s_waitcnt vmcnt(25) lgkmcnt(6)
	v_mul_f32_e32 v1, v2, v165
	v_add_f32_e32 v172, v172, v177
	v_mul_f32_e32 v165, v3, v165
	s_waitcnt vmcnt(24)
	v_mul_f32_e32 v174, v4, v170
	v_add_f32_e32 v11, v11, v166
	v_mul_f32_e32 v170, v5, v170
	v_add_f32_e32 v172, v172, v178
	v_fma_f32 v2, v2, v188, -v165
	v_fmac_f32_e32 v1, v3, v188
	v_add_f32_e32 v10, v11, v10
	v_fma_f32 v4, v4, v171, -v170
	v_add_f32_e32 v172, v172, v182
	s_waitcnt vmcnt(23) lgkmcnt(5)
	v_mul_f32_e32 v176, v148, v168
	v_fmac_f32_e32 v174, v5, v171
	v_add_f32_e32 v10, v10, v12
	s_waitcnt vmcnt(22)
	v_mul_f32_e32 v5, v151, v203
	v_add_f32_e32 v161, v172, v161
	v_mul_f32_e32 v177, v150, v203
	v_fmac_f32_e32 v176, v149, v163
	v_add_f32_e32 v2, v10, v2
	s_waitcnt vmcnt(8)
	v_fma_f32 v5, v150, v216, -v5
	v_add_f32_e32 v12, v161, v183
	v_mul_f32_e32 v161, v149, v168
	s_waitcnt lgkmcnt(4)
	v_mul_f32_e32 v179, v6, v207
	v_add_f32_e32 v2, v2, v4
	v_mul_f32_e32 v4, v7, v207
	v_add_f32_e32 v1, v12, v1
	v_fma_f32 v10, v148, v163, -v161
	v_fmac_f32_e32 v177, v151, v216
	v_mul_f32_e32 v173, v8, v169
	v_fma_f32 v4, v6, v215, -v4
	v_add_f32_e32 v1, v1, v174
	v_add_f32_e32 v2, v2, v10
	v_mul_f32_e32 v10, v9, v169
	v_fmac_f32_e32 v179, v7, v215
	s_waitcnt lgkmcnt(3)
	v_mul_f32_e32 v178, v152, v208
	v_add_f32_e32 v1, v1, v176
	v_add_f32_e32 v2, v2, v5
	v_mul_f32_e32 v5, v153, v208
	v_fma_f32 v6, v8, v214, -v10
	v_fmac_f32_e32 v173, v9, v214
	v_add_f32_e32 v1, v1, v177
	v_add_f32_e32 v2, v2, v4
	v_mul_f32_e32 v4, v155, v209
	v_fma_f32 v5, v152, v164, -v5
	v_mul_f32_e32 v181, v154, v209
	v_add_f32_e32 v1, v1, v179
	v_add_f32_e32 v2, v2, v6
	v_fmac_f32_e32 v178, v153, v164
	s_waitcnt lgkmcnt(2)
	v_mul_f32_e32 v6, v141, v210
	s_waitcnt vmcnt(4)
	v_fma_f32 v4, v154, v219, -v4
	v_add_f32_e32 v1, v1, v173
	v_add_f32_e32 v2, v2, v5
	v_mul_f32_e32 v166, v140, v210
	v_fmac_f32_e32 v181, v155, v219
	v_mul_f32_e32 v5, v143, v211
	v_add_f32_e32 v1, v1, v178
	v_fma_f32 v6, v140, v218, -v6
	v_add_f32_e32 v2, v2, v4
	v_mul_f32_e32 v182, v142, v211
	v_fmac_f32_e32 v166, v141, v218
	v_add_f32_e32 v1, v1, v181
	s_waitcnt lgkmcnt(1)
	v_mul_f32_e32 v4, v157, v212
	v_fma_f32 v5, v142, v217, -v5
	v_add_f32_e32 v2, v2, v6
	v_mul_f32_e32 v184, v156, v212
	v_fmac_f32_e32 v182, v143, v217
	v_add_f32_e32 v1, v1, v166
	v_mul_f32_e32 v6, v159, v167
	v_fma_f32 v4, v156, v160, -v4
	v_add_f32_e32 v2, v2, v5
	v_mul_f32_e32 v11, v158, v167
	v_fmac_f32_e32 v184, v157, v160
	v_add_f32_e32 v1, v1, v182
	s_waitcnt lgkmcnt(0)
	v_mul_f32_e32 v5, v145, v213
	s_waitcnt vmcnt(1)
	v_fma_f32 v6, v158, v221, -v6
	v_add_f32_e32 v2, v2, v4
	v_mul_f32_e32 v172, v144, v213
	v_fmac_f32_e32 v11, v159, v221
	v_add_f32_e32 v1, v1, v184
	v_mul_f32_e32 v4, v147, v162
	v_fma_f32 v5, v144, v220, -v5
	v_add_f32_e32 v2, v2, v6
	v_mul_f32_e32 v3, v146, v162
	v_fmac_f32_e32 v172, v145, v220
	v_add_f32_e32 v1, v1, v11
	v_fma_f32 v4, v146, v180, -v4
	v_add_f32_e32 v2, v2, v5
	v_fmac_f32_e32 v3, v147, v180
	v_add_f32_e32 v1, v1, v172
	v_add_f32_e32 v2, v2, v4
	v_add_f32_e32 v1, v1, v3
	s_waitcnt vmcnt(0)
	v_sub_f32_e32 v2, v222, v2
	v_sub_f32_e32 v1, v175, v1
	buffer_store_dword v2, off, s[0:3], 0 offset:32
	buffer_store_dword v1, off, s[0:3], 0 offset:36
	v_cmpx_lt_u32_e32 3, v0
	s_cbranch_execz .LBB126_385
; %bb.384:
	s_clause 0x1
	buffer_load_dword v1, off, s[0:3], 0 offset:24
	buffer_load_dword v2, off, s[0:3], 0 offset:28
	v_mov_b32_e32 v3, 0
	buffer_store_dword v3, off, s[0:3], 0 offset:24
	buffer_store_dword v3, off, s[0:3], 0 offset:28
	s_waitcnt vmcnt(0)
	ds_write_b64 v139, v[1:2]
.LBB126_385:
	s_or_b32 exec_lo, exec_lo, s4
	s_waitcnt lgkmcnt(0)
	s_waitcnt_vscnt null, 0x0
	s_barrier
	buffer_gl0_inv
	s_clause 0x34
	buffer_load_dword v11, off, s[0:3], 0 offset:36
	buffer_load_dword v10, off, s[0:3], 0 offset:44
	;; [unrolled: 1-line block ×53, first 2 shown]
	v_mov_b32_e32 v9, 0
	ds_read_b128 v[193:196], v9 offset:544
	ds_read_b128 v[5:8], v9 offset:560
	;; [unrolled: 1-line block ×3, first 2 shown]
	s_clause 0x2
	buffer_load_dword v186, off, s[0:3], 0 offset:244
	buffer_load_dword v185, off, s[0:3], 0 offset:252
	;; [unrolled: 1-line block ×3, first 2 shown]
	ds_read_b128 v[197:200], v9 offset:592
	s_mov_b32 s4, exec_lo
	s_waitcnt vmcnt(55) lgkmcnt(3)
	v_mul_f32_e32 v201, v193, v11
	v_mul_f32_e32 v11, v194, v11
	s_waitcnt vmcnt(54)
	v_mul_f32_e32 v202, v195, v10
	v_mul_f32_e32 v10, v196, v10
	s_waitcnt vmcnt(51)
	v_fmac_f32_e32 v201, v194, v143
	v_fma_f32 v11, v193, v143, -v11
	v_fmac_f32_e32 v202, v196, v140
	v_fma_f32 v10, v195, v140, -v10
	ds_read_b128 v[193:196], v9 offset:608
	s_waitcnt vmcnt(50) lgkmcnt(3)
	v_mul_f32_e32 v203, v5, v142
	v_mul_f32_e32 v142, v6, v142
	s_waitcnt vmcnt(49)
	v_mul_f32_e32 v204, v7, v141
	v_mul_f32_e32 v140, v8, v141
	s_waitcnt vmcnt(48) lgkmcnt(2)
	v_mul_f32_e32 v205, v1, v144
	v_fmac_f32_e32 v203, v6, v12
	v_fma_f32 v12, v5, v12, -v142
	v_mul_f32_e32 v141, v2, v144
	s_waitcnt vmcnt(44)
	v_fmac_f32_e32 v204, v8, v152
	v_fma_f32 v152, v7, v152, -v140
	ds_read_b128 v[5:8], v9 offset:624
	s_waitcnt vmcnt(43)
	v_mul_f32_e32 v206, v3, v151
	v_mul_f32_e32 v140, v4, v151
	v_fmac_f32_e32 v205, v2, v149
	v_fma_f32 v149, v1, v149, -v141
	s_waitcnt vmcnt(42) lgkmcnt(2)
	v_mul_f32_e32 v151, v197, v150
	v_mul_f32_e32 v141, v198, v150
	v_fmac_f32_e32 v206, v4, v147
	v_fma_f32 v150, v3, v147, -v140
	ds_read_b128 v[1:4], v9 offset:640
	s_waitcnt vmcnt(41)
	v_mul_f32_e32 v207, v199, v148
	v_mul_f32_e32 v140, v200, v148
	v_fmac_f32_e32 v151, v198, v145
	v_fma_f32 v148, v197, v145, -v141
	s_waitcnt vmcnt(40) lgkmcnt(2)
	v_mul_f32_e32 v197, v193, v146
	v_mul_f32_e32 v144, v194, v146
	s_waitcnt vmcnt(36)
	v_fmac_f32_e32 v207, v200, v181
	v_fma_f32 v181, v199, v181, -v140
	ds_read_b128 v[140:143], v9 offset:656
	s_waitcnt vmcnt(35)
	v_mul_f32_e32 v198, v195, v180
	v_mul_f32_e32 v145, v196, v180
	v_fmac_f32_e32 v197, v194, v174
	v_fma_f32 v174, v193, v174, -v144
	s_waitcnt vmcnt(34) lgkmcnt(2)
	v_mul_f32_e32 v180, v5, v175
	v_fmac_f32_e32 v198, v196, v166
	v_fma_f32 v166, v195, v166, -v145
	ds_read_b128 v[144:147], v9 offset:672
	v_mul_f32_e32 v175, v6, v175
	s_waitcnt vmcnt(33)
	v_mul_f32_e32 v193, v7, v169
	v_mul_f32_e32 v169, v8, v169
	v_fmac_f32_e32 v180, v6, v158
	v_fma_f32 v158, v5, v158, -v175
	s_waitcnt vmcnt(32) lgkmcnt(2)
	v_mul_f32_e32 v175, v1, v177
	v_mul_f32_e32 v177, v2, v177
	s_waitcnt vmcnt(28)
	v_fmac_f32_e32 v193, v8, v183
	v_fma_f32 v169, v7, v183, -v169
	s_waitcnt vmcnt(27)
	v_mul_f32_e32 v183, v3, v182
	v_mul_f32_e32 v182, v4, v182
	ds_read_b128 v[5:8], v9 offset:688
	v_fmac_f32_e32 v175, v2, v176
	v_fma_f32 v176, v1, v176, -v177
	s_waitcnt vmcnt(26) lgkmcnt(2)
	v_mul_f32_e32 v177, v140, v178
	v_mul_f32_e32 v178, v141, v178
	v_fmac_f32_e32 v183, v4, v170
	v_fma_f32 v170, v3, v170, -v182
	s_waitcnt vmcnt(25)
	v_mul_f32_e32 v182, v142, v173
	v_mul_f32_e32 v173, v143, v173
	ds_read_b128 v[1:4], v9 offset:704
	v_fmac_f32_e32 v177, v141, v162
	v_fma_f32 v162, v140, v162, -v178
	s_waitcnt vmcnt(24) lgkmcnt(2)
	v_mul_f32_e32 v178, v144, v171
	v_mul_f32_e32 v140, v145, v171
	s_waitcnt vmcnt(20)
	v_fmac_f32_e32 v182, v143, v179
	v_fma_f32 v171, v142, v179, -v173
	s_clause 0x3
	buffer_load_dword v173, off, s[0:3], 0 offset:272
	buffer_load_dword v179, off, s[0:3], 0 offset:264
	buffer_load_dword v194, off, s[0:3], 0 offset:256
	buffer_load_dword v195, off, s[0:3], 0 offset:248
	v_fmac_f32_e32 v178, v145, v165
	v_fma_f32 v144, v144, v165, -v140
	s_waitcnt vmcnt(23)
	v_mul_f32_e32 v196, v146, v172
	s_waitcnt vmcnt(22) lgkmcnt(1)
	v_mul_f32_e32 v145, v5, v167
	v_mul_f32_e32 v165, v6, v167
	v_mul_f32_e32 v141, v147, v172
	buffer_load_dword v172, off, s[0:3], 0 offset:284
	v_fmac_f32_e32 v196, v147, v159
	v_fmac_f32_e32 v145, v6, v154
	v_fma_f32 v154, v5, v154, -v165
	v_fma_f32 v146, v146, v159, -v141
	ds_read_b128 v[140:143], v9 offset:720
	s_waitcnt vmcnt(16) lgkmcnt(1)
	v_mul_f32_e32 v165, v3, v164
	v_mul_f32_e32 v164, v4, v164
	v_mul_f32_e32 v147, v7, v163
	v_mul_f32_e32 v159, v8, v163
	v_mul_f32_e32 v163, v1, v161
	v_mul_f32_e32 v5, v2, v161
	buffer_load_dword v161, off, s[0:3], 0 offset:260
	v_fmac_f32_e32 v165, v4, v155
	v_fma_f32 v155, v3, v155, -v164
	buffer_load_dword v164, off, s[0:3], 0 offset:268
	v_fmac_f32_e32 v147, v8, v168
	v_fma_f32 v159, v7, v168, -v159
	v_fmac_f32_e32 v163, v2, v160
	v_fma_f32 v160, v1, v160, -v5
	ds_read_b128 v[5:8], v9 offset:736
	s_waitcnt vmcnt(17) lgkmcnt(1)
	v_mul_f32_e32 v167, v140, v157
	v_mul_f32_e32 v1, v141, v157
	s_waitcnt vmcnt(16)
	v_mul_f32_e32 v157, v142, v156
	v_mul_f32_e32 v2, v143, v156
	buffer_load_dword v156, off, s[0:3], 0 offset:276
	v_fmac_f32_e32 v167, v141, v153
	v_fma_f32 v140, v140, v153, -v1
	s_waitcnt vmcnt(13)
	v_fmac_f32_e32 v157, v143, v191
	v_fma_f32 v141, v142, v191, -v2
	ds_read_b128 v[1:4], v9 offset:752
	s_waitcnt vmcnt(12) lgkmcnt(1)
	v_mul_f32_e32 v142, v5, v190
	v_mul_f32_e32 v143, v6, v190
	s_waitcnt vmcnt(11)
	v_mul_f32_e32 v153, v7, v189
	v_mul_f32_e32 v168, v8, v189
	v_fmac_f32_e32 v142, v6, v188
	v_fma_f32 v143, v5, v188, -v143
	v_fmac_f32_e32 v153, v8, v187
	v_fma_f32 v168, v7, v187, -v168
	s_clause 0x5
	buffer_load_dword v187, off, s[0:3], 0 offset:304
	buffer_load_dword v188, off, s[0:3], 0 offset:296
	;; [unrolled: 1-line block ×6, first 2 shown]
	v_add_f32_e32 v5, 0, v11
	v_add_f32_e32 v6, 0, v201
	buffer_load_dword v11, off, s[0:3], 0 offset:316
	s_waitcnt vmcnt(17) lgkmcnt(0)
	v_mul_f32_e32 v7, v2, v186
	v_add_f32_e32 v5, v5, v10
	buffer_load_dword v10, off, s[0:3], 0 offset:308
	v_add_f32_e32 v6, v6, v202
	s_waitcnt vmcnt(17)
	v_mul_f32_e32 v8, v4, v185
	v_add_f32_e32 v5, v5, v12
	v_mul_f32_e32 v12, v1, v186
	v_add_f32_e32 v6, v6, v203
	;; [unrolled: 2-line block ×3, first 2 shown]
	v_fmac_f32_e32 v12, v2, v184
	v_fma_f32 v152, v1, v184, -v7
	v_add_f32_e32 v6, v6, v204
	v_add_f32_e32 v5, v5, v149
	s_clause 0x3
	buffer_load_dword v149, off, s[0:3], 0 offset:336
	buffer_load_dword v184, off, s[0:3], 0 offset:328
	;; [unrolled: 1-line block ×4, first 2 shown]
	v_add_f32_e32 v6, v6, v205
	v_add_f32_e32 v5, v5, v150
	buffer_load_dword v150, off, s[0:3], 0 offset:324
	v_add_f32_e32 v6, v6, v206
	v_add_f32_e32 v5, v5, v148
	;; [unrolled: 1-line block ×8, first 2 shown]
	s_waitcnt vmcnt(17)
	v_fmac_f32_e32 v186, v4, v195
	v_fma_f32 v195, v3, v195, -v8
	ds_read_b128 v[1:4], v9 offset:768
	s_clause 0x2
	buffer_load_dword v151, off, s[0:3], 0 offset:332
	buffer_load_dword v181, off, s[0:3], 0 offset:340
	;; [unrolled: 1-line block ×3, first 2 shown]
	ds_read_b128 v[5:8], v9 offset:784
	buffer_load_dword v166, off, s[0:3], 0 offset:356
	s_waitcnt vmcnt(19) lgkmcnt(1)
	v_mul_f32_e32 v174, v1, v161
	v_mul_f32_e32 v161, v2, v161
	s_waitcnt vmcnt(18)
	v_mul_f32_e32 v202, v3, v164
	v_mul_f32_e32 v164, v4, v164
	v_fmac_f32_e32 v174, v2, v194
	v_fma_f32 v161, v1, v194, -v161
	v_add_f32_e32 v1, v197, v198
	v_fmac_f32_e32 v202, v4, v179
	v_fma_f32 v164, v3, v179, -v164
	v_add_f32_e32 v2, v148, v158
	s_clause 0x3
	buffer_load_dword v158, off, s[0:3], 0 offset:368
	buffer_load_dword v179, off, s[0:3], 0 offset:360
	;; [unrolled: 1-line block ×4, first 2 shown]
	v_add_f32_e32 v1, v1, v180
	v_add_f32_e32 v148, v2, v169
	s_clause 0x2
	buffer_load_dword v169, off, s[0:3], 0 offset:364
	buffer_load_dword v180, off, s[0:3], 0 offset:372
	;; [unrolled: 1-line block ×3, first 2 shown]
	v_add_f32_e32 v193, v1, v193
	ds_read_b128 v[1:4], v9 offset:800
	v_add_f32_e32 v148, v148, v176
	s_waitcnt vmcnt(24) lgkmcnt(1)
	v_mul_f32_e32 v176, v5, v156
	v_mul_f32_e32 v156, v6, v156
	v_add_f32_e32 v175, v193, v175
	v_mul_f32_e32 v193, v7, v172
	v_mul_f32_e32 v172, v8, v172
	v_fmac_f32_e32 v176, v6, v173
	v_add_f32_e32 v6, v148, v170
	v_fma_f32 v148, v5, v173, -v156
	v_add_f32_e32 v5, v175, v183
	v_add_f32_e32 v162, v6, v162
	s_waitcnt vmcnt(20)
	v_fmac_f32_e32 v193, v8, v190
	v_add_f32_e32 v177, v5, v177
	v_fma_f32 v156, v7, v190, -v172
	s_clause 0x4
	buffer_load_dword v170, off, s[0:3], 0 offset:400
	buffer_load_dword v172, off, s[0:3], 0 offset:392
	;; [unrolled: 1-line block ×5, first 2 shown]
	v_add_f32_e32 v162, v162, v171
	s_waitcnt vmcnt(24) lgkmcnt(0)
	v_mul_f32_e32 v171, v2, v191
	v_add_f32_e32 v177, v177, v182
	v_mul_f32_e32 v190, v1, v191
	ds_read_b128 v[5:8], v9 offset:816
	v_add_f32_e32 v144, v162, v144
	v_fma_f32 v171, v1, v189, -v171
	v_add_f32_e32 v1, v177, v178
	v_fmac_f32_e32 v190, v2, v189
	s_clause 0x1
	buffer_load_dword v182, off, s[0:3], 0 offset:396
	buffer_load_dword v191, off, s[0:3], 0 offset:404
	v_add_f32_e32 v2, v144, v146
	buffer_load_dword v162, off, s[0:3], 0 offset:412
	v_add_f32_e32 v1, v1, v196
	s_waitcnt vmcnt(26)
	v_mul_f32_e32 v189, v3, v199
	v_mul_f32_e32 v144, v4, v199
	v_add_f32_e32 v2, v2, v154
	s_clause 0x1
	buffer_load_dword v177, off, s[0:3], 0 offset:420
	buffer_load_dword v178, off, s[0:3], 0 offset:428
	v_add_f32_e32 v1, v1, v145
	buffer_load_dword v196, off, s[0:3], 0 offset:436
	v_fmac_f32_e32 v189, v4, v188
	v_add_f32_e32 v2, v2, v159
	v_fma_f32 v154, v3, v188, -v144
	v_add_f32_e32 v1, v1, v147
	s_clause 0x4
	buffer_load_dword v188, off, s[0:3], 0 offset:444
	buffer_load_dword v199, off, s[0:3], 0 offset:452
	;; [unrolled: 1-line block ×5, first 2 shown]
	v_add_f32_e32 v2, v2, v160
	s_clause 0x2
	buffer_load_dword v160, off, s[0:3], 0 offset:484
	buffer_load_dword v206, off, s[0:3], 0 offset:492
	;; [unrolled: 1-line block ×3, first 2 shown]
	v_add_f32_e32 v1, v1, v163
	s_clause 0x3
	buffer_load_dword v163, off, s[0:3], 0 offset:432
	buffer_load_dword v208, off, s[0:3], 0 offset:424
	;; [unrolled: 1-line block ×4, first 2 shown]
	s_waitcnt vmcnt(39) lgkmcnt(0)
	v_mul_f32_e32 v3, v6, v10
	v_add_f32_e32 v2, v2, v155
	v_add_f32_e32 v1, v1, v165
	;; [unrolled: 1-line block ×4, first 2 shown]
	s_clause 0x3
	buffer_load_dword v165, off, s[0:3], 0 offset:464
	buffer_load_dword v167, off, s[0:3], 0 offset:456
	;; [unrolled: 1-line block ×4, first 2 shown]
	v_add_f32_e32 v2, v2, v141
	v_add_f32_e32 v1, v1, v157
	;; [unrolled: 1-line block ×5, first 2 shown]
	s_clause 0x4
	buffer_load_dword v168, off, s[0:3], 0 offset:496
	buffer_load_dword v213, off, s[0:3], 0 offset:488
	;; [unrolled: 1-line block ×5, first 2 shown]
	v_add_f32_e32 v1, v1, v153
	v_mul_f32_e32 v153, v7, v11
	v_add_f32_e32 v2, v2, v152
	v_mul_f32_e32 v152, v5, v10
	v_fma_f32 v10, v5, v187, -v3
	v_add_f32_e32 v1, v1, v12
	s_waitcnt vmcnt(44)
	v_fmac_f32_e32 v153, v8, v200
	v_add_f32_e32 v5, v2, v195
	v_fmac_f32_e32 v152, v6, v187
	v_add_f32_e32 v6, v1, v186
	ds_read_b128 v[1:4], v9 offset:832
	v_add_f32_e32 v12, v5, v161
	v_mul_f32_e32 v5, v8, v11
	v_add_f32_e32 v140, v6, v174
	v_add_f32_e32 v12, v12, v164
	v_fma_f32 v11, v7, v200, -v5
	ds_read_b128 v[5:8], v9 offset:848
	v_add_f32_e32 v144, v140, v202
	ds_read_b128 v[140:143], v9 offset:864
	v_add_f32_e32 v12, v12, v148
	v_add_f32_e32 v144, v144, v176
	;; [unrolled: 1-line block ×3, first 2 shown]
	s_waitcnt vmcnt(43) lgkmcnt(2)
	v_mul_f32_e32 v145, v2, v150
	v_mul_f32_e32 v157, v1, v150
	v_fma_f32 v156, v1, v185, -v145
	v_add_f32_e32 v1, v144, v193
	v_fmac_f32_e32 v157, v2, v185
	v_add_f32_e32 v2, v12, v171
	ds_read_b128 v[144:147], v9 offset:880
	v_add_f32_e32 v1, v1, v190
	v_add_f32_e32 v2, v2, v154
	;; [unrolled: 1-line block ×3, first 2 shown]
	s_waitcnt vmcnt(42)
	v_mul_f32_e32 v148, v4, v151
	s_waitcnt vmcnt(41) lgkmcnt(2)
	v_mul_f32_e32 v150, v6, v181
	v_mul_f32_e32 v161, v5, v181
	;; [unrolled: 1-line block ×3, first 2 shown]
	s_waitcnt vmcnt(40)
	v_mul_f32_e32 v154, v8, v201
	v_fma_f32 v159, v3, v184, -v148
	v_fma_f32 v174, v5, v149, -v150
	v_add_f32_e32 v5, v2, v10
	v_fmac_f32_e32 v161, v6, v149
	v_add_f32_e32 v6, v1, v152
	s_waitcnt vmcnt(39) lgkmcnt(1)
	v_mul_f32_e32 v10, v141, v166
	v_fmac_f32_e32 v12, v4, v184
	v_add_f32_e32 v11, v5, v11
	v_mul_f32_e32 v164, v7, v201
	v_mul_f32_e32 v171, v140, v166
	ds_read_b128 v[1:4], v9 offset:896
	ds_read_b128 v[148:151], v9 offset:912
	v_add_f32_e32 v11, v11, v156
	v_add_f32_e32 v11, v11, v159
	s_waitcnt vmcnt(36)
	v_fma_f32 v176, v140, v194, -v10
	v_add_f32_e32 v10, v6, v153
	s_waitcnt vmcnt(35)
	v_fma_f32 v166, v7, v197, -v154
	v_fmac_f32_e32 v164, v8, v197
	s_waitcnt vmcnt(34)
	v_mul_f32_e32 v181, v142, v169
	v_mul_f32_e32 v140, v143, v169
	v_add_f32_e32 v10, v10, v157
	v_fmac_f32_e32 v171, v141, v194
	s_waitcnt vmcnt(33) lgkmcnt(2)
	v_mul_f32_e32 v141, v145, v180
	v_fmac_f32_e32 v181, v143, v179
	v_fma_f32 v179, v142, v179, -v140
	v_add_f32_e32 v10, v10, v12
	v_add_f32_e32 v12, v11, v174
	v_mul_f32_e32 v169, v144, v180
	s_waitcnt vmcnt(32)
	v_mul_f32_e32 v184, v146, v198
	v_mul_f32_e32 v180, v147, v198
	v_add_f32_e32 v161, v10, v161
	v_add_f32_e32 v12, v12, v166
	v_fma_f32 v185, v144, v158, -v141
	v_fmac_f32_e32 v169, v145, v158
	ds_read_b128 v[5:8], v9 offset:928
	ds_read_b128 v[152:155], v9 offset:944
	v_add_f32_e32 v161, v161, v164
	v_add_f32_e32 v12, v12, v176
	ds_read_b128 v[140:143], v9 offset:960
	ds_read_b128 v[156:159], v9 offset:976
	s_waitcnt vmcnt(28)
	v_fmac_f32_e32 v184, v147, v175
	v_add_f32_e32 v161, v161, v171
	v_add_f32_e32 v12, v12, v179
	v_fma_f32 v174, v146, v175, -v180
	s_waitcnt vmcnt(27) lgkmcnt(5)
	v_mul_f32_e32 v175, v2, v183
	v_mul_f32_e32 v166, v1, v183
	v_add_f32_e32 v161, v161, v181
	v_add_f32_e32 v12, v12, v185
	ds_read_b128 v[144:147], v9 offset:992
	ds_read_b64 v[10:11], v9 offset:1008
	v_fma_f32 v1, v1, v173, -v175
	s_waitcnt vmcnt(26)
	v_mul_f32_e32 v180, v4, v182
	v_add_f32_e32 v161, v161, v169
	v_add_f32_e32 v12, v12, v174
	v_mul_f32_e32 v164, v3, v182
	v_fmac_f32_e32 v166, v2, v173
	s_waitcnt vmcnt(25) lgkmcnt(6)
	v_mul_f32_e32 v179, v149, v191
	v_add_f32_e32 v161, v161, v184
	v_fma_f32 v3, v3, v172, -v180
	v_add_f32_e32 v1, v12, v1
	v_mul_f32_e32 v176, v148, v191
	v_fmac_f32_e32 v164, v4, v172
	v_add_f32_e32 v12, v161, v166
	s_waitcnt vmcnt(24)
	v_mul_f32_e32 v171, v150, v162
	v_mul_f32_e32 v162, v151, v162
	v_fma_f32 v148, v148, v170, -v179
	v_add_f32_e32 v1, v1, v3
	v_fmac_f32_e32 v176, v149, v170
	v_add_f32_e32 v3, v12, v164
	s_waitcnt vmcnt(23) lgkmcnt(5)
	v_mul_f32_e32 v12, v6, v177
	v_mul_f32_e32 v2, v5, v177
	s_waitcnt vmcnt(9)
	v_fma_f32 v149, v150, v210, -v162
	v_add_f32_e32 v1, v1, v148
	v_fmac_f32_e32 v171, v151, v210
	v_add_f32_e32 v3, v3, v176
	v_mul_f32_e32 v148, v8, v178
	v_fma_f32 v5, v5, v209, -v12
	v_add_f32_e32 v1, v1, v149
	v_mul_f32_e32 v173, v7, v178
	v_fmac_f32_e32 v2, v6, v209
	v_add_f32_e32 v3, v3, v171
	s_waitcnt lgkmcnt(4)
	v_mul_f32_e32 v6, v153, v196
	v_fma_f32 v7, v7, v208, -v148
	v_add_f32_e32 v1, v1, v5
	v_mul_f32_e32 v175, v152, v196
	v_fmac_f32_e32 v173, v8, v208
	v_add_f32_e32 v2, v3, v2
	v_mul_f32_e32 v3, v155, v188
	v_fma_f32 v5, v152, v163, -v6
	v_add_f32_e32 v1, v1, v7
	v_mul_f32_e32 v4, v154, v188
	v_fmac_f32_e32 v175, v153, v163
	v_add_f32_e32 v2, v2, v173
	s_waitcnt lgkmcnt(3)
	v_mul_f32_e32 v6, v141, v199
	s_waitcnt vmcnt(5)
	v_fma_f32 v3, v154, v212, -v3
	v_add_f32_e32 v1, v1, v5
	v_mul_f32_e32 v172, v140, v199
	v_fmac_f32_e32 v4, v155, v212
	v_add_f32_e32 v2, v2, v175
	v_mul_f32_e32 v5, v143, v203
	v_fma_f32 v6, v140, v211, -v6
	v_add_f32_e32 v1, v1, v3
	v_mul_f32_e32 v169, v142, v203
	v_fmac_f32_e32 v172, v141, v211
	v_add_f32_e32 v2, v2, v4
	s_waitcnt lgkmcnt(2)
	v_mul_f32_e32 v3, v157, v204
	v_fma_f32 v4, v142, v167, -v5
	v_add_f32_e32 v1, v1, v6
	v_mul_f32_e32 v180, v156, v204
	v_fmac_f32_e32 v169, v143, v167
	v_add_f32_e32 v2, v2, v172
	v_mul_f32_e32 v5, v159, v205
	v_fma_f32 v3, v156, v165, -v3
	v_add_f32_e32 v1, v1, v4
	v_mul_f32_e32 v181, v158, v205
	v_fmac_f32_e32 v180, v157, v165
	v_add_f32_e32 v2, v2, v169
	s_waitcnt lgkmcnt(1)
	v_mul_f32_e32 v4, v145, v160
	s_waitcnt vmcnt(1)
	v_fma_f32 v5, v158, v215, -v5
	v_add_f32_e32 v1, v1, v3
	v_mul_f32_e32 v174, v144, v160
	v_fmac_f32_e32 v181, v159, v215
	v_add_f32_e32 v2, v2, v180
	v_mul_f32_e32 v3, v147, v206
	v_fma_f32 v4, v144, v214, -v4
	v_add_f32_e32 v1, v1, v5
	v_mul_f32_e32 v182, v146, v206
	v_fmac_f32_e32 v174, v145, v214
	v_add_f32_e32 v2, v2, v181
	s_waitcnt lgkmcnt(0)
	v_mul_f32_e32 v5, v11, v207
	v_fma_f32 v3, v146, v213, -v3
	v_add_f32_e32 v1, v1, v4
	v_mul_f32_e32 v161, v10, v207
	v_fmac_f32_e32 v182, v147, v213
	v_add_f32_e32 v2, v2, v174
	v_fma_f32 v4, v10, v168, -v5
	v_add_f32_e32 v1, v1, v3
	v_fmac_f32_e32 v161, v11, v168
	v_add_f32_e32 v2, v2, v182
	v_add_f32_e32 v1, v1, v4
	;; [unrolled: 1-line block ×3, first 2 shown]
	s_waitcnt vmcnt(0)
	v_sub_f32_e32 v1, v216, v1
	v_sub_f32_e32 v2, v192, v2
	buffer_store_dword v1, off, s[0:3], 0 offset:24
	buffer_store_dword v2, off, s[0:3], 0 offset:28
	v_cmpx_lt_u32_e32 2, v0
	s_cbranch_execz .LBB126_387
; %bb.386:
	s_clause 0x1
	buffer_load_dword v1, off, s[0:3], 0 offset:16
	buffer_load_dword v2, off, s[0:3], 0 offset:20
	buffer_store_dword v9, off, s[0:3], 0 offset:16
	buffer_store_dword v9, off, s[0:3], 0 offset:20
	s_waitcnt vmcnt(0)
	ds_write_b64 v139, v[1:2]
.LBB126_387:
	s_or_b32 exec_lo, exec_lo, s4
	s_waitcnt lgkmcnt(0)
	s_waitcnt_vscnt null, 0x0
	s_barrier
	buffer_gl0_inv
	s_clause 0x3c
	buffer_load_dword v174, off, s[0:3], 0 offset:28
	buffer_load_dword v175, off, s[0:3], 0 offset:36
	;; [unrolled: 1-line block ×61, first 2 shown]
	ds_read2_b64 v[191:194], v9 offset0:67 offset1:68
	ds_read2_b64 v[195:198], v9 offset0:69 offset1:70
	s_mov_b32 s4, exec_lo
	s_waitcnt vmcnt(60) lgkmcnt(1)
	v_mul_f32_e32 v185, v191, v174
	v_mul_f32_e32 v199, v192, v174
	s_waitcnt vmcnt(59)
	v_mul_f32_e32 v174, v193, v175
	v_mul_f32_e32 v200, v194, v175
	buffer_load_dword v175, off, s[0:3], 0 offset:20
	s_waitcnt vmcnt(57)
	v_fmac_f32_e32 v185, v192, v5
	v_fma_f32 v199, v191, v5, -v199
	v_fmac_f32_e32 v174, v194, v4
	v_fma_f32 v200, v193, v4, -v200
	ds_read2_b64 v[191:194], v9 offset0:71 offset1:72
	s_waitcnt vmcnt(56) lgkmcnt(1)
	v_mul_f32_e32 v201, v195, v3
	v_mul_f32_e32 v3, v196, v3
	s_waitcnt vmcnt(55)
	v_mul_f32_e32 v202, v197, v2
	v_mul_f32_e32 v2, v198, v2
	v_fmac_f32_e32 v201, v196, v1
	v_fma_f32 v195, v195, v1, -v3
	s_waitcnt vmcnt(51)
	v_fmac_f32_e32 v202, v198, v141
	v_fma_f32 v141, v197, v141, -v2
	ds_read2_b64 v[1:4], v9 offset0:73 offset1:74
	s_waitcnt vmcnt(50) lgkmcnt(1)
	v_mul_f32_e32 v196, v191, v140
	v_mul_f32_e32 v5, v192, v140
	s_waitcnt vmcnt(49)
	v_mul_f32_e32 v140, v193, v12
	v_mul_f32_e32 v12, v194, v12
	v_fmac_f32_e32 v196, v192, v11
	v_fma_f32 v11, v191, v11, -v5
	v_fmac_f32_e32 v140, v194, v7
	v_fma_f32 v12, v193, v7, -v12
	ds_read2_b64 v[191:194], v9 offset0:75 offset1:76
	s_waitcnt vmcnt(48) lgkmcnt(1)
	v_mul_f32_e32 v197, v1, v10
	v_mul_f32_e32 v5, v2, v10
	s_waitcnt vmcnt(47)
	v_mul_f32_e32 v10, v3, v8
	v_mul_f32_e32 v7, v4, v8
	v_fmac_f32_e32 v197, v2, v6
	v_fma_f32 v198, v1, v6, -v5
	s_waitcnt vmcnt(43)
	v_fmac_f32_e32 v10, v4, v149
	v_fma_f32 v149, v3, v149, -v7
	ds_read2_b64 v[1:4], v9 offset0:77 offset1:78
	s_waitcnt vmcnt(42) lgkmcnt(1)
	v_mul_f32_e32 v203, v191, v148
	v_mul_f32_e32 v5, v192, v148
	s_waitcnt vmcnt(41)
	v_mul_f32_e32 v148, v193, v147
	v_mul_f32_e32 v6, v194, v147
	v_fmac_f32_e32 v203, v192, v146
	v_fma_f32 v146, v191, v146, -v5
	v_fmac_f32_e32 v148, v194, v143
	v_fma_f32 v143, v193, v143, -v6
	ds_read2_b64 v[5:8], v9 offset0:79 offset1:80
	s_waitcnt vmcnt(40) lgkmcnt(1)
	v_mul_f32_e32 v147, v1, v145
	v_mul_f32_e32 v145, v2, v145
	s_waitcnt vmcnt(39)
	v_mul_f32_e32 v191, v3, v144
	v_mul_f32_e32 v144, v4, v144
	s_clause 0x1
	buffer_load_dword v192, off, s[0:3], 0 offset:268
	buffer_load_dword v193, off, s[0:3], 0 offset:276
	v_fmac_f32_e32 v147, v2, v142
	v_fma_f32 v142, v1, v142, -v145
	s_waitcnt vmcnt(37)
	v_fmac_f32_e32 v191, v4, v173
	v_fma_f32 v144, v3, v173, -v144
	ds_read2_b64 v[1:4], v9 offset0:81 offset1:82
	s_waitcnt vmcnt(36) lgkmcnt(1)
	v_mul_f32_e32 v145, v5, v172
	v_mul_f32_e32 v172, v6, v172
	s_waitcnt vmcnt(35)
	v_mul_f32_e32 v173, v7, v171
	v_mul_f32_e32 v171, v8, v171
	v_fmac_f32_e32 v145, v6, v166
	v_fma_f32 v166, v5, v166, -v172
	v_fmac_f32_e32 v173, v8, v161
	v_fma_f32 v161, v7, v161, -v171
	ds_read2_b64 v[5:8], v9 offset0:83 offset1:84
	s_waitcnt vmcnt(34) lgkmcnt(1)
	v_mul_f32_e32 v171, v1, v165
	v_mul_f32_e32 v165, v2, v165
	s_waitcnt vmcnt(33)
	v_mul_f32_e32 v172, v3, v163
	v_mul_f32_e32 v163, v4, v163
	v_fmac_f32_e32 v171, v2, v152
	v_fma_f32 v152, v1, v152, -v165
	s_waitcnt vmcnt(29)
	v_fmac_f32_e32 v172, v4, v170
	v_fma_f32 v163, v3, v170, -v163
	ds_read2_b64 v[1:4], v9 offset0:85 offset1:86
	s_waitcnt vmcnt(28) lgkmcnt(1)
	v_mul_f32_e32 v165, v5, v169
	v_mul_f32_e32 v169, v6, v169
	s_waitcnt vmcnt(27)
	v_mul_f32_e32 v170, v7, v168
	v_mul_f32_e32 v168, v8, v168
	v_fmac_f32_e32 v165, v6, v160
	v_fma_f32 v160, v5, v160, -v169
	v_fmac_f32_e32 v170, v8, v157
	v_fma_f32 v157, v7, v157, -v168
	ds_read2_b64 v[5:8], v9 offset0:87 offset1:88
	s_waitcnt vmcnt(26) lgkmcnt(1)
	v_mul_f32_e32 v168, v1, v159
	v_mul_f32_e32 v159, v2, v159
	s_waitcnt vmcnt(25)
	v_mul_f32_e32 v169, v3, v158
	v_mul_f32_e32 v158, v4, v158
	;; [unrolled: 23-line block ×4, first 2 shown]
	v_fmac_f32_e32 v181, v2, v176
	v_fma_f32 v176, v1, v176, -v179
	s_waitcnt vmcnt(5)
	v_fmac_f32_e32 v182, v4, v190
	v_fma_f32 v178, v3, v190, -v178
	ds_read2_b64 v[1:4], v9 offset0:97 offset1:98
	s_waitcnt vmcnt(4) lgkmcnt(1)
	v_mul_f32_e32 v179, v5, v189
	v_mul_f32_e32 v189, v6, v189
	s_waitcnt vmcnt(3)
	v_mul_f32_e32 v190, v7, v188
	v_mul_f32_e32 v188, v8, v188
	v_fmac_f32_e32 v179, v6, v187
	v_fma_f32 v187, v5, v187, -v189
	v_fmac_f32_e32 v190, v8, v186
	v_fma_f32 v186, v7, v186, -v188
	s_clause 0x5
	buffer_load_dword v188, off, s[0:3], 0 offset:296
	buffer_load_dword v189, off, s[0:3], 0 offset:288
	buffer_load_dword v194, off, s[0:3], 0 offset:280
	buffer_load_dword v5, off, s[0:3], 0 offset:272
	buffer_load_dword v204, off, s[0:3], 0 offset:284
	buffer_load_dword v205, off, s[0:3], 0 offset:292
	v_add_f32_e32 v6, 0, v199
	buffer_load_dword v199, off, s[0:3], 0 offset:300
	v_add_f32_e32 v7, 0, v185
	v_add_f32_e32 v6, v6, v200
	;; [unrolled: 1-line block ×3, first 2 shown]
	buffer_load_dword v174, off, s[0:3], 0 offset:308
	v_add_f32_e32 v6, v6, v195
	v_add_f32_e32 v7, v7, v201
	;; [unrolled: 1-line block ×3, first 2 shown]
	s_clause 0x3
	buffer_load_dword v185, off, s[0:3], 0 offset:328
	buffer_load_dword v141, off, s[0:3], 0 offset:320
	;; [unrolled: 1-line block ×4, first 2 shown]
	v_add_f32_e32 v7, v7, v202
	v_add_f32_e32 v6, v6, v11
	buffer_load_dword v11, off, s[0:3], 0 offset:316
	v_add_f32_e32 v7, v7, v196
	buffer_load_dword v196, off, s[0:3], 0 offset:324
	v_add_f32_e32 v6, v6, v12
	v_add_f32_e32 v7, v7, v140
	;; [unrolled: 1-line block ×5, first 2 shown]
	s_clause 0x1
	buffer_load_dword v12, off, s[0:3], 0 offset:332
	buffer_load_dword v149, off, s[0:3], 0 offset:340
	v_add_f32_e32 v7, v7, v10
	v_add_f32_e32 v6, v6, v146
	s_clause 0x3
	buffer_load_dword v10, off, s[0:3], 0 offset:360
	buffer_load_dword v197, off, s[0:3], 0 offset:352
	;; [unrolled: 1-line block ×4, first 2 shown]
	v_add_f32_e32 v7, v7, v203
	s_clause 0x3
	buffer_load_dword v201, off, s[0:3], 0 offset:348
	buffer_load_dword v202, off, s[0:3], 0 offset:356
	buffer_load_dword v203, off, s[0:3], 0 offset:364
	buffer_load_dword v206, off, s[0:3], 0 offset:372
	v_add_f32_e32 v6, v6, v143
	v_add_f32_e32 v7, v7, v148
	;; [unrolled: 1-line block ×6, first 2 shown]
	s_waitcnt vmcnt(25) lgkmcnt(0)
	v_mul_f32_e32 v140, v1, v192
	s_waitcnt vmcnt(24)
	v_mul_f32_e32 v147, v3, v193
	v_mul_f32_e32 v142, v4, v193
	;; [unrolled: 1-line block ×3, first 2 shown]
	v_fmac_f32_e32 v140, v2, v184
	v_fma_f32 v143, v1, v184, -v8
	s_waitcnt vmcnt(20)
	v_fmac_f32_e32 v147, v4, v5
	v_fma_f32 v144, v3, v5, -v142
	v_add_f32_e32 v5, v6, v166
	v_add_f32_e32 v6, v7, v145
	ds_read2_b64 v[1:4], v9 offset0:99 offset1:100
	s_clause 0x3
	buffer_load_dword v166, off, s[0:3], 0 offset:392
	buffer_load_dword v184, off, s[0:3], 0 offset:384
	;; [unrolled: 1-line block ×4, first 2 shown]
	v_add_f32_e32 v5, v5, v161
	v_add_f32_e32 v6, v6, v173
	;; [unrolled: 1-line block ×4, first 2 shown]
	s_clause 0x2
	buffer_load_dword v161, off, s[0:3], 0 offset:380
	buffer_load_dword v171, off, s[0:3], 0 offset:388
	;; [unrolled: 1-line block ×3, first 2 shown]
	v_add_f32_e32 v145, v5, v163
	v_add_f32_e32 v142, v142, v172
	ds_read2_b64 v[5:8], v9 offset0:101 offset1:102
	v_add_f32_e32 v145, v145, v160
	v_add_f32_e32 v142, v142, v165
	s_waitcnt vmcnt(26) lgkmcnt(1)
	v_mul_f32_e32 v148, v1, v204
	v_mul_f32_e32 v152, v2, v204
	s_waitcnt vmcnt(25)
	v_mul_f32_e32 v163, v4, v205
	v_mul_f32_e32 v160, v3, v205
	v_fmac_f32_e32 v148, v2, v194
	v_add_f32_e32 v2, v142, v170
	v_fma_f32 v152, v1, v194, -v152
	v_add_f32_e32 v1, v145, v157
	v_fma_f32 v163, v3, v189, -v163
	s_clause 0x3
	buffer_load_dword v157, off, s[0:3], 0 offset:404
	buffer_load_dword v165, off, s[0:3], 0 offset:412
	;; [unrolled: 1-line block ×4, first 2 shown]
	v_add_f32_e32 v2, v2, v168
	v_fmac_f32_e32 v160, v4, v189
	v_add_f32_e32 v1, v1, v151
	s_clause 0x3
	buffer_load_dword v168, off, s[0:3], 0 offset:436
	buffer_load_dword v189, off, s[0:3], 0 offset:444
	;; [unrolled: 1-line block ×4, first 2 shown]
	s_waitcnt vmcnt(32) lgkmcnt(0)
	v_mul_f32_e32 v151, v5, v199
	v_add_f32_e32 v2, v2, v169
	v_mul_f32_e32 v3, v6, v199
	v_add_f32_e32 v1, v1, v158
	s_clause 0x3
	buffer_load_dword v158, off, s[0:3], 0 offset:468
	buffer_load_dword v169, off, s[0:3], 0 offset:476
	;; [unrolled: 1-line block ×4, first 2 shown]
	v_fmac_f32_e32 v151, v6, v188
	v_add_f32_e32 v2, v2, v159
	v_fma_f32 v159, v5, v188, -v3
	v_add_f32_e32 v1, v1, v156
	buffer_load_dword v156, off, s[0:3], 0 offset:500
	v_add_f32_e32 v5, v2, v167
	s_clause 0x3
	buffer_load_dword v167, off, s[0:3], 0 offset:424
	buffer_load_dword v188, off, s[0:3], 0 offset:416
	;; [unrolled: 1-line block ×4, first 2 shown]
	v_add_f32_e32 v1, v1, v153
	v_add_f32_e32 v5, v5, v162
	;; [unrolled: 1-line block ×3, first 2 shown]
	s_waitcnt vmcnt(40)
	v_mul_f32_e32 v1, v8, v174
	v_mul_f32_e32 v150, v7, v174
	v_add_f32_e32 v5, v5, v164
	v_add_f32_e32 v6, v6, v154
	s_waitcnt vmcnt(36)
	v_fma_f32 v153, v7, v200, -v1
	ds_read2_b64 v[1:4], v9 offset0:103 offset1:104
	v_add_f32_e32 v5, v5, v155
	v_fmac_f32_e32 v150, v8, v200
	v_add_f32_e32 v6, v6, v180
	s_clause 0x3
	buffer_load_dword v162, off, s[0:3], 0 offset:456
	buffer_load_dword v164, off, s[0:3], 0 offset:448
	;; [unrolled: 1-line block ×4, first 2 shown]
	v_add_f32_e32 v145, v5, v183
	v_add_f32_e32 v142, v6, v177
	ds_read2_b64 v[5:8], v9 offset0:105 offset1:106
	v_add_f32_e32 v145, v145, v181
	v_add_f32_e32 v142, v142, v176
	s_waitcnt vmcnt(39) lgkmcnt(1)
	v_mul_f32_e32 v154, v1, v11
	v_mul_f32_e32 v11, v2, v11
	s_waitcnt vmcnt(38)
	v_mul_f32_e32 v183, v3, v196
	v_fmac_f32_e32 v154, v2, v195
	v_fma_f32 v11, v1, v195, -v11
	v_add_f32_e32 v1, v142, v178
	s_clause 0x3
	buffer_load_dword v176, off, s[0:3], 0 offset:488
	buffer_load_dword v177, off, s[0:3], 0 offset:480
	;; [unrolled: 1-line block ×4, first 2 shown]
	v_add_f32_e32 v2, v145, v182
	buffer_load_dword v182, off, s[0:3], 0 offset:496
	v_mul_f32_e32 v142, v4, v196
	v_add_f32_e32 v1, v1, v187
	v_fmac_f32_e32 v183, v4, v141
	v_add_f32_e32 v2, v2, v179
	buffer_load_dword v179, off, s[0:3], 0 offset:16
	s_waitcnt vmcnt(43) lgkmcnt(0)
	v_mul_f32_e32 v187, v5, v12
	v_add_f32_e32 v1, v1, v186
	v_fma_f32 v186, v3, v141, -v142
	v_add_f32_e32 v145, v2, v190
	s_waitcnt vmcnt(42)
	v_mul_f32_e32 v190, v7, v149
	v_mul_f32_e32 v12, v6, v12
	v_add_f32_e32 v155, v1, v143
	ds_read2_b64 v[1:4], v9 offset0:107 offset1:108
	v_add_f32_e32 v145, v145, v140
	ds_read2_b64 v[140:143], v9 offset0:109 offset1:110
	v_fmac_f32_e32 v187, v6, v185
	v_add_f32_e32 v144, v155, v144
	v_fma_f32 v12, v5, v185, -v12
	v_add_f32_e32 v145, v145, v147
	v_mul_f32_e32 v147, v8, v149
	s_waitcnt vmcnt(38)
	v_fmac_f32_e32 v190, v8, v146
	v_add_f32_e32 v149, v144, v152
	v_add_f32_e32 v148, v145, v148
	v_fma_f32 v185, v7, v146, -v147
	ds_read2_b64 v[5:8], v9 offset0:111 offset1:112
	ds_read2_b64 v[144:147], v9 offset0:113 offset1:114
	v_add_f32_e32 v149, v149, v163
	v_add_f32_e32 v148, v148, v160
	;; [unrolled: 1-line block ×3, first 2 shown]
	s_waitcnt vmcnt(37) lgkmcnt(3)
	v_mul_f32_e32 v163, v1, v201
	v_mul_f32_e32 v152, v2, v201
	v_add_f32_e32 v148, v148, v151
	s_waitcnt vmcnt(35) lgkmcnt(2)
	v_mul_f32_e32 v159, v140, v203
	v_mul_f32_e32 v195, v141, v203
	v_fmac_f32_e32 v163, v2, v198
	v_fma_f32 v198, v1, v198, -v152
	v_add_f32_e32 v152, v149, v153
	v_add_f32_e32 v153, v148, v150
	v_fmac_f32_e32 v159, v141, v10
	v_fma_f32 v195, v140, v10, -v195
	v_mul_f32_e32 v160, v3, v202
	v_add_f32_e32 v10, v152, v11
	v_add_f32_e32 v11, v153, v154
	v_mul_f32_e32 v155, v4, v202
	s_waitcnt vmcnt(34)
	v_mul_f32_e32 v196, v142, v206
	v_fmac_f32_e32 v160, v4, v197
	v_add_f32_e32 v10, v10, v186
	v_add_f32_e32 v11, v11, v183
	v_fma_f32 v197, v3, v197, -v155
	v_mul_f32_e32 v155, v143, v206
	ds_read2_b64 v[1:4], v9 offset0:115 offset1:116
	ds_read2_b64 v[148:151], v9 offset0:117 offset1:118
	s_waitcnt vmcnt(30)
	v_fmac_f32_e32 v196, v143, v192
	v_fma_f32 v192, v142, v192, -v155
	ds_read2_b64 v[140:143], v9 offset0:119 offset1:120
	ds_read2_b64 v[152:155], v9 offset0:121 offset1:122
	s_waitcnt vmcnt(29) lgkmcnt(5)
	v_mul_f32_e32 v186, v5, v161
	s_waitcnt vmcnt(28)
	v_mul_f32_e32 v183, v7, v171
	v_mul_f32_e32 v161, v6, v161
	v_mul_f32_e32 v171, v8, v171
	v_fmac_f32_e32 v186, v6, v191
	v_add_f32_e32 v6, v10, v12
	v_add_f32_e32 v10, v11, v187
	v_fmac_f32_e32 v183, v8, v184
	v_fma_f32 v171, v7, v184, -v171
	v_fma_f32 v161, v5, v191, -v161
	v_add_f32_e32 v184, v6, v185
	v_add_f32_e32 v185, v10, v190
	s_waitcnt vmcnt(27) lgkmcnt(4)
	v_mul_f32_e32 v187, v144, v173
	v_mul_f32_e32 v173, v145, v173
	ds_read2_b64 v[5:8], v9 offset0:123 offset1:124
	ds_read2_b64 v[9:12], v9 offset0:125 offset1:126
	v_add_f32_e32 v184, v184, v198
	v_add_f32_e32 v163, v185, v163
	v_fmac_f32_e32 v187, v145, v166
	s_waitcnt vmcnt(26)
	v_mul_f32_e32 v185, v146, v157
	v_mul_f32_e32 v157, v147, v157
	v_add_f32_e32 v184, v184, v197
	v_add_f32_e32 v160, v163, v160
	v_fma_f32 v144, v144, v166, -v173
	s_waitcnt vmcnt(25) lgkmcnt(5)
	v_mul_f32_e32 v190, v1, v165
	v_mul_f32_e32 v165, v2, v165
	v_add_f32_e32 v184, v184, v195
	v_add_f32_e32 v159, v160, v159
	s_waitcnt vmcnt(24)
	v_mul_f32_e32 v163, v3, v170
	s_waitcnt vmcnt(23) lgkmcnt(4)
	v_mul_f32_e32 v191, v148, v172
	s_waitcnt vmcnt(22)
	v_mul_f32_e32 v195, v150, v168
	v_add_f32_e32 v184, v184, v192
	v_add_f32_e32 v159, v159, v196
	s_waitcnt vmcnt(21) lgkmcnt(3)
	v_mul_f32_e32 v160, v140, v189
	s_waitcnt vmcnt(20)
	v_mul_f32_e32 v197, v142, v193
	s_waitcnt vmcnt(19) lgkmcnt(2)
	v_mul_f32_e32 v192, v152, v194
	v_add_f32_e32 v161, v184, v161
	v_add_f32_e32 v159, v159, v186
	s_waitcnt vmcnt(11)
	v_fmac_f32_e32 v190, v2, v199
	s_waitcnt vmcnt(10)
	v_fma_f32 v146, v146, v207, -v157
	v_fmac_f32_e32 v185, v147, v207
	v_add_f32_e32 v161, v161, v171
	v_add_f32_e32 v159, v159, v183
	v_mul_f32_e32 v157, v4, v170
	v_fma_f32 v1, v1, v199, -v165
	v_fmac_f32_e32 v163, v4, v188
	v_add_f32_e32 v144, v161, v144
	v_add_f32_e32 v147, v159, v187
	v_fma_f32 v3, v3, v188, -v157
	v_mul_f32_e32 v4, v151, v168
	v_fmac_f32_e32 v191, v149, v167
	v_add_f32_e32 v2, v144, v146
	v_add_f32_e32 v144, v147, v185
	v_mul_f32_e32 v146, v149, v172
	s_waitcnt vmcnt(8)
	v_fmac_f32_e32 v197, v143, v164
	s_waitcnt vmcnt(7)
	v_fmac_f32_e32 v160, v141, v174
	v_add_f32_e32 v1, v2, v1
	v_add_f32_e32 v2, v144, v190
	v_fma_f32 v144, v148, v167, -v146
	s_waitcnt vmcnt(6)
	v_fma_f32 v4, v150, v180, -v4
	v_fmac_f32_e32 v195, v151, v180
	v_add_f32_e32 v1, v1, v3
	v_add_f32_e32 v2, v2, v163
	v_mul_f32_e32 v3, v141, v189
	v_mul_f32_e32 v196, v154, v158
	v_fmac_f32_e32 v192, v153, v162
	v_add_f32_e32 v1, v1, v144
	v_add_f32_e32 v2, v2, v191
	v_mul_f32_e32 v144, v143, v193
	v_fma_f32 v3, v140, v174, -v3
	s_waitcnt lgkmcnt(1)
	v_mul_f32_e32 v198, v5, v169
	v_add_f32_e32 v1, v1, v4
	v_add_f32_e32 v2, v2, v195
	v_mul_f32_e32 v4, v153, v194
	v_fma_f32 v140, v142, v164, -v144
	v_mul_f32_e32 v184, v7, v204
	v_add_f32_e32 v1, v1, v3
	v_add_f32_e32 v2, v2, v160
	v_mul_f32_e32 v3, v155, v158
	v_fma_f32 v4, v152, v162, -v4
	s_waitcnt vmcnt(2)
	v_fmac_f32_e32 v196, v155, v181
	v_add_f32_e32 v1, v1, v140
	v_add_f32_e32 v2, v2, v197
	v_mul_f32_e32 v140, v6, v169
	v_fma_f32 v3, v154, v181, -v3
	v_fmac_f32_e32 v198, v6, v178
	v_add_f32_e32 v1, v1, v4
	v_add_f32_e32 v2, v2, v192
	v_mul_f32_e32 v4, v8, v204
	v_fma_f32 v5, v5, v178, -v140
	s_waitcnt lgkmcnt(0)
	v_mul_f32_e32 v186, v9, v205
	v_add_f32_e32 v1, v1, v3
	v_add_f32_e32 v2, v2, v196
	v_mul_f32_e32 v3, v10, v205
	v_fma_f32 v4, v7, v177, -v4
	v_fmac_f32_e32 v184, v8, v177
	v_add_f32_e32 v1, v1, v5
	v_add_f32_e32 v2, v2, v198
	v_mul_f32_e32 v5, v12, v156
	v_fma_f32 v3, v9, v176, -v3
	v_mul_f32_e32 v145, v11, v156
	v_add_f32_e32 v1, v1, v4
	v_fmac_f32_e32 v186, v10, v176
	v_add_f32_e32 v2, v2, v184
	s_waitcnt vmcnt(1)
	v_fma_f32 v4, v11, v182, -v5
	v_fmac_f32_e32 v145, v12, v182
	v_add_f32_e32 v1, v1, v3
	v_add_f32_e32 v2, v2, v186
	;; [unrolled: 1-line block ×4, first 2 shown]
	s_waitcnt vmcnt(0)
	v_sub_f32_e32 v1, v179, v1
	v_sub_f32_e32 v2, v175, v2
	buffer_store_dword v1, off, s[0:3], 0 offset:16
	buffer_store_dword v2, off, s[0:3], 0 offset:20
	v_cmpx_lt_u32_e32 1, v0
	s_cbranch_execz .LBB126_389
; %bb.388:
	s_clause 0x1
	buffer_load_dword v1, off, s[0:3], 0 offset:8
	buffer_load_dword v2, off, s[0:3], 0 offset:12
	v_mov_b32_e32 v3, 0
	buffer_store_dword v3, off, s[0:3], 0 offset:8
	buffer_store_dword v3, off, s[0:3], 0 offset:12
	s_waitcnt vmcnt(0)
	ds_write_b64 v139, v[1:2]
.LBB126_389:
	s_or_b32 exec_lo, exec_lo, s4
	s_waitcnt lgkmcnt(0)
	s_waitcnt_vscnt null, 0x0
	s_barrier
	buffer_gl0_inv
	s_clause 0x3c
	buffer_load_dword v174, off, s[0:3], 0 offset:20
	buffer_load_dword v175, off, s[0:3], 0 offset:28
	;; [unrolled: 1-line block ×61, first 2 shown]
	v_mov_b32_e32 v1, 0
	ds_read_b128 v[191:194], v1 offset:528
	ds_read_b128 v[195:198], v1 offset:544
	s_mov_b32 s4, exec_lo
	s_waitcnt vmcnt(60) lgkmcnt(1)
	v_mul_f32_e32 v186, v191, v174
	v_mul_f32_e32 v199, v192, v174
	s_waitcnt vmcnt(59)
	v_mul_f32_e32 v174, v193, v175
	v_mul_f32_e32 v200, v194, v175
	buffer_load_dword v175, off, s[0:3], 0 offset:12
	s_waitcnt vmcnt(57)
	v_fmac_f32_e32 v186, v192, v6
	v_fma_f32 v199, v191, v6, -v199
	v_fmac_f32_e32 v174, v194, v5
	v_fma_f32 v200, v193, v5, -v200
	ds_read_b128 v[191:194], v1 offset:560
	s_waitcnt vmcnt(56) lgkmcnt(1)
	v_mul_f32_e32 v201, v195, v4
	v_mul_f32_e32 v4, v196, v4
	s_waitcnt vmcnt(55)
	v_mul_f32_e32 v202, v197, v3
	v_mul_f32_e32 v3, v198, v3
	v_fmac_f32_e32 v201, v196, v2
	v_fma_f32 v195, v195, v2, -v4
	s_waitcnt vmcnt(51)
	v_fmac_f32_e32 v202, v198, v141
	v_fma_f32 v141, v197, v141, -v3
	ds_read_b128 v[2:5], v1 offset:576
	s_waitcnt vmcnt(50) lgkmcnt(1)
	v_mul_f32_e32 v196, v191, v140
	v_mul_f32_e32 v6, v192, v140
	s_waitcnt vmcnt(49)
	v_mul_f32_e32 v140, v193, v12
	v_mul_f32_e32 v12, v194, v12
	v_fmac_f32_e32 v196, v192, v11
	v_fma_f32 v11, v191, v11, -v6
	v_fmac_f32_e32 v140, v194, v8
	v_fma_f32 v12, v193, v8, -v12
	ds_read_b128 v[191:194], v1 offset:592
	s_waitcnt vmcnt(48) lgkmcnt(1)
	v_mul_f32_e32 v197, v2, v10
	v_mul_f32_e32 v6, v3, v10
	s_waitcnt vmcnt(47)
	v_mul_f32_e32 v10, v4, v9
	v_mul_f32_e32 v8, v5, v9
	v_fmac_f32_e32 v197, v3, v7
	v_fma_f32 v198, v2, v7, -v6
	s_waitcnt vmcnt(43)
	v_fmac_f32_e32 v10, v5, v149
	v_fma_f32 v149, v4, v149, -v8
	ds_read_b128 v[2:5], v1 offset:608
	s_waitcnt vmcnt(42) lgkmcnt(1)
	v_mul_f32_e32 v203, v191, v148
	v_mul_f32_e32 v6, v192, v148
	s_waitcnt vmcnt(41)
	v_mul_f32_e32 v148, v193, v147
	v_mul_f32_e32 v7, v194, v147
	v_fmac_f32_e32 v203, v192, v146
	v_fma_f32 v146, v191, v146, -v6
	v_fmac_f32_e32 v148, v194, v143
	v_fma_f32 v143, v193, v143, -v7
	ds_read_b128 v[6:9], v1 offset:624
	s_waitcnt vmcnt(40) lgkmcnt(1)
	v_mul_f32_e32 v147, v2, v145
	v_mul_f32_e32 v145, v3, v145
	s_waitcnt vmcnt(39)
	v_mul_f32_e32 v191, v4, v144
	v_mul_f32_e32 v144, v5, v144
	s_clause 0x1
	buffer_load_dword v192, off, s[0:3], 0 offset:260
	buffer_load_dword v193, off, s[0:3], 0 offset:268
	v_fmac_f32_e32 v147, v3, v142
	v_fma_f32 v142, v2, v142, -v145
	s_waitcnt vmcnt(37)
	v_fmac_f32_e32 v191, v5, v173
	v_fma_f32 v144, v4, v173, -v144
	ds_read_b128 v[2:5], v1 offset:640
	s_waitcnt vmcnt(36) lgkmcnt(1)
	v_mul_f32_e32 v145, v6, v172
	v_mul_f32_e32 v172, v7, v172
	s_waitcnt vmcnt(35)
	v_mul_f32_e32 v173, v8, v171
	v_mul_f32_e32 v171, v9, v171
	v_fmac_f32_e32 v145, v7, v166
	v_fma_f32 v166, v6, v166, -v172
	v_fmac_f32_e32 v173, v9, v161
	v_fma_f32 v161, v8, v161, -v171
	ds_read_b128 v[6:9], v1 offset:656
	s_waitcnt vmcnt(34) lgkmcnt(1)
	v_mul_f32_e32 v171, v2, v165
	v_mul_f32_e32 v165, v3, v165
	s_waitcnt vmcnt(33)
	v_mul_f32_e32 v172, v4, v163
	v_mul_f32_e32 v163, v5, v163
	v_fmac_f32_e32 v171, v3, v152
	v_fma_f32 v152, v2, v152, -v165
	s_waitcnt vmcnt(29)
	v_fmac_f32_e32 v172, v5, v170
	v_fma_f32 v163, v4, v170, -v163
	ds_read_b128 v[2:5], v1 offset:672
	s_waitcnt vmcnt(28) lgkmcnt(1)
	v_mul_f32_e32 v165, v6, v169
	v_mul_f32_e32 v169, v7, v169
	s_waitcnt vmcnt(27)
	v_mul_f32_e32 v170, v8, v168
	v_mul_f32_e32 v168, v9, v168
	v_fmac_f32_e32 v165, v7, v160
	v_fma_f32 v160, v6, v160, -v169
	v_fmac_f32_e32 v170, v9, v157
	v_fma_f32 v157, v8, v157, -v168
	ds_read_b128 v[6:9], v1 offset:688
	s_waitcnt vmcnt(26) lgkmcnt(1)
	v_mul_f32_e32 v168, v2, v159
	v_mul_f32_e32 v159, v3, v159
	s_waitcnt vmcnt(25)
	v_mul_f32_e32 v169, v4, v158
	v_mul_f32_e32 v158, v5, v158
	;; [unrolled: 23-line block ×4, first 2 shown]
	v_fmac_f32_e32 v181, v3, v176
	v_fma_f32 v176, v2, v176, -v179
	s_waitcnt vmcnt(5)
	v_fmac_f32_e32 v182, v5, v190
	v_fma_f32 v178, v4, v190, -v178
	ds_read_b128 v[2:5], v1 offset:768
	s_waitcnt vmcnt(4) lgkmcnt(1)
	v_mul_f32_e32 v179, v6, v189
	v_mul_f32_e32 v189, v7, v189
	s_waitcnt vmcnt(3)
	v_mul_f32_e32 v190, v8, v188
	v_mul_f32_e32 v188, v9, v188
	v_fmac_f32_e32 v179, v7, v187
	v_fma_f32 v187, v6, v187, -v189
	v_fmac_f32_e32 v190, v9, v185
	v_fma_f32 v185, v8, v185, -v188
	s_clause 0x5
	buffer_load_dword v188, off, s[0:3], 0 offset:288
	buffer_load_dword v189, off, s[0:3], 0 offset:280
	;; [unrolled: 1-line block ×6, first 2 shown]
	v_add_f32_e32 v7, 0, v186
	v_add_f32_e32 v8, 0, v199
	buffer_load_dword v186, off, s[0:3], 0 offset:300
	v_add_f32_e32 v7, v7, v174
	buffer_load_dword v174, off, s[0:3], 0 offset:292
	v_add_f32_e32 v8, v8, v200
	v_add_f32_e32 v7, v7, v201
	;; [unrolled: 1-line block ×5, first 2 shown]
	s_clause 0x3
	buffer_load_dword v195, off, s[0:3], 0 offset:320
	buffer_load_dword v141, off, s[0:3], 0 offset:312
	buffer_load_dword v199, off, s[0:3], 0 offset:304
	buffer_load_dword v200, off, s[0:3], 0 offset:296
	v_add_f32_e32 v7, v7, v196
	buffer_load_dword v196, off, s[0:3], 0 offset:308
	v_add_f32_e32 v8, v8, v11
	buffer_load_dword v11, off, s[0:3], 0 offset:316
	v_add_f32_e32 v7, v7, v140
	v_add_f32_e32 v8, v8, v12
	;; [unrolled: 1-line block ×5, first 2 shown]
	s_clause 0x1
	buffer_load_dword v10, off, s[0:3], 0 offset:324
	buffer_load_dword v12, off, s[0:3], 0 offset:332
	v_add_f32_e32 v8, v8, v149
	s_clause 0x3
	buffer_load_dword v197, off, s[0:3], 0 offset:352
	buffer_load_dword v149, off, s[0:3], 0 offset:344
	;; [unrolled: 1-line block ×4, first 2 shown]
	v_add_f32_e32 v7, v7, v203
	v_add_f32_e32 v8, v8, v146
	;; [unrolled: 1-line block ×3, first 2 shown]
	s_clause 0x2
	buffer_load_dword v148, off, s[0:3], 0 offset:340
	buffer_load_dword v202, off, s[0:3], 0 offset:348
	;; [unrolled: 1-line block ×3, first 2 shown]
	v_add_f32_e32 v8, v8, v143
	buffer_load_dword v206, off, s[0:3], 0 offset:364
	v_add_f32_e32 v7, v7, v147
	v_add_f32_e32 v8, v8, v142
	;; [unrolled: 1-line block ×8, first 2 shown]
	s_waitcnt vmcnt(25) lgkmcnt(0)
	v_mul_f32_e32 v140, v2, v192
	v_mul_f32_e32 v9, v3, v192
	s_waitcnt vmcnt(24)
	v_mul_f32_e32 v142, v4, v193
	v_mul_f32_e32 v143, v5, v193
	v_fmac_f32_e32 v140, v3, v184
	v_fma_f32 v146, v2, v184, -v9
	s_waitcnt vmcnt(20)
	v_fmac_f32_e32 v142, v5, v6
	v_fma_f32 v143, v4, v6, -v143
	ds_read_b128 v[2:5], v1 offset:784
	v_add_f32_e32 v6, v8, v166
	s_clause 0x3
	buffer_load_dword v166, off, s[0:3], 0 offset:384
	buffer_load_dword v184, off, s[0:3], 0 offset:376
	buffer_load_dword v191, off, s[0:3], 0 offset:368
	buffer_load_dword v192, off, s[0:3], 0 offset:360
	v_add_f32_e32 v6, v6, v161
	s_clause 0x2
	buffer_load_dword v161, off, s[0:3], 0 offset:372
	buffer_load_dword v171, off, s[0:3], 0 offset:380
	;; [unrolled: 1-line block ×3, first 2 shown]
	v_add_f32_e32 v6, v6, v152
	v_add_f32_e32 v145, v6, v163
	ds_read_b128 v[6:9], v1 offset:800
	s_waitcnt vmcnt(26) lgkmcnt(1)
	v_mul_f32_e32 v147, v2, v204
	v_add_f32_e32 v145, v145, v160
	v_mul_f32_e32 v152, v3, v204
	s_waitcnt vmcnt(25)
	v_mul_f32_e32 v160, v4, v205
	v_mul_f32_e32 v163, v5, v205
	v_fmac_f32_e32 v147, v3, v194
	v_add_f32_e32 v3, v144, v165
	v_add_f32_e32 v144, v145, v157
	v_fma_f32 v145, v2, v194, -v152
	v_fmac_f32_e32 v160, v5, v189
	v_fma_f32 v152, v4, v189, -v163
	v_add_f32_e32 v2, v3, v170
	v_add_f32_e32 v3, v144, v151
	s_clause 0x7
	buffer_load_dword v163, off, s[0:3], 0 offset:396
	buffer_load_dword v165, off, s[0:3], 0 offset:404
	;; [unrolled: 1-line block ×8, first 2 shown]
	v_add_f32_e32 v2, v2, v168
	v_add_f32_e32 v3, v3, v158
	s_waitcnt vmcnt(31) lgkmcnt(0)
	v_mul_f32_e32 v4, v7, v174
	v_mul_f32_e32 v151, v6, v174
	s_clause 0x1
	buffer_load_dword v168, off, s[0:3], 0 offset:428
	buffer_load_dword v205, off, s[0:3], 0 offset:436
	v_add_f32_e32 v2, v2, v169
	v_add_f32_e32 v3, v3, v156
	v_fma_f32 v156, v6, v188, -v4
	v_fmac_f32_e32 v151, v7, v188
	s_clause 0x1
	buffer_load_dword v169, off, s[0:3], 0 offset:444
	buffer_load_dword v174, off, s[0:3], 0 offset:452
	v_add_f32_e32 v2, v2, v159
	v_add_f32_e32 v3, v3, v153
	s_clause 0x3
	buffer_load_dword v188, off, s[0:3], 0 offset:460
	buffer_load_dword v207, off, s[0:3], 0 offset:468
	;; [unrolled: 1-line block ×4, first 2 shown]
	v_add_f32_e32 v2, v2, v167
	v_add_f32_e32 v6, v3, v150
	v_mul_f32_e32 v150, v8, v186
	v_mul_f32_e32 v3, v9, v186
	buffer_load_dword v167, off, s[0:3], 0 offset:492
	v_add_f32_e32 v7, v2, v162
	v_add_f32_e32 v6, v6, v154
	buffer_load_dword v162, off, s[0:3], 0 offset:500
	s_waitcnt vmcnt(37)
	v_fmac_f32_e32 v150, v9, v200
	v_fma_f32 v153, v8, v200, -v3
	ds_read_b128 v[2:5], v1 offset:816
	v_add_f32_e32 v7, v7, v164
	v_add_f32_e32 v6, v6, v180
	s_clause 0x3
	buffer_load_dword v164, off, s[0:3], 0 offset:448
	buffer_load_dword v180, off, s[0:3], 0 offset:440
	;; [unrolled: 1-line block ×4, first 2 shown]
	v_add_f32_e32 v7, v7, v155
	v_add_f32_e32 v6, v6, v177
	;; [unrolled: 1-line block ×4, first 2 shown]
	ds_read_b128 v[6:9], v1 offset:832
	v_add_f32_e32 v144, v144, v181
	v_add_f32_e32 v154, v154, v178
	s_clause 0x3
	buffer_load_dword v176, off, s[0:3], 0 offset:480
	buffer_load_dword v177, off, s[0:3], 0 offset:472
	;; [unrolled: 1-line block ×4, first 2 shown]
	s_waitcnt vmcnt(44) lgkmcnt(1)
	v_mul_f32_e32 v157, v3, v196
	v_mul_f32_e32 v155, v2, v196
	v_fma_f32 v157, v2, v199, -v157
	v_add_f32_e32 v2, v144, v182
	v_fmac_f32_e32 v155, v3, v199
	v_add_f32_e32 v3, v154, v187
	s_waitcnt vmcnt(43)
	v_mul_f32_e32 v154, v4, v11
	v_mul_f32_e32 v11, v5, v11
	v_add_f32_e32 v2, v2, v179
	s_clause 0x2
	buffer_load_dword v179, off, s[0:3], 0 offset:496
	buffer_load_dword v182, off, s[0:3], 0 offset:488
	;; [unrolled: 1-line block ×3, first 2 shown]
	v_add_f32_e32 v3, v3, v185
	v_fmac_f32_e32 v154, v5, v141
	v_add_f32_e32 v2, v2, v190
	v_fma_f32 v11, v4, v141, -v11
	s_waitcnt vmcnt(45) lgkmcnt(0)
	v_mul_f32_e32 v158, v6, v10
	v_add_f32_e32 v3, v3, v146
	v_mul_f32_e32 v10, v7, v10
	v_add_f32_e32 v140, v2, v140
	s_waitcnt vmcnt(44)
	v_mul_f32_e32 v159, v8, v12
	v_mul_f32_e32 v12, v9, v12
	v_add_f32_e32 v144, v3, v143
	ds_read_b128 v[2:5], v1 offset:848
	v_add_f32_e32 v146, v140, v142
	ds_read_b128 v[140:143], v1 offset:864
	v_fmac_f32_e32 v158, v7, v195
	v_add_f32_e32 v144, v144, v145
	v_fma_f32 v10, v6, v195, -v10
	v_add_f32_e32 v145, v146, v147
	s_waitcnt vmcnt(40)
	v_fmac_f32_e32 v159, v9, v201
	v_fma_f32 v12, v8, v201, -v12
	v_add_f32_e32 v152, v144, v152
	v_add_f32_e32 v160, v145, v160
	ds_read_b128 v[6:9], v1 offset:880
	ds_read_b128 v[144:147], v1 offset:896
	v_add_f32_e32 v152, v152, v156
	v_add_f32_e32 v151, v160, v151
	;; [unrolled: 1-line block ×3, first 2 shown]
	s_waitcnt vmcnt(39) lgkmcnt(3)
	v_mul_f32_e32 v156, v2, v148
	v_add_f32_e32 v150, v151, v150
	s_waitcnt vmcnt(36) lgkmcnt(2)
	v_mul_f32_e32 v190, v142, v206
	v_mul_f32_e32 v187, v140, v203
	v_add_f32_e32 v152, v152, v157
	v_mul_f32_e32 v157, v143, v206
	v_add_f32_e32 v155, v150, v155
	v_mul_f32_e32 v153, v141, v203
	v_mul_f32_e32 v148, v3, v148
	v_add_f32_e32 v11, v152, v11
	v_fmac_f32_e32 v187, v141, v197
	v_mul_f32_e32 v185, v5, v202
	v_fma_f32 v196, v140, v197, -v153
	v_fma_f32 v195, v2, v198, -v148
	v_add_f32_e32 v10, v11, v10
	v_mul_f32_e32 v160, v4, v202
	v_fmac_f32_e32 v156, v3, v198
	v_fma_f32 v185, v4, v149, -v185
	v_fmac_f32_e32 v160, v5, v149
	ds_read_b128 v[2:5], v1 offset:912
	ds_read_b128 v[148:151], v1 offset:928
	s_waitcnt vmcnt(32)
	v_fmac_f32_e32 v190, v143, v192
	v_fma_f32 v192, v142, v192, -v157
	v_add_f32_e32 v157, v155, v154
	s_waitcnt vmcnt(31) lgkmcnt(3)
	v_mul_f32_e32 v197, v6, v161
	s_waitcnt vmcnt(30)
	v_mul_f32_e32 v198, v8, v171
	ds_read_b128 v[140:143], v1 offset:944
	ds_read_b128 v[152:155], v1 offset:960
	v_add_f32_e32 v11, v157, v158
	v_mul_f32_e32 v157, v7, v161
	v_fmac_f32_e32 v197, v7, v191
	v_add_f32_e32 v7, v10, v12
	v_mul_f32_e32 v158, v9, v171
	v_add_f32_e32 v10, v11, v159
	v_fmac_f32_e32 v198, v9, v184
	v_fma_f32 v12, v6, v191, -v157
	v_add_f32_e32 v171, v7, v195
	v_fma_f32 v161, v8, v184, -v158
	v_add_f32_e32 v184, v10, v156
	ds_read_b128 v[6:9], v1 offset:976
	ds_read_b128 v[156:159], v1 offset:992
	ds_read_b64 v[10:11], v1 offset:1008
	v_add_f32_e32 v171, v171, v185
	s_waitcnt vmcnt(29) lgkmcnt(7)
	v_mul_f32_e32 v185, v144, v173
	v_add_f32_e32 v160, v184, v160
	v_mul_f32_e32 v173, v145, v173
	s_waitcnt vmcnt(28)
	v_mul_f32_e32 v184, v146, v163
	v_add_f32_e32 v171, v171, v196
	v_fmac_f32_e32 v185, v145, v166
	v_add_f32_e32 v160, v160, v187
	v_fma_f32 v144, v144, v166, -v173
	v_mul_f32_e32 v163, v147, v163
	v_add_f32_e32 v166, v171, v192
	s_waitcnt vmcnt(27) lgkmcnt(6)
	v_mul_f32_e32 v191, v2, v165
	v_add_f32_e32 v160, v160, v190
	v_mul_f32_e32 v165, v3, v165
	s_waitcnt vmcnt(21)
	v_fma_f32 v146, v146, v204, -v163
	v_add_f32_e32 v12, v166, v12
	v_fmac_f32_e32 v184, v147, v204
	v_add_f32_e32 v160, v160, v197
	v_fmac_f32_e32 v191, v3, v194
	v_fma_f32 v2, v2, v194, -v165
	v_add_f32_e32 v12, v12, v161
	v_mul_f32_e32 v161, v5, v170
	v_add_f32_e32 v160, v160, v198
	v_mul_f32_e32 v187, v4, v170
	s_waitcnt lgkmcnt(5)
	v_mul_f32_e32 v145, v148, v172
	v_add_f32_e32 v12, v12, v144
	v_fma_f32 v4, v4, v193, -v161
	v_add_f32_e32 v144, v160, v185
	v_fmac_f32_e32 v187, v5, v193
	s_waitcnt vmcnt(20)
	v_mul_f32_e32 v5, v151, v168
	v_add_f32_e32 v3, v12, v146
	v_mul_f32_e32 v171, v150, v168
	v_add_f32_e32 v12, v144, v184
	v_mul_f32_e32 v144, v149, v172
	v_fmac_f32_e32 v145, v149, v189
	v_add_f32_e32 v2, v3, v2
	s_waitcnt vmcnt(19) lgkmcnt(4)
	v_mul_f32_e32 v173, v140, v205
	v_add_f32_e32 v3, v12, v191
	v_fma_f32 v12, v148, v189, -v144
	s_waitcnt vmcnt(18)
	v_mul_f32_e32 v147, v142, v169
	v_add_f32_e32 v2, v2, v4
	v_mul_f32_e32 v4, v141, v205
	v_add_f32_e32 v3, v3, v187
	s_waitcnt vmcnt(7)
	v_fma_f32 v5, v150, v200, -v5
	v_fmac_f32_e32 v171, v151, v200
	v_add_f32_e32 v2, v2, v12
	v_mul_f32_e32 v12, v143, v169
	v_add_f32_e32 v3, v3, v145
	v_fma_f32 v4, v140, v186, -v4
	v_fmac_f32_e32 v173, v141, v186
	v_add_f32_e32 v2, v2, v5
	s_waitcnt lgkmcnt(3)
	v_mul_f32_e32 v5, v153, v174
	v_add_f32_e32 v3, v3, v171
	v_fma_f32 v12, v142, v180, -v12
	v_mul_f32_e32 v163, v152, v174
	v_add_f32_e32 v2, v2, v4
	v_fmac_f32_e32 v147, v143, v180
	v_add_f32_e32 v3, v3, v173
	v_mul_f32_e32 v4, v155, v188
	v_fma_f32 v5, v152, v164, -v5
	v_add_f32_e32 v2, v2, v12
	v_mul_f32_e32 v166, v154, v188
	v_fmac_f32_e32 v163, v153, v164
	v_add_f32_e32 v3, v3, v147
	s_waitcnt lgkmcnt(2)
	v_mul_f32_e32 v12, v7, v207
	s_waitcnt vmcnt(3)
	v_fma_f32 v4, v154, v181, -v4
	v_add_f32_e32 v2, v2, v5
	v_mul_f32_e32 v190, v6, v207
	v_fmac_f32_e32 v166, v155, v181
	v_add_f32_e32 v3, v3, v163
	v_mul_f32_e32 v5, v9, v208
	v_fma_f32 v6, v6, v178, -v12
	v_add_f32_e32 v2, v2, v4
	v_mul_f32_e32 v192, v8, v208
	v_fmac_f32_e32 v190, v7, v178
	v_add_f32_e32 v3, v3, v166
	s_waitcnt lgkmcnt(1)
	v_mul_f32_e32 v4, v157, v209
	v_fma_f32 v5, v8, v177, -v5
	v_add_f32_e32 v2, v2, v6
	v_mul_f32_e32 v170, v156, v209
	v_fmac_f32_e32 v192, v9, v177
	v_add_f32_e32 v3, v3, v190
	v_mul_f32_e32 v6, v159, v167
	v_fma_f32 v4, v156, v176, -v4
	v_add_f32_e32 v2, v2, v5
	v_mul_f32_e32 v195, v158, v167
	v_fmac_f32_e32 v170, v157, v176
	v_add_f32_e32 v3, v3, v192
	s_waitcnt lgkmcnt(0)
	v_mul_f32_e32 v5, v11, v162
	s_waitcnt vmcnt(1)
	v_fma_f32 v6, v158, v182, -v6
	v_add_f32_e32 v2, v2, v4
	v_mul_f32_e32 v160, v10, v162
	v_fmac_f32_e32 v195, v159, v182
	v_add_f32_e32 v3, v3, v170
	v_fma_f32 v4, v10, v179, -v5
	v_add_f32_e32 v2, v2, v6
	v_fmac_f32_e32 v160, v11, v179
	v_add_f32_e32 v3, v3, v195
	v_add_f32_e32 v2, v2, v4
	;; [unrolled: 1-line block ×3, first 2 shown]
	s_waitcnt vmcnt(0)
	v_sub_f32_e32 v2, v183, v2
	v_sub_f32_e32 v3, v175, v3
	buffer_store_dword v2, off, s[0:3], 0 offset:8
	buffer_store_dword v3, off, s[0:3], 0 offset:12
	v_cmpx_ne_u32_e32 0, v0
	s_cbranch_execz .LBB126_391
; %bb.390:
	s_clause 0x1
	buffer_load_dword v2, off, s[0:3], 0
	buffer_load_dword v3, off, s[0:3], 0 offset:4
	buffer_store_dword v1, off, s[0:3], 0
	buffer_store_dword v1, off, s[0:3], 0 offset:4
	s_waitcnt vmcnt(0)
	ds_write_b64 v139, v[2:3]
.LBB126_391:
	s_or_b32 exec_lo, exec_lo, s4
	s_waitcnt lgkmcnt(0)
	s_waitcnt_vscnt null, 0x0
	s_barrier
	buffer_gl0_inv
	s_clause 0x3c
	buffer_load_dword v173, off, s[0:3], 0 offset:12
	buffer_load_dword v0, off, s[0:3], 0 offset:24
	;; [unrolled: 1-line block ×61, first 2 shown]
	ds_read2_b64 v[189:192], v1 offset0:65 offset1:66
	ds_read2_b64 v[193:196], v1 offset0:67 offset1:68
	;; [unrolled: 1-line block ×3, first 2 shown]
	s_and_b32 vcc_lo, exec_lo, s16
	s_waitcnt vmcnt(60) lgkmcnt(2)
	v_mul_f32_e32 v182, v189, v173
	v_mul_f32_e32 v201, v190, v173
	buffer_load_dword v173, off, s[0:3], 0 offset:4
	s_waitcnt vmcnt(57)
	v_mul_f32_e32 v202, v191, v5
	v_mul_f32_e32 v5, v192, v5
	v_fmac_f32_e32 v182, v190, v6
	v_fma_f32 v201, v189, v6, -v201
	s_waitcnt vmcnt(56) lgkmcnt(1)
	v_mul_f32_e32 v204, v193, v4
	v_fmac_f32_e32 v202, v192, v3
	v_fma_f32 v203, v191, v3, -v5
	v_mul_f32_e32 v189, v194, v4
	ds_read2_b64 v[3:6], v1 offset0:71 offset1:72
	v_fmac_f32_e32 v204, v194, v0
	v_fma_f32 v0, v193, v0, -v189
	s_waitcnt vmcnt(55)
	v_mul_f32_e32 v193, v195, v2
	v_mul_f32_e32 v2, v196, v2
	ds_read2_b64 v[189:192], v1 offset0:73 offset1:74
	s_waitcnt vmcnt(51)
	v_fmac_f32_e32 v193, v196, v140
	v_fma_f32 v194, v195, v140, -v2
	s_waitcnt vmcnt(50) lgkmcnt(2)
	v_mul_f32_e32 v2, v198, v139
	v_mul_f32_e32 v195, v197, v139
	v_fma_f32 v196, v197, v11, -v2
	s_waitcnt vmcnt(49)
	v_mul_f32_e32 v197, v199, v12
	v_mul_f32_e32 v2, v200, v12
	v_fmac_f32_e32 v195, v198, v11
	s_waitcnt vmcnt(47) lgkmcnt(1)
	v_mul_f32_e32 v205, v5, v8
	v_fmac_f32_e32 v197, v200, v9
	v_fma_f32 v198, v199, v9, -v2
	v_mul_f32_e32 v199, v3, v10
	v_mul_f32_e32 v2, v4, v10
	ds_read2_b64 v[9:12], v1 offset0:75 offset1:76
	s_waitcnt vmcnt(43)
	v_fmac_f32_e32 v205, v6, v148
	s_waitcnt vmcnt(42) lgkmcnt(1)
	v_mul_f32_e32 v206, v189, v147
	v_fmac_f32_e32 v199, v4, v7
	v_fma_f32 v200, v3, v7, -v2
	v_mul_f32_e32 v2, v6, v8
	v_mul_f32_e32 v6, v190, v147
	v_fmac_f32_e32 v206, v190, v145
	v_fma_f32 v148, v5, v148, -v2
	ds_read2_b64 v[2:5], v1 offset0:77 offset1:78
	v_fma_f32 v147, v189, v145, -v6
	s_waitcnt vmcnt(41)
	v_mul_f32_e32 v6, v192, v146
	v_mul_f32_e32 v189, v191, v146
	v_fma_f32 v190, v191, v143, -v6
	v_fmac_f32_e32 v189, v192, v143
	s_waitcnt vmcnt(40) lgkmcnt(1)
	v_mul_f32_e32 v191, v9, v144
	v_mul_f32_e32 v6, v10, v144
	ds_read2_b64 v[143:146], v1 offset0:79 offset1:80
	s_waitcnt vmcnt(39)
	v_mul_f32_e32 v192, v11, v142
	v_fmac_f32_e32 v191, v10, v141
	v_fma_f32 v10, v9, v141, -v6
	v_mul_f32_e32 v6, v12, v142
	s_waitcnt vmcnt(35)
	v_fmac_f32_e32 v192, v12, v172
	s_waitcnt vmcnt(34) lgkmcnt(1)
	v_mul_f32_e32 v12, v2, v171
	v_fma_f32 v11, v11, v172, -v6
	ds_read2_b64 v[6:9], v1 offset0:81 offset1:82
	v_mul_f32_e32 v139, v3, v171
	s_waitcnt vmcnt(33)
	v_mul_f32_e32 v171, v4, v168
	v_fmac_f32_e32 v12, v3, v167
	v_fma_f32 v167, v2, v167, -v139
	v_mul_f32_e32 v2, v5, v168
	v_fmac_f32_e32 v171, v5, v161
	s_waitcnt vmcnt(32) lgkmcnt(1)
	v_mul_f32_e32 v168, v143, v165
	v_mul_f32_e32 v139, v144, v165
	v_fma_f32 v161, v4, v161, -v2
	ds_read2_b64 v[2:5], v1 offset0:83 offset1:84
	v_fmac_f32_e32 v168, v144, v153
	v_fma_f32 v143, v143, v153, -v139
	s_waitcnt vmcnt(31)
	v_mul_f32_e32 v144, v145, v159
	v_mul_f32_e32 v139, v146, v159
	s_waitcnt vmcnt(26) lgkmcnt(1)
	v_mul_f32_e32 v153, v7, v169
	v_fmac_f32_e32 v144, v146, v170
	v_fma_f32 v145, v145, v170, -v139
	v_mul_f32_e32 v146, v6, v169
	ds_read2_b64 v[139:142], v1 offset0:85 offset1:86
	v_fma_f32 v153, v6, v162, -v153
	s_waitcnt vmcnt(25)
	v_mul_f32_e32 v159, v8, v163
	v_mul_f32_e32 v6, v9, v163
	v_fmac_f32_e32 v146, v7, v162
	v_fmac_f32_e32 v159, v9, v156
	v_fma_f32 v156, v8, v156, -v6
	ds_read2_b64 v[6:9], v1 offset0:87 offset1:88
	s_waitcnt vmcnt(24) lgkmcnt(2)
	v_mul_f32_e32 v162, v2, v160
	v_mul_f32_e32 v160, v3, v160
	v_fmac_f32_e32 v162, v3, v150
	v_fma_f32 v150, v2, v150, -v160
	s_waitcnt vmcnt(23)
	v_mul_f32_e32 v160, v4, v154
	v_mul_f32_e32 v2, v5, v154
	s_waitcnt vmcnt(18) lgkmcnt(1)
	v_mul_f32_e32 v163, v139, v164
	v_mul_f32_e32 v164, v140, v164
	v_fmac_f32_e32 v160, v5, v166
	v_fma_f32 v154, v4, v166, -v2
	ds_read2_b64 v[2:5], v1 offset0:89 offset1:90
	v_fmac_f32_e32 v163, v140, v157
	v_fma_f32 v157, v139, v157, -v164
	s_waitcnt vmcnt(17)
	v_mul_f32_e32 v164, v141, v158
	v_mul_f32_e32 v139, v142, v158
	s_waitcnt vmcnt(16) lgkmcnt(1)
	v_mul_f32_e32 v158, v6, v155
	v_mul_f32_e32 v155, v7, v155
	v_fmac_f32_e32 v164, v142, v152
	v_fma_f32 v152, v141, v152, -v139
	ds_read2_b64 v[139:142], v1 offset0:91 offset1:92
	v_fmac_f32_e32 v158, v7, v149
	v_fma_f32 v149, v6, v149, -v155
	s_waitcnt vmcnt(15)
	v_mul_f32_e32 v155, v8, v151
	v_mul_f32_e32 v6, v9, v151
	s_waitcnt vmcnt(11)
	v_fmac_f32_e32 v155, v9, v181
	v_fma_f32 v151, v8, v181, -v6
	ds_read2_b64 v[6:9], v1 offset0:93 offset1:94
	s_waitcnt vmcnt(10) lgkmcnt(2)
	v_mul_f32_e32 v166, v3, v180
	v_mul_f32_e32 v165, v2, v180
	s_waitcnt vmcnt(9)
	v_mul_f32_e32 v169, v4, v179
	v_fma_f32 v166, v2, v178, -v166
	v_mul_f32_e32 v2, v5, v179
	v_fmac_f32_e32 v165, v3, v178
	v_fmac_f32_e32 v169, v5, v175
	s_waitcnt vmcnt(8) lgkmcnt(1)
	v_mul_f32_e32 v172, v139, v177
	s_waitcnt vmcnt(7)
	v_mul_f32_e32 v3, v142, v176
	v_fma_f32 v170, v4, v175, -v2
	v_mul_f32_e32 v2, v140, v177
	v_mul_f32_e32 v175, v141, v176
	s_clause 0x1
	buffer_load_dword v176, off, s[0:3], 0 offset:252
	buffer_load_dword v178, off, s[0:3], 0 offset:260
	v_fmac_f32_e32 v172, v140, v174
	v_fma_f32 v139, v139, v174, -v2
	s_waitcnt vmcnt(5)
	v_fmac_f32_e32 v175, v142, v188
	v_fma_f32 v140, v141, v188, -v3
	ds_read2_b64 v[2:5], v1 offset0:95 offset1:96
	s_waitcnt vmcnt(4) lgkmcnt(1)
	v_mul_f32_e32 v142, v7, v187
	s_waitcnt vmcnt(3)
	v_mul_f32_e32 v174, v8, v186
	v_mul_f32_e32 v177, v9, v186
	;; [unrolled: 1-line block ×3, first 2 shown]
	v_fma_f32 v142, v6, v185, -v142
	v_fmac_f32_e32 v174, v9, v184
	v_fma_f32 v177, v8, v184, -v177
	s_clause 0x4
	buffer_load_dword v179, off, s[0:3], 0 offset:280
	buffer_load_dword v180, off, s[0:3], 0 offset:272
	buffer_load_dword v181, off, s[0:3], 0 offset:264
	buffer_load_dword v6, off, s[0:3], 0 offset:256
	buffer_load_dword v184, off, s[0:3], 0 offset:268
	v_fmac_f32_e32 v141, v7, v185
	s_waitcnt vmcnt(6) lgkmcnt(0)
	v_mul_f32_e32 v185, v2, v176
	v_mul_f32_e32 v7, v3, v176
	s_waitcnt vmcnt(5)
	v_mul_f32_e32 v176, v4, v178
	v_mul_f32_e32 v8, v5, v178
	v_fmac_f32_e32 v185, v3, v183
	v_fma_f32 v178, v2, v183, -v7
	s_waitcnt vmcnt(1)
	v_fmac_f32_e32 v176, v5, v6
	v_fma_f32 v183, v4, v6, -v8
	ds_read2_b64 v[2:5], v1 offset0:97 offset1:98
	ds_read2_b64 v[6:9], v1 offset0:99 offset1:100
	s_waitcnt vmcnt(0) lgkmcnt(1)
	v_mul_f32_e32 v186, v2, v184
	v_mul_f32_e32 v184, v3, v184
	v_fmac_f32_e32 v186, v3, v181
	v_fma_f32 v181, v2, v181, -v184
	buffer_load_dword v2, off, s[0:3], 0 offset:276
	s_waitcnt vmcnt(0)
	v_mul_f32_e32 v184, v4, v2
	v_mul_f32_e32 v2, v5, v2
	v_fmac_f32_e32 v184, v5, v180
	v_fma_f32 v180, v4, v180, -v2
	buffer_load_dword v2, off, s[0:3], 0 offset:284
	s_waitcnt vmcnt(0) lgkmcnt(0)
	v_mul_f32_e32 v187, v6, v2
	v_mul_f32_e32 v2, v7, v2
	v_fmac_f32_e32 v187, v7, v179
	v_fma_f32 v179, v6, v179, -v2
	s_clause 0x5
	buffer_load_dword v2, off, s[0:3], 0 offset:292
	buffer_load_dword v188, off, s[0:3], 0 offset:312
	;; [unrolled: 1-line block ×6, first 2 shown]
	s_waitcnt vmcnt(5)
	v_mul_f32_e32 v209, v8, v2
	v_mul_f32_e32 v2, v9, v2
	s_waitcnt vmcnt(1)
	v_fmac_f32_e32 v209, v9, v3
	v_fma_f32 v210, v8, v3, -v2
	ds_read2_b64 v[2:5], v1 offset0:101 offset1:102
	ds_read2_b64 v[6:9], v1 offset0:103 offset1:104
	s_waitcnt vmcnt(0) lgkmcnt(1)
	v_mul_f32_e32 v212, v2, v211
	v_mul_f32_e32 v211, v3, v211
	v_fmac_f32_e32 v212, v3, v208
	v_fma_f32 v208, v2, v208, -v211
	buffer_load_dword v2, off, s[0:3], 0 offset:308
	v_add_f32_e32 v3, 0, v201
	v_add_f32_e32 v3, v3, v203
	;; [unrolled: 1-line block ×3, first 2 shown]
	buffer_load_dword v3, off, s[0:3], 0 offset:316
	v_add_f32_e32 v0, v0, v194
	v_add_f32_e32 v0, v0, v196
	;; [unrolled: 1-line block ×34, first 2 shown]
	s_waitcnt vmcnt(1)
	v_mul_f32_e32 v211, v4, v2
	v_mul_f32_e32 v2, v5, v2
	v_fmac_f32_e32 v211, v5, v207
	v_fma_f32 v207, v4, v207, -v2
	v_add_f32_e32 v2, 0, v182
	buffer_load_dword v182, off, s[0:3], 0 offset:324
	v_add_f32_e32 v0, v0, v207
	v_add_f32_e32 v2, v2, v202
	;; [unrolled: 1-line block ×5, first 2 shown]
	s_clause 0x4
	buffer_load_dword v193, off, s[0:3], 0 offset:344
	buffer_load_dword v194, off, s[0:3], 0 offset:336
	;; [unrolled: 1-line block ×5, first 2 shown]
	v_add_f32_e32 v2, v2, v197
	s_clause 0x1
	buffer_load_dword v147, off, s[0:3], 0 offset:340
	buffer_load_dword v197, off, s[0:3], 0 offset:348
	v_add_f32_e32 v2, v2, v199
	v_add_f32_e32 v2, v2, v205
	;; [unrolled: 1-line block ×4, first 2 shown]
	s_clause 0x1
	buffer_load_dword v189, off, s[0:3], 0 offset:356
	buffer_load_dword v190, off, s[0:3], 0 offset:364
	v_add_f32_e32 v2, v2, v191
	v_add_f32_e32 v2, v2, v192
	s_clause 0x3
	buffer_load_dword v10, off, s[0:3], 0 offset:376
	buffer_load_dword v11, off, s[0:3], 0 offset:368
	;; [unrolled: 1-line block ×4, first 2 shown]
	v_add_f32_e32 v2, v2, v12
	s_clause 0x2
	buffer_load_dword v12, off, s[0:3], 0 offset:372
	buffer_load_dword v161, off, s[0:3], 0 offset:380
	;; [unrolled: 1-line block ×3, first 2 shown]
	v_add_f32_e32 v2, v2, v171
	v_add_f32_e32 v2, v2, v168
	s_clause 0x5
	buffer_load_dword v168, off, s[0:3], 0 offset:408
	buffer_load_dword v171, off, s[0:3], 0 offset:400
	;; [unrolled: 1-line block ×6, first 2 shown]
	v_add_f32_e32 v2, v2, v144
	v_add_f32_e32 v2, v2, v146
	;; [unrolled: 1-line block ×3, first 2 shown]
	buffer_load_dword v159, off, s[0:3], 0 offset:404
	v_add_f32_e32 v2, v2, v162
	s_clause 0x2
	buffer_load_dword v162, off, s[0:3], 0 offset:420
	buffer_load_dword v202, off, s[0:3], 0 offset:428
	buffer_load_dword v203, off, s[0:3], 0 offset:436
	v_add_f32_e32 v2, v2, v160
	s_clause 0x2
	buffer_load_dword v160, off, s[0:3], 0 offset:444
	buffer_load_dword v204, off, s[0:3], 0 offset:452
	;; [unrolled: 5-line block ×3, first 2 shown]
	buffer_load_dword v213, off, s[0:3], 0 offset:484
	buffer_load_dword v214, off, s[0:3], 0 offset:500
	v_add_f32_e32 v2, v2, v164
	s_clause 0x4
	buffer_load_dword v164, off, s[0:3], 0 offset:492
	buffer_load_dword v166, off, s[0:3], 0 offset:440
	;; [unrolled: 1-line block ×5, first 2 shown]
	v_add_f32_e32 v2, v2, v158
	v_add_f32_e32 v2, v2, v155
	s_waitcnt vmcnt(39) lgkmcnt(0)
	v_mul_f32_e32 v155, v6, v3
	v_mul_f32_e32 v3, v7, v3
	v_add_f32_e32 v2, v2, v165
	v_fmac_f32_e32 v155, v7, v188
	v_fma_f32 v151, v6, v188, -v3
	v_add_f32_e32 v2, v2, v169
	s_clause 0x3
	buffer_load_dword v165, off, s[0:3], 0 offset:472
	buffer_load_dword v169, off, s[0:3], 0 offset:464
	buffer_load_dword v170, off, s[0:3], 0 offset:456
	buffer_load_dword v218, off, s[0:3], 0 offset:448
	v_add_f32_e32 v0, v0, v151
	v_add_f32_e32 v2, v2, v172
	;; [unrolled: 1-line block ×3, first 2 shown]
	s_clause 0x3
	buffer_load_dword v172, off, s[0:3], 0 offset:496
	buffer_load_dword v175, off, s[0:3], 0 offset:488
	;; [unrolled: 1-line block ×3, first 2 shown]
	buffer_load_dword v220, off, s[0:3], 0
	v_add_f32_e32 v2, v2, v141
	v_add_f32_e32 v6, v2, v174
	ds_read2_b64 v[2:5], v1 offset0:105 offset1:106
	v_add_f32_e32 v139, v6, v185
	v_add_f32_e32 v143, v139, v176
	ds_read2_b64 v[139:142], v1 offset0:109 offset1:110
	v_add_f32_e32 v143, v143, v186
	s_waitcnt vmcnt(46)
	v_mul_f32_e32 v156, v8, v182
	v_mul_f32_e32 v6, v9, v182
	s_waitcnt vmcnt(42)
	v_fmac_f32_e32 v156, v9, v196
	v_fma_f32 v157, v8, v196, -v6
	ds_read2_b64 v[6:9], v1 offset0:107 offset1:108
	s_waitcnt vmcnt(41) lgkmcnt(2)
	v_mul_f32_e32 v158, v2, v148
	v_mul_f32_e32 v144, v3, v148
	v_add_f32_e32 v148, v143, v184
	s_waitcnt vmcnt(40)
	v_mul_f32_e32 v176, v4, v147
	v_add_f32_e32 v0, v0, v157
	v_fmac_f32_e32 v158, v3, v195
	v_fma_f32 v174, v2, v195, -v144
	v_add_f32_e32 v2, v148, v187
	v_mul_f32_e32 v3, v5, v147
	ds_read2_b64 v[143:146], v1 offset0:111 offset1:112
	v_fmac_f32_e32 v176, v5, v194
	v_add_f32_e32 v0, v0, v174
	v_add_f32_e32 v2, v2, v209
	v_fma_f32 v180, v4, v194, -v3
	v_add_f32_e32 v0, v0, v180
	s_waitcnt vmcnt(39) lgkmcnt(1)
	v_mul_f32_e32 v147, v7, v197
	v_mul_f32_e32 v177, v6, v197
	s_waitcnt vmcnt(38)
	v_mul_f32_e32 v178, v8, v189
	s_waitcnt vmcnt(37)
	v_mul_f32_e32 v179, v139, v190
	v_mul_f32_e32 v152, v9, v189
	v_fma_f32 v181, v6, v193, -v147
	v_add_f32_e32 v6, v2, v212
	v_fmac_f32_e32 v177, v7, v193
	v_mul_f32_e32 v7, v140, v190
	ds_read2_b64 v[2:5], v1 offset0:113 offset1:114
	ds_read2_b64 v[147:150], v1 offset0:115 offset1:116
	v_add_f32_e32 v0, v0, v181
	s_waitcnt vmcnt(34)
	v_fmac_f32_e32 v179, v140, v191
	v_add_f32_e32 v140, v6, v211
	v_fma_f32 v183, v139, v191, -v7
	s_waitcnt vmcnt(33)
	v_fmac_f32_e32 v178, v9, v192
	v_fma_f32 v182, v8, v192, -v152
	ds_read2_b64 v[6:9], v1 offset0:117 offset1:118
	ds_read2_b64 v[151:154], v1 offset0:119 offset1:120
	v_add_f32_e32 v139, v140, v155
	s_waitcnt vmcnt(32)
	v_mul_f32_e32 v184, v141, v12
	v_mul_f32_e32 v12, v142, v12
	s_waitcnt vmcnt(31) lgkmcnt(4)
	v_mul_f32_e32 v185, v143, v161
	s_waitcnt vmcnt(30)
	v_mul_f32_e32 v186, v145, v167
	v_add_f32_e32 v139, v139, v156
	v_mul_f32_e32 v140, v144, v161
	v_mul_f32_e32 v161, v146, v167
	v_fmac_f32_e32 v184, v142, v11
	v_fma_f32 v11, v141, v11, -v12
	v_add_f32_e32 v12, v139, v158
	v_fmac_f32_e32 v185, v144, v10
	v_fma_f32 v10, v143, v10, -v140
	ds_read2_b64 v[139:142], v1 offset0:121 offset1:122
	ds_read2_b64 v[155:158], v1 offset0:123 offset1:124
	s_waitcnt vmcnt(26)
	v_fmac_f32_e32 v186, v146, v199
	v_fma_f32 v161, v145, v199, -v161
	ds_read2_b64 v[143:146], v1 offset0:125 offset1:126
	v_add_f32_e32 v1, v12, v176
	v_add_f32_e32 v0, v0, v182
	s_waitcnt vmcnt(25) lgkmcnt(6)
	v_mul_f32_e32 v167, v3, v200
	v_mul_f32_e32 v12, v2, v200
	s_waitcnt vmcnt(24) lgkmcnt(5)
	v_mul_f32_e32 v176, v147, v201
	v_add_f32_e32 v1, v1, v177
	v_add_f32_e32 v0, v0, v183
	v_fma_f32 v2, v2, v198, -v167
	s_waitcnt vmcnt(23)
	v_mul_f32_e32 v174, v4, v159
	v_mul_f32_e32 v159, v5, v159
	v_add_f32_e32 v1, v1, v178
	v_add_f32_e32 v0, v0, v11
	v_fmac_f32_e32 v12, v3, v198
	v_mul_f32_e32 v3, v148, v201
	v_fma_f32 v4, v4, v171, -v159
	v_add_f32_e32 v1, v1, v179
	v_add_f32_e32 v0, v0, v10
	v_fmac_f32_e32 v174, v5, v171
	v_fma_f32 v3, v147, v168, -v3
	s_waitcnt vmcnt(22)
	v_mul_f32_e32 v177, v149, v162
	v_add_f32_e32 v1, v1, v184
	v_add_f32_e32 v0, v0, v161
	v_fmac_f32_e32 v176, v148, v168
	s_waitcnt vmcnt(21) lgkmcnt(4)
	v_mul_f32_e32 v178, v6, v202
	s_waitcnt vmcnt(20)
	v_mul_f32_e32 v180, v8, v203
	v_add_f32_e32 v1, v1, v185
	v_add_f32_e32 v0, v0, v2
	v_mul_f32_e32 v2, v150, v162
	s_waitcnt vmcnt(9)
	v_fmac_f32_e32 v178, v7, v216
	s_waitcnt vmcnt(8)
	v_fmac_f32_e32 v177, v150, v217
	v_add_f32_e32 v1, v1, v186
	v_add_f32_e32 v0, v0, v4
	v_mul_f32_e32 v4, v7, v202
	v_fma_f32 v2, v149, v217, -v2
	s_waitcnt lgkmcnt(3)
	v_mul_f32_e32 v181, v151, v160
	v_add_f32_e32 v1, v1, v12
	v_add_f32_e32 v0, v0, v3
	v_mul_f32_e32 v3, v9, v203
	v_fma_f32 v4, v6, v216, -v4
	v_fmac_f32_e32 v180, v9, v215
	v_add_f32_e32 v1, v1, v174
	v_add_f32_e32 v0, v0, v2
	v_mul_f32_e32 v2, v152, v160
	v_fma_f32 v3, v8, v215, -v3
	v_mul_f32_e32 v179, v153, v204
	v_add_f32_e32 v1, v1, v176
	v_add_f32_e32 v0, v0, v4
	v_mul_f32_e32 v4, v154, v204
	v_fma_f32 v2, v151, v166, -v2
	v_fmac_f32_e32 v181, v152, v166
	v_add_f32_e32 v1, v1, v177
	v_add_f32_e32 v0, v0, v3
	s_waitcnt lgkmcnt(2)
	v_mul_f32_e32 v3, v140, v205
	s_waitcnt vmcnt(4)
	v_fma_f32 v4, v153, v218, -v4
	v_mul_f32_e32 v182, v139, v205
	v_add_f32_e32 v1, v1, v178
	v_add_f32_e32 v0, v0, v2
	v_fmac_f32_e32 v179, v154, v218
	v_mul_f32_e32 v2, v142, v163
	v_fma_f32 v3, v139, v170, -v3
	v_add_f32_e32 v1, v1, v180
	v_add_f32_e32 v0, v0, v4
	v_mul_f32_e32 v11, v141, v163
	v_fmac_f32_e32 v182, v140, v170
	s_waitcnt lgkmcnt(1)
	v_mul_f32_e32 v4, v156, v206
	v_add_f32_e32 v1, v1, v181
	v_fma_f32 v2, v141, v169, -v2
	v_add_f32_e32 v0, v0, v3
	v_mul_f32_e32 v183, v155, v206
	v_fmac_f32_e32 v11, v142, v169
	v_add_f32_e32 v1, v1, v179
	v_mul_f32_e32 v3, v158, v213
	v_fma_f32 v4, v155, v165, -v4
	v_add_f32_e32 v0, v0, v2
	v_mul_f32_e32 v184, v157, v213
	v_add_f32_e32 v1, v1, v182
	v_fmac_f32_e32 v183, v156, v165
	s_waitcnt lgkmcnt(0)
	v_mul_f32_e32 v2, v144, v164
	s_waitcnt vmcnt(1)
	v_fma_f32 v3, v157, v219, -v3
	v_add_f32_e32 v0, v0, v4
	v_add_f32_e32 v1, v1, v11
	v_mul_f32_e32 v10, v143, v164
	v_fmac_f32_e32 v184, v158, v219
	v_mul_f32_e32 v4, v146, v214
	v_fma_f32 v2, v143, v175, -v2
	v_add_f32_e32 v1, v1, v183
	v_add_f32_e32 v0, v0, v3
	v_mul_f32_e32 v185, v145, v214
	v_fmac_f32_e32 v10, v144, v175
	v_fma_f32 v3, v145, v172, -v4
	v_add_f32_e32 v1, v1, v184
	v_add_f32_e32 v0, v0, v2
	v_fmac_f32_e32 v185, v146, v172
	v_add_f32_e32 v1, v1, v10
	v_add_f32_e32 v0, v0, v3
	;; [unrolled: 1-line block ×3, first 2 shown]
	s_waitcnt vmcnt(0)
	v_sub_f32_e32 v0, v220, v0
	v_sub_f32_e32 v1, v173, v1
	buffer_store_dword v0, off, s[0:3], 0
	buffer_store_dword v1, off, s[0:3], 0 offset:4
	s_cbranch_vccz .LBB126_516
; %bb.392:
	v_mov_b32_e32 v0, 0
	global_load_dword v1, v0, s[12:13] offset:244
	s_waitcnt vmcnt(0)
	v_add_nc_u32_e32 v1, -1, v1
	v_cmp_ne_u32_e32 vcc_lo, 61, v1
	s_cbranch_vccz .LBB126_394
; %bb.393:
	v_lshlrev_b32_e32 v1, 3, v1
	s_clause 0x3
	buffer_load_dword v2, v1, s[0:3], 0 offen
	buffer_load_dword v3, v1, s[0:3], 0 offen offset:4
	buffer_load_dword v4, off, s[0:3], 0 offset:488
	buffer_load_dword v5, off, s[0:3], 0 offset:492
	s_waitcnt vmcnt(3)
	buffer_store_dword v2, off, s[0:3], 0 offset:488
	s_waitcnt vmcnt(2)
	buffer_store_dword v3, off, s[0:3], 0 offset:492
	s_waitcnt vmcnt(1)
	buffer_store_dword v4, v1, s[0:3], 0 offen
	s_waitcnt vmcnt(0)
	buffer_store_dword v5, v1, s[0:3], 0 offen offset:4
.LBB126_394:
	global_load_dword v0, v0, s[12:13] offset:240
	s_waitcnt vmcnt(0)
	v_add_nc_u32_e32 v0, -1, v0
	v_cmp_eq_u32_e32 vcc_lo, 60, v0
	s_cbranch_vccnz .LBB126_396
; %bb.395:
	v_lshlrev_b32_e32 v0, 3, v0
	s_clause 0x3
	buffer_load_dword v1, v0, s[0:3], 0 offen
	buffer_load_dword v2, v0, s[0:3], 0 offen offset:4
	buffer_load_dword v3, off, s[0:3], 0 offset:484
	buffer_load_dword v4, off, s[0:3], 0 offset:480
	s_waitcnt vmcnt(3)
	buffer_store_dword v1, off, s[0:3], 0 offset:480
	s_waitcnt vmcnt(2)
	buffer_store_dword v2, off, s[0:3], 0 offset:484
	s_waitcnt vmcnt(1)
	buffer_store_dword v3, v0, s[0:3], 0 offen offset:4
	s_waitcnt vmcnt(0)
	buffer_store_dword v4, v0, s[0:3], 0 offen
.LBB126_396:
	v_mov_b32_e32 v0, 0
	global_load_dword v1, v0, s[12:13] offset:236
	s_waitcnt vmcnt(0)
	v_add_nc_u32_e32 v1, -1, v1
	v_cmp_eq_u32_e32 vcc_lo, 59, v1
	s_cbranch_vccnz .LBB126_398
; %bb.397:
	v_lshlrev_b32_e32 v1, 3, v1
	s_clause 0x3
	buffer_load_dword v2, v1, s[0:3], 0 offen
	buffer_load_dword v3, v1, s[0:3], 0 offen offset:4
	buffer_load_dword v4, off, s[0:3], 0 offset:472
	buffer_load_dword v5, off, s[0:3], 0 offset:476
	s_waitcnt vmcnt(3)
	buffer_store_dword v2, off, s[0:3], 0 offset:472
	s_waitcnt vmcnt(2)
	buffer_store_dword v3, off, s[0:3], 0 offset:476
	s_waitcnt vmcnt(1)
	buffer_store_dword v4, v1, s[0:3], 0 offen
	s_waitcnt vmcnt(0)
	buffer_store_dword v5, v1, s[0:3], 0 offen offset:4
.LBB126_398:
	global_load_dword v0, v0, s[12:13] offset:232
	s_waitcnt vmcnt(0)
	v_add_nc_u32_e32 v0, -1, v0
	v_cmp_eq_u32_e32 vcc_lo, 58, v0
	s_cbranch_vccnz .LBB126_400
; %bb.399:
	v_lshlrev_b32_e32 v0, 3, v0
	s_clause 0x3
	buffer_load_dword v1, v0, s[0:3], 0 offen
	buffer_load_dword v2, v0, s[0:3], 0 offen offset:4
	buffer_load_dword v3, off, s[0:3], 0 offset:468
	buffer_load_dword v4, off, s[0:3], 0 offset:464
	s_waitcnt vmcnt(3)
	buffer_store_dword v1, off, s[0:3], 0 offset:464
	s_waitcnt vmcnt(2)
	buffer_store_dword v2, off, s[0:3], 0 offset:468
	s_waitcnt vmcnt(1)
	buffer_store_dword v3, v0, s[0:3], 0 offen offset:4
	s_waitcnt vmcnt(0)
	buffer_store_dword v4, v0, s[0:3], 0 offen
.LBB126_400:
	v_mov_b32_e32 v0, 0
	global_load_dword v1, v0, s[12:13] offset:228
	s_waitcnt vmcnt(0)
	v_add_nc_u32_e32 v1, -1, v1
	v_cmp_eq_u32_e32 vcc_lo, 57, v1
	s_cbranch_vccnz .LBB126_402
; %bb.401:
	v_lshlrev_b32_e32 v1, 3, v1
	s_clause 0x3
	buffer_load_dword v2, v1, s[0:3], 0 offen
	buffer_load_dword v3, v1, s[0:3], 0 offen offset:4
	buffer_load_dword v4, off, s[0:3], 0 offset:456
	buffer_load_dword v5, off, s[0:3], 0 offset:460
	s_waitcnt vmcnt(3)
	buffer_store_dword v2, off, s[0:3], 0 offset:456
	s_waitcnt vmcnt(2)
	buffer_store_dword v3, off, s[0:3], 0 offset:460
	s_waitcnt vmcnt(1)
	buffer_store_dword v4, v1, s[0:3], 0 offen
	s_waitcnt vmcnt(0)
	buffer_store_dword v5, v1, s[0:3], 0 offen offset:4
.LBB126_402:
	;; [unrolled: 43-line block ×30, first 2 shown]
	global_load_dword v0, v0, s[12:13]
	s_waitcnt vmcnt(0)
	v_add_nc_u32_e32 v0, -1, v0
	v_cmp_eq_u32_e32 vcc_lo, 0, v0
	s_cbranch_vccnz .LBB126_516
; %bb.515:
	v_lshlrev_b32_e32 v0, 3, v0
	s_clause 0x3
	buffer_load_dword v1, v0, s[0:3], 0 offen
	buffer_load_dword v2, v0, s[0:3], 0 offen offset:4
	buffer_load_dword v3, off, s[0:3], 0 offset:4
	buffer_load_dword v4, off, s[0:3], 0
	s_waitcnt vmcnt(3)
	buffer_store_dword v1, off, s[0:3], 0
	s_waitcnt vmcnt(2)
	buffer_store_dword v2, off, s[0:3], 0 offset:4
	s_waitcnt vmcnt(1)
	buffer_store_dword v3, v0, s[0:3], 0 offen offset:4
	s_waitcnt vmcnt(0)
	buffer_store_dword v4, v0, s[0:3], 0 offen
.LBB126_516:
	s_clause 0x1
	buffer_load_dword v0, off, s[0:3], 0
	buffer_load_dword v1, off, s[0:3], 0 offset:4
	s_waitcnt vmcnt(0)
	flat_store_dwordx2 v[13:14], v[0:1]
	s_clause 0x1
	buffer_load_dword v0, off, s[0:3], 0 offset:8
	buffer_load_dword v1, off, s[0:3], 0 offset:12
	s_waitcnt vmcnt(0)
	flat_store_dwordx2 v[15:16], v[0:1]
	s_clause 0x1
	buffer_load_dword v0, off, s[0:3], 0 offset:16
	;; [unrolled: 5-line block ×62, first 2 shown]
	buffer_load_dword v1, off, s[0:3], 0 offset:500
	s_waitcnt vmcnt(0)
	flat_store_dwordx2 v[137:138], v[0:1]
	s_endpgm
	.section	.rodata,"a",@progbits
	.p2align	6, 0x0
	.amdhsa_kernel _ZN9rocsolver6v33100L18getri_kernel_smallILi63E19rocblas_complex_numIfEPKPS3_EEvT1_iilPiilS8_bb
		.amdhsa_group_segment_fixed_size 1016
		.amdhsa_private_segment_fixed_size 512
		.amdhsa_kernarg_size 60
		.amdhsa_user_sgpr_count 6
		.amdhsa_user_sgpr_private_segment_buffer 1
		.amdhsa_user_sgpr_dispatch_ptr 0
		.amdhsa_user_sgpr_queue_ptr 0
		.amdhsa_user_sgpr_kernarg_segment_ptr 1
		.amdhsa_user_sgpr_dispatch_id 0
		.amdhsa_user_sgpr_flat_scratch_init 0
		.amdhsa_user_sgpr_private_segment_size 0
		.amdhsa_wavefront_size32 1
		.amdhsa_uses_dynamic_stack 0
		.amdhsa_system_sgpr_private_segment_wavefront_offset 1
		.amdhsa_system_sgpr_workgroup_id_x 1
		.amdhsa_system_sgpr_workgroup_id_y 0
		.amdhsa_system_sgpr_workgroup_id_z 0
		.amdhsa_system_sgpr_workgroup_info 0
		.amdhsa_system_vgpr_workitem_id 0
		.amdhsa_next_free_vgpr 250
		.amdhsa_next_free_sgpr 20
		.amdhsa_reserve_vcc 1
		.amdhsa_reserve_flat_scratch 0
		.amdhsa_float_round_mode_32 0
		.amdhsa_float_round_mode_16_64 0
		.amdhsa_float_denorm_mode_32 3
		.amdhsa_float_denorm_mode_16_64 3
		.amdhsa_dx10_clamp 1
		.amdhsa_ieee_mode 1
		.amdhsa_fp16_overflow 0
		.amdhsa_workgroup_processor_mode 1
		.amdhsa_memory_ordered 1
		.amdhsa_forward_progress 1
		.amdhsa_shared_vgpr_count 0
		.amdhsa_exception_fp_ieee_invalid_op 0
		.amdhsa_exception_fp_denorm_src 0
		.amdhsa_exception_fp_ieee_div_zero 0
		.amdhsa_exception_fp_ieee_overflow 0
		.amdhsa_exception_fp_ieee_underflow 0
		.amdhsa_exception_fp_ieee_inexact 0
		.amdhsa_exception_int_div_zero 0
	.end_amdhsa_kernel
	.section	.text._ZN9rocsolver6v33100L18getri_kernel_smallILi63E19rocblas_complex_numIfEPKPS3_EEvT1_iilPiilS8_bb,"axG",@progbits,_ZN9rocsolver6v33100L18getri_kernel_smallILi63E19rocblas_complex_numIfEPKPS3_EEvT1_iilPiilS8_bb,comdat
.Lfunc_end126:
	.size	_ZN9rocsolver6v33100L18getri_kernel_smallILi63E19rocblas_complex_numIfEPKPS3_EEvT1_iilPiilS8_bb, .Lfunc_end126-_ZN9rocsolver6v33100L18getri_kernel_smallILi63E19rocblas_complex_numIfEPKPS3_EEvT1_iilPiilS8_bb
                                        ; -- End function
	.set _ZN9rocsolver6v33100L18getri_kernel_smallILi63E19rocblas_complex_numIfEPKPS3_EEvT1_iilPiilS8_bb.num_vgpr, 250
	.set _ZN9rocsolver6v33100L18getri_kernel_smallILi63E19rocblas_complex_numIfEPKPS3_EEvT1_iilPiilS8_bb.num_agpr, 0
	.set _ZN9rocsolver6v33100L18getri_kernel_smallILi63E19rocblas_complex_numIfEPKPS3_EEvT1_iilPiilS8_bb.numbered_sgpr, 20
	.set _ZN9rocsolver6v33100L18getri_kernel_smallILi63E19rocblas_complex_numIfEPKPS3_EEvT1_iilPiilS8_bb.num_named_barrier, 0
	.set _ZN9rocsolver6v33100L18getri_kernel_smallILi63E19rocblas_complex_numIfEPKPS3_EEvT1_iilPiilS8_bb.private_seg_size, 512
	.set _ZN9rocsolver6v33100L18getri_kernel_smallILi63E19rocblas_complex_numIfEPKPS3_EEvT1_iilPiilS8_bb.uses_vcc, 1
	.set _ZN9rocsolver6v33100L18getri_kernel_smallILi63E19rocblas_complex_numIfEPKPS3_EEvT1_iilPiilS8_bb.uses_flat_scratch, 0
	.set _ZN9rocsolver6v33100L18getri_kernel_smallILi63E19rocblas_complex_numIfEPKPS3_EEvT1_iilPiilS8_bb.has_dyn_sized_stack, 0
	.set _ZN9rocsolver6v33100L18getri_kernel_smallILi63E19rocblas_complex_numIfEPKPS3_EEvT1_iilPiilS8_bb.has_recursion, 0
	.set _ZN9rocsolver6v33100L18getri_kernel_smallILi63E19rocblas_complex_numIfEPKPS3_EEvT1_iilPiilS8_bb.has_indirect_call, 0
	.section	.AMDGPU.csdata,"",@progbits
; Kernel info:
; codeLenInByte = 143336
; TotalNumSgprs: 22
; NumVgprs: 250
; ScratchSize: 512
; MemoryBound: 0
; FloatMode: 240
; IeeeMode: 1
; LDSByteSize: 1016 bytes/workgroup (compile time only)
; SGPRBlocks: 0
; VGPRBlocks: 31
; NumSGPRsForWavesPerEU: 22
; NumVGPRsForWavesPerEU: 250
; Occupancy: 4
; WaveLimiterHint : 1
; COMPUTE_PGM_RSRC2:SCRATCH_EN: 1
; COMPUTE_PGM_RSRC2:USER_SGPR: 6
; COMPUTE_PGM_RSRC2:TRAP_HANDLER: 0
; COMPUTE_PGM_RSRC2:TGID_X_EN: 1
; COMPUTE_PGM_RSRC2:TGID_Y_EN: 0
; COMPUTE_PGM_RSRC2:TGID_Z_EN: 0
; COMPUTE_PGM_RSRC2:TIDIG_COMP_CNT: 0
	.section	.text._ZN9rocsolver6v33100L18getri_kernel_smallILi64E19rocblas_complex_numIfEPKPS3_EEvT1_iilPiilS8_bb,"axG",@progbits,_ZN9rocsolver6v33100L18getri_kernel_smallILi64E19rocblas_complex_numIfEPKPS3_EEvT1_iilPiilS8_bb,comdat
	.globl	_ZN9rocsolver6v33100L18getri_kernel_smallILi64E19rocblas_complex_numIfEPKPS3_EEvT1_iilPiilS8_bb ; -- Begin function _ZN9rocsolver6v33100L18getri_kernel_smallILi64E19rocblas_complex_numIfEPKPS3_EEvT1_iilPiilS8_bb
	.p2align	8
	.type	_ZN9rocsolver6v33100L18getri_kernel_smallILi64E19rocblas_complex_numIfEPKPS3_EEvT1_iilPiilS8_bb,@function
_ZN9rocsolver6v33100L18getri_kernel_smallILi64E19rocblas_complex_numIfEPKPS3_EEvT1_iilPiilS8_bb: ; @_ZN9rocsolver6v33100L18getri_kernel_smallILi64E19rocblas_complex_numIfEPKPS3_EEvT1_iilPiilS8_bb
; %bb.0:
	s_add_u32 s0, s0, s7
	s_addc_u32 s1, s1, 0
	s_mov_b32 s7, exec_lo
	v_cmpx_gt_u32_e32 64, v0
	s_cbranch_execz .LBB127_270
; %bb.1:
	s_clause 0x2
	s_load_dword s17, s[4:5], 0x38
	s_load_dwordx2 s[12:13], s[4:5], 0x0
	s_load_dwordx4 s[8:11], s[4:5], 0x28
	s_waitcnt lgkmcnt(0)
	s_bitcmp1_b32 s17, 8
	s_cselect_b32 s16, -1, 0
	s_ashr_i32 s7, s6, 31
	s_lshl_b64 s[14:15], s[6:7], 3
	s_add_u32 s12, s12, s14
	s_addc_u32 s13, s13, s15
	s_load_dwordx2 s[14:15], s[12:13], 0x0
	s_bfe_u32 s12, s17, 0x10008
	s_cmp_eq_u32 s12, 0
                                        ; implicit-def: $sgpr12_sgpr13
	s_cbranch_scc1 .LBB127_3
; %bb.2:
	s_clause 0x1
	s_load_dword s12, s[4:5], 0x20
	s_load_dwordx2 s[18:19], s[4:5], 0x18
	s_mul_i32 s13, s8, s7
	s_mul_hi_u32 s17, s8, s6
	s_mul_i32 s9, s9, s6
	s_add_i32 s13, s17, s13
	s_mul_i32 s8, s8, s6
	s_add_i32 s9, s13, s9
	s_lshl_b64 s[8:9], s[8:9], 2
	s_waitcnt lgkmcnt(0)
	s_ashr_i32 s13, s12, 31
	s_add_u32 s17, s18, s8
	s_addc_u32 s18, s19, s9
	s_lshl_b64 s[8:9], s[12:13], 2
	s_add_u32 s12, s17, s8
	s_addc_u32 s13, s18, s9
.LBB127_3:
	s_clause 0x1
	s_load_dwordx2 s[8:9], s[4:5], 0x8
	s_load_dword s17, s[4:5], 0x38
	v_lshlrev_b32_e32 v3, 3, v0
	s_waitcnt lgkmcnt(0)
	s_ashr_i32 s5, s8, 31
	s_mov_b32 s4, s8
	v_add3_u32 v4, s9, s9, v0
	s_lshl_b64 s[4:5], s[4:5], 3
	s_add_u32 s4, s14, s4
	s_addc_u32 s5, s15, s5
	v_add_co_u32 v13, s8, s4, v3
	v_add_co_ci_u32_e64 v14, null, s5, 0, s8
	s_mov_b32 s14, s9
	s_ashr_i32 s15, s9, 31
	v_ashrrev_i32_e32 v5, 31, v4
	flat_load_dwordx2 v[1:2], v[13:14]
	s_lshl_b64 s[14:15], s[14:15], 3
	s_bitcmp0_b32 s17, 0
	v_add_co_u32 v15, vcc_lo, v13, s14
	v_add_co_ci_u32_e64 v16, null, s15, v14, vcc_lo
	v_lshlrev_b64 v[5:6], 3, v[4:5]
	v_add_nc_u32_e32 v4, s9, v4
	s_waitcnt vmcnt(0) lgkmcnt(0)
	buffer_store_dword v2, off, s[0:3], 0 offset:4
	buffer_store_dword v1, off, s[0:3], 0
	flat_load_dwordx2 v[1:2], v[15:16]
	v_add_co_u32 v17, vcc_lo, s4, v5
	v_add_co_ci_u32_e64 v18, null, s5, v6, vcc_lo
	v_ashrrev_i32_e32 v5, 31, v4
	s_waitcnt vmcnt(0) lgkmcnt(0)
	buffer_store_dword v2, off, s[0:3], 0 offset:12
	buffer_store_dword v1, off, s[0:3], 0 offset:8
	flat_load_dwordx2 v[1:2], v[17:18]
	v_lshlrev_b64 v[5:6], 3, v[4:5]
	v_add_nc_u32_e32 v4, s9, v4
	s_waitcnt vmcnt(0) lgkmcnt(0)
	buffer_store_dword v2, off, s[0:3], 0 offset:20
	buffer_store_dword v1, off, s[0:3], 0 offset:16
	v_add_co_u32 v19, vcc_lo, s4, v5
	v_add_co_ci_u32_e64 v20, null, s5, v6, vcc_lo
	v_ashrrev_i32_e32 v5, 31, v4
	flat_load_dwordx2 v[1:2], v[19:20]
	s_waitcnt vmcnt(0) lgkmcnt(0)
	buffer_store_dword v2, off, s[0:3], 0 offset:28
	buffer_store_dword v1, off, s[0:3], 0 offset:24
	v_lshlrev_b64 v[5:6], 3, v[4:5]
	v_add_nc_u32_e32 v4, s9, v4
	v_add_co_u32 v21, vcc_lo, s4, v5
	v_add_co_ci_u32_e64 v22, null, s5, v6, vcc_lo
	v_ashrrev_i32_e32 v5, 31, v4
	flat_load_dwordx2 v[1:2], v[21:22]
	s_waitcnt vmcnt(0) lgkmcnt(0)
	buffer_store_dword v2, off, s[0:3], 0 offset:36
	buffer_store_dword v1, off, s[0:3], 0 offset:32
	v_lshlrev_b64 v[5:6], 3, v[4:5]
	v_add_nc_u32_e32 v4, s9, v4
	;; [unrolled: 9-line block ×59, first 2 shown]
	v_add_co_u32 v137, vcc_lo, s4, v5
	v_add_co_ci_u32_e64 v138, null, s5, v6, vcc_lo
	v_ashrrev_i32_e32 v5, 31, v4
	flat_load_dwordx2 v[1:2], v[137:138]
	s_waitcnt vmcnt(0) lgkmcnt(0)
	buffer_store_dword v2, off, s[0:3], 0 offset:500
	buffer_store_dword v1, off, s[0:3], 0 offset:496
	v_lshlrev_b64 v[4:5], 3, v[4:5]
	v_add_co_u32 v139, vcc_lo, s4, v4
	v_add_co_ci_u32_e64 v140, null, s5, v5, vcc_lo
	s_mov_b32 s5, -1
	flat_load_dwordx2 v[1:2], v[139:140]
	s_waitcnt vmcnt(0) lgkmcnt(0)
	buffer_store_dword v2, off, s[0:3], 0 offset:508
	buffer_store_dword v1, off, s[0:3], 0 offset:504
	s_cbranch_scc1 .LBB127_268
; %bb.4:
	v_cmp_eq_u32_e64 s4, 0, v0
	s_and_saveexec_b32 s5, s4
; %bb.5:
	v_mov_b32_e32 v1, 0
	ds_write_b32 v1, v1 offset:1024
; %bb.6:
	s_or_b32 exec_lo, exec_lo, s5
	v_lshl_add_u32 v5, v0, 3, 0
	s_waitcnt lgkmcnt(0)
	s_waitcnt_vscnt null, 0x0
	s_barrier
	buffer_gl0_inv
	s_clause 0x1
	buffer_load_dword v1, v5, s[0:3], 0 offen
	buffer_load_dword v2, v5, s[0:3], 0 offen offset:4
	s_waitcnt vmcnt(1)
	v_cmp_eq_f32_e32 vcc_lo, 0, v1
	s_waitcnt vmcnt(0)
	v_cmp_eq_f32_e64 s5, 0, v2
	s_and_b32 s5, vcc_lo, s5
	s_and_saveexec_b32 s8, s5
	s_cbranch_execz .LBB127_10
; %bb.7:
	v_mov_b32_e32 v1, 0
	s_mov_b32 s9, 0
	ds_read_b32 v2, v1 offset:1024
	s_waitcnt lgkmcnt(0)
	v_readfirstlane_b32 s5, v2
	v_add_nc_u32_e32 v2, 1, v0
	s_cmp_eq_u32 s5, 0
	v_cmp_gt_i32_e32 vcc_lo, s5, v2
	s_cselect_b32 s14, -1, 0
	s_or_b32 s14, s14, vcc_lo
	s_and_b32 exec_lo, exec_lo, s14
	s_cbranch_execz .LBB127_10
; %bb.8:
	v_mov_b32_e32 v4, s5
.LBB127_9:                              ; =>This Inner Loop Header: Depth=1
	ds_cmpst_rtn_b32 v4, v1, v4, v2 offset:1024
	s_waitcnt lgkmcnt(0)
	v_cmp_ne_u32_e32 vcc_lo, 0, v4
	v_cmp_le_i32_e64 s5, v4, v2
	s_and_b32 s5, vcc_lo, s5
	s_and_b32 s5, exec_lo, s5
	s_or_b32 s9, s5, s9
	s_andn2_b32 exec_lo, exec_lo, s9
	s_cbranch_execnz .LBB127_9
.LBB127_10:
	s_or_b32 exec_lo, exec_lo, s8
	v_mov_b32_e32 v1, 0
	s_barrier
	buffer_gl0_inv
	ds_read_b32 v2, v1 offset:1024
	s_and_saveexec_b32 s5, s4
	s_cbranch_execz .LBB127_12
; %bb.11:
	s_lshl_b64 s[8:9], s[6:7], 2
	s_add_u32 s8, s10, s8
	s_addc_u32 s9, s11, s9
	s_waitcnt lgkmcnt(0)
	global_store_dword v1, v2, s[8:9]
.LBB127_12:
	s_or_b32 exec_lo, exec_lo, s5
	s_waitcnt lgkmcnt(0)
	v_cmp_ne_u32_e32 vcc_lo, 0, v2
	s_mov_b32 s5, 0
	s_cbranch_vccnz .LBB127_268
; %bb.13:
	s_clause 0x1
	buffer_load_dword v2, v5, s[0:3], 0 offen
	buffer_load_dword v4, v5, s[0:3], 0 offen offset:4
                                        ; implicit-def: $vgpr7
                                        ; implicit-def: $vgpr6
                                        ; implicit-def: $vgpr1
	s_waitcnt vmcnt(0)
	v_cmp_ngt_f32_e64 s5, |v2|, |v4|
	s_and_saveexec_b32 s8, s5
	s_xor_b32 s5, exec_lo, s8
	s_cbranch_execz .LBB127_15
; %bb.14:
	v_div_scale_f32 v1, null, v4, v4, v2
	v_div_scale_f32 v8, vcc_lo, v2, v4, v2
	v_rcp_f32_e32 v6, v1
	v_fma_f32 v7, -v1, v6, 1.0
	v_fmac_f32_e32 v6, v7, v6
	v_mul_f32_e32 v7, v8, v6
	v_fma_f32 v9, -v1, v7, v8
	v_fmac_f32_e32 v7, v9, v6
	v_fma_f32 v1, -v1, v7, v8
	v_div_fmas_f32 v1, v1, v6, v7
	v_div_fixup_f32 v1, v1, v4, v2
	v_fmac_f32_e32 v4, v2, v1
	v_div_scale_f32 v2, null, v4, v4, 1.0
	v_rcp_f32_e32 v6, v2
	v_fma_f32 v7, -v2, v6, 1.0
	v_fmac_f32_e32 v6, v7, v6
	v_div_scale_f32 v7, vcc_lo, 1.0, v4, 1.0
	v_mul_f32_e32 v8, v7, v6
	v_fma_f32 v9, -v2, v8, v7
	v_fmac_f32_e32 v8, v9, v6
	v_fma_f32 v2, -v2, v8, v7
	v_div_fmas_f32 v2, v2, v6, v8
	v_div_fixup_f32 v2, v2, v4, 1.0
                                        ; implicit-def: $vgpr4
	v_mul_f32_e32 v7, v1, v2
	v_xor_b32_e32 v6, 0x80000000, v2
                                        ; implicit-def: $vgpr2
	v_xor_b32_e32 v1, 0x80000000, v7
.LBB127_15:
	s_andn2_saveexec_b32 s5, s5
	s_cbranch_execz .LBB127_17
; %bb.16:
	v_div_scale_f32 v1, null, v2, v2, v4
	v_div_scale_f32 v8, vcc_lo, v4, v2, v4
	v_rcp_f32_e32 v6, v1
	v_fma_f32 v7, -v1, v6, 1.0
	v_fmac_f32_e32 v6, v7, v6
	v_mul_f32_e32 v7, v8, v6
	v_fma_f32 v9, -v1, v7, v8
	v_fmac_f32_e32 v7, v9, v6
	v_fma_f32 v1, -v1, v7, v8
	v_div_fmas_f32 v1, v1, v6, v7
	v_div_fixup_f32 v6, v1, v2, v4
	v_fmac_f32_e32 v2, v4, v6
	v_div_scale_f32 v1, null, v2, v2, 1.0
	v_div_scale_f32 v8, vcc_lo, 1.0, v2, 1.0
	v_rcp_f32_e32 v4, v1
	v_fma_f32 v7, -v1, v4, 1.0
	v_fmac_f32_e32 v4, v7, v4
	v_mul_f32_e32 v7, v8, v4
	v_fma_f32 v9, -v1, v7, v8
	v_fmac_f32_e32 v7, v9, v4
	v_fma_f32 v1, -v1, v7, v8
	v_div_fmas_f32 v1, v1, v4, v7
	v_div_fixup_f32 v7, v1, v2, 1.0
	v_xor_b32_e32 v1, 0x80000000, v7
	v_mul_f32_e64 v6, v6, -v7
.LBB127_17:
	s_or_b32 exec_lo, exec_lo, s5
	buffer_store_dword v7, v5, s[0:3], 0 offen
	buffer_store_dword v6, v5, s[0:3], 0 offen offset:4
	s_clause 0x1
	buffer_load_dword v8, off, s[0:3], 0 offset:12
	buffer_load_dword v7, off, s[0:3], 0 offset:8
	v_xor_b32_e32 v2, 0x80000000, v6
	v_or_b32_e32 v4, 0x200, v3
	s_waitcnt vmcnt(0)
	ds_write2st64_b64 v3, v[1:2], v[7:8] offset1:1
	s_waitcnt lgkmcnt(0)
	s_waitcnt_vscnt null, 0x0
	s_barrier
	buffer_gl0_inv
	s_and_saveexec_b32 s5, s4
	s_cbranch_execz .LBB127_19
; %bb.18:
	s_clause 0x1
	buffer_load_dword v8, v5, s[0:3], 0 offen offset:4
	buffer_load_dword v9, v5, s[0:3], 0 offen
	ds_read_b64 v[1:2], v4
	v_mov_b32_e32 v6, 0
	ds_read_b64 v[6:7], v6 offset:8
	s_waitcnt vmcnt(1) lgkmcnt(1)
	v_mul_f32_e32 v10, v1, v8
	v_mul_f32_e32 v8, v2, v8
	s_waitcnt vmcnt(0)
	v_fmac_f32_e32 v10, v2, v9
	v_fma_f32 v1, v1, v9, -v8
	v_add_f32_e32 v2, 0, v10
	v_add_f32_e32 v1, 0, v1
	s_waitcnt lgkmcnt(0)
	v_mul_f32_e32 v8, v2, v7
	v_mul_f32_e32 v7, v1, v7
	v_fma_f32 v1, v1, v6, -v8
	v_fmac_f32_e32 v7, v2, v6
	buffer_store_dword v1, off, s[0:3], 0 offset:8
	buffer_store_dword v7, off, s[0:3], 0 offset:12
.LBB127_19:
	s_or_b32 exec_lo, exec_lo, s5
	s_waitcnt_vscnt null, 0x0
	s_barrier
	buffer_gl0_inv
	s_clause 0x1
	buffer_load_dword v1, off, s[0:3], 0 offset:16
	buffer_load_dword v2, off, s[0:3], 0 offset:20
	s_mov_b32 s5, exec_lo
	s_waitcnt vmcnt(0)
	ds_write_b64 v4, v[1:2]
	s_waitcnt lgkmcnt(0)
	s_barrier
	buffer_gl0_inv
	v_cmpx_gt_u32_e32 2, v0
	s_cbranch_execz .LBB127_23
; %bb.20:
	s_clause 0x1
	buffer_load_dword v6, v5, s[0:3], 0 offen offset:4
	buffer_load_dword v5, v5, s[0:3], 0 offen
	ds_read_b64 v[1:2], v4
	s_waitcnt vmcnt(1) lgkmcnt(0)
	v_mul_f32_e32 v7, v2, v6
	v_mul_f32_e32 v6, v1, v6
	s_waitcnt vmcnt(0)
	v_fma_f32 v1, v1, v5, -v7
	v_fmac_f32_e32 v6, v2, v5
	v_add_f32_e32 v2, 0, v1
	v_add_f32_e32 v1, 0, v6
	s_and_saveexec_b32 s8, s4
	s_cbranch_execz .LBB127_22
; %bb.21:
	s_clause 0x1
	buffer_load_dword v7, off, s[0:3], 0 offset:12
	buffer_load_dword v8, off, s[0:3], 0 offset:8
	v_mov_b32_e32 v5, 0
	ds_read_b64 v[5:6], v5 offset:520
	s_waitcnt vmcnt(1) lgkmcnt(0)
	v_mul_f32_e32 v9, v5, v7
	v_mul_f32_e32 v7, v6, v7
	s_waitcnt vmcnt(0)
	v_fmac_f32_e32 v9, v6, v8
	v_fma_f32 v5, v5, v8, -v7
	v_add_f32_e32 v1, v1, v9
	v_add_f32_e32 v2, v2, v5
.LBB127_22:
	s_or_b32 exec_lo, exec_lo, s8
	v_mov_b32_e32 v5, 0
	ds_read_b64 v[5:6], v5 offset:16
	s_waitcnt lgkmcnt(0)
	v_mul_f32_e32 v7, v1, v6
	v_mul_f32_e32 v6, v2, v6
	v_fma_f32 v2, v2, v5, -v7
	v_fmac_f32_e32 v6, v1, v5
	buffer_store_dword v2, off, s[0:3], 0 offset:16
	buffer_store_dword v6, off, s[0:3], 0 offset:20
.LBB127_23:
	s_or_b32 exec_lo, exec_lo, s5
	s_waitcnt_vscnt null, 0x0
	s_barrier
	buffer_gl0_inv
	s_clause 0x1
	buffer_load_dword v5, off, s[0:3], 0 offset:24
	buffer_load_dword v6, off, s[0:3], 0 offset:28
	v_add_nc_u32_e32 v1, -1, v0
	s_mov_b32 s4, exec_lo
	s_waitcnt vmcnt(0)
	ds_write_b64 v4, v[5:6]
	s_waitcnt lgkmcnt(0)
	s_barrier
	buffer_gl0_inv
	v_cmpx_gt_u32_e32 3, v0
	s_cbranch_execz .LBB127_27
; %bb.24:
	v_add_nc_u32_e32 v5, -1, v0
	v_or_b32_e32 v6, 0x200, v3
	v_mov_b32_e32 v7, v3
	v_mov_b32_e32 v2, 0
	;; [unrolled: 1-line block ×3, first 2 shown]
	s_mov_b32 s5, 0
	.p2align	6
.LBB127_25:                             ; =>This Inner Loop Header: Depth=1
	s_clause 0x1
	buffer_load_dword v11, v7, s[0:3], 0 offen offset:4
	buffer_load_dword v12, v7, s[0:3], 0 offen
	ds_read_b64 v[9:10], v6
	v_add_nc_u32_e32 v5, 1, v5
	v_add_nc_u32_e32 v6, 8, v6
	;; [unrolled: 1-line block ×3, first 2 shown]
	v_cmp_lt_u32_e32 vcc_lo, 1, v5
	s_or_b32 s5, vcc_lo, s5
	s_waitcnt vmcnt(1) lgkmcnt(0)
	v_mul_f32_e32 v141, v10, v11
	v_mul_f32_e32 v11, v9, v11
	s_waitcnt vmcnt(0)
	v_fma_f32 v9, v9, v12, -v141
	v_fmac_f32_e32 v11, v10, v12
	v_add_f32_e32 v8, v8, v9
	v_add_f32_e32 v2, v2, v11
	s_andn2_b32 exec_lo, exec_lo, s5
	s_cbranch_execnz .LBB127_25
; %bb.26:
	s_or_b32 exec_lo, exec_lo, s5
	v_mov_b32_e32 v5, 0
	ds_read_b64 v[5:6], v5 offset:24
	s_waitcnt lgkmcnt(0)
	v_mul_f32_e32 v7, v2, v6
	v_mul_f32_e32 v6, v8, v6
	v_fma_f32 v7, v8, v5, -v7
	v_fmac_f32_e32 v6, v2, v5
	buffer_store_dword v7, off, s[0:3], 0 offset:24
	buffer_store_dword v6, off, s[0:3], 0 offset:28
.LBB127_27:
	s_or_b32 exec_lo, exec_lo, s4
	s_waitcnt_vscnt null, 0x0
	s_barrier
	buffer_gl0_inv
	s_clause 0x1
	buffer_load_dword v5, off, s[0:3], 0 offset:32
	buffer_load_dword v6, off, s[0:3], 0 offset:36
	s_mov_b32 s4, exec_lo
	s_waitcnt vmcnt(0)
	ds_write_b64 v4, v[5:6]
	s_waitcnt lgkmcnt(0)
	s_barrier
	buffer_gl0_inv
	v_cmpx_gt_u32_e32 4, v0
	s_cbranch_execz .LBB127_31
; %bb.28:
	v_add_nc_u32_e32 v5, -1, v0
	v_or_b32_e32 v6, 0x200, v3
	v_mov_b32_e32 v7, v3
	v_mov_b32_e32 v2, 0
	;; [unrolled: 1-line block ×3, first 2 shown]
	s_mov_b32 s5, 0
	.p2align	6
.LBB127_29:                             ; =>This Inner Loop Header: Depth=1
	s_clause 0x1
	buffer_load_dword v11, v7, s[0:3], 0 offen offset:4
	buffer_load_dword v12, v7, s[0:3], 0 offen
	ds_read_b64 v[9:10], v6
	v_add_nc_u32_e32 v5, 1, v5
	v_add_nc_u32_e32 v6, 8, v6
	;; [unrolled: 1-line block ×3, first 2 shown]
	v_cmp_lt_u32_e32 vcc_lo, 2, v5
	s_or_b32 s5, vcc_lo, s5
	s_waitcnt vmcnt(1) lgkmcnt(0)
	v_mul_f32_e32 v141, v10, v11
	v_mul_f32_e32 v11, v9, v11
	s_waitcnt vmcnt(0)
	v_fma_f32 v9, v9, v12, -v141
	v_fmac_f32_e32 v11, v10, v12
	v_add_f32_e32 v8, v8, v9
	v_add_f32_e32 v2, v2, v11
	s_andn2_b32 exec_lo, exec_lo, s5
	s_cbranch_execnz .LBB127_29
; %bb.30:
	s_or_b32 exec_lo, exec_lo, s5
	v_mov_b32_e32 v5, 0
	ds_read_b64 v[5:6], v5 offset:32
	s_waitcnt lgkmcnt(0)
	v_mul_f32_e32 v7, v2, v6
	v_mul_f32_e32 v6, v8, v6
	v_fma_f32 v7, v8, v5, -v7
	v_fmac_f32_e32 v6, v2, v5
	buffer_store_dword v7, off, s[0:3], 0 offset:32
	buffer_store_dword v6, off, s[0:3], 0 offset:36
.LBB127_31:
	s_or_b32 exec_lo, exec_lo, s4
	s_waitcnt_vscnt null, 0x0
	s_barrier
	buffer_gl0_inv
	s_clause 0x1
	buffer_load_dword v5, off, s[0:3], 0 offset:40
	buffer_load_dword v6, off, s[0:3], 0 offset:44
	s_mov_b32 s4, exec_lo
	s_waitcnt vmcnt(0)
	ds_write_b64 v4, v[5:6]
	s_waitcnt lgkmcnt(0)
	s_barrier
	buffer_gl0_inv
	v_cmpx_gt_u32_e32 5, v0
	s_cbranch_execz .LBB127_35
; %bb.32:
	v_add_nc_u32_e32 v5, -1, v0
	v_or_b32_e32 v6, 0x200, v3
	v_mov_b32_e32 v7, v3
	v_mov_b32_e32 v2, 0
	;; [unrolled: 1-line block ×3, first 2 shown]
	s_mov_b32 s5, 0
	.p2align	6
.LBB127_33:                             ; =>This Inner Loop Header: Depth=1
	s_clause 0x1
	buffer_load_dword v11, v7, s[0:3], 0 offen offset:4
	buffer_load_dword v12, v7, s[0:3], 0 offen
	ds_read_b64 v[9:10], v6
	v_add_nc_u32_e32 v5, 1, v5
	v_add_nc_u32_e32 v6, 8, v6
	;; [unrolled: 1-line block ×3, first 2 shown]
	v_cmp_lt_u32_e32 vcc_lo, 3, v5
	s_or_b32 s5, vcc_lo, s5
	s_waitcnt vmcnt(1) lgkmcnt(0)
	v_mul_f32_e32 v141, v10, v11
	v_mul_f32_e32 v11, v9, v11
	s_waitcnt vmcnt(0)
	v_fma_f32 v9, v9, v12, -v141
	v_fmac_f32_e32 v11, v10, v12
	v_add_f32_e32 v8, v8, v9
	v_add_f32_e32 v2, v2, v11
	s_andn2_b32 exec_lo, exec_lo, s5
	s_cbranch_execnz .LBB127_33
; %bb.34:
	s_or_b32 exec_lo, exec_lo, s5
	v_mov_b32_e32 v5, 0
	ds_read_b64 v[5:6], v5 offset:40
	s_waitcnt lgkmcnt(0)
	v_mul_f32_e32 v7, v2, v6
	v_mul_f32_e32 v6, v8, v6
	v_fma_f32 v7, v8, v5, -v7
	v_fmac_f32_e32 v6, v2, v5
	buffer_store_dword v7, off, s[0:3], 0 offset:40
	buffer_store_dword v6, off, s[0:3], 0 offset:44
.LBB127_35:
	s_or_b32 exec_lo, exec_lo, s4
	s_waitcnt_vscnt null, 0x0
	s_barrier
	buffer_gl0_inv
	s_clause 0x1
	buffer_load_dword v5, off, s[0:3], 0 offset:48
	buffer_load_dword v6, off, s[0:3], 0 offset:52
	s_mov_b32 s4, exec_lo
	s_waitcnt vmcnt(0)
	ds_write_b64 v4, v[5:6]
	s_waitcnt lgkmcnt(0)
	s_barrier
	buffer_gl0_inv
	v_cmpx_gt_u32_e32 6, v0
	s_cbranch_execz .LBB127_39
; %bb.36:
	v_add_nc_u32_e32 v5, -1, v0
	v_or_b32_e32 v6, 0x200, v3
	v_mov_b32_e32 v7, v3
	v_mov_b32_e32 v2, 0
	;; [unrolled: 1-line block ×3, first 2 shown]
	s_mov_b32 s5, 0
	.p2align	6
.LBB127_37:                             ; =>This Inner Loop Header: Depth=1
	s_clause 0x1
	buffer_load_dword v11, v7, s[0:3], 0 offen offset:4
	buffer_load_dword v12, v7, s[0:3], 0 offen
	ds_read_b64 v[9:10], v6
	v_add_nc_u32_e32 v5, 1, v5
	v_add_nc_u32_e32 v6, 8, v6
	;; [unrolled: 1-line block ×3, first 2 shown]
	v_cmp_lt_u32_e32 vcc_lo, 4, v5
	s_or_b32 s5, vcc_lo, s5
	s_waitcnt vmcnt(1) lgkmcnt(0)
	v_mul_f32_e32 v141, v10, v11
	v_mul_f32_e32 v11, v9, v11
	s_waitcnt vmcnt(0)
	v_fma_f32 v9, v9, v12, -v141
	v_fmac_f32_e32 v11, v10, v12
	v_add_f32_e32 v8, v8, v9
	v_add_f32_e32 v2, v2, v11
	s_andn2_b32 exec_lo, exec_lo, s5
	s_cbranch_execnz .LBB127_37
; %bb.38:
	s_or_b32 exec_lo, exec_lo, s5
	v_mov_b32_e32 v5, 0
	ds_read_b64 v[5:6], v5 offset:48
	s_waitcnt lgkmcnt(0)
	v_mul_f32_e32 v7, v2, v6
	v_mul_f32_e32 v6, v8, v6
	v_fma_f32 v7, v8, v5, -v7
	v_fmac_f32_e32 v6, v2, v5
	buffer_store_dword v7, off, s[0:3], 0 offset:48
	buffer_store_dword v6, off, s[0:3], 0 offset:52
.LBB127_39:
	s_or_b32 exec_lo, exec_lo, s4
	s_waitcnt_vscnt null, 0x0
	s_barrier
	buffer_gl0_inv
	s_clause 0x1
	buffer_load_dword v5, off, s[0:3], 0 offset:56
	buffer_load_dword v6, off, s[0:3], 0 offset:60
	s_mov_b32 s4, exec_lo
	s_waitcnt vmcnt(0)
	ds_write_b64 v4, v[5:6]
	s_waitcnt lgkmcnt(0)
	s_barrier
	buffer_gl0_inv
	v_cmpx_gt_u32_e32 7, v0
	s_cbranch_execz .LBB127_43
; %bb.40:
	v_add_nc_u32_e32 v5, -1, v0
	v_or_b32_e32 v6, 0x200, v3
	v_mov_b32_e32 v7, v3
	v_mov_b32_e32 v2, 0
	;; [unrolled: 1-line block ×3, first 2 shown]
	s_mov_b32 s5, 0
	.p2align	6
.LBB127_41:                             ; =>This Inner Loop Header: Depth=1
	s_clause 0x1
	buffer_load_dword v11, v7, s[0:3], 0 offen offset:4
	buffer_load_dword v12, v7, s[0:3], 0 offen
	ds_read_b64 v[9:10], v6
	v_add_nc_u32_e32 v5, 1, v5
	v_add_nc_u32_e32 v6, 8, v6
	;; [unrolled: 1-line block ×3, first 2 shown]
	v_cmp_lt_u32_e32 vcc_lo, 5, v5
	s_or_b32 s5, vcc_lo, s5
	s_waitcnt vmcnt(1) lgkmcnt(0)
	v_mul_f32_e32 v141, v10, v11
	v_mul_f32_e32 v11, v9, v11
	s_waitcnt vmcnt(0)
	v_fma_f32 v9, v9, v12, -v141
	v_fmac_f32_e32 v11, v10, v12
	v_add_f32_e32 v8, v8, v9
	v_add_f32_e32 v2, v2, v11
	s_andn2_b32 exec_lo, exec_lo, s5
	s_cbranch_execnz .LBB127_41
; %bb.42:
	s_or_b32 exec_lo, exec_lo, s5
	v_mov_b32_e32 v5, 0
	ds_read_b64 v[5:6], v5 offset:56
	s_waitcnt lgkmcnt(0)
	v_mul_f32_e32 v7, v2, v6
	v_mul_f32_e32 v6, v8, v6
	v_fma_f32 v7, v8, v5, -v7
	v_fmac_f32_e32 v6, v2, v5
	buffer_store_dword v7, off, s[0:3], 0 offset:56
	buffer_store_dword v6, off, s[0:3], 0 offset:60
.LBB127_43:
	s_or_b32 exec_lo, exec_lo, s4
	s_waitcnt_vscnt null, 0x0
	s_barrier
	buffer_gl0_inv
	s_clause 0x1
	buffer_load_dword v5, off, s[0:3], 0 offset:64
	buffer_load_dword v6, off, s[0:3], 0 offset:68
	s_mov_b32 s4, exec_lo
	s_waitcnt vmcnt(0)
	ds_write_b64 v4, v[5:6]
	s_waitcnt lgkmcnt(0)
	s_barrier
	buffer_gl0_inv
	v_cmpx_gt_u32_e32 8, v0
	s_cbranch_execz .LBB127_47
; %bb.44:
	v_add_nc_u32_e32 v5, -1, v0
	v_or_b32_e32 v6, 0x200, v3
	v_mov_b32_e32 v7, v3
	v_mov_b32_e32 v2, 0
	;; [unrolled: 1-line block ×3, first 2 shown]
	s_mov_b32 s5, 0
	.p2align	6
.LBB127_45:                             ; =>This Inner Loop Header: Depth=1
	s_clause 0x1
	buffer_load_dword v11, v7, s[0:3], 0 offen offset:4
	buffer_load_dword v12, v7, s[0:3], 0 offen
	ds_read_b64 v[9:10], v6
	v_add_nc_u32_e32 v5, 1, v5
	v_add_nc_u32_e32 v6, 8, v6
	;; [unrolled: 1-line block ×3, first 2 shown]
	v_cmp_lt_u32_e32 vcc_lo, 6, v5
	s_or_b32 s5, vcc_lo, s5
	s_waitcnt vmcnt(1) lgkmcnt(0)
	v_mul_f32_e32 v141, v10, v11
	v_mul_f32_e32 v11, v9, v11
	s_waitcnt vmcnt(0)
	v_fma_f32 v9, v9, v12, -v141
	v_fmac_f32_e32 v11, v10, v12
	v_add_f32_e32 v8, v8, v9
	v_add_f32_e32 v2, v2, v11
	s_andn2_b32 exec_lo, exec_lo, s5
	s_cbranch_execnz .LBB127_45
; %bb.46:
	s_or_b32 exec_lo, exec_lo, s5
	v_mov_b32_e32 v5, 0
	ds_read_b64 v[5:6], v5 offset:64
	s_waitcnt lgkmcnt(0)
	v_mul_f32_e32 v7, v2, v6
	v_mul_f32_e32 v6, v8, v6
	v_fma_f32 v7, v8, v5, -v7
	v_fmac_f32_e32 v6, v2, v5
	buffer_store_dword v7, off, s[0:3], 0 offset:64
	buffer_store_dword v6, off, s[0:3], 0 offset:68
.LBB127_47:
	s_or_b32 exec_lo, exec_lo, s4
	s_waitcnt_vscnt null, 0x0
	s_barrier
	buffer_gl0_inv
	s_clause 0x1
	buffer_load_dword v5, off, s[0:3], 0 offset:72
	buffer_load_dword v6, off, s[0:3], 0 offset:76
	s_mov_b32 s4, exec_lo
	s_waitcnt vmcnt(0)
	ds_write_b64 v4, v[5:6]
	s_waitcnt lgkmcnt(0)
	s_barrier
	buffer_gl0_inv
	v_cmpx_gt_u32_e32 9, v0
	s_cbranch_execz .LBB127_51
; %bb.48:
	v_add_nc_u32_e32 v5, -1, v0
	v_or_b32_e32 v6, 0x200, v3
	v_mov_b32_e32 v7, v3
	v_mov_b32_e32 v2, 0
	;; [unrolled: 1-line block ×3, first 2 shown]
	s_mov_b32 s5, 0
	.p2align	6
.LBB127_49:                             ; =>This Inner Loop Header: Depth=1
	s_clause 0x1
	buffer_load_dword v11, v7, s[0:3], 0 offen offset:4
	buffer_load_dword v12, v7, s[0:3], 0 offen
	ds_read_b64 v[9:10], v6
	v_add_nc_u32_e32 v5, 1, v5
	v_add_nc_u32_e32 v6, 8, v6
	;; [unrolled: 1-line block ×3, first 2 shown]
	v_cmp_lt_u32_e32 vcc_lo, 7, v5
	s_or_b32 s5, vcc_lo, s5
	s_waitcnt vmcnt(1) lgkmcnt(0)
	v_mul_f32_e32 v141, v10, v11
	v_mul_f32_e32 v11, v9, v11
	s_waitcnt vmcnt(0)
	v_fma_f32 v9, v9, v12, -v141
	v_fmac_f32_e32 v11, v10, v12
	v_add_f32_e32 v8, v8, v9
	v_add_f32_e32 v2, v2, v11
	s_andn2_b32 exec_lo, exec_lo, s5
	s_cbranch_execnz .LBB127_49
; %bb.50:
	s_or_b32 exec_lo, exec_lo, s5
	v_mov_b32_e32 v5, 0
	ds_read_b64 v[5:6], v5 offset:72
	s_waitcnt lgkmcnt(0)
	v_mul_f32_e32 v7, v2, v6
	v_mul_f32_e32 v6, v8, v6
	v_fma_f32 v7, v8, v5, -v7
	v_fmac_f32_e32 v6, v2, v5
	buffer_store_dword v7, off, s[0:3], 0 offset:72
	buffer_store_dword v6, off, s[0:3], 0 offset:76
.LBB127_51:
	s_or_b32 exec_lo, exec_lo, s4
	s_waitcnt_vscnt null, 0x0
	s_barrier
	buffer_gl0_inv
	s_clause 0x1
	buffer_load_dword v5, off, s[0:3], 0 offset:80
	buffer_load_dword v6, off, s[0:3], 0 offset:84
	s_mov_b32 s4, exec_lo
	s_waitcnt vmcnt(0)
	ds_write_b64 v4, v[5:6]
	s_waitcnt lgkmcnt(0)
	s_barrier
	buffer_gl0_inv
	v_cmpx_gt_u32_e32 10, v0
	s_cbranch_execz .LBB127_55
; %bb.52:
	v_add_nc_u32_e32 v5, -1, v0
	v_or_b32_e32 v6, 0x200, v3
	v_mov_b32_e32 v7, v3
	v_mov_b32_e32 v2, 0
	;; [unrolled: 1-line block ×3, first 2 shown]
	s_mov_b32 s5, 0
	.p2align	6
.LBB127_53:                             ; =>This Inner Loop Header: Depth=1
	s_clause 0x1
	buffer_load_dword v11, v7, s[0:3], 0 offen offset:4
	buffer_load_dword v12, v7, s[0:3], 0 offen
	ds_read_b64 v[9:10], v6
	v_add_nc_u32_e32 v5, 1, v5
	v_add_nc_u32_e32 v6, 8, v6
	v_add_nc_u32_e32 v7, 8, v7
	v_cmp_lt_u32_e32 vcc_lo, 8, v5
	s_or_b32 s5, vcc_lo, s5
	s_waitcnt vmcnt(1) lgkmcnt(0)
	v_mul_f32_e32 v141, v10, v11
	v_mul_f32_e32 v11, v9, v11
	s_waitcnt vmcnt(0)
	v_fma_f32 v9, v9, v12, -v141
	v_fmac_f32_e32 v11, v10, v12
	v_add_f32_e32 v8, v8, v9
	v_add_f32_e32 v2, v2, v11
	s_andn2_b32 exec_lo, exec_lo, s5
	s_cbranch_execnz .LBB127_53
; %bb.54:
	s_or_b32 exec_lo, exec_lo, s5
	v_mov_b32_e32 v5, 0
	ds_read_b64 v[5:6], v5 offset:80
	s_waitcnt lgkmcnt(0)
	v_mul_f32_e32 v7, v2, v6
	v_mul_f32_e32 v6, v8, v6
	v_fma_f32 v7, v8, v5, -v7
	v_fmac_f32_e32 v6, v2, v5
	buffer_store_dword v7, off, s[0:3], 0 offset:80
	buffer_store_dword v6, off, s[0:3], 0 offset:84
.LBB127_55:
	s_or_b32 exec_lo, exec_lo, s4
	s_waitcnt_vscnt null, 0x0
	s_barrier
	buffer_gl0_inv
	s_clause 0x1
	buffer_load_dword v5, off, s[0:3], 0 offset:88
	buffer_load_dword v6, off, s[0:3], 0 offset:92
	s_mov_b32 s4, exec_lo
	s_waitcnt vmcnt(0)
	ds_write_b64 v4, v[5:6]
	s_waitcnt lgkmcnt(0)
	s_barrier
	buffer_gl0_inv
	v_cmpx_gt_u32_e32 11, v0
	s_cbranch_execz .LBB127_59
; %bb.56:
	v_add_nc_u32_e32 v5, -1, v0
	v_or_b32_e32 v6, 0x200, v3
	v_mov_b32_e32 v7, v3
	v_mov_b32_e32 v2, 0
	;; [unrolled: 1-line block ×3, first 2 shown]
	s_mov_b32 s5, 0
	.p2align	6
.LBB127_57:                             ; =>This Inner Loop Header: Depth=1
	s_clause 0x1
	buffer_load_dword v11, v7, s[0:3], 0 offen offset:4
	buffer_load_dword v12, v7, s[0:3], 0 offen
	ds_read_b64 v[9:10], v6
	v_add_nc_u32_e32 v5, 1, v5
	v_add_nc_u32_e32 v6, 8, v6
	;; [unrolled: 1-line block ×3, first 2 shown]
	v_cmp_lt_u32_e32 vcc_lo, 9, v5
	s_or_b32 s5, vcc_lo, s5
	s_waitcnt vmcnt(1) lgkmcnt(0)
	v_mul_f32_e32 v141, v10, v11
	v_mul_f32_e32 v11, v9, v11
	s_waitcnt vmcnt(0)
	v_fma_f32 v9, v9, v12, -v141
	v_fmac_f32_e32 v11, v10, v12
	v_add_f32_e32 v8, v8, v9
	v_add_f32_e32 v2, v2, v11
	s_andn2_b32 exec_lo, exec_lo, s5
	s_cbranch_execnz .LBB127_57
; %bb.58:
	s_or_b32 exec_lo, exec_lo, s5
	v_mov_b32_e32 v5, 0
	ds_read_b64 v[5:6], v5 offset:88
	s_waitcnt lgkmcnt(0)
	v_mul_f32_e32 v7, v2, v6
	v_mul_f32_e32 v6, v8, v6
	v_fma_f32 v7, v8, v5, -v7
	v_fmac_f32_e32 v6, v2, v5
	buffer_store_dword v7, off, s[0:3], 0 offset:88
	buffer_store_dword v6, off, s[0:3], 0 offset:92
.LBB127_59:
	s_or_b32 exec_lo, exec_lo, s4
	s_waitcnt_vscnt null, 0x0
	s_barrier
	buffer_gl0_inv
	s_clause 0x1
	buffer_load_dword v5, off, s[0:3], 0 offset:96
	buffer_load_dword v6, off, s[0:3], 0 offset:100
	s_mov_b32 s4, exec_lo
	s_waitcnt vmcnt(0)
	ds_write_b64 v4, v[5:6]
	s_waitcnt lgkmcnt(0)
	s_barrier
	buffer_gl0_inv
	v_cmpx_gt_u32_e32 12, v0
	s_cbranch_execz .LBB127_63
; %bb.60:
	v_add_nc_u32_e32 v5, -1, v0
	v_or_b32_e32 v6, 0x200, v3
	v_mov_b32_e32 v7, v3
	v_mov_b32_e32 v2, 0
	;; [unrolled: 1-line block ×3, first 2 shown]
	s_mov_b32 s5, 0
	.p2align	6
.LBB127_61:                             ; =>This Inner Loop Header: Depth=1
	s_clause 0x1
	buffer_load_dword v11, v7, s[0:3], 0 offen offset:4
	buffer_load_dword v12, v7, s[0:3], 0 offen
	ds_read_b64 v[9:10], v6
	v_add_nc_u32_e32 v5, 1, v5
	v_add_nc_u32_e32 v6, 8, v6
	;; [unrolled: 1-line block ×3, first 2 shown]
	v_cmp_lt_u32_e32 vcc_lo, 10, v5
	s_or_b32 s5, vcc_lo, s5
	s_waitcnt vmcnt(1) lgkmcnt(0)
	v_mul_f32_e32 v141, v10, v11
	v_mul_f32_e32 v11, v9, v11
	s_waitcnt vmcnt(0)
	v_fma_f32 v9, v9, v12, -v141
	v_fmac_f32_e32 v11, v10, v12
	v_add_f32_e32 v8, v8, v9
	v_add_f32_e32 v2, v2, v11
	s_andn2_b32 exec_lo, exec_lo, s5
	s_cbranch_execnz .LBB127_61
; %bb.62:
	s_or_b32 exec_lo, exec_lo, s5
	v_mov_b32_e32 v5, 0
	ds_read_b64 v[5:6], v5 offset:96
	s_waitcnt lgkmcnt(0)
	v_mul_f32_e32 v7, v2, v6
	v_mul_f32_e32 v6, v8, v6
	v_fma_f32 v7, v8, v5, -v7
	v_fmac_f32_e32 v6, v2, v5
	buffer_store_dword v7, off, s[0:3], 0 offset:96
	buffer_store_dword v6, off, s[0:3], 0 offset:100
.LBB127_63:
	s_or_b32 exec_lo, exec_lo, s4
	s_waitcnt_vscnt null, 0x0
	s_barrier
	buffer_gl0_inv
	s_clause 0x1
	buffer_load_dword v5, off, s[0:3], 0 offset:104
	buffer_load_dword v6, off, s[0:3], 0 offset:108
	s_mov_b32 s4, exec_lo
	s_waitcnt vmcnt(0)
	ds_write_b64 v4, v[5:6]
	s_waitcnt lgkmcnt(0)
	s_barrier
	buffer_gl0_inv
	v_cmpx_gt_u32_e32 13, v0
	s_cbranch_execz .LBB127_67
; %bb.64:
	v_add_nc_u32_e32 v5, -1, v0
	v_or_b32_e32 v6, 0x200, v3
	v_mov_b32_e32 v7, v3
	v_mov_b32_e32 v2, 0
	;; [unrolled: 1-line block ×3, first 2 shown]
	s_mov_b32 s5, 0
	.p2align	6
.LBB127_65:                             ; =>This Inner Loop Header: Depth=1
	s_clause 0x1
	buffer_load_dword v11, v7, s[0:3], 0 offen offset:4
	buffer_load_dword v12, v7, s[0:3], 0 offen
	ds_read_b64 v[9:10], v6
	v_add_nc_u32_e32 v5, 1, v5
	v_add_nc_u32_e32 v6, 8, v6
	;; [unrolled: 1-line block ×3, first 2 shown]
	v_cmp_lt_u32_e32 vcc_lo, 11, v5
	s_or_b32 s5, vcc_lo, s5
	s_waitcnt vmcnt(1) lgkmcnt(0)
	v_mul_f32_e32 v141, v10, v11
	v_mul_f32_e32 v11, v9, v11
	s_waitcnt vmcnt(0)
	v_fma_f32 v9, v9, v12, -v141
	v_fmac_f32_e32 v11, v10, v12
	v_add_f32_e32 v8, v8, v9
	v_add_f32_e32 v2, v2, v11
	s_andn2_b32 exec_lo, exec_lo, s5
	s_cbranch_execnz .LBB127_65
; %bb.66:
	s_or_b32 exec_lo, exec_lo, s5
	v_mov_b32_e32 v5, 0
	ds_read_b64 v[5:6], v5 offset:104
	s_waitcnt lgkmcnt(0)
	v_mul_f32_e32 v7, v2, v6
	v_mul_f32_e32 v6, v8, v6
	v_fma_f32 v7, v8, v5, -v7
	v_fmac_f32_e32 v6, v2, v5
	buffer_store_dword v7, off, s[0:3], 0 offset:104
	buffer_store_dword v6, off, s[0:3], 0 offset:108
.LBB127_67:
	s_or_b32 exec_lo, exec_lo, s4
	s_waitcnt_vscnt null, 0x0
	s_barrier
	buffer_gl0_inv
	s_clause 0x1
	buffer_load_dword v5, off, s[0:3], 0 offset:112
	buffer_load_dword v6, off, s[0:3], 0 offset:116
	s_mov_b32 s4, exec_lo
	s_waitcnt vmcnt(0)
	ds_write_b64 v4, v[5:6]
	s_waitcnt lgkmcnt(0)
	s_barrier
	buffer_gl0_inv
	v_cmpx_gt_u32_e32 14, v0
	s_cbranch_execz .LBB127_71
; %bb.68:
	v_add_nc_u32_e32 v5, -1, v0
	v_or_b32_e32 v6, 0x200, v3
	v_mov_b32_e32 v7, v3
	v_mov_b32_e32 v2, 0
	;; [unrolled: 1-line block ×3, first 2 shown]
	s_mov_b32 s5, 0
	.p2align	6
.LBB127_69:                             ; =>This Inner Loop Header: Depth=1
	s_clause 0x1
	buffer_load_dword v11, v7, s[0:3], 0 offen offset:4
	buffer_load_dword v12, v7, s[0:3], 0 offen
	ds_read_b64 v[9:10], v6
	v_add_nc_u32_e32 v5, 1, v5
	v_add_nc_u32_e32 v6, 8, v6
	;; [unrolled: 1-line block ×3, first 2 shown]
	v_cmp_lt_u32_e32 vcc_lo, 12, v5
	s_or_b32 s5, vcc_lo, s5
	s_waitcnt vmcnt(1) lgkmcnt(0)
	v_mul_f32_e32 v141, v10, v11
	v_mul_f32_e32 v11, v9, v11
	s_waitcnt vmcnt(0)
	v_fma_f32 v9, v9, v12, -v141
	v_fmac_f32_e32 v11, v10, v12
	v_add_f32_e32 v8, v8, v9
	v_add_f32_e32 v2, v2, v11
	s_andn2_b32 exec_lo, exec_lo, s5
	s_cbranch_execnz .LBB127_69
; %bb.70:
	s_or_b32 exec_lo, exec_lo, s5
	v_mov_b32_e32 v5, 0
	ds_read_b64 v[5:6], v5 offset:112
	s_waitcnt lgkmcnt(0)
	v_mul_f32_e32 v7, v2, v6
	v_mul_f32_e32 v6, v8, v6
	v_fma_f32 v7, v8, v5, -v7
	v_fmac_f32_e32 v6, v2, v5
	buffer_store_dword v7, off, s[0:3], 0 offset:112
	buffer_store_dword v6, off, s[0:3], 0 offset:116
.LBB127_71:
	s_or_b32 exec_lo, exec_lo, s4
	s_waitcnt_vscnt null, 0x0
	s_barrier
	buffer_gl0_inv
	s_clause 0x1
	buffer_load_dword v5, off, s[0:3], 0 offset:120
	buffer_load_dword v6, off, s[0:3], 0 offset:124
	s_mov_b32 s4, exec_lo
	s_waitcnt vmcnt(0)
	ds_write_b64 v4, v[5:6]
	s_waitcnt lgkmcnt(0)
	s_barrier
	buffer_gl0_inv
	v_cmpx_gt_u32_e32 15, v0
	s_cbranch_execz .LBB127_75
; %bb.72:
	v_add_nc_u32_e32 v5, -1, v0
	v_or_b32_e32 v6, 0x200, v3
	v_mov_b32_e32 v7, v3
	v_mov_b32_e32 v2, 0
	;; [unrolled: 1-line block ×3, first 2 shown]
	s_mov_b32 s5, 0
	.p2align	6
.LBB127_73:                             ; =>This Inner Loop Header: Depth=1
	s_clause 0x1
	buffer_load_dword v11, v7, s[0:3], 0 offen offset:4
	buffer_load_dword v12, v7, s[0:3], 0 offen
	ds_read_b64 v[9:10], v6
	v_add_nc_u32_e32 v5, 1, v5
	v_add_nc_u32_e32 v6, 8, v6
	;; [unrolled: 1-line block ×3, first 2 shown]
	v_cmp_lt_u32_e32 vcc_lo, 13, v5
	s_or_b32 s5, vcc_lo, s5
	s_waitcnt vmcnt(1) lgkmcnt(0)
	v_mul_f32_e32 v141, v10, v11
	v_mul_f32_e32 v11, v9, v11
	s_waitcnt vmcnt(0)
	v_fma_f32 v9, v9, v12, -v141
	v_fmac_f32_e32 v11, v10, v12
	v_add_f32_e32 v8, v8, v9
	v_add_f32_e32 v2, v2, v11
	s_andn2_b32 exec_lo, exec_lo, s5
	s_cbranch_execnz .LBB127_73
; %bb.74:
	s_or_b32 exec_lo, exec_lo, s5
	v_mov_b32_e32 v5, 0
	ds_read_b64 v[5:6], v5 offset:120
	s_waitcnt lgkmcnt(0)
	v_mul_f32_e32 v7, v2, v6
	v_mul_f32_e32 v6, v8, v6
	v_fma_f32 v7, v8, v5, -v7
	v_fmac_f32_e32 v6, v2, v5
	buffer_store_dword v7, off, s[0:3], 0 offset:120
	buffer_store_dword v6, off, s[0:3], 0 offset:124
.LBB127_75:
	s_or_b32 exec_lo, exec_lo, s4
	s_waitcnt_vscnt null, 0x0
	s_barrier
	buffer_gl0_inv
	s_clause 0x1
	buffer_load_dword v5, off, s[0:3], 0 offset:128
	buffer_load_dword v6, off, s[0:3], 0 offset:132
	s_mov_b32 s4, exec_lo
	s_waitcnt vmcnt(0)
	ds_write_b64 v4, v[5:6]
	s_waitcnt lgkmcnt(0)
	s_barrier
	buffer_gl0_inv
	v_cmpx_gt_u32_e32 16, v0
	s_cbranch_execz .LBB127_79
; %bb.76:
	v_add_nc_u32_e32 v5, -1, v0
	v_or_b32_e32 v6, 0x200, v3
	v_mov_b32_e32 v7, v3
	v_mov_b32_e32 v2, 0
	;; [unrolled: 1-line block ×3, first 2 shown]
	s_mov_b32 s5, 0
	.p2align	6
.LBB127_77:                             ; =>This Inner Loop Header: Depth=1
	s_clause 0x1
	buffer_load_dword v11, v7, s[0:3], 0 offen offset:4
	buffer_load_dword v12, v7, s[0:3], 0 offen
	ds_read_b64 v[9:10], v6
	v_add_nc_u32_e32 v5, 1, v5
	v_add_nc_u32_e32 v6, 8, v6
	;; [unrolled: 1-line block ×3, first 2 shown]
	v_cmp_lt_u32_e32 vcc_lo, 14, v5
	s_or_b32 s5, vcc_lo, s5
	s_waitcnt vmcnt(1) lgkmcnt(0)
	v_mul_f32_e32 v141, v10, v11
	v_mul_f32_e32 v11, v9, v11
	s_waitcnt vmcnt(0)
	v_fma_f32 v9, v9, v12, -v141
	v_fmac_f32_e32 v11, v10, v12
	v_add_f32_e32 v8, v8, v9
	v_add_f32_e32 v2, v2, v11
	s_andn2_b32 exec_lo, exec_lo, s5
	s_cbranch_execnz .LBB127_77
; %bb.78:
	s_or_b32 exec_lo, exec_lo, s5
	v_mov_b32_e32 v5, 0
	ds_read_b64 v[5:6], v5 offset:128
	s_waitcnt lgkmcnt(0)
	v_mul_f32_e32 v7, v2, v6
	v_mul_f32_e32 v6, v8, v6
	v_fma_f32 v7, v8, v5, -v7
	v_fmac_f32_e32 v6, v2, v5
	buffer_store_dword v7, off, s[0:3], 0 offset:128
	buffer_store_dword v6, off, s[0:3], 0 offset:132
.LBB127_79:
	s_or_b32 exec_lo, exec_lo, s4
	s_waitcnt_vscnt null, 0x0
	s_barrier
	buffer_gl0_inv
	s_clause 0x1
	buffer_load_dword v5, off, s[0:3], 0 offset:136
	buffer_load_dword v6, off, s[0:3], 0 offset:140
	s_mov_b32 s4, exec_lo
	s_waitcnt vmcnt(0)
	ds_write_b64 v4, v[5:6]
	s_waitcnt lgkmcnt(0)
	s_barrier
	buffer_gl0_inv
	v_cmpx_gt_u32_e32 17, v0
	s_cbranch_execz .LBB127_83
; %bb.80:
	v_add_nc_u32_e32 v5, -1, v0
	v_or_b32_e32 v6, 0x200, v3
	v_mov_b32_e32 v7, v3
	v_mov_b32_e32 v2, 0
	;; [unrolled: 1-line block ×3, first 2 shown]
	s_mov_b32 s5, 0
	.p2align	6
.LBB127_81:                             ; =>This Inner Loop Header: Depth=1
	s_clause 0x1
	buffer_load_dword v11, v7, s[0:3], 0 offen offset:4
	buffer_load_dword v12, v7, s[0:3], 0 offen
	ds_read_b64 v[9:10], v6
	v_add_nc_u32_e32 v5, 1, v5
	v_add_nc_u32_e32 v6, 8, v6
	;; [unrolled: 1-line block ×3, first 2 shown]
	v_cmp_lt_u32_e32 vcc_lo, 15, v5
	s_or_b32 s5, vcc_lo, s5
	s_waitcnt vmcnt(1) lgkmcnt(0)
	v_mul_f32_e32 v141, v10, v11
	v_mul_f32_e32 v11, v9, v11
	s_waitcnt vmcnt(0)
	v_fma_f32 v9, v9, v12, -v141
	v_fmac_f32_e32 v11, v10, v12
	v_add_f32_e32 v8, v8, v9
	v_add_f32_e32 v2, v2, v11
	s_andn2_b32 exec_lo, exec_lo, s5
	s_cbranch_execnz .LBB127_81
; %bb.82:
	s_or_b32 exec_lo, exec_lo, s5
	v_mov_b32_e32 v5, 0
	ds_read_b64 v[5:6], v5 offset:136
	s_waitcnt lgkmcnt(0)
	v_mul_f32_e32 v7, v2, v6
	v_mul_f32_e32 v6, v8, v6
	v_fma_f32 v7, v8, v5, -v7
	v_fmac_f32_e32 v6, v2, v5
	buffer_store_dword v7, off, s[0:3], 0 offset:136
	buffer_store_dword v6, off, s[0:3], 0 offset:140
.LBB127_83:
	s_or_b32 exec_lo, exec_lo, s4
	s_waitcnt_vscnt null, 0x0
	s_barrier
	buffer_gl0_inv
	s_clause 0x1
	buffer_load_dword v5, off, s[0:3], 0 offset:144
	buffer_load_dword v6, off, s[0:3], 0 offset:148
	s_mov_b32 s4, exec_lo
	s_waitcnt vmcnt(0)
	ds_write_b64 v4, v[5:6]
	s_waitcnt lgkmcnt(0)
	s_barrier
	buffer_gl0_inv
	v_cmpx_gt_u32_e32 18, v0
	s_cbranch_execz .LBB127_87
; %bb.84:
	v_add_nc_u32_e32 v5, -1, v0
	v_or_b32_e32 v6, 0x200, v3
	v_mov_b32_e32 v7, v3
	v_mov_b32_e32 v2, 0
	;; [unrolled: 1-line block ×3, first 2 shown]
	s_mov_b32 s5, 0
	.p2align	6
.LBB127_85:                             ; =>This Inner Loop Header: Depth=1
	s_clause 0x1
	buffer_load_dword v11, v7, s[0:3], 0 offen offset:4
	buffer_load_dword v12, v7, s[0:3], 0 offen
	ds_read_b64 v[9:10], v6
	v_add_nc_u32_e32 v5, 1, v5
	v_add_nc_u32_e32 v6, 8, v6
	;; [unrolled: 1-line block ×3, first 2 shown]
	v_cmp_lt_u32_e32 vcc_lo, 16, v5
	s_or_b32 s5, vcc_lo, s5
	s_waitcnt vmcnt(1) lgkmcnt(0)
	v_mul_f32_e32 v141, v10, v11
	v_mul_f32_e32 v11, v9, v11
	s_waitcnt vmcnt(0)
	v_fma_f32 v9, v9, v12, -v141
	v_fmac_f32_e32 v11, v10, v12
	v_add_f32_e32 v8, v8, v9
	v_add_f32_e32 v2, v2, v11
	s_andn2_b32 exec_lo, exec_lo, s5
	s_cbranch_execnz .LBB127_85
; %bb.86:
	s_or_b32 exec_lo, exec_lo, s5
	v_mov_b32_e32 v5, 0
	ds_read_b64 v[5:6], v5 offset:144
	s_waitcnt lgkmcnt(0)
	v_mul_f32_e32 v7, v2, v6
	v_mul_f32_e32 v6, v8, v6
	v_fma_f32 v7, v8, v5, -v7
	v_fmac_f32_e32 v6, v2, v5
	buffer_store_dword v7, off, s[0:3], 0 offset:144
	buffer_store_dword v6, off, s[0:3], 0 offset:148
.LBB127_87:
	s_or_b32 exec_lo, exec_lo, s4
	s_waitcnt_vscnt null, 0x0
	s_barrier
	buffer_gl0_inv
	s_clause 0x1
	buffer_load_dword v5, off, s[0:3], 0 offset:152
	buffer_load_dword v6, off, s[0:3], 0 offset:156
	s_mov_b32 s4, exec_lo
	s_waitcnt vmcnt(0)
	ds_write_b64 v4, v[5:6]
	s_waitcnt lgkmcnt(0)
	s_barrier
	buffer_gl0_inv
	v_cmpx_gt_u32_e32 19, v0
	s_cbranch_execz .LBB127_91
; %bb.88:
	v_add_nc_u32_e32 v5, -1, v0
	v_or_b32_e32 v6, 0x200, v3
	v_mov_b32_e32 v7, v3
	v_mov_b32_e32 v2, 0
	v_mov_b32_e32 v8, 0
	s_mov_b32 s5, 0
	.p2align	6
.LBB127_89:                             ; =>This Inner Loop Header: Depth=1
	s_clause 0x1
	buffer_load_dword v11, v7, s[0:3], 0 offen offset:4
	buffer_load_dword v12, v7, s[0:3], 0 offen
	ds_read_b64 v[9:10], v6
	v_add_nc_u32_e32 v5, 1, v5
	v_add_nc_u32_e32 v6, 8, v6
	v_add_nc_u32_e32 v7, 8, v7
	v_cmp_lt_u32_e32 vcc_lo, 17, v5
	s_or_b32 s5, vcc_lo, s5
	s_waitcnt vmcnt(1) lgkmcnt(0)
	v_mul_f32_e32 v141, v10, v11
	v_mul_f32_e32 v11, v9, v11
	s_waitcnt vmcnt(0)
	v_fma_f32 v9, v9, v12, -v141
	v_fmac_f32_e32 v11, v10, v12
	v_add_f32_e32 v8, v8, v9
	v_add_f32_e32 v2, v2, v11
	s_andn2_b32 exec_lo, exec_lo, s5
	s_cbranch_execnz .LBB127_89
; %bb.90:
	s_or_b32 exec_lo, exec_lo, s5
	v_mov_b32_e32 v5, 0
	ds_read_b64 v[5:6], v5 offset:152
	s_waitcnt lgkmcnt(0)
	v_mul_f32_e32 v7, v2, v6
	v_mul_f32_e32 v6, v8, v6
	v_fma_f32 v7, v8, v5, -v7
	v_fmac_f32_e32 v6, v2, v5
	buffer_store_dword v7, off, s[0:3], 0 offset:152
	buffer_store_dword v6, off, s[0:3], 0 offset:156
.LBB127_91:
	s_or_b32 exec_lo, exec_lo, s4
	s_waitcnt_vscnt null, 0x0
	s_barrier
	buffer_gl0_inv
	s_clause 0x1
	buffer_load_dword v5, off, s[0:3], 0 offset:160
	buffer_load_dword v6, off, s[0:3], 0 offset:164
	s_mov_b32 s4, exec_lo
	s_waitcnt vmcnt(0)
	ds_write_b64 v4, v[5:6]
	s_waitcnt lgkmcnt(0)
	s_barrier
	buffer_gl0_inv
	v_cmpx_gt_u32_e32 20, v0
	s_cbranch_execz .LBB127_95
; %bb.92:
	v_add_nc_u32_e32 v5, -1, v0
	v_or_b32_e32 v6, 0x200, v3
	v_mov_b32_e32 v7, v3
	v_mov_b32_e32 v2, 0
	;; [unrolled: 1-line block ×3, first 2 shown]
	s_mov_b32 s5, 0
	.p2align	6
.LBB127_93:                             ; =>This Inner Loop Header: Depth=1
	s_clause 0x1
	buffer_load_dword v11, v7, s[0:3], 0 offen offset:4
	buffer_load_dword v12, v7, s[0:3], 0 offen
	ds_read_b64 v[9:10], v6
	v_add_nc_u32_e32 v5, 1, v5
	v_add_nc_u32_e32 v6, 8, v6
	;; [unrolled: 1-line block ×3, first 2 shown]
	v_cmp_lt_u32_e32 vcc_lo, 18, v5
	s_or_b32 s5, vcc_lo, s5
	s_waitcnt vmcnt(1) lgkmcnt(0)
	v_mul_f32_e32 v141, v10, v11
	v_mul_f32_e32 v11, v9, v11
	s_waitcnt vmcnt(0)
	v_fma_f32 v9, v9, v12, -v141
	v_fmac_f32_e32 v11, v10, v12
	v_add_f32_e32 v8, v8, v9
	v_add_f32_e32 v2, v2, v11
	s_andn2_b32 exec_lo, exec_lo, s5
	s_cbranch_execnz .LBB127_93
; %bb.94:
	s_or_b32 exec_lo, exec_lo, s5
	v_mov_b32_e32 v5, 0
	ds_read_b64 v[5:6], v5 offset:160
	s_waitcnt lgkmcnt(0)
	v_mul_f32_e32 v7, v2, v6
	v_mul_f32_e32 v6, v8, v6
	v_fma_f32 v7, v8, v5, -v7
	v_fmac_f32_e32 v6, v2, v5
	buffer_store_dword v7, off, s[0:3], 0 offset:160
	buffer_store_dword v6, off, s[0:3], 0 offset:164
.LBB127_95:
	s_or_b32 exec_lo, exec_lo, s4
	s_waitcnt_vscnt null, 0x0
	s_barrier
	buffer_gl0_inv
	s_clause 0x1
	buffer_load_dword v5, off, s[0:3], 0 offset:168
	buffer_load_dword v6, off, s[0:3], 0 offset:172
	s_mov_b32 s4, exec_lo
	s_waitcnt vmcnt(0)
	ds_write_b64 v4, v[5:6]
	s_waitcnt lgkmcnt(0)
	s_barrier
	buffer_gl0_inv
	v_cmpx_gt_u32_e32 21, v0
	s_cbranch_execz .LBB127_99
; %bb.96:
	v_add_nc_u32_e32 v5, -1, v0
	v_or_b32_e32 v6, 0x200, v3
	v_mov_b32_e32 v7, v3
	v_mov_b32_e32 v2, 0
	;; [unrolled: 1-line block ×3, first 2 shown]
	s_mov_b32 s5, 0
	.p2align	6
.LBB127_97:                             ; =>This Inner Loop Header: Depth=1
	s_clause 0x1
	buffer_load_dword v11, v7, s[0:3], 0 offen offset:4
	buffer_load_dword v12, v7, s[0:3], 0 offen
	ds_read_b64 v[9:10], v6
	v_add_nc_u32_e32 v5, 1, v5
	v_add_nc_u32_e32 v6, 8, v6
	;; [unrolled: 1-line block ×3, first 2 shown]
	v_cmp_lt_u32_e32 vcc_lo, 19, v5
	s_or_b32 s5, vcc_lo, s5
	s_waitcnt vmcnt(1) lgkmcnt(0)
	v_mul_f32_e32 v141, v10, v11
	v_mul_f32_e32 v11, v9, v11
	s_waitcnt vmcnt(0)
	v_fma_f32 v9, v9, v12, -v141
	v_fmac_f32_e32 v11, v10, v12
	v_add_f32_e32 v8, v8, v9
	v_add_f32_e32 v2, v2, v11
	s_andn2_b32 exec_lo, exec_lo, s5
	s_cbranch_execnz .LBB127_97
; %bb.98:
	s_or_b32 exec_lo, exec_lo, s5
	v_mov_b32_e32 v5, 0
	ds_read_b64 v[5:6], v5 offset:168
	s_waitcnt lgkmcnt(0)
	v_mul_f32_e32 v7, v2, v6
	v_mul_f32_e32 v6, v8, v6
	v_fma_f32 v7, v8, v5, -v7
	v_fmac_f32_e32 v6, v2, v5
	buffer_store_dword v7, off, s[0:3], 0 offset:168
	buffer_store_dword v6, off, s[0:3], 0 offset:172
.LBB127_99:
	s_or_b32 exec_lo, exec_lo, s4
	s_waitcnt_vscnt null, 0x0
	s_barrier
	buffer_gl0_inv
	s_clause 0x1
	buffer_load_dword v5, off, s[0:3], 0 offset:176
	buffer_load_dword v6, off, s[0:3], 0 offset:180
	s_mov_b32 s4, exec_lo
	s_waitcnt vmcnt(0)
	ds_write_b64 v4, v[5:6]
	s_waitcnt lgkmcnt(0)
	s_barrier
	buffer_gl0_inv
	v_cmpx_gt_u32_e32 22, v0
	s_cbranch_execz .LBB127_103
; %bb.100:
	v_add_nc_u32_e32 v5, -1, v0
	v_or_b32_e32 v6, 0x200, v3
	v_mov_b32_e32 v7, v3
	v_mov_b32_e32 v2, 0
	;; [unrolled: 1-line block ×3, first 2 shown]
	s_mov_b32 s5, 0
	.p2align	6
.LBB127_101:                            ; =>This Inner Loop Header: Depth=1
	s_clause 0x1
	buffer_load_dword v11, v7, s[0:3], 0 offen offset:4
	buffer_load_dword v12, v7, s[0:3], 0 offen
	ds_read_b64 v[9:10], v6
	v_add_nc_u32_e32 v5, 1, v5
	v_add_nc_u32_e32 v6, 8, v6
	;; [unrolled: 1-line block ×3, first 2 shown]
	v_cmp_lt_u32_e32 vcc_lo, 20, v5
	s_or_b32 s5, vcc_lo, s5
	s_waitcnt vmcnt(1) lgkmcnt(0)
	v_mul_f32_e32 v141, v10, v11
	v_mul_f32_e32 v11, v9, v11
	s_waitcnt vmcnt(0)
	v_fma_f32 v9, v9, v12, -v141
	v_fmac_f32_e32 v11, v10, v12
	v_add_f32_e32 v8, v8, v9
	v_add_f32_e32 v2, v2, v11
	s_andn2_b32 exec_lo, exec_lo, s5
	s_cbranch_execnz .LBB127_101
; %bb.102:
	s_or_b32 exec_lo, exec_lo, s5
	v_mov_b32_e32 v5, 0
	ds_read_b64 v[5:6], v5 offset:176
	s_waitcnt lgkmcnt(0)
	v_mul_f32_e32 v7, v2, v6
	v_mul_f32_e32 v6, v8, v6
	v_fma_f32 v7, v8, v5, -v7
	v_fmac_f32_e32 v6, v2, v5
	buffer_store_dword v7, off, s[0:3], 0 offset:176
	buffer_store_dword v6, off, s[0:3], 0 offset:180
.LBB127_103:
	s_or_b32 exec_lo, exec_lo, s4
	s_waitcnt_vscnt null, 0x0
	s_barrier
	buffer_gl0_inv
	s_clause 0x1
	buffer_load_dword v5, off, s[0:3], 0 offset:184
	buffer_load_dword v6, off, s[0:3], 0 offset:188
	s_mov_b32 s4, exec_lo
	s_waitcnt vmcnt(0)
	ds_write_b64 v4, v[5:6]
	s_waitcnt lgkmcnt(0)
	s_barrier
	buffer_gl0_inv
	v_cmpx_gt_u32_e32 23, v0
	s_cbranch_execz .LBB127_107
; %bb.104:
	v_add_nc_u32_e32 v5, -1, v0
	v_or_b32_e32 v6, 0x200, v3
	v_mov_b32_e32 v7, v3
	v_mov_b32_e32 v2, 0
	;; [unrolled: 1-line block ×3, first 2 shown]
	s_mov_b32 s5, 0
	.p2align	6
.LBB127_105:                            ; =>This Inner Loop Header: Depth=1
	s_clause 0x1
	buffer_load_dword v11, v7, s[0:3], 0 offen offset:4
	buffer_load_dword v12, v7, s[0:3], 0 offen
	ds_read_b64 v[9:10], v6
	v_add_nc_u32_e32 v5, 1, v5
	v_add_nc_u32_e32 v6, 8, v6
	;; [unrolled: 1-line block ×3, first 2 shown]
	v_cmp_lt_u32_e32 vcc_lo, 21, v5
	s_or_b32 s5, vcc_lo, s5
	s_waitcnt vmcnt(1) lgkmcnt(0)
	v_mul_f32_e32 v141, v10, v11
	v_mul_f32_e32 v11, v9, v11
	s_waitcnt vmcnt(0)
	v_fma_f32 v9, v9, v12, -v141
	v_fmac_f32_e32 v11, v10, v12
	v_add_f32_e32 v8, v8, v9
	v_add_f32_e32 v2, v2, v11
	s_andn2_b32 exec_lo, exec_lo, s5
	s_cbranch_execnz .LBB127_105
; %bb.106:
	s_or_b32 exec_lo, exec_lo, s5
	v_mov_b32_e32 v5, 0
	ds_read_b64 v[5:6], v5 offset:184
	s_waitcnt lgkmcnt(0)
	v_mul_f32_e32 v7, v2, v6
	v_mul_f32_e32 v6, v8, v6
	v_fma_f32 v7, v8, v5, -v7
	v_fmac_f32_e32 v6, v2, v5
	buffer_store_dword v7, off, s[0:3], 0 offset:184
	buffer_store_dword v6, off, s[0:3], 0 offset:188
.LBB127_107:
	s_or_b32 exec_lo, exec_lo, s4
	s_waitcnt_vscnt null, 0x0
	s_barrier
	buffer_gl0_inv
	s_clause 0x1
	buffer_load_dword v5, off, s[0:3], 0 offset:192
	buffer_load_dword v6, off, s[0:3], 0 offset:196
	s_mov_b32 s4, exec_lo
	s_waitcnt vmcnt(0)
	ds_write_b64 v4, v[5:6]
	s_waitcnt lgkmcnt(0)
	s_barrier
	buffer_gl0_inv
	v_cmpx_gt_u32_e32 24, v0
	s_cbranch_execz .LBB127_111
; %bb.108:
	v_add_nc_u32_e32 v5, -1, v0
	v_or_b32_e32 v6, 0x200, v3
	v_mov_b32_e32 v7, v3
	v_mov_b32_e32 v2, 0
	;; [unrolled: 1-line block ×3, first 2 shown]
	s_mov_b32 s5, 0
	.p2align	6
.LBB127_109:                            ; =>This Inner Loop Header: Depth=1
	s_clause 0x1
	buffer_load_dword v11, v7, s[0:3], 0 offen offset:4
	buffer_load_dword v12, v7, s[0:3], 0 offen
	ds_read_b64 v[9:10], v6
	v_add_nc_u32_e32 v5, 1, v5
	v_add_nc_u32_e32 v6, 8, v6
	;; [unrolled: 1-line block ×3, first 2 shown]
	v_cmp_lt_u32_e32 vcc_lo, 22, v5
	s_or_b32 s5, vcc_lo, s5
	s_waitcnt vmcnt(1) lgkmcnt(0)
	v_mul_f32_e32 v141, v10, v11
	v_mul_f32_e32 v11, v9, v11
	s_waitcnt vmcnt(0)
	v_fma_f32 v9, v9, v12, -v141
	v_fmac_f32_e32 v11, v10, v12
	v_add_f32_e32 v8, v8, v9
	v_add_f32_e32 v2, v2, v11
	s_andn2_b32 exec_lo, exec_lo, s5
	s_cbranch_execnz .LBB127_109
; %bb.110:
	s_or_b32 exec_lo, exec_lo, s5
	v_mov_b32_e32 v5, 0
	ds_read_b64 v[5:6], v5 offset:192
	s_waitcnt lgkmcnt(0)
	v_mul_f32_e32 v7, v2, v6
	v_mul_f32_e32 v6, v8, v6
	v_fma_f32 v7, v8, v5, -v7
	v_fmac_f32_e32 v6, v2, v5
	buffer_store_dword v7, off, s[0:3], 0 offset:192
	buffer_store_dword v6, off, s[0:3], 0 offset:196
.LBB127_111:
	s_or_b32 exec_lo, exec_lo, s4
	s_waitcnt_vscnt null, 0x0
	s_barrier
	buffer_gl0_inv
	s_clause 0x1
	buffer_load_dword v5, off, s[0:3], 0 offset:200
	buffer_load_dword v6, off, s[0:3], 0 offset:204
	s_mov_b32 s4, exec_lo
	s_waitcnt vmcnt(0)
	ds_write_b64 v4, v[5:6]
	s_waitcnt lgkmcnt(0)
	s_barrier
	buffer_gl0_inv
	v_cmpx_gt_u32_e32 25, v0
	s_cbranch_execz .LBB127_115
; %bb.112:
	v_add_nc_u32_e32 v5, -1, v0
	v_or_b32_e32 v6, 0x200, v3
	v_mov_b32_e32 v7, v3
	v_mov_b32_e32 v2, 0
	;; [unrolled: 1-line block ×3, first 2 shown]
	s_mov_b32 s5, 0
	.p2align	6
.LBB127_113:                            ; =>This Inner Loop Header: Depth=1
	s_clause 0x1
	buffer_load_dword v11, v7, s[0:3], 0 offen offset:4
	buffer_load_dword v12, v7, s[0:3], 0 offen
	ds_read_b64 v[9:10], v6
	v_add_nc_u32_e32 v5, 1, v5
	v_add_nc_u32_e32 v6, 8, v6
	;; [unrolled: 1-line block ×3, first 2 shown]
	v_cmp_lt_u32_e32 vcc_lo, 23, v5
	s_or_b32 s5, vcc_lo, s5
	s_waitcnt vmcnt(1) lgkmcnt(0)
	v_mul_f32_e32 v141, v10, v11
	v_mul_f32_e32 v11, v9, v11
	s_waitcnt vmcnt(0)
	v_fma_f32 v9, v9, v12, -v141
	v_fmac_f32_e32 v11, v10, v12
	v_add_f32_e32 v8, v8, v9
	v_add_f32_e32 v2, v2, v11
	s_andn2_b32 exec_lo, exec_lo, s5
	s_cbranch_execnz .LBB127_113
; %bb.114:
	s_or_b32 exec_lo, exec_lo, s5
	v_mov_b32_e32 v5, 0
	ds_read_b64 v[5:6], v5 offset:200
	s_waitcnt lgkmcnt(0)
	v_mul_f32_e32 v7, v2, v6
	v_mul_f32_e32 v6, v8, v6
	v_fma_f32 v7, v8, v5, -v7
	v_fmac_f32_e32 v6, v2, v5
	buffer_store_dword v7, off, s[0:3], 0 offset:200
	buffer_store_dword v6, off, s[0:3], 0 offset:204
.LBB127_115:
	s_or_b32 exec_lo, exec_lo, s4
	s_waitcnt_vscnt null, 0x0
	s_barrier
	buffer_gl0_inv
	s_clause 0x1
	buffer_load_dword v5, off, s[0:3], 0 offset:208
	buffer_load_dword v6, off, s[0:3], 0 offset:212
	s_mov_b32 s4, exec_lo
	s_waitcnt vmcnt(0)
	ds_write_b64 v4, v[5:6]
	s_waitcnt lgkmcnt(0)
	s_barrier
	buffer_gl0_inv
	v_cmpx_gt_u32_e32 26, v0
	s_cbranch_execz .LBB127_119
; %bb.116:
	v_add_nc_u32_e32 v5, -1, v0
	v_or_b32_e32 v6, 0x200, v3
	v_mov_b32_e32 v7, v3
	v_mov_b32_e32 v2, 0
	;; [unrolled: 1-line block ×3, first 2 shown]
	s_mov_b32 s5, 0
	.p2align	6
.LBB127_117:                            ; =>This Inner Loop Header: Depth=1
	s_clause 0x1
	buffer_load_dword v11, v7, s[0:3], 0 offen offset:4
	buffer_load_dword v12, v7, s[0:3], 0 offen
	ds_read_b64 v[9:10], v6
	v_add_nc_u32_e32 v5, 1, v5
	v_add_nc_u32_e32 v6, 8, v6
	;; [unrolled: 1-line block ×3, first 2 shown]
	v_cmp_lt_u32_e32 vcc_lo, 24, v5
	s_or_b32 s5, vcc_lo, s5
	s_waitcnt vmcnt(1) lgkmcnt(0)
	v_mul_f32_e32 v141, v10, v11
	v_mul_f32_e32 v11, v9, v11
	s_waitcnt vmcnt(0)
	v_fma_f32 v9, v9, v12, -v141
	v_fmac_f32_e32 v11, v10, v12
	v_add_f32_e32 v8, v8, v9
	v_add_f32_e32 v2, v2, v11
	s_andn2_b32 exec_lo, exec_lo, s5
	s_cbranch_execnz .LBB127_117
; %bb.118:
	s_or_b32 exec_lo, exec_lo, s5
	v_mov_b32_e32 v5, 0
	ds_read_b64 v[5:6], v5 offset:208
	s_waitcnt lgkmcnt(0)
	v_mul_f32_e32 v7, v2, v6
	v_mul_f32_e32 v6, v8, v6
	v_fma_f32 v7, v8, v5, -v7
	v_fmac_f32_e32 v6, v2, v5
	buffer_store_dword v7, off, s[0:3], 0 offset:208
	buffer_store_dword v6, off, s[0:3], 0 offset:212
.LBB127_119:
	s_or_b32 exec_lo, exec_lo, s4
	s_waitcnt_vscnt null, 0x0
	s_barrier
	buffer_gl0_inv
	s_clause 0x1
	buffer_load_dword v5, off, s[0:3], 0 offset:216
	buffer_load_dword v6, off, s[0:3], 0 offset:220
	s_mov_b32 s4, exec_lo
	s_waitcnt vmcnt(0)
	ds_write_b64 v4, v[5:6]
	s_waitcnt lgkmcnt(0)
	s_barrier
	buffer_gl0_inv
	v_cmpx_gt_u32_e32 27, v0
	s_cbranch_execz .LBB127_123
; %bb.120:
	v_add_nc_u32_e32 v5, -1, v0
	v_or_b32_e32 v6, 0x200, v3
	v_mov_b32_e32 v7, v3
	v_mov_b32_e32 v2, 0
	;; [unrolled: 1-line block ×3, first 2 shown]
	s_mov_b32 s5, 0
	.p2align	6
.LBB127_121:                            ; =>This Inner Loop Header: Depth=1
	s_clause 0x1
	buffer_load_dword v11, v7, s[0:3], 0 offen offset:4
	buffer_load_dword v12, v7, s[0:3], 0 offen
	ds_read_b64 v[9:10], v6
	v_add_nc_u32_e32 v5, 1, v5
	v_add_nc_u32_e32 v6, 8, v6
	;; [unrolled: 1-line block ×3, first 2 shown]
	v_cmp_lt_u32_e32 vcc_lo, 25, v5
	s_or_b32 s5, vcc_lo, s5
	s_waitcnt vmcnt(1) lgkmcnt(0)
	v_mul_f32_e32 v141, v10, v11
	v_mul_f32_e32 v11, v9, v11
	s_waitcnt vmcnt(0)
	v_fma_f32 v9, v9, v12, -v141
	v_fmac_f32_e32 v11, v10, v12
	v_add_f32_e32 v8, v8, v9
	v_add_f32_e32 v2, v2, v11
	s_andn2_b32 exec_lo, exec_lo, s5
	s_cbranch_execnz .LBB127_121
; %bb.122:
	s_or_b32 exec_lo, exec_lo, s5
	v_mov_b32_e32 v5, 0
	ds_read_b64 v[5:6], v5 offset:216
	s_waitcnt lgkmcnt(0)
	v_mul_f32_e32 v7, v2, v6
	v_mul_f32_e32 v6, v8, v6
	v_fma_f32 v7, v8, v5, -v7
	v_fmac_f32_e32 v6, v2, v5
	buffer_store_dword v7, off, s[0:3], 0 offset:216
	buffer_store_dword v6, off, s[0:3], 0 offset:220
.LBB127_123:
	s_or_b32 exec_lo, exec_lo, s4
	s_waitcnt_vscnt null, 0x0
	s_barrier
	buffer_gl0_inv
	s_clause 0x1
	buffer_load_dword v5, off, s[0:3], 0 offset:224
	buffer_load_dword v6, off, s[0:3], 0 offset:228
	s_mov_b32 s4, exec_lo
	s_waitcnt vmcnt(0)
	ds_write_b64 v4, v[5:6]
	s_waitcnt lgkmcnt(0)
	s_barrier
	buffer_gl0_inv
	v_cmpx_gt_u32_e32 28, v0
	s_cbranch_execz .LBB127_127
; %bb.124:
	v_add_nc_u32_e32 v5, -1, v0
	v_or_b32_e32 v6, 0x200, v3
	v_mov_b32_e32 v7, v3
	v_mov_b32_e32 v2, 0
	;; [unrolled: 1-line block ×3, first 2 shown]
	s_mov_b32 s5, 0
	.p2align	6
.LBB127_125:                            ; =>This Inner Loop Header: Depth=1
	s_clause 0x1
	buffer_load_dword v11, v7, s[0:3], 0 offen offset:4
	buffer_load_dword v12, v7, s[0:3], 0 offen
	ds_read_b64 v[9:10], v6
	v_add_nc_u32_e32 v5, 1, v5
	v_add_nc_u32_e32 v6, 8, v6
	;; [unrolled: 1-line block ×3, first 2 shown]
	v_cmp_lt_u32_e32 vcc_lo, 26, v5
	s_or_b32 s5, vcc_lo, s5
	s_waitcnt vmcnt(1) lgkmcnt(0)
	v_mul_f32_e32 v141, v10, v11
	v_mul_f32_e32 v11, v9, v11
	s_waitcnt vmcnt(0)
	v_fma_f32 v9, v9, v12, -v141
	v_fmac_f32_e32 v11, v10, v12
	v_add_f32_e32 v8, v8, v9
	v_add_f32_e32 v2, v2, v11
	s_andn2_b32 exec_lo, exec_lo, s5
	s_cbranch_execnz .LBB127_125
; %bb.126:
	s_or_b32 exec_lo, exec_lo, s5
	v_mov_b32_e32 v5, 0
	ds_read_b64 v[5:6], v5 offset:224
	s_waitcnt lgkmcnt(0)
	v_mul_f32_e32 v7, v2, v6
	v_mul_f32_e32 v6, v8, v6
	v_fma_f32 v7, v8, v5, -v7
	v_fmac_f32_e32 v6, v2, v5
	buffer_store_dword v7, off, s[0:3], 0 offset:224
	buffer_store_dword v6, off, s[0:3], 0 offset:228
.LBB127_127:
	s_or_b32 exec_lo, exec_lo, s4
	s_waitcnt_vscnt null, 0x0
	s_barrier
	buffer_gl0_inv
	s_clause 0x1
	buffer_load_dword v5, off, s[0:3], 0 offset:232
	buffer_load_dword v6, off, s[0:3], 0 offset:236
	s_mov_b32 s4, exec_lo
	s_waitcnt vmcnt(0)
	ds_write_b64 v4, v[5:6]
	s_waitcnt lgkmcnt(0)
	s_barrier
	buffer_gl0_inv
	v_cmpx_gt_u32_e32 29, v0
	s_cbranch_execz .LBB127_131
; %bb.128:
	v_add_nc_u32_e32 v5, -1, v0
	v_or_b32_e32 v6, 0x200, v3
	v_mov_b32_e32 v7, v3
	v_mov_b32_e32 v2, 0
	;; [unrolled: 1-line block ×3, first 2 shown]
	s_mov_b32 s5, 0
	.p2align	6
.LBB127_129:                            ; =>This Inner Loop Header: Depth=1
	s_clause 0x1
	buffer_load_dword v11, v7, s[0:3], 0 offen offset:4
	buffer_load_dword v12, v7, s[0:3], 0 offen
	ds_read_b64 v[9:10], v6
	v_add_nc_u32_e32 v5, 1, v5
	v_add_nc_u32_e32 v6, 8, v6
	;; [unrolled: 1-line block ×3, first 2 shown]
	v_cmp_lt_u32_e32 vcc_lo, 27, v5
	s_or_b32 s5, vcc_lo, s5
	s_waitcnt vmcnt(1) lgkmcnt(0)
	v_mul_f32_e32 v141, v10, v11
	v_mul_f32_e32 v11, v9, v11
	s_waitcnt vmcnt(0)
	v_fma_f32 v9, v9, v12, -v141
	v_fmac_f32_e32 v11, v10, v12
	v_add_f32_e32 v8, v8, v9
	v_add_f32_e32 v2, v2, v11
	s_andn2_b32 exec_lo, exec_lo, s5
	s_cbranch_execnz .LBB127_129
; %bb.130:
	s_or_b32 exec_lo, exec_lo, s5
	v_mov_b32_e32 v5, 0
	ds_read_b64 v[5:6], v5 offset:232
	s_waitcnt lgkmcnt(0)
	v_mul_f32_e32 v7, v2, v6
	v_mul_f32_e32 v6, v8, v6
	v_fma_f32 v7, v8, v5, -v7
	v_fmac_f32_e32 v6, v2, v5
	buffer_store_dword v7, off, s[0:3], 0 offset:232
	buffer_store_dword v6, off, s[0:3], 0 offset:236
.LBB127_131:
	s_or_b32 exec_lo, exec_lo, s4
	s_waitcnt_vscnt null, 0x0
	s_barrier
	buffer_gl0_inv
	s_clause 0x1
	buffer_load_dword v5, off, s[0:3], 0 offset:240
	buffer_load_dword v6, off, s[0:3], 0 offset:244
	s_mov_b32 s4, exec_lo
	s_waitcnt vmcnt(0)
	ds_write_b64 v4, v[5:6]
	s_waitcnt lgkmcnt(0)
	s_barrier
	buffer_gl0_inv
	v_cmpx_gt_u32_e32 30, v0
	s_cbranch_execz .LBB127_135
; %bb.132:
	v_add_nc_u32_e32 v5, -1, v0
	v_or_b32_e32 v6, 0x200, v3
	v_mov_b32_e32 v7, v3
	v_mov_b32_e32 v2, 0
	;; [unrolled: 1-line block ×3, first 2 shown]
	s_mov_b32 s5, 0
	.p2align	6
.LBB127_133:                            ; =>This Inner Loop Header: Depth=1
	s_clause 0x1
	buffer_load_dword v11, v7, s[0:3], 0 offen offset:4
	buffer_load_dword v12, v7, s[0:3], 0 offen
	ds_read_b64 v[9:10], v6
	v_add_nc_u32_e32 v5, 1, v5
	v_add_nc_u32_e32 v6, 8, v6
	;; [unrolled: 1-line block ×3, first 2 shown]
	v_cmp_lt_u32_e32 vcc_lo, 28, v5
	s_or_b32 s5, vcc_lo, s5
	s_waitcnt vmcnt(1) lgkmcnt(0)
	v_mul_f32_e32 v141, v10, v11
	v_mul_f32_e32 v11, v9, v11
	s_waitcnt vmcnt(0)
	v_fma_f32 v9, v9, v12, -v141
	v_fmac_f32_e32 v11, v10, v12
	v_add_f32_e32 v8, v8, v9
	v_add_f32_e32 v2, v2, v11
	s_andn2_b32 exec_lo, exec_lo, s5
	s_cbranch_execnz .LBB127_133
; %bb.134:
	s_or_b32 exec_lo, exec_lo, s5
	v_mov_b32_e32 v5, 0
	ds_read_b64 v[5:6], v5 offset:240
	s_waitcnt lgkmcnt(0)
	v_mul_f32_e32 v7, v2, v6
	v_mul_f32_e32 v6, v8, v6
	v_fma_f32 v7, v8, v5, -v7
	v_fmac_f32_e32 v6, v2, v5
	buffer_store_dword v7, off, s[0:3], 0 offset:240
	buffer_store_dword v6, off, s[0:3], 0 offset:244
.LBB127_135:
	s_or_b32 exec_lo, exec_lo, s4
	s_waitcnt_vscnt null, 0x0
	s_barrier
	buffer_gl0_inv
	s_clause 0x1
	buffer_load_dword v5, off, s[0:3], 0 offset:248
	buffer_load_dword v6, off, s[0:3], 0 offset:252
	s_mov_b32 s4, exec_lo
	s_waitcnt vmcnt(0)
	ds_write_b64 v4, v[5:6]
	s_waitcnt lgkmcnt(0)
	s_barrier
	buffer_gl0_inv
	v_cmpx_gt_u32_e32 31, v0
	s_cbranch_execz .LBB127_139
; %bb.136:
	v_add_nc_u32_e32 v5, -1, v0
	v_or_b32_e32 v6, 0x200, v3
	v_mov_b32_e32 v7, v3
	v_mov_b32_e32 v2, 0
	;; [unrolled: 1-line block ×3, first 2 shown]
	s_mov_b32 s5, 0
	.p2align	6
.LBB127_137:                            ; =>This Inner Loop Header: Depth=1
	s_clause 0x1
	buffer_load_dword v11, v7, s[0:3], 0 offen offset:4
	buffer_load_dword v12, v7, s[0:3], 0 offen
	ds_read_b64 v[9:10], v6
	v_add_nc_u32_e32 v5, 1, v5
	v_add_nc_u32_e32 v6, 8, v6
	;; [unrolled: 1-line block ×3, first 2 shown]
	v_cmp_lt_u32_e32 vcc_lo, 29, v5
	s_or_b32 s5, vcc_lo, s5
	s_waitcnt vmcnt(1) lgkmcnt(0)
	v_mul_f32_e32 v141, v10, v11
	v_mul_f32_e32 v11, v9, v11
	s_waitcnt vmcnt(0)
	v_fma_f32 v9, v9, v12, -v141
	v_fmac_f32_e32 v11, v10, v12
	v_add_f32_e32 v8, v8, v9
	v_add_f32_e32 v2, v2, v11
	s_andn2_b32 exec_lo, exec_lo, s5
	s_cbranch_execnz .LBB127_137
; %bb.138:
	s_or_b32 exec_lo, exec_lo, s5
	v_mov_b32_e32 v5, 0
	ds_read_b64 v[5:6], v5 offset:248
	s_waitcnt lgkmcnt(0)
	v_mul_f32_e32 v7, v2, v6
	v_mul_f32_e32 v6, v8, v6
	v_fma_f32 v7, v8, v5, -v7
	v_fmac_f32_e32 v6, v2, v5
	buffer_store_dword v7, off, s[0:3], 0 offset:248
	buffer_store_dword v6, off, s[0:3], 0 offset:252
.LBB127_139:
	s_or_b32 exec_lo, exec_lo, s4
	s_waitcnt_vscnt null, 0x0
	s_barrier
	buffer_gl0_inv
	s_clause 0x1
	buffer_load_dword v5, off, s[0:3], 0 offset:256
	buffer_load_dword v6, off, s[0:3], 0 offset:260
	s_mov_b32 s4, exec_lo
	s_waitcnt vmcnt(0)
	ds_write_b64 v4, v[5:6]
	s_waitcnt lgkmcnt(0)
	s_barrier
	buffer_gl0_inv
	v_cmpx_gt_u32_e32 32, v0
	s_cbranch_execz .LBB127_143
; %bb.140:
	v_add_nc_u32_e32 v5, -1, v0
	v_or_b32_e32 v6, 0x200, v3
	v_mov_b32_e32 v7, v3
	v_mov_b32_e32 v2, 0
	;; [unrolled: 1-line block ×3, first 2 shown]
	s_mov_b32 s5, 0
	.p2align	6
.LBB127_141:                            ; =>This Inner Loop Header: Depth=1
	s_clause 0x1
	buffer_load_dword v11, v7, s[0:3], 0 offen offset:4
	buffer_load_dword v12, v7, s[0:3], 0 offen
	ds_read_b64 v[9:10], v6
	v_add_nc_u32_e32 v5, 1, v5
	v_add_nc_u32_e32 v6, 8, v6
	;; [unrolled: 1-line block ×3, first 2 shown]
	v_cmp_lt_u32_e32 vcc_lo, 30, v5
	s_or_b32 s5, vcc_lo, s5
	s_waitcnt vmcnt(1) lgkmcnt(0)
	v_mul_f32_e32 v141, v10, v11
	v_mul_f32_e32 v11, v9, v11
	s_waitcnt vmcnt(0)
	v_fma_f32 v9, v9, v12, -v141
	v_fmac_f32_e32 v11, v10, v12
	v_add_f32_e32 v8, v8, v9
	v_add_f32_e32 v2, v2, v11
	s_andn2_b32 exec_lo, exec_lo, s5
	s_cbranch_execnz .LBB127_141
; %bb.142:
	s_or_b32 exec_lo, exec_lo, s5
	v_mov_b32_e32 v5, 0
	ds_read_b64 v[5:6], v5 offset:256
	s_waitcnt lgkmcnt(0)
	v_mul_f32_e32 v7, v2, v6
	v_mul_f32_e32 v6, v8, v6
	v_fma_f32 v7, v8, v5, -v7
	v_fmac_f32_e32 v6, v2, v5
	buffer_store_dword v7, off, s[0:3], 0 offset:256
	buffer_store_dword v6, off, s[0:3], 0 offset:260
.LBB127_143:
	s_or_b32 exec_lo, exec_lo, s4
	s_waitcnt_vscnt null, 0x0
	s_barrier
	buffer_gl0_inv
	s_clause 0x1
	buffer_load_dword v5, off, s[0:3], 0 offset:264
	buffer_load_dword v6, off, s[0:3], 0 offset:268
	s_mov_b32 s4, exec_lo
	s_waitcnt vmcnt(0)
	ds_write_b64 v4, v[5:6]
	s_waitcnt lgkmcnt(0)
	s_barrier
	buffer_gl0_inv
	v_cmpx_gt_u32_e32 33, v0
	s_cbranch_execz .LBB127_147
; %bb.144:
	v_add_nc_u32_e32 v5, -1, v0
	v_or_b32_e32 v6, 0x200, v3
	v_mov_b32_e32 v7, v3
	v_mov_b32_e32 v2, 0
	;; [unrolled: 1-line block ×3, first 2 shown]
	s_mov_b32 s5, 0
	.p2align	6
.LBB127_145:                            ; =>This Inner Loop Header: Depth=1
	s_clause 0x1
	buffer_load_dword v11, v7, s[0:3], 0 offen offset:4
	buffer_load_dword v12, v7, s[0:3], 0 offen
	ds_read_b64 v[9:10], v6
	v_add_nc_u32_e32 v5, 1, v5
	v_add_nc_u32_e32 v6, 8, v6
	;; [unrolled: 1-line block ×3, first 2 shown]
	v_cmp_lt_u32_e32 vcc_lo, 31, v5
	s_or_b32 s5, vcc_lo, s5
	s_waitcnt vmcnt(1) lgkmcnt(0)
	v_mul_f32_e32 v141, v10, v11
	v_mul_f32_e32 v11, v9, v11
	s_waitcnt vmcnt(0)
	v_fma_f32 v9, v9, v12, -v141
	v_fmac_f32_e32 v11, v10, v12
	v_add_f32_e32 v8, v8, v9
	v_add_f32_e32 v2, v2, v11
	s_andn2_b32 exec_lo, exec_lo, s5
	s_cbranch_execnz .LBB127_145
; %bb.146:
	s_or_b32 exec_lo, exec_lo, s5
	v_mov_b32_e32 v5, 0
	ds_read_b64 v[5:6], v5 offset:264
	s_waitcnt lgkmcnt(0)
	v_mul_f32_e32 v7, v2, v6
	v_mul_f32_e32 v6, v8, v6
	v_fma_f32 v7, v8, v5, -v7
	v_fmac_f32_e32 v6, v2, v5
	buffer_store_dword v7, off, s[0:3], 0 offset:264
	buffer_store_dword v6, off, s[0:3], 0 offset:268
.LBB127_147:
	s_or_b32 exec_lo, exec_lo, s4
	s_waitcnt_vscnt null, 0x0
	s_barrier
	buffer_gl0_inv
	s_clause 0x1
	buffer_load_dword v5, off, s[0:3], 0 offset:272
	buffer_load_dword v6, off, s[0:3], 0 offset:276
	s_mov_b32 s4, exec_lo
	s_waitcnt vmcnt(0)
	ds_write_b64 v4, v[5:6]
	s_waitcnt lgkmcnt(0)
	s_barrier
	buffer_gl0_inv
	v_cmpx_gt_u32_e32 34, v0
	s_cbranch_execz .LBB127_151
; %bb.148:
	v_add_nc_u32_e32 v5, -1, v0
	v_or_b32_e32 v6, 0x200, v3
	v_mov_b32_e32 v7, v3
	v_mov_b32_e32 v2, 0
	;; [unrolled: 1-line block ×3, first 2 shown]
	s_mov_b32 s5, 0
	.p2align	6
.LBB127_149:                            ; =>This Inner Loop Header: Depth=1
	s_clause 0x1
	buffer_load_dword v11, v7, s[0:3], 0 offen offset:4
	buffer_load_dword v12, v7, s[0:3], 0 offen
	ds_read_b64 v[9:10], v6
	v_add_nc_u32_e32 v5, 1, v5
	v_add_nc_u32_e32 v6, 8, v6
	;; [unrolled: 1-line block ×3, first 2 shown]
	v_cmp_lt_u32_e32 vcc_lo, 32, v5
	s_or_b32 s5, vcc_lo, s5
	s_waitcnt vmcnt(1) lgkmcnt(0)
	v_mul_f32_e32 v141, v10, v11
	v_mul_f32_e32 v11, v9, v11
	s_waitcnt vmcnt(0)
	v_fma_f32 v9, v9, v12, -v141
	v_fmac_f32_e32 v11, v10, v12
	v_add_f32_e32 v8, v8, v9
	v_add_f32_e32 v2, v2, v11
	s_andn2_b32 exec_lo, exec_lo, s5
	s_cbranch_execnz .LBB127_149
; %bb.150:
	s_or_b32 exec_lo, exec_lo, s5
	v_mov_b32_e32 v5, 0
	ds_read_b64 v[5:6], v5 offset:272
	s_waitcnt lgkmcnt(0)
	v_mul_f32_e32 v7, v2, v6
	v_mul_f32_e32 v6, v8, v6
	v_fma_f32 v7, v8, v5, -v7
	v_fmac_f32_e32 v6, v2, v5
	buffer_store_dword v7, off, s[0:3], 0 offset:272
	buffer_store_dword v6, off, s[0:3], 0 offset:276
.LBB127_151:
	s_or_b32 exec_lo, exec_lo, s4
	s_waitcnt_vscnt null, 0x0
	s_barrier
	buffer_gl0_inv
	s_clause 0x1
	buffer_load_dword v5, off, s[0:3], 0 offset:280
	buffer_load_dword v6, off, s[0:3], 0 offset:284
	s_mov_b32 s4, exec_lo
	s_waitcnt vmcnt(0)
	ds_write_b64 v4, v[5:6]
	s_waitcnt lgkmcnt(0)
	s_barrier
	buffer_gl0_inv
	v_cmpx_gt_u32_e32 35, v0
	s_cbranch_execz .LBB127_155
; %bb.152:
	v_add_nc_u32_e32 v5, -1, v0
	v_or_b32_e32 v6, 0x200, v3
	v_mov_b32_e32 v7, v3
	v_mov_b32_e32 v2, 0
	;; [unrolled: 1-line block ×3, first 2 shown]
	s_mov_b32 s5, 0
	.p2align	6
.LBB127_153:                            ; =>This Inner Loop Header: Depth=1
	s_clause 0x1
	buffer_load_dword v11, v7, s[0:3], 0 offen offset:4
	buffer_load_dword v12, v7, s[0:3], 0 offen
	ds_read_b64 v[9:10], v6
	v_add_nc_u32_e32 v5, 1, v5
	v_add_nc_u32_e32 v6, 8, v6
	;; [unrolled: 1-line block ×3, first 2 shown]
	v_cmp_lt_u32_e32 vcc_lo, 33, v5
	s_or_b32 s5, vcc_lo, s5
	s_waitcnt vmcnt(1) lgkmcnt(0)
	v_mul_f32_e32 v141, v10, v11
	v_mul_f32_e32 v11, v9, v11
	s_waitcnt vmcnt(0)
	v_fma_f32 v9, v9, v12, -v141
	v_fmac_f32_e32 v11, v10, v12
	v_add_f32_e32 v8, v8, v9
	v_add_f32_e32 v2, v2, v11
	s_andn2_b32 exec_lo, exec_lo, s5
	s_cbranch_execnz .LBB127_153
; %bb.154:
	s_or_b32 exec_lo, exec_lo, s5
	v_mov_b32_e32 v5, 0
	ds_read_b64 v[5:6], v5 offset:280
	s_waitcnt lgkmcnt(0)
	v_mul_f32_e32 v7, v2, v6
	v_mul_f32_e32 v6, v8, v6
	v_fma_f32 v7, v8, v5, -v7
	v_fmac_f32_e32 v6, v2, v5
	buffer_store_dword v7, off, s[0:3], 0 offset:280
	buffer_store_dword v6, off, s[0:3], 0 offset:284
.LBB127_155:
	s_or_b32 exec_lo, exec_lo, s4
	s_waitcnt_vscnt null, 0x0
	s_barrier
	buffer_gl0_inv
	s_clause 0x1
	buffer_load_dword v5, off, s[0:3], 0 offset:288
	buffer_load_dword v6, off, s[0:3], 0 offset:292
	s_mov_b32 s4, exec_lo
	s_waitcnt vmcnt(0)
	ds_write_b64 v4, v[5:6]
	s_waitcnt lgkmcnt(0)
	s_barrier
	buffer_gl0_inv
	v_cmpx_gt_u32_e32 36, v0
	s_cbranch_execz .LBB127_159
; %bb.156:
	v_add_nc_u32_e32 v5, -1, v0
	v_or_b32_e32 v6, 0x200, v3
	v_mov_b32_e32 v7, v3
	v_mov_b32_e32 v2, 0
	;; [unrolled: 1-line block ×3, first 2 shown]
	s_mov_b32 s5, 0
	.p2align	6
.LBB127_157:                            ; =>This Inner Loop Header: Depth=1
	s_clause 0x1
	buffer_load_dword v11, v7, s[0:3], 0 offen offset:4
	buffer_load_dword v12, v7, s[0:3], 0 offen
	ds_read_b64 v[9:10], v6
	v_add_nc_u32_e32 v5, 1, v5
	v_add_nc_u32_e32 v6, 8, v6
	;; [unrolled: 1-line block ×3, first 2 shown]
	v_cmp_lt_u32_e32 vcc_lo, 34, v5
	s_or_b32 s5, vcc_lo, s5
	s_waitcnt vmcnt(1) lgkmcnt(0)
	v_mul_f32_e32 v141, v10, v11
	v_mul_f32_e32 v11, v9, v11
	s_waitcnt vmcnt(0)
	v_fma_f32 v9, v9, v12, -v141
	v_fmac_f32_e32 v11, v10, v12
	v_add_f32_e32 v8, v8, v9
	v_add_f32_e32 v2, v2, v11
	s_andn2_b32 exec_lo, exec_lo, s5
	s_cbranch_execnz .LBB127_157
; %bb.158:
	s_or_b32 exec_lo, exec_lo, s5
	v_mov_b32_e32 v5, 0
	ds_read_b64 v[5:6], v5 offset:288
	s_waitcnt lgkmcnt(0)
	v_mul_f32_e32 v7, v2, v6
	v_mul_f32_e32 v6, v8, v6
	v_fma_f32 v7, v8, v5, -v7
	v_fmac_f32_e32 v6, v2, v5
	buffer_store_dword v7, off, s[0:3], 0 offset:288
	buffer_store_dword v6, off, s[0:3], 0 offset:292
.LBB127_159:
	s_or_b32 exec_lo, exec_lo, s4
	s_waitcnt_vscnt null, 0x0
	s_barrier
	buffer_gl0_inv
	s_clause 0x1
	buffer_load_dword v5, off, s[0:3], 0 offset:296
	buffer_load_dword v6, off, s[0:3], 0 offset:300
	s_mov_b32 s4, exec_lo
	s_waitcnt vmcnt(0)
	ds_write_b64 v4, v[5:6]
	s_waitcnt lgkmcnt(0)
	s_barrier
	buffer_gl0_inv
	v_cmpx_gt_u32_e32 37, v0
	s_cbranch_execz .LBB127_163
; %bb.160:
	v_add_nc_u32_e32 v5, -1, v0
	v_or_b32_e32 v6, 0x200, v3
	v_mov_b32_e32 v7, v3
	v_mov_b32_e32 v2, 0
	;; [unrolled: 1-line block ×3, first 2 shown]
	s_mov_b32 s5, 0
	.p2align	6
.LBB127_161:                            ; =>This Inner Loop Header: Depth=1
	s_clause 0x1
	buffer_load_dword v11, v7, s[0:3], 0 offen offset:4
	buffer_load_dword v12, v7, s[0:3], 0 offen
	ds_read_b64 v[9:10], v6
	v_add_nc_u32_e32 v5, 1, v5
	v_add_nc_u32_e32 v6, 8, v6
	;; [unrolled: 1-line block ×3, first 2 shown]
	v_cmp_lt_u32_e32 vcc_lo, 35, v5
	s_or_b32 s5, vcc_lo, s5
	s_waitcnt vmcnt(1) lgkmcnt(0)
	v_mul_f32_e32 v141, v10, v11
	v_mul_f32_e32 v11, v9, v11
	s_waitcnt vmcnt(0)
	v_fma_f32 v9, v9, v12, -v141
	v_fmac_f32_e32 v11, v10, v12
	v_add_f32_e32 v8, v8, v9
	v_add_f32_e32 v2, v2, v11
	s_andn2_b32 exec_lo, exec_lo, s5
	s_cbranch_execnz .LBB127_161
; %bb.162:
	s_or_b32 exec_lo, exec_lo, s5
	v_mov_b32_e32 v5, 0
	ds_read_b64 v[5:6], v5 offset:296
	s_waitcnt lgkmcnt(0)
	v_mul_f32_e32 v7, v2, v6
	v_mul_f32_e32 v6, v8, v6
	v_fma_f32 v7, v8, v5, -v7
	v_fmac_f32_e32 v6, v2, v5
	buffer_store_dword v7, off, s[0:3], 0 offset:296
	buffer_store_dword v6, off, s[0:3], 0 offset:300
.LBB127_163:
	s_or_b32 exec_lo, exec_lo, s4
	s_waitcnt_vscnt null, 0x0
	s_barrier
	buffer_gl0_inv
	s_clause 0x1
	buffer_load_dword v5, off, s[0:3], 0 offset:304
	buffer_load_dword v6, off, s[0:3], 0 offset:308
	s_mov_b32 s4, exec_lo
	s_waitcnt vmcnt(0)
	ds_write_b64 v4, v[5:6]
	s_waitcnt lgkmcnt(0)
	s_barrier
	buffer_gl0_inv
	v_cmpx_gt_u32_e32 38, v0
	s_cbranch_execz .LBB127_167
; %bb.164:
	v_add_nc_u32_e32 v5, -1, v0
	v_or_b32_e32 v6, 0x200, v3
	v_mov_b32_e32 v7, v3
	v_mov_b32_e32 v2, 0
	;; [unrolled: 1-line block ×3, first 2 shown]
	s_mov_b32 s5, 0
	.p2align	6
.LBB127_165:                            ; =>This Inner Loop Header: Depth=1
	s_clause 0x1
	buffer_load_dword v11, v7, s[0:3], 0 offen offset:4
	buffer_load_dword v12, v7, s[0:3], 0 offen
	ds_read_b64 v[9:10], v6
	v_add_nc_u32_e32 v5, 1, v5
	v_add_nc_u32_e32 v6, 8, v6
	;; [unrolled: 1-line block ×3, first 2 shown]
	v_cmp_lt_u32_e32 vcc_lo, 36, v5
	s_or_b32 s5, vcc_lo, s5
	s_waitcnt vmcnt(1) lgkmcnt(0)
	v_mul_f32_e32 v141, v10, v11
	v_mul_f32_e32 v11, v9, v11
	s_waitcnt vmcnt(0)
	v_fma_f32 v9, v9, v12, -v141
	v_fmac_f32_e32 v11, v10, v12
	v_add_f32_e32 v8, v8, v9
	v_add_f32_e32 v2, v2, v11
	s_andn2_b32 exec_lo, exec_lo, s5
	s_cbranch_execnz .LBB127_165
; %bb.166:
	s_or_b32 exec_lo, exec_lo, s5
	v_mov_b32_e32 v5, 0
	ds_read_b64 v[5:6], v5 offset:304
	s_waitcnt lgkmcnt(0)
	v_mul_f32_e32 v7, v2, v6
	v_mul_f32_e32 v6, v8, v6
	v_fma_f32 v7, v8, v5, -v7
	v_fmac_f32_e32 v6, v2, v5
	buffer_store_dword v7, off, s[0:3], 0 offset:304
	buffer_store_dword v6, off, s[0:3], 0 offset:308
.LBB127_167:
	s_or_b32 exec_lo, exec_lo, s4
	s_waitcnt_vscnt null, 0x0
	s_barrier
	buffer_gl0_inv
	s_clause 0x1
	buffer_load_dword v5, off, s[0:3], 0 offset:312
	buffer_load_dword v6, off, s[0:3], 0 offset:316
	s_mov_b32 s4, exec_lo
	s_waitcnt vmcnt(0)
	ds_write_b64 v4, v[5:6]
	s_waitcnt lgkmcnt(0)
	s_barrier
	buffer_gl0_inv
	v_cmpx_gt_u32_e32 39, v0
	s_cbranch_execz .LBB127_171
; %bb.168:
	v_add_nc_u32_e32 v5, -1, v0
	v_or_b32_e32 v6, 0x200, v3
	v_mov_b32_e32 v7, v3
	v_mov_b32_e32 v2, 0
	;; [unrolled: 1-line block ×3, first 2 shown]
	s_mov_b32 s5, 0
	.p2align	6
.LBB127_169:                            ; =>This Inner Loop Header: Depth=1
	s_clause 0x1
	buffer_load_dword v11, v7, s[0:3], 0 offen offset:4
	buffer_load_dword v12, v7, s[0:3], 0 offen
	ds_read_b64 v[9:10], v6
	v_add_nc_u32_e32 v5, 1, v5
	v_add_nc_u32_e32 v6, 8, v6
	;; [unrolled: 1-line block ×3, first 2 shown]
	v_cmp_lt_u32_e32 vcc_lo, 37, v5
	s_or_b32 s5, vcc_lo, s5
	s_waitcnt vmcnt(1) lgkmcnt(0)
	v_mul_f32_e32 v141, v10, v11
	v_mul_f32_e32 v11, v9, v11
	s_waitcnt vmcnt(0)
	v_fma_f32 v9, v9, v12, -v141
	v_fmac_f32_e32 v11, v10, v12
	v_add_f32_e32 v8, v8, v9
	v_add_f32_e32 v2, v2, v11
	s_andn2_b32 exec_lo, exec_lo, s5
	s_cbranch_execnz .LBB127_169
; %bb.170:
	s_or_b32 exec_lo, exec_lo, s5
	v_mov_b32_e32 v5, 0
	ds_read_b64 v[5:6], v5 offset:312
	s_waitcnt lgkmcnt(0)
	v_mul_f32_e32 v7, v2, v6
	v_mul_f32_e32 v6, v8, v6
	v_fma_f32 v7, v8, v5, -v7
	v_fmac_f32_e32 v6, v2, v5
	buffer_store_dword v7, off, s[0:3], 0 offset:312
	buffer_store_dword v6, off, s[0:3], 0 offset:316
.LBB127_171:
	s_or_b32 exec_lo, exec_lo, s4
	s_waitcnt_vscnt null, 0x0
	s_barrier
	buffer_gl0_inv
	s_clause 0x1
	buffer_load_dword v5, off, s[0:3], 0 offset:320
	buffer_load_dword v6, off, s[0:3], 0 offset:324
	s_mov_b32 s4, exec_lo
	s_waitcnt vmcnt(0)
	ds_write_b64 v4, v[5:6]
	s_waitcnt lgkmcnt(0)
	s_barrier
	buffer_gl0_inv
	v_cmpx_gt_u32_e32 40, v0
	s_cbranch_execz .LBB127_175
; %bb.172:
	v_add_nc_u32_e32 v5, -1, v0
	v_or_b32_e32 v6, 0x200, v3
	v_mov_b32_e32 v7, v3
	v_mov_b32_e32 v2, 0
	;; [unrolled: 1-line block ×3, first 2 shown]
	s_mov_b32 s5, 0
	.p2align	6
.LBB127_173:                            ; =>This Inner Loop Header: Depth=1
	s_clause 0x1
	buffer_load_dword v11, v7, s[0:3], 0 offen offset:4
	buffer_load_dword v12, v7, s[0:3], 0 offen
	ds_read_b64 v[9:10], v6
	v_add_nc_u32_e32 v5, 1, v5
	v_add_nc_u32_e32 v6, 8, v6
	;; [unrolled: 1-line block ×3, first 2 shown]
	v_cmp_lt_u32_e32 vcc_lo, 38, v5
	s_or_b32 s5, vcc_lo, s5
	s_waitcnt vmcnt(1) lgkmcnt(0)
	v_mul_f32_e32 v141, v10, v11
	v_mul_f32_e32 v11, v9, v11
	s_waitcnt vmcnt(0)
	v_fma_f32 v9, v9, v12, -v141
	v_fmac_f32_e32 v11, v10, v12
	v_add_f32_e32 v8, v8, v9
	v_add_f32_e32 v2, v2, v11
	s_andn2_b32 exec_lo, exec_lo, s5
	s_cbranch_execnz .LBB127_173
; %bb.174:
	s_or_b32 exec_lo, exec_lo, s5
	v_mov_b32_e32 v5, 0
	ds_read_b64 v[5:6], v5 offset:320
	s_waitcnt lgkmcnt(0)
	v_mul_f32_e32 v7, v2, v6
	v_mul_f32_e32 v6, v8, v6
	v_fma_f32 v7, v8, v5, -v7
	v_fmac_f32_e32 v6, v2, v5
	buffer_store_dword v7, off, s[0:3], 0 offset:320
	buffer_store_dword v6, off, s[0:3], 0 offset:324
.LBB127_175:
	s_or_b32 exec_lo, exec_lo, s4
	s_waitcnt_vscnt null, 0x0
	s_barrier
	buffer_gl0_inv
	s_clause 0x1
	buffer_load_dword v5, off, s[0:3], 0 offset:328
	buffer_load_dword v6, off, s[0:3], 0 offset:332
	s_mov_b32 s4, exec_lo
	s_waitcnt vmcnt(0)
	ds_write_b64 v4, v[5:6]
	s_waitcnt lgkmcnt(0)
	s_barrier
	buffer_gl0_inv
	v_cmpx_gt_u32_e32 41, v0
	s_cbranch_execz .LBB127_179
; %bb.176:
	v_add_nc_u32_e32 v5, -1, v0
	v_or_b32_e32 v6, 0x200, v3
	v_mov_b32_e32 v7, v3
	v_mov_b32_e32 v2, 0
	;; [unrolled: 1-line block ×3, first 2 shown]
	s_mov_b32 s5, 0
	.p2align	6
.LBB127_177:                            ; =>This Inner Loop Header: Depth=1
	s_clause 0x1
	buffer_load_dword v11, v7, s[0:3], 0 offen offset:4
	buffer_load_dword v12, v7, s[0:3], 0 offen
	ds_read_b64 v[9:10], v6
	v_add_nc_u32_e32 v5, 1, v5
	v_add_nc_u32_e32 v6, 8, v6
	;; [unrolled: 1-line block ×3, first 2 shown]
	v_cmp_lt_u32_e32 vcc_lo, 39, v5
	s_or_b32 s5, vcc_lo, s5
	s_waitcnt vmcnt(1) lgkmcnt(0)
	v_mul_f32_e32 v141, v10, v11
	v_mul_f32_e32 v11, v9, v11
	s_waitcnt vmcnt(0)
	v_fma_f32 v9, v9, v12, -v141
	v_fmac_f32_e32 v11, v10, v12
	v_add_f32_e32 v8, v8, v9
	v_add_f32_e32 v2, v2, v11
	s_andn2_b32 exec_lo, exec_lo, s5
	s_cbranch_execnz .LBB127_177
; %bb.178:
	s_or_b32 exec_lo, exec_lo, s5
	v_mov_b32_e32 v5, 0
	ds_read_b64 v[5:6], v5 offset:328
	s_waitcnt lgkmcnt(0)
	v_mul_f32_e32 v7, v2, v6
	v_mul_f32_e32 v6, v8, v6
	v_fma_f32 v7, v8, v5, -v7
	v_fmac_f32_e32 v6, v2, v5
	buffer_store_dword v7, off, s[0:3], 0 offset:328
	buffer_store_dword v6, off, s[0:3], 0 offset:332
.LBB127_179:
	s_or_b32 exec_lo, exec_lo, s4
	s_waitcnt_vscnt null, 0x0
	s_barrier
	buffer_gl0_inv
	s_clause 0x1
	buffer_load_dword v5, off, s[0:3], 0 offset:336
	buffer_load_dword v6, off, s[0:3], 0 offset:340
	s_mov_b32 s4, exec_lo
	s_waitcnt vmcnt(0)
	ds_write_b64 v4, v[5:6]
	s_waitcnt lgkmcnt(0)
	s_barrier
	buffer_gl0_inv
	v_cmpx_gt_u32_e32 42, v0
	s_cbranch_execz .LBB127_183
; %bb.180:
	v_add_nc_u32_e32 v5, -1, v0
	v_or_b32_e32 v6, 0x200, v3
	v_mov_b32_e32 v7, v3
	v_mov_b32_e32 v2, 0
	;; [unrolled: 1-line block ×3, first 2 shown]
	s_mov_b32 s5, 0
	.p2align	6
.LBB127_181:                            ; =>This Inner Loop Header: Depth=1
	s_clause 0x1
	buffer_load_dword v11, v7, s[0:3], 0 offen offset:4
	buffer_load_dword v12, v7, s[0:3], 0 offen
	ds_read_b64 v[9:10], v6
	v_add_nc_u32_e32 v5, 1, v5
	v_add_nc_u32_e32 v6, 8, v6
	;; [unrolled: 1-line block ×3, first 2 shown]
	v_cmp_lt_u32_e32 vcc_lo, 40, v5
	s_or_b32 s5, vcc_lo, s5
	s_waitcnt vmcnt(1) lgkmcnt(0)
	v_mul_f32_e32 v141, v10, v11
	v_mul_f32_e32 v11, v9, v11
	s_waitcnt vmcnt(0)
	v_fma_f32 v9, v9, v12, -v141
	v_fmac_f32_e32 v11, v10, v12
	v_add_f32_e32 v8, v8, v9
	v_add_f32_e32 v2, v2, v11
	s_andn2_b32 exec_lo, exec_lo, s5
	s_cbranch_execnz .LBB127_181
; %bb.182:
	s_or_b32 exec_lo, exec_lo, s5
	v_mov_b32_e32 v5, 0
	ds_read_b64 v[5:6], v5 offset:336
	s_waitcnt lgkmcnt(0)
	v_mul_f32_e32 v7, v2, v6
	v_mul_f32_e32 v6, v8, v6
	v_fma_f32 v7, v8, v5, -v7
	v_fmac_f32_e32 v6, v2, v5
	buffer_store_dword v7, off, s[0:3], 0 offset:336
	buffer_store_dword v6, off, s[0:3], 0 offset:340
.LBB127_183:
	s_or_b32 exec_lo, exec_lo, s4
	s_waitcnt_vscnt null, 0x0
	s_barrier
	buffer_gl0_inv
	s_clause 0x1
	buffer_load_dword v5, off, s[0:3], 0 offset:344
	buffer_load_dword v6, off, s[0:3], 0 offset:348
	s_mov_b32 s4, exec_lo
	s_waitcnt vmcnt(0)
	ds_write_b64 v4, v[5:6]
	s_waitcnt lgkmcnt(0)
	s_barrier
	buffer_gl0_inv
	v_cmpx_gt_u32_e32 43, v0
	s_cbranch_execz .LBB127_187
; %bb.184:
	v_add_nc_u32_e32 v5, -1, v0
	v_or_b32_e32 v6, 0x200, v3
	v_mov_b32_e32 v7, v3
	v_mov_b32_e32 v2, 0
	;; [unrolled: 1-line block ×3, first 2 shown]
	s_mov_b32 s5, 0
	.p2align	6
.LBB127_185:                            ; =>This Inner Loop Header: Depth=1
	s_clause 0x1
	buffer_load_dword v11, v7, s[0:3], 0 offen offset:4
	buffer_load_dword v12, v7, s[0:3], 0 offen
	ds_read_b64 v[9:10], v6
	v_add_nc_u32_e32 v5, 1, v5
	v_add_nc_u32_e32 v6, 8, v6
	;; [unrolled: 1-line block ×3, first 2 shown]
	v_cmp_lt_u32_e32 vcc_lo, 41, v5
	s_or_b32 s5, vcc_lo, s5
	s_waitcnt vmcnt(1) lgkmcnt(0)
	v_mul_f32_e32 v141, v10, v11
	v_mul_f32_e32 v11, v9, v11
	s_waitcnt vmcnt(0)
	v_fma_f32 v9, v9, v12, -v141
	v_fmac_f32_e32 v11, v10, v12
	v_add_f32_e32 v8, v8, v9
	v_add_f32_e32 v2, v2, v11
	s_andn2_b32 exec_lo, exec_lo, s5
	s_cbranch_execnz .LBB127_185
; %bb.186:
	s_or_b32 exec_lo, exec_lo, s5
	v_mov_b32_e32 v5, 0
	ds_read_b64 v[5:6], v5 offset:344
	s_waitcnt lgkmcnt(0)
	v_mul_f32_e32 v7, v2, v6
	v_mul_f32_e32 v6, v8, v6
	v_fma_f32 v7, v8, v5, -v7
	v_fmac_f32_e32 v6, v2, v5
	buffer_store_dword v7, off, s[0:3], 0 offset:344
	buffer_store_dword v6, off, s[0:3], 0 offset:348
.LBB127_187:
	s_or_b32 exec_lo, exec_lo, s4
	s_waitcnt_vscnt null, 0x0
	s_barrier
	buffer_gl0_inv
	s_clause 0x1
	buffer_load_dword v5, off, s[0:3], 0 offset:352
	buffer_load_dword v6, off, s[0:3], 0 offset:356
	s_mov_b32 s4, exec_lo
	s_waitcnt vmcnt(0)
	ds_write_b64 v4, v[5:6]
	s_waitcnt lgkmcnt(0)
	s_barrier
	buffer_gl0_inv
	v_cmpx_gt_u32_e32 44, v0
	s_cbranch_execz .LBB127_191
; %bb.188:
	v_add_nc_u32_e32 v5, -1, v0
	v_or_b32_e32 v6, 0x200, v3
	v_mov_b32_e32 v7, v3
	v_mov_b32_e32 v2, 0
	;; [unrolled: 1-line block ×3, first 2 shown]
	s_mov_b32 s5, 0
	.p2align	6
.LBB127_189:                            ; =>This Inner Loop Header: Depth=1
	s_clause 0x1
	buffer_load_dword v11, v7, s[0:3], 0 offen offset:4
	buffer_load_dword v12, v7, s[0:3], 0 offen
	ds_read_b64 v[9:10], v6
	v_add_nc_u32_e32 v5, 1, v5
	v_add_nc_u32_e32 v6, 8, v6
	;; [unrolled: 1-line block ×3, first 2 shown]
	v_cmp_lt_u32_e32 vcc_lo, 42, v5
	s_or_b32 s5, vcc_lo, s5
	s_waitcnt vmcnt(1) lgkmcnt(0)
	v_mul_f32_e32 v141, v10, v11
	v_mul_f32_e32 v11, v9, v11
	s_waitcnt vmcnt(0)
	v_fma_f32 v9, v9, v12, -v141
	v_fmac_f32_e32 v11, v10, v12
	v_add_f32_e32 v8, v8, v9
	v_add_f32_e32 v2, v2, v11
	s_andn2_b32 exec_lo, exec_lo, s5
	s_cbranch_execnz .LBB127_189
; %bb.190:
	s_or_b32 exec_lo, exec_lo, s5
	v_mov_b32_e32 v5, 0
	ds_read_b64 v[5:6], v5 offset:352
	s_waitcnt lgkmcnt(0)
	v_mul_f32_e32 v7, v2, v6
	v_mul_f32_e32 v6, v8, v6
	v_fma_f32 v7, v8, v5, -v7
	v_fmac_f32_e32 v6, v2, v5
	buffer_store_dword v7, off, s[0:3], 0 offset:352
	buffer_store_dword v6, off, s[0:3], 0 offset:356
.LBB127_191:
	s_or_b32 exec_lo, exec_lo, s4
	s_waitcnt_vscnt null, 0x0
	s_barrier
	buffer_gl0_inv
	s_clause 0x1
	buffer_load_dword v5, off, s[0:3], 0 offset:360
	buffer_load_dword v6, off, s[0:3], 0 offset:364
	s_mov_b32 s4, exec_lo
	s_waitcnt vmcnt(0)
	ds_write_b64 v4, v[5:6]
	s_waitcnt lgkmcnt(0)
	s_barrier
	buffer_gl0_inv
	v_cmpx_gt_u32_e32 45, v0
	s_cbranch_execz .LBB127_195
; %bb.192:
	v_add_nc_u32_e32 v5, -1, v0
	v_or_b32_e32 v6, 0x200, v3
	v_mov_b32_e32 v7, v3
	v_mov_b32_e32 v2, 0
	;; [unrolled: 1-line block ×3, first 2 shown]
	s_mov_b32 s5, 0
	.p2align	6
.LBB127_193:                            ; =>This Inner Loop Header: Depth=1
	s_clause 0x1
	buffer_load_dword v11, v7, s[0:3], 0 offen offset:4
	buffer_load_dword v12, v7, s[0:3], 0 offen
	ds_read_b64 v[9:10], v6
	v_add_nc_u32_e32 v5, 1, v5
	v_add_nc_u32_e32 v6, 8, v6
	;; [unrolled: 1-line block ×3, first 2 shown]
	v_cmp_lt_u32_e32 vcc_lo, 43, v5
	s_or_b32 s5, vcc_lo, s5
	s_waitcnt vmcnt(1) lgkmcnt(0)
	v_mul_f32_e32 v141, v10, v11
	v_mul_f32_e32 v11, v9, v11
	s_waitcnt vmcnt(0)
	v_fma_f32 v9, v9, v12, -v141
	v_fmac_f32_e32 v11, v10, v12
	v_add_f32_e32 v8, v8, v9
	v_add_f32_e32 v2, v2, v11
	s_andn2_b32 exec_lo, exec_lo, s5
	s_cbranch_execnz .LBB127_193
; %bb.194:
	s_or_b32 exec_lo, exec_lo, s5
	v_mov_b32_e32 v5, 0
	ds_read_b64 v[5:6], v5 offset:360
	s_waitcnt lgkmcnt(0)
	v_mul_f32_e32 v7, v2, v6
	v_mul_f32_e32 v6, v8, v6
	v_fma_f32 v7, v8, v5, -v7
	v_fmac_f32_e32 v6, v2, v5
	buffer_store_dword v7, off, s[0:3], 0 offset:360
	buffer_store_dword v6, off, s[0:3], 0 offset:364
.LBB127_195:
	s_or_b32 exec_lo, exec_lo, s4
	s_waitcnt_vscnt null, 0x0
	s_barrier
	buffer_gl0_inv
	s_clause 0x1
	buffer_load_dword v5, off, s[0:3], 0 offset:368
	buffer_load_dword v6, off, s[0:3], 0 offset:372
	s_mov_b32 s4, exec_lo
	s_waitcnt vmcnt(0)
	ds_write_b64 v4, v[5:6]
	s_waitcnt lgkmcnt(0)
	s_barrier
	buffer_gl0_inv
	v_cmpx_gt_u32_e32 46, v0
	s_cbranch_execz .LBB127_199
; %bb.196:
	v_add_nc_u32_e32 v5, -1, v0
	v_or_b32_e32 v6, 0x200, v3
	v_mov_b32_e32 v7, v3
	v_mov_b32_e32 v2, 0
	;; [unrolled: 1-line block ×3, first 2 shown]
	s_mov_b32 s5, 0
	.p2align	6
.LBB127_197:                            ; =>This Inner Loop Header: Depth=1
	s_clause 0x1
	buffer_load_dword v11, v7, s[0:3], 0 offen offset:4
	buffer_load_dword v12, v7, s[0:3], 0 offen
	ds_read_b64 v[9:10], v6
	v_add_nc_u32_e32 v5, 1, v5
	v_add_nc_u32_e32 v6, 8, v6
	;; [unrolled: 1-line block ×3, first 2 shown]
	v_cmp_lt_u32_e32 vcc_lo, 44, v5
	s_or_b32 s5, vcc_lo, s5
	s_waitcnt vmcnt(1) lgkmcnt(0)
	v_mul_f32_e32 v141, v10, v11
	v_mul_f32_e32 v11, v9, v11
	s_waitcnt vmcnt(0)
	v_fma_f32 v9, v9, v12, -v141
	v_fmac_f32_e32 v11, v10, v12
	v_add_f32_e32 v8, v8, v9
	v_add_f32_e32 v2, v2, v11
	s_andn2_b32 exec_lo, exec_lo, s5
	s_cbranch_execnz .LBB127_197
; %bb.198:
	s_or_b32 exec_lo, exec_lo, s5
	v_mov_b32_e32 v5, 0
	ds_read_b64 v[5:6], v5 offset:368
	s_waitcnt lgkmcnt(0)
	v_mul_f32_e32 v7, v2, v6
	v_mul_f32_e32 v6, v8, v6
	v_fma_f32 v7, v8, v5, -v7
	v_fmac_f32_e32 v6, v2, v5
	buffer_store_dword v7, off, s[0:3], 0 offset:368
	buffer_store_dword v6, off, s[0:3], 0 offset:372
.LBB127_199:
	s_or_b32 exec_lo, exec_lo, s4
	s_waitcnt_vscnt null, 0x0
	s_barrier
	buffer_gl0_inv
	s_clause 0x1
	buffer_load_dword v5, off, s[0:3], 0 offset:376
	buffer_load_dword v6, off, s[0:3], 0 offset:380
	s_mov_b32 s4, exec_lo
	s_waitcnt vmcnt(0)
	ds_write_b64 v4, v[5:6]
	s_waitcnt lgkmcnt(0)
	s_barrier
	buffer_gl0_inv
	v_cmpx_gt_u32_e32 47, v0
	s_cbranch_execz .LBB127_203
; %bb.200:
	v_add_nc_u32_e32 v5, -1, v0
	v_or_b32_e32 v6, 0x200, v3
	v_mov_b32_e32 v7, v3
	v_mov_b32_e32 v2, 0
	;; [unrolled: 1-line block ×3, first 2 shown]
	s_mov_b32 s5, 0
	.p2align	6
.LBB127_201:                            ; =>This Inner Loop Header: Depth=1
	s_clause 0x1
	buffer_load_dword v11, v7, s[0:3], 0 offen offset:4
	buffer_load_dword v12, v7, s[0:3], 0 offen
	ds_read_b64 v[9:10], v6
	v_add_nc_u32_e32 v5, 1, v5
	v_add_nc_u32_e32 v6, 8, v6
	;; [unrolled: 1-line block ×3, first 2 shown]
	v_cmp_lt_u32_e32 vcc_lo, 45, v5
	s_or_b32 s5, vcc_lo, s5
	s_waitcnt vmcnt(1) lgkmcnt(0)
	v_mul_f32_e32 v141, v10, v11
	v_mul_f32_e32 v11, v9, v11
	s_waitcnt vmcnt(0)
	v_fma_f32 v9, v9, v12, -v141
	v_fmac_f32_e32 v11, v10, v12
	v_add_f32_e32 v8, v8, v9
	v_add_f32_e32 v2, v2, v11
	s_andn2_b32 exec_lo, exec_lo, s5
	s_cbranch_execnz .LBB127_201
; %bb.202:
	s_or_b32 exec_lo, exec_lo, s5
	v_mov_b32_e32 v5, 0
	ds_read_b64 v[5:6], v5 offset:376
	s_waitcnt lgkmcnt(0)
	v_mul_f32_e32 v7, v2, v6
	v_mul_f32_e32 v6, v8, v6
	v_fma_f32 v7, v8, v5, -v7
	v_fmac_f32_e32 v6, v2, v5
	buffer_store_dword v7, off, s[0:3], 0 offset:376
	buffer_store_dword v6, off, s[0:3], 0 offset:380
.LBB127_203:
	s_or_b32 exec_lo, exec_lo, s4
	s_waitcnt_vscnt null, 0x0
	s_barrier
	buffer_gl0_inv
	s_clause 0x1
	buffer_load_dword v5, off, s[0:3], 0 offset:384
	buffer_load_dword v6, off, s[0:3], 0 offset:388
	s_mov_b32 s4, exec_lo
	s_waitcnt vmcnt(0)
	ds_write_b64 v4, v[5:6]
	s_waitcnt lgkmcnt(0)
	s_barrier
	buffer_gl0_inv
	v_cmpx_gt_u32_e32 48, v0
	s_cbranch_execz .LBB127_207
; %bb.204:
	v_add_nc_u32_e32 v5, -1, v0
	v_or_b32_e32 v6, 0x200, v3
	v_mov_b32_e32 v7, v3
	v_mov_b32_e32 v2, 0
	;; [unrolled: 1-line block ×3, first 2 shown]
	s_mov_b32 s5, 0
	.p2align	6
.LBB127_205:                            ; =>This Inner Loop Header: Depth=1
	s_clause 0x1
	buffer_load_dword v11, v7, s[0:3], 0 offen offset:4
	buffer_load_dword v12, v7, s[0:3], 0 offen
	ds_read_b64 v[9:10], v6
	v_add_nc_u32_e32 v5, 1, v5
	v_add_nc_u32_e32 v6, 8, v6
	;; [unrolled: 1-line block ×3, first 2 shown]
	v_cmp_lt_u32_e32 vcc_lo, 46, v5
	s_or_b32 s5, vcc_lo, s5
	s_waitcnt vmcnt(1) lgkmcnt(0)
	v_mul_f32_e32 v141, v10, v11
	v_mul_f32_e32 v11, v9, v11
	s_waitcnt vmcnt(0)
	v_fma_f32 v9, v9, v12, -v141
	v_fmac_f32_e32 v11, v10, v12
	v_add_f32_e32 v8, v8, v9
	v_add_f32_e32 v2, v2, v11
	s_andn2_b32 exec_lo, exec_lo, s5
	s_cbranch_execnz .LBB127_205
; %bb.206:
	s_or_b32 exec_lo, exec_lo, s5
	v_mov_b32_e32 v5, 0
	ds_read_b64 v[5:6], v5 offset:384
	s_waitcnt lgkmcnt(0)
	v_mul_f32_e32 v7, v2, v6
	v_mul_f32_e32 v6, v8, v6
	v_fma_f32 v7, v8, v5, -v7
	v_fmac_f32_e32 v6, v2, v5
	buffer_store_dword v7, off, s[0:3], 0 offset:384
	buffer_store_dword v6, off, s[0:3], 0 offset:388
.LBB127_207:
	s_or_b32 exec_lo, exec_lo, s4
	s_waitcnt_vscnt null, 0x0
	s_barrier
	buffer_gl0_inv
	s_clause 0x1
	buffer_load_dword v5, off, s[0:3], 0 offset:392
	buffer_load_dword v6, off, s[0:3], 0 offset:396
	s_mov_b32 s4, exec_lo
	s_waitcnt vmcnt(0)
	ds_write_b64 v4, v[5:6]
	s_waitcnt lgkmcnt(0)
	s_barrier
	buffer_gl0_inv
	v_cmpx_gt_u32_e32 49, v0
	s_cbranch_execz .LBB127_211
; %bb.208:
	v_add_nc_u32_e32 v5, -1, v0
	v_or_b32_e32 v6, 0x200, v3
	v_mov_b32_e32 v7, v3
	v_mov_b32_e32 v2, 0
	;; [unrolled: 1-line block ×3, first 2 shown]
	s_mov_b32 s5, 0
	.p2align	6
.LBB127_209:                            ; =>This Inner Loop Header: Depth=1
	s_clause 0x1
	buffer_load_dword v11, v7, s[0:3], 0 offen offset:4
	buffer_load_dword v12, v7, s[0:3], 0 offen
	ds_read_b64 v[9:10], v6
	v_add_nc_u32_e32 v5, 1, v5
	v_add_nc_u32_e32 v6, 8, v6
	;; [unrolled: 1-line block ×3, first 2 shown]
	v_cmp_lt_u32_e32 vcc_lo, 47, v5
	s_or_b32 s5, vcc_lo, s5
	s_waitcnt vmcnt(1) lgkmcnt(0)
	v_mul_f32_e32 v141, v10, v11
	v_mul_f32_e32 v11, v9, v11
	s_waitcnt vmcnt(0)
	v_fma_f32 v9, v9, v12, -v141
	v_fmac_f32_e32 v11, v10, v12
	v_add_f32_e32 v8, v8, v9
	v_add_f32_e32 v2, v2, v11
	s_andn2_b32 exec_lo, exec_lo, s5
	s_cbranch_execnz .LBB127_209
; %bb.210:
	s_or_b32 exec_lo, exec_lo, s5
	v_mov_b32_e32 v5, 0
	ds_read_b64 v[5:6], v5 offset:392
	s_waitcnt lgkmcnt(0)
	v_mul_f32_e32 v7, v2, v6
	v_mul_f32_e32 v6, v8, v6
	v_fma_f32 v7, v8, v5, -v7
	v_fmac_f32_e32 v6, v2, v5
	buffer_store_dword v7, off, s[0:3], 0 offset:392
	buffer_store_dword v6, off, s[0:3], 0 offset:396
.LBB127_211:
	s_or_b32 exec_lo, exec_lo, s4
	s_waitcnt_vscnt null, 0x0
	s_barrier
	buffer_gl0_inv
	s_clause 0x1
	buffer_load_dword v5, off, s[0:3], 0 offset:400
	buffer_load_dword v6, off, s[0:3], 0 offset:404
	s_mov_b32 s4, exec_lo
	s_waitcnt vmcnt(0)
	ds_write_b64 v4, v[5:6]
	s_waitcnt lgkmcnt(0)
	s_barrier
	buffer_gl0_inv
	v_cmpx_gt_u32_e32 50, v0
	s_cbranch_execz .LBB127_215
; %bb.212:
	v_add_nc_u32_e32 v5, -1, v0
	v_or_b32_e32 v6, 0x200, v3
	v_mov_b32_e32 v7, v3
	v_mov_b32_e32 v2, 0
	;; [unrolled: 1-line block ×3, first 2 shown]
	s_mov_b32 s5, 0
	.p2align	6
.LBB127_213:                            ; =>This Inner Loop Header: Depth=1
	s_clause 0x1
	buffer_load_dword v11, v7, s[0:3], 0 offen offset:4
	buffer_load_dword v12, v7, s[0:3], 0 offen
	ds_read_b64 v[9:10], v6
	v_add_nc_u32_e32 v5, 1, v5
	v_add_nc_u32_e32 v6, 8, v6
	;; [unrolled: 1-line block ×3, first 2 shown]
	v_cmp_lt_u32_e32 vcc_lo, 48, v5
	s_or_b32 s5, vcc_lo, s5
	s_waitcnt vmcnt(1) lgkmcnt(0)
	v_mul_f32_e32 v141, v10, v11
	v_mul_f32_e32 v11, v9, v11
	s_waitcnt vmcnt(0)
	v_fma_f32 v9, v9, v12, -v141
	v_fmac_f32_e32 v11, v10, v12
	v_add_f32_e32 v8, v8, v9
	v_add_f32_e32 v2, v2, v11
	s_andn2_b32 exec_lo, exec_lo, s5
	s_cbranch_execnz .LBB127_213
; %bb.214:
	s_or_b32 exec_lo, exec_lo, s5
	v_mov_b32_e32 v5, 0
	ds_read_b64 v[5:6], v5 offset:400
	s_waitcnt lgkmcnt(0)
	v_mul_f32_e32 v7, v2, v6
	v_mul_f32_e32 v6, v8, v6
	v_fma_f32 v7, v8, v5, -v7
	v_fmac_f32_e32 v6, v2, v5
	buffer_store_dword v7, off, s[0:3], 0 offset:400
	buffer_store_dword v6, off, s[0:3], 0 offset:404
.LBB127_215:
	s_or_b32 exec_lo, exec_lo, s4
	s_waitcnt_vscnt null, 0x0
	s_barrier
	buffer_gl0_inv
	s_clause 0x1
	buffer_load_dword v5, off, s[0:3], 0 offset:408
	buffer_load_dword v6, off, s[0:3], 0 offset:412
	s_mov_b32 s4, exec_lo
	s_waitcnt vmcnt(0)
	ds_write_b64 v4, v[5:6]
	s_waitcnt lgkmcnt(0)
	s_barrier
	buffer_gl0_inv
	v_cmpx_gt_u32_e32 51, v0
	s_cbranch_execz .LBB127_219
; %bb.216:
	v_add_nc_u32_e32 v5, -1, v0
	v_or_b32_e32 v6, 0x200, v3
	v_mov_b32_e32 v7, v3
	v_mov_b32_e32 v2, 0
	;; [unrolled: 1-line block ×3, first 2 shown]
	s_mov_b32 s5, 0
	.p2align	6
.LBB127_217:                            ; =>This Inner Loop Header: Depth=1
	s_clause 0x1
	buffer_load_dword v11, v7, s[0:3], 0 offen offset:4
	buffer_load_dword v12, v7, s[0:3], 0 offen
	ds_read_b64 v[9:10], v6
	v_add_nc_u32_e32 v5, 1, v5
	v_add_nc_u32_e32 v6, 8, v6
	;; [unrolled: 1-line block ×3, first 2 shown]
	v_cmp_lt_u32_e32 vcc_lo, 49, v5
	s_or_b32 s5, vcc_lo, s5
	s_waitcnt vmcnt(1) lgkmcnt(0)
	v_mul_f32_e32 v141, v10, v11
	v_mul_f32_e32 v11, v9, v11
	s_waitcnt vmcnt(0)
	v_fma_f32 v9, v9, v12, -v141
	v_fmac_f32_e32 v11, v10, v12
	v_add_f32_e32 v8, v8, v9
	v_add_f32_e32 v2, v2, v11
	s_andn2_b32 exec_lo, exec_lo, s5
	s_cbranch_execnz .LBB127_217
; %bb.218:
	s_or_b32 exec_lo, exec_lo, s5
	v_mov_b32_e32 v5, 0
	ds_read_b64 v[5:6], v5 offset:408
	s_waitcnt lgkmcnt(0)
	v_mul_f32_e32 v7, v2, v6
	v_mul_f32_e32 v6, v8, v6
	v_fma_f32 v7, v8, v5, -v7
	v_fmac_f32_e32 v6, v2, v5
	buffer_store_dword v7, off, s[0:3], 0 offset:408
	buffer_store_dword v6, off, s[0:3], 0 offset:412
.LBB127_219:
	s_or_b32 exec_lo, exec_lo, s4
	s_waitcnt_vscnt null, 0x0
	s_barrier
	buffer_gl0_inv
	s_clause 0x1
	buffer_load_dword v5, off, s[0:3], 0 offset:416
	buffer_load_dword v6, off, s[0:3], 0 offset:420
	s_mov_b32 s4, exec_lo
	s_waitcnt vmcnt(0)
	ds_write_b64 v4, v[5:6]
	s_waitcnt lgkmcnt(0)
	s_barrier
	buffer_gl0_inv
	v_cmpx_gt_u32_e32 52, v0
	s_cbranch_execz .LBB127_223
; %bb.220:
	v_add_nc_u32_e32 v5, -1, v0
	v_or_b32_e32 v6, 0x200, v3
	v_mov_b32_e32 v7, v3
	v_mov_b32_e32 v2, 0
	;; [unrolled: 1-line block ×3, first 2 shown]
	s_mov_b32 s5, 0
	.p2align	6
.LBB127_221:                            ; =>This Inner Loop Header: Depth=1
	s_clause 0x1
	buffer_load_dword v11, v7, s[0:3], 0 offen offset:4
	buffer_load_dword v12, v7, s[0:3], 0 offen
	ds_read_b64 v[9:10], v6
	v_add_nc_u32_e32 v5, 1, v5
	v_add_nc_u32_e32 v6, 8, v6
	;; [unrolled: 1-line block ×3, first 2 shown]
	v_cmp_lt_u32_e32 vcc_lo, 50, v5
	s_or_b32 s5, vcc_lo, s5
	s_waitcnt vmcnt(1) lgkmcnt(0)
	v_mul_f32_e32 v141, v10, v11
	v_mul_f32_e32 v11, v9, v11
	s_waitcnt vmcnt(0)
	v_fma_f32 v9, v9, v12, -v141
	v_fmac_f32_e32 v11, v10, v12
	v_add_f32_e32 v8, v8, v9
	v_add_f32_e32 v2, v2, v11
	s_andn2_b32 exec_lo, exec_lo, s5
	s_cbranch_execnz .LBB127_221
; %bb.222:
	s_or_b32 exec_lo, exec_lo, s5
	v_mov_b32_e32 v5, 0
	ds_read_b64 v[5:6], v5 offset:416
	s_waitcnt lgkmcnt(0)
	v_mul_f32_e32 v7, v2, v6
	v_mul_f32_e32 v6, v8, v6
	v_fma_f32 v7, v8, v5, -v7
	v_fmac_f32_e32 v6, v2, v5
	buffer_store_dword v7, off, s[0:3], 0 offset:416
	buffer_store_dword v6, off, s[0:3], 0 offset:420
.LBB127_223:
	s_or_b32 exec_lo, exec_lo, s4
	s_waitcnt_vscnt null, 0x0
	s_barrier
	buffer_gl0_inv
	s_clause 0x1
	buffer_load_dword v5, off, s[0:3], 0 offset:424
	buffer_load_dword v6, off, s[0:3], 0 offset:428
	s_mov_b32 s4, exec_lo
	s_waitcnt vmcnt(0)
	ds_write_b64 v4, v[5:6]
	s_waitcnt lgkmcnt(0)
	s_barrier
	buffer_gl0_inv
	v_cmpx_gt_u32_e32 53, v0
	s_cbranch_execz .LBB127_227
; %bb.224:
	v_add_nc_u32_e32 v5, -1, v0
	v_or_b32_e32 v6, 0x200, v3
	v_mov_b32_e32 v7, v3
	v_mov_b32_e32 v2, 0
	v_mov_b32_e32 v8, 0
	s_mov_b32 s5, 0
	.p2align	6
.LBB127_225:                            ; =>This Inner Loop Header: Depth=1
	s_clause 0x1
	buffer_load_dword v11, v7, s[0:3], 0 offen offset:4
	buffer_load_dword v12, v7, s[0:3], 0 offen
	ds_read_b64 v[9:10], v6
	v_add_nc_u32_e32 v5, 1, v5
	v_add_nc_u32_e32 v6, 8, v6
	;; [unrolled: 1-line block ×3, first 2 shown]
	v_cmp_lt_u32_e32 vcc_lo, 51, v5
	s_or_b32 s5, vcc_lo, s5
	s_waitcnt vmcnt(1) lgkmcnt(0)
	v_mul_f32_e32 v141, v10, v11
	v_mul_f32_e32 v11, v9, v11
	s_waitcnt vmcnt(0)
	v_fma_f32 v9, v9, v12, -v141
	v_fmac_f32_e32 v11, v10, v12
	v_add_f32_e32 v8, v8, v9
	v_add_f32_e32 v2, v2, v11
	s_andn2_b32 exec_lo, exec_lo, s5
	s_cbranch_execnz .LBB127_225
; %bb.226:
	s_or_b32 exec_lo, exec_lo, s5
	v_mov_b32_e32 v5, 0
	ds_read_b64 v[5:6], v5 offset:424
	s_waitcnt lgkmcnt(0)
	v_mul_f32_e32 v7, v2, v6
	v_mul_f32_e32 v6, v8, v6
	v_fma_f32 v7, v8, v5, -v7
	v_fmac_f32_e32 v6, v2, v5
	buffer_store_dword v7, off, s[0:3], 0 offset:424
	buffer_store_dword v6, off, s[0:3], 0 offset:428
.LBB127_227:
	s_or_b32 exec_lo, exec_lo, s4
	s_waitcnt_vscnt null, 0x0
	s_barrier
	buffer_gl0_inv
	s_clause 0x1
	buffer_load_dword v5, off, s[0:3], 0 offset:432
	buffer_load_dword v6, off, s[0:3], 0 offset:436
	s_mov_b32 s4, exec_lo
	s_waitcnt vmcnt(0)
	ds_write_b64 v4, v[5:6]
	s_waitcnt lgkmcnt(0)
	s_barrier
	buffer_gl0_inv
	v_cmpx_gt_u32_e32 54, v0
	s_cbranch_execz .LBB127_231
; %bb.228:
	v_add_nc_u32_e32 v5, -1, v0
	v_or_b32_e32 v6, 0x200, v3
	v_mov_b32_e32 v7, v3
	v_mov_b32_e32 v2, 0
	;; [unrolled: 1-line block ×3, first 2 shown]
	s_mov_b32 s5, 0
	.p2align	6
.LBB127_229:                            ; =>This Inner Loop Header: Depth=1
	s_clause 0x1
	buffer_load_dword v11, v7, s[0:3], 0 offen offset:4
	buffer_load_dword v12, v7, s[0:3], 0 offen
	ds_read_b64 v[9:10], v6
	v_add_nc_u32_e32 v5, 1, v5
	v_add_nc_u32_e32 v6, 8, v6
	;; [unrolled: 1-line block ×3, first 2 shown]
	v_cmp_lt_u32_e32 vcc_lo, 52, v5
	s_or_b32 s5, vcc_lo, s5
	s_waitcnt vmcnt(1) lgkmcnt(0)
	v_mul_f32_e32 v141, v10, v11
	v_mul_f32_e32 v11, v9, v11
	s_waitcnt vmcnt(0)
	v_fma_f32 v9, v9, v12, -v141
	v_fmac_f32_e32 v11, v10, v12
	v_add_f32_e32 v8, v8, v9
	v_add_f32_e32 v2, v2, v11
	s_andn2_b32 exec_lo, exec_lo, s5
	s_cbranch_execnz .LBB127_229
; %bb.230:
	s_or_b32 exec_lo, exec_lo, s5
	v_mov_b32_e32 v5, 0
	ds_read_b64 v[5:6], v5 offset:432
	s_waitcnt lgkmcnt(0)
	v_mul_f32_e32 v7, v2, v6
	v_mul_f32_e32 v6, v8, v6
	v_fma_f32 v7, v8, v5, -v7
	v_fmac_f32_e32 v6, v2, v5
	buffer_store_dword v7, off, s[0:3], 0 offset:432
	buffer_store_dword v6, off, s[0:3], 0 offset:436
.LBB127_231:
	s_or_b32 exec_lo, exec_lo, s4
	s_waitcnt_vscnt null, 0x0
	s_barrier
	buffer_gl0_inv
	s_clause 0x1
	buffer_load_dword v5, off, s[0:3], 0 offset:440
	buffer_load_dword v6, off, s[0:3], 0 offset:444
	s_mov_b32 s4, exec_lo
	s_waitcnt vmcnt(0)
	ds_write_b64 v4, v[5:6]
	s_waitcnt lgkmcnt(0)
	s_barrier
	buffer_gl0_inv
	v_cmpx_gt_u32_e32 55, v0
	s_cbranch_execz .LBB127_235
; %bb.232:
	v_add_nc_u32_e32 v5, -1, v0
	v_or_b32_e32 v6, 0x200, v3
	v_mov_b32_e32 v7, v3
	v_mov_b32_e32 v2, 0
	;; [unrolled: 1-line block ×3, first 2 shown]
	s_mov_b32 s5, 0
	.p2align	6
.LBB127_233:                            ; =>This Inner Loop Header: Depth=1
	s_clause 0x1
	buffer_load_dword v11, v7, s[0:3], 0 offen offset:4
	buffer_load_dword v12, v7, s[0:3], 0 offen
	ds_read_b64 v[9:10], v6
	v_add_nc_u32_e32 v5, 1, v5
	v_add_nc_u32_e32 v6, 8, v6
	;; [unrolled: 1-line block ×3, first 2 shown]
	v_cmp_lt_u32_e32 vcc_lo, 53, v5
	s_or_b32 s5, vcc_lo, s5
	s_waitcnt vmcnt(1) lgkmcnt(0)
	v_mul_f32_e32 v141, v10, v11
	v_mul_f32_e32 v11, v9, v11
	s_waitcnt vmcnt(0)
	v_fma_f32 v9, v9, v12, -v141
	v_fmac_f32_e32 v11, v10, v12
	v_add_f32_e32 v8, v8, v9
	v_add_f32_e32 v2, v2, v11
	s_andn2_b32 exec_lo, exec_lo, s5
	s_cbranch_execnz .LBB127_233
; %bb.234:
	s_or_b32 exec_lo, exec_lo, s5
	v_mov_b32_e32 v5, 0
	ds_read_b64 v[5:6], v5 offset:440
	s_waitcnt lgkmcnt(0)
	v_mul_f32_e32 v7, v2, v6
	v_mul_f32_e32 v6, v8, v6
	v_fma_f32 v7, v8, v5, -v7
	v_fmac_f32_e32 v6, v2, v5
	buffer_store_dword v7, off, s[0:3], 0 offset:440
	buffer_store_dword v6, off, s[0:3], 0 offset:444
.LBB127_235:
	s_or_b32 exec_lo, exec_lo, s4
	s_waitcnt_vscnt null, 0x0
	s_barrier
	buffer_gl0_inv
	s_clause 0x1
	buffer_load_dword v5, off, s[0:3], 0 offset:448
	buffer_load_dword v6, off, s[0:3], 0 offset:452
	s_mov_b32 s4, exec_lo
	s_waitcnt vmcnt(0)
	ds_write_b64 v4, v[5:6]
	s_waitcnt lgkmcnt(0)
	s_barrier
	buffer_gl0_inv
	v_cmpx_gt_u32_e32 56, v0
	s_cbranch_execz .LBB127_239
; %bb.236:
	v_add_nc_u32_e32 v5, -1, v0
	v_or_b32_e32 v6, 0x200, v3
	v_mov_b32_e32 v7, v3
	v_mov_b32_e32 v2, 0
	;; [unrolled: 1-line block ×3, first 2 shown]
	s_mov_b32 s5, 0
	.p2align	6
.LBB127_237:                            ; =>This Inner Loop Header: Depth=1
	s_clause 0x1
	buffer_load_dword v11, v7, s[0:3], 0 offen offset:4
	buffer_load_dword v12, v7, s[0:3], 0 offen
	ds_read_b64 v[9:10], v6
	v_add_nc_u32_e32 v5, 1, v5
	v_add_nc_u32_e32 v6, 8, v6
	;; [unrolled: 1-line block ×3, first 2 shown]
	v_cmp_lt_u32_e32 vcc_lo, 54, v5
	s_or_b32 s5, vcc_lo, s5
	s_waitcnt vmcnt(1) lgkmcnt(0)
	v_mul_f32_e32 v141, v10, v11
	v_mul_f32_e32 v11, v9, v11
	s_waitcnt vmcnt(0)
	v_fma_f32 v9, v9, v12, -v141
	v_fmac_f32_e32 v11, v10, v12
	v_add_f32_e32 v8, v8, v9
	v_add_f32_e32 v2, v2, v11
	s_andn2_b32 exec_lo, exec_lo, s5
	s_cbranch_execnz .LBB127_237
; %bb.238:
	s_or_b32 exec_lo, exec_lo, s5
	v_mov_b32_e32 v5, 0
	ds_read_b64 v[5:6], v5 offset:448
	s_waitcnt lgkmcnt(0)
	v_mul_f32_e32 v7, v2, v6
	v_mul_f32_e32 v6, v8, v6
	v_fma_f32 v7, v8, v5, -v7
	v_fmac_f32_e32 v6, v2, v5
	buffer_store_dword v7, off, s[0:3], 0 offset:448
	buffer_store_dword v6, off, s[0:3], 0 offset:452
.LBB127_239:
	s_or_b32 exec_lo, exec_lo, s4
	s_waitcnt_vscnt null, 0x0
	s_barrier
	buffer_gl0_inv
	s_clause 0x1
	buffer_load_dword v5, off, s[0:3], 0 offset:456
	buffer_load_dword v6, off, s[0:3], 0 offset:460
	s_mov_b32 s4, exec_lo
	s_waitcnt vmcnt(0)
	ds_write_b64 v4, v[5:6]
	s_waitcnt lgkmcnt(0)
	s_barrier
	buffer_gl0_inv
	v_cmpx_gt_u32_e32 57, v0
	s_cbranch_execz .LBB127_243
; %bb.240:
	v_add_nc_u32_e32 v5, -1, v0
	v_or_b32_e32 v6, 0x200, v3
	v_mov_b32_e32 v7, v3
	v_mov_b32_e32 v2, 0
	;; [unrolled: 1-line block ×3, first 2 shown]
	s_mov_b32 s5, 0
	.p2align	6
.LBB127_241:                            ; =>This Inner Loop Header: Depth=1
	s_clause 0x1
	buffer_load_dword v11, v7, s[0:3], 0 offen offset:4
	buffer_load_dword v12, v7, s[0:3], 0 offen
	ds_read_b64 v[9:10], v6
	v_add_nc_u32_e32 v5, 1, v5
	v_add_nc_u32_e32 v6, 8, v6
	;; [unrolled: 1-line block ×3, first 2 shown]
	v_cmp_lt_u32_e32 vcc_lo, 55, v5
	s_or_b32 s5, vcc_lo, s5
	s_waitcnt vmcnt(1) lgkmcnt(0)
	v_mul_f32_e32 v141, v10, v11
	v_mul_f32_e32 v11, v9, v11
	s_waitcnt vmcnt(0)
	v_fma_f32 v9, v9, v12, -v141
	v_fmac_f32_e32 v11, v10, v12
	v_add_f32_e32 v8, v8, v9
	v_add_f32_e32 v2, v2, v11
	s_andn2_b32 exec_lo, exec_lo, s5
	s_cbranch_execnz .LBB127_241
; %bb.242:
	s_or_b32 exec_lo, exec_lo, s5
	v_mov_b32_e32 v5, 0
	ds_read_b64 v[5:6], v5 offset:456
	s_waitcnt lgkmcnt(0)
	v_mul_f32_e32 v7, v2, v6
	v_mul_f32_e32 v6, v8, v6
	v_fma_f32 v7, v8, v5, -v7
	v_fmac_f32_e32 v6, v2, v5
	buffer_store_dword v7, off, s[0:3], 0 offset:456
	buffer_store_dword v6, off, s[0:3], 0 offset:460
.LBB127_243:
	s_or_b32 exec_lo, exec_lo, s4
	s_waitcnt_vscnt null, 0x0
	s_barrier
	buffer_gl0_inv
	s_clause 0x1
	buffer_load_dword v5, off, s[0:3], 0 offset:464
	buffer_load_dword v6, off, s[0:3], 0 offset:468
	s_mov_b32 s4, exec_lo
	s_waitcnt vmcnt(0)
	ds_write_b64 v4, v[5:6]
	s_waitcnt lgkmcnt(0)
	s_barrier
	buffer_gl0_inv
	v_cmpx_gt_u32_e32 58, v0
	s_cbranch_execz .LBB127_247
; %bb.244:
	v_add_nc_u32_e32 v5, -1, v0
	v_or_b32_e32 v6, 0x200, v3
	v_mov_b32_e32 v7, v3
	v_mov_b32_e32 v2, 0
	;; [unrolled: 1-line block ×3, first 2 shown]
	s_mov_b32 s5, 0
	.p2align	6
.LBB127_245:                            ; =>This Inner Loop Header: Depth=1
	s_clause 0x1
	buffer_load_dword v11, v7, s[0:3], 0 offen offset:4
	buffer_load_dword v12, v7, s[0:3], 0 offen
	ds_read_b64 v[9:10], v6
	v_add_nc_u32_e32 v5, 1, v5
	v_add_nc_u32_e32 v6, 8, v6
	;; [unrolled: 1-line block ×3, first 2 shown]
	v_cmp_lt_u32_e32 vcc_lo, 56, v5
	s_or_b32 s5, vcc_lo, s5
	s_waitcnt vmcnt(1) lgkmcnt(0)
	v_mul_f32_e32 v141, v10, v11
	v_mul_f32_e32 v11, v9, v11
	s_waitcnt vmcnt(0)
	v_fma_f32 v9, v9, v12, -v141
	v_fmac_f32_e32 v11, v10, v12
	v_add_f32_e32 v8, v8, v9
	v_add_f32_e32 v2, v2, v11
	s_andn2_b32 exec_lo, exec_lo, s5
	s_cbranch_execnz .LBB127_245
; %bb.246:
	s_or_b32 exec_lo, exec_lo, s5
	v_mov_b32_e32 v5, 0
	ds_read_b64 v[5:6], v5 offset:464
	s_waitcnt lgkmcnt(0)
	v_mul_f32_e32 v7, v2, v6
	v_mul_f32_e32 v6, v8, v6
	v_fma_f32 v7, v8, v5, -v7
	v_fmac_f32_e32 v6, v2, v5
	buffer_store_dword v7, off, s[0:3], 0 offset:464
	buffer_store_dword v6, off, s[0:3], 0 offset:468
.LBB127_247:
	s_or_b32 exec_lo, exec_lo, s4
	s_waitcnt_vscnt null, 0x0
	s_barrier
	buffer_gl0_inv
	s_clause 0x1
	buffer_load_dword v5, off, s[0:3], 0 offset:472
	buffer_load_dword v6, off, s[0:3], 0 offset:476
	s_mov_b32 s4, exec_lo
	s_waitcnt vmcnt(0)
	ds_write_b64 v4, v[5:6]
	s_waitcnt lgkmcnt(0)
	s_barrier
	buffer_gl0_inv
	v_cmpx_gt_u32_e32 59, v0
	s_cbranch_execz .LBB127_251
; %bb.248:
	v_add_nc_u32_e32 v5, -1, v0
	v_or_b32_e32 v6, 0x200, v3
	v_mov_b32_e32 v7, v3
	v_mov_b32_e32 v2, 0
	v_mov_b32_e32 v8, 0
	s_mov_b32 s5, 0
	.p2align	6
.LBB127_249:                            ; =>This Inner Loop Header: Depth=1
	s_clause 0x1
	buffer_load_dword v11, v7, s[0:3], 0 offen offset:4
	buffer_load_dword v12, v7, s[0:3], 0 offen
	ds_read_b64 v[9:10], v6
	v_add_nc_u32_e32 v5, 1, v5
	v_add_nc_u32_e32 v6, 8, v6
	v_add_nc_u32_e32 v7, 8, v7
	v_cmp_lt_u32_e32 vcc_lo, 57, v5
	s_or_b32 s5, vcc_lo, s5
	s_waitcnt vmcnt(1) lgkmcnt(0)
	v_mul_f32_e32 v141, v10, v11
	v_mul_f32_e32 v11, v9, v11
	s_waitcnt vmcnt(0)
	v_fma_f32 v9, v9, v12, -v141
	v_fmac_f32_e32 v11, v10, v12
	v_add_f32_e32 v8, v8, v9
	v_add_f32_e32 v2, v2, v11
	s_andn2_b32 exec_lo, exec_lo, s5
	s_cbranch_execnz .LBB127_249
; %bb.250:
	s_or_b32 exec_lo, exec_lo, s5
	v_mov_b32_e32 v5, 0
	ds_read_b64 v[5:6], v5 offset:472
	s_waitcnt lgkmcnt(0)
	v_mul_f32_e32 v7, v2, v6
	v_mul_f32_e32 v6, v8, v6
	v_fma_f32 v7, v8, v5, -v7
	v_fmac_f32_e32 v6, v2, v5
	buffer_store_dword v7, off, s[0:3], 0 offset:472
	buffer_store_dword v6, off, s[0:3], 0 offset:476
.LBB127_251:
	s_or_b32 exec_lo, exec_lo, s4
	s_waitcnt_vscnt null, 0x0
	s_barrier
	buffer_gl0_inv
	s_clause 0x1
	buffer_load_dword v5, off, s[0:3], 0 offset:480
	buffer_load_dword v6, off, s[0:3], 0 offset:484
	s_mov_b32 s4, exec_lo
	s_waitcnt vmcnt(0)
	ds_write_b64 v4, v[5:6]
	s_waitcnt lgkmcnt(0)
	s_barrier
	buffer_gl0_inv
	v_cmpx_gt_u32_e32 60, v0
	s_cbranch_execz .LBB127_255
; %bb.252:
	v_add_nc_u32_e32 v5, -1, v0
	v_or_b32_e32 v6, 0x200, v3
	v_mov_b32_e32 v7, v3
	v_mov_b32_e32 v2, 0
	;; [unrolled: 1-line block ×3, first 2 shown]
	s_mov_b32 s5, 0
	.p2align	6
.LBB127_253:                            ; =>This Inner Loop Header: Depth=1
	s_clause 0x1
	buffer_load_dword v11, v7, s[0:3], 0 offen offset:4
	buffer_load_dword v12, v7, s[0:3], 0 offen
	ds_read_b64 v[9:10], v6
	v_add_nc_u32_e32 v5, 1, v5
	v_add_nc_u32_e32 v6, 8, v6
	v_add_nc_u32_e32 v7, 8, v7
	v_cmp_lt_u32_e32 vcc_lo, 58, v5
	s_or_b32 s5, vcc_lo, s5
	s_waitcnt vmcnt(1) lgkmcnt(0)
	v_mul_f32_e32 v141, v10, v11
	v_mul_f32_e32 v11, v9, v11
	s_waitcnt vmcnt(0)
	v_fma_f32 v9, v9, v12, -v141
	v_fmac_f32_e32 v11, v10, v12
	v_add_f32_e32 v8, v8, v9
	v_add_f32_e32 v2, v2, v11
	s_andn2_b32 exec_lo, exec_lo, s5
	s_cbranch_execnz .LBB127_253
; %bb.254:
	s_or_b32 exec_lo, exec_lo, s5
	v_mov_b32_e32 v5, 0
	ds_read_b64 v[5:6], v5 offset:480
	s_waitcnt lgkmcnt(0)
	v_mul_f32_e32 v7, v2, v6
	v_mul_f32_e32 v6, v8, v6
	v_fma_f32 v7, v8, v5, -v7
	v_fmac_f32_e32 v6, v2, v5
	buffer_store_dword v7, off, s[0:3], 0 offset:480
	buffer_store_dword v6, off, s[0:3], 0 offset:484
.LBB127_255:
	s_or_b32 exec_lo, exec_lo, s4
	s_waitcnt_vscnt null, 0x0
	s_barrier
	buffer_gl0_inv
	s_clause 0x1
	buffer_load_dword v5, off, s[0:3], 0 offset:488
	buffer_load_dword v6, off, s[0:3], 0 offset:492
	s_mov_b32 s4, exec_lo
	s_waitcnt vmcnt(0)
	ds_write_b64 v4, v[5:6]
	s_waitcnt lgkmcnt(0)
	s_barrier
	buffer_gl0_inv
	v_cmpx_gt_u32_e32 61, v0
	s_cbranch_execz .LBB127_259
; %bb.256:
	v_add_nc_u32_e32 v5, -1, v0
	v_or_b32_e32 v6, 0x200, v3
	v_mov_b32_e32 v7, v3
	v_mov_b32_e32 v2, 0
	;; [unrolled: 1-line block ×3, first 2 shown]
	s_mov_b32 s5, 0
	.p2align	6
.LBB127_257:                            ; =>This Inner Loop Header: Depth=1
	s_clause 0x1
	buffer_load_dword v11, v7, s[0:3], 0 offen offset:4
	buffer_load_dword v12, v7, s[0:3], 0 offen
	ds_read_b64 v[9:10], v6
	v_add_nc_u32_e32 v5, 1, v5
	v_add_nc_u32_e32 v6, 8, v6
	;; [unrolled: 1-line block ×3, first 2 shown]
	v_cmp_lt_u32_e32 vcc_lo, 59, v5
	s_or_b32 s5, vcc_lo, s5
	s_waitcnt vmcnt(1) lgkmcnt(0)
	v_mul_f32_e32 v141, v10, v11
	v_mul_f32_e32 v11, v9, v11
	s_waitcnt vmcnt(0)
	v_fma_f32 v9, v9, v12, -v141
	v_fmac_f32_e32 v11, v10, v12
	v_add_f32_e32 v8, v8, v9
	v_add_f32_e32 v2, v2, v11
	s_andn2_b32 exec_lo, exec_lo, s5
	s_cbranch_execnz .LBB127_257
; %bb.258:
	s_or_b32 exec_lo, exec_lo, s5
	v_mov_b32_e32 v5, 0
	ds_read_b64 v[5:6], v5 offset:488
	s_waitcnt lgkmcnt(0)
	v_mul_f32_e32 v7, v2, v6
	v_mul_f32_e32 v6, v8, v6
	v_fma_f32 v7, v8, v5, -v7
	v_fmac_f32_e32 v6, v2, v5
	buffer_store_dword v7, off, s[0:3], 0 offset:488
	buffer_store_dword v6, off, s[0:3], 0 offset:492
.LBB127_259:
	s_or_b32 exec_lo, exec_lo, s4
	s_waitcnt_vscnt null, 0x0
	s_barrier
	buffer_gl0_inv
	s_clause 0x1
	buffer_load_dword v5, off, s[0:3], 0 offset:496
	buffer_load_dword v6, off, s[0:3], 0 offset:500
	s_mov_b32 s4, exec_lo
	s_waitcnt vmcnt(0)
	ds_write_b64 v4, v[5:6]
	s_waitcnt lgkmcnt(0)
	s_barrier
	buffer_gl0_inv
	v_cmpx_gt_u32_e32 62, v0
	s_cbranch_execz .LBB127_263
; %bb.260:
	v_add_nc_u32_e32 v5, -1, v0
	v_or_b32_e32 v6, 0x200, v3
	v_mov_b32_e32 v7, v3
	v_mov_b32_e32 v2, 0
	;; [unrolled: 1-line block ×3, first 2 shown]
	s_mov_b32 s5, 0
	.p2align	6
.LBB127_261:                            ; =>This Inner Loop Header: Depth=1
	s_clause 0x1
	buffer_load_dword v11, v7, s[0:3], 0 offen offset:4
	buffer_load_dword v12, v7, s[0:3], 0 offen
	ds_read_b64 v[9:10], v6
	v_add_nc_u32_e32 v5, 1, v5
	v_add_nc_u32_e32 v6, 8, v6
	;; [unrolled: 1-line block ×3, first 2 shown]
	v_cmp_lt_u32_e32 vcc_lo, 60, v5
	s_or_b32 s5, vcc_lo, s5
	s_waitcnt vmcnt(1) lgkmcnt(0)
	v_mul_f32_e32 v141, v10, v11
	v_mul_f32_e32 v11, v9, v11
	s_waitcnt vmcnt(0)
	v_fma_f32 v9, v9, v12, -v141
	v_fmac_f32_e32 v11, v10, v12
	v_add_f32_e32 v8, v8, v9
	v_add_f32_e32 v2, v2, v11
	s_andn2_b32 exec_lo, exec_lo, s5
	s_cbranch_execnz .LBB127_261
; %bb.262:
	s_or_b32 exec_lo, exec_lo, s5
	v_mov_b32_e32 v5, 0
	ds_read_b64 v[5:6], v5 offset:496
	s_waitcnt lgkmcnt(0)
	v_mul_f32_e32 v7, v2, v6
	v_mul_f32_e32 v6, v8, v6
	v_fma_f32 v7, v8, v5, -v7
	v_fmac_f32_e32 v6, v2, v5
	buffer_store_dword v7, off, s[0:3], 0 offset:496
	buffer_store_dword v6, off, s[0:3], 0 offset:500
.LBB127_263:
	s_or_b32 exec_lo, exec_lo, s4
	s_waitcnt_vscnt null, 0x0
	s_barrier
	buffer_gl0_inv
	s_clause 0x1
	buffer_load_dword v5, off, s[0:3], 0 offset:504
	buffer_load_dword v6, off, s[0:3], 0 offset:508
	s_mov_b32 s4, exec_lo
	s_waitcnt vmcnt(0)
	ds_write_b64 v4, v[5:6]
	s_waitcnt lgkmcnt(0)
	s_barrier
	buffer_gl0_inv
	v_cmpx_ne_u32_e32 63, v0
	s_cbranch_execz .LBB127_267
; %bb.264:
	v_mov_b32_e32 v2, 0
	v_mov_b32_e32 v5, 0
	s_mov_b32 s5, 0
	.p2align	6
.LBB127_265:                            ; =>This Inner Loop Header: Depth=1
	s_clause 0x1
	buffer_load_dword v8, v3, s[0:3], 0 offen offset:4
	buffer_load_dword v9, v3, s[0:3], 0 offen
	ds_read_b64 v[6:7], v4
	v_add_nc_u32_e32 v1, 1, v1
	v_add_nc_u32_e32 v4, 8, v4
	;; [unrolled: 1-line block ×3, first 2 shown]
	v_cmp_lt_u32_e32 vcc_lo, 61, v1
	s_or_b32 s5, vcc_lo, s5
	s_waitcnt vmcnt(1) lgkmcnt(0)
	v_mul_f32_e32 v10, v7, v8
	v_mul_f32_e32 v8, v6, v8
	s_waitcnt vmcnt(0)
	v_fma_f32 v6, v6, v9, -v10
	v_fmac_f32_e32 v8, v7, v9
	v_add_f32_e32 v5, v5, v6
	v_add_f32_e32 v2, v2, v8
	s_andn2_b32 exec_lo, exec_lo, s5
	s_cbranch_execnz .LBB127_265
; %bb.266:
	s_or_b32 exec_lo, exec_lo, s5
	v_mov_b32_e32 v1, 0
	ds_read_b64 v[3:4], v1 offset:504
	s_waitcnt lgkmcnt(0)
	v_mul_f32_e32 v1, v2, v4
	v_mul_f32_e32 v4, v5, v4
	v_fma_f32 v1, v5, v3, -v1
	v_fmac_f32_e32 v4, v2, v3
	buffer_store_dword v1, off, s[0:3], 0 offset:504
	buffer_store_dword v4, off, s[0:3], 0 offset:508
.LBB127_267:
	s_or_b32 exec_lo, exec_lo, s4
	s_mov_b32 s5, -1
	s_waitcnt_vscnt null, 0x0
	s_barrier
	buffer_gl0_inv
.LBB127_268:
	s_and_b32 vcc_lo, exec_lo, s5
	s_cbranch_vccz .LBB127_270
; %bb.269:
	s_lshl_b64 s[4:5], s[6:7], 2
	v_mov_b32_e32 v1, 0
	s_add_u32 s4, s10, s4
	s_addc_u32 s5, s11, s5
	global_load_dword v1, v1, s[4:5]
	s_waitcnt vmcnt(0)
	v_cmp_ne_u32_e32 vcc_lo, 0, v1
	s_cbranch_vccz .LBB127_271
.LBB127_270:
	s_endpgm
.LBB127_271:
	v_lshl_or_b32 v141, v0, 3, 0x200
	s_mov_b32 s4, exec_lo
	v_cmpx_eq_u32_e32 63, v0
	s_cbranch_execz .LBB127_273
; %bb.272:
	s_clause 0x1
	buffer_load_dword v1, off, s[0:3], 0 offset:496
	buffer_load_dword v2, off, s[0:3], 0 offset:500
	v_mov_b32_e32 v3, 0
	buffer_store_dword v3, off, s[0:3], 0 offset:496
	buffer_store_dword v3, off, s[0:3], 0 offset:500
	s_waitcnt vmcnt(0)
	ds_write_b64 v141, v[1:2]
.LBB127_273:
	s_or_b32 exec_lo, exec_lo, s4
	s_waitcnt lgkmcnt(0)
	s_waitcnt_vscnt null, 0x0
	s_barrier
	buffer_gl0_inv
	s_clause 0x3
	buffer_load_dword v4, off, s[0:3], 0 offset:508
	buffer_load_dword v5, off, s[0:3], 0 offset:504
	;; [unrolled: 1-line block ×4, first 2 shown]
	v_mov_b32_e32 v1, 0
	s_mov_b32 s4, exec_lo
	ds_read_b64 v[2:3], v1 offset:1016
	s_waitcnt vmcnt(3) lgkmcnt(0)
	v_mul_f32_e32 v8, v3, v4
	v_mul_f32_e32 v4, v2, v4
	s_waitcnt vmcnt(2)
	v_fma_f32 v2, v2, v5, -v8
	v_fmac_f32_e32 v4, v3, v5
	v_add_f32_e32 v2, 0, v2
	v_add_f32_e32 v3, 0, v4
	s_waitcnt vmcnt(1)
	v_sub_f32_e32 v2, v6, v2
	s_waitcnt vmcnt(0)
	v_sub_f32_e32 v3, v7, v3
	buffer_store_dword v2, off, s[0:3], 0 offset:496
	buffer_store_dword v3, off, s[0:3], 0 offset:500
	v_cmpx_lt_u32_e32 61, v0
	s_cbranch_execz .LBB127_275
; %bb.274:
	s_clause 0x1
	buffer_load_dword v2, off, s[0:3], 0 offset:488
	buffer_load_dword v3, off, s[0:3], 0 offset:492
	buffer_store_dword v1, off, s[0:3], 0 offset:488
	buffer_store_dword v1, off, s[0:3], 0 offset:492
	s_waitcnt vmcnt(0)
	ds_write_b64 v141, v[2:3]
.LBB127_275:
	s_or_b32 exec_lo, exec_lo, s4
	s_waitcnt lgkmcnt(0)
	s_waitcnt_vscnt null, 0x0
	s_barrier
	buffer_gl0_inv
	s_clause 0x5
	buffer_load_dword v5, off, s[0:3], 0 offset:500
	buffer_load_dword v6, off, s[0:3], 0 offset:508
	;; [unrolled: 1-line block ×6, first 2 shown]
	ds_read_b128 v[1:4], v1 offset:1008
	s_mov_b32 s4, exec_lo
	s_waitcnt vmcnt(5) lgkmcnt(0)
	v_mul_f32_e32 v11, v2, v5
	v_mul_f32_e32 v5, v1, v5
	s_waitcnt vmcnt(4)
	v_mul_f32_e32 v12, v3, v6
	v_mul_f32_e32 v6, v4, v6
	s_waitcnt vmcnt(3)
	v_fma_f32 v1, v1, v7, -v11
	v_fmac_f32_e32 v5, v2, v7
	s_waitcnt vmcnt(2)
	v_fmac_f32_e32 v12, v4, v8
	v_fma_f32 v2, v3, v8, -v6
	v_add_f32_e32 v1, 0, v1
	v_add_f32_e32 v3, 0, v5
	;; [unrolled: 1-line block ×4, first 2 shown]
	s_waitcnt vmcnt(1)
	v_sub_f32_e32 v1, v9, v1
	s_waitcnt vmcnt(0)
	v_sub_f32_e32 v2, v10, v2
	buffer_store_dword v1, off, s[0:3], 0 offset:488
	buffer_store_dword v2, off, s[0:3], 0 offset:492
	v_cmpx_lt_u32_e32 60, v0
	s_cbranch_execz .LBB127_277
; %bb.276:
	s_clause 0x1
	buffer_load_dword v1, off, s[0:3], 0 offset:480
	buffer_load_dword v2, off, s[0:3], 0 offset:484
	v_mov_b32_e32 v3, 0
	buffer_store_dword v3, off, s[0:3], 0 offset:480
	buffer_store_dword v3, off, s[0:3], 0 offset:484
	s_waitcnt vmcnt(0)
	ds_write_b64 v141, v[1:2]
.LBB127_277:
	s_or_b32 exec_lo, exec_lo, s4
	s_waitcnt lgkmcnt(0)
	s_waitcnt_vscnt null, 0x0
	s_barrier
	buffer_gl0_inv
	s_clause 0x7
	buffer_load_dword v8, off, s[0:3], 0 offset:492
	buffer_load_dword v9, off, s[0:3], 0 offset:500
	;; [unrolled: 1-line block ×8, first 2 shown]
	v_mov_b32_e32 v1, 0
	ds_read2_b64 v[2:5], v1 offset0:125 offset1:126
	ds_read_b64 v[6:7], v1 offset:1016
	s_mov_b32 s4, exec_lo
	s_waitcnt vmcnt(7) lgkmcnt(1)
	v_mul_f32_e32 v145, v3, v8
	v_mul_f32_e32 v8, v2, v8
	s_waitcnt vmcnt(6)
	v_mul_f32_e32 v146, v4, v9
	v_mul_f32_e32 v9, v5, v9
	s_waitcnt vmcnt(5) lgkmcnt(0)
	v_mul_f32_e32 v147, v6, v10
	s_waitcnt vmcnt(4)
	v_fma_f32 v2, v2, v11, -v145
	v_fmac_f32_e32 v8, v3, v11
	v_mul_f32_e32 v3, v7, v10
	s_waitcnt vmcnt(3)
	v_fma_f32 v4, v4, v12, -v9
	v_fmac_f32_e32 v146, v5, v12
	v_add_f32_e32 v2, 0, v2
	v_add_f32_e32 v5, 0, v8
	s_waitcnt vmcnt(2)
	v_fma_f32 v3, v6, v142, -v3
	v_fmac_f32_e32 v147, v7, v142
	v_add_f32_e32 v2, v2, v4
	v_add_f32_e32 v4, v5, v146
	;; [unrolled: 1-line block ×4, first 2 shown]
	s_waitcnt vmcnt(1)
	v_sub_f32_e32 v2, v143, v2
	s_waitcnt vmcnt(0)
	v_sub_f32_e32 v3, v144, v3
	buffer_store_dword v2, off, s[0:3], 0 offset:480
	buffer_store_dword v3, off, s[0:3], 0 offset:484
	v_cmpx_lt_u32_e32 59, v0
	s_cbranch_execz .LBB127_279
; %bb.278:
	s_clause 0x1
	buffer_load_dword v2, off, s[0:3], 0 offset:472
	buffer_load_dword v3, off, s[0:3], 0 offset:476
	buffer_store_dword v1, off, s[0:3], 0 offset:472
	buffer_store_dword v1, off, s[0:3], 0 offset:476
	s_waitcnt vmcnt(0)
	ds_write_b64 v141, v[2:3]
.LBB127_279:
	s_or_b32 exec_lo, exec_lo, s4
	s_waitcnt lgkmcnt(0)
	s_waitcnt_vscnt null, 0x0
	s_barrier
	buffer_gl0_inv
	s_clause 0x9
	buffer_load_dword v10, off, s[0:3], 0 offset:484
	buffer_load_dword v11, off, s[0:3], 0 offset:492
	;; [unrolled: 1-line block ×10, first 2 shown]
	ds_read_b128 v[2:5], v1 offset:992
	ds_read_b128 v[6:9], v1 offset:1008
	s_mov_b32 s4, exec_lo
	s_waitcnt vmcnt(9) lgkmcnt(1)
	v_mul_f32_e32 v1, v2, v10
	v_mul_f32_e32 v10, v3, v10
	s_waitcnt vmcnt(8)
	v_mul_f32_e32 v149, v4, v11
	v_mul_f32_e32 v11, v5, v11
	s_waitcnt vmcnt(7) lgkmcnt(0)
	v_mul_f32_e32 v150, v6, v12
	s_waitcnt vmcnt(5)
	v_fmac_f32_e32 v1, v3, v143
	v_fma_f32 v2, v2, v143, -v10
	v_mul_f32_e32 v3, v7, v12
	s_waitcnt vmcnt(4)
	v_fma_f32 v4, v4, v144, -v11
	v_fmac_f32_e32 v149, v5, v144
	v_add_f32_e32 v1, 0, v1
	v_add_f32_e32 v2, 0, v2
	v_mul_f32_e32 v5, v9, v142
	s_waitcnt vmcnt(3)
	v_fma_f32 v3, v6, v145, -v3
	v_mul_f32_e32 v151, v8, v142
	v_fmac_f32_e32 v150, v7, v145
	v_add_f32_e32 v2, v2, v4
	v_add_f32_e32 v1, v1, v149
	s_waitcnt vmcnt(2)
	v_fma_f32 v4, v8, v146, -v5
	v_fmac_f32_e32 v151, v9, v146
	v_add_f32_e32 v2, v2, v3
	v_add_f32_e32 v1, v1, v150
	;; [unrolled: 1-line block ×4, first 2 shown]
	s_waitcnt vmcnt(1)
	v_sub_f32_e32 v2, v147, v2
	s_waitcnt vmcnt(0)
	v_sub_f32_e32 v1, v148, v1
	buffer_store_dword v2, off, s[0:3], 0 offset:472
	buffer_store_dword v1, off, s[0:3], 0 offset:476
	v_cmpx_lt_u32_e32 58, v0
	s_cbranch_execz .LBB127_281
; %bb.280:
	s_clause 0x1
	buffer_load_dword v1, off, s[0:3], 0 offset:464
	buffer_load_dword v2, off, s[0:3], 0 offset:468
	v_mov_b32_e32 v3, 0
	buffer_store_dword v3, off, s[0:3], 0 offset:464
	buffer_store_dword v3, off, s[0:3], 0 offset:468
	s_waitcnt vmcnt(0)
	ds_write_b64 v141, v[1:2]
.LBB127_281:
	s_or_b32 exec_lo, exec_lo, s4
	s_waitcnt lgkmcnt(0)
	s_waitcnt_vscnt null, 0x0
	s_barrier
	buffer_gl0_inv
	s_clause 0xb
	buffer_load_dword v12, off, s[0:3], 0 offset:476
	buffer_load_dword v142, off, s[0:3], 0 offset:484
	;; [unrolled: 1-line block ×12, first 2 shown]
	v_mov_b32_e32 v1, 0
	ds_read2_b64 v[2:5], v1 offset0:123 offset1:124
	ds_read2_b64 v[6:9], v1 offset0:125 offset1:126
	ds_read_b64 v[10:11], v1 offset:1016
	s_mov_b32 s4, exec_lo
	s_waitcnt vmcnt(11) lgkmcnt(2)
	v_mul_f32_e32 v153, v2, v12
	v_mul_f32_e32 v12, v3, v12
	s_waitcnt vmcnt(10)
	v_mul_f32_e32 v154, v4, v142
	v_mul_f32_e32 v142, v5, v142
	s_waitcnt vmcnt(9) lgkmcnt(1)
	v_mul_f32_e32 v155, v6, v143
	s_waitcnt vmcnt(6)
	v_fmac_f32_e32 v153, v3, v146
	v_fma_f32 v2, v2, v146, -v12
	v_mul_f32_e32 v3, v7, v143
	s_waitcnt vmcnt(5)
	v_fma_f32 v4, v4, v147, -v142
	v_fmac_f32_e32 v154, v5, v147
	v_add_f32_e32 v5, 0, v153
	v_add_f32_e32 v2, 0, v2
	v_mul_f32_e32 v12, v9, v144
	s_waitcnt vmcnt(4)
	v_fma_f32 v3, v6, v148, -v3
	v_mul_f32_e32 v156, v8, v144
	v_fmac_f32_e32 v155, v7, v148
	v_add_f32_e32 v2, v2, v4
	v_add_f32_e32 v4, v5, v154
	s_waitcnt lgkmcnt(0)
	v_mul_f32_e32 v5, v11, v145
	s_waitcnt vmcnt(3)
	v_fma_f32 v6, v8, v149, -v12
	v_mul_f32_e32 v157, v10, v145
	v_add_f32_e32 v2, v2, v3
	v_fmac_f32_e32 v156, v9, v149
	v_add_f32_e32 v3, v4, v155
	s_waitcnt vmcnt(2)
	v_fma_f32 v4, v10, v150, -v5
	v_fmac_f32_e32 v157, v11, v150
	v_add_f32_e32 v2, v2, v6
	v_add_f32_e32 v3, v3, v156
	;; [unrolled: 1-line block ×4, first 2 shown]
	s_waitcnt vmcnt(1)
	v_sub_f32_e32 v2, v151, v2
	s_waitcnt vmcnt(0)
	v_sub_f32_e32 v3, v152, v3
	buffer_store_dword v2, off, s[0:3], 0 offset:464
	buffer_store_dword v3, off, s[0:3], 0 offset:468
	v_cmpx_lt_u32_e32 57, v0
	s_cbranch_execz .LBB127_283
; %bb.282:
	s_clause 0x1
	buffer_load_dword v2, off, s[0:3], 0 offset:456
	buffer_load_dword v3, off, s[0:3], 0 offset:460
	buffer_store_dword v1, off, s[0:3], 0 offset:456
	buffer_store_dword v1, off, s[0:3], 0 offset:460
	s_waitcnt vmcnt(0)
	ds_write_b64 v141, v[2:3]
.LBB127_283:
	s_or_b32 exec_lo, exec_lo, s4
	s_waitcnt lgkmcnt(0)
	s_waitcnt_vscnt null, 0x0
	s_barrier
	buffer_gl0_inv
	s_clause 0xd
	buffer_load_dword v10, off, s[0:3], 0 offset:468
	buffer_load_dword v11, off, s[0:3], 0 offset:476
	;; [unrolled: 1-line block ×14, first 2 shown]
	ds_read_b128 v[2:5], v1 offset:976
	ds_read_b128 v[6:9], v1 offset:992
	;; [unrolled: 1-line block ×3, first 2 shown]
	s_mov_b32 s4, exec_lo
	s_waitcnt vmcnt(13) lgkmcnt(2)
	v_mul_f32_e32 v1, v2, v10
	v_mul_f32_e32 v10, v3, v10
	s_waitcnt vmcnt(12)
	v_mul_f32_e32 v157, v4, v11
	v_mul_f32_e32 v11, v5, v11
	s_waitcnt vmcnt(11) lgkmcnt(1)
	v_mul_f32_e32 v158, v6, v12
	s_waitcnt vmcnt(10)
	v_mul_f32_e32 v159, v8, v146
	s_waitcnt vmcnt(7)
	v_fma_f32 v2, v2, v149, -v10
	v_fmac_f32_e32 v1, v3, v149
	v_mul_f32_e32 v3, v7, v12
	s_waitcnt vmcnt(6)
	v_fma_f32 v4, v4, v150, -v11
	v_fmac_f32_e32 v157, v5, v150
	v_add_f32_e32 v2, 0, v2
	v_add_f32_e32 v1, 0, v1
	v_mul_f32_e32 v5, v9, v146
	s_waitcnt vmcnt(5)
	v_fma_f32 v3, v6, v151, -v3
	v_fmac_f32_e32 v158, v7, v151
	v_add_f32_e32 v2, v2, v4
	v_add_f32_e32 v1, v1, v157
	s_waitcnt lgkmcnt(0)
	v_mul_f32_e32 v4, v143, v147
	s_waitcnt vmcnt(4)
	v_fma_f32 v5, v8, v152, -v5
	v_mul_f32_e32 v160, v142, v147
	v_add_f32_e32 v2, v2, v3
	v_fmac_f32_e32 v159, v9, v152
	v_add_f32_e32 v1, v1, v158
	v_mul_f32_e32 v3, v145, v148
	s_waitcnt vmcnt(3)
	v_fma_f32 v4, v142, v153, -v4
	v_add_f32_e32 v2, v2, v5
	v_mul_f32_e32 v161, v144, v148
	v_fmac_f32_e32 v160, v143, v153
	v_add_f32_e32 v1, v1, v159
	s_waitcnt vmcnt(2)
	v_fma_f32 v3, v144, v154, -v3
	v_add_f32_e32 v2, v2, v4
	v_fmac_f32_e32 v161, v145, v154
	v_add_f32_e32 v1, v1, v160
	v_add_f32_e32 v2, v2, v3
	;; [unrolled: 1-line block ×3, first 2 shown]
	s_waitcnt vmcnt(1)
	v_sub_f32_e32 v2, v155, v2
	s_waitcnt vmcnt(0)
	v_sub_f32_e32 v1, v156, v1
	buffer_store_dword v2, off, s[0:3], 0 offset:456
	buffer_store_dword v1, off, s[0:3], 0 offset:460
	v_cmpx_lt_u32_e32 56, v0
	s_cbranch_execz .LBB127_285
; %bb.284:
	s_clause 0x1
	buffer_load_dword v1, off, s[0:3], 0 offset:448
	buffer_load_dword v2, off, s[0:3], 0 offset:452
	v_mov_b32_e32 v3, 0
	buffer_store_dword v3, off, s[0:3], 0 offset:448
	buffer_store_dword v3, off, s[0:3], 0 offset:452
	s_waitcnt vmcnt(0)
	ds_write_b64 v141, v[1:2]
.LBB127_285:
	s_or_b32 exec_lo, exec_lo, s4
	s_waitcnt lgkmcnt(0)
	s_waitcnt_vscnt null, 0x0
	s_barrier
	buffer_gl0_inv
	s_clause 0xf
	buffer_load_dword v12, off, s[0:3], 0 offset:460
	buffer_load_dword v146, off, s[0:3], 0 offset:468
	;; [unrolled: 1-line block ×16, first 2 shown]
	v_mov_b32_e32 v1, 0
	ds_read2_b64 v[2:5], v1 offset0:121 offset1:122
	ds_read2_b64 v[6:9], v1 offset0:123 offset1:124
	;; [unrolled: 1-line block ×3, first 2 shown]
	ds_read_b64 v[10:11], v1 offset:1016
	s_mov_b32 s4, exec_lo
	s_waitcnt vmcnt(15) lgkmcnt(3)
	v_mul_f32_e32 v161, v2, v12
	v_mul_f32_e32 v12, v3, v12
	s_waitcnt vmcnt(14)
	v_mul_f32_e32 v162, v4, v146
	v_mul_f32_e32 v146, v5, v146
	s_waitcnt vmcnt(13) lgkmcnt(2)
	v_mul_f32_e32 v163, v6, v147
	s_waitcnt vmcnt(12)
	v_mul_f32_e32 v164, v8, v148
	s_waitcnt vmcnt(11) lgkmcnt(1)
	v_mul_f32_e32 v165, v142, v149
	s_waitcnt vmcnt(8)
	v_fma_f32 v2, v2, v152, -v12
	v_fmac_f32_e32 v161, v3, v152
	v_mul_f32_e32 v3, v7, v147
	s_waitcnt vmcnt(7)
	v_fma_f32 v4, v4, v153, -v146
	v_fmac_f32_e32 v162, v5, v153
	v_add_f32_e32 v2, 0, v2
	v_add_f32_e32 v5, 0, v161
	v_mul_f32_e32 v12, v9, v148
	s_waitcnt vmcnt(6)
	v_fma_f32 v3, v6, v154, -v3
	v_fmac_f32_e32 v163, v7, v154
	v_add_f32_e32 v2, v2, v4
	v_add_f32_e32 v4, v5, v162
	;; [unrolled: 6-line block ×3, first 2 shown]
	v_mul_f32_e32 v4, v145, v150
	s_waitcnt vmcnt(4)
	v_fma_f32 v5, v142, v156, -v5
	v_mul_f32_e32 v166, v144, v150
	v_add_f32_e32 v2, v2, v6
	v_fmac_f32_e32 v165, v143, v156
	v_add_f32_e32 v3, v3, v164
	s_waitcnt lgkmcnt(0)
	v_mul_f32_e32 v6, v11, v151
	s_waitcnt vmcnt(3)
	v_fma_f32 v4, v144, v157, -v4
	v_add_f32_e32 v2, v2, v5
	v_mul_f32_e32 v167, v10, v151
	v_fmac_f32_e32 v166, v145, v157
	v_add_f32_e32 v3, v3, v165
	s_waitcnt vmcnt(2)
	v_fma_f32 v5, v10, v158, -v6
	v_add_f32_e32 v2, v2, v4
	v_fmac_f32_e32 v167, v11, v158
	v_add_f32_e32 v3, v3, v166
	v_add_f32_e32 v2, v2, v5
	;; [unrolled: 1-line block ×3, first 2 shown]
	s_waitcnt vmcnt(1)
	v_sub_f32_e32 v2, v159, v2
	s_waitcnt vmcnt(0)
	v_sub_f32_e32 v3, v160, v3
	buffer_store_dword v2, off, s[0:3], 0 offset:448
	buffer_store_dword v3, off, s[0:3], 0 offset:452
	v_cmpx_lt_u32_e32 55, v0
	s_cbranch_execz .LBB127_287
; %bb.286:
	s_clause 0x1
	buffer_load_dword v2, off, s[0:3], 0 offset:440
	buffer_load_dword v3, off, s[0:3], 0 offset:444
	buffer_store_dword v1, off, s[0:3], 0 offset:440
	buffer_store_dword v1, off, s[0:3], 0 offset:444
	s_waitcnt vmcnt(0)
	ds_write_b64 v141, v[2:3]
.LBB127_287:
	s_or_b32 exec_lo, exec_lo, s4
	s_waitcnt lgkmcnt(0)
	s_waitcnt_vscnt null, 0x0
	s_barrier
	buffer_gl0_inv
	s_clause 0x11
	buffer_load_dword v10, off, s[0:3], 0 offset:452
	buffer_load_dword v11, off, s[0:3], 0 offset:460
	;; [unrolled: 1-line block ×18, first 2 shown]
	ds_read_b128 v[2:5], v1 offset:960
	ds_read_b128 v[6:9], v1 offset:976
	;; [unrolled: 1-line block ×4, first 2 shown]
	s_mov_b32 s4, exec_lo
	s_waitcnt vmcnt(17) lgkmcnt(3)
	v_mul_f32_e32 v1, v2, v10
	v_mul_f32_e32 v10, v3, v10
	s_waitcnt vmcnt(16)
	v_mul_f32_e32 v165, v4, v11
	v_mul_f32_e32 v11, v5, v11
	s_waitcnt vmcnt(15) lgkmcnt(2)
	v_mul_f32_e32 v166, v6, v12
	s_waitcnt vmcnt(14)
	v_mul_f32_e32 v167, v8, v150
	s_waitcnt vmcnt(13) lgkmcnt(1)
	v_mul_f32_e32 v168, v142, v151
	s_waitcnt vmcnt(12)
	v_mul_f32_e32 v169, v144, v152
	s_waitcnt vmcnt(9)
	v_fma_f32 v2, v2, v155, -v10
	v_fmac_f32_e32 v1, v3, v155
	v_mul_f32_e32 v3, v7, v12
	s_waitcnt vmcnt(8)
	v_fma_f32 v4, v4, v156, -v11
	v_fmac_f32_e32 v165, v5, v156
	v_add_f32_e32 v2, 0, v2
	v_add_f32_e32 v1, 0, v1
	v_mul_f32_e32 v5, v9, v150
	s_waitcnt vmcnt(7)
	v_fma_f32 v3, v6, v157, -v3
	v_fmac_f32_e32 v166, v7, v157
	v_add_f32_e32 v2, v2, v4
	v_add_f32_e32 v1, v1, v165
	;; [unrolled: 6-line block ×4, first 2 shown]
	s_waitcnt lgkmcnt(0)
	v_mul_f32_e32 v5, v147, v153
	s_waitcnt vmcnt(4)
	v_fma_f32 v3, v144, v160, -v3
	v_mul_f32_e32 v170, v146, v153
	v_add_f32_e32 v2, v2, v4
	v_fmac_f32_e32 v169, v145, v160
	v_add_f32_e32 v1, v1, v168
	v_mul_f32_e32 v4, v149, v154
	s_waitcnt vmcnt(3)
	v_fma_f32 v5, v146, v161, -v5
	v_add_f32_e32 v2, v2, v3
	v_mul_f32_e32 v171, v148, v154
	v_fmac_f32_e32 v170, v147, v161
	v_add_f32_e32 v1, v1, v169
	s_waitcnt vmcnt(2)
	v_fma_f32 v3, v148, v162, -v4
	v_add_f32_e32 v2, v2, v5
	v_fmac_f32_e32 v171, v149, v162
	v_add_f32_e32 v1, v1, v170
	v_add_f32_e32 v2, v2, v3
	;; [unrolled: 1-line block ×3, first 2 shown]
	s_waitcnt vmcnt(1)
	v_sub_f32_e32 v2, v163, v2
	s_waitcnt vmcnt(0)
	v_sub_f32_e32 v1, v164, v1
	buffer_store_dword v2, off, s[0:3], 0 offset:440
	buffer_store_dword v1, off, s[0:3], 0 offset:444
	v_cmpx_lt_u32_e32 54, v0
	s_cbranch_execz .LBB127_289
; %bb.288:
	s_clause 0x1
	buffer_load_dword v1, off, s[0:3], 0 offset:432
	buffer_load_dword v2, off, s[0:3], 0 offset:436
	v_mov_b32_e32 v3, 0
	buffer_store_dword v3, off, s[0:3], 0 offset:432
	buffer_store_dword v3, off, s[0:3], 0 offset:436
	s_waitcnt vmcnt(0)
	ds_write_b64 v141, v[1:2]
.LBB127_289:
	s_or_b32 exec_lo, exec_lo, s4
	s_waitcnt lgkmcnt(0)
	s_waitcnt_vscnt null, 0x0
	s_barrier
	buffer_gl0_inv
	s_clause 0x13
	buffer_load_dword v12, off, s[0:3], 0 offset:444
	buffer_load_dword v150, off, s[0:3], 0 offset:452
	;; [unrolled: 1-line block ×20, first 2 shown]
	v_mov_b32_e32 v1, 0
	ds_read2_b64 v[2:5], v1 offset0:119 offset1:120
	ds_read2_b64 v[6:9], v1 offset0:121 offset1:122
	;; [unrolled: 1-line block ×4, first 2 shown]
	ds_read_b64 v[10:11], v1 offset:1016
	s_mov_b32 s4, exec_lo
	s_waitcnt vmcnt(19) lgkmcnt(4)
	v_mul_f32_e32 v169, v2, v12
	v_mul_f32_e32 v12, v3, v12
	s_waitcnt vmcnt(18)
	v_mul_f32_e32 v170, v4, v150
	v_mul_f32_e32 v150, v5, v150
	s_waitcnt vmcnt(17) lgkmcnt(3)
	v_mul_f32_e32 v171, v6, v151
	s_waitcnt vmcnt(16)
	v_mul_f32_e32 v172, v8, v152
	s_waitcnt vmcnt(15) lgkmcnt(2)
	v_mul_f32_e32 v173, v142, v153
	s_waitcnt vmcnt(14)
	;; [unrolled: 4-line block ×3, first 2 shown]
	v_fma_f32 v2, v2, v158, -v12
	v_fmac_f32_e32 v169, v3, v158
	v_mul_f32_e32 v3, v7, v151
	s_waitcnt vmcnt(9)
	v_fma_f32 v4, v4, v159, -v150
	v_fmac_f32_e32 v170, v5, v159
	v_add_f32_e32 v2, 0, v2
	v_add_f32_e32 v5, 0, v169
	v_mul_f32_e32 v12, v9, v152
	s_waitcnt vmcnt(8)
	v_fma_f32 v3, v6, v160, -v3
	v_fmac_f32_e32 v171, v7, v160
	v_add_f32_e32 v2, v2, v4
	v_add_f32_e32 v4, v5, v170
	;; [unrolled: 6-line block ×5, first 2 shown]
	v_mul_f32_e32 v5, v149, v156
	s_waitcnt vmcnt(4)
	v_fma_f32 v6, v146, v164, -v6
	v_mul_f32_e32 v176, v148, v156
	v_add_f32_e32 v2, v2, v4
	v_fmac_f32_e32 v175, v147, v164
	v_add_f32_e32 v3, v3, v174
	s_waitcnt lgkmcnt(0)
	v_mul_f32_e32 v4, v11, v157
	s_waitcnt vmcnt(3)
	v_fma_f32 v5, v148, v165, -v5
	v_add_f32_e32 v2, v2, v6
	v_mul_f32_e32 v177, v10, v157
	v_fmac_f32_e32 v176, v149, v165
	v_add_f32_e32 v3, v3, v175
	s_waitcnt vmcnt(2)
	v_fma_f32 v4, v10, v166, -v4
	v_add_f32_e32 v2, v2, v5
	v_fmac_f32_e32 v177, v11, v166
	v_add_f32_e32 v3, v3, v176
	v_add_f32_e32 v2, v2, v4
	;; [unrolled: 1-line block ×3, first 2 shown]
	s_waitcnt vmcnt(1)
	v_sub_f32_e32 v2, v167, v2
	s_waitcnt vmcnt(0)
	v_sub_f32_e32 v3, v168, v3
	buffer_store_dword v2, off, s[0:3], 0 offset:432
	buffer_store_dword v3, off, s[0:3], 0 offset:436
	v_cmpx_lt_u32_e32 53, v0
	s_cbranch_execz .LBB127_291
; %bb.290:
	s_clause 0x1
	buffer_load_dword v2, off, s[0:3], 0 offset:424
	buffer_load_dword v3, off, s[0:3], 0 offset:428
	buffer_store_dword v1, off, s[0:3], 0 offset:424
	buffer_store_dword v1, off, s[0:3], 0 offset:428
	s_waitcnt vmcnt(0)
	ds_write_b64 v141, v[2:3]
.LBB127_291:
	s_or_b32 exec_lo, exec_lo, s4
	s_waitcnt lgkmcnt(0)
	s_waitcnt_vscnt null, 0x0
	s_barrier
	buffer_gl0_inv
	s_clause 0x15
	buffer_load_dword v10, off, s[0:3], 0 offset:436
	buffer_load_dword v11, off, s[0:3], 0 offset:444
	;; [unrolled: 1-line block ×22, first 2 shown]
	ds_read_b128 v[2:5], v1 offset:944
	ds_read_b128 v[6:9], v1 offset:960
	;; [unrolled: 1-line block ×5, first 2 shown]
	s_mov_b32 s4, exec_lo
	s_waitcnt vmcnt(21) lgkmcnt(4)
	v_mul_f32_e32 v1, v2, v10
	v_mul_f32_e32 v10, v3, v10
	s_waitcnt vmcnt(20)
	v_mul_f32_e32 v173, v4, v11
	v_mul_f32_e32 v11, v5, v11
	s_waitcnt vmcnt(19) lgkmcnt(3)
	v_mul_f32_e32 v174, v6, v12
	s_waitcnt vmcnt(18)
	v_mul_f32_e32 v175, v8, v154
	s_waitcnt vmcnt(17) lgkmcnt(2)
	v_mul_f32_e32 v176, v142, v155
	s_waitcnt vmcnt(16)
	;; [unrolled: 4-line block ×3, first 2 shown]
	v_mul_f32_e32 v179, v148, v158
	s_waitcnt vmcnt(11)
	v_fma_f32 v2, v2, v161, -v10
	v_fmac_f32_e32 v1, v3, v161
	v_mul_f32_e32 v3, v7, v12
	s_waitcnt vmcnt(10)
	v_fma_f32 v4, v4, v162, -v11
	v_fmac_f32_e32 v173, v5, v162
	v_add_f32_e32 v2, 0, v2
	v_add_f32_e32 v1, 0, v1
	v_mul_f32_e32 v5, v9, v154
	s_waitcnt vmcnt(9)
	v_fma_f32 v3, v6, v163, -v3
	v_fmac_f32_e32 v174, v7, v163
	v_add_f32_e32 v2, v2, v4
	v_add_f32_e32 v1, v1, v173
	;; [unrolled: 6-line block ×6, first 2 shown]
	s_waitcnt lgkmcnt(0)
	v_mul_f32_e32 v3, v151, v159
	s_waitcnt vmcnt(4)
	v_fma_f32 v4, v148, v168, -v4
	v_mul_f32_e32 v180, v150, v159
	v_add_f32_e32 v2, v2, v5
	v_fmac_f32_e32 v179, v149, v168
	v_add_f32_e32 v1, v1, v178
	v_mul_f32_e32 v5, v153, v160
	s_waitcnt vmcnt(3)
	v_fma_f32 v3, v150, v169, -v3
	v_add_f32_e32 v2, v2, v4
	v_mul_f32_e32 v181, v152, v160
	v_fmac_f32_e32 v180, v151, v169
	v_add_f32_e32 v1, v1, v179
	s_waitcnt vmcnt(2)
	v_fma_f32 v4, v152, v170, -v5
	v_add_f32_e32 v2, v2, v3
	v_fmac_f32_e32 v181, v153, v170
	v_add_f32_e32 v1, v1, v180
	v_add_f32_e32 v2, v2, v4
	;; [unrolled: 1-line block ×3, first 2 shown]
	s_waitcnt vmcnt(1)
	v_sub_f32_e32 v2, v171, v2
	s_waitcnt vmcnt(0)
	v_sub_f32_e32 v1, v172, v1
	buffer_store_dword v2, off, s[0:3], 0 offset:424
	buffer_store_dword v1, off, s[0:3], 0 offset:428
	v_cmpx_lt_u32_e32 52, v0
	s_cbranch_execz .LBB127_293
; %bb.292:
	s_clause 0x1
	buffer_load_dword v1, off, s[0:3], 0 offset:416
	buffer_load_dword v2, off, s[0:3], 0 offset:420
	v_mov_b32_e32 v3, 0
	buffer_store_dword v3, off, s[0:3], 0 offset:416
	buffer_store_dword v3, off, s[0:3], 0 offset:420
	s_waitcnt vmcnt(0)
	ds_write_b64 v141, v[1:2]
.LBB127_293:
	s_or_b32 exec_lo, exec_lo, s4
	s_waitcnt lgkmcnt(0)
	s_waitcnt_vscnt null, 0x0
	s_barrier
	buffer_gl0_inv
	s_clause 0x17
	buffer_load_dword v12, off, s[0:3], 0 offset:428
	buffer_load_dword v154, off, s[0:3], 0 offset:436
	;; [unrolled: 1-line block ×24, first 2 shown]
	v_mov_b32_e32 v1, 0
	ds_read2_b64 v[2:5], v1 offset0:117 offset1:118
	ds_read2_b64 v[6:9], v1 offset0:119 offset1:120
	;; [unrolled: 1-line block ×5, first 2 shown]
	ds_read_b64 v[10:11], v1 offset:1016
	s_mov_b32 s4, exec_lo
	s_waitcnt vmcnt(23) lgkmcnt(5)
	v_mul_f32_e32 v177, v2, v12
	v_mul_f32_e32 v12, v3, v12
	s_waitcnt vmcnt(22)
	v_mul_f32_e32 v178, v4, v154
	v_mul_f32_e32 v154, v5, v154
	s_waitcnt vmcnt(21) lgkmcnt(4)
	v_mul_f32_e32 v179, v6, v155
	s_waitcnt vmcnt(20)
	v_mul_f32_e32 v180, v8, v156
	s_waitcnt vmcnt(19) lgkmcnt(3)
	v_mul_f32_e32 v181, v142, v157
	s_waitcnt vmcnt(18)
	;; [unrolled: 4-line block ×4, first 2 shown]
	v_fma_f32 v2, v2, v164, -v12
	v_fmac_f32_e32 v177, v3, v164
	v_mul_f32_e32 v3, v7, v155
	s_waitcnt vmcnt(11)
	v_fma_f32 v4, v4, v165, -v154
	v_fmac_f32_e32 v178, v5, v165
	v_add_f32_e32 v2, 0, v2
	v_add_f32_e32 v5, 0, v177
	v_mul_f32_e32 v12, v9, v156
	s_waitcnt vmcnt(10)
	v_fma_f32 v3, v6, v166, -v3
	v_fmac_f32_e32 v179, v7, v166
	v_add_f32_e32 v2, v2, v4
	v_add_f32_e32 v4, v5, v178
	;; [unrolled: 6-line block ×7, first 2 shown]
	v_mul_f32_e32 v6, v153, v162
	s_waitcnt vmcnt(4)
	v_fma_f32 v4, v150, v172, -v4
	v_mul_f32_e32 v186, v152, v162
	v_add_f32_e32 v2, v2, v5
	v_fmac_f32_e32 v185, v151, v172
	v_add_f32_e32 v3, v3, v184
	s_waitcnt lgkmcnt(0)
	v_mul_f32_e32 v5, v11, v163
	s_waitcnt vmcnt(3)
	v_fma_f32 v6, v152, v173, -v6
	v_add_f32_e32 v2, v2, v4
	v_mul_f32_e32 v187, v10, v163
	v_fmac_f32_e32 v186, v153, v173
	v_add_f32_e32 v3, v3, v185
	s_waitcnt vmcnt(2)
	v_fma_f32 v4, v10, v174, -v5
	v_add_f32_e32 v2, v2, v6
	v_fmac_f32_e32 v187, v11, v174
	v_add_f32_e32 v3, v3, v186
	v_add_f32_e32 v2, v2, v4
	v_add_f32_e32 v3, v3, v187
	s_waitcnt vmcnt(1)
	v_sub_f32_e32 v2, v175, v2
	s_waitcnt vmcnt(0)
	v_sub_f32_e32 v3, v176, v3
	buffer_store_dword v2, off, s[0:3], 0 offset:416
	buffer_store_dword v3, off, s[0:3], 0 offset:420
	v_cmpx_lt_u32_e32 51, v0
	s_cbranch_execz .LBB127_295
; %bb.294:
	s_clause 0x1
	buffer_load_dword v2, off, s[0:3], 0 offset:408
	buffer_load_dword v3, off, s[0:3], 0 offset:412
	buffer_store_dword v1, off, s[0:3], 0 offset:408
	buffer_store_dword v1, off, s[0:3], 0 offset:412
	s_waitcnt vmcnt(0)
	ds_write_b64 v141, v[2:3]
.LBB127_295:
	s_or_b32 exec_lo, exec_lo, s4
	s_waitcnt lgkmcnt(0)
	s_waitcnt_vscnt null, 0x0
	s_barrier
	buffer_gl0_inv
	s_clause 0x19
	buffer_load_dword v10, off, s[0:3], 0 offset:420
	buffer_load_dword v11, off, s[0:3], 0 offset:428
	;; [unrolled: 1-line block ×26, first 2 shown]
	ds_read_b128 v[2:5], v1 offset:928
	ds_read_b128 v[6:9], v1 offset:944
	;; [unrolled: 1-line block ×6, first 2 shown]
	s_mov_b32 s4, exec_lo
	s_waitcnt vmcnt(25) lgkmcnt(5)
	v_mul_f32_e32 v1, v2, v10
	v_mul_f32_e32 v10, v3, v10
	s_waitcnt vmcnt(24)
	v_mul_f32_e32 v181, v4, v11
	v_mul_f32_e32 v11, v5, v11
	s_waitcnt vmcnt(23) lgkmcnt(4)
	v_mul_f32_e32 v182, v6, v12
	s_waitcnt vmcnt(22)
	v_mul_f32_e32 v183, v8, v158
	s_waitcnt vmcnt(21) lgkmcnt(3)
	v_mul_f32_e32 v184, v142, v159
	s_waitcnt vmcnt(20)
	;; [unrolled: 4-line block ×4, first 2 shown]
	v_mul_f32_e32 v189, v152, v164
	s_waitcnt vmcnt(13)
	v_fma_f32 v2, v2, v167, -v10
	v_fmac_f32_e32 v1, v3, v167
	v_mul_f32_e32 v3, v7, v12
	s_waitcnt vmcnt(12)
	v_fma_f32 v4, v4, v168, -v11
	v_fmac_f32_e32 v181, v5, v168
	v_add_f32_e32 v2, 0, v2
	v_add_f32_e32 v1, 0, v1
	v_mul_f32_e32 v5, v9, v158
	s_waitcnt vmcnt(11)
	v_fma_f32 v3, v6, v169, -v3
	v_fmac_f32_e32 v182, v7, v169
	v_add_f32_e32 v2, v2, v4
	v_add_f32_e32 v1, v1, v181
	;; [unrolled: 6-line block ×8, first 2 shown]
	s_waitcnt lgkmcnt(0)
	v_mul_f32_e32 v4, v155, v165
	s_waitcnt vmcnt(4)
	v_fma_f32 v5, v152, v176, -v5
	v_mul_f32_e32 v190, v154, v165
	v_add_f32_e32 v2, v2, v3
	v_fmac_f32_e32 v189, v153, v176
	v_add_f32_e32 v1, v1, v188
	v_mul_f32_e32 v3, v157, v166
	s_waitcnt vmcnt(3)
	v_fma_f32 v4, v154, v177, -v4
	v_add_f32_e32 v2, v2, v5
	v_mul_f32_e32 v191, v156, v166
	v_fmac_f32_e32 v190, v155, v177
	v_add_f32_e32 v1, v1, v189
	s_waitcnt vmcnt(2)
	v_fma_f32 v3, v156, v178, -v3
	v_add_f32_e32 v2, v2, v4
	v_fmac_f32_e32 v191, v157, v178
	v_add_f32_e32 v1, v1, v190
	v_add_f32_e32 v2, v2, v3
	;; [unrolled: 1-line block ×3, first 2 shown]
	s_waitcnt vmcnt(1)
	v_sub_f32_e32 v2, v179, v2
	s_waitcnt vmcnt(0)
	v_sub_f32_e32 v1, v180, v1
	buffer_store_dword v2, off, s[0:3], 0 offset:408
	buffer_store_dword v1, off, s[0:3], 0 offset:412
	v_cmpx_lt_u32_e32 50, v0
	s_cbranch_execz .LBB127_297
; %bb.296:
	s_clause 0x1
	buffer_load_dword v1, off, s[0:3], 0 offset:400
	buffer_load_dword v2, off, s[0:3], 0 offset:404
	v_mov_b32_e32 v3, 0
	buffer_store_dword v3, off, s[0:3], 0 offset:400
	buffer_store_dword v3, off, s[0:3], 0 offset:404
	s_waitcnt vmcnt(0)
	ds_write_b64 v141, v[1:2]
.LBB127_297:
	s_or_b32 exec_lo, exec_lo, s4
	s_waitcnt lgkmcnt(0)
	s_waitcnt_vscnt null, 0x0
	s_barrier
	buffer_gl0_inv
	s_clause 0x1b
	buffer_load_dword v12, off, s[0:3], 0 offset:412
	buffer_load_dword v158, off, s[0:3], 0 offset:420
	;; [unrolled: 1-line block ×28, first 2 shown]
	v_mov_b32_e32 v1, 0
	ds_read2_b64 v[2:5], v1 offset0:115 offset1:116
	ds_read2_b64 v[6:9], v1 offset0:117 offset1:118
	;; [unrolled: 1-line block ×6, first 2 shown]
	ds_read_b64 v[10:11], v1 offset:1016
	s_mov_b32 s4, exec_lo
	s_waitcnt vmcnt(27) lgkmcnt(6)
	v_mul_f32_e32 v185, v2, v12
	v_mul_f32_e32 v12, v3, v12
	s_waitcnt vmcnt(26)
	v_mul_f32_e32 v186, v4, v158
	v_mul_f32_e32 v158, v5, v158
	s_waitcnt vmcnt(25) lgkmcnt(5)
	v_mul_f32_e32 v187, v6, v159
	s_waitcnt vmcnt(24)
	v_mul_f32_e32 v188, v8, v160
	s_waitcnt vmcnt(23) lgkmcnt(4)
	v_mul_f32_e32 v189, v142, v161
	s_waitcnt vmcnt(22)
	;; [unrolled: 4-line block ×5, first 2 shown]
	v_fma_f32 v2, v2, v170, -v12
	v_fmac_f32_e32 v185, v3, v170
	v_mul_f32_e32 v3, v7, v159
	s_waitcnt vmcnt(13)
	v_fma_f32 v4, v4, v171, -v158
	v_fmac_f32_e32 v186, v5, v171
	v_add_f32_e32 v2, 0, v2
	v_add_f32_e32 v5, 0, v185
	v_mul_f32_e32 v12, v9, v160
	s_waitcnt vmcnt(12)
	v_fma_f32 v3, v6, v172, -v3
	v_fmac_f32_e32 v187, v7, v172
	v_add_f32_e32 v2, v2, v4
	v_add_f32_e32 v4, v5, v186
	;; [unrolled: 6-line block ×9, first 2 shown]
	v_mul_f32_e32 v4, v157, v168
	s_waitcnt vmcnt(4)
	v_fma_f32 v5, v154, v180, -v5
	v_mul_f32_e32 v196, v156, v168
	v_add_f32_e32 v2, v2, v6
	v_fmac_f32_e32 v195, v155, v180
	v_add_f32_e32 v3, v3, v194
	s_waitcnt lgkmcnt(0)
	v_mul_f32_e32 v6, v11, v169
	s_waitcnt vmcnt(3)
	v_fma_f32 v4, v156, v181, -v4
	v_add_f32_e32 v2, v2, v5
	v_mul_f32_e32 v197, v10, v169
	v_fmac_f32_e32 v196, v157, v181
	v_add_f32_e32 v3, v3, v195
	s_waitcnt vmcnt(2)
	v_fma_f32 v5, v10, v182, -v6
	v_add_f32_e32 v2, v2, v4
	v_fmac_f32_e32 v197, v11, v182
	v_add_f32_e32 v3, v3, v196
	v_add_f32_e32 v2, v2, v5
	;; [unrolled: 1-line block ×3, first 2 shown]
	s_waitcnt vmcnt(1)
	v_sub_f32_e32 v2, v183, v2
	s_waitcnt vmcnt(0)
	v_sub_f32_e32 v3, v184, v3
	buffer_store_dword v2, off, s[0:3], 0 offset:400
	buffer_store_dword v3, off, s[0:3], 0 offset:404
	v_cmpx_lt_u32_e32 49, v0
	s_cbranch_execz .LBB127_299
; %bb.298:
	s_clause 0x1
	buffer_load_dword v2, off, s[0:3], 0 offset:392
	buffer_load_dword v3, off, s[0:3], 0 offset:396
	buffer_store_dword v1, off, s[0:3], 0 offset:392
	buffer_store_dword v1, off, s[0:3], 0 offset:396
	s_waitcnt vmcnt(0)
	ds_write_b64 v141, v[2:3]
.LBB127_299:
	s_or_b32 exec_lo, exec_lo, s4
	s_waitcnt lgkmcnt(0)
	s_waitcnt_vscnt null, 0x0
	s_barrier
	buffer_gl0_inv
	s_clause 0x1d
	buffer_load_dword v10, off, s[0:3], 0 offset:404
	buffer_load_dword v11, off, s[0:3], 0 offset:412
	;; [unrolled: 1-line block ×30, first 2 shown]
	ds_read_b128 v[2:5], v1 offset:912
	ds_read_b128 v[6:9], v1 offset:928
	ds_read_b128 v[142:145], v1 offset:944
	ds_read_b128 v[146:149], v1 offset:960
	ds_read_b128 v[150:153], v1 offset:976
	ds_read_b128 v[154:157], v1 offset:992
	ds_read_b128 v[158:161], v1 offset:1008
	s_mov_b32 s4, exec_lo
	s_waitcnt vmcnt(29) lgkmcnt(6)
	v_mul_f32_e32 v1, v2, v10
	v_mul_f32_e32 v10, v3, v10
	s_waitcnt vmcnt(28)
	v_mul_f32_e32 v189, v4, v11
	v_mul_f32_e32 v11, v5, v11
	s_waitcnt vmcnt(27) lgkmcnt(5)
	v_mul_f32_e32 v190, v6, v12
	s_waitcnt vmcnt(26)
	v_mul_f32_e32 v191, v8, v162
	s_waitcnt vmcnt(25) lgkmcnt(4)
	v_mul_f32_e32 v192, v142, v163
	s_waitcnt vmcnt(24)
	;; [unrolled: 4-line block ×5, first 2 shown]
	v_mul_f32_e32 v199, v156, v170
	s_waitcnt vmcnt(15)
	v_fma_f32 v2, v2, v173, -v10
	v_fmac_f32_e32 v1, v3, v173
	v_mul_f32_e32 v3, v7, v12
	s_waitcnt vmcnt(14)
	v_fma_f32 v4, v4, v174, -v11
	v_fmac_f32_e32 v189, v5, v174
	v_add_f32_e32 v2, 0, v2
	v_add_f32_e32 v1, 0, v1
	v_mul_f32_e32 v5, v9, v162
	s_waitcnt vmcnt(13)
	v_fma_f32 v3, v6, v175, -v3
	v_fmac_f32_e32 v190, v7, v175
	v_add_f32_e32 v2, v2, v4
	v_add_f32_e32 v1, v1, v189
	;; [unrolled: 6-line block ×10, first 2 shown]
	s_waitcnt lgkmcnt(0)
	v_mul_f32_e32 v5, v159, v171
	s_waitcnt vmcnt(4)
	v_fma_f32 v3, v156, v184, -v3
	v_mul_f32_e32 v200, v158, v171
	v_add_f32_e32 v2, v2, v4
	v_fmac_f32_e32 v199, v157, v184
	v_add_f32_e32 v1, v1, v198
	v_mul_f32_e32 v4, v161, v172
	s_waitcnt vmcnt(3)
	v_fma_f32 v5, v158, v185, -v5
	v_add_f32_e32 v2, v2, v3
	v_mul_f32_e32 v201, v160, v172
	v_fmac_f32_e32 v200, v159, v185
	v_add_f32_e32 v1, v1, v199
	s_waitcnt vmcnt(2)
	v_fma_f32 v3, v160, v186, -v4
	v_add_f32_e32 v2, v2, v5
	v_fmac_f32_e32 v201, v161, v186
	v_add_f32_e32 v1, v1, v200
	v_add_f32_e32 v2, v2, v3
	;; [unrolled: 1-line block ×3, first 2 shown]
	s_waitcnt vmcnt(1)
	v_sub_f32_e32 v2, v187, v2
	s_waitcnt vmcnt(0)
	v_sub_f32_e32 v1, v188, v1
	buffer_store_dword v2, off, s[0:3], 0 offset:392
	buffer_store_dword v1, off, s[0:3], 0 offset:396
	v_cmpx_lt_u32_e32 48, v0
	s_cbranch_execz .LBB127_301
; %bb.300:
	s_clause 0x1
	buffer_load_dword v1, off, s[0:3], 0 offset:384
	buffer_load_dword v2, off, s[0:3], 0 offset:388
	v_mov_b32_e32 v3, 0
	buffer_store_dword v3, off, s[0:3], 0 offset:384
	buffer_store_dword v3, off, s[0:3], 0 offset:388
	s_waitcnt vmcnt(0)
	ds_write_b64 v141, v[1:2]
.LBB127_301:
	s_or_b32 exec_lo, exec_lo, s4
	s_waitcnt lgkmcnt(0)
	s_waitcnt_vscnt null, 0x0
	s_barrier
	buffer_gl0_inv
	s_clause 0x1f
	buffer_load_dword v12, off, s[0:3], 0 offset:396
	buffer_load_dword v162, off, s[0:3], 0 offset:404
	buffer_load_dword v163, off, s[0:3], 0 offset:412
	buffer_load_dword v164, off, s[0:3], 0 offset:420
	buffer_load_dword v165, off, s[0:3], 0 offset:428
	buffer_load_dword v166, off, s[0:3], 0 offset:436
	buffer_load_dword v167, off, s[0:3], 0 offset:444
	buffer_load_dword v168, off, s[0:3], 0 offset:452
	buffer_load_dword v169, off, s[0:3], 0 offset:460
	buffer_load_dword v170, off, s[0:3], 0 offset:468
	buffer_load_dword v171, off, s[0:3], 0 offset:476
	buffer_load_dword v172, off, s[0:3], 0 offset:484
	buffer_load_dword v173, off, s[0:3], 0 offset:492
	buffer_load_dword v174, off, s[0:3], 0 offset:500
	buffer_load_dword v175, off, s[0:3], 0 offset:508
	buffer_load_dword v176, off, s[0:3], 0 offset:392
	buffer_load_dword v177, off, s[0:3], 0 offset:400
	buffer_load_dword v178, off, s[0:3], 0 offset:408
	buffer_load_dword v179, off, s[0:3], 0 offset:416
	buffer_load_dword v180, off, s[0:3], 0 offset:424
	buffer_load_dword v181, off, s[0:3], 0 offset:432
	buffer_load_dword v182, off, s[0:3], 0 offset:440
	buffer_load_dword v183, off, s[0:3], 0 offset:448
	buffer_load_dword v184, off, s[0:3], 0 offset:456
	buffer_load_dword v185, off, s[0:3], 0 offset:464
	buffer_load_dword v186, off, s[0:3], 0 offset:472
	buffer_load_dword v187, off, s[0:3], 0 offset:480
	buffer_load_dword v188, off, s[0:3], 0 offset:488
	buffer_load_dword v189, off, s[0:3], 0 offset:496
	buffer_load_dword v190, off, s[0:3], 0 offset:504
	buffer_load_dword v191, off, s[0:3], 0 offset:384
	buffer_load_dword v192, off, s[0:3], 0 offset:388
	v_mov_b32_e32 v1, 0
	ds_read2_b64 v[2:5], v1 offset0:113 offset1:114
	ds_read2_b64 v[6:9], v1 offset0:115 offset1:116
	ds_read2_b64 v[142:145], v1 offset0:117 offset1:118
	ds_read2_b64 v[146:149], v1 offset0:119 offset1:120
	ds_read2_b64 v[150:153], v1 offset0:121 offset1:122
	ds_read2_b64 v[154:157], v1 offset0:123 offset1:124
	ds_read2_b64 v[158:161], v1 offset0:125 offset1:126
	ds_read_b64 v[10:11], v1 offset:1016
	s_mov_b32 s4, exec_lo
	s_waitcnt vmcnt(31) lgkmcnt(7)
	v_mul_f32_e32 v193, v2, v12
	v_mul_f32_e32 v12, v3, v12
	s_waitcnt vmcnt(30)
	v_mul_f32_e32 v194, v4, v162
	v_mul_f32_e32 v162, v5, v162
	s_waitcnt vmcnt(29) lgkmcnt(6)
	v_mul_f32_e32 v195, v6, v163
	s_waitcnt vmcnt(28)
	v_mul_f32_e32 v196, v8, v164
	s_waitcnt vmcnt(27) lgkmcnt(5)
	v_mul_f32_e32 v197, v142, v165
	s_waitcnt vmcnt(26)
	;; [unrolled: 4-line block ×6, first 2 shown]
	v_fma_f32 v2, v2, v176, -v12
	v_fmac_f32_e32 v193, v3, v176
	v_mul_f32_e32 v3, v7, v163
	s_waitcnt vmcnt(15)
	v_fma_f32 v4, v4, v177, -v162
	v_fmac_f32_e32 v194, v5, v177
	v_add_f32_e32 v2, 0, v2
	v_add_f32_e32 v5, 0, v193
	v_mul_f32_e32 v12, v9, v164
	s_waitcnt vmcnt(14)
	v_fma_f32 v3, v6, v178, -v3
	v_fmac_f32_e32 v195, v7, v178
	v_add_f32_e32 v2, v2, v4
	v_add_f32_e32 v4, v5, v194
	;; [unrolled: 6-line block ×11, first 2 shown]
	v_mul_f32_e32 v5, v161, v174
	s_waitcnt vmcnt(4)
	v_fma_f32 v6, v158, v188, -v6
	v_mul_f32_e32 v206, v160, v174
	v_add_f32_e32 v2, v2, v4
	v_fmac_f32_e32 v205, v159, v188
	v_add_f32_e32 v3, v3, v204
	s_waitcnt lgkmcnt(0)
	v_mul_f32_e32 v4, v11, v175
	s_waitcnt vmcnt(3)
	v_fma_f32 v5, v160, v189, -v5
	v_add_f32_e32 v2, v2, v6
	v_mul_f32_e32 v207, v10, v175
	v_fmac_f32_e32 v206, v161, v189
	v_add_f32_e32 v3, v3, v205
	s_waitcnt vmcnt(2)
	v_fma_f32 v4, v10, v190, -v4
	v_add_f32_e32 v2, v2, v5
	v_fmac_f32_e32 v207, v11, v190
	v_add_f32_e32 v3, v3, v206
	v_add_f32_e32 v2, v2, v4
	;; [unrolled: 1-line block ×3, first 2 shown]
	s_waitcnt vmcnt(1)
	v_sub_f32_e32 v2, v191, v2
	s_waitcnt vmcnt(0)
	v_sub_f32_e32 v3, v192, v3
	buffer_store_dword v2, off, s[0:3], 0 offset:384
	buffer_store_dword v3, off, s[0:3], 0 offset:388
	v_cmpx_lt_u32_e32 47, v0
	s_cbranch_execz .LBB127_303
; %bb.302:
	s_clause 0x1
	buffer_load_dword v2, off, s[0:3], 0 offset:376
	buffer_load_dword v3, off, s[0:3], 0 offset:380
	buffer_store_dword v1, off, s[0:3], 0 offset:376
	buffer_store_dword v1, off, s[0:3], 0 offset:380
	s_waitcnt vmcnt(0)
	ds_write_b64 v141, v[2:3]
.LBB127_303:
	s_or_b32 exec_lo, exec_lo, s4
	s_waitcnt lgkmcnt(0)
	s_waitcnt_vscnt null, 0x0
	s_barrier
	buffer_gl0_inv
	s_clause 0x21
	buffer_load_dword v10, off, s[0:3], 0 offset:388
	buffer_load_dword v11, off, s[0:3], 0 offset:396
	buffer_load_dword v12, off, s[0:3], 0 offset:404
	buffer_load_dword v166, off, s[0:3], 0 offset:412
	buffer_load_dword v167, off, s[0:3], 0 offset:420
	buffer_load_dword v168, off, s[0:3], 0 offset:428
	buffer_load_dword v169, off, s[0:3], 0 offset:436
	buffer_load_dword v170, off, s[0:3], 0 offset:444
	buffer_load_dword v171, off, s[0:3], 0 offset:452
	buffer_load_dword v172, off, s[0:3], 0 offset:460
	buffer_load_dword v173, off, s[0:3], 0 offset:468
	buffer_load_dword v174, off, s[0:3], 0 offset:476
	buffer_load_dword v175, off, s[0:3], 0 offset:484
	buffer_load_dword v176, off, s[0:3], 0 offset:492
	buffer_load_dword v177, off, s[0:3], 0 offset:500
	buffer_load_dword v178, off, s[0:3], 0 offset:508
	buffer_load_dword v179, off, s[0:3], 0 offset:384
	buffer_load_dword v180, off, s[0:3], 0 offset:392
	buffer_load_dword v181, off, s[0:3], 0 offset:400
	buffer_load_dword v182, off, s[0:3], 0 offset:408
	buffer_load_dword v183, off, s[0:3], 0 offset:416
	buffer_load_dword v184, off, s[0:3], 0 offset:424
	buffer_load_dword v185, off, s[0:3], 0 offset:432
	buffer_load_dword v186, off, s[0:3], 0 offset:440
	buffer_load_dword v187, off, s[0:3], 0 offset:448
	buffer_load_dword v188, off, s[0:3], 0 offset:456
	buffer_load_dword v189, off, s[0:3], 0 offset:464
	buffer_load_dword v190, off, s[0:3], 0 offset:472
	buffer_load_dword v191, off, s[0:3], 0 offset:480
	buffer_load_dword v192, off, s[0:3], 0 offset:488
	buffer_load_dword v193, off, s[0:3], 0 offset:496
	buffer_load_dword v194, off, s[0:3], 0 offset:504
	buffer_load_dword v195, off, s[0:3], 0 offset:376
	buffer_load_dword v196, off, s[0:3], 0 offset:380
	ds_read_b128 v[2:5], v1 offset:896
	ds_read_b128 v[6:9], v1 offset:912
	;; [unrolled: 1-line block ×8, first 2 shown]
	s_mov_b32 s4, exec_lo
	s_waitcnt vmcnt(33) lgkmcnt(7)
	v_mul_f32_e32 v1, v2, v10
	v_mul_f32_e32 v10, v3, v10
	s_waitcnt vmcnt(32)
	v_mul_f32_e32 v197, v4, v11
	v_mul_f32_e32 v11, v5, v11
	s_waitcnt vmcnt(31) lgkmcnt(6)
	v_mul_f32_e32 v198, v6, v12
	s_waitcnt vmcnt(30)
	v_mul_f32_e32 v199, v8, v166
	s_waitcnt vmcnt(29) lgkmcnt(5)
	v_mul_f32_e32 v200, v142, v167
	s_waitcnt vmcnt(28)
	;; [unrolled: 4-line block ×6, first 2 shown]
	v_mul_f32_e32 v209, v160, v176
	s_waitcnt vmcnt(17)
	v_fma_f32 v2, v2, v179, -v10
	v_fmac_f32_e32 v1, v3, v179
	v_mul_f32_e32 v3, v7, v12
	s_waitcnt vmcnt(16)
	v_fma_f32 v4, v4, v180, -v11
	v_fmac_f32_e32 v197, v5, v180
	v_add_f32_e32 v2, 0, v2
	v_add_f32_e32 v1, 0, v1
	v_mul_f32_e32 v5, v9, v166
	s_waitcnt vmcnt(15)
	v_fma_f32 v3, v6, v181, -v3
	v_fmac_f32_e32 v198, v7, v181
	v_add_f32_e32 v2, v2, v4
	v_add_f32_e32 v1, v1, v197
	;; [unrolled: 6-line block ×12, first 2 shown]
	s_waitcnt lgkmcnt(0)
	v_mul_f32_e32 v3, v163, v177
	s_waitcnt vmcnt(4)
	v_fma_f32 v4, v160, v192, -v4
	v_mul_f32_e32 v210, v162, v177
	v_add_f32_e32 v2, v2, v5
	v_fmac_f32_e32 v209, v161, v192
	v_add_f32_e32 v1, v1, v208
	v_mul_f32_e32 v5, v165, v178
	s_waitcnt vmcnt(3)
	v_fma_f32 v3, v162, v193, -v3
	v_add_f32_e32 v2, v2, v4
	v_mul_f32_e32 v211, v164, v178
	v_fmac_f32_e32 v210, v163, v193
	v_add_f32_e32 v1, v1, v209
	s_waitcnt vmcnt(2)
	v_fma_f32 v4, v164, v194, -v5
	v_add_f32_e32 v2, v2, v3
	v_fmac_f32_e32 v211, v165, v194
	v_add_f32_e32 v1, v1, v210
	v_add_f32_e32 v2, v2, v4
	v_add_f32_e32 v1, v1, v211
	s_waitcnt vmcnt(1)
	v_sub_f32_e32 v2, v195, v2
	s_waitcnt vmcnt(0)
	v_sub_f32_e32 v1, v196, v1
	buffer_store_dword v2, off, s[0:3], 0 offset:376
	buffer_store_dword v1, off, s[0:3], 0 offset:380
	v_cmpx_lt_u32_e32 46, v0
	s_cbranch_execz .LBB127_305
; %bb.304:
	s_clause 0x1
	buffer_load_dword v1, off, s[0:3], 0 offset:368
	buffer_load_dword v2, off, s[0:3], 0 offset:372
	v_mov_b32_e32 v3, 0
	buffer_store_dword v3, off, s[0:3], 0 offset:368
	buffer_store_dword v3, off, s[0:3], 0 offset:372
	s_waitcnt vmcnt(0)
	ds_write_b64 v141, v[1:2]
.LBB127_305:
	s_or_b32 exec_lo, exec_lo, s4
	s_waitcnt lgkmcnt(0)
	s_waitcnt_vscnt null, 0x0
	s_barrier
	buffer_gl0_inv
	s_clause 0x23
	buffer_load_dword v12, off, s[0:3], 0 offset:380
	buffer_load_dword v166, off, s[0:3], 0 offset:388
	;; [unrolled: 1-line block ×36, first 2 shown]
	v_mov_b32_e32 v1, 0
	ds_read2_b64 v[2:5], v1 offset0:111 offset1:112
	ds_read2_b64 v[6:9], v1 offset0:113 offset1:114
	;; [unrolled: 1-line block ×8, first 2 shown]
	ds_read_b64 v[10:11], v1 offset:1016
	s_mov_b32 s4, exec_lo
	s_waitcnt vmcnt(35) lgkmcnt(8)
	v_mul_f32_e32 v201, v2, v12
	v_mul_f32_e32 v12, v3, v12
	s_waitcnt vmcnt(34)
	v_mul_f32_e32 v202, v4, v166
	v_mul_f32_e32 v166, v5, v166
	s_waitcnt vmcnt(33) lgkmcnt(7)
	v_mul_f32_e32 v203, v6, v167
	s_waitcnt vmcnt(32)
	v_mul_f32_e32 v204, v8, v168
	s_waitcnt vmcnt(31) lgkmcnt(6)
	v_mul_f32_e32 v205, v142, v169
	s_waitcnt vmcnt(30)
	;; [unrolled: 4-line block ×7, first 2 shown]
	v_fma_f32 v2, v2, v182, -v12
	v_fmac_f32_e32 v201, v3, v182
	v_mul_f32_e32 v3, v7, v167
	s_waitcnt vmcnt(17)
	v_fma_f32 v4, v4, v183, -v166
	v_fmac_f32_e32 v202, v5, v183
	v_add_f32_e32 v2, 0, v2
	v_add_f32_e32 v5, 0, v201
	v_mul_f32_e32 v12, v9, v168
	s_waitcnt vmcnt(16)
	v_fma_f32 v3, v6, v184, -v3
	v_fmac_f32_e32 v203, v7, v184
	v_add_f32_e32 v2, v2, v4
	v_add_f32_e32 v4, v5, v202
	;; [unrolled: 6-line block ×13, first 2 shown]
	v_mul_f32_e32 v6, v165, v180
	s_waitcnt vmcnt(4)
	v_fma_f32 v4, v162, v196, -v4
	v_mul_f32_e32 v216, v164, v180
	v_add_f32_e32 v2, v2, v5
	v_fmac_f32_e32 v215, v163, v196
	v_add_f32_e32 v3, v3, v214
	s_waitcnt lgkmcnt(0)
	v_mul_f32_e32 v5, v11, v181
	s_waitcnt vmcnt(3)
	v_fma_f32 v6, v164, v197, -v6
	v_add_f32_e32 v2, v2, v4
	v_mul_f32_e32 v217, v10, v181
	v_fmac_f32_e32 v216, v165, v197
	v_add_f32_e32 v3, v3, v215
	s_waitcnt vmcnt(2)
	v_fma_f32 v4, v10, v198, -v5
	v_add_f32_e32 v2, v2, v6
	v_fmac_f32_e32 v217, v11, v198
	v_add_f32_e32 v3, v3, v216
	v_add_f32_e32 v2, v2, v4
	;; [unrolled: 1-line block ×3, first 2 shown]
	s_waitcnt vmcnt(1)
	v_sub_f32_e32 v2, v199, v2
	s_waitcnt vmcnt(0)
	v_sub_f32_e32 v3, v200, v3
	buffer_store_dword v2, off, s[0:3], 0 offset:368
	buffer_store_dword v3, off, s[0:3], 0 offset:372
	v_cmpx_lt_u32_e32 45, v0
	s_cbranch_execz .LBB127_307
; %bb.306:
	s_clause 0x1
	buffer_load_dword v2, off, s[0:3], 0 offset:360
	buffer_load_dword v3, off, s[0:3], 0 offset:364
	buffer_store_dword v1, off, s[0:3], 0 offset:360
	buffer_store_dword v1, off, s[0:3], 0 offset:364
	s_waitcnt vmcnt(0)
	ds_write_b64 v141, v[2:3]
.LBB127_307:
	s_or_b32 exec_lo, exec_lo, s4
	s_waitcnt lgkmcnt(0)
	s_waitcnt_vscnt null, 0x0
	s_barrier
	buffer_gl0_inv
	s_clause 0x25
	buffer_load_dword v10, off, s[0:3], 0 offset:372
	buffer_load_dword v11, off, s[0:3], 0 offset:380
	;; [unrolled: 1-line block ×38, first 2 shown]
	ds_read_b128 v[2:5], v1 offset:880
	ds_read_b128 v[6:9], v1 offset:896
	;; [unrolled: 1-line block ×9, first 2 shown]
	s_mov_b32 s4, exec_lo
	s_waitcnt vmcnt(37) lgkmcnt(8)
	v_mul_f32_e32 v1, v2, v10
	v_mul_f32_e32 v10, v3, v10
	s_waitcnt vmcnt(36)
	v_mul_f32_e32 v205, v4, v11
	v_mul_f32_e32 v11, v5, v11
	s_waitcnt vmcnt(35) lgkmcnt(7)
	v_mul_f32_e32 v206, v6, v12
	s_waitcnt vmcnt(34)
	v_mul_f32_e32 v207, v8, v170
	s_waitcnt vmcnt(33) lgkmcnt(6)
	v_mul_f32_e32 v208, v142, v171
	s_waitcnt vmcnt(32)
	;; [unrolled: 4-line block ×7, first 2 shown]
	v_mul_f32_e32 v219, v164, v182
	s_waitcnt vmcnt(19)
	v_fma_f32 v2, v2, v185, -v10
	v_fmac_f32_e32 v1, v3, v185
	v_mul_f32_e32 v3, v7, v12
	s_waitcnt vmcnt(18)
	v_fma_f32 v4, v4, v186, -v11
	v_fmac_f32_e32 v205, v5, v186
	v_add_f32_e32 v2, 0, v2
	v_add_f32_e32 v1, 0, v1
	v_mul_f32_e32 v5, v9, v170
	s_waitcnt vmcnt(17)
	v_fma_f32 v3, v6, v187, -v3
	v_fmac_f32_e32 v206, v7, v187
	v_add_f32_e32 v2, v2, v4
	v_add_f32_e32 v1, v1, v205
	;; [unrolled: 6-line block ×14, first 2 shown]
	s_waitcnt lgkmcnt(0)
	v_mul_f32_e32 v4, v167, v183
	s_waitcnt vmcnt(4)
	v_fma_f32 v5, v164, v200, -v5
	v_mul_f32_e32 v220, v166, v183
	v_add_f32_e32 v2, v2, v3
	v_fmac_f32_e32 v219, v165, v200
	v_add_f32_e32 v1, v1, v218
	v_mul_f32_e32 v3, v169, v184
	s_waitcnt vmcnt(3)
	v_fma_f32 v4, v166, v201, -v4
	v_add_f32_e32 v2, v2, v5
	v_mul_f32_e32 v221, v168, v184
	v_fmac_f32_e32 v220, v167, v201
	v_add_f32_e32 v1, v1, v219
	s_waitcnt vmcnt(2)
	v_fma_f32 v3, v168, v202, -v3
	v_add_f32_e32 v2, v2, v4
	v_fmac_f32_e32 v221, v169, v202
	v_add_f32_e32 v1, v1, v220
	v_add_f32_e32 v2, v2, v3
	v_add_f32_e32 v1, v1, v221
	s_waitcnt vmcnt(1)
	v_sub_f32_e32 v2, v203, v2
	s_waitcnt vmcnt(0)
	v_sub_f32_e32 v1, v204, v1
	buffer_store_dword v2, off, s[0:3], 0 offset:360
	buffer_store_dword v1, off, s[0:3], 0 offset:364
	v_cmpx_lt_u32_e32 44, v0
	s_cbranch_execz .LBB127_309
; %bb.308:
	s_clause 0x1
	buffer_load_dword v1, off, s[0:3], 0 offset:352
	buffer_load_dword v2, off, s[0:3], 0 offset:356
	v_mov_b32_e32 v3, 0
	buffer_store_dword v3, off, s[0:3], 0 offset:352
	buffer_store_dword v3, off, s[0:3], 0 offset:356
	s_waitcnt vmcnt(0)
	ds_write_b64 v141, v[1:2]
.LBB127_309:
	s_or_b32 exec_lo, exec_lo, s4
	s_waitcnt lgkmcnt(0)
	s_waitcnt_vscnt null, 0x0
	s_barrier
	buffer_gl0_inv
	s_clause 0x27
	buffer_load_dword v12, off, s[0:3], 0 offset:364
	buffer_load_dword v170, off, s[0:3], 0 offset:372
	;; [unrolled: 1-line block ×40, first 2 shown]
	v_mov_b32_e32 v1, 0
	ds_read2_b64 v[2:5], v1 offset0:109 offset1:110
	ds_read2_b64 v[6:9], v1 offset0:111 offset1:112
	ds_read2_b64 v[142:145], v1 offset0:113 offset1:114
	ds_read2_b64 v[146:149], v1 offset0:115 offset1:116
	ds_read2_b64 v[150:153], v1 offset0:117 offset1:118
	ds_read2_b64 v[154:157], v1 offset0:119 offset1:120
	ds_read2_b64 v[158:161], v1 offset0:121 offset1:122
	ds_read2_b64 v[162:165], v1 offset0:123 offset1:124
	ds_read2_b64 v[166:169], v1 offset0:125 offset1:126
	ds_read_b64 v[10:11], v1 offset:1016
	s_mov_b32 s4, exec_lo
	s_waitcnt vmcnt(39) lgkmcnt(9)
	v_mul_f32_e32 v209, v2, v12
	v_mul_f32_e32 v12, v3, v12
	s_waitcnt vmcnt(38)
	v_mul_f32_e32 v210, v4, v170
	v_mul_f32_e32 v170, v5, v170
	s_waitcnt vmcnt(37) lgkmcnt(8)
	v_mul_f32_e32 v211, v6, v171
	s_waitcnt vmcnt(36)
	v_mul_f32_e32 v212, v8, v172
	s_waitcnt vmcnt(35) lgkmcnt(7)
	v_mul_f32_e32 v213, v142, v173
	s_waitcnt vmcnt(34)
	;; [unrolled: 4-line block ×8, first 2 shown]
	v_fma_f32 v2, v2, v188, -v12
	v_fmac_f32_e32 v209, v3, v188
	v_mul_f32_e32 v3, v7, v171
	s_waitcnt vmcnt(19)
	v_fma_f32 v4, v4, v189, -v170
	v_fmac_f32_e32 v210, v5, v189
	v_add_f32_e32 v2, 0, v2
	v_add_f32_e32 v5, 0, v209
	v_mul_f32_e32 v12, v9, v172
	s_waitcnt vmcnt(18)
	v_fma_f32 v3, v6, v190, -v3
	v_fmac_f32_e32 v211, v7, v190
	v_add_f32_e32 v2, v2, v4
	v_add_f32_e32 v4, v5, v210
	;; [unrolled: 6-line block ×15, first 2 shown]
	v_mul_f32_e32 v4, v169, v186
	s_waitcnt vmcnt(4)
	v_fma_f32 v5, v166, v204, -v5
	v_mul_f32_e32 v226, v168, v186
	v_add_f32_e32 v2, v2, v6
	v_fmac_f32_e32 v225, v167, v204
	v_add_f32_e32 v3, v3, v224
	s_waitcnt lgkmcnt(0)
	v_mul_f32_e32 v6, v11, v187
	s_waitcnt vmcnt(3)
	v_fma_f32 v4, v168, v205, -v4
	v_add_f32_e32 v2, v2, v5
	v_mul_f32_e32 v227, v10, v187
	v_fmac_f32_e32 v226, v169, v205
	v_add_f32_e32 v3, v3, v225
	s_waitcnt vmcnt(2)
	v_fma_f32 v5, v10, v206, -v6
	v_add_f32_e32 v2, v2, v4
	v_fmac_f32_e32 v227, v11, v206
	v_add_f32_e32 v3, v3, v226
	v_add_f32_e32 v2, v2, v5
	v_add_f32_e32 v3, v3, v227
	s_waitcnt vmcnt(1)
	v_sub_f32_e32 v2, v207, v2
	s_waitcnt vmcnt(0)
	v_sub_f32_e32 v3, v208, v3
	buffer_store_dword v2, off, s[0:3], 0 offset:352
	buffer_store_dword v3, off, s[0:3], 0 offset:356
	v_cmpx_lt_u32_e32 43, v0
	s_cbranch_execz .LBB127_311
; %bb.310:
	s_clause 0x1
	buffer_load_dword v2, off, s[0:3], 0 offset:344
	buffer_load_dword v3, off, s[0:3], 0 offset:348
	buffer_store_dword v1, off, s[0:3], 0 offset:344
	buffer_store_dword v1, off, s[0:3], 0 offset:348
	s_waitcnt vmcnt(0)
	ds_write_b64 v141, v[2:3]
.LBB127_311:
	s_or_b32 exec_lo, exec_lo, s4
	s_waitcnt lgkmcnt(0)
	s_waitcnt_vscnt null, 0x0
	s_barrier
	buffer_gl0_inv
	s_clause 0x29
	buffer_load_dword v10, off, s[0:3], 0 offset:356
	buffer_load_dword v11, off, s[0:3], 0 offset:364
	;; [unrolled: 1-line block ×42, first 2 shown]
	ds_read_b128 v[2:5], v1 offset:864
	ds_read_b128 v[6:9], v1 offset:880
	;; [unrolled: 1-line block ×10, first 2 shown]
	s_mov_b32 s4, exec_lo
	s_waitcnt vmcnt(41) lgkmcnt(9)
	v_mul_f32_e32 v1, v2, v10
	v_mul_f32_e32 v10, v3, v10
	s_waitcnt vmcnt(40)
	v_mul_f32_e32 v213, v4, v11
	v_mul_f32_e32 v11, v5, v11
	s_waitcnt vmcnt(39) lgkmcnt(8)
	v_mul_f32_e32 v214, v6, v12
	s_waitcnt vmcnt(38)
	v_mul_f32_e32 v215, v8, v174
	s_waitcnt vmcnt(37) lgkmcnt(7)
	v_mul_f32_e32 v216, v142, v175
	s_waitcnt vmcnt(36)
	;; [unrolled: 4-line block ×8, first 2 shown]
	v_mul_f32_e32 v229, v168, v188
	s_waitcnt vmcnt(21)
	v_fma_f32 v2, v2, v191, -v10
	v_fmac_f32_e32 v1, v3, v191
	v_mul_f32_e32 v3, v7, v12
	s_waitcnt vmcnt(20)
	v_fma_f32 v4, v4, v192, -v11
	v_fmac_f32_e32 v213, v5, v192
	v_add_f32_e32 v2, 0, v2
	v_add_f32_e32 v1, 0, v1
	v_mul_f32_e32 v5, v9, v174
	s_waitcnt vmcnt(19)
	v_fma_f32 v3, v6, v193, -v3
	v_fmac_f32_e32 v214, v7, v193
	v_add_f32_e32 v2, v2, v4
	v_add_f32_e32 v1, v1, v213
	;; [unrolled: 6-line block ×16, first 2 shown]
	s_waitcnt lgkmcnt(0)
	v_mul_f32_e32 v5, v171, v189
	s_waitcnt vmcnt(4)
	v_fma_f32 v3, v168, v208, -v3
	v_mul_f32_e32 v230, v170, v189
	v_add_f32_e32 v2, v2, v4
	v_fmac_f32_e32 v229, v169, v208
	v_add_f32_e32 v1, v1, v228
	v_mul_f32_e32 v4, v173, v190
	s_waitcnt vmcnt(3)
	v_fma_f32 v5, v170, v209, -v5
	v_add_f32_e32 v2, v2, v3
	v_mul_f32_e32 v231, v172, v190
	v_fmac_f32_e32 v230, v171, v209
	v_add_f32_e32 v1, v1, v229
	s_waitcnt vmcnt(2)
	v_fma_f32 v3, v172, v210, -v4
	v_add_f32_e32 v2, v2, v5
	v_fmac_f32_e32 v231, v173, v210
	v_add_f32_e32 v1, v1, v230
	v_add_f32_e32 v2, v2, v3
	;; [unrolled: 1-line block ×3, first 2 shown]
	s_waitcnt vmcnt(1)
	v_sub_f32_e32 v2, v211, v2
	s_waitcnt vmcnt(0)
	v_sub_f32_e32 v1, v212, v1
	buffer_store_dword v2, off, s[0:3], 0 offset:344
	buffer_store_dword v1, off, s[0:3], 0 offset:348
	v_cmpx_lt_u32_e32 42, v0
	s_cbranch_execz .LBB127_313
; %bb.312:
	s_clause 0x1
	buffer_load_dword v1, off, s[0:3], 0 offset:336
	buffer_load_dword v2, off, s[0:3], 0 offset:340
	v_mov_b32_e32 v3, 0
	buffer_store_dword v3, off, s[0:3], 0 offset:336
	buffer_store_dword v3, off, s[0:3], 0 offset:340
	s_waitcnt vmcnt(0)
	ds_write_b64 v141, v[1:2]
.LBB127_313:
	s_or_b32 exec_lo, exec_lo, s4
	s_waitcnt lgkmcnt(0)
	s_waitcnt_vscnt null, 0x0
	s_barrier
	buffer_gl0_inv
	s_clause 0x2b
	buffer_load_dword v12, off, s[0:3], 0 offset:348
	buffer_load_dword v174, off, s[0:3], 0 offset:356
	;; [unrolled: 1-line block ×44, first 2 shown]
	v_mov_b32_e32 v1, 0
	ds_read2_b64 v[2:5], v1 offset0:107 offset1:108
	ds_read2_b64 v[6:9], v1 offset0:109 offset1:110
	;; [unrolled: 1-line block ×10, first 2 shown]
	ds_read_b64 v[10:11], v1 offset:1016
	s_mov_b32 s4, exec_lo
	s_waitcnt vmcnt(43) lgkmcnt(10)
	v_mul_f32_e32 v217, v2, v12
	v_mul_f32_e32 v12, v3, v12
	s_waitcnt vmcnt(42)
	v_mul_f32_e32 v218, v4, v174
	v_mul_f32_e32 v174, v5, v174
	s_waitcnt vmcnt(41) lgkmcnt(9)
	v_mul_f32_e32 v219, v6, v175
	s_waitcnt vmcnt(40)
	v_mul_f32_e32 v220, v8, v176
	s_waitcnt vmcnt(39) lgkmcnt(8)
	v_mul_f32_e32 v221, v142, v177
	s_waitcnt vmcnt(38)
	;; [unrolled: 4-line block ×9, first 2 shown]
	v_fma_f32 v2, v2, v194, -v12
	v_fmac_f32_e32 v217, v3, v194
	v_mul_f32_e32 v3, v7, v175
	s_waitcnt vmcnt(21)
	v_fma_f32 v4, v4, v195, -v174
	v_fmac_f32_e32 v218, v5, v195
	v_add_f32_e32 v2, 0, v2
	v_add_f32_e32 v5, 0, v217
	v_mul_f32_e32 v12, v9, v176
	s_waitcnt vmcnt(20)
	v_fma_f32 v3, v6, v196, -v3
	v_fmac_f32_e32 v219, v7, v196
	v_add_f32_e32 v2, v2, v4
	v_add_f32_e32 v4, v5, v218
	;; [unrolled: 6-line block ×17, first 2 shown]
	v_mul_f32_e32 v5, v173, v192
	s_waitcnt vmcnt(4)
	v_fma_f32 v6, v170, v212, -v6
	v_mul_f32_e32 v236, v172, v192
	v_add_f32_e32 v2, v2, v4
	v_fmac_f32_e32 v235, v171, v212
	v_add_f32_e32 v3, v3, v234
	s_waitcnt lgkmcnt(0)
	v_mul_f32_e32 v4, v11, v193
	s_waitcnt vmcnt(3)
	v_fma_f32 v5, v172, v213, -v5
	v_add_f32_e32 v2, v2, v6
	v_mul_f32_e32 v237, v10, v193
	v_fmac_f32_e32 v236, v173, v213
	v_add_f32_e32 v3, v3, v235
	s_waitcnt vmcnt(2)
	v_fma_f32 v4, v10, v214, -v4
	v_add_f32_e32 v2, v2, v5
	v_fmac_f32_e32 v237, v11, v214
	v_add_f32_e32 v3, v3, v236
	v_add_f32_e32 v2, v2, v4
	;; [unrolled: 1-line block ×3, first 2 shown]
	s_waitcnt vmcnt(1)
	v_sub_f32_e32 v2, v215, v2
	s_waitcnt vmcnt(0)
	v_sub_f32_e32 v3, v216, v3
	buffer_store_dword v2, off, s[0:3], 0 offset:336
	buffer_store_dword v3, off, s[0:3], 0 offset:340
	v_cmpx_lt_u32_e32 41, v0
	s_cbranch_execz .LBB127_315
; %bb.314:
	s_clause 0x1
	buffer_load_dword v2, off, s[0:3], 0 offset:328
	buffer_load_dword v3, off, s[0:3], 0 offset:332
	buffer_store_dword v1, off, s[0:3], 0 offset:328
	buffer_store_dword v1, off, s[0:3], 0 offset:332
	s_waitcnt vmcnt(0)
	ds_write_b64 v141, v[2:3]
.LBB127_315:
	s_or_b32 exec_lo, exec_lo, s4
	s_waitcnt lgkmcnt(0)
	s_waitcnt_vscnt null, 0x0
	s_barrier
	buffer_gl0_inv
	s_clause 0x2d
	buffer_load_dword v10, off, s[0:3], 0 offset:340
	buffer_load_dword v11, off, s[0:3], 0 offset:348
	;; [unrolled: 1-line block ×46, first 2 shown]
	ds_read_b128 v[2:5], v1 offset:848
	ds_read_b128 v[6:9], v1 offset:864
	;; [unrolled: 1-line block ×11, first 2 shown]
	s_mov_b32 s4, exec_lo
	s_waitcnt vmcnt(45) lgkmcnt(10)
	v_mul_f32_e32 v1, v2, v10
	v_mul_f32_e32 v10, v3, v10
	s_waitcnt vmcnt(44)
	v_mul_f32_e32 v221, v4, v11
	v_mul_f32_e32 v11, v5, v11
	s_waitcnt vmcnt(43) lgkmcnt(9)
	v_mul_f32_e32 v222, v6, v12
	s_waitcnt vmcnt(42)
	v_mul_f32_e32 v223, v8, v178
	s_waitcnt vmcnt(41) lgkmcnt(8)
	v_mul_f32_e32 v224, v142, v179
	s_waitcnt vmcnt(40)
	;; [unrolled: 4-line block ×9, first 2 shown]
	v_mul_f32_e32 v239, v172, v194
	s_waitcnt vmcnt(23)
	v_fma_f32 v2, v2, v197, -v10
	v_fmac_f32_e32 v1, v3, v197
	v_mul_f32_e32 v3, v7, v12
	s_waitcnt vmcnt(22)
	v_fma_f32 v4, v4, v198, -v11
	v_fmac_f32_e32 v221, v5, v198
	v_add_f32_e32 v2, 0, v2
	v_add_f32_e32 v1, 0, v1
	v_mul_f32_e32 v5, v9, v178
	s_waitcnt vmcnt(21)
	v_fma_f32 v3, v6, v199, -v3
	v_fmac_f32_e32 v222, v7, v199
	v_add_f32_e32 v2, v2, v4
	v_add_f32_e32 v1, v1, v221
	v_mul_f32_e32 v4, v143, v179
	s_waitcnt vmcnt(20)
	v_fma_f32 v5, v8, v200, -v5
	v_fmac_f32_e32 v223, v9, v200
	v_add_f32_e32 v2, v2, v3
	v_add_f32_e32 v1, v1, v222
	v_mul_f32_e32 v3, v145, v180
	s_waitcnt vmcnt(19)
	v_fma_f32 v4, v142, v201, -v4
	v_fmac_f32_e32 v224, v143, v201
	v_add_f32_e32 v2, v2, v5
	v_add_f32_e32 v1, v1, v223
	v_mul_f32_e32 v5, v147, v181
	s_waitcnt vmcnt(18)
	v_fma_f32 v3, v144, v202, -v3
	v_fmac_f32_e32 v225, v145, v202
	v_add_f32_e32 v2, v2, v4
	v_add_f32_e32 v1, v1, v224
	v_mul_f32_e32 v4, v149, v182
	s_waitcnt vmcnt(17)
	v_fma_f32 v5, v146, v203, -v5
	v_fmac_f32_e32 v226, v147, v203
	v_add_f32_e32 v2, v2, v3
	v_add_f32_e32 v1, v1, v225
	v_mul_f32_e32 v3, v151, v183
	s_waitcnt vmcnt(16)
	v_fma_f32 v4, v148, v204, -v4
	v_fmac_f32_e32 v227, v149, v204
	v_add_f32_e32 v2, v2, v5
	v_add_f32_e32 v1, v1, v226
	v_mul_f32_e32 v5, v153, v184
	s_waitcnt vmcnt(15)
	v_fma_f32 v3, v150, v205, -v3
	v_fmac_f32_e32 v228, v151, v205
	v_add_f32_e32 v2, v2, v4
	v_add_f32_e32 v1, v1, v227
	v_mul_f32_e32 v4, v155, v185
	s_waitcnt vmcnt(14)
	v_fma_f32 v5, v152, v206, -v5
	v_fmac_f32_e32 v229, v153, v206
	v_add_f32_e32 v2, v2, v3
	v_add_f32_e32 v1, v1, v228
	v_mul_f32_e32 v3, v157, v186
	s_waitcnt vmcnt(13)
	v_fma_f32 v4, v154, v207, -v4
	v_fmac_f32_e32 v230, v155, v207
	v_add_f32_e32 v2, v2, v5
	v_add_f32_e32 v1, v1, v229
	v_mul_f32_e32 v5, v159, v187
	s_waitcnt vmcnt(12)
	v_fma_f32 v3, v156, v208, -v3
	v_fmac_f32_e32 v231, v157, v208
	v_add_f32_e32 v2, v2, v4
	v_add_f32_e32 v1, v1, v230
	v_mul_f32_e32 v4, v161, v188
	s_waitcnt vmcnt(11)
	v_fma_f32 v5, v158, v209, -v5
	v_fmac_f32_e32 v232, v159, v209
	v_add_f32_e32 v2, v2, v3
	v_add_f32_e32 v1, v1, v231
	v_mul_f32_e32 v3, v163, v189
	s_waitcnt vmcnt(10)
	v_fma_f32 v4, v160, v210, -v4
	v_fmac_f32_e32 v233, v161, v210
	v_add_f32_e32 v2, v2, v5
	v_add_f32_e32 v1, v1, v232
	v_mul_f32_e32 v5, v165, v190
	s_waitcnt vmcnt(9)
	v_fma_f32 v3, v162, v211, -v3
	v_fmac_f32_e32 v234, v163, v211
	v_add_f32_e32 v2, v2, v4
	v_add_f32_e32 v1, v1, v233
	v_mul_f32_e32 v4, v167, v191
	s_waitcnt vmcnt(8)
	v_fma_f32 v5, v164, v212, -v5
	v_fmac_f32_e32 v235, v165, v212
	v_add_f32_e32 v2, v2, v3
	v_add_f32_e32 v1, v1, v234
	v_mul_f32_e32 v3, v169, v192
	s_waitcnt vmcnt(7)
	v_fma_f32 v4, v166, v213, -v4
	v_fmac_f32_e32 v236, v167, v213
	v_add_f32_e32 v2, v2, v5
	v_add_f32_e32 v1, v1, v235
	v_mul_f32_e32 v5, v171, v193
	s_waitcnt vmcnt(6)
	v_fma_f32 v3, v168, v214, -v3
	v_fmac_f32_e32 v237, v169, v214
	v_add_f32_e32 v2, v2, v4
	v_add_f32_e32 v1, v1, v236
	v_mul_f32_e32 v4, v173, v194
	s_waitcnt vmcnt(5)
	v_fma_f32 v5, v170, v215, -v5
	v_fmac_f32_e32 v238, v171, v215
	v_add_f32_e32 v2, v2, v3
	v_add_f32_e32 v1, v1, v237
	s_waitcnt lgkmcnt(0)
	v_mul_f32_e32 v3, v175, v195
	s_waitcnt vmcnt(4)
	v_fma_f32 v4, v172, v216, -v4
	v_mul_f32_e32 v240, v174, v195
	v_add_f32_e32 v2, v2, v5
	v_fmac_f32_e32 v239, v173, v216
	v_add_f32_e32 v1, v1, v238
	v_mul_f32_e32 v5, v177, v196
	s_waitcnt vmcnt(3)
	v_fma_f32 v3, v174, v217, -v3
	v_add_f32_e32 v2, v2, v4
	v_mul_f32_e32 v241, v176, v196
	v_fmac_f32_e32 v240, v175, v217
	v_add_f32_e32 v1, v1, v239
	s_waitcnt vmcnt(2)
	v_fma_f32 v4, v176, v218, -v5
	v_add_f32_e32 v2, v2, v3
	v_fmac_f32_e32 v241, v177, v218
	v_add_f32_e32 v1, v1, v240
	v_add_f32_e32 v2, v2, v4
	;; [unrolled: 1-line block ×3, first 2 shown]
	s_waitcnt vmcnt(1)
	v_sub_f32_e32 v2, v219, v2
	s_waitcnt vmcnt(0)
	v_sub_f32_e32 v1, v220, v1
	buffer_store_dword v2, off, s[0:3], 0 offset:328
	buffer_store_dword v1, off, s[0:3], 0 offset:332
	v_cmpx_lt_u32_e32 40, v0
	s_cbranch_execz .LBB127_317
; %bb.316:
	s_clause 0x1
	buffer_load_dword v1, off, s[0:3], 0 offset:320
	buffer_load_dword v2, off, s[0:3], 0 offset:324
	v_mov_b32_e32 v3, 0
	buffer_store_dword v3, off, s[0:3], 0 offset:320
	buffer_store_dword v3, off, s[0:3], 0 offset:324
	s_waitcnt vmcnt(0)
	ds_write_b64 v141, v[1:2]
.LBB127_317:
	s_or_b32 exec_lo, exec_lo, s4
	s_waitcnt lgkmcnt(0)
	s_waitcnt_vscnt null, 0x0
	s_barrier
	buffer_gl0_inv
	s_clause 0x2f
	buffer_load_dword v12, off, s[0:3], 0 offset:332
	buffer_load_dword v178, off, s[0:3], 0 offset:340
	;; [unrolled: 1-line block ×48, first 2 shown]
	v_mov_b32_e32 v1, 0
	ds_read2_b64 v[2:5], v1 offset0:105 offset1:106
	ds_read2_b64 v[6:9], v1 offset0:107 offset1:108
	;; [unrolled: 1-line block ×11, first 2 shown]
	ds_read_b64 v[10:11], v1 offset:1016
	s_mov_b32 s4, exec_lo
	s_waitcnt vmcnt(47) lgkmcnt(11)
	v_mul_f32_e32 v225, v2, v12
	v_mul_f32_e32 v12, v3, v12
	s_waitcnt vmcnt(46)
	v_mul_f32_e32 v226, v4, v178
	v_mul_f32_e32 v178, v5, v178
	s_waitcnt vmcnt(45) lgkmcnt(10)
	v_mul_f32_e32 v227, v6, v179
	s_waitcnt vmcnt(44)
	v_mul_f32_e32 v228, v8, v180
	s_waitcnt vmcnt(43) lgkmcnt(9)
	v_mul_f32_e32 v229, v142, v181
	s_waitcnt vmcnt(42)
	;; [unrolled: 4-line block ×10, first 2 shown]
	v_fma_f32 v2, v2, v200, -v12
	v_fmac_f32_e32 v225, v3, v200
	v_mul_f32_e32 v3, v7, v179
	s_waitcnt vmcnt(23)
	v_fma_f32 v4, v4, v201, -v178
	v_fmac_f32_e32 v226, v5, v201
	v_add_f32_e32 v2, 0, v2
	v_add_f32_e32 v5, 0, v225
	v_mul_f32_e32 v12, v9, v180
	s_waitcnt vmcnt(22)
	v_fma_f32 v3, v6, v202, -v3
	v_fmac_f32_e32 v227, v7, v202
	v_add_f32_e32 v2, v2, v4
	v_add_f32_e32 v4, v5, v226
	;; [unrolled: 6-line block ×19, first 2 shown]
	v_mul_f32_e32 v6, v177, v198
	s_waitcnt vmcnt(4)
	v_fma_f32 v4, v174, v220, -v4
	v_mul_f32_e32 v246, v176, v198
	v_add_f32_e32 v2, v2, v5
	v_fmac_f32_e32 v245, v175, v220
	v_add_f32_e32 v3, v3, v244
	s_waitcnt lgkmcnt(0)
	v_mul_f32_e32 v5, v11, v199
	s_waitcnt vmcnt(3)
	v_fma_f32 v6, v176, v221, -v6
	v_add_f32_e32 v2, v2, v4
	v_mul_f32_e32 v247, v10, v199
	v_fmac_f32_e32 v246, v177, v221
	v_add_f32_e32 v3, v3, v245
	s_waitcnt vmcnt(2)
	v_fma_f32 v4, v10, v222, -v5
	v_add_f32_e32 v2, v2, v6
	v_fmac_f32_e32 v247, v11, v222
	v_add_f32_e32 v3, v3, v246
	v_add_f32_e32 v2, v2, v4
	;; [unrolled: 1-line block ×3, first 2 shown]
	s_waitcnt vmcnt(1)
	v_sub_f32_e32 v2, v223, v2
	s_waitcnt vmcnt(0)
	v_sub_f32_e32 v3, v224, v3
	buffer_store_dword v2, off, s[0:3], 0 offset:320
	buffer_store_dword v3, off, s[0:3], 0 offset:324
	v_cmpx_lt_u32_e32 39, v0
	s_cbranch_execz .LBB127_319
; %bb.318:
	s_clause 0x1
	buffer_load_dword v2, off, s[0:3], 0 offset:312
	buffer_load_dword v3, off, s[0:3], 0 offset:316
	buffer_store_dword v1, off, s[0:3], 0 offset:312
	buffer_store_dword v1, off, s[0:3], 0 offset:316
	s_waitcnt vmcnt(0)
	ds_write_b64 v141, v[2:3]
.LBB127_319:
	s_or_b32 exec_lo, exec_lo, s4
	s_waitcnt lgkmcnt(0)
	s_waitcnt_vscnt null, 0x0
	s_barrier
	buffer_gl0_inv
	s_clause 0x31
	buffer_load_dword v10, off, s[0:3], 0 offset:324
	buffer_load_dword v11, off, s[0:3], 0 offset:332
	;; [unrolled: 1-line block ×50, first 2 shown]
	ds_read_b128 v[2:5], v1 offset:832
	ds_read_b128 v[6:9], v1 offset:848
	;; [unrolled: 1-line block ×12, first 2 shown]
	s_mov_b32 s4, exec_lo
	s_waitcnt vmcnt(49) lgkmcnt(11)
	v_mul_f32_e32 v1, v2, v10
	v_mul_f32_e32 v10, v3, v10
	s_waitcnt vmcnt(48)
	v_mul_f32_e32 v229, v4, v11
	v_mul_f32_e32 v11, v5, v11
	s_waitcnt vmcnt(47) lgkmcnt(10)
	v_mul_f32_e32 v230, v6, v12
	s_waitcnt vmcnt(46)
	v_mul_f32_e32 v231, v8, v182
	s_waitcnt vmcnt(45) lgkmcnt(9)
	v_mul_f32_e32 v232, v142, v183
	s_waitcnt vmcnt(44)
	;; [unrolled: 4-line block ×10, first 2 shown]
	v_mul_f32_e32 v249, v176, v200
	s_waitcnt vmcnt(25)
	v_fma_f32 v2, v2, v203, -v10
	v_fmac_f32_e32 v1, v3, v203
	v_mul_f32_e32 v3, v7, v12
	s_waitcnt vmcnt(24)
	v_fma_f32 v4, v4, v204, -v11
	v_fmac_f32_e32 v229, v5, v204
	v_add_f32_e32 v2, 0, v2
	v_add_f32_e32 v1, 0, v1
	v_mul_f32_e32 v5, v9, v182
	s_waitcnt vmcnt(23)
	v_fma_f32 v3, v6, v205, -v3
	v_fmac_f32_e32 v230, v7, v205
	v_add_f32_e32 v2, v2, v4
	v_add_f32_e32 v1, v1, v229
	;; [unrolled: 6-line block ×20, first 2 shown]
	s_waitcnt lgkmcnt(0)
	v_mul_f32_e32 v4, v179, v201
	s_waitcnt vmcnt(4)
	v_fma_f32 v5, v176, v224, -v5
	v_mul_f32_e32 v250, v178, v201
	v_add_f32_e32 v2, v2, v3
	v_fmac_f32_e32 v249, v177, v224
	v_add_f32_e32 v1, v1, v248
	v_mul_f32_e32 v3, v181, v202
	s_waitcnt vmcnt(3)
	v_fma_f32 v4, v178, v225, -v4
	v_add_f32_e32 v2, v2, v5
	v_mul_f32_e32 v251, v180, v202
	v_fmac_f32_e32 v250, v179, v225
	v_add_f32_e32 v1, v1, v249
	s_waitcnt vmcnt(2)
	v_fma_f32 v3, v180, v226, -v3
	v_add_f32_e32 v2, v2, v4
	v_fmac_f32_e32 v251, v181, v226
	v_add_f32_e32 v1, v1, v250
	v_add_f32_e32 v2, v2, v3
	;; [unrolled: 1-line block ×3, first 2 shown]
	s_waitcnt vmcnt(1)
	v_sub_f32_e32 v2, v227, v2
	s_waitcnt vmcnt(0)
	v_sub_f32_e32 v1, v228, v1
	buffer_store_dword v2, off, s[0:3], 0 offset:312
	buffer_store_dword v1, off, s[0:3], 0 offset:316
	v_cmpx_lt_u32_e32 38, v0
	s_cbranch_execz .LBB127_321
; %bb.320:
	s_clause 0x1
	buffer_load_dword v1, off, s[0:3], 0 offset:304
	buffer_load_dword v2, off, s[0:3], 0 offset:308
	v_mov_b32_e32 v3, 0
	buffer_store_dword v3, off, s[0:3], 0 offset:304
	buffer_store_dword v3, off, s[0:3], 0 offset:308
	s_waitcnt vmcnt(0)
	ds_write_b64 v141, v[1:2]
.LBB127_321:
	s_or_b32 exec_lo, exec_lo, s4
	s_waitcnt lgkmcnt(0)
	s_waitcnt_vscnt null, 0x0
	s_barrier
	buffer_gl0_inv
	s_clause 0x33
	buffer_load_dword v10, off, s[0:3], 0 offset:316
	buffer_load_dword v11, off, s[0:3], 0 offset:324
	;; [unrolled: 1-line block ×52, first 2 shown]
	v_mov_b32_e32 v1, 0
	ds_read2_b64 v[2:5], v1 offset0:103 offset1:104
	ds_read2_b64 v[6:9], v1 offset0:105 offset1:106
	;; [unrolled: 1-line block ×4, first 2 shown]
	s_mov_b32 s4, exec_lo
	s_waitcnt vmcnt(51) lgkmcnt(3)
	v_mul_f32_e32 v199, v2, v10
	s_waitcnt vmcnt(50)
	v_mul_f32_e32 v200, v4, v11
	v_mul_f32_e32 v10, v3, v10
	;; [unrolled: 1-line block ×3, first 2 shown]
	s_waitcnt vmcnt(49) lgkmcnt(2)
	v_mul_f32_e32 v201, v6, v12
	s_waitcnt vmcnt(48)
	v_mul_f32_e32 v202, v8, v150
	v_mul_f32_e32 v12, v7, v12
	;; [unrolled: 1-line block ×3, first 2 shown]
	s_waitcnt vmcnt(43)
	v_fmac_f32_e32 v199, v3, v155
	v_fmac_f32_e32 v200, v5, v154
	v_fma_f32 v10, v2, v155, -v10
	v_fma_f32 v11, v4, v154, -v11
	v_fmac_f32_e32 v201, v7, v153
	s_waitcnt vmcnt(39)
	v_fmac_f32_e32 v202, v9, v159
	v_fma_f32 v12, v6, v153, -v12
	v_fma_f32 v159, v8, v159, -v150
	ds_read2_b64 v[2:5], v1 offset0:111 offset1:112
	ds_read2_b64 v[6:9], v1 offset0:113 offset1:114
	s_waitcnt lgkmcnt(3)
	v_mul_f32_e32 v204, v144, v152
	v_mul_f32_e32 v152, v145, v152
	v_add_f32_e32 v10, 0, v10
	s_waitcnt vmcnt(38) lgkmcnt(2)
	v_mul_f32_e32 v206, v146, v160
	v_mul_f32_e32 v154, v147, v160
	v_fmac_f32_e32 v204, v145, v157
	v_fma_f32 v205, v144, v157, -v152
	v_add_f32_e32 v157, 0, v199
	v_add_f32_e32 v10, v10, v11
	v_mul_f32_e32 v203, v142, v151
	v_mul_f32_e32 v151, v143, v151
	s_waitcnt vmcnt(37)
	v_mul_f32_e32 v207, v148, v161
	v_add_f32_e32 v160, v157, v200
	v_add_f32_e32 v10, v10, v12
	v_fmac_f32_e32 v203, v143, v158
	v_fma_f32 v158, v142, v158, -v151
	v_mul_f32_e32 v155, v149, v161
	v_add_f32_e32 v11, v160, v201
	s_waitcnt vmcnt(32) lgkmcnt(1)
	v_mul_f32_e32 v200, v2, v166
	v_add_f32_e32 v10, v10, v159
	v_mul_f32_e32 v160, v3, v166
	s_waitcnt vmcnt(31)
	v_mul_f32_e32 v12, v4, v167
	v_mul_f32_e32 v161, v5, v167
	v_fmac_f32_e32 v200, v3, v164
	v_add_f32_e32 v3, v11, v202
	v_add_f32_e32 v167, v10, v158
	v_fma_f32 v199, v146, v156, -v154
	v_fmac_f32_e32 v206, v147, v156
	v_fmac_f32_e32 v207, v149, v165
	v_add_f32_e32 v166, v3, v203
	v_add_f32_e32 v167, v167, v205
	v_fma_f32 v165, v148, v165, -v155
	ds_read2_b64 v[142:145], v1 offset0:115 offset1:116
	ds_read2_b64 v[150:153], v1 offset0:117 offset1:118
	s_waitcnt vmcnt(30) lgkmcnt(2)
	v_mul_f32_e32 v201, v6, v168
	v_add_f32_e32 v166, v166, v204
	v_add_f32_e32 v167, v167, v199
	v_mul_f32_e32 v168, v7, v168
	v_fma_f32 v164, v2, v164, -v160
	v_fmac_f32_e32 v201, v7, v162
	v_add_f32_e32 v166, v166, v206
	v_add_f32_e32 v165, v167, v165
	v_fma_f32 v6, v6, v162, -v168
	v_fmac_f32_e32 v12, v5, v163
	v_fma_f32 v163, v4, v163, -v161
	v_add_f32_e32 v162, v166, v207
	v_add_f32_e32 v164, v165, v164
	s_waitcnt vmcnt(29)
	v_mul_f32_e32 v202, v8, v169
	v_mul_f32_e32 v169, v9, v169
	ds_read2_b64 v[146:149], v1 offset0:119 offset1:120
	ds_read2_b64 v[154:157], v1 offset0:121 offset1:122
	v_add_f32_e32 v162, v162, v200
	v_add_f32_e32 v163, v164, v163
	s_waitcnt vmcnt(28) lgkmcnt(3)
	v_mul_f32_e32 v168, v143, v170
	s_waitcnt vmcnt(20)
	v_fma_f32 v8, v8, v178, -v169
	v_mul_f32_e32 v203, v142, v170
	v_add_f32_e32 v12, v162, v12
	v_add_f32_e32 v6, v163, v6
	v_fmac_f32_e32 v202, v9, v178
	v_mul_f32_e32 v162, v145, v171
	v_fma_f32 v142, v142, v177, -v168
	v_add_f32_e32 v12, v12, v201
	v_add_f32_e32 v6, v6, v8
	v_mul_f32_e32 v199, v144, v171
	v_fmac_f32_e32 v203, v143, v177
	v_fma_f32 v143, v144, v176, -v162
	v_add_f32_e32 v8, v12, v202
	s_waitcnt lgkmcnt(2)
	v_mul_f32_e32 v12, v151, v172
	v_add_f32_e32 v6, v6, v142
	v_mul_f32_e32 v7, v150, v172
	v_fmac_f32_e32 v199, v145, v176
	v_add_f32_e32 v8, v8, v203
	v_mul_f32_e32 v142, v153, v173
	v_fma_f32 v12, v150, v175, -v12
	v_add_f32_e32 v6, v6, v143
	v_mul_f32_e32 v166, v152, v173
	v_fmac_f32_e32 v7, v151, v175
	v_add_f32_e32 v8, v8, v199
	s_waitcnt lgkmcnt(1)
	v_mul_f32_e32 v143, v147, v174
	s_waitcnt vmcnt(8)
	v_fma_f32 v142, v152, v190, -v142
	v_add_f32_e32 v6, v6, v12
	v_mul_f32_e32 v167, v146, v174
	v_fmac_f32_e32 v166, v153, v190
	v_add_f32_e32 v7, v8, v7
	ds_read2_b64 v[2:5], v1 offset0:123 offset1:124
	ds_read2_b64 v[158:161], v1 offset0:125 offset1:126
	ds_read_b64 v[10:11], v1 offset:1016
	v_mul_f32_e32 v8, v149, v179
	v_fma_f32 v12, v146, v189, -v143
	v_add_f32_e32 v6, v6, v142
	v_mul_f32_e32 v9, v148, v179
	v_fmac_f32_e32 v167, v147, v189
	v_add_f32_e32 v7, v7, v166
	s_waitcnt lgkmcnt(3)
	v_mul_f32_e32 v142, v155, v180
	v_fma_f32 v8, v148, v188, -v8
	v_add_f32_e32 v6, v6, v12
	v_mul_f32_e32 v169, v154, v180
	v_fmac_f32_e32 v9, v149, v188
	v_add_f32_e32 v7, v7, v167
	v_mul_f32_e32 v12, v157, v181
	v_fma_f32 v142, v154, v187, -v142
	v_add_f32_e32 v6, v6, v8
	v_mul_f32_e32 v165, v156, v181
	v_fmac_f32_e32 v169, v155, v187
	v_add_f32_e32 v7, v7, v9
	s_waitcnt lgkmcnt(2)
	v_mul_f32_e32 v170, v2, v182
	v_mul_f32_e32 v8, v3, v182
	s_waitcnt vmcnt(4)
	v_fma_f32 v9, v156, v194, -v12
	v_add_f32_e32 v6, v6, v142
	v_fmac_f32_e32 v165, v157, v194
	v_add_f32_e32 v7, v7, v169
	v_mul_f32_e32 v12, v5, v183
	v_fmac_f32_e32 v170, v3, v193
	v_fma_f32 v2, v2, v193, -v8
	v_add_f32_e32 v3, v6, v9
	v_mul_f32_e32 v178, v4, v183
	v_add_f32_e32 v6, v7, v165
	s_waitcnt lgkmcnt(1)
	v_mul_f32_e32 v7, v159, v184
	v_fma_f32 v4, v4, v192, -v12
	v_add_f32_e32 v2, v3, v2
	v_mul_f32_e32 v164, v158, v184
	v_fmac_f32_e32 v178, v5, v192
	v_add_f32_e32 v3, v6, v170
	v_mul_f32_e32 v5, v161, v185
	v_fma_f32 v6, v158, v191, -v7
	v_add_f32_e32 v2, v2, v4
	v_mul_f32_e32 v171, v160, v185
	v_fmac_f32_e32 v164, v159, v191
	v_add_f32_e32 v3, v3, v178
	s_waitcnt lgkmcnt(0)
	v_mul_f32_e32 v4, v11, v186
	s_waitcnt vmcnt(2)
	v_fma_f32 v5, v160, v196, -v5
	v_add_f32_e32 v2, v2, v6
	v_mul_f32_e32 v163, v10, v186
	v_fmac_f32_e32 v171, v161, v196
	v_add_f32_e32 v3, v3, v164
	v_fma_f32 v4, v10, v195, -v4
	v_add_f32_e32 v2, v2, v5
	v_fmac_f32_e32 v163, v11, v195
	v_add_f32_e32 v3, v3, v171
	v_add_f32_e32 v2, v2, v4
	;; [unrolled: 1-line block ×3, first 2 shown]
	s_waitcnt vmcnt(1)
	v_sub_f32_e32 v2, v197, v2
	s_waitcnt vmcnt(0)
	v_sub_f32_e32 v3, v198, v3
	buffer_store_dword v2, off, s[0:3], 0 offset:304
	buffer_store_dword v3, off, s[0:3], 0 offset:308
	v_cmpx_lt_u32_e32 37, v0
	s_cbranch_execz .LBB127_323
; %bb.322:
	s_clause 0x1
	buffer_load_dword v2, off, s[0:3], 0 offset:296
	buffer_load_dword v3, off, s[0:3], 0 offset:300
	buffer_store_dword v1, off, s[0:3], 0 offset:296
	buffer_store_dword v1, off, s[0:3], 0 offset:300
	s_waitcnt vmcnt(0)
	ds_write_b64 v141, v[2:3]
.LBB127_323:
	s_or_b32 exec_lo, exec_lo, s4
	s_waitcnt lgkmcnt(0)
	s_waitcnt_vscnt null, 0x0
	s_barrier
	buffer_gl0_inv
	s_clause 0x35
	buffer_load_dword v11, off, s[0:3], 0 offset:308
	buffer_load_dword v12, off, s[0:3], 0 offset:316
	;; [unrolled: 1-line block ×54, first 2 shown]
	ds_read_b128 v[3:6], v1 offset:816
	ds_read_b128 v[7:10], v1 offset:832
	;; [unrolled: 1-line block ×4, first 2 shown]
	s_mov_b32 s4, exec_lo
	s_waitcnt vmcnt(53) lgkmcnt(3)
	v_mul_f32_e32 v201, v3, v11
	v_mul_f32_e32 v11, v4, v11
	s_waitcnt vmcnt(52)
	v_mul_f32_e32 v202, v5, v12
	v_mul_f32_e32 v12, v6, v12
	s_waitcnt vmcnt(49)
	v_fmac_f32_e32 v201, v4, v152
	v_fma_f32 v11, v3, v152, -v11
	v_fmac_f32_e32 v202, v6, v151
	v_fma_f32 v12, v5, v151, -v12
	ds_read_b128 v[3:6], v1 offset:880
	s_waitcnt vmcnt(48) lgkmcnt(3)
	v_mul_f32_e32 v203, v7, v153
	v_mul_f32_e32 v151, v8, v153
	s_waitcnt vmcnt(47)
	v_mul_f32_e32 v152, v10, v154
	v_mul_f32_e32 v204, v9, v154
	s_waitcnt vmcnt(40) lgkmcnt(1)
	v_mul_f32_e32 v208, v146, v160
	v_fmac_f32_e32 v203, v8, v150
	v_fma_f32 v154, v7, v150, -v151
	v_mul_f32_e32 v150, v143, v158
	v_fma_f32 v205, v9, v157, -v152
	v_mul_f32_e32 v152, v147, v160
	v_add_f32_e32 v11, 0, v11
	v_fmac_f32_e32 v204, v10, v157
	ds_read_b128 v[7:10], v1 offset:896
	v_mul_f32_e32 v206, v142, v158
	v_fma_f32 v158, v142, v156, -v150
	v_add_f32_e32 v142, 0, v201
	v_fmac_f32_e32 v208, v147, v2
	v_fma_f32 v201, v146, v2, -v152
	v_add_f32_e32 v2, v11, v12
	s_waitcnt vmcnt(38) lgkmcnt(1)
	v_mul_f32_e32 v12, v4, v162
	v_add_f32_e32 v11, v142, v202
	v_mul_f32_e32 v210, v3, v162
	v_mul_f32_e32 v151, v145, v159
	v_add_f32_e32 v2, v2, v154
	s_waitcnt vmcnt(35)
	v_fma_f32 v12, v3, v165, -v12
	v_add_f32_e32 v3, v11, v203
	v_mul_f32_e32 v207, v144, v159
	v_mul_f32_e32 v209, v148, v161
	v_add_f32_e32 v2, v2, v205
	v_mul_f32_e32 v157, v149, v161
	v_fmac_f32_e32 v206, v143, v156
	s_waitcnt vmcnt(33)
	v_mul_f32_e32 v11, v5, v167
	v_add_f32_e32 v3, v3, v204
	v_fma_f32 v159, v144, v155, -v151
	v_add_f32_e32 v2, v2, v158
	v_fmac_f32_e32 v207, v145, v155
	v_fmac_f32_e32 v209, v149, v166
	v_fma_f32 v162, v148, v166, -v157
	v_fmac_f32_e32 v210, v4, v165
	v_mul_f32_e32 v4, v6, v167
	s_waitcnt vmcnt(31) lgkmcnt(0)
	v_mul_f32_e32 v166, v9, v169
	v_mul_f32_e32 v167, v10, v169
	v_fmac_f32_e32 v11, v6, v164
	v_add_f32_e32 v6, v3, v206
	v_mul_f32_e32 v165, v7, v168
	v_mul_f32_e32 v158, v8, v168
	v_add_f32_e32 v168, v2, v159
	s_waitcnt vmcnt(27)
	v_fmac_f32_e32 v166, v10, v173
	v_fma_f32 v10, v9, v173, -v167
	v_add_f32_e32 v167, v6, v207
	ds_read_b128 v[142:145], v1 offset:912
	ds_read_b128 v[150:153], v1 offset:928
	v_add_f32_e32 v168, v168, v201
	v_fma_f32 v164, v5, v164, -v4
	v_fmac_f32_e32 v165, v8, v163
	v_add_f32_e32 v167, v167, v208
	v_fma_f32 v163, v7, v163, -v158
	v_add_f32_e32 v162, v168, v162
	ds_read_b128 v[146:149], v1 offset:944
	ds_read_b128 v[154:157], v1 offset:960
	;; [unrolled: 1-line block ×4, first 2 shown]
	v_add_f32_e32 v167, v167, v209
	ds_read_b128 v[6:9], v1 offset:1008
	v_add_f32_e32 v12, v162, v12
	v_add_f32_e32 v167, v167, v210
	;; [unrolled: 1-line block ×4, first 2 shown]
	s_waitcnt vmcnt(26) lgkmcnt(6)
	v_mul_f32_e32 v169, v143, v174
	v_add_f32_e32 v12, v12, v163
	v_mul_f32_e32 v1, v142, v174
	s_waitcnt vmcnt(25)
	v_mul_f32_e32 v174, v145, v175
	v_add_f32_e32 v11, v11, v165
	v_fma_f32 v142, v142, v172, -v169
	v_add_f32_e32 v10, v12, v10
	v_mul_f32_e32 v173, v144, v175
	v_fmac_f32_e32 v1, v143, v172
	v_add_f32_e32 v11, v11, v166
	s_waitcnt vmcnt(24) lgkmcnt(5)
	v_mul_f32_e32 v12, v151, v176
	v_fma_f32 v144, v144, v171, -v174
	v_add_f32_e32 v10, v10, v142
	v_mul_f32_e32 v168, v150, v176
	v_fmac_f32_e32 v173, v145, v171
	v_add_f32_e32 v1, v11, v1
	s_waitcnt vmcnt(23)
	v_mul_f32_e32 v11, v153, v177
	v_fma_f32 v12, v150, v170, -v12
	v_add_f32_e32 v10, v10, v144
	v_mul_f32_e32 v175, v152, v177
	v_fmac_f32_e32 v168, v151, v170
	v_add_f32_e32 v1, v1, v173
	s_waitcnt vmcnt(22) lgkmcnt(4)
	v_mul_f32_e32 v142, v147, v178
	s_waitcnt vmcnt(9)
	v_fma_f32 v11, v152, v191, -v11
	v_add_f32_e32 v10, v10, v12
	v_mul_f32_e32 v201, v146, v178
	v_fmac_f32_e32 v175, v153, v191
	v_add_f32_e32 v1, v1, v168
	v_mul_f32_e32 v12, v149, v179
	v_fma_f32 v142, v146, v190, -v142
	v_add_f32_e32 v10, v10, v11
	v_mul_f32_e32 v162, v148, v179
	v_fmac_f32_e32 v201, v147, v190
	v_add_f32_e32 v1, v1, v175
	s_waitcnt lgkmcnt(3)
	v_mul_f32_e32 v11, v155, v180
	v_fma_f32 v12, v148, v189, -v12
	v_add_f32_e32 v10, v10, v142
	v_mul_f32_e32 v202, v154, v180
	v_fmac_f32_e32 v162, v149, v189
	v_add_f32_e32 v1, v1, v201
	v_mul_f32_e32 v142, v157, v181
	v_fma_f32 v11, v154, v188, -v11
	v_add_f32_e32 v10, v10, v12
	v_mul_f32_e32 v203, v156, v181
	v_fmac_f32_e32 v202, v155, v188
	v_add_f32_e32 v1, v1, v162
	s_waitcnt lgkmcnt(2)
	v_mul_f32_e32 v164, v2, v182
	v_mul_f32_e32 v12, v3, v182
	s_waitcnt vmcnt(5)
	v_fma_f32 v142, v156, v195, -v142
	v_add_f32_e32 v10, v10, v11
	v_fmac_f32_e32 v203, v157, v195
	v_add_f32_e32 v1, v1, v202
	v_mul_f32_e32 v11, v5, v183
	v_fmac_f32_e32 v164, v3, v194
	v_fma_f32 v2, v2, v194, -v12
	v_add_f32_e32 v3, v10, v142
	v_mul_f32_e32 v167, v4, v183
	v_add_f32_e32 v1, v1, v203
	s_waitcnt lgkmcnt(1)
	v_mul_f32_e32 v10, v159, v184
	v_fma_f32 v4, v4, v193, -v11
	v_add_f32_e32 v2, v3, v2
	v_mul_f32_e32 v204, v158, v184
	v_fmac_f32_e32 v167, v5, v193
	v_add_f32_e32 v1, v1, v164
	v_mul_f32_e32 v3, v161, v185
	v_fma_f32 v5, v158, v192, -v10
	v_add_f32_e32 v2, v2, v4
	v_mul_f32_e32 v163, v160, v185
	v_fmac_f32_e32 v204, v159, v192
	v_add_f32_e32 v1, v1, v167
	s_waitcnt lgkmcnt(0)
	v_mul_f32_e32 v4, v7, v186
	s_waitcnt vmcnt(2)
	v_fma_f32 v3, v160, v198, -v3
	v_add_f32_e32 v2, v2, v5
	v_mul_f32_e32 v165, v6, v186
	v_fmac_f32_e32 v163, v161, v198
	v_add_f32_e32 v1, v1, v204
	v_mul_f32_e32 v5, v9, v187
	v_fma_f32 v4, v6, v197, -v4
	v_add_f32_e32 v2, v2, v3
	v_mul_f32_e32 v143, v8, v187
	v_fmac_f32_e32 v165, v7, v197
	v_add_f32_e32 v1, v1, v163
	v_fma_f32 v3, v8, v196, -v5
	v_add_f32_e32 v2, v2, v4
	v_fmac_f32_e32 v143, v9, v196
	v_add_f32_e32 v1, v1, v165
	v_add_f32_e32 v2, v2, v3
	;; [unrolled: 1-line block ×3, first 2 shown]
	s_waitcnt vmcnt(1)
	v_sub_f32_e32 v2, v199, v2
	s_waitcnt vmcnt(0)
	v_sub_f32_e32 v1, v200, v1
	buffer_store_dword v2, off, s[0:3], 0 offset:296
	buffer_store_dword v1, off, s[0:3], 0 offset:300
	v_cmpx_lt_u32_e32 36, v0
	s_cbranch_execz .LBB127_325
; %bb.324:
	s_clause 0x1
	buffer_load_dword v1, off, s[0:3], 0 offset:288
	buffer_load_dword v2, off, s[0:3], 0 offset:292
	v_mov_b32_e32 v3, 0
	buffer_store_dword v3, off, s[0:3], 0 offset:288
	buffer_store_dword v3, off, s[0:3], 0 offset:292
	s_waitcnt vmcnt(0)
	ds_write_b64 v141, v[1:2]
.LBB127_325:
	s_or_b32 exec_lo, exec_lo, s4
	s_waitcnt lgkmcnt(0)
	s_waitcnt_vscnt null, 0x0
	s_barrier
	buffer_gl0_inv
	s_clause 0x37
	buffer_load_dword v155, off, s[0:3], 0 offset:300
	buffer_load_dword v159, off, s[0:3], 0 offset:308
	;; [unrolled: 1-line block ×56, first 2 shown]
	v_mov_b32_e32 v1, 0
	ds_read2_b64 v[143:146], v1 offset0:101 offset1:102
	ds_read2_b64 v[147:150], v1 offset0:103 offset1:104
	;; [unrolled: 1-line block ×3, first 2 shown]
	s_mov_b32 s4, exec_lo
	s_waitcnt vmcnt(55) lgkmcnt(2)
	v_mul_f32_e32 v202, v143, v155
	v_mul_f32_e32 v203, v144, v155
	ds_read2_b64 v[155:158], v1 offset0:107 offset1:108
	s_waitcnt vmcnt(54)
	v_mul_f32_e32 v204, v145, v159
	v_mul_f32_e32 v159, v146, v159
	s_waitcnt vmcnt(51)
	v_fmac_f32_e32 v202, v144, v162
	v_fma_f32 v162, v143, v162, -v203
	s_waitcnt vmcnt(50) lgkmcnt(2)
	v_mul_f32_e32 v203, v147, v163
	v_fmac_f32_e32 v204, v146, v161
	v_fma_f32 v159, v145, v161, -v159
	s_waitcnt vmcnt(49)
	v_mul_f32_e32 v205, v149, v164
	v_mul_f32_e32 v161, v148, v163
	;; [unrolled: 1-line block ×3, first 2 shown]
	ds_read2_b64 v[143:146], v1 offset0:109 offset1:110
	v_fmac_f32_e32 v203, v148, v160
	s_waitcnt vmcnt(45)
	v_fmac_f32_e32 v205, v150, v168
	v_fma_f32 v160, v147, v160, -v161
	v_fma_f32 v163, v149, v168, -v163
	s_waitcnt vmcnt(44) lgkmcnt(2)
	v_mul_f32_e32 v168, v151, v169
	v_mul_f32_e32 v161, v152, v169
	ds_read2_b64 v[147:150], v1 offset0:111 offset1:112
	s_waitcnt vmcnt(43)
	v_mul_f32_e32 v169, v153, v170
	v_mul_f32_e32 v164, v154, v170
	v_add_f32_e32 v170, 0, v202
	v_fmac_f32_e32 v168, v152, v167
	v_fma_f32 v167, v151, v167, -v161
	v_add_f32_e32 v151, 0, v162
	s_waitcnt vmcnt(42) lgkmcnt(2)
	v_mul_f32_e32 v202, v155, v171
	v_add_f32_e32 v152, v170, v204
	v_mul_f32_e32 v161, v156, v171
	s_waitcnt vmcnt(41)
	v_mul_f32_e32 v204, v157, v172
	v_add_f32_e32 v151, v151, v159
	v_mul_f32_e32 v170, v158, v172
	s_waitcnt vmcnt(40) lgkmcnt(1)
	v_mul_f32_e32 v206, v143, v173
	v_fma_f32 v171, v153, v166, -v164
	v_fmac_f32_e32 v202, v156, v165
	v_fma_f32 v172, v155, v165, -v161
	v_add_f32_e32 v155, v152, v203
	v_add_f32_e32 v156, v151, v160
	v_mul_f32_e32 v164, v144, v173
	s_waitcnt vmcnt(37)
	v_fmac_f32_e32 v206, v144, v176
	s_waitcnt vmcnt(36)
	v_fmac_f32_e32 v204, v158, v177
	v_add_f32_e32 v144, v155, v205
	v_fma_f32 v173, v157, v177, -v170
	v_fma_f32 v176, v143, v176, -v164
	v_add_f32_e32 v143, v156, v163
	s_waitcnt vmcnt(35)
	v_mul_f32_e32 v177, v145, v178
	v_add_f32_e32 v144, v144, v168
	v_mul_f32_e32 v168, v146, v178
	s_waitcnt vmcnt(34) lgkmcnt(0)
	v_mul_f32_e32 v178, v147, v179
	v_add_f32_e32 v143, v143, v167
	v_mul_f32_e32 v167, v148, v179
	v_fmac_f32_e32 v169, v154, v166
	s_waitcnt vmcnt(33)
	v_mul_f32_e32 v203, v149, v180
	v_mul_f32_e32 v179, v150, v180
	v_fmac_f32_e32 v178, v148, v174
	v_fma_f32 v174, v147, v174, -v167
	v_add_f32_e32 v147, v143, v171
	v_add_f32_e32 v144, v144, v169
	s_waitcnt vmcnt(29)
	v_fmac_f32_e32 v203, v150, v184
	v_fma_f32 v179, v149, v184, -v179
	ds_read2_b64 v[151:154], v1 offset0:113 offset1:114
	ds_read2_b64 v[159:162], v1 offset0:115 offset1:116
	v_add_f32_e32 v184, v147, v172
	v_add_f32_e32 v180, v144, v202
	v_fmac_f32_e32 v177, v146, v175
	v_fma_f32 v175, v145, v175, -v168
	ds_read2_b64 v[155:158], v1 offset0:117 offset1:118
	ds_read2_b64 v[163:166], v1 offset0:119 offset1:120
	v_add_f32_e32 v173, v184, v173
	v_add_f32_e32 v180, v180, v204
	ds_read2_b64 v[143:146], v1 offset0:121 offset1:122
	ds_read2_b64 v[167:170], v1 offset0:123 offset1:124
	;; [unrolled: 1-line block ×3, first 2 shown]
	ds_read_b64 v[171:172], v1 offset:1016
	v_add_f32_e32 v173, v173, v176
	v_add_f32_e32 v180, v180, v206
	;; [unrolled: 1-line block ×4, first 2 shown]
	s_waitcnt vmcnt(28) lgkmcnt(7)
	v_mul_f32_e32 v202, v151, v185
	v_mul_f32_e32 v185, v152, v185
	v_add_f32_e32 v173, v173, v174
	v_add_f32_e32 v174, v177, v178
	s_waitcnt vmcnt(27)
	v_mul_f32_e32 v184, v153, v186
	v_mul_f32_e32 v186, v154, v186
	v_fma_f32 v151, v151, v183, -v185
	v_add_f32_e32 v173, v173, v179
	v_fmac_f32_e32 v202, v152, v183
	v_add_f32_e32 v174, v174, v203
	s_waitcnt vmcnt(26) lgkmcnt(6)
	v_mul_f32_e32 v183, v160, v187
	v_fma_f32 v153, v153, v182, -v186
	v_add_f32_e32 v151, v173, v151
	v_mul_f32_e32 v204, v159, v187
	v_fmac_f32_e32 v184, v154, v182
	v_add_f32_e32 v173, v174, v202
	s_waitcnt vmcnt(25)
	v_mul_f32_e32 v179, v162, v188
	v_fma_f32 v159, v159, v181, -v183
	v_add_f32_e32 v151, v151, v153
	v_mul_f32_e32 v176, v161, v188
	v_fmac_f32_e32 v204, v160, v181
	v_add_f32_e32 v153, v173, v184
	s_waitcnt vmcnt(24) lgkmcnt(5)
	v_mul_f32_e32 v160, v156, v189
	s_waitcnt vmcnt(10)
	v_fma_f32 v161, v161, v195, -v179
	v_add_f32_e32 v151, v151, v159
	v_mul_f32_e32 v152, v155, v189
	v_fmac_f32_e32 v176, v162, v195
	v_add_f32_e32 v153, v153, v204
	v_mul_f32_e32 v159, v158, v190
	v_fma_f32 v155, v155, v194, -v160
	v_add_f32_e32 v151, v151, v161
	v_mul_f32_e32 v180, v157, v190
	v_fmac_f32_e32 v152, v156, v194
	v_add_f32_e32 v153, v153, v176
	s_waitcnt lgkmcnt(4)
	v_mul_f32_e32 v156, v164, v191
	v_fma_f32 v157, v157, v193, -v159
	v_add_f32_e32 v151, v151, v155
	v_mul_f32_e32 v175, v163, v191
	v_fmac_f32_e32 v180, v158, v193
	v_add_f32_e32 v152, v153, v152
	v_mul_f32_e32 v154, v165, v142
	v_mul_f32_e32 v142, v166, v142
	v_fma_f32 v153, v163, v192, -v156
	v_add_f32_e32 v151, v151, v157
	v_fmac_f32_e32 v175, v164, v192
	v_add_f32_e32 v152, v152, v180
	s_waitcnt lgkmcnt(3)
	v_mul_f32_e32 v182, v143, v11
	v_mul_f32_e32 v11, v144, v11
	s_waitcnt vmcnt(6)
	v_fma_f32 v142, v165, v199, -v142
	v_add_f32_e32 v151, v151, v153
	v_fmac_f32_e32 v154, v166, v199
	v_add_f32_e32 v152, v152, v175
	v_mul_f32_e32 v177, v145, v10
	v_mul_f32_e32 v10, v146, v10
	v_fma_f32 v11, v143, v198, -v11
	v_add_f32_e32 v142, v151, v142
	v_fmac_f32_e32 v182, v144, v198
	v_add_f32_e32 v143, v152, v154
	s_waitcnt lgkmcnt(2)
	v_mul_f32_e32 v178, v167, v9
	v_mul_f32_e32 v9, v168, v9
	v_fma_f32 v10, v145, v197, -v10
	v_add_f32_e32 v11, v142, v11
	v_fmac_f32_e32 v177, v146, v197
	v_add_f32_e32 v142, v143, v182
	v_mul_f32_e32 v185, v169, v7
	v_mul_f32_e32 v7, v170, v7
	v_fma_f32 v9, v167, v196, -v9
	v_add_f32_e32 v10, v11, v10
	v_fmac_f32_e32 v178, v168, v196
	v_add_f32_e32 v11, v142, v177
	s_waitcnt lgkmcnt(1)
	v_mul_f32_e32 v186, v147, v6
	v_mul_f32_e32 v6, v148, v6
	s_waitcnt vmcnt(2)
	v_fma_f32 v7, v169, v201, -v7
	v_add_f32_e32 v9, v10, v9
	v_fmac_f32_e32 v185, v170, v201
	v_add_f32_e32 v10, v11, v178
	v_mul_f32_e32 v187, v149, v2
	v_mul_f32_e32 v2, v150, v2
	v_fma_f32 v6, v147, v200, -v6
	v_add_f32_e32 v7, v9, v7
	v_fmac_f32_e32 v186, v148, v200
	v_add_f32_e32 v9, v10, v185
	s_waitcnt lgkmcnt(0)
	v_mul_f32_e32 v174, v171, v3
	v_mul_f32_e32 v3, v172, v3
	v_fma_f32 v2, v149, v12, -v2
	v_add_f32_e32 v6, v7, v6
	v_fmac_f32_e32 v187, v150, v12
	v_add_f32_e32 v7, v9, v186
	v_fma_f32 v3, v171, v8, -v3
	v_fmac_f32_e32 v174, v172, v8
	v_add_f32_e32 v2, v6, v2
	v_add_f32_e32 v6, v7, v187
	;; [unrolled: 1-line block ×4, first 2 shown]
	s_waitcnt vmcnt(1)
	v_sub_f32_e32 v2, v4, v2
	s_waitcnt vmcnt(0)
	v_sub_f32_e32 v3, v5, v3
	buffer_store_dword v2, off, s[0:3], 0 offset:288
	buffer_store_dword v3, off, s[0:3], 0 offset:292
	v_cmpx_lt_u32_e32 35, v0
	s_cbranch_execz .LBB127_327
; %bb.326:
	s_clause 0x1
	buffer_load_dword v2, off, s[0:3], 0 offset:280
	buffer_load_dword v3, off, s[0:3], 0 offset:284
	buffer_store_dword v1, off, s[0:3], 0 offset:280
	buffer_store_dword v1, off, s[0:3], 0 offset:284
	s_waitcnt vmcnt(0)
	ds_write_b64 v141, v[2:3]
.LBB127_327:
	s_or_b32 exec_lo, exec_lo, s4
	s_waitcnt lgkmcnt(0)
	s_waitcnt_vscnt null, 0x0
	s_barrier
	buffer_gl0_inv
	s_clause 0x39
	buffer_load_dword v161, off, s[0:3], 0 offset:292
	buffer_load_dword v162, off, s[0:3], 0 offset:300
	;; [unrolled: 1-line block ×58, first 2 shown]
	ds_read_b128 v[149:152], v1 offset:800
	ds_read_b128 v[153:156], v1 offset:816
	;; [unrolled: 1-line block ×3, first 2 shown]
	s_mov_b32 s4, exec_lo
	s_waitcnt vmcnt(57) lgkmcnt(2)
	v_mul_f32_e32 v201, v149, v161
	v_mul_f32_e32 v161, v150, v161
	s_waitcnt vmcnt(56)
	v_mul_f32_e32 v202, v151, v162
	v_mul_f32_e32 v162, v152, v162
	s_waitcnt vmcnt(53)
	v_fmac_f32_e32 v201, v150, v165
	v_fma_f32 v161, v149, v165, -v161
	v_fmac_f32_e32 v202, v152, v164
	v_fma_f32 v165, v151, v164, -v162
	ds_read_b128 v[149:152], v1 offset:848
	s_waitcnt vmcnt(52) lgkmcnt(2)
	v_mul_f32_e32 v203, v153, v166
	v_mul_f32_e32 v162, v154, v166
	s_waitcnt vmcnt(51)
	v_mul_f32_e32 v166, v155, v167
	v_mul_f32_e32 v164, v156, v167
	s_waitcnt vmcnt(50) lgkmcnt(1)
	v_mul_f32_e32 v204, v157, v168
	v_mul_f32_e32 v167, v158, v168
	s_waitcnt vmcnt(49)
	v_mul_f32_e32 v205, v159, v169
	v_mul_f32_e32 v168, v160, v169
	v_fmac_f32_e32 v203, v154, v163
	v_fma_f32 v169, v153, v163, -v162
	s_waitcnt vmcnt(45)
	v_fmac_f32_e32 v166, v156, v173
	v_fma_f32 v173, v155, v173, -v164
	ds_read_b128 v[153:156], v1 offset:864
	v_fmac_f32_e32 v204, v158, v172
	v_fma_f32 v172, v157, v172, -v167
	v_fmac_f32_e32 v205, v160, v171
	v_fma_f32 v206, v159, v171, -v168
	ds_read_b128 v[157:160], v1 offset:880
	v_add_f32_e32 v167, 0, v161
	s_waitcnt vmcnt(44) lgkmcnt(2)
	v_mul_f32_e32 v207, v149, v174
	v_mul_f32_e32 v162, v150, v174
	s_waitcnt vmcnt(43)
	v_mul_f32_e32 v174, v151, v175
	v_mul_f32_e32 v163, v152, v175
	v_add_f32_e32 v168, 0, v201
	v_add_f32_e32 v165, v167, v165
	v_fmac_f32_e32 v207, v150, v170
	v_fma_f32 v175, v149, v170, -v162
	s_waitcnt vmcnt(39)
	v_fmac_f32_e32 v174, v152, v179
	v_fma_f32 v179, v151, v179, -v163
	ds_read_b128 v[149:152], v1 offset:896
	ds_read_b128 v[161:164], v1 offset:912
	v_add_f32_e32 v168, v168, v202
	v_add_f32_e32 v165, v165, v169
	s_waitcnt vmcnt(38) lgkmcnt(3)
	v_mul_f32_e32 v201, v153, v180
	v_mul_f32_e32 v167, v154, v180
	s_waitcnt vmcnt(37)
	v_mul_f32_e32 v180, v155, v181
	v_mul_f32_e32 v170, v156, v181
	v_add_f32_e32 v168, v168, v203
	s_waitcnt vmcnt(36) lgkmcnt(2)
	v_mul_f32_e32 v181, v157, v182
	v_mul_f32_e32 v169, v158, v182
	v_fmac_f32_e32 v180, v156, v177
	v_fma_f32 v177, v155, v177, -v170
	v_add_f32_e32 v170, v165, v173
	v_add_f32_e32 v171, v168, v166
	s_waitcnt vmcnt(35)
	v_mul_f32_e32 v173, v160, v183
	v_mul_f32_e32 v202, v159, v183
	v_fmac_f32_e32 v181, v158, v176
	v_fma_f32 v182, v157, v176, -v169
	v_add_f32_e32 v176, v170, v172
	s_waitcnt vmcnt(31)
	v_fma_f32 v183, v159, v186, -v173
	v_add_f32_e32 v173, v171, v204
	v_fmac_f32_e32 v202, v160, v186
	s_waitcnt vmcnt(30) lgkmcnt(1)
	v_mul_f32_e32 v186, v149, v187
	v_add_f32_e32 v176, v176, v206
	v_mul_f32_e32 v187, v150, v187
	v_add_f32_e32 v173, v173, v205
	v_fmac_f32_e32 v201, v154, v178
	v_fmac_f32_e32 v186, v150, v185
	v_add_f32_e32 v150, v176, v175
	v_fma_f32 v178, v153, v178, -v167
	v_add_f32_e32 v173, v173, v207
	v_fma_f32 v185, v149, v185, -v187
	ds_read_b128 v[153:156], v1 offset:928
	ds_read_b128 v[165:168], v1 offset:944
	v_add_f32_e32 v179, v150, v179
	s_waitcnt vmcnt(29)
	v_mul_f32_e32 v203, v151, v188
	v_add_f32_e32 v187, v173, v174
	v_mul_f32_e32 v188, v152, v188
	ds_read_b128 v[157:160], v1 offset:960
	ds_read_b128 v[169:172], v1 offset:976
	v_add_f32_e32 v178, v179, v178
	v_fmac_f32_e32 v203, v152, v184
	v_add_f32_e32 v187, v187, v201
	v_fma_f32 v184, v151, v184, -v188
	ds_read_b128 v[149:152], v1 offset:992
	ds_read_b128 v[173:176], v1 offset:1008
	v_add_f32_e32 v177, v178, v177
	s_waitcnt vmcnt(28) lgkmcnt(6)
	v_mul_f32_e32 v1, v161, v189
	v_add_f32_e32 v180, v187, v180
	v_mul_f32_e32 v179, v162, v189
	s_waitcnt vmcnt(27)
	v_mul_f32_e32 v189, v164, v190
	v_add_f32_e32 v177, v177, v182
	v_fmac_f32_e32 v1, v162, v12
	v_add_f32_e32 v180, v180, v181
	v_fma_f32 v12, v161, v12, -v179
	v_mul_f32_e32 v188, v163, v190
	v_add_f32_e32 v177, v177, v183
	s_waitcnt vmcnt(26) lgkmcnt(5)
	v_mul_f32_e32 v178, v153, v147
	v_add_f32_e32 v180, v180, v202
	v_mul_f32_e32 v147, v154, v147
	s_waitcnt vmcnt(11)
	v_fma_f32 v163, v163, v194, -v189
	v_add_f32_e32 v177, v177, v185
	v_fmac_f32_e32 v188, v164, v194
	v_add_f32_e32 v180, v180, v186
	v_mul_f32_e32 v187, v155, v146
	v_mul_f32_e32 v146, v156, v146
	v_add_f32_e32 v162, v177, v184
	v_fma_f32 v147, v153, v193, -v147
	v_add_f32_e32 v177, v180, v203
	v_fmac_f32_e32 v178, v154, v193
	s_waitcnt lgkmcnt(4)
	v_mul_f32_e32 v190, v165, v145
	v_add_f32_e32 v12, v162, v12
	v_mul_f32_e32 v145, v166, v145
	v_add_f32_e32 v1, v177, v1
	v_fma_f32 v146, v155, v192, -v146
	v_fmac_f32_e32 v187, v156, v192
	v_add_f32_e32 v12, v12, v163
	v_mul_f32_e32 v182, v167, v144
	v_add_f32_e32 v1, v1, v188
	v_mul_f32_e32 v144, v168, v144
	v_fma_f32 v145, v165, v191, -v145
	v_add_f32_e32 v12, v12, v147
	v_fmac_f32_e32 v190, v166, v191
	v_add_f32_e32 v1, v1, v178
	s_waitcnt lgkmcnt(3)
	v_mul_f32_e32 v181, v157, v142
	v_mul_f32_e32 v142, v158, v142
	v_add_f32_e32 v12, v12, v146
	s_waitcnt vmcnt(7)
	v_fma_f32 v144, v167, v198, -v144
	v_add_f32_e32 v1, v1, v187
	v_fmac_f32_e32 v182, v168, v198
	v_mul_f32_e32 v201, v159, v11
	v_add_f32_e32 v12, v12, v145
	v_mul_f32_e32 v11, v160, v11
	v_add_f32_e32 v1, v1, v190
	v_fma_f32 v142, v157, v197, -v142
	v_fmac_f32_e32 v181, v158, v197
	v_add_f32_e32 v12, v12, v144
	s_waitcnt lgkmcnt(2)
	v_mul_f32_e32 v183, v169, v10
	v_add_f32_e32 v1, v1, v182
	v_mul_f32_e32 v10, v170, v10
	v_fma_f32 v11, v159, v196, -v11
	v_add_f32_e32 v12, v12, v142
	v_fmac_f32_e32 v201, v160, v196
	v_add_f32_e32 v1, v1, v181
	v_mul_f32_e32 v202, v171, v8
	v_mul_f32_e32 v8, v172, v8
	v_fma_f32 v10, v169, v195, -v10
	v_add_f32_e32 v11, v12, v11
	v_fmac_f32_e32 v183, v170, v195
	v_add_f32_e32 v1, v1, v201
	s_waitcnt lgkmcnt(1)
	v_mul_f32_e32 v204, v149, v7
	v_mul_f32_e32 v7, v150, v7
	s_waitcnt vmcnt(3)
	v_fma_f32 v8, v171, v200, -v8
	v_add_f32_e32 v10, v11, v10
	v_fmac_f32_e32 v202, v172, v200
	v_add_f32_e32 v1, v1, v183
	v_mul_f32_e32 v185, v151, v6
	v_mul_f32_e32 v6, v152, v6
	v_fma_f32 v7, v149, v199, -v7
	v_add_f32_e32 v8, v10, v8
	v_fmac_f32_e32 v204, v150, v199
	v_add_f32_e32 v1, v1, v202
	s_waitcnt lgkmcnt(0)
	v_mul_f32_e32 v186, v173, v5
	v_mul_f32_e32 v5, v174, v5
	v_fma_f32 v6, v151, v148, -v6
	v_add_f32_e32 v7, v8, v7
	v_fmac_f32_e32 v185, v152, v148
	v_add_f32_e32 v1, v1, v204
	v_mul_f32_e32 v161, v175, v2
	v_mul_f32_e32 v2, v176, v2
	v_fma_f32 v5, v173, v143, -v5
	v_add_f32_e32 v6, v7, v6
	v_fmac_f32_e32 v186, v174, v143
	v_add_f32_e32 v1, v1, v185
	s_waitcnt vmcnt(2)
	v_fma_f32 v2, v175, v9, -v2
	v_fmac_f32_e32 v161, v176, v9
	v_add_f32_e32 v5, v6, v5
	v_add_f32_e32 v1, v1, v186
	;; [unrolled: 1-line block ×4, first 2 shown]
	s_waitcnt vmcnt(1)
	v_sub_f32_e32 v2, v3, v2
	s_waitcnt vmcnt(0)
	v_sub_f32_e32 v1, v4, v1
	buffer_store_dword v2, off, s[0:3], 0 offset:280
	buffer_store_dword v1, off, s[0:3], 0 offset:284
	v_cmpx_lt_u32_e32 34, v0
	s_cbranch_execz .LBB127_329
; %bb.328:
	s_clause 0x1
	buffer_load_dword v1, off, s[0:3], 0 offset:272
	buffer_load_dword v2, off, s[0:3], 0 offset:276
	v_mov_b32_e32 v3, 0
	buffer_store_dword v3, off, s[0:3], 0 offset:272
	buffer_store_dword v3, off, s[0:3], 0 offset:276
	s_waitcnt vmcnt(0)
	ds_write_b64 v141, v[1:2]
.LBB127_329:
	s_or_b32 exec_lo, exec_lo, s4
	s_waitcnt lgkmcnt(0)
	s_waitcnt_vscnt null, 0x0
	s_barrier
	buffer_gl0_inv
	s_clause 0x3b
	buffer_load_dword v173, off, s[0:3], 0 offset:284
	buffer_load_dword v174, off, s[0:3], 0 offset:292
	;; [unrolled: 1-line block ×60, first 2 shown]
	v_mov_b32_e32 v1, 0
	ds_read2_b64 v[161:164], v1 offset0:99 offset1:100
	ds_read2_b64 v[165:168], v1 offset0:101 offset1:102
	;; [unrolled: 1-line block ×3, first 2 shown]
	s_mov_b32 s4, exec_lo
	s_waitcnt vmcnt(59) lgkmcnt(2)
	v_mul_f32_e32 v203, v161, v173
	s_waitcnt vmcnt(58)
	v_mul_f32_e32 v204, v163, v174
	v_mul_f32_e32 v173, v162, v173
	;; [unrolled: 1-line block ×3, first 2 shown]
	s_waitcnt vmcnt(55)
	v_fmac_f32_e32 v203, v162, v176
	v_fmac_f32_e32 v204, v164, v175
	v_fma_f32 v173, v161, v176, -v173
	v_fma_f32 v174, v163, v175, -v174
	ds_read2_b64 v[161:164], v1 offset0:105 offset1:106
	s_waitcnt vmcnt(54) lgkmcnt(2)
	v_mul_f32_e32 v205, v165, v157
	v_mul_f32_e32 v157, v166, v157
	s_waitcnt vmcnt(53)
	v_mul_f32_e32 v206, v167, v156
	v_mul_f32_e32 v156, v168, v156
	s_waitcnt vmcnt(47) lgkmcnt(1)
	v_mul_f32_e32 v175, v172, v180
	v_fmac_f32_e32 v205, v166, v152
	v_fma_f32 v152, v165, v152, -v157
	v_fmac_f32_e32 v206, v168, v179
	v_fma_f32 v156, v167, v179, -v156
	ds_read2_b64 v[165:168], v1 offset0:107 offset1:108
	v_mul_f32_e32 v207, v171, v180
	v_mul_f32_e32 v157, v169, v154
	;; [unrolled: 1-line block ×3, first 2 shown]
	v_fma_f32 v208, v171, v177, -v175
	v_fmac_f32_e32 v207, v172, v177
	v_add_f32_e32 v177, 0, v203
	v_fmac_f32_e32 v157, v170, v178
	v_fma_f32 v154, v169, v178, -v154
	s_waitcnt vmcnt(46) lgkmcnt(1)
	v_mul_f32_e32 v209, v161, v181
	v_mul_f32_e32 v175, v162, v181
	ds_read2_b64 v[169:172], v1 offset0:109 offset1:110
	v_add_f32_e32 v177, v177, v204
	s_waitcnt vmcnt(45)
	v_mul_f32_e32 v210, v163, v182
	v_fmac_f32_e32 v209, v162, v159
	v_add_f32_e32 v162, 0, v173
	v_mul_f32_e32 v176, v164, v182
	v_add_f32_e32 v177, v177, v205
	s_waitcnt vmcnt(41)
	v_fmac_f32_e32 v210, v164, v185
	v_fma_f32 v159, v161, v159, -v175
	v_add_f32_e32 v178, v162, v174
	v_fma_f32 v185, v163, v185, -v176
	v_add_f32_e32 v177, v177, v206
	ds_read2_b64 v[161:164], v1 offset0:111 offset1:112
	ds_read2_b64 v[173:176], v1 offset0:113 offset1:114
	s_waitcnt vmcnt(40) lgkmcnt(3)
	v_mul_f32_e32 v203, v165, v186
	v_add_f32_e32 v152, v178, v152
	v_mul_f32_e32 v178, v166, v186
	v_add_f32_e32 v157, v177, v157
	s_waitcnt vmcnt(39)
	v_mul_f32_e32 v179, v168, v187
	v_mul_f32_e32 v204, v167, v187
	v_add_f32_e32 v152, v152, v156
	s_waitcnt vmcnt(37) lgkmcnt(2)
	v_mul_f32_e32 v156, v171, v153
	v_mul_f32_e32 v153, v172, v153
	v_fma_f32 v186, v165, v184, -v178
	v_fmac_f32_e32 v203, v166, v184
	v_add_f32_e32 v152, v152, v154
	v_add_f32_e32 v154, v157, v207
	s_waitcnt vmcnt(33)
	v_fma_f32 v157, v171, v191, -v153
	v_mul_f32_e32 v205, v169, v188
	v_mul_f32_e32 v181, v170, v188
	v_add_f32_e32 v152, v152, v208
	v_add_f32_e32 v153, v154, v209
	v_fma_f32 v206, v167, v183, -v179
	s_waitcnt vmcnt(32) lgkmcnt(1)
	v_mul_f32_e32 v154, v161, v192
	v_mul_f32_e32 v187, v162, v192
	v_add_f32_e32 v152, v152, v159
	v_add_f32_e32 v153, v153, v210
	v_fmac_f32_e32 v204, v168, v183
	v_fmac_f32_e32 v156, v172, v191
	;; [unrolled: 1-line block ×3, first 2 shown]
	v_add_f32_e32 v152, v152, v185
	v_add_f32_e32 v191, v153, v203
	v_fma_f32 v149, v169, v149, -v181
	ds_read2_b64 v[165:168], v1 offset0:115 offset1:116
	ds_read2_b64 v[177:180], v1 offset0:117 offset1:118
	s_waitcnt vmcnt(31)
	v_mul_f32_e32 v159, v163, v193
	v_add_f32_e32 v192, v152, v186
	v_add_f32_e32 v191, v191, v204
	v_mul_f32_e32 v188, v164, v193
	v_fmac_f32_e32 v154, v162, v190
	v_fma_f32 v190, v161, v190, -v187
	v_add_f32_e32 v192, v192, v206
	v_add_f32_e32 v191, v191, v205
	v_fmac_f32_e32 v159, v164, v189
	v_fma_f32 v189, v163, v189, -v188
	s_waitcnt vmcnt(30) lgkmcnt(2)
	v_mul_f32_e32 v193, v173, v147
	v_add_f32_e32 v149, v192, v149
	v_add_f32_e32 v156, v191, v156
	v_mul_f32_e32 v147, v174, v147
	s_waitcnt vmcnt(29)
	v_mul_f32_e32 v203, v175, v148
	v_mul_f32_e32 v148, v176, v148
	v_add_f32_e32 v149, v149, v157
	v_add_f32_e32 v154, v156, v154
	v_fmac_f32_e32 v193, v174, v143
	v_fma_f32 v143, v173, v143, -v147
	s_waitcnt vmcnt(28) lgkmcnt(1)
	v_mul_f32_e32 v204, v165, v144
	v_add_f32_e32 v149, v149, v190
	v_add_f32_e32 v154, v154, v159
	v_mul_f32_e32 v144, v166, v144
	s_waitcnt vmcnt(20)
	v_fma_f32 v148, v175, v197, -v148
	ds_read2_b64 v[169:172], v1 offset0:119 offset1:120
	ds_read2_b64 v[181:184], v1 offset0:121 offset1:122
	v_add_f32_e32 v149, v149, v189
	v_fmac_f32_e32 v203, v176, v197
	v_mul_f32_e32 v192, v167, v10
	v_mul_f32_e32 v10, v168, v10
	v_fma_f32 v144, v165, v196, -v144
	v_add_f32_e32 v143, v149, v143
	v_add_f32_e32 v149, v154, v193
	v_fmac_f32_e32 v204, v166, v196
	s_waitcnt lgkmcnt(2)
	v_mul_f32_e32 v147, v177, v8
	v_mul_f32_e32 v8, v178, v8
	v_add_f32_e32 v143, v143, v148
	v_add_f32_e32 v148, v149, v203
	v_fma_f32 v10, v167, v195, -v10
	v_fmac_f32_e32 v192, v168, v195
	v_mul_f32_e32 v173, v179, v6
	v_add_f32_e32 v143, v143, v144
	v_add_f32_e32 v144, v148, v204
	v_mul_f32_e32 v6, v180, v6
	v_fma_f32 v8, v177, v194, -v8
	v_fmac_f32_e32 v147, v178, v194
	v_add_f32_e32 v10, v143, v10
	v_add_f32_e32 v143, v144, v192
	s_waitcnt lgkmcnt(1)
	v_mul_f32_e32 v157, v169, v5
	v_mul_f32_e32 v5, v170, v5
	s_waitcnt vmcnt(8)
	v_fma_f32 v6, v179, v202, -v6
	v_add_f32_e32 v8, v10, v8
	v_fmac_f32_e32 v173, v180, v202
	v_add_f32_e32 v10, v143, v147
	ds_read2_b64 v[161:164], v1 offset0:123 offset1:124
	ds_read2_b64 v[185:188], v1 offset0:125 offset1:126
	ds_read_b64 v[152:153], v1 offset:1016
	v_mul_f32_e32 v143, v172, v198
	v_fma_f32 v5, v169, v201, -v5
	v_add_f32_e32 v6, v8, v6
	v_mul_f32_e32 v174, v171, v198
	v_fmac_f32_e32 v157, v170, v201
	v_add_f32_e32 v8, v10, v173
	s_waitcnt lgkmcnt(3)
	v_mul_f32_e32 v10, v182, v199
	v_fma_f32 v143, v171, v200, -v143
	v_add_f32_e32 v5, v6, v5
	v_mul_f32_e32 v175, v181, v199
	v_fmac_f32_e32 v174, v172, v200
	v_add_f32_e32 v6, v8, v157
	v_mul_f32_e32 v8, v184, v155
	v_fma_f32 v10, v181, v160, -v10
	v_add_f32_e32 v5, v5, v143
	v_mul_f32_e32 v156, v183, v155
	v_fmac_f32_e32 v175, v182, v160
	v_add_f32_e32 v6, v6, v174
	s_waitcnt lgkmcnt(2)
	v_mul_f32_e32 v143, v162, v150
	s_waitcnt vmcnt(4)
	v_fma_f32 v8, v183, v158, -v8
	v_add_f32_e32 v5, v5, v10
	v_mul_f32_e32 v176, v161, v150
	v_fmac_f32_e32 v156, v184, v158
	v_add_f32_e32 v6, v6, v175
	v_mul_f32_e32 v10, v164, v146
	v_fma_f32 v143, v161, v151, -v143
	v_add_f32_e32 v5, v5, v8
	v_mul_f32_e32 v190, v163, v146
	v_fmac_f32_e32 v176, v162, v151
	v_add_f32_e32 v6, v6, v156
	s_waitcnt lgkmcnt(1)
	v_mul_f32_e32 v8, v186, v142
	v_fma_f32 v10, v163, v145, -v10
	v_add_f32_e32 v5, v5, v143
	v_mul_f32_e32 v159, v185, v142
	v_fmac_f32_e32 v190, v164, v145
	v_add_f32_e32 v6, v6, v176
	v_mul_f32_e32 v189, v187, v9
	v_mul_f32_e32 v9, v188, v9
	v_fma_f32 v8, v185, v12, -v8
	v_add_f32_e32 v5, v5, v10
	v_fmac_f32_e32 v159, v186, v12
	v_add_f32_e32 v6, v6, v190
	s_waitcnt lgkmcnt(0)
	v_mul_f32_e32 v154, v152, v4
	v_mul_f32_e32 v4, v153, v4
	s_waitcnt vmcnt(2)
	v_fma_f32 v9, v187, v11, -v9
	v_add_f32_e32 v5, v5, v8
	v_fmac_f32_e32 v189, v188, v11
	v_add_f32_e32 v6, v6, v159
	v_fma_f32 v4, v152, v7, -v4
	v_fmac_f32_e32 v154, v153, v7
	v_add_f32_e32 v5, v5, v9
	v_add_f32_e32 v6, v6, v189
	;; [unrolled: 1-line block ×4, first 2 shown]
	s_waitcnt vmcnt(1)
	v_sub_f32_e32 v2, v2, v4
	s_waitcnt vmcnt(0)
	v_sub_f32_e32 v3, v3, v5
	buffer_store_dword v2, off, s[0:3], 0 offset:272
	buffer_store_dword v3, off, s[0:3], 0 offset:276
	v_cmpx_lt_u32_e32 33, v0
	s_cbranch_execz .LBB127_331
; %bb.330:
	s_clause 0x1
	buffer_load_dword v2, off, s[0:3], 0 offset:264
	buffer_load_dword v3, off, s[0:3], 0 offset:268
	buffer_store_dword v1, off, s[0:3], 0 offset:264
	buffer_store_dword v1, off, s[0:3], 0 offset:268
	s_waitcnt vmcnt(0)
	ds_write_b64 v141, v[2:3]
.LBB127_331:
	s_or_b32 exec_lo, exec_lo, s4
	s_waitcnt lgkmcnt(0)
	s_waitcnt_vscnt null, 0x0
	s_barrier
	buffer_gl0_inv
	s_clause 0x3d
	buffer_load_dword v171, off, s[0:3], 0 offset:276
	buffer_load_dword v172, off, s[0:3], 0 offset:284
	;; [unrolled: 1-line block ×62, first 2 shown]
	ds_read_b128 v[163:166], v1 offset:784
	ds_read_b128 v[167:170], v1 offset:800
	s_mov_b32 s4, exec_lo
	s_waitcnt vmcnt(61) lgkmcnt(1)
	v_mul_f32_e32 v182, v163, v171
	s_waitcnt vmcnt(60)
	v_mul_f32_e32 v202, v165, v172
	v_mul_f32_e32 v171, v164, v171
	v_mul_f32_e32 v172, v166, v172
	s_waitcnt vmcnt(57)
	v_fmac_f32_e32 v182, v164, v174
	v_fmac_f32_e32 v202, v166, v173
	v_fma_f32 v171, v163, v174, -v171
	v_fma_f32 v203, v165, v173, -v172
	ds_read_b128 v[163:166], v1 offset:816
	s_waitcnt vmcnt(56) lgkmcnt(1)
	v_mul_f32_e32 v204, v167, v175
	v_mul_f32_e32 v172, v168, v175
	s_waitcnt vmcnt(55)
	v_mul_f32_e32 v205, v169, v176
	v_mul_f32_e32 v173, v170, v176
	v_fmac_f32_e32 v204, v168, v160
	v_fma_f32 v160, v167, v160, -v172
	s_waitcnt vmcnt(51)
	v_fmac_f32_e32 v205, v170, v177
	v_fma_f32 v206, v169, v177, -v173
	ds_read_b128 v[167:170], v1 offset:832
	s_waitcnt vmcnt(49) lgkmcnt(1)
	v_mul_f32_e32 v208, v165, v155
	v_mul_f32_e32 v155, v166, v155
	;; [unrolled: 1-line block ×4, first 2 shown]
	v_fmac_f32_e32 v208, v166, v150
	v_fma_f32 v150, v165, v150, -v155
	v_fmac_f32_e32 v207, v164, v151
	v_fma_f32 v151, v163, v151, -v156
	ds_read_b128 v[163:166], v1 offset:848
	s_waitcnt vmcnt(48) lgkmcnt(1)
	v_mul_f32_e32 v209, v167, v11
	v_mul_f32_e32 v11, v168, v11
	s_waitcnt vmcnt(47)
	v_mul_f32_e32 v210, v169, v178
	v_mul_f32_e32 v155, v170, v178
	v_add_f32_e32 v156, 0, v182
	v_fmac_f32_e32 v209, v168, v7
	v_fma_f32 v7, v167, v7, -v11
	s_waitcnt vmcnt(43)
	v_fmac_f32_e32 v210, v170, v179
	v_fma_f32 v11, v169, v179, -v155
	ds_read_b128 v[167:170], v1 offset:864
	v_add_f32_e32 v155, 0, v171
	v_add_f32_e32 v156, v156, v202
	ds_read_b128 v[171:174], v1 offset:880
	ds_read_b128 v[175:178], v1 offset:896
	v_add_f32_e32 v155, v155, v203
	v_add_f32_e32 v156, v156, v204
	s_waitcnt vmcnt(42) lgkmcnt(3)
	v_mul_f32_e32 v203, v163, v162
	v_add_f32_e32 v155, v155, v160
	v_add_f32_e32 v156, v156, v205
	v_mul_f32_e32 v162, v164, v162
	s_waitcnt vmcnt(41)
	v_mul_f32_e32 v202, v165, v154
	v_mul_f32_e32 v154, v166, v154
	v_add_f32_e32 v155, v155, v206
	v_fmac_f32_e32 v203, v164, v157
	v_fma_f32 v160, v163, v157, -v162
	v_fmac_f32_e32 v202, v166, v9
	s_waitcnt vmcnt(40) lgkmcnt(2)
	v_mul_f32_e32 v204, v167, v152
	v_mul_f32_e32 v152, v168, v152
	v_add_f32_e32 v151, v155, v151
	v_add_f32_e32 v155, v156, v207
	s_waitcnt vmcnt(39)
	v_mul_f32_e32 v205, v169, v158
	v_fmac_f32_e32 v204, v168, v8
	v_fma_f32 v152, v167, v8, -v152
	v_add_f32_e32 v8, v151, v150
	v_add_f32_e32 v150, v155, v208
	v_mul_f32_e32 v158, v170, v158
	s_waitcnt vmcnt(38) lgkmcnt(1)
	v_mul_f32_e32 v206, v171, v146
	v_mul_f32_e32 v146, v172, v146
	v_add_f32_e32 v7, v8, v7
	v_add_f32_e32 v8, v150, v209
	v_fma_f32 v9, v165, v9, -v154
	s_waitcnt vmcnt(32) lgkmcnt(0)
	v_mul_f32_e32 v150, v175, v144
	v_mul_f32_e32 v144, v176, v144
	v_add_f32_e32 v7, v7, v11
	v_add_f32_e32 v8, v8, v210
	v_mul_f32_e32 v11, v173, v147
	v_fmac_f32_e32 v205, v170, v181
	v_fma_f32 v151, v169, v181, -v158
	v_add_f32_e32 v7, v7, v160
	v_fma_f32 v158, v171, v180, -v146
	s_waitcnt vmcnt(31)
	v_mul_f32_e32 v170, v178, v145
	v_add_f32_e32 v171, v8, v203
	v_mul_f32_e32 v146, v174, v147
	v_fmac_f32_e32 v11, v174, v12
	v_fma_f32 v174, v175, v10, -v144
	v_add_f32_e32 v175, v7, v9
	v_mul_f32_e32 v160, v177, v145
	v_fmac_f32_e32 v150, v176, v10
	s_waitcnt vmcnt(27)
	v_fma_f32 v176, v177, v186, -v170
	v_add_f32_e32 v177, v171, v202
	v_add_f32_e32 v152, v175, v152
	ds_read_b128 v[154:157], v1 offset:912
	ds_read_b128 v[162:165], v1 offset:928
	v_fmac_f32_e32 v206, v172, v180
	v_fma_f32 v12, v173, v12, -v146
	v_add_f32_e32 v177, v177, v204
	v_add_f32_e32 v151, v152, v151
	ds_read_b128 v[166:169], v1 offset:944
	ds_read_b128 v[179:182], v1 offset:960
	;; [unrolled: 1-line block ×4, first 2 shown]
	v_fmac_f32_e32 v160, v178, v186
	v_add_f32_e32 v177, v177, v205
	v_add_f32_e32 v151, v151, v158
	ds_read_b128 v[170:173], v1 offset:1008
	v_add_f32_e32 v177, v177, v206
	v_add_f32_e32 v12, v151, v12
	;; [unrolled: 1-line block ×3, first 2 shown]
	s_waitcnt vmcnt(26) lgkmcnt(6)
	v_mul_f32_e32 v175, v155, v187
	v_add_f32_e32 v12, v12, v174
	v_mul_f32_e32 v1, v154, v187
	s_waitcnt vmcnt(25)
	v_mul_f32_e32 v186, v157, v188
	v_add_f32_e32 v11, v11, v150
	v_fma_f32 v154, v154, v185, -v175
	v_add_f32_e32 v12, v12, v176
	v_mul_f32_e32 v178, v156, v188
	v_fmac_f32_e32 v1, v155, v185
	v_add_f32_e32 v11, v11, v160
	s_waitcnt vmcnt(24) lgkmcnt(5)
	v_mul_f32_e32 v160, v163, v189
	v_fma_f32 v156, v156, v184, -v186
	v_add_f32_e32 v12, v12, v154
	v_mul_f32_e32 v152, v162, v189
	v_fmac_f32_e32 v178, v157, v184
	v_add_f32_e32 v1, v11, v1
	s_waitcnt vmcnt(23)
	v_mul_f32_e32 v11, v165, v190
	v_fma_f32 v154, v162, v183, -v160
	v_add_f32_e32 v12, v12, v156
	v_mul_f32_e32 v187, v164, v190
	v_fmac_f32_e32 v152, v163, v183
	v_add_f32_e32 v1, v1, v178
	s_waitcnt vmcnt(22) lgkmcnt(4)
	v_mul_f32_e32 v156, v167, v191
	s_waitcnt vmcnt(9)
	v_fma_f32 v11, v164, v196, -v11
	v_add_f32_e32 v12, v12, v154
	v_mul_f32_e32 v188, v166, v191
	v_fmac_f32_e32 v187, v165, v196
	v_add_f32_e32 v1, v1, v152
	v_mul_f32_e32 v152, v169, v192
	v_fma_f32 v154, v166, v195, -v156
	v_add_f32_e32 v11, v12, v11
	v_mul_f32_e32 v158, v168, v192
	v_fmac_f32_e32 v188, v167, v195
	v_add_f32_e32 v1, v1, v187
	s_waitcnt lgkmcnt(3)
	v_mul_f32_e32 v12, v180, v193
	v_fma_f32 v152, v168, v194, -v152
	v_add_f32_e32 v11, v11, v154
	v_mul_f32_e32 v202, v179, v193
	v_fmac_f32_e32 v158, v169, v194
	v_add_f32_e32 v1, v1, v188
	v_mul_f32_e32 v203, v181, v153
	v_mul_f32_e32 v153, v182, v153
	v_fma_f32 v12, v179, v161, -v12
	v_add_f32_e32 v11, v11, v152
	v_fmac_f32_e32 v202, v180, v161
	v_add_f32_e32 v1, v1, v158
	s_waitcnt lgkmcnt(2)
	v_mul_f32_e32 v151, v7, v148
	v_mul_f32_e32 v148, v8, v148
	s_waitcnt vmcnt(5)
	v_fma_f32 v152, v181, v159, -v153
	v_add_f32_e32 v11, v11, v12
	v_fmac_f32_e32 v203, v182, v159
	v_add_f32_e32 v1, v1, v202
	v_mul_f32_e32 v12, v10, v142
	v_fmac_f32_e32 v151, v8, v149
	v_fma_f32 v7, v7, v149, -v148
	v_add_f32_e32 v8, v11, v152
	v_mul_f32_e32 v177, v9, v142
	v_add_f32_e32 v1, v1, v203
	s_waitcnt lgkmcnt(1)
	v_mul_f32_e32 v204, v144, v6
	v_mul_f32_e32 v6, v145, v6
	v_fma_f32 v9, v9, v143, -v12
	v_add_f32_e32 v7, v8, v7
	v_fmac_f32_e32 v177, v10, v143
	v_add_f32_e32 v1, v1, v151
	v_mul_f32_e32 v174, v146, v4
	v_mul_f32_e32 v4, v147, v4
	v_fmac_f32_e32 v204, v145, v5
	v_fma_f32 v5, v144, v5, -v6
	v_add_f32_e32 v6, v7, v9
	v_add_f32_e32 v1, v1, v177
	s_waitcnt lgkmcnt(0)
	v_mul_f32_e32 v150, v170, v3
	v_mul_f32_e32 v3, v171, v3
	s_waitcnt vmcnt(2)
	v_fma_f32 v4, v146, v199, -v4
	v_add_f32_e32 v5, v6, v5
	v_fmac_f32_e32 v174, v147, v199
	v_add_f32_e32 v1, v1, v204
	v_mul_f32_e32 v155, v172, v2
	v_mul_f32_e32 v2, v173, v2
	v_fma_f32 v3, v170, v198, -v3
	v_add_f32_e32 v4, v5, v4
	v_fmac_f32_e32 v150, v171, v198
	v_add_f32_e32 v1, v1, v174
	v_fma_f32 v2, v172, v197, -v2
	v_fmac_f32_e32 v155, v173, v197
	v_add_f32_e32 v3, v4, v3
	v_add_f32_e32 v1, v1, v150
	;; [unrolled: 1-line block ×4, first 2 shown]
	s_waitcnt vmcnt(1)
	v_sub_f32_e32 v2, v200, v2
	s_waitcnt vmcnt(0)
	v_sub_f32_e32 v1, v201, v1
	buffer_store_dword v2, off, s[0:3], 0 offset:264
	buffer_store_dword v1, off, s[0:3], 0 offset:268
	v_cmpx_lt_u32_e32 32, v0
	s_cbranch_execz .LBB127_333
; %bb.332:
	s_clause 0x1
	buffer_load_dword v1, off, s[0:3], 0 offset:256
	buffer_load_dword v2, off, s[0:3], 0 offset:260
	v_mov_b32_e32 v3, 0
	buffer_store_dword v3, off, s[0:3], 0 offset:256
	buffer_store_dword v3, off, s[0:3], 0 offset:260
	s_waitcnt vmcnt(0)
	ds_write_b64 v141, v[1:2]
.LBB127_333:
	s_or_b32 exec_lo, exec_lo, s4
	s_waitcnt lgkmcnt(0)
	s_waitcnt_vscnt null, 0x0
	s_barrier
	buffer_gl0_inv
	s_clause 0x3e
	buffer_load_dword v10, off, s[0:3], 0 offset:268
	buffer_load_dword v11, off, s[0:3], 0 offset:276
	;; [unrolled: 1-line block ×64, first 2 shown]
	v_mov_b32_e32 v1, 0
	ds_read2_b64 v[2:5], v1 offset0:97 offset1:98
	ds_read2_b64 v[6:9], v1 offset0:99 offset1:100
	s_mov_b32 s4, exec_lo
	s_waitcnt vmcnt(62) lgkmcnt(1)
	v_mul_f32_e32 v203, v3, v10
	v_mul_f32_e32 v10, v2, v10
	v_mul_f32_e32 v204, v4, v11
	v_mul_f32_e32 v11, v5, v11
	s_waitcnt vmcnt(59)
	v_fma_f32 v203, v2, v143, -v203
	v_fmac_f32_e32 v10, v3, v143
	v_fmac_f32_e32 v204, v5, v142
	v_fma_f32 v11, v4, v142, -v11
	ds_read2_b64 v[2:5], v1 offset0:101 offset1:102
	s_waitcnt vmcnt(58) lgkmcnt(1)
	v_mul_f32_e32 v205, v6, v144
	v_mul_f32_e32 v142, v7, v144
	s_waitcnt vmcnt(57)
	v_mul_f32_e32 v206, v8, v145
	v_mul_f32_e32 v143, v9, v145
	v_add_f32_e32 v10, 0, v10
	v_fmac_f32_e32 v205, v7, v12
	v_fma_f32 v12, v6, v12, -v142
	s_waitcnt vmcnt(53)
	v_fmac_f32_e32 v206, v9, v149
	v_fma_f32 v149, v8, v149, -v143
	ds_read2_b64 v[6:9], v1 offset0:103 offset1:104
	v_add_f32_e32 v10, v10, v204
	v_add_f32_e32 v10, v10, v205
	s_waitcnt vmcnt(52) lgkmcnt(1)
	v_mul_f32_e32 v207, v2, v150
	v_mul_f32_e32 v142, v3, v150
	s_waitcnt vmcnt(51)
	v_mul_f32_e32 v150, v4, v151
	v_mul_f32_e32 v143, v5, v151
	v_fmac_f32_e32 v207, v3, v148
	v_fma_f32 v151, v2, v148, -v142
	v_fmac_f32_e32 v150, v5, v147
	v_fma_f32 v208, v4, v147, -v143
	ds_read2_b64 v[2:5], v1 offset0:105 offset1:106
	s_waitcnt vmcnt(50) lgkmcnt(1)
	v_mul_f32_e32 v142, v7, v152
	v_mul_f32_e32 v209, v6, v152
	s_waitcnt vmcnt(49)
	v_mul_f32_e32 v210, v8, v153
	v_mul_f32_e32 v143, v9, v153
	v_fma_f32 v152, v6, v146, -v142
	v_add_f32_e32 v142, 0, v203
	v_fmac_f32_e32 v209, v7, v146
	s_waitcnt vmcnt(45)
	v_fmac_f32_e32 v210, v9, v157
	v_fma_f32 v157, v8, v157, -v143
	ds_read2_b64 v[6:9], v1 offset0:107 offset1:108
	v_add_f32_e32 v11, v142, v11
	ds_read2_b64 v[142:145], v1 offset0:109 offset1:110
	v_add_f32_e32 v11, v11, v12
	s_waitcnt vmcnt(44) lgkmcnt(2)
	v_mul_f32_e32 v146, v3, v158
	v_mul_f32_e32 v12, v2, v158
	v_add_f32_e32 v11, v11, v149
	v_fma_f32 v158, v2, v156, -v146
	v_add_f32_e32 v2, v10, v206
	v_fmac_f32_e32 v12, v3, v156
	v_add_f32_e32 v3, v11, v151
	ds_read2_b64 v[146:149], v1 offset0:111 offset1:112
	s_waitcnt vmcnt(43)
	v_mul_f32_e32 v10, v4, v159
	v_add_f32_e32 v2, v2, v207
	s_waitcnt vmcnt(42) lgkmcnt(2)
	v_mul_f32_e32 v151, v7, v160
	v_add_f32_e32 v3, v3, v208
	v_mul_f32_e32 v203, v6, v160
	v_mul_f32_e32 v11, v5, v159
	v_add_f32_e32 v2, v2, v150
	s_waitcnt vmcnt(40) lgkmcnt(1)
	v_mul_f32_e32 v205, v142, v162
	v_fma_f32 v159, v6, v154, -v151
	v_add_f32_e32 v6, v3, v152
	v_fmac_f32_e32 v203, v7, v154
	v_add_f32_e32 v7, v2, v209
	v_mul_f32_e32 v154, v143, v162
	s_waitcnt vmcnt(37)
	v_fmac_f32_e32 v205, v143, v165
	v_add_f32_e32 v143, v6, v157
	v_fma_f32 v11, v4, v155, -v11
	v_fmac_f32_e32 v10, v5, v155
	v_fma_f32 v165, v142, v165, -v154
	v_add_f32_e32 v142, v7, v210
	v_add_f32_e32 v143, v143, v158
	v_mul_f32_e32 v156, v9, v161
	v_mul_f32_e32 v204, v8, v161
	ds_read2_b64 v[2:5], v1 offset0:113 offset1:114
	ds_read2_b64 v[150:153], v1 offset0:115 offset1:116
	v_add_f32_e32 v12, v142, v12
	v_add_f32_e32 v11, v143, v11
	s_waitcnt vmcnt(36)
	v_fma_f32 v162, v8, v166, -v156
	v_fmac_f32_e32 v204, v9, v166
	s_waitcnt vmcnt(35)
	v_mul_f32_e32 v166, v144, v167
	v_add_f32_e32 v10, v12, v10
	v_add_f32_e32 v12, v11, v159
	v_mul_f32_e32 v158, v145, v167
	s_waitcnt vmcnt(34) lgkmcnt(2)
	v_mul_f32_e32 v167, v146, v168
	s_waitcnt vmcnt(33)
	v_mul_f32_e32 v206, v148, v169
	v_mul_f32_e32 v142, v147, v168
	;; [unrolled: 1-line block ×3, first 2 shown]
	v_add_f32_e32 v169, v10, v203
	v_add_f32_e32 v12, v12, v162
	v_fmac_f32_e32 v166, v145, v164
	v_fma_f32 v164, v144, v164, -v158
	v_fmac_f32_e32 v167, v147, v163
	v_add_f32_e32 v169, v169, v204
	v_add_f32_e32 v12, v12, v165
	v_fma_f32 v163, v146, v163, -v142
	s_waitcnt vmcnt(29)
	v_fma_f32 v168, v148, v173, -v168
	s_waitcnt vmcnt(28) lgkmcnt(1)
	v_mul_f32_e32 v162, v2, v174
	v_add_f32_e32 v169, v169, v205
	v_add_f32_e32 v12, v12, v164
	v_mul_f32_e32 v174, v3, v174
	ds_read2_b64 v[6:9], v1 offset0:117 offset1:118
	ds_read2_b64 v[154:157], v1 offset0:119 offset1:120
	v_fmac_f32_e32 v206, v149, v173
	v_add_f32_e32 v166, v169, v166
	v_add_f32_e32 v12, v12, v163
	s_waitcnt vmcnt(27)
	v_mul_f32_e32 v173, v4, v175
	v_mul_f32_e32 v175, v5, v175
	v_fma_f32 v2, v2, v172, -v174
	v_add_f32_e32 v163, v166, v167
	v_add_f32_e32 v12, v12, v168
	v_fmac_f32_e32 v162, v3, v172
	s_waitcnt vmcnt(26) lgkmcnt(2)
	v_mul_f32_e32 v172, v151, v176
	v_fma_f32 v4, v4, v171, -v175
	v_add_f32_e32 v163, v163, v206
	v_add_f32_e32 v2, v12, v2
	v_mul_f32_e32 v165, v150, v176
	v_fmac_f32_e32 v173, v5, v171
	s_waitcnt vmcnt(25)
	v_mul_f32_e32 v168, v153, v177
	v_add_f32_e32 v12, v163, v162
	v_fma_f32 v150, v150, v170, -v172
	v_add_f32_e32 v2, v2, v4
	v_mul_f32_e32 v203, v152, v177
	v_fmac_f32_e32 v165, v151, v170
	v_add_f32_e32 v4, v12, v173
	s_waitcnt vmcnt(24) lgkmcnt(1)
	v_mul_f32_e32 v12, v7, v178
	s_waitcnt vmcnt(10)
	v_fma_f32 v151, v152, v192, -v168
	v_add_f32_e32 v2, v2, v150
	ds_read2_b64 v[142:145], v1 offset0:121 offset1:122
	ds_read2_b64 v[158:161], v1 offset0:123 offset1:124
	v_mul_f32_e32 v3, v6, v178
	v_fmac_f32_e32 v203, v153, v192
	v_add_f32_e32 v4, v4, v165
	v_mul_f32_e32 v150, v9, v179
	v_fma_f32 v6, v6, v191, -v12
	v_add_f32_e32 v2, v2, v151
	v_mul_f32_e32 v164, v8, v179
	v_fmac_f32_e32 v3, v7, v191
	v_add_f32_e32 v4, v4, v203
	s_waitcnt lgkmcnt(2)
	v_mul_f32_e32 v7, v155, v180
	v_fma_f32 v8, v8, v190, -v150
	v_add_f32_e32 v2, v2, v6
	v_mul_f32_e32 v169, v154, v180
	v_fmac_f32_e32 v164, v9, v190
	v_add_f32_e32 v3, v4, v3
	v_mul_f32_e32 v4, v157, v181
	v_fma_f32 v6, v154, v189, -v7
	v_add_f32_e32 v2, v2, v8
	v_mul_f32_e32 v5, v156, v181
	v_fmac_f32_e32 v169, v155, v189
	v_add_f32_e32 v3, v3, v164
	s_waitcnt lgkmcnt(1)
	v_mul_f32_e32 v7, v143, v182
	s_waitcnt vmcnt(6)
	v_fma_f32 v4, v156, v196, -v4
	v_add_f32_e32 v2, v2, v6
	ds_read2_b64 v[146:149], v1 offset0:125 offset1:126
	ds_read_b64 v[10:11], v1 offset:1016
	v_mul_f32_e32 v171, v142, v182
	v_fmac_f32_e32 v5, v157, v196
	v_add_f32_e32 v3, v3, v169
	v_mul_f32_e32 v6, v145, v183
	v_fma_f32 v7, v142, v195, -v7
	v_add_f32_e32 v2, v2, v4
	v_mul_f32_e32 v166, v144, v183
	v_fmac_f32_e32 v171, v143, v195
	v_add_f32_e32 v3, v3, v5
	s_waitcnt lgkmcnt(2)
	v_mul_f32_e32 v4, v159, v184
	v_fma_f32 v5, v144, v194, -v6
	v_add_f32_e32 v2, v2, v7
	v_mul_f32_e32 v167, v158, v184
	v_fmac_f32_e32 v166, v145, v194
	v_add_f32_e32 v3, v3, v171
	v_mul_f32_e32 v6, v161, v185
	v_fma_f32 v4, v158, v193, -v4
	v_add_f32_e32 v2, v2, v5
	v_mul_f32_e32 v174, v160, v185
	v_fmac_f32_e32 v167, v159, v193
	v_add_f32_e32 v3, v3, v166
	s_waitcnt lgkmcnt(1)
	v_mul_f32_e32 v5, v147, v186
	s_waitcnt vmcnt(2)
	v_fma_f32 v6, v160, v200, -v6
	v_add_f32_e32 v2, v2, v4
	v_mul_f32_e32 v175, v146, v186
	v_fmac_f32_e32 v174, v161, v200
	v_add_f32_e32 v3, v3, v167
	v_mul_f32_e32 v4, v149, v187
	v_fma_f32 v5, v146, v199, -v5
	v_add_f32_e32 v2, v2, v6
	v_mul_f32_e32 v176, v148, v187
	v_fmac_f32_e32 v175, v147, v199
	v_add_f32_e32 v3, v3, v174
	s_waitcnt lgkmcnt(0)
	v_mul_f32_e32 v6, v11, v188
	v_fma_f32 v4, v148, v198, -v4
	v_add_f32_e32 v2, v2, v5
	v_mul_f32_e32 v162, v10, v188
	v_fmac_f32_e32 v176, v149, v198
	v_add_f32_e32 v3, v3, v175
	v_fma_f32 v5, v10, v197, -v6
	v_add_f32_e32 v2, v2, v4
	v_fmac_f32_e32 v162, v11, v197
	v_add_f32_e32 v3, v3, v176
	v_add_f32_e32 v2, v2, v5
	;; [unrolled: 1-line block ×3, first 2 shown]
	s_waitcnt vmcnt(1)
	v_sub_f32_e32 v2, v201, v2
	s_waitcnt vmcnt(0)
	v_sub_f32_e32 v3, v202, v3
	buffer_store_dword v2, off, s[0:3], 0 offset:256
	buffer_store_dword v3, off, s[0:3], 0 offset:260
	v_cmpx_lt_u32_e32 31, v0
	s_cbranch_execz .LBB127_335
; %bb.334:
	s_clause 0x1
	buffer_load_dword v2, off, s[0:3], 0 offset:248
	buffer_load_dword v3, off, s[0:3], 0 offset:252
	buffer_store_dword v1, off, s[0:3], 0 offset:248
	buffer_store_dword v1, off, s[0:3], 0 offset:252
	s_waitcnt vmcnt(0)
	ds_write_b64 v141, v[2:3]
.LBB127_335:
	s_or_b32 exec_lo, exec_lo, s4
	s_waitcnt lgkmcnt(0)
	s_waitcnt_vscnt null, 0x0
	s_barrier
	buffer_gl0_inv
	s_clause 0x31
	buffer_load_dword v10, off, s[0:3], 0 offset:260
	buffer_load_dword v11, off, s[0:3], 0 offset:268
	;; [unrolled: 1-line block ×50, first 2 shown]
	ds_read_b128 v[2:5], v1 offset:768
	s_clause 0x4
	buffer_load_dword v193, off, s[0:3], 0 offset:508
	buffer_load_dword v194, off, s[0:3], 0 offset:432
	;; [unrolled: 1-line block ×5, first 2 shown]
	ds_read_b128 v[6:9], v1 offset:784
	ds_read_b128 v[142:145], v1 offset:800
	s_clause 0x4
	buffer_load_dword v198, off, s[0:3], 0 offset:464
	buffer_load_dword v199, off, s[0:3], 0 offset:456
	;; [unrolled: 1-line block ×5, first 2 shown]
	s_mov_b32 s4, exec_lo
	s_waitcnt vmcnt(59) lgkmcnt(2)
	v_mul_f32_e32 v202, v3, v10
	v_mul_f32_e32 v10, v2, v10
	s_waitcnt vmcnt(58)
	v_mul_f32_e32 v204, v4, v11
	v_mul_f32_e32 v11, v5, v11
	s_waitcnt vmcnt(55)
	v_fma_f32 v202, v2, v147, -v202
	v_fmac_f32_e32 v10, v3, v147
	s_waitcnt vmcnt(54) lgkmcnt(1)
	v_mul_f32_e32 v147, v6, v148
	v_mul_f32_e32 v148, v7, v148
	v_fmac_f32_e32 v204, v5, v146
	v_fma_f32 v11, v4, v146, -v11
	ds_read_b128 v[2:5], v1 offset:816
	s_clause 0x3
	buffer_load_dword v205, off, s[0:3], 0 offset:496
	buffer_load_dword v206, off, s[0:3], 0 offset:488
	;; [unrolled: 1-line block ×4, first 2 shown]
	s_waitcnt vmcnt(57)
	v_mul_f32_e32 v146, v8, v149
	v_mul_f32_e32 v149, v9, v149
	v_fmac_f32_e32 v147, v7, v12
	v_fma_f32 v12, v6, v12, -v148
	s_waitcnt vmcnt(56) lgkmcnt(1)
	v_mul_f32_e32 v148, v142, v150
	v_mul_f32_e32 v6, v143, v150
	s_waitcnt vmcnt(51)
	v_mul_f32_e32 v150, v144, v155
	v_mul_f32_e32 v7, v145, v155
	v_fmac_f32_e32 v146, v9, v154
	v_fma_f32 v149, v8, v154, -v149
	v_fmac_f32_e32 v148, v143, v153
	v_fma_f32 v153, v142, v153, -v6
	;; [unrolled: 2-line block ×3, first 2 shown]
	ds_read_b128 v[6:9], v1 offset:832
	buffer_load_dword v209, off, s[0:3], 0 offset:504
	s_waitcnt vmcnt(51) lgkmcnt(1)
	v_mul_f32_e32 v154, v2, v156
	v_mul_f32_e32 v142, v3, v156
	s_waitcnt vmcnt(50)
	v_mul_f32_e32 v155, v4, v157
	v_mul_f32_e32 v143, v5, v157
	v_fmac_f32_e32 v154, v3, v151
	v_fma_f32 v151, v2, v151, -v142
	s_waitcnt vmcnt(46)
	v_fmac_f32_e32 v155, v5, v161
	v_fma_f32 v156, v4, v161, -v143
	ds_read_b128 v[2:5], v1 offset:848
	s_waitcnt vmcnt(45) lgkmcnt(1)
	v_mul_f32_e32 v157, v6, v162
	v_mul_f32_e32 v142, v7, v162
	buffer_load_dword v162, off, s[0:3], 0 offset:248
	v_fmac_f32_e32 v157, v7, v160
	v_fma_f32 v160, v6, v160, -v142
	v_add_f32_e32 v6, 0, v202
	v_add_f32_e32 v7, 0, v10
	s_waitcnt vmcnt(45)
	v_mul_f32_e32 v10, v9, v163
	v_add_f32_e32 v6, v6, v11
	v_add_f32_e32 v142, v7, v204
	v_mul_f32_e32 v11, v8, v163
	v_fma_f32 v10, v8, v159, -v10
	s_waitcnt vmcnt(43) lgkmcnt(0)
	v_mul_f32_e32 v161, v4, v165
	v_add_f32_e32 v12, v6, v12
	v_add_f32_e32 v147, v142, v147
	v_fmac_f32_e32 v11, v9, v159
	v_mul_f32_e32 v159, v2, v164
	ds_read_b128 v[6:9], v1 offset:864
	ds_read_b128 v[142:145], v1 offset:880
	v_add_f32_e32 v12, v12, v149
	v_add_f32_e32 v146, v147, v146
	v_mul_f32_e32 v149, v3, v164
	v_mul_f32_e32 v147, v5, v165
	v_fmac_f32_e32 v159, v3, v158
	v_add_f32_e32 v12, v12, v153
	v_add_f32_e32 v153, v146, v148
	v_fma_f32 v158, v2, v158, -v149
	s_waitcnt vmcnt(39)
	v_fmac_f32_e32 v161, v5, v169
	v_fma_f32 v163, v4, v169, -v147
	v_add_f32_e32 v12, v12, v152
	ds_read_b128 v[2:5], v1 offset:896
	ds_read_b128 v[146:149], v1 offset:912
	v_add_f32_e32 v150, v153, v150
	v_add_f32_e32 v12, v12, v151
	;; [unrolled: 1-line block ×3, first 2 shown]
	s_waitcnt vmcnt(38) lgkmcnt(3)
	v_mul_f32_e32 v164, v6, v170
	v_mul_f32_e32 v152, v7, v170
	v_add_f32_e32 v12, v12, v156
	s_waitcnt vmcnt(37)
	v_mul_f32_e32 v165, v8, v171
	v_add_f32_e32 v154, v150, v155
	v_mul_f32_e32 v153, v9, v171
	v_fmac_f32_e32 v164, v7, v168
	v_add_f32_e32 v12, v12, v160
	v_fma_f32 v168, v6, v168, -v152
	v_add_f32_e32 v160, v154, v157
	s_waitcnt vmcnt(36) lgkmcnt(2)
	v_mul_f32_e32 v169, v142, v172
	v_mul_f32_e32 v170, v143, v172
	v_add_f32_e32 v10, v12, v10
	s_waitcnt vmcnt(30) lgkmcnt(1)
	v_mul_f32_e32 v12, v2, v178
	v_add_f32_e32 v11, v160, v11
	v_mul_f32_e32 v160, v3, v178
	v_fmac_f32_e32 v165, v9, v167
	v_fma_f32 v167, v8, v167, -v153
	v_fmac_f32_e32 v12, v3, v176
	v_add_f32_e32 v3, v10, v158
	v_add_f32_e32 v10, v11, v159
	v_mul_f32_e32 v155, v145, v173
	v_fmac_f32_e32 v169, v143, v166
	v_fma_f32 v166, v142, v166, -v170
	v_add_f32_e32 v163, v3, v163
	v_add_f32_e32 v10, v10, v161
	v_mul_f32_e32 v171, v144, v173
	v_fma_f32 v170, v144, v177, -v155
	ds_read_b128 v[6:9], v1 offset:928
	ds_read_b128 v[150:153], v1 offset:944
	v_add_f32_e32 v163, v163, v168
	v_add_f32_e32 v10, v10, v164
	v_fmac_f32_e32 v171, v145, v177
	s_waitcnt vmcnt(29)
	v_mul_f32_e32 v173, v5, v179
	v_fma_f32 v11, v2, v176, -v160
	v_add_f32_e32 v163, v163, v167
	v_add_f32_e32 v10, v10, v165
	v_mul_f32_e32 v172, v4, v179
	v_fma_f32 v173, v4, v175, -v173
	s_waitcnt vmcnt(28) lgkmcnt(2)
	v_mul_f32_e32 v168, v147, v180
	v_add_f32_e32 v163, v163, v166
	v_add_f32_e32 v10, v10, v169
	ds_read_b128 v[142:145], v1 offset:960
	ds_read_b128 v[154:157], v1 offset:976
	v_fmac_f32_e32 v172, v5, v175
	ds_read_b128 v[2:5], v1 offset:992
	ds_read_b128 v[158:161], v1 offset:1008
	v_add_f32_e32 v163, v163, v170
	v_add_f32_e32 v10, v10, v171
	v_mul_f32_e32 v1, v146, v180
	s_waitcnt vmcnt(27)
	v_mul_f32_e32 v175, v149, v181
	v_fma_f32 v146, v146, v174, -v168
	v_add_f32_e32 v11, v163, v11
	v_add_f32_e32 v10, v10, v12
	v_mul_f32_e32 v164, v148, v181
	v_fmac_f32_e32 v1, v147, v174
	s_waitcnt vmcnt(26) lgkmcnt(5)
	v_mul_f32_e32 v167, v6, v182
	v_add_f32_e32 v11, v11, v173
	v_add_f32_e32 v10, v10, v172
	v_mul_f32_e32 v168, v7, v182
	s_waitcnt vmcnt(11)
	v_fma_f32 v148, v148, v197, -v175
	v_fmac_f32_e32 v164, v149, v197
	v_add_f32_e32 v11, v11, v146
	v_add_f32_e32 v1, v10, v1
	v_mul_f32_e32 v10, v9, v183
	v_fmac_f32_e32 v167, v7, v196
	v_fma_f32 v6, v6, v196, -v168
	v_add_f32_e32 v7, v11, v148
	v_mul_f32_e32 v165, v8, v183
	v_add_f32_e32 v1, v1, v164
	s_waitcnt lgkmcnt(4)
	v_mul_f32_e32 v11, v151, v184
	v_fma_f32 v8, v8, v195, -v10
	v_add_f32_e32 v6, v7, v6
	v_mul_f32_e32 v176, v150, v184
	v_fmac_f32_e32 v165, v9, v195
	v_add_f32_e32 v1, v1, v167
	v_mul_f32_e32 v7, v153, v185
	v_fma_f32 v9, v150, v194, -v11
	v_add_f32_e32 v6, v6, v8
	v_mul_f32_e32 v166, v152, v185
	v_fmac_f32_e32 v176, v151, v194
	v_add_f32_e32 v1, v1, v165
	s_waitcnt lgkmcnt(3)
	v_mul_f32_e32 v8, v143, v186
	s_waitcnt vmcnt(7)
	v_fma_f32 v7, v152, v201, -v7
	v_add_f32_e32 v6, v6, v9
	v_mul_f32_e32 v169, v142, v186
	v_fmac_f32_e32 v166, v153, v201
	v_add_f32_e32 v1, v1, v176
	v_mul_f32_e32 v9, v145, v187
	v_fma_f32 v8, v142, v200, -v8
	v_add_f32_e32 v6, v6, v7
	v_mul_f32_e32 v177, v144, v187
	v_fmac_f32_e32 v169, v143, v200
	v_add_f32_e32 v1, v1, v166
	s_waitcnt lgkmcnt(2)
	v_mul_f32_e32 v7, v155, v188
	v_fma_f32 v9, v144, v199, -v9
	v_add_f32_e32 v6, v6, v8
	v_mul_f32_e32 v170, v154, v188
	v_fmac_f32_e32 v177, v145, v199
	v_add_f32_e32 v1, v1, v169
	v_mul_f32_e32 v8, v157, v189
	v_fma_f32 v7, v154, v198, -v7
	v_add_f32_e32 v6, v6, v9
	v_mul_f32_e32 v171, v156, v189
	v_fmac_f32_e32 v170, v155, v198
	v_add_f32_e32 v1, v1, v177
	s_waitcnt lgkmcnt(1)
	v_mul_f32_e32 v178, v2, v190
	v_mul_f32_e32 v9, v3, v190
	v_add_f32_e32 v6, v6, v7
	v_mul_f32_e32 v7, v5, v191
	v_add_f32_e32 v1, v1, v170
	v_mul_f32_e32 v163, v4, v191
	s_waitcnt lgkmcnt(0)
	v_mul_f32_e32 v12, v158, v192
	v_mul_f32_e32 v147, v160, v193
	s_waitcnt vmcnt(5)
	v_fmac_f32_e32 v12, v159, v205
	s_waitcnt vmcnt(4)
	v_fma_f32 v4, v4, v206, -v7
	s_waitcnt vmcnt(3)
	v_fmac_f32_e32 v178, v3, v207
	s_waitcnt vmcnt(2)
	v_fma_f32 v8, v156, v208, -v8
	v_fmac_f32_e32 v171, v157, v208
	v_fma_f32 v2, v2, v207, -v9
	v_fmac_f32_e32 v163, v5, v206
	v_add_f32_e32 v3, v6, v8
	v_add_f32_e32 v1, v1, v171
	v_mul_f32_e32 v6, v159, v192
	v_add_f32_e32 v2, v3, v2
	v_add_f32_e32 v1, v1, v178
	v_mul_f32_e32 v3, v161, v193
	v_fma_f32 v5, v158, v205, -v6
	v_add_f32_e32 v2, v2, v4
	v_add_f32_e32 v1, v1, v163
	s_waitcnt vmcnt(1)
	v_fma_f32 v3, v160, v209, -v3
	v_fmac_f32_e32 v147, v161, v209
	v_add_f32_e32 v2, v2, v5
	v_add_f32_e32 v1, v1, v12
	;; [unrolled: 1-line block ×4, first 2 shown]
	v_sub_f32_e32 v1, v203, v1
	s_waitcnt vmcnt(0)
	v_sub_f32_e32 v2, v162, v2
	buffer_store_dword v2, off, s[0:3], 0 offset:248
	buffer_store_dword v1, off, s[0:3], 0 offset:252
	v_cmpx_lt_u32_e32 30, v0
	s_cbranch_execz .LBB127_337
; %bb.336:
	s_clause 0x1
	buffer_load_dword v1, off, s[0:3], 0 offset:240
	buffer_load_dword v2, off, s[0:3], 0 offset:244
	v_mov_b32_e32 v3, 0
	buffer_store_dword v3, off, s[0:3], 0 offset:240
	buffer_store_dword v3, off, s[0:3], 0 offset:244
	s_waitcnt vmcnt(0)
	ds_write_b64 v141, v[1:2]
.LBB127_337:
	s_or_b32 exec_lo, exec_lo, s4
	s_waitcnt lgkmcnt(0)
	s_waitcnt_vscnt null, 0x0
	s_barrier
	buffer_gl0_inv
	s_clause 0x26
	buffer_load_dword v2, off, s[0:3], 0 offset:252
	buffer_load_dword v3, off, s[0:3], 0 offset:260
	;; [unrolled: 1-line block ×39, first 2 shown]
	v_mov_b32_e32 v1, 0
	s_clause 0x2
	buffer_load_dword v182, off, s[0:3], 0 offset:412
	buffer_load_dword v183, off, s[0:3], 0 offset:420
	;; [unrolled: 1-line block ×3, first 2 shown]
	s_mov_b32 s4, exec_lo
	ds_read2_b64 v[4:7], v1 offset0:95 offset1:96
	s_clause 0x1
	buffer_load_dword v185, off, s[0:3], 0 offset:436
	buffer_load_dword v186, off, s[0:3], 0 offset:444
	ds_read2_b64 v[8:11], v1 offset0:97 offset1:98
	s_clause 0xc
	buffer_load_dword v187, off, s[0:3], 0 offset:424
	buffer_load_dword v188, off, s[0:3], 0 offset:416
	;; [unrolled: 1-line block ×13, first 2 shown]
	ds_read2_b64 v[142:145], v1 offset0:99 offset1:100
	s_waitcnt vmcnt(56) lgkmcnt(2)
	v_mul_f32_e32 v200, v5, v2
	v_mul_f32_e32 v201, v4, v2
	s_waitcnt vmcnt(55)
	v_mul_f32_e32 v202, v6, v3
	v_mul_f32_e32 v2, v7, v3
	s_waitcnt vmcnt(54) lgkmcnt(1)
	v_mul_f32_e32 v203, v8, v12
	s_waitcnt vmcnt(51)
	v_fma_f32 v200, v4, v148, -v200
	v_fmac_f32_e32 v201, v5, v148
	v_fmac_f32_e32 v202, v7, v147
	v_fma_f32 v147, v6, v147, -v2
	ds_read2_b64 v[2:5], v1 offset0:101 offset1:102
	s_clause 0x3
	buffer_load_dword v204, off, s[0:3], 0 offset:456
	buffer_load_dword v205, off, s[0:3], 0 offset:448
	;; [unrolled: 1-line block ×4, first 2 shown]
	s_waitcnt vmcnt(54)
	v_mul_f32_e32 v148, v10, v149
	v_mul_f32_e32 v6, v11, v149
	;; [unrolled: 1-line block ×3, first 2 shown]
	v_fmac_f32_e32 v203, v9, v146
	s_waitcnt vmcnt(48) lgkmcnt(1)
	v_mul_f32_e32 v149, v145, v155
	v_fmac_f32_e32 v148, v11, v153
	v_fma_f32 v10, v10, v153, -v6
	v_mul_f32_e32 v11, v142, v154
	v_mul_f32_e32 v6, v143, v154
	v_fma_f32 v12, v8, v146, -v12
	v_mul_f32_e32 v146, v144, v155
	v_fma_f32 v149, v144, v151, -v149
	v_fmac_f32_e32 v11, v143, v152
	v_fma_f32 v152, v142, v152, -v6
	ds_read2_b64 v[6:9], v1 offset0:103 offset1:104
	s_clause 0x3
	buffer_load_dword v208, off, s[0:3], 0 offset:488
	buffer_load_dword v209, off, s[0:3], 0 offset:480
	;; [unrolled: 1-line block ×4, first 2 shown]
	v_fmac_f32_e32 v146, v145, v151
	v_add_f32_e32 v143, 0, v200
	s_waitcnt vmcnt(51) lgkmcnt(1)
	v_mul_f32_e32 v151, v2, v156
	v_mul_f32_e32 v142, v3, v156
	s_waitcnt vmcnt(50)
	v_mul_f32_e32 v153, v4, v157
	v_fmac_f32_e32 v151, v3, v150
	v_fma_f32 v150, v2, v150, -v142
	v_mul_f32_e32 v2, v5, v157
	s_waitcnt vmcnt(46)
	v_fmac_f32_e32 v153, v5, v161
	v_fma_f32 v154, v4, v161, -v2
	ds_read2_b64 v[2:5], v1 offset0:105 offset1:106
	s_waitcnt vmcnt(45) lgkmcnt(1)
	v_mul_f32_e32 v155, v6, v162
	v_mul_f32_e32 v142, v7, v162
	s_clause 0x1
	buffer_load_dword v162, off, s[0:3], 0 offset:504
	buffer_load_dword v200, off, s[0:3], 0 offset:496
	v_fmac_f32_e32 v155, v7, v160
	v_add_f32_e32 v7, 0, v201
	buffer_load_dword v201, off, s[0:3], 0 offset:240
	v_fma_f32 v156, v6, v160, -v142
	v_add_f32_e32 v6, v143, v147
	s_waitcnt vmcnt(47)
	v_mul_f32_e32 v142, v9, v163
	v_add_f32_e32 v7, v7, v202
	v_add_f32_e32 v6, v6, v12
	v_mul_f32_e32 v12, v8, v163
	v_add_f32_e32 v143, v7, v203
	v_fma_f32 v157, v8, v159, -v142
	s_waitcnt vmcnt(45) lgkmcnt(0)
	v_mul_f32_e32 v160, v4, v165
	v_add_f32_e32 v10, v6, v10
	v_fmac_f32_e32 v12, v9, v159
	v_add_f32_e32 v147, v143, v148
	v_mul_f32_e32 v159, v2, v164
	v_mul_f32_e32 v148, v3, v164
	v_add_f32_e32 v10, v10, v152
	ds_read2_b64 v[6:9], v1 offset0:107 offset1:108
	ds_read2_b64 v[142:145], v1 offset0:109 offset1:110
	v_add_f32_e32 v11, v147, v11
	v_mul_f32_e32 v147, v5, v165
	v_add_f32_e32 v10, v10, v149
	v_fmac_f32_e32 v159, v3, v158
	v_fma_f32 v158, v2, v158, -v148
	v_add_f32_e32 v11, v11, v146
	s_waitcnt vmcnt(41)
	v_fmac_f32_e32 v160, v5, v169
	v_add_f32_e32 v10, v10, v150
	v_fma_f32 v161, v4, v169, -v147
	ds_read2_b64 v[2:5], v1 offset0:111 offset1:112
	ds_read2_b64 v[146:149], v1 offset0:113 offset1:114
	v_add_f32_e32 v11, v11, v151
	v_add_f32_e32 v10, v10, v154
	;; [unrolled: 1-line block ×4, first 2 shown]
	s_waitcnt vmcnt(40) lgkmcnt(3)
	v_mul_f32_e32 v163, v6, v170
	v_mul_f32_e32 v150, v7, v170
	v_add_f32_e32 v11, v11, v155
	s_waitcnt vmcnt(39)
	v_mul_f32_e32 v164, v8, v171
	v_add_f32_e32 v10, v10, v157
	v_mul_f32_e32 v151, v9, v171
	v_fmac_f32_e32 v163, v7, v168
	v_add_f32_e32 v11, v11, v12
	v_fma_f32 v168, v6, v168, -v150
	v_add_f32_e32 v10, v10, v158
	s_waitcnt vmcnt(32) lgkmcnt(1)
	v_mul_f32_e32 v12, v2, v178
	v_mul_f32_e32 v158, v3, v178
	v_add_f32_e32 v11, v11, v159
	v_mul_f32_e32 v165, v142, v172
	v_mul_f32_e32 v154, v143, v172
	v_fmac_f32_e32 v12, v3, v176
	v_add_f32_e32 v3, v10, v161
	v_add_f32_e32 v10, v11, v160
	v_fmac_f32_e32 v164, v9, v167
	v_fma_f32 v167, v8, v167, -v151
	v_mul_f32_e32 v155, v145, v173
	v_add_f32_e32 v168, v3, v168
	v_add_f32_e32 v163, v10, v163
	v_fmac_f32_e32 v165, v143, v166
	v_fma_f32 v166, v142, v166, -v154
	v_mul_f32_e32 v169, v144, v173
	v_add_f32_e32 v167, v168, v167
	v_add_f32_e32 v163, v163, v164
	v_fma_f32 v170, v144, v177, -v155
	ds_read2_b64 v[6:9], v1 offset0:115 offset1:116
	ds_read2_b64 v[150:153], v1 offset0:117 offset1:118
	v_fmac_f32_e32 v169, v145, v177
	v_add_f32_e32 v166, v167, v166
	v_add_f32_e32 v163, v163, v165
	s_waitcnt vmcnt(31)
	v_mul_f32_e32 v171, v4, v179
	v_mul_f32_e32 v159, v5, v179
	v_fma_f32 v172, v2, v176, -v158
	v_add_f32_e32 v166, v166, v170
	v_add_f32_e32 v163, v163, v169
	v_fmac_f32_e32 v171, v5, v175
	v_fma_f32 v173, v4, v175, -v159
	s_waitcnt vmcnt(30) lgkmcnt(2)
	v_mul_f32_e32 v175, v147, v180
	v_add_f32_e32 v166, v166, v172
	v_mul_f32_e32 v168, v146, v180
	v_add_f32_e32 v12, v163, v12
	s_waitcnt vmcnt(29)
	v_mul_f32_e32 v176, v149, v181
	v_fma_f32 v146, v146, v174, -v175
	v_add_f32_e32 v166, v166, v173
	v_mul_f32_e32 v164, v148, v181
	v_fmac_f32_e32 v168, v147, v174
	v_add_f32_e32 v12, v12, v171
	s_waitcnt vmcnt(28) lgkmcnt(1)
	v_mul_f32_e32 v167, v6, v182
	v_mul_f32_e32 v174, v7, v182
	s_waitcnt vmcnt(20)
	v_fma_f32 v148, v148, v190, -v176
	v_add_f32_e32 v146, v166, v146
	ds_read2_b64 v[142:145], v1 offset0:119 offset1:120
	ds_read2_b64 v[154:157], v1 offset0:121 offset1:122
	v_fmac_f32_e32 v164, v149, v190
	v_add_f32_e32 v12, v12, v168
	v_mul_f32_e32 v171, v9, v183
	v_fmac_f32_e32 v167, v7, v189
	v_fma_f32 v6, v6, v189, -v174
	v_add_f32_e32 v7, v146, v148
	v_mul_f32_e32 v165, v8, v183
	v_add_f32_e32 v12, v12, v164
	s_waitcnt lgkmcnt(2)
	v_mul_f32_e32 v146, v151, v184
	v_fma_f32 v8, v8, v188, -v171
	v_add_f32_e32 v6, v7, v6
	v_mul_f32_e32 v147, v150, v184
	v_fmac_f32_e32 v165, v9, v188
	v_add_f32_e32 v7, v12, v167
	v_mul_f32_e32 v9, v153, v185
	v_fma_f32 v12, v150, v187, -v146
	v_add_f32_e32 v6, v6, v8
	v_mul_f32_e32 v170, v152, v185
	v_fmac_f32_e32 v147, v151, v187
	v_add_f32_e32 v7, v7, v165
	s_waitcnt lgkmcnt(1)
	v_mul_f32_e32 v8, v143, v186
	v_add_f32_e32 v6, v6, v12
	v_mul_f32_e32 v169, v142, v186
	ds_read2_b64 v[2:5], v1 offset0:123 offset1:124
	ds_read2_b64 v[158:161], v1 offset0:125 offset1:126
	ds_read_b64 v[10:11], v1 offset:1016
	v_add_f32_e32 v7, v7, v147
	s_waitcnt vmcnt(19)
	v_mul_f32_e32 v12, v145, v191
	v_mul_f32_e32 v149, v144, v191
	s_waitcnt vmcnt(18) lgkmcnt(3)
	v_mul_f32_e32 v175, v154, v192
	s_waitcnt vmcnt(17)
	v_mul_f32_e32 v163, v156, v193
	s_waitcnt vmcnt(16) lgkmcnt(2)
	v_mul_f32_e32 v172, v2, v194
	s_waitcnt vmcnt(15)
	;; [unrolled: 4-line block ×4, first 2 shown]
	v_fmac_f32_e32 v175, v155, v204
	s_waitcnt vmcnt(9)
	v_fma_f32 v12, v144, v205, -v12
	s_waitcnt vmcnt(8)
	v_fma_f32 v8, v142, v206, -v8
	s_waitcnt vmcnt(7)
	v_fma_f32 v9, v152, v207, -v9
	v_fmac_f32_e32 v170, v153, v207
	v_fmac_f32_e32 v169, v143, v206
	v_fmac_f32_e32 v149, v145, v205
	v_add_f32_e32 v6, v6, v9
	v_add_f32_e32 v7, v7, v170
	v_mul_f32_e32 v9, v155, v192
	v_add_f32_e32 v6, v6, v8
	v_add_f32_e32 v7, v7, v169
	v_mul_f32_e32 v8, v157, v193
	v_fma_f32 v9, v154, v204, -v9
	s_waitcnt vmcnt(5)
	v_fmac_f32_e32 v176, v5, v209
	v_add_f32_e32 v6, v6, v12
	v_add_f32_e32 v7, v7, v149
	v_mul_f32_e32 v12, v3, v194
	s_waitcnt vmcnt(3)
	v_fma_f32 v8, v156, v211, -v8
	v_fmac_f32_e32 v163, v157, v211
	v_add_f32_e32 v6, v6, v9
	v_add_f32_e32 v7, v7, v175
	v_mul_f32_e32 v9, v5, v195
	v_fmac_f32_e32 v172, v3, v210
	v_fma_f32 v2, v2, v210, -v12
	v_add_f32_e32 v3, v6, v8
	v_add_f32_e32 v6, v7, v163
	v_mul_f32_e32 v7, v159, v196
	v_fma_f32 v4, v4, v209, -v9
	v_mul_f32_e32 v5, v161, v197
	v_add_f32_e32 v2, v3, v2
	v_add_f32_e32 v3, v6, v172
	v_fma_f32 v6, v158, v208, -v7
	v_fmac_f32_e32 v173, v159, v208
	v_add_f32_e32 v2, v2, v4
	v_add_f32_e32 v3, v3, v176
	v_mul_f32_e32 v4, v11, v198
	s_waitcnt vmcnt(1)
	v_fma_f32 v5, v160, v200, -v5
	v_fmac_f32_e32 v177, v161, v200
	v_add_f32_e32 v2, v2, v6
	v_add_f32_e32 v3, v3, v173
	v_fma_f32 v4, v10, v162, -v4
	v_fmac_f32_e32 v166, v11, v162
	v_add_f32_e32 v2, v2, v5
	v_add_f32_e32 v3, v3, v177
	;; [unrolled: 1-line block ×4, first 2 shown]
	s_waitcnt vmcnt(0)
	v_sub_f32_e32 v2, v201, v2
	v_sub_f32_e32 v3, v199, v3
	buffer_store_dword v2, off, s[0:3], 0 offset:240
	buffer_store_dword v3, off, s[0:3], 0 offset:244
	v_cmpx_lt_u32_e32 29, v0
	s_cbranch_execz .LBB127_339
; %bb.338:
	s_clause 0x1
	buffer_load_dword v2, off, s[0:3], 0 offset:232
	buffer_load_dword v3, off, s[0:3], 0 offset:236
	buffer_store_dword v1, off, s[0:3], 0 offset:232
	buffer_store_dword v1, off, s[0:3], 0 offset:236
	s_waitcnt vmcnt(0)
	ds_write_b64 v141, v[2:3]
.LBB127_339:
	s_or_b32 exec_lo, exec_lo, s4
	s_waitcnt lgkmcnt(0)
	s_waitcnt_vscnt null, 0x0
	s_barrier
	buffer_gl0_inv
	s_clause 0x24
	buffer_load_dword v10, off, s[0:3], 0 offset:244
	buffer_load_dword v11, off, s[0:3], 0 offset:252
	;; [unrolled: 1-line block ×37, first 2 shown]
	ds_read_b128 v[2:5], v1 offset:752
	s_clause 0x1
	buffer_load_dword v188, off, s[0:3], 0 offset:388
	buffer_load_dword v189, off, s[0:3], 0 offset:396
	ds_read_b128 v[6:9], v1 offset:768
	s_clause 0xa
	buffer_load_dword v190, off, s[0:3], 0 offset:404
	buffer_load_dword v191, off, s[0:3], 0 offset:412
	;; [unrolled: 1-line block ×11, first 2 shown]
	ds_read_b128 v[142:145], v1 offset:784
	ds_read_b128 v[146:149], v1 offset:800
	;; [unrolled: 1-line block ×3, first 2 shown]
	s_clause 0x7
	buffer_load_dword v203, off, s[0:3], 0 offset:236
	buffer_load_dword v204, off, s[0:3], 0 offset:460
	buffer_load_dword v205, off, s[0:3], 0 offset:468
	buffer_load_dword v206, off, s[0:3], 0 offset:476
	buffer_load_dword v207, off, s[0:3], 0 offset:484
	buffer_load_dword v208, off, s[0:3], 0 offset:492
	buffer_load_dword v209, off, s[0:3], 0 offset:500
	buffer_load_dword v210, off, s[0:3], 0 offset:508
	s_mov_b32 s4, exec_lo
	s_waitcnt vmcnt(57) lgkmcnt(4)
	v_mul_f32_e32 v201, v3, v10
	v_mul_f32_e32 v10, v2, v10
	s_waitcnt vmcnt(56)
	v_mul_f32_e32 v202, v4, v11
	v_mul_f32_e32 v11, v5, v11
	s_waitcnt vmcnt(53)
	v_fma_f32 v201, v2, v155, -v201
	v_fmac_f32_e32 v10, v3, v155
	v_fmac_f32_e32 v202, v5, v154
	v_fma_f32 v11, v4, v154, -v11
	s_waitcnt vmcnt(52) lgkmcnt(3)
	v_mul_f32_e32 v154, v6, v156
	v_mul_f32_e32 v2, v7, v156
	s_waitcnt vmcnt(51)
	v_mul_f32_e32 v3, v9, v157
	v_mul_f32_e32 v155, v8, v157
	s_waitcnt vmcnt(46) lgkmcnt(2)
	v_mul_f32_e32 v156, v142, v162
	v_fmac_f32_e32 v154, v7, v12
	v_fma_f32 v6, v6, v12, -v2
	v_fma_f32 v12, v8, v161, -v3
	v_mul_f32_e32 v2, v143, v162
	s_waitcnt vmcnt(45)
	v_mul_f32_e32 v157, v144, v163
	v_mul_f32_e32 v3, v145, v163
	s_clause 0x3
	buffer_load_dword v162, off, s[0:3], 0 offset:448
	buffer_load_dword v163, off, s[0:3], 0 offset:440
	;; [unrolled: 1-line block ×4, first 2 shown]
	v_fmac_f32_e32 v155, v9, v161
	v_fmac_f32_e32 v156, v143, v160
	v_fma_f32 v142, v142, v160, -v2
	v_fmac_f32_e32 v157, v145, v159
	v_fma_f32 v159, v144, v159, -v3
	s_waitcnt vmcnt(48) lgkmcnt(1)
	v_mul_f32_e32 v160, v146, v164
	v_mul_f32_e32 v2, v147, v164
	s_waitcnt vmcnt(47)
	v_mul_f32_e32 v161, v148, v165
	v_mul_f32_e32 v3, v149, v165
	s_waitcnt vmcnt(42) lgkmcnt(0)
	v_mul_f32_e32 v164, v150, v170
	v_mul_f32_e32 v7, v151, v170
	s_waitcnt vmcnt(41)
	v_mul_f32_e32 v165, v152, v171
	v_mul_f32_e32 v8, v153, v171
	v_fmac_f32_e32 v160, v147, v158
	v_fma_f32 v146, v146, v158, -v2
	v_fmac_f32_e32 v161, v149, v169
	v_fma_f32 v158, v148, v169, -v3
	ds_read_b128 v[2:5], v1 offset:832
	v_fmac_f32_e32 v164, v151, v168
	v_fma_f32 v150, v150, v168, -v7
	v_fmac_f32_e32 v165, v153, v167
	v_fma_f32 v151, v152, v167, -v8
	s_clause 0x7
	buffer_load_dword v167, off, s[0:3], 0 offset:480
	buffer_load_dword v168, off, s[0:3], 0 offset:472
	;; [unrolled: 1-line block ×8, first 2 shown]
	v_add_f32_e32 v7, 0, v201
	v_add_f32_e32 v8, 0, v10
	;; [unrolled: 1-line block ×4, first 2 shown]
	s_waitcnt vmcnt(48) lgkmcnt(0)
	v_mul_f32_e32 v10, v2, v172
	v_mul_f32_e32 v9, v3, v172
	v_fmac_f32_e32 v10, v3, v166
	v_fma_f32 v11, v2, v166, -v9
	v_add_f32_e32 v2, v7, v6
	v_add_f32_e32 v3, v8, v154
	ds_read_b128 v[6:9], v1 offset:848
	s_waitcnt vmcnt(47)
	v_mul_f32_e32 v166, v4, v173
	v_add_f32_e32 v12, v2, v12
	v_mul_f32_e32 v2, v5, v173
	v_add_f32_e32 v143, v3, v155
	s_waitcnt vmcnt(43)
	v_fmac_f32_e32 v166, v5, v177
	v_add_f32_e32 v12, v12, v142
	v_fma_f32 v172, v4, v177, -v2
	ds_read_b128 v[2:5], v1 offset:864
	v_add_f32_e32 v147, v143, v156
	ds_read_b128 v[142:145], v1 offset:880
	v_add_f32_e32 v12, v12, v159
	v_add_f32_e32 v147, v147, v157
	;; [unrolled: 1-line block ×3, first 2 shown]
	s_waitcnt vmcnt(42) lgkmcnt(2)
	v_mul_f32_e32 v148, v7, v178
	v_mul_f32_e32 v159, v6, v178
	s_waitcnt vmcnt(41)
	v_mul_f32_e32 v152, v9, v179
	v_fma_f32 v173, v6, v176, -v148
	v_add_f32_e32 v6, v147, v160
	v_fmac_f32_e32 v159, v7, v176
	v_add_f32_e32 v7, v12, v158
	v_mul_f32_e32 v12, v8, v179
	s_waitcnt vmcnt(40) lgkmcnt(1)
	v_mul_f32_e32 v176, v2, v180
	v_add_f32_e32 v6, v6, v161
	v_mul_f32_e32 v153, v3, v180
	v_add_f32_e32 v7, v7, v150
	ds_read_b128 v[146:149], v1 offset:896
	v_fmac_f32_e32 v176, v3, v174
	v_add_f32_e32 v6, v6, v164
	v_fma_f32 v174, v2, v174, -v153
	v_add_f32_e32 v2, v7, v151
	v_fma_f32 v158, v8, v175, -v152
	v_fmac_f32_e32 v12, v9, v175
	v_add_f32_e32 v3, v6, v165
	s_waitcnt vmcnt(39)
	v_mul_f32_e32 v154, v5, v181
	v_add_f32_e32 v11, v2, v11
	v_mul_f32_e32 v177, v4, v181
	s_waitcnt vmcnt(38) lgkmcnt(1)
	v_mul_f32_e32 v155, v143, v182
	v_add_f32_e32 v10, v3, v10
	s_waitcnt vmcnt(34)
	v_fma_f32 v165, v4, v186, -v154
	v_add_f32_e32 v11, v11, v172
	v_mul_f32_e32 v164, v142, v182
	ds_read_b128 v[6:9], v1 offset:912
	ds_read_b128 v[150:153], v1 offset:928
	v_add_f32_e32 v10, v10, v166
	v_fmac_f32_e32 v177, v5, v186
	v_add_f32_e32 v11, v11, v173
	v_fma_f32 v175, v142, v185, -v155
	s_waitcnt vmcnt(33)
	v_mul_f32_e32 v142, v145, v187
	v_add_f32_e32 v10, v10, v159
	v_fmac_f32_e32 v164, v143, v185
	v_add_f32_e32 v11, v11, v158
	v_mul_f32_e32 v172, v144, v187
	s_waitcnt vmcnt(32) lgkmcnt(2)
	v_mul_f32_e32 v143, v147, v188
	v_add_f32_e32 v10, v10, v12
	v_fma_f32 v179, v144, v184, -v142
	v_add_f32_e32 v11, v11, v174
	v_mul_f32_e32 v166, v146, v188
	v_fmac_f32_e32 v172, v145, v184
	v_add_f32_e32 v10, v10, v176
	s_waitcnt vmcnt(31)
	v_mul_f32_e32 v178, v149, v189
	v_add_f32_e32 v11, v11, v165
	v_fma_f32 v180, v146, v183, -v143
	v_mul_f32_e32 v173, v148, v189
	v_add_f32_e32 v10, v10, v177
	v_fmac_f32_e32 v166, v147, v183
	v_add_f32_e32 v11, v11, v175
	s_waitcnt vmcnt(24)
	v_fma_f32 v178, v148, v196, -v178
	s_waitcnt lgkmcnt(1)
	v_mul_f32_e32 v12, v7, v190
	v_add_f32_e32 v10, v10, v164
	ds_read_b128 v[2:5], v1 offset:944
	ds_read_b128 v[154:157], v1 offset:960
	v_add_f32_e32 v11, v11, v179
	ds_read_b128 v[142:145], v1 offset:976
	ds_read_b128 v[158:161], v1 offset:992
	v_fmac_f32_e32 v173, v149, v196
	v_add_f32_e32 v10, v10, v172
	ds_read_b128 v[146:149], v1 offset:1008
	v_add_f32_e32 v11, v11, v180
	v_mul_f32_e32 v1, v6, v190
	v_mul_f32_e32 v176, v9, v191
	v_add_f32_e32 v10, v10, v166
	v_fma_f32 v6, v6, v195, -v12
	v_add_f32_e32 v11, v11, v178
	v_mul_f32_e32 v174, v8, v191
	v_fmac_f32_e32 v1, v7, v195
	v_add_f32_e32 v10, v10, v173
	s_waitcnt lgkmcnt(5)
	v_mul_f32_e32 v12, v151, v192
	v_fma_f32 v8, v8, v194, -v176
	v_add_f32_e32 v6, v11, v6
	v_mul_f32_e32 v165, v150, v192
	v_fmac_f32_e32 v174, v9, v194
	v_add_f32_e32 v1, v10, v1
	s_waitcnt vmcnt(23)
	v_mul_f32_e32 v9, v153, v197
	v_fma_f32 v10, v150, v193, -v12
	v_add_f32_e32 v6, v6, v8
	v_mul_f32_e32 v177, v152, v197
	v_fmac_f32_e32 v165, v151, v193
	v_add_f32_e32 v1, v1, v174
	s_waitcnt vmcnt(22) lgkmcnt(4)
	v_mul_f32_e32 v181, v2, v198
	v_mul_f32_e32 v8, v3, v198
	v_add_f32_e32 v6, v6, v10
	s_waitcnt vmcnt(21)
	v_mul_f32_e32 v10, v5, v199
	v_add_f32_e32 v1, v1, v165
	v_mul_f32_e32 v175, v4, v199
	s_waitcnt vmcnt(20) lgkmcnt(3)
	v_mul_f32_e32 v164, v154, v200
	s_waitcnt vmcnt(18)
	v_mul_f32_e32 v182, v156, v204
	s_waitcnt vmcnt(17) lgkmcnt(2)
	v_mul_f32_e32 v179, v142, v205
	s_waitcnt vmcnt(16)
	;; [unrolled: 4-line block ×4, first 2 shown]
	v_mul_f32_e32 v7, v148, v210
	s_waitcnt vmcnt(11)
	v_fmac_f32_e32 v164, v155, v162
	s_waitcnt vmcnt(10)
	v_fma_f32 v4, v4, v163, -v10
	s_waitcnt vmcnt(9)
	v_fmac_f32_e32 v181, v3, v211
	s_waitcnt vmcnt(8)
	v_fma_f32 v9, v152, v212, -v9
	v_fmac_f32_e32 v177, v153, v212
	v_fma_f32 v2, v2, v211, -v8
	v_fmac_f32_e32 v175, v5, v163
	v_add_f32_e32 v3, v6, v9
	v_add_f32_e32 v1, v1, v177
	v_mul_f32_e32 v6, v155, v200
	v_add_f32_e32 v2, v3, v2
	v_add_f32_e32 v1, v1, v181
	v_mul_f32_e32 v3, v157, v204
	v_fma_f32 v5, v154, v162, -v6
	v_add_f32_e32 v2, v2, v4
	v_add_f32_e32 v1, v1, v175
	v_mul_f32_e32 v4, v143, v205
	s_waitcnt vmcnt(5)
	v_fmac_f32_e32 v179, v143, v169
	s_waitcnt vmcnt(4)
	v_fma_f32 v3, v156, v170, -v3
	v_add_f32_e32 v2, v2, v5
	v_fmac_f32_e32 v182, v157, v170
	v_add_f32_e32 v1, v1, v164
	v_mul_f32_e32 v5, v145, v206
	v_fma_f32 v4, v142, v169, -v4
	v_add_f32_e32 v2, v2, v3
	v_mul_f32_e32 v3, v159, v207
	v_add_f32_e32 v1, v1, v182
	v_fma_f32 v5, v144, v168, -v5
	v_fmac_f32_e32 v172, v145, v168
	v_add_f32_e32 v2, v2, v4
	v_mul_f32_e32 v4, v161, v208
	v_add_f32_e32 v1, v1, v179
	v_fma_f32 v3, v158, v167, -v3
	v_fmac_f32_e32 v183, v159, v167
	v_add_f32_e32 v2, v2, v5
	v_mul_f32_e32 v5, v147, v209
	v_add_f32_e32 v1, v1, v172
	s_waitcnt vmcnt(1)
	v_fma_f32 v4, v160, v214, -v4
	v_fmac_f32_e32 v180, v161, v214
	v_add_f32_e32 v2, v2, v3
	v_mul_f32_e32 v3, v149, v210
	v_add_f32_e32 v1, v1, v183
	v_fma_f32 v5, v146, v213, -v5
	v_fmac_f32_e32 v166, v147, v213
	v_add_f32_e32 v2, v2, v4
	v_fma_f32 v3, v148, v171, -v3
	v_add_f32_e32 v1, v1, v180
	v_fmac_f32_e32 v7, v149, v171
	v_add_f32_e32 v2, v2, v5
	v_add_f32_e32 v1, v1, v166
	;; [unrolled: 1-line block ×4, first 2 shown]
	s_waitcnt vmcnt(0)
	v_sub_f32_e32 v2, v215, v2
	v_sub_f32_e32 v1, v203, v1
	buffer_store_dword v2, off, s[0:3], 0 offset:232
	buffer_store_dword v1, off, s[0:3], 0 offset:236
	v_cmpx_lt_u32_e32 28, v0
	s_cbranch_execz .LBB127_341
; %bb.340:
	s_clause 0x1
	buffer_load_dword v1, off, s[0:3], 0 offset:224
	buffer_load_dword v2, off, s[0:3], 0 offset:228
	v_mov_b32_e32 v3, 0
	buffer_store_dword v3, off, s[0:3], 0 offset:224
	buffer_store_dword v3, off, s[0:3], 0 offset:228
	s_waitcnt vmcnt(0)
	ds_write_b64 v141, v[1:2]
.LBB127_341:
	s_or_b32 exec_lo, exec_lo, s4
	s_waitcnt lgkmcnt(0)
	s_waitcnt_vscnt null, 0x0
	s_barrier
	buffer_gl0_inv
	s_clause 0x23
	buffer_load_dword v2, off, s[0:3], 0 offset:236
	buffer_load_dword v3, off, s[0:3], 0 offset:244
	;; [unrolled: 1-line block ×36, first 2 shown]
	v_mov_b32_e32 v1, 0
	s_clause 0x1
	buffer_load_dword v183, off, s[0:3], 0 offset:372
	buffer_load_dword v184, off, s[0:3], 0 offset:380
	s_mov_b32 s4, exec_lo
	ds_read2_b64 v[4:7], v1 offset0:93 offset1:94
	s_clause 0x7
	buffer_load_dword v185, off, s[0:3], 0 offset:388
	buffer_load_dword v186, off, s[0:3], 0 offset:396
	;; [unrolled: 1-line block ×8, first 2 shown]
	ds_read2_b64 v[8:11], v1 offset0:95 offset1:96
	s_clause 0x3
	buffer_load_dword v193, off, s[0:3], 0 offset:420
	buffer_load_dword v194, off, s[0:3], 0 offset:428
	;; [unrolled: 1-line block ×4, first 2 shown]
	ds_read2_b64 v[142:145], v1 offset0:97 offset1:98
	s_clause 0x4
	buffer_load_dword v197, off, s[0:3], 0 offset:452
	buffer_load_dword v198, off, s[0:3], 0 offset:460
	;; [unrolled: 1-line block ×5, first 2 shown]
	ds_read2_b64 v[146:149], v1 offset0:99 offset1:100
	s_waitcnt vmcnt(54) lgkmcnt(3)
	v_mul_f32_e32 v202, v5, v2
	v_mul_f32_e32 v203, v4, v2
	s_waitcnt vmcnt(53)
	v_mul_f32_e32 v204, v6, v3
	v_mul_f32_e32 v2, v7, v3
	s_waitcnt vmcnt(50)
	v_fma_f32 v202, v4, v151, -v202
	v_fmac_f32_e32 v203, v5, v151
	v_fmac_f32_e32 v204, v7, v150
	v_fma_f32 v150, v6, v150, -v2
	ds_read2_b64 v[2:5], v1 offset0:101 offset1:102
	s_waitcnt vmcnt(49) lgkmcnt(3)
	v_mul_f32_e32 v151, v8, v152
	v_mul_f32_e32 v6, v9, v152
	s_clause 0x7
	buffer_load_dword v206, off, s[0:3], 0 offset:484
	buffer_load_dword v207, off, s[0:3], 0 offset:492
	;; [unrolled: 1-line block ×8, first 2 shown]
	s_waitcnt vmcnt(56)
	v_mul_f32_e32 v152, v10, v153
	v_mul_f32_e32 v7, v11, v153
	s_waitcnt vmcnt(55) lgkmcnt(2)
	v_mul_f32_e32 v153, v142, v154
	v_mul_f32_e32 v154, v143, v154
	v_fmac_f32_e32 v151, v9, v12
	v_fma_f32 v12, v8, v12, -v6
	s_waitcnt vmcnt(54)
	v_mul_f32_e32 v6, v145, v155
	v_mul_f32_e32 v205, v144, v155
	s_waitcnt vmcnt(50)
	v_fmac_f32_e32 v152, v11, v159
	v_fma_f32 v11, v142, v158, -v154
	s_waitcnt vmcnt(49) lgkmcnt(1)
	v_mul_f32_e32 v154, v146, v160
	v_fma_f32 v142, v144, v157, -v6
	v_mul_f32_e32 v6, v147, v160
	v_fma_f32 v10, v10, v159, -v7
	v_fmac_f32_e32 v153, v143, v158
	v_fmac_f32_e32 v205, v145, v157
	s_waitcnt vmcnt(48)
	v_mul_f32_e32 v155, v148, v161
	v_mul_f32_e32 v7, v149, v161
	v_fmac_f32_e32 v154, v147, v156
	v_fma_f32 v146, v146, v156, -v6
	s_waitcnt vmcnt(43) lgkmcnt(0)
	v_mul_f32_e32 v156, v2, v166
	v_mul_f32_e32 v143, v3, v166
	s_waitcnt vmcnt(42)
	v_mul_f32_e32 v157, v4, v167
	v_mul_f32_e32 v144, v5, v167
	v_fmac_f32_e32 v155, v149, v165
	v_fma_f32 v147, v148, v165, -v7
	ds_read2_b64 v[6:9], v1 offset0:103 offset1:104
	v_fmac_f32_e32 v156, v3, v164
	v_fma_f32 v158, v2, v164, -v143
	v_fmac_f32_e32 v157, v5, v163
	v_fma_f32 v159, v4, v163, -v144
	s_clause 0x3
	buffer_load_dword v163, off, s[0:3], 0 offset:472
	buffer_load_dword v164, off, s[0:3], 0 offset:464
	;; [unrolled: 1-line block ×4, first 2 shown]
	v_add_f32_e32 v2, 0, v202
	s_clause 0x3
	buffer_load_dword v167, off, s[0:3], 0 offset:504
	buffer_load_dword v202, off, s[0:3], 0 offset:496
	;; [unrolled: 1-line block ×4, first 2 shown]
	v_add_f32_e32 v3, 0, v203
	buffer_load_dword v203, off, s[0:3], 0 offset:224
	v_add_f32_e32 v2, v2, v150
	v_add_f32_e32 v3, v3, v204
	;; [unrolled: 1-line block ×4, first 2 shown]
	s_waitcnt vmcnt(50) lgkmcnt(0)
	v_mul_f32_e32 v12, v6, v168
	v_mul_f32_e32 v4, v7, v168
	v_fmac_f32_e32 v12, v7, v162
	v_fma_f32 v150, v6, v162, -v4
	v_add_f32_e32 v6, v2, v10
	v_add_f32_e32 v7, v3, v152
	ds_read2_b64 v[2:5], v1 offset0:105 offset1:106
	v_add_f32_e32 v10, v6, v11
	s_waitcnt vmcnt(49)
	v_mul_f32_e32 v11, v8, v169
	v_mul_f32_e32 v6, v9, v169
	v_add_f32_e32 v143, v7, v153
	v_add_f32_e32 v10, v10, v142
	s_waitcnt vmcnt(45)
	v_fmac_f32_e32 v11, v9, v173
	v_fma_f32 v160, v8, v173, -v6
	ds_read2_b64 v[6:9], v1 offset0:107 offset1:108
	v_add_f32_e32 v148, v143, v205
	ds_read2_b64 v[142:145], v1 offset0:109 offset1:110
	v_add_f32_e32 v10, v10, v146
	v_add_f32_e32 v148, v148, v154
	;; [unrolled: 1-line block ×3, first 2 shown]
	s_waitcnt vmcnt(44) lgkmcnt(2)
	v_mul_f32_e32 v146, v3, v174
	v_mul_f32_e32 v161, v2, v174
	s_waitcnt vmcnt(43)
	v_mul_f32_e32 v151, v5, v175
	v_fma_f32 v162, v2, v172, -v146
	v_add_f32_e32 v2, v148, v155
	v_fmac_f32_e32 v161, v3, v172
	v_add_f32_e32 v3, v10, v158
	ds_read2_b64 v[146:149], v1 offset0:111 offset1:112
	v_mul_f32_e32 v10, v4, v175
	v_add_f32_e32 v2, v2, v156
	s_waitcnt vmcnt(42) lgkmcnt(2)
	v_mul_f32_e32 v152, v7, v176
	v_add_f32_e32 v3, v3, v159
	v_mul_f32_e32 v168, v6, v176
	s_waitcnt vmcnt(40) lgkmcnt(1)
	v_mul_f32_e32 v172, v142, v178
	v_add_f32_e32 v2, v2, v157
	v_fma_f32 v159, v6, v170, -v152
	v_add_f32_e32 v6, v3, v150
	v_fmac_f32_e32 v168, v7, v170
	s_waitcnt vmcnt(37)
	v_fmac_f32_e32 v172, v143, v181
	v_add_f32_e32 v7, v2, v12
	v_mul_f32_e32 v12, v143, v178
	v_add_f32_e32 v143, v6, v160
	v_fma_f32 v158, v4, v171, -v151
	v_fmac_f32_e32 v10, v5, v171
	v_add_f32_e32 v11, v7, v11
	v_fma_f32 v12, v142, v181, -v12
	v_add_f32_e32 v142, v143, v162
	v_mul_f32_e32 v154, v9, v177
	v_mul_f32_e32 v169, v8, v177
	v_add_f32_e32 v11, v11, v161
	ds_read2_b64 v[2:5], v1 offset0:113 offset1:114
	ds_read2_b64 v[150:153], v1 offset0:115 offset1:116
	v_add_f32_e32 v142, v142, v158
	s_waitcnt vmcnt(36)
	v_fma_f32 v170, v8, v182, -v154
	v_fmac_f32_e32 v169, v9, v182
	v_add_f32_e32 v10, v11, v10
	s_waitcnt vmcnt(35)
	v_mul_f32_e32 v143, v145, v183
	v_add_f32_e32 v177, v142, v159
	v_mul_f32_e32 v162, v144, v183
	s_waitcnt vmcnt(34) lgkmcnt(2)
	v_mul_f32_e32 v158, v147, v184
	v_add_f32_e32 v168, v10, v168
	v_fma_f32 v175, v144, v180, -v143
	v_add_f32_e32 v170, v177, v170
	v_mul_f32_e32 v171, v146, v184
	v_fmac_f32_e32 v162, v145, v180
	v_add_f32_e32 v168, v168, v169
	s_waitcnt vmcnt(33)
	v_mul_f32_e32 v174, v149, v185
	v_add_f32_e32 v12, v170, v12
	v_fma_f32 v176, v146, v179, -v158
	v_mul_f32_e32 v173, v148, v185
	v_add_f32_e32 v168, v168, v172
	v_fmac_f32_e32 v171, v147, v179
	v_add_f32_e32 v12, v12, v175
	s_waitcnt vmcnt(26)
	v_fma_f32 v174, v148, v192, -v174
	s_waitcnt lgkmcnt(1)
	v_mul_f32_e32 v178, v3, v186
	v_add_f32_e32 v162, v168, v162
	ds_read2_b64 v[6:9], v1 offset0:117 offset1:118
	ds_read2_b64 v[154:157], v1 offset0:119 offset1:120
	v_add_f32_e32 v12, v12, v176
	v_fmac_f32_e32 v173, v149, v192
	v_mul_f32_e32 v177, v2, v186
	v_add_f32_e32 v162, v162, v171
	v_mul_f32_e32 v179, v5, v187
	v_fma_f32 v2, v2, v191, -v178
	v_add_f32_e32 v12, v12, v174
	v_mul_f32_e32 v169, v4, v187
	v_fmac_f32_e32 v177, v3, v191
	v_add_f32_e32 v162, v162, v173
	s_waitcnt lgkmcnt(2)
	v_mul_f32_e32 v178, v151, v188
	v_fma_f32 v4, v4, v190, -v179
	v_add_f32_e32 v2, v12, v2
	v_mul_f32_e32 v170, v150, v188
	v_fmac_f32_e32 v169, v5, v190
	v_add_f32_e32 v12, v162, v177
	s_waitcnt vmcnt(25)
	v_mul_f32_e32 v173, v153, v193
	v_fma_f32 v150, v150, v189, -v178
	v_add_f32_e32 v2, v2, v4
	v_mul_f32_e32 v172, v152, v193
	v_fmac_f32_e32 v170, v151, v189
	v_add_f32_e32 v4, v12, v169
	s_waitcnt vmcnt(24) lgkmcnt(1)
	v_mul_f32_e32 v12, v7, v194
	v_add_f32_e32 v2, v2, v150
	ds_read2_b64 v[142:145], v1 offset0:121 offset1:122
	ds_read2_b64 v[158:161], v1 offset0:123 offset1:124
	v_mul_f32_e32 v3, v6, v194
	v_add_f32_e32 v4, v4, v170
	s_waitcnt vmcnt(23)
	v_mul_f32_e32 v150, v9, v195
	v_mul_f32_e32 v175, v8, v195
	s_waitcnt vmcnt(22) lgkmcnt(2)
	v_mul_f32_e32 v168, v154, v196
	s_waitcnt vmcnt(21)
	v_mul_f32_e32 v5, v156, v197
	ds_read2_b64 v[146:149], v1 offset0:125 offset1:126
	ds_read_b64 v[10:11], v1 offset:1016
	s_waitcnt vmcnt(20) lgkmcnt(3)
	v_mul_f32_e32 v179, v142, v198
	s_waitcnt vmcnt(19)
	v_mul_f32_e32 v171, v144, v199
	s_waitcnt vmcnt(18) lgkmcnt(2)
	v_mul_f32_e32 v176, v158, v200
	s_waitcnt vmcnt(16)
	v_mul_f32_e32 v180, v160, v206
	s_waitcnt vmcnt(12)
	v_fmac_f32_e32 v168, v155, v210
	s_waitcnt vmcnt(11)
	v_fma_f32 v8, v8, v211, -v150
	s_waitcnt vmcnt(10)
	v_fma_f32 v6, v6, v212, -v12
	;; [unrolled: 2-line block ×3, first 2 shown]
	v_fmac_f32_e32 v172, v153, v213
	v_fmac_f32_e32 v3, v7, v212
	v_mul_f32_e32 v7, v155, v196
	v_fmac_f32_e32 v175, v9, v211
	v_add_f32_e32 v2, v2, v151
	v_add_f32_e32 v4, v4, v172
	s_waitcnt lgkmcnt(1)
	v_mul_f32_e32 v174, v146, v207
	v_mul_f32_e32 v181, v148, v208
	s_waitcnt lgkmcnt(0)
	v_mul_f32_e32 v162, v10, v209
	v_add_f32_e32 v2, v2, v6
	v_add_f32_e32 v3, v4, v3
	v_mul_f32_e32 v4, v157, v197
	v_fma_f32 v6, v154, v210, -v7
	v_mul_f32_e32 v7, v143, v198
	v_add_f32_e32 v2, v2, v8
	v_add_f32_e32 v3, v3, v175
	v_add_f32_e32 v2, v2, v6
	v_add_f32_e32 v3, v3, v168
	v_mul_f32_e32 v6, v145, v199
	s_waitcnt vmcnt(8)
	v_fmac_f32_e32 v176, v159, v163
	s_waitcnt vmcnt(7)
	v_fmac_f32_e32 v171, v145, v164
	s_waitcnt vmcnt(6)
	v_fma_f32 v7, v142, v165, -v7
	s_waitcnt vmcnt(5)
	v_fma_f32 v4, v156, v166, -v4
	v_fmac_f32_e32 v5, v157, v166
	v_fmac_f32_e32 v179, v143, v165
	s_waitcnt vmcnt(1)
	v_fmac_f32_e32 v180, v161, v215
	v_fmac_f32_e32 v174, v147, v214
	v_add_f32_e32 v2, v2, v4
	v_add_f32_e32 v3, v3, v5
	v_mul_f32_e32 v4, v159, v200
	v_fma_f32 v5, v144, v164, -v6
	v_mul_f32_e32 v6, v161, v206
	v_add_f32_e32 v2, v2, v7
	v_add_f32_e32 v3, v3, v179
	v_fma_f32 v4, v158, v163, -v4
	v_fmac_f32_e32 v181, v149, v202
	v_fma_f32 v6, v160, v215, -v6
	v_add_f32_e32 v2, v2, v5
	v_add_f32_e32 v3, v3, v171
	v_mul_f32_e32 v5, v147, v207
	v_fmac_f32_e32 v162, v11, v167
	v_add_f32_e32 v2, v2, v4
	v_add_f32_e32 v3, v3, v176
	v_mul_f32_e32 v4, v149, v208
	v_fma_f32 v5, v146, v214, -v5
	v_add_f32_e32 v2, v2, v6
	v_add_f32_e32 v3, v3, v180
	v_mul_f32_e32 v6, v11, v209
	v_fma_f32 v4, v148, v202, -v4
	v_add_f32_e32 v2, v2, v5
	v_add_f32_e32 v3, v3, v174
	v_fma_f32 v5, v10, v167, -v6
	v_add_f32_e32 v2, v2, v4
	v_add_f32_e32 v3, v3, v181
	;; [unrolled: 1-line block ×4, first 2 shown]
	s_waitcnt vmcnt(0)
	v_sub_f32_e32 v2, v203, v2
	v_sub_f32_e32 v3, v201, v3
	buffer_store_dword v2, off, s[0:3], 0 offset:224
	buffer_store_dword v3, off, s[0:3], 0 offset:228
	v_cmpx_lt_u32_e32 27, v0
	s_cbranch_execz .LBB127_343
; %bb.342:
	s_clause 0x1
	buffer_load_dword v2, off, s[0:3], 0 offset:216
	buffer_load_dword v3, off, s[0:3], 0 offset:220
	buffer_store_dword v1, off, s[0:3], 0 offset:216
	buffer_store_dword v1, off, s[0:3], 0 offset:220
	s_waitcnt vmcnt(0)
	ds_write_b64 v141, v[2:3]
.LBB127_343:
	s_or_b32 exec_lo, exec_lo, s4
	s_waitcnt lgkmcnt(0)
	s_waitcnt_vscnt null, 0x0
	s_barrier
	buffer_gl0_inv
	s_clause 0x23
	buffer_load_dword v150, off, s[0:3], 0 offset:228
	buffer_load_dword v151, off, s[0:3], 0 offset:236
	;; [unrolled: 1-line block ×36, first 2 shown]
	ds_read_b128 v[5:8], v1 offset:736
	s_clause 0x2
	buffer_load_dword v186, off, s[0:3], 0 offset:364
	buffer_load_dword v187, off, s[0:3], 0 offset:372
	buffer_load_dword v188, off, s[0:3], 0 offset:380
	ds_read_b128 v[9:12], v1 offset:752
	s_clause 0x3
	buffer_load_dword v189, off, s[0:3], 0 offset:412
	buffer_load_dword v4, off, s[0:3], 0 offset:420
	;; [unrolled: 1-line block ×4, first 2 shown]
	ds_read_b128 v[142:145], v1 offset:768
	s_clause 0x6
	buffer_load_dword v190, off, s[0:3], 0 offset:388
	buffer_load_dword v191, off, s[0:3], 0 offset:396
	;; [unrolled: 1-line block ×7, first 2 shown]
	ds_read_b128 v[146:149], v1 offset:784
	buffer_load_dword v200, off, s[0:3], 0 offset:220
	s_mov_b32 s4, exec_lo
	s_waitcnt vmcnt(50) lgkmcnt(3)
	v_mul_f32_e32 v197, v6, v150
	v_mul_f32_e32 v198, v5, v150
	s_waitcnt vmcnt(49)
	v_mul_f32_e32 v199, v7, v151
	v_mul_f32_e32 v150, v8, v151
	s_waitcnt vmcnt(46)
	v_fma_f32 v197, v5, v153, -v197
	v_fmac_f32_e32 v198, v6, v153
	v_fmac_f32_e32 v199, v8, v152
	v_fma_f32 v201, v7, v152, -v150
	ds_read_b128 v[5:8], v1 offset:800
	ds_read_b128 v[150:153], v1 offset:816
	s_waitcnt vmcnt(45) lgkmcnt(4)
	v_mul_f32_e32 v202, v9, v155
	v_mul_f32_e32 v155, v10, v155
	s_waitcnt vmcnt(43) lgkmcnt(3)
	v_mul_f32_e32 v204, v142, v157
	v_mul_f32_e32 v157, v143, v157
	v_mul_f32_e32 v203, v11, v156
	v_fmac_f32_e32 v202, v10, v154
	v_fma_f32 v154, v9, v154, -v155
	s_waitcnt vmcnt(42)
	v_mul_f32_e32 v9, v145, v158
	v_mul_f32_e32 v156, v12, v156
	;; [unrolled: 1-line block ×3, first 2 shown]
	s_waitcnt vmcnt(39)
	v_fmac_f32_e32 v204, v143, v161
	v_fma_f32 v142, v142, v161, -v157
	v_fma_f32 v143, v144, v160, -v9
	s_waitcnt vmcnt(37) lgkmcnt(2)
	v_mul_f32_e32 v144, v146, v163
	v_mul_f32_e32 v9, v147, v163
	s_waitcnt vmcnt(36)
	v_mul_f32_e32 v157, v148, v164
	v_mul_f32_e32 v10, v149, v164
	v_fmac_f32_e32 v203, v12, v162
	v_fma_f32 v156, v11, v162, -v156
	s_clause 0x3
	buffer_load_dword v162, off, s[0:3], 0 offset:444
	buffer_load_dword v205, off, s[0:3], 0 offset:452
	;; [unrolled: 1-line block ×4, first 2 shown]
	v_fmac_f32_e32 v155, v145, v160
	s_clause 0x4
	buffer_load_dword v208, off, s[0:3], 0 offset:476
	buffer_load_dword v209, off, s[0:3], 0 offset:484
	;; [unrolled: 1-line block ×5, first 2 shown]
	v_fmac_f32_e32 v144, v147, v159
	v_fma_f32 v145, v146, v159, -v9
	s_waitcnt vmcnt(44) lgkmcnt(1)
	v_mul_f32_e32 v146, v5, v165
	v_mul_f32_e32 v9, v6, v165
	s_waitcnt vmcnt(40)
	v_fmac_f32_e32 v157, v149, v169
	v_fma_f32 v147, v148, v169, -v10
	s_waitcnt vmcnt(39)
	v_mul_f32_e32 v158, v7, v170
	v_mul_f32_e32 v10, v8, v170
	s_clause 0x3
	buffer_load_dword v164, off, s[0:3], 0 offset:432
	buffer_load_dword v165, off, s[0:3], 0 offset:424
	;; [unrolled: 1-line block ×4, first 2 shown]
	v_fmac_f32_e32 v146, v6, v168
	v_fma_f32 v148, v5, v168, -v9
	v_fmac_f32_e32 v158, v8, v167
	v_fma_f32 v159, v7, v167, -v10
	ds_read_b128 v[5:8], v1 offset:832
	s_waitcnt vmcnt(42) lgkmcnt(1)
	v_mul_f32_e32 v160, v150, v171
	v_mul_f32_e32 v9, v151, v171
	s_waitcnt vmcnt(41)
	v_mul_f32_e32 v161, v152, v172
	v_mul_f32_e32 v10, v153, v172
	v_fmac_f32_e32 v160, v151, v166
	v_fma_f32 v150, v150, v166, -v9
	s_clause 0x3
	buffer_load_dword v166, off, s[0:3], 0 offset:464
	buffer_load_dword v167, off, s[0:3], 0 offset:456
	;; [unrolled: 1-line block ×4, first 2 shown]
	v_add_f32_e32 v9, 0, v197
	s_waitcnt vmcnt(41)
	v_fmac_f32_e32 v161, v153, v176
	v_fma_f32 v151, v152, v176, -v10
	v_add_f32_e32 v10, 0, v198
	v_add_f32_e32 v149, v9, v201
	;; [unrolled: 1-line block ×3, first 2 shown]
	ds_read_b128 v[9:12], v1 offset:848
	v_add_f32_e32 v149, v149, v154
	s_waitcnt vmcnt(40) lgkmcnt(1)
	v_mul_f32_e32 v154, v5, v177
	v_mul_f32_e32 v153, v6, v177
	v_add_f32_e32 v152, v152, v202
	s_waitcnt vmcnt(39)
	v_mul_f32_e32 v201, v7, v178
	v_fmac_f32_e32 v154, v6, v175
	v_fma_f32 v172, v5, v175, -v153
	s_clause 0x5
	buffer_load_dword v175, off, s[0:3], 0 offset:496
	buffer_load_dword v176, off, s[0:3], 0 offset:488
	;; [unrolled: 1-line block ×6, first 2 shown]
	v_add_f32_e32 v5, v149, v156
	v_add_f32_e32 v6, v152, v203
	v_fmac_f32_e32 v201, v8, v174
	v_add_f32_e32 v5, v5, v142
	v_add_f32_e32 v6, v6, v204
	v_mul_f32_e32 v142, v8, v178
	s_waitcnt vmcnt(43) lgkmcnt(0)
	v_mul_f32_e32 v153, v12, v180
	v_mul_f32_e32 v178, v9, v179
	v_add_f32_e32 v5, v5, v143
	v_add_f32_e32 v143, v6, v155
	v_fma_f32 v174, v7, v174, -v142
	v_fmac_f32_e32 v178, v10, v173
	v_add_f32_e32 v149, v5, v145
	ds_read_b128 v[5:8], v1 offset:864
	v_add_f32_e32 v152, v143, v144
	ds_read_b128 v[142:145], v1 offset:880
	v_add_f32_e32 v147, v149, v147
	v_mul_f32_e32 v149, v10, v179
	v_add_f32_e32 v152, v152, v157
	v_mul_f32_e32 v179, v11, v180
	s_waitcnt vmcnt(39)
	v_fma_f32 v180, v11, v184, -v153
	v_add_f32_e32 v155, v147, v148
	v_fma_f32 v173, v9, v173, -v149
	v_add_f32_e32 v152, v152, v146
	v_fmac_f32_e32 v179, v12, v184
	ds_read_b128 v[9:12], v1 offset:896
	ds_read_b128 v[146:149], v1 offset:912
	v_add_f32_e32 v153, v155, v159
	v_add_f32_e32 v152, v152, v158
	;; [unrolled: 1-line block ×3, first 2 shown]
	s_waitcnt vmcnt(38) lgkmcnt(3)
	v_mul_f32_e32 v184, v5, v185
	v_mul_f32_e32 v155, v6, v185
	s_waitcnt vmcnt(37)
	v_mul_f32_e32 v185, v7, v186
	v_mul_f32_e32 v156, v8, v186
	v_add_f32_e32 v152, v152, v160
	v_fmac_f32_e32 v184, v6, v183
	v_fma_f32 v183, v5, v183, -v155
	v_add_f32_e32 v155, v150, v151
	v_fmac_f32_e32 v185, v8, v182
	v_fma_f32 v182, v7, v182, -v156
	v_add_f32_e32 v156, v152, v161
	s_waitcnt vmcnt(35) lgkmcnt(2)
	v_mul_f32_e32 v158, v145, v188
	v_add_f32_e32 v159, v155, v172
	s_waitcnt vmcnt(30) lgkmcnt(1)
	v_mul_f32_e32 v160, v10, v190
	v_mul_f32_e32 v186, v142, v187
	v_mul_f32_e32 v157, v143, v187
	s_waitcnt vmcnt(24)
	v_fma_f32 v172, v144, v196, -v158
	v_add_f32_e32 v158, v156, v154
	v_add_f32_e32 v159, v159, v174
	v_mul_f32_e32 v174, v9, v190
	v_fmac_f32_e32 v186, v143, v181
	v_fma_f32 v181, v142, v181, -v157
	v_add_f32_e32 v158, v158, v201
	v_mul_f32_e32 v187, v144, v188
	v_fmac_f32_e32 v174, v10, v195
	v_add_f32_e32 v10, v159, v173
	ds_read_b128 v[5:8], v1 offset:928
	ds_read_b128 v[150:153], v1 offset:944
	v_add_f32_e32 v158, v158, v178
	v_fmac_f32_e32 v187, v145, v196
	v_mul_f32_e32 v161, v12, v191
	v_add_f32_e32 v180, v10, v180
	v_fma_f32 v173, v9, v195, -v160
	v_add_f32_e32 v179, v158, v179
	v_mul_f32_e32 v188, v11, v191
	v_fma_f32 v178, v11, v194, -v161
	v_add_f32_e32 v180, v180, v183
	s_waitcnt lgkmcnt(2)
	v_mul_f32_e32 v183, v147, v192
	v_add_f32_e32 v179, v179, v184
	ds_read_b128 v[142:145], v1 offset:960
	ds_read_b128 v[154:157], v1 offset:976
	v_fmac_f32_e32 v188, v12, v194
	v_add_f32_e32 v180, v180, v182
	ds_read_b128 v[9:12], v1 offset:992
	ds_read_b128 v[158:161], v1 offset:1008
	v_add_f32_e32 v179, v179, v185
	v_mul_f32_e32 v1, v146, v192
	v_mul_f32_e32 v184, v148, v189
	v_add_f32_e32 v180, v180, v181
	v_mul_f32_e32 v189, v149, v189
	v_add_f32_e32 v179, v179, v186
	v_fma_f32 v146, v146, v193, -v183
	v_fmac_f32_e32 v1, v147, v193
	v_add_f32_e32 v172, v180, v172
	s_waitcnt lgkmcnt(5)
	v_mul_f32_e32 v182, v5, v4
	v_add_f32_e32 v179, v179, v187
	v_mul_f32_e32 v4, v6, v4
	v_mul_f32_e32 v185, v7, v3
	v_add_f32_e32 v172, v172, v173
	v_mul_f32_e32 v3, v8, v3
	v_add_f32_e32 v174, v179, v174
	s_waitcnt lgkmcnt(4)
	v_mul_f32_e32 v190, v150, v2
	v_mul_f32_e32 v2, v151, v2
	v_add_f32_e32 v172, v172, v178
	v_add_f32_e32 v174, v174, v188
	;; [unrolled: 1-line block ×4, first 2 shown]
	s_waitcnt vmcnt(22)
	v_mul_f32_e32 v181, v152, v162
	s_waitcnt vmcnt(21) lgkmcnt(3)
	v_mul_f32_e32 v186, v142, v205
	s_waitcnt vmcnt(20)
	v_mul_f32_e32 v191, v144, v206
	s_waitcnt vmcnt(19) lgkmcnt(2)
	v_mul_f32_e32 v180, v154, v207
	;; [unrolled: 4-line block ×4, first 2 shown]
	s_waitcnt vmcnt(14)
	v_mul_f32_e32 v147, v160, v163
	s_waitcnt vmcnt(13)
	v_fma_f32 v2, v150, v164, -v2
	s_waitcnt vmcnt(12)
	v_fma_f32 v3, v7, v165, -v3
	;; [unrolled: 2-line block ×4, first 2 shown]
	v_fmac_f32_e32 v184, v149, v170
	v_fmac_f32_e32 v182, v6, v169
	;; [unrolled: 1-line block ×4, first 2 shown]
	v_add_f32_e32 v5, v146, v148
	v_add_f32_e32 v1, v1, v184
	;; [unrolled: 1-line block ×4, first 2 shown]
	v_mul_f32_e32 v5, v153, v162
	s_waitcnt vmcnt(6)
	v_fmac_f32_e32 v181, v153, v171
	v_fmac_f32_e32 v186, v143, v168
	v_add_f32_e32 v3, v4, v3
	v_add_f32_e32 v1, v1, v185
	v_mul_f32_e32 v4, v143, v205
	v_fma_f32 v5, v152, v171, -v5
	v_fmac_f32_e32 v191, v145, v167
	v_add_f32_e32 v2, v3, v2
	v_add_f32_e32 v1, v1, v190
	v_mul_f32_e32 v3, v145, v206
	v_fma_f32 v4, v142, v168, -v4
	;; [unrolled: 5-line block ×3, first 2 shown]
	s_waitcnt vmcnt(5)
	v_fmac_f32_e32 v179, v159, v175
	v_add_f32_e32 v2, v2, v4
	v_add_f32_e32 v1, v1, v186
	v_mul_f32_e32 v4, v157, v208
	v_fma_f32 v5, v154, v166, -v5
	s_waitcnt vmcnt(2)
	v_fmac_f32_e32 v187, v157, v197
	v_add_f32_e32 v2, v2, v3
	v_add_f32_e32 v1, v1, v191
	v_mul_f32_e32 v3, v10, v209
	v_fma_f32 v4, v156, v197, -v4
	v_fmac_f32_e32 v192, v10, v177
	v_add_f32_e32 v2, v2, v5
	v_add_f32_e32 v1, v1, v180
	v_mul_f32_e32 v5, v12, v210
	v_fma_f32 v3, v9, v177, -v3
	;; [unrolled: 5-line block ×3, first 2 shown]
	s_waitcnt vmcnt(1)
	v_fmac_f32_e32 v147, v161, v198
	v_add_f32_e32 v2, v2, v3
	v_add_f32_e32 v1, v1, v192
	v_mul_f32_e32 v3, v161, v163
	v_fma_f32 v4, v158, v175, -v4
	v_add_f32_e32 v2, v2, v5
	v_add_f32_e32 v1, v1, v173
	v_fma_f32 v3, v160, v198, -v3
	v_add_f32_e32 v2, v2, v4
	v_add_f32_e32 v1, v1, v179
	;; [unrolled: 1-line block ×4, first 2 shown]
	s_waitcnt vmcnt(0)
	v_sub_f32_e32 v2, v199, v2
	v_sub_f32_e32 v1, v200, v1
	buffer_store_dword v2, off, s[0:3], 0 offset:216
	buffer_store_dword v1, off, s[0:3], 0 offset:220
	v_cmpx_lt_u32_e32 26, v0
	s_cbranch_execz .LBB127_345
; %bb.344:
	s_clause 0x1
	buffer_load_dword v1, off, s[0:3], 0 offset:208
	buffer_load_dword v2, off, s[0:3], 0 offset:212
	v_mov_b32_e32 v3, 0
	buffer_store_dword v3, off, s[0:3], 0 offset:208
	buffer_store_dword v3, off, s[0:3], 0 offset:212
	s_waitcnt vmcnt(0)
	ds_write_b64 v141, v[1:2]
.LBB127_345:
	s_or_b32 exec_lo, exec_lo, s4
	s_waitcnt lgkmcnt(0)
	s_waitcnt_vscnt null, 0x0
	s_barrier
	buffer_gl0_inv
	s_clause 0x25
	buffer_load_dword v2, off, s[0:3], 0 offset:220
	buffer_load_dword v3, off, s[0:3], 0 offset:228
	;; [unrolled: 1-line block ×38, first 2 shown]
	v_mov_b32_e32 v1, 0
	ds_read2_b64 v[4:7], v1 offset0:91 offset1:92
	ds_read2_b64 v[8:11], v1 offset0:93 offset1:94
	s_clause 0x10
	buffer_load_dword v185, off, s[0:3], 0 offset:372
	buffer_load_dword v186, off, s[0:3], 0 offset:380
	;; [unrolled: 1-line block ×17, first 2 shown]
	ds_read2_b64 v[142:145], v1 offset0:95 offset1:96
	ds_read2_b64 v[146:149], v1 offset0:97 offset1:98
	s_mov_b32 s4, exec_lo
	s_waitcnt vmcnt(54) lgkmcnt(3)
	v_mul_f32_e32 v202, v5, v2
	v_mul_f32_e32 v203, v4, v2
	s_waitcnt vmcnt(53)
	v_mul_f32_e32 v204, v6, v3
	v_mul_f32_e32 v2, v7, v3
	s_waitcnt vmcnt(52) lgkmcnt(2)
	v_mul_f32_e32 v205, v8, v12
	v_mul_f32_e32 v3, v9, v12
	s_waitcnt vmcnt(49)
	v_fma_f32 v12, v4, v152, -v202
	s_waitcnt vmcnt(48)
	v_mul_f32_e32 v4, v11, v153
	v_fmac_f32_e32 v203, v5, v152
	v_mul_f32_e32 v152, v10, v153
	v_fmac_f32_e32 v204, v7, v151
	v_fma_f32 v151, v6, v151, -v2
	v_fmac_f32_e32 v205, v9, v150
	v_fma_f32 v150, v8, v150, -v3
	s_waitcnt vmcnt(44)
	v_fma_f32 v10, v10, v157, -v4
	ds_read2_b64 v[2:5], v1 offset0:99 offset1:100
	ds_read2_b64 v[6:9], v1 offset0:101 offset1:102
	v_fmac_f32_e32 v152, v11, v157
	s_waitcnt vmcnt(43) lgkmcnt(3)
	v_mul_f32_e32 v11, v142, v158
	v_mul_f32_e32 v153, v143, v158
	s_waitcnt vmcnt(42)
	v_mul_f32_e32 v157, v144, v159
	v_mul_f32_e32 v158, v145, v159
	s_waitcnt vmcnt(41) lgkmcnt(2)
	v_mul_f32_e32 v159, v146, v160
	v_mul_f32_e32 v160, v147, v160
	v_fmac_f32_e32 v11, v143, v156
	v_fma_f32 v142, v142, v156, -v153
	s_waitcnt vmcnt(40)
	v_mul_f32_e32 v143, v148, v161
	v_mul_f32_e32 v153, v149, v161
	v_fmac_f32_e32 v157, v145, v155
	v_fma_f32 v144, v144, v155, -v158
	v_fmac_f32_e32 v159, v147, v154
	v_fma_f32 v145, v146, v154, -v160
	s_waitcnt vmcnt(36)
	v_fmac_f32_e32 v143, v149, v165
	v_fma_f32 v146, v148, v165, -v153
	s_clause 0x3
	buffer_load_dword v202, off, s[0:3], 0 offset:436
	buffer_load_dword v206, off, s[0:3], 0 offset:444
	;; [unrolled: 1-line block ×4, first 2 shown]
	s_waitcnt vmcnt(39) lgkmcnt(1)
	v_mul_f32_e32 v147, v2, v166
	v_mul_f32_e32 v148, v3, v166
	s_waitcnt vmcnt(38)
	v_mul_f32_e32 v149, v4, v167
	v_mul_f32_e32 v153, v5, v167
	s_waitcnt vmcnt(37) lgkmcnt(0)
	v_mul_f32_e32 v155, v7, v168
	s_clause 0x3
	buffer_load_dword v165, off, s[0:3], 0 offset:468
	buffer_load_dword v209, off, s[0:3], 0 offset:476
	;; [unrolled: 1-line block ×4, first 2 shown]
	v_fmac_f32_e32 v147, v3, v164
	v_fma_f32 v148, v2, v164, -v148
	v_mul_f32_e32 v154, v6, v168
	v_fmac_f32_e32 v149, v5, v163
	v_fma_f32 v153, v4, v163, -v153
	ds_read2_b64 v[2:5], v1 offset0:103 offset1:104
	v_fma_f32 v155, v6, v162, -v155
	s_waitcnt vmcnt(40)
	v_mul_f32_e32 v6, v9, v169
	s_clause 0x1
	buffer_load_dword v166, off, s[0:3], 0 offset:500
	buffer_load_dword v163, off, s[0:3], 0 offset:508
	v_fmac_f32_e32 v154, v7, v162
	v_mul_f32_e32 v156, v8, v169
	s_waitcnt vmcnt(38)
	v_fma_f32 v158, v8, v173, -v6
	v_add_f32_e32 v6, 0, v12
	s_clause 0x3
	buffer_load_dword v12, off, s[0:3], 0 offset:456
	buffer_load_dword v162, off, s[0:3], 0 offset:448
	;; [unrolled: 1-line block ×4, first 2 shown]
	v_add_f32_e32 v7, 0, v203
	v_fmac_f32_e32 v156, v9, v173
	v_add_f32_e32 v6, v6, v151
	v_add_f32_e32 v151, v7, v204
	;; [unrolled: 1-line block ×3, first 2 shown]
	ds_read2_b64 v[6:9], v1 offset0:105 offset1:106
	s_waitcnt vmcnt(41) lgkmcnt(1)
	v_mul_f32_e32 v160, v2, v174
	v_mul_f32_e32 v161, v3, v174
	v_add_f32_e32 v151, v151, v205
	v_add_f32_e32 v10, v150, v10
	v_fmac_f32_e32 v160, v3, v172
	v_fma_f32 v150, v2, v172, -v161
	s_clause 0x6
	buffer_load_dword v168, off, s[0:3], 0 offset:488
	buffer_load_dword v169, off, s[0:3], 0 offset:480
	;; [unrolled: 1-line block ×7, first 2 shown]
	v_add_f32_e32 v2, v151, v152
	v_add_f32_e32 v3, v10, v142
	s_waitcnt vmcnt(47)
	v_mul_f32_e32 v10, v4, v175
	v_add_f32_e32 v2, v2, v11
	v_add_f32_e32 v3, v3, v144
	v_mul_f32_e32 v11, v5, v175
	v_fmac_f32_e32 v10, v5, v171
	s_waitcnt vmcnt(45) lgkmcnt(0)
	v_mul_f32_e32 v161, v8, v177
	v_add_f32_e32 v2, v2, v157
	v_add_f32_e32 v3, v3, v145
	v_fma_f32 v11, v4, v171, -v11
	s_waitcnt vmcnt(41)
	v_fmac_f32_e32 v161, v9, v181
	v_add_f32_e32 v142, v2, v159
	v_add_f32_e32 v146, v3, v146
	ds_read2_b64 v[2:5], v1 offset0:107 offset1:108
	v_mul_f32_e32 v159, v6, v176
	v_add_f32_e32 v151, v142, v143
	v_add_f32_e32 v146, v146, v148
	v_mul_f32_e32 v148, v7, v176
	ds_read2_b64 v[142:145], v1 offset0:109 offset1:110
	v_fmac_f32_e32 v159, v7, v170
	v_add_f32_e32 v147, v151, v147
	v_mul_f32_e32 v151, v9, v177
	v_add_f32_e32 v152, v146, v153
	v_fma_f32 v170, v6, v170, -v148
	v_fma_f32 v171, v8, v181, -v151
	v_add_f32_e32 v151, v147, v149
	v_add_f32_e32 v152, v152, v155
	ds_read2_b64 v[6:9], v1 offset0:111 offset1:112
	ds_read2_b64 v[146:149], v1 offset0:113 offset1:114
	v_add_f32_e32 v151, v151, v154
	s_waitcnt vmcnt(39) lgkmcnt(3)
	v_mul_f32_e32 v176, v4, v183
	v_mul_f32_e32 v154, v5, v183
	v_add_f32_e32 v152, v152, v158
	v_mul_f32_e32 v153, v3, v182
	v_add_f32_e32 v151, v151, v156
	v_fmac_f32_e32 v176, v5, v179
	v_fma_f32 v179, v4, v179, -v154
	v_add_f32_e32 v154, v152, v150
	v_mul_f32_e32 v175, v2, v182
	v_add_f32_e32 v156, v151, v160
	v_fma_f32 v158, v2, v180, -v153
	s_waitcnt vmcnt(38) lgkmcnt(2)
	v_mul_f32_e32 v177, v142, v184
	v_add_f32_e32 v11, v154, v11
	v_fmac_f32_e32 v175, v3, v180
	v_add_f32_e32 v10, v156, v10
	v_mul_f32_e32 v155, v143, v184
	s_waitcnt vmcnt(37)
	v_mul_f32_e32 v157, v145, v185
	v_add_f32_e32 v11, v11, v170
	s_waitcnt vmcnt(36) lgkmcnt(1)
	v_mul_f32_e32 v170, v6, v186
	v_add_f32_e32 v10, v10, v159
	v_mul_f32_e32 v159, v7, v186
	v_fmac_f32_e32 v177, v143, v178
	v_fma_f32 v178, v142, v178, -v155
	s_waitcnt vmcnt(31)
	v_fmac_f32_e32 v170, v7, v191
	v_add_f32_e32 v7, v11, v171
	v_add_f32_e32 v10, v10, v161
	v_mul_f32_e32 v181, v144, v185
	s_waitcnt vmcnt(30)
	v_fma_f32 v180, v144, v192, -v157
	ds_read2_b64 v[2:5], v1 offset0:115 offset1:116
	ds_read2_b64 v[150:153], v1 offset0:117 offset1:118
	v_add_f32_e32 v184, v7, v158
	v_add_f32_e32 v175, v10, v175
	v_fmac_f32_e32 v181, v145, v192
	v_mul_f32_e32 v160, v9, v187
	v_fma_f32 v171, v6, v191, -v159
	v_add_f32_e32 v179, v184, v179
	v_add_f32_e32 v175, v175, v176
	v_mul_f32_e32 v182, v8, v187
	v_fma_f32 v183, v8, v190, -v160
	s_waitcnt lgkmcnt(2)
	v_mul_f32_e32 v185, v147, v188
	v_add_f32_e32 v178, v179, v178
	v_add_f32_e32 v175, v175, v177
	v_fmac_f32_e32 v182, v9, v190
	v_mul_f32_e32 v184, v146, v188
	s_waitcnt vmcnt(29)
	v_mul_f32_e32 v186, v149, v193
	v_add_f32_e32 v178, v178, v180
	v_add_f32_e32 v175, v175, v181
	v_fma_f32 v146, v146, v189, -v185
	v_mul_f32_e32 v176, v148, v193
	v_fmac_f32_e32 v184, v147, v189
	v_add_f32_e32 v171, v178, v171
	v_add_f32_e32 v170, v175, v170
	s_waitcnt vmcnt(28) lgkmcnt(1)
	v_mul_f32_e32 v179, v2, v194
	v_mul_f32_e32 v185, v3, v194
	s_waitcnt vmcnt(22)
	v_fma_f32 v148, v148, v200, -v186
	v_add_f32_e32 v171, v171, v183
	v_add_f32_e32 v170, v170, v182
	ds_read2_b64 v[142:145], v1 offset0:119 offset1:120
	ds_read2_b64 v[154:157], v1 offset0:121 offset1:122
	v_fmac_f32_e32 v176, v149, v200
	v_mul_f32_e32 v182, v5, v195
	v_add_f32_e32 v146, v171, v146
	v_add_f32_e32 v170, v170, v184
	v_fmac_f32_e32 v179, v3, v199
	v_fma_f32 v2, v2, v199, -v185
	v_mul_f32_e32 v177, v4, v195
	v_add_f32_e32 v3, v146, v148
	v_add_f32_e32 v146, v170, v176
	s_waitcnt lgkmcnt(2)
	v_mul_f32_e32 v148, v151, v196
	v_fma_f32 v4, v4, v198, -v182
	v_mul_f32_e32 v147, v150, v196
	v_add_f32_e32 v2, v3, v2
	v_fmac_f32_e32 v177, v5, v198
	v_add_f32_e32 v3, v146, v179
	v_fma_f32 v146, v150, v197, -v148
	v_fmac_f32_e32 v147, v151, v197
	v_add_f32_e32 v2, v2, v4
	ds_read2_b64 v[6:9], v1 offset0:123 offset1:124
	ds_read2_b64 v[158:161], v1 offset0:125 offset1:126
	ds_read_b64 v[10:11], v1 offset:1016
	v_add_f32_e32 v3, v3, v177
	v_add_f32_e32 v2, v2, v146
	;; [unrolled: 1-line block ×3, first 2 shown]
	s_waitcnt vmcnt(20)
	v_mul_f32_e32 v5, v153, v202
	v_mul_f32_e32 v180, v152, v202
	s_waitcnt vmcnt(19) lgkmcnt(4)
	v_mul_f32_e32 v4, v143, v206
	v_mul_f32_e32 v181, v142, v206
	s_waitcnt vmcnt(18)
	v_mul_f32_e32 v146, v145, v207
	v_mul_f32_e32 v149, v144, v207
	s_waitcnt vmcnt(17) lgkmcnt(3)
	v_mul_f32_e32 v186, v154, v208
	s_waitcnt vmcnt(16)
	v_mul_f32_e32 v175, v156, v165
	s_waitcnt vmcnt(15) lgkmcnt(2)
	v_mul_f32_e32 v178, v6, v209
	s_waitcnt vmcnt(14)
	;; [unrolled: 4-line block ×4, first 2 shown]
	v_fmac_f32_e32 v186, v155, v12
	s_waitcnt vmcnt(9)
	v_fmac_f32_e32 v149, v145, v162
	s_waitcnt vmcnt(8)
	v_fma_f32 v4, v142, v164, -v4
	s_waitcnt vmcnt(7)
	v_fma_f32 v5, v152, v167, -v5
	v_fmac_f32_e32 v180, v153, v167
	v_fmac_f32_e32 v181, v143, v164
	v_fma_f32 v142, v144, v162, -v146
	v_add_f32_e32 v2, v2, v5
	v_add_f32_e32 v3, v3, v180
	v_mul_f32_e32 v5, v155, v208
	v_add_f32_e32 v2, v2, v4
	v_add_f32_e32 v3, v3, v181
	v_mul_f32_e32 v4, v157, v165
	v_fma_f32 v5, v154, v12, -v5
	v_mul_f32_e32 v12, v7, v209
	v_add_f32_e32 v2, v2, v142
	v_add_f32_e32 v3, v3, v149
	s_waitcnt vmcnt(4)
	v_fmac_f32_e32 v178, v7, v172
	s_waitcnt vmcnt(3)
	v_fma_f32 v4, v156, v173, -v4
	v_fmac_f32_e32 v175, v157, v173
	v_add_f32_e32 v2, v2, v5
	v_add_f32_e32 v3, v3, v186
	v_mul_f32_e32 v5, v9, v210
	v_fma_f32 v6, v6, v172, -v12
	v_fmac_f32_e32 v187, v9, v169
	v_add_f32_e32 v2, v2, v4
	v_add_f32_e32 v3, v3, v175
	v_mul_f32_e32 v4, v159, v211
	;; [unrolled: 5-line block ×3, first 2 shown]
	v_fma_f32 v4, v158, v168, -v4
	s_waitcnt vmcnt(1)
	v_fmac_f32_e32 v188, v161, v203
	v_add_f32_e32 v2, v2, v5
	v_add_f32_e32 v3, v3, v187
	v_mul_f32_e32 v5, v11, v163
	v_fma_f32 v6, v160, v203, -v6
	v_fmac_f32_e32 v171, v11, v174
	v_add_f32_e32 v2, v2, v4
	v_add_f32_e32 v3, v3, v183
	v_fma_f32 v4, v10, v174, -v5
	v_add_f32_e32 v2, v2, v6
	v_add_f32_e32 v3, v3, v188
	;; [unrolled: 1-line block ×4, first 2 shown]
	s_waitcnt vmcnt(0)
	v_sub_f32_e32 v2, v204, v2
	v_sub_f32_e32 v3, v201, v3
	buffer_store_dword v2, off, s[0:3], 0 offset:208
	buffer_store_dword v3, off, s[0:3], 0 offset:212
	v_cmpx_lt_u32_e32 25, v0
	s_cbranch_execz .LBB127_347
; %bb.346:
	s_clause 0x1
	buffer_load_dword v2, off, s[0:3], 0 offset:200
	buffer_load_dword v3, off, s[0:3], 0 offset:204
	buffer_store_dword v1, off, s[0:3], 0 offset:200
	buffer_store_dword v1, off, s[0:3], 0 offset:204
	s_waitcnt vmcnt(0)
	ds_write_b64 v141, v[2:3]
.LBB127_347:
	s_or_b32 exec_lo, exec_lo, s4
	s_waitcnt lgkmcnt(0)
	s_waitcnt_vscnt null, 0x0
	s_barrier
	buffer_gl0_inv
	s_clause 0x1e
	buffer_load_dword v2, off, s[0:3], 0 offset:212
	buffer_load_dword v3, off, s[0:3], 0 offset:220
	;; [unrolled: 1-line block ×31, first 2 shown]
	ds_read_b128 v[4:7], v1 offset:720
	s_clause 0x3
	buffer_load_dword v186, off, s[0:3], 0 offset:352
	buffer_load_dword v187, off, s[0:3], 0 offset:344
	;; [unrolled: 1-line block ×4, first 2 shown]
	ds_read_b128 v[8:11], v1 offset:736
	s_clause 0xa
	buffer_load_dword v190, off, s[0:3], 0 offset:340
	buffer_load_dword v191, off, s[0:3], 0 offset:348
	;; [unrolled: 1-line block ×11, first 2 shown]
	ds_read_b128 v[142:145], v1 offset:752
	ds_read_b128 v[146:149], v1 offset:768
	;; [unrolled: 1-line block ×4, first 2 shown]
	buffer_load_dword v201, off, s[0:3], 0 offset:204
	s_mov_b32 s4, exec_lo
	s_waitcnt vmcnt(46) lgkmcnt(5)
	v_mul_f32_e32 v202, v5, v2
	v_mul_f32_e32 v203, v4, v2
	s_waitcnt vmcnt(45)
	v_mul_f32_e32 v204, v6, v3
	v_mul_f32_e32 v2, v7, v3
	s_waitcnt vmcnt(44) lgkmcnt(4)
	v_mul_f32_e32 v205, v8, v12
	v_mul_f32_e32 v3, v9, v12
	s_waitcnt vmcnt(41)
	v_fma_f32 v12, v4, v160, -v202
	v_fmac_f32_e32 v203, v5, v160
	s_waitcnt vmcnt(40)
	v_mul_f32_e32 v160, v10, v161
	v_mul_f32_e32 v4, v11, v161
	v_fmac_f32_e32 v204, v7, v159
	s_waitcnt vmcnt(35) lgkmcnt(3)
	v_mul_f32_e32 v161, v143, v166
	v_fma_f32 v159, v6, v159, -v2
	v_fmac_f32_e32 v160, v11, v165
	v_mul_f32_e32 v11, v142, v166
	v_fma_f32 v10, v10, v165, -v4
	s_waitcnt vmcnt(34)
	v_mul_f32_e32 v165, v144, v167
	v_mul_f32_e32 v166, v145, v167
	s_waitcnt vmcnt(33) lgkmcnt(2)
	v_mul_f32_e32 v167, v146, v168
	v_mul_f32_e32 v168, v147, v168
	v_fmac_f32_e32 v11, v143, v164
	v_fma_f32 v142, v142, v164, -v161
	s_waitcnt vmcnt(32)
	v_mul_f32_e32 v143, v148, v169
	v_mul_f32_e32 v161, v149, v169
	v_fmac_f32_e32 v205, v9, v158
	v_fma_f32 v158, v8, v158, -v3
	ds_read_b128 v[2:5], v1 offset:816
	ds_read_b128 v[6:9], v1 offset:832
	v_fmac_f32_e32 v165, v145, v163
	v_fma_f32 v144, v144, v163, -v166
	v_fmac_f32_e32 v167, v147, v162
	v_fma_f32 v145, v146, v162, -v168
	s_waitcnt vmcnt(28)
	v_fmac_f32_e32 v143, v149, v173
	v_fma_f32 v146, v148, v173, -v161
	s_clause 0x7
	buffer_load_dword v161, off, s[0:3], 0 offset:396
	buffer_load_dword v162, off, s[0:3], 0 offset:404
	;; [unrolled: 1-line block ×8, first 2 shown]
	s_waitcnt vmcnt(35) lgkmcnt(3)
	v_mul_f32_e32 v147, v150, v174
	v_mul_f32_e32 v148, v151, v174
	s_waitcnt vmcnt(34)
	v_mul_f32_e32 v149, v152, v175
	v_mul_f32_e32 v174, v153, v175
	s_waitcnt vmcnt(33) lgkmcnt(2)
	v_mul_f32_e32 v175, v154, v176
	v_mul_f32_e32 v176, v155, v176
	v_fmac_f32_e32 v147, v151, v172
	v_fma_f32 v148, v150, v172, -v148
	s_waitcnt vmcnt(32)
	v_mul_f32_e32 v150, v156, v177
	v_mul_f32_e32 v151, v157, v177
	v_fmac_f32_e32 v149, v153, v171
	v_fmac_f32_e32 v175, v155, v170
	v_fma_f32 v153, v154, v170, -v176
	s_waitcnt vmcnt(28)
	v_fmac_f32_e32 v150, v157, v181
	v_fma_f32 v151, v156, v181, -v151
	s_waitcnt vmcnt(27) lgkmcnt(1)
	v_mul_f32_e32 v154, v2, v182
	v_mul_f32_e32 v155, v3, v182
	s_waitcnt vmcnt(26)
	v_mul_f32_e32 v156, v4, v183
	v_mul_f32_e32 v157, v5, v183
	v_fma_f32 v152, v152, v171, -v174
	s_clause 0x8
	buffer_load_dword v171, off, s[0:3], 0 offset:428
	buffer_load_dword v172, off, s[0:3], 0 offset:436
	;; [unrolled: 1-line block ×9, first 2 shown]
	v_fmac_f32_e32 v154, v3, v180
	v_fma_f32 v155, v2, v180, -v155
	buffer_load_dword v180, off, s[0:3], 0 offset:500
	v_fmac_f32_e32 v156, v5, v179
	v_fma_f32 v157, v4, v179, -v157
	s_clause 0x4
	buffer_load_dword v179, off, s[0:3], 0 offset:508
	buffer_load_dword v183, off, s[0:3], 0 offset:448
	;; [unrolled: 1-line block ×5, first 2 shown]
	v_add_f32_e32 v3, 0, v203
	v_add_f32_e32 v2, 0, v12
	s_waitcnt vmcnt(40) lgkmcnt(0)
	v_mul_f32_e32 v4, v7, v184
	v_add_f32_e32 v3, v3, v204
	v_add_f32_e32 v2, v2, v159
	v_fma_f32 v159, v6, v178, -v4
	v_add_f32_e32 v3, v3, v205
	s_clause 0x3
	buffer_load_dword v12, off, s[0:3], 0 offset:480
	buffer_load_dword v203, off, s[0:3], 0 offset:472
	buffer_load_dword v204, off, s[0:3], 0 offset:464
	buffer_load_dword v205, off, s[0:3], 0 offset:456
	v_add_f32_e32 v2, v2, v158
	v_mul_f32_e32 v158, v6, v184
	v_add_f32_e32 v3, v3, v160
	s_waitcnt vmcnt(43)
	v_mul_f32_e32 v160, v8, v185
	v_add_f32_e32 v2, v2, v10
	s_clause 0x2
	buffer_load_dword v10, off, s[0:3], 0 offset:504
	buffer_load_dword v209, off, s[0:3], 0 offset:496
	;; [unrolled: 1-line block ×3, first 2 shown]
	v_fmac_f32_e32 v158, v7, v178
	v_add_f32_e32 v3, v3, v11
	buffer_load_dword v11, off, s[0:3], 0 offset:200
	v_add_f32_e32 v2, v2, v142
	s_waitcnt vmcnt(43)
	v_fmac_f32_e32 v160, v9, v189
	v_add_f32_e32 v3, v3, v165
	v_add_f32_e32 v2, v2, v144
	;; [unrolled: 1-line block ×4, first 2 shown]
	ds_read_b128 v[2:5], v1 offset:848
	v_add_f32_e32 v143, v7, v143
	v_add_f32_e32 v142, v6, v146
	v_mul_f32_e32 v6, v9, v185
	v_add_f32_e32 v147, v143, v147
	v_add_f32_e32 v146, v142, v148
	v_fma_f32 v165, v8, v189, -v6
	ds_read_b128 v[6:9], v1 offset:864
	ds_read_b128 v[142:145], v1 offset:880
	v_add_f32_e32 v147, v147, v149
	v_add_f32_e32 v146, v146, v152
	;; [unrolled: 1-line block ×3, first 2 shown]
	s_waitcnt vmcnt(42) lgkmcnt(2)
	v_mul_f32_e32 v148, v3, v190
	v_mul_f32_e32 v167, v2, v190
	v_fma_f32 v178, v2, v188, -v148
	v_add_f32_e32 v2, v147, v175
	v_fmac_f32_e32 v167, v3, v188
	v_add_f32_e32 v3, v152, v151
	ds_read_b128 v[146:149], v1 offset:896
	s_waitcnt vmcnt(41)
	v_mul_f32_e32 v175, v4, v191
	v_add_f32_e32 v2, v2, v150
	s_waitcnt vmcnt(40) lgkmcnt(2)
	v_mul_f32_e32 v184, v6, v192
	v_mul_f32_e32 v150, v7, v192
	v_add_f32_e32 v3, v3, v155
	s_waitcnt vmcnt(38) lgkmcnt(1)
	v_mul_f32_e32 v188, v142, v194
	v_add_f32_e32 v2, v2, v154
	v_fmac_f32_e32 v184, v7, v186
	v_fma_f32 v186, v6, v186, -v150
	v_add_f32_e32 v6, v3, v157
	v_mul_f32_e32 v154, v143, v194
	v_add_f32_e32 v7, v2, v156
	s_waitcnt vmcnt(33)
	v_fmac_f32_e32 v188, v143, v199
	v_mul_f32_e32 v151, v5, v191
	v_add_f32_e32 v143, v6, v159
	v_fma_f32 v190, v142, v199, -v154
	v_add_f32_e32 v142, v7, v158
	v_fmac_f32_e32 v175, v5, v187
	v_fma_f32 v187, v4, v187, -v151
	v_add_f32_e32 v143, v143, v165
	s_waitcnt lgkmcnt(0)
	v_mul_f32_e32 v159, v147, v196
	v_add_f32_e32 v142, v142, v160
	v_mul_f32_e32 v191, v146, v196
	v_mul_f32_e32 v155, v9, v193
	v_add_f32_e32 v143, v143, v178
	v_fma_f32 v194, v146, v197, -v159
	v_add_f32_e32 v146, v142, v167
	v_mul_f32_e32 v185, v8, v193
	s_waitcnt vmcnt(32)
	v_fma_f32 v189, v8, v200, -v155
	v_add_f32_e32 v167, v143, v187
	ds_read_b128 v[2:5], v1 offset:912
	ds_read_b128 v[150:153], v1 offset:928
	v_add_f32_e32 v175, v146, v175
	v_fmac_f32_e32 v185, v9, v200
	v_mul_f32_e32 v158, v145, v195
	v_add_f32_e32 v167, v167, v186
	v_mul_f32_e32 v165, v144, v195
	v_add_f32_e32 v175, v175, v184
	v_fmac_f32_e32 v191, v147, v197
	v_fma_f32 v193, v144, v198, -v158
	v_add_f32_e32 v167, v167, v189
	v_fmac_f32_e32 v165, v145, v198
	v_add_f32_e32 v175, v175, v185
	ds_read_b128 v[6:9], v1 offset:944
	ds_read_b128 v[154:157], v1 offset:960
	v_add_f32_e32 v167, v167, v190
	v_add_f32_e32 v175, v175, v188
	;; [unrolled: 1-line block ×6, first 2 shown]
	s_waitcnt vmcnt(30)
	v_mul_f32_e32 v178, v148, v161
	v_mul_f32_e32 v192, v149, v161
	ds_read_b128 v[142:145], v1 offset:976
	ds_read_b128 v[158:161], v1 offset:992
	s_waitcnt vmcnt(28) lgkmcnt(5)
	v_mul_f32_e32 v184, v4, v163
	v_mul_f32_e32 v163, v5, v163
	s_waitcnt vmcnt(27) lgkmcnt(4)
	v_mul_f32_e32 v186, v150, v164
	v_mul_f32_e32 v164, v151, v164
	s_waitcnt vmcnt(23)
	v_fmac_f32_e32 v178, v149, v173
	v_fma_f32 v173, v148, v173, -v192
	ds_read_b128 v[146:149], v1 offset:1008
	v_mul_f32_e32 v1, v2, v162
	v_mul_f32_e32 v162, v3, v162
	v_add_f32_e32 v165, v165, v178
	v_fma_f32 v4, v4, v168, -v163
	v_fmac_f32_e32 v184, v5, v168
	v_fmac_f32_e32 v1, v3, v169
	v_fma_f32 v2, v2, v169, -v162
	v_add_f32_e32 v162, v167, v173
	v_fma_f32 v150, v150, v166, -v164
	v_fmac_f32_e32 v186, v151, v166
	v_add_f32_e32 v1, v165, v1
	v_add_f32_e32 v2, v162, v2
	s_waitcnt vmcnt(22)
	v_mul_f32_e32 v5, v153, v171
	v_mul_f32_e32 v185, v152, v171
	v_add_f32_e32 v2, v2, v4
	v_add_f32_e32 v1, v1, v184
	s_waitcnt vmcnt(21) lgkmcnt(4)
	v_mul_f32_e32 v4, v7, v172
	v_mul_f32_e32 v187, v6, v172
	s_waitcnt vmcnt(20)
	v_mul_f32_e32 v189, v8, v174
	v_add_f32_e32 v2, v2, v150
	v_add_f32_e32 v1, v1, v186
	v_mul_f32_e32 v150, v9, v174
	s_waitcnt vmcnt(9)
	v_fma_f32 v4, v6, v207, -v4
	s_waitcnt vmcnt(8)
	v_fma_f32 v5, v152, v208, -v5
	v_fmac_f32_e32 v185, v153, v208
	v_fmac_f32_e32 v187, v7, v207
	v_fma_f32 v6, v8, v206, -v150
	s_waitcnt lgkmcnt(3)
	v_mul_f32_e32 v188, v154, v177
	v_add_f32_e32 v2, v2, v5
	v_add_f32_e32 v1, v1, v185
	v_mul_f32_e32 v5, v155, v177
	v_fmac_f32_e32 v189, v9, v206
	v_mul_f32_e32 v190, v156, v170
	v_add_f32_e32 v2, v2, v4
	v_add_f32_e32 v1, v1, v187
	v_mul_f32_e32 v4, v157, v170
	v_fma_f32 v5, v154, v183, -v5
	v_fmac_f32_e32 v188, v155, v183
	v_add_f32_e32 v2, v2, v6
	v_add_f32_e32 v1, v1, v189
	s_waitcnt lgkmcnt(2)
	v_mul_f32_e32 v6, v143, v176
	s_waitcnt vmcnt(4)
	v_fma_f32 v4, v156, v205, -v4
	v_mul_f32_e32 v192, v142, v176
	v_add_f32_e32 v2, v2, v5
	v_fmac_f32_e32 v190, v157, v205
	v_add_f32_e32 v1, v1, v188
	v_mul_f32_e32 v5, v145, v181
	v_fma_f32 v6, v142, v204, -v6
	v_add_f32_e32 v2, v2, v4
	v_mul_f32_e32 v175, v144, v181
	v_fmac_f32_e32 v192, v143, v204
	v_add_f32_e32 v1, v1, v190
	s_waitcnt lgkmcnt(1)
	v_mul_f32_e32 v4, v159, v202
	v_fma_f32 v5, v144, v203, -v5
	v_add_f32_e32 v2, v2, v6
	v_mul_f32_e32 v193, v158, v202
	v_fmac_f32_e32 v175, v145, v203
	v_add_f32_e32 v1, v1, v192
	v_mul_f32_e32 v6, v161, v182
	v_fma_f32 v4, v158, v12, -v4
	v_add_f32_e32 v2, v2, v5
	v_mul_f32_e32 v194, v160, v182
	v_fmac_f32_e32 v193, v159, v12
	v_add_f32_e32 v1, v1, v175
	s_waitcnt lgkmcnt(0)
	v_mul_f32_e32 v5, v147, v180
	s_waitcnt vmcnt(1)
	v_fma_f32 v6, v160, v210, -v6
	v_add_f32_e32 v2, v2, v4
	v_mul_f32_e32 v191, v146, v180
	v_fmac_f32_e32 v194, v161, v210
	v_add_f32_e32 v1, v1, v193
	v_mul_f32_e32 v4, v149, v179
	v_fma_f32 v5, v146, v209, -v5
	v_add_f32_e32 v2, v2, v6
	v_mul_f32_e32 v3, v148, v179
	v_fmac_f32_e32 v191, v147, v209
	v_add_f32_e32 v1, v1, v194
	v_fma_f32 v4, v148, v10, -v4
	v_add_f32_e32 v2, v2, v5
	v_fmac_f32_e32 v3, v149, v10
	v_add_f32_e32 v1, v1, v191
	v_add_f32_e32 v2, v2, v4
	;; [unrolled: 1-line block ×3, first 2 shown]
	s_waitcnt vmcnt(0)
	v_sub_f32_e32 v2, v11, v2
	v_sub_f32_e32 v1, v201, v1
	buffer_store_dword v2, off, s[0:3], 0 offset:200
	buffer_store_dword v1, off, s[0:3], 0 offset:204
	v_cmpx_lt_u32_e32 24, v0
	s_cbranch_execz .LBB127_349
; %bb.348:
	s_clause 0x1
	buffer_load_dword v1, off, s[0:3], 0 offset:192
	buffer_load_dword v2, off, s[0:3], 0 offset:196
	v_mov_b32_e32 v3, 0
	buffer_store_dword v3, off, s[0:3], 0 offset:192
	buffer_store_dword v3, off, s[0:3], 0 offset:196
	s_waitcnt vmcnt(0)
	ds_write_b64 v141, v[1:2]
.LBB127_349:
	s_or_b32 exec_lo, exec_lo, s4
	s_waitcnt lgkmcnt(0)
	s_waitcnt_vscnt null, 0x0
	s_barrier
	buffer_gl0_inv
	s_clause 0x25
	buffer_load_dword v2, off, s[0:3], 0 offset:204
	buffer_load_dword v3, off, s[0:3], 0 offset:212
	;; [unrolled: 1-line block ×38, first 2 shown]
	v_mov_b32_e32 v1, 0
	ds_read2_b64 v[4:7], v1 offset0:89 offset1:90
	ds_read2_b64 v[8:11], v1 offset0:91 offset1:92
	s_clause 0x10
	buffer_load_dword v185, off, s[0:3], 0 offset:356
	buffer_load_dword v186, off, s[0:3], 0 offset:364
	;; [unrolled: 1-line block ×17, first 2 shown]
	ds_read2_b64 v[142:145], v1 offset0:93 offset1:94
	ds_read2_b64 v[146:149], v1 offset0:95 offset1:96
	s_mov_b32 s4, exec_lo
	s_waitcnt vmcnt(54) lgkmcnt(3)
	v_mul_f32_e32 v202, v5, v2
	v_mul_f32_e32 v203, v4, v2
	s_waitcnt vmcnt(53)
	v_mul_f32_e32 v204, v6, v3
	v_mul_f32_e32 v2, v7, v3
	s_waitcnt vmcnt(52) lgkmcnt(2)
	v_mul_f32_e32 v205, v8, v12
	v_mul_f32_e32 v3, v9, v12
	s_waitcnt vmcnt(49)
	v_fma_f32 v12, v4, v152, -v202
	v_fmac_f32_e32 v203, v5, v152
	s_waitcnt vmcnt(48)
	v_mul_f32_e32 v152, v10, v153
	v_mul_f32_e32 v4, v11, v153
	v_fmac_f32_e32 v204, v7, v151
	s_waitcnt vmcnt(43) lgkmcnt(1)
	v_mul_f32_e32 v153, v143, v158
	v_fma_f32 v151, v6, v151, -v2
	v_fmac_f32_e32 v205, v9, v150
	v_fma_f32 v150, v8, v150, -v3
	v_fmac_f32_e32 v152, v11, v157
	v_fma_f32 v10, v10, v157, -v4
	ds_read2_b64 v[2:5], v1 offset0:97 offset1:98
	ds_read2_b64 v[6:9], v1 offset0:99 offset1:100
	v_mul_f32_e32 v11, v142, v158
	s_waitcnt vmcnt(42)
	v_mul_f32_e32 v157, v144, v159
	v_mul_f32_e32 v158, v145, v159
	s_waitcnt vmcnt(41) lgkmcnt(2)
	v_mul_f32_e32 v159, v146, v160
	v_fma_f32 v153, v142, v156, -v153
	s_waitcnt vmcnt(40)
	v_mul_f32_e32 v142, v149, v161
	v_mul_f32_e32 v160, v147, v160
	v_fmac_f32_e32 v11, v143, v156
	v_fmac_f32_e32 v157, v145, v155
	v_fma_f32 v155, v144, v155, -v158
	s_clause 0x3
	buffer_load_dword v202, off, s[0:3], 0 offset:420
	buffer_load_dword v206, off, s[0:3], 0 offset:428
	;; [unrolled: 1-line block ×4, first 2 shown]
	v_fmac_f32_e32 v159, v147, v154
	s_waitcnt vmcnt(40)
	v_fma_f32 v147, v148, v165, -v142
	ds_read2_b64 v[142:145], v1 offset0:101 offset1:102
	v_mul_f32_e32 v156, v148, v161
	v_fma_f32 v146, v146, v154, -v160
	s_waitcnt vmcnt(39) lgkmcnt(2)
	v_mul_f32_e32 v148, v2, v166
	v_fmac_f32_e32 v156, v149, v165
	v_mul_f32_e32 v149, v3, v166
	s_waitcnt vmcnt(37) lgkmcnt(1)
	v_mul_f32_e32 v161, v7, v168
	v_mul_f32_e32 v154, v4, v167
	;; [unrolled: 1-line block ×4, first 2 shown]
	v_fmac_f32_e32 v148, v3, v164
	v_fma_f32 v149, v2, v164, -v149
	s_waitcnt vmcnt(36)
	v_mul_f32_e32 v164, v8, v169
	v_mul_f32_e32 v2, v9, v169
	v_fma_f32 v161, v6, v162, -v161
	v_fmac_f32_e32 v154, v5, v163
	v_fma_f32 v158, v4, v163, -v158
	s_clause 0x3
	buffer_load_dword v163, off, s[0:3], 0 offset:452
	buffer_load_dword v165, off, s[0:3], 0 offset:460
	;; [unrolled: 1-line block ×4, first 2 shown]
	s_waitcnt vmcnt(35) lgkmcnt(0)
	v_mul_f32_e32 v168, v142, v174
	v_mul_f32_e32 v6, v143, v174
	v_fmac_f32_e32 v160, v7, v162
	v_fmac_f32_e32 v164, v9, v173
	v_fma_f32 v162, v8, v173, -v2
	ds_read2_b64 v[2:5], v1 offset0:103 offset1:104
	s_waitcnt vmcnt(34)
	v_mul_f32_e32 v169, v144, v175
	v_mul_f32_e32 v7, v145, v175
	buffer_load_dword v173, off, s[0:3], 0 offset:484
	v_fmac_f32_e32 v168, v143, v172
	v_fma_f32 v172, v142, v172, -v6
	v_add_f32_e32 v6, 0, v12
	s_clause 0x6
	buffer_load_dword v12, off, s[0:3], 0 offset:492
	buffer_load_dword v174, off, s[0:3], 0 offset:500
	;; [unrolled: 1-line block ×7, first 2 shown]
	v_fmac_f32_e32 v169, v145, v171
	v_fma_f32 v171, v144, v171, -v7
	v_add_f32_e32 v7, 0, v203
	v_add_f32_e32 v6, v6, v151
	;; [unrolled: 1-line block ×4, first 2 shown]
	s_waitcnt vmcnt(41) lgkmcnt(0)
	v_mul_f32_e32 v8, v3, v176
	v_add_f32_e32 v7, v7, v205
	s_clause 0x8
	buffer_load_dword v203, off, s[0:3], 0 offset:472
	buffer_load_dword v204, off, s[0:3], 0 offset:464
	;; [unrolled: 1-line block ×9, first 2 shown]
	v_add_f32_e32 v6, v6, v10
	v_add_f32_e32 v7, v7, v152
	v_mul_f32_e32 v10, v2, v176
	v_add_f32_e32 v6, v6, v153
	v_add_f32_e32 v7, v7, v11
	v_fmac_f32_e32 v10, v3, v170
	v_fma_f32 v11, v2, v170, -v8
	v_add_f32_e32 v6, v6, v155
	v_add_f32_e32 v7, v7, v157
	s_waitcnt vmcnt(49)
	v_mul_f32_e32 v155, v4, v177
	v_add_f32_e32 v6, v6, v146
	v_add_f32_e32 v7, v7, v159
	s_waitcnt vmcnt(45)
	v_fmac_f32_e32 v155, v5, v181
	v_add_f32_e32 v2, v6, v147
	v_add_f32_e32 v3, v7, v156
	ds_read2_b64 v[6:9], v1 offset0:105 offset1:106
	v_add_f32_e32 v142, v2, v149
	v_mul_f32_e32 v2, v5, v177
	v_add_f32_e32 v143, v3, v148
	v_add_f32_e32 v146, v142, v158
	v_fma_f32 v156, v4, v181, -v2
	ds_read2_b64 v[2:5], v1 offset0:107 offset1:108
	v_add_f32_e32 v147, v143, v154
	ds_read2_b64 v[142:145], v1 offset0:109 offset1:110
	v_add_f32_e32 v146, v146, v161
	v_add_f32_e32 v147, v147, v160
	;; [unrolled: 1-line block ×3, first 2 shown]
	s_waitcnt vmcnt(44) lgkmcnt(2)
	v_mul_f32_e32 v148, v7, v182
	v_mul_f32_e32 v158, v6, v182
	s_waitcnt vmcnt(43)
	v_mul_f32_e32 v160, v8, v183
	v_fma_f32 v159, v6, v180, -v148
	v_add_f32_e32 v6, v147, v164
	v_fmac_f32_e32 v158, v7, v180
	v_add_f32_e32 v7, v150, v172
	ds_read2_b64 v[146:149], v1 offset0:111 offset1:112
	s_waitcnt vmcnt(42) lgkmcnt(2)
	v_mul_f32_e32 v151, v3, v184
	v_add_f32_e32 v6, v6, v168
	v_mul_f32_e32 v162, v2, v184
	v_add_f32_e32 v7, v7, v171
	v_mul_f32_e32 v150, v9, v183
	v_fmac_f32_e32 v160, v9, v179
	v_add_f32_e32 v6, v6, v169
	v_fma_f32 v169, v2, v178, -v151
	v_add_f32_e32 v2, v7, v11
	v_fmac_f32_e32 v162, v3, v178
	v_fma_f32 v161, v8, v179, -v150
	v_add_f32_e32 v3, v6, v10
	s_waitcnt vmcnt(40) lgkmcnt(1)
	v_mul_f32_e32 v10, v143, v186
	v_add_f32_e32 v11, v2, v156
	v_mul_f32_e32 v154, v5, v185
	v_mul_f32_e32 v164, v4, v185
	;; [unrolled: 1-line block ×3, first 2 shown]
	s_waitcnt vmcnt(35)
	v_fma_f32 v171, v142, v191, -v10
	v_add_f32_e32 v10, v3, v155
	v_add_f32_e32 v11, v11, v159
	s_waitcnt vmcnt(34)
	v_fma_f32 v170, v4, v192, -v154
	ds_read2_b64 v[6:9], v1 offset0:113 offset1:114
	ds_read2_b64 v[150:153], v1 offset0:115 offset1:116
	v_fmac_f32_e32 v164, v5, v192
	v_add_f32_e32 v10, v10, v158
	v_add_f32_e32 v11, v11, v161
	v_mul_f32_e32 v142, v145, v187
	v_fmac_f32_e32 v168, v143, v191
	v_mul_f32_e32 v172, v144, v187
	v_add_f32_e32 v10, v10, v160
	v_add_f32_e32 v169, v11, v169
	s_waitcnt lgkmcnt(2)
	v_mul_f32_e32 v143, v147, v188
	v_fma_f32 v179, v144, v190, -v142
	v_mul_f32_e32 v176, v146, v188
	v_add_f32_e32 v162, v10, v162
	v_add_f32_e32 v169, v169, v170
	v_fmac_f32_e32 v172, v145, v190
	s_waitcnt vmcnt(33)
	v_mul_f32_e32 v178, v149, v193
	v_fma_f32 v180, v146, v189, -v143
	v_add_f32_e32 v162, v162, v164
	v_add_f32_e32 v169, v169, v171
	v_mul_f32_e32 v177, v148, v193
	v_fmac_f32_e32 v176, v147, v189
	s_waitcnt vmcnt(26)
	v_fma_f32 v178, v148, v200, -v178
	v_add_f32_e32 v162, v162, v168
	v_add_f32_e32 v169, v169, v179
	s_waitcnt lgkmcnt(1)
	v_mul_f32_e32 v181, v7, v194
	ds_read2_b64 v[2:5], v1 offset0:117 offset1:118
	ds_read2_b64 v[154:157], v1 offset0:119 offset1:120
	v_fmac_f32_e32 v177, v149, v200
	v_add_f32_e32 v162, v162, v172
	v_add_f32_e32 v169, v169, v180
	v_mul_f32_e32 v170, v6, v194
	v_mul_f32_e32 v182, v9, v195
	v_fma_f32 v6, v6, v199, -v181
	v_add_f32_e32 v162, v162, v176
	v_add_f32_e32 v169, v169, v178
	v_mul_f32_e32 v164, v8, v195
	v_fmac_f32_e32 v170, v7, v199
	s_waitcnt lgkmcnt(2)
	v_mul_f32_e32 v181, v151, v196
	v_add_f32_e32 v162, v162, v177
	v_fma_f32 v8, v8, v198, -v182
	v_add_f32_e32 v6, v169, v6
	v_mul_f32_e32 v171, v150, v196
	v_fmac_f32_e32 v164, v9, v198
	v_add_f32_e32 v162, v162, v170
	v_fma_f32 v150, v150, v197, -v181
	v_add_f32_e32 v6, v6, v8
	v_fmac_f32_e32 v171, v151, v197
	ds_read2_b64 v[142:145], v1 offset0:121 offset1:122
	ds_read2_b64 v[158:161], v1 offset0:123 offset1:124
	v_add_f32_e32 v8, v162, v164
	ds_read2_b64 v[146:149], v1 offset0:125 offset1:126
	ds_read_b64 v[10:11], v1 offset:1016
	v_add_f32_e32 v6, v6, v150
	v_add_f32_e32 v8, v8, v171
	s_waitcnt vmcnt(24)
	v_mul_f32_e32 v177, v153, v202
	v_mul_f32_e32 v168, v152, v202
	s_waitcnt vmcnt(23) lgkmcnt(5)
	v_mul_f32_e32 v7, v2, v206
	v_mul_f32_e32 v151, v3, v206
	s_waitcnt vmcnt(22)
	v_mul_f32_e32 v150, v5, v207
	v_mul_f32_e32 v179, v4, v207
	s_waitcnt vmcnt(21) lgkmcnt(4)
	v_mul_f32_e32 v172, v154, v208
	s_waitcnt vmcnt(20)
	v_mul_f32_e32 v9, v156, v163
	s_waitcnt vmcnt(19) lgkmcnt(3)
	v_mul_f32_e32 v182, v142, v165
	s_waitcnt vmcnt(18)
	;; [unrolled: 4-line block ×3, first 2 shown]
	v_mul_f32_e32 v183, v160, v173
	s_waitcnt vmcnt(12)
	v_fmac_f32_e32 v172, v155, v209
	s_waitcnt vmcnt(11)
	v_fma_f32 v4, v4, v210, -v150
	s_waitcnt vmcnt(10)
	v_fmac_f32_e32 v7, v3, v211
	s_waitcnt vmcnt(9)
	v_fma_f32 v152, v152, v212, -v177
	v_fmac_f32_e32 v168, v153, v212
	v_fma_f32 v2, v2, v211, -v151
	v_fmac_f32_e32 v179, v5, v210
	v_mul_f32_e32 v5, v157, v163
	v_add_f32_e32 v3, v6, v152
	v_add_f32_e32 v6, v8, v168
	v_mul_f32_e32 v8, v155, v208
	s_waitcnt lgkmcnt(1)
	v_mul_f32_e32 v178, v146, v12
	v_mul_f32_e32 v184, v148, v174
	v_add_f32_e32 v2, v3, v2
	v_add_f32_e32 v3, v6, v7
	v_fma_f32 v6, v154, v209, -v8
	s_waitcnt vmcnt(6)
	v_fmac_f32_e32 v182, v143, v205
	s_waitcnt vmcnt(5)
	v_fma_f32 v5, v156, v213, -v5
	v_add_f32_e32 v2, v2, v4
	v_add_f32_e32 v3, v3, v179
	v_mul_f32_e32 v4, v143, v165
	v_fmac_f32_e32 v9, v157, v213
	v_fmac_f32_e32 v176, v145, v204
	v_add_f32_e32 v2, v2, v6
	v_add_f32_e32 v3, v3, v172
	v_mul_f32_e32 v6, v145, v166
	v_fma_f32 v4, v142, v205, -v4
	v_fmac_f32_e32 v180, v159, v203
	v_add_f32_e32 v2, v2, v5
	v_add_f32_e32 v3, v3, v9
	v_mul_f32_e32 v5, v159, v167
	v_fma_f32 v6, v144, v204, -v6
	s_waitcnt vmcnt(1)
	v_fmac_f32_e32 v183, v161, v217
	v_add_f32_e32 v2, v2, v4
	v_add_f32_e32 v3, v3, v182
	v_mul_f32_e32 v4, v161, v173
	v_fma_f32 v5, v158, v203, -v5
	v_fmac_f32_e32 v178, v147, v216
	v_add_f32_e32 v2, v2, v6
	v_add_f32_e32 v3, v3, v176
	v_mul_f32_e32 v6, v147, v12
	v_fma_f32 v4, v160, v217, -v4
	s_waitcnt lgkmcnt(0)
	v_mul_f32_e32 v169, v10, v175
	v_add_f32_e32 v2, v2, v5
	v_add_f32_e32 v3, v3, v180
	v_mul_f32_e32 v5, v149, v174
	v_fma_f32 v6, v146, v216, -v6
	v_fmac_f32_e32 v184, v149, v215
	v_add_f32_e32 v2, v2, v4
	v_add_f32_e32 v3, v3, v183
	v_mul_f32_e32 v4, v11, v175
	v_fma_f32 v5, v148, v215, -v5
	v_fmac_f32_e32 v169, v11, v214
	v_add_f32_e32 v2, v2, v6
	v_add_f32_e32 v3, v3, v178
	v_fma_f32 v4, v10, v214, -v4
	v_add_f32_e32 v2, v2, v5
	v_add_f32_e32 v3, v3, v184
	;; [unrolled: 1-line block ×4, first 2 shown]
	s_waitcnt vmcnt(0)
	v_sub_f32_e32 v2, v218, v2
	v_sub_f32_e32 v3, v201, v3
	buffer_store_dword v2, off, s[0:3], 0 offset:192
	buffer_store_dword v3, off, s[0:3], 0 offset:196
	v_cmpx_lt_u32_e32 23, v0
	s_cbranch_execz .LBB127_351
; %bb.350:
	s_clause 0x1
	buffer_load_dword v2, off, s[0:3], 0 offset:184
	buffer_load_dword v3, off, s[0:3], 0 offset:188
	buffer_store_dword v1, off, s[0:3], 0 offset:184
	buffer_store_dword v1, off, s[0:3], 0 offset:188
	s_waitcnt vmcnt(0)
	ds_write_b64 v141, v[2:3]
.LBB127_351:
	s_or_b32 exec_lo, exec_lo, s4
	s_waitcnt lgkmcnt(0)
	s_waitcnt_vscnt null, 0x0
	s_barrier
	buffer_gl0_inv
	s_clause 0x23
	buffer_load_dword v10, off, s[0:3], 0 offset:196
	buffer_load_dword v11, off, s[0:3], 0 offset:204
	buffer_load_dword v12, off, s[0:3], 0 offset:208
	buffer_load_dword v158, off, s[0:3], 0 offset:200
	buffer_load_dword v159, off, s[0:3], 0 offset:192
	buffer_load_dword v160, off, s[0:3], 0 offset:212
	buffer_load_dword v161, off, s[0:3], 0 offset:220
	buffer_load_dword v162, off, s[0:3], 0 offset:228
	buffer_load_dword v163, off, s[0:3], 0 offset:236
	buffer_load_dword v164, off, s[0:3], 0 offset:240
	buffer_load_dword v165, off, s[0:3], 0 offset:232
	buffer_load_dword v166, off, s[0:3], 0 offset:224
	buffer_load_dword v167, off, s[0:3], 0 offset:216
	buffer_load_dword v168, off, s[0:3], 0 offset:244
	buffer_load_dword v169, off, s[0:3], 0 offset:252
	buffer_load_dword v170, off, s[0:3], 0 offset:260
	buffer_load_dword v171, off, s[0:3], 0 offset:268
	buffer_load_dword v172, off, s[0:3], 0 offset:272
	buffer_load_dword v173, off, s[0:3], 0 offset:264
	buffer_load_dword v174, off, s[0:3], 0 offset:256
	buffer_load_dword v175, off, s[0:3], 0 offset:248
	buffer_load_dword v176, off, s[0:3], 0 offset:276
	buffer_load_dword v177, off, s[0:3], 0 offset:284
	buffer_load_dword v178, off, s[0:3], 0 offset:292
	buffer_load_dword v179, off, s[0:3], 0 offset:300
	buffer_load_dword v180, off, s[0:3], 0 offset:304
	buffer_load_dword v181, off, s[0:3], 0 offset:296
	buffer_load_dword v182, off, s[0:3], 0 offset:288
	buffer_load_dword v183, off, s[0:3], 0 offset:280
	buffer_load_dword v184, off, s[0:3], 0 offset:308
	buffer_load_dword v185, off, s[0:3], 0 offset:316
	buffer_load_dword v186, off, s[0:3], 0 offset:336
	buffer_load_dword v187, off, s[0:3], 0 offset:328
	buffer_load_dword v188, off, s[0:3], 0 offset:320
	buffer_load_dword v189, off, s[0:3], 0 offset:312
	buffer_load_dword v190, off, s[0:3], 0 offset:324
	ds_read_b128 v[2:5], v1 offset:704
	s_clause 0x1
	buffer_load_dword v191, off, s[0:3], 0 offset:332
	buffer_load_dword v192, off, s[0:3], 0 offset:340
	ds_read_b128 v[6:9], v1 offset:720
	ds_read_b128 v[142:145], v1 offset:736
	s_clause 0x7
	buffer_load_dword v193, off, s[0:3], 0 offset:348
	buffer_load_dword v194, off, s[0:3], 0 offset:356
	;; [unrolled: 1-line block ×8, first 2 shown]
	ds_read_b128 v[146:149], v1 offset:752
	ds_read_b128 v[150:153], v1 offset:768
	;; [unrolled: 1-line block ×3, first 2 shown]
	buffer_load_dword v203, off, s[0:3], 0 offset:188
	s_mov_b32 s4, exec_lo
	s_waitcnt vmcnt(46) lgkmcnt(5)
	v_mul_f32_e32 v201, v3, v10
	v_mul_f32_e32 v10, v2, v10
	s_waitcnt vmcnt(45)
	v_mul_f32_e32 v202, v4, v11
	v_mul_f32_e32 v11, v5, v11
	s_waitcnt vmcnt(42)
	v_fma_f32 v201, v2, v159, -v201
	v_fmac_f32_e32 v10, v3, v159
	v_fmac_f32_e32 v202, v5, v158
	v_fma_f32 v11, v4, v158, -v11
	s_waitcnt vmcnt(41) lgkmcnt(4)
	v_mul_f32_e32 v158, v6, v160
	v_mul_f32_e32 v159, v7, v160
	s_waitcnt vmcnt(40)
	v_mul_f32_e32 v160, v8, v161
	v_mul_f32_e32 v161, v9, v161
	s_waitcnt vmcnt(39) lgkmcnt(3)
	v_mul_f32_e32 v204, v142, v162
	v_mul_f32_e32 v162, v143, v162
	v_fmac_f32_e32 v158, v7, v12
	v_fma_f32 v12, v6, v12, -v159
	s_waitcnt vmcnt(38)
	v_mul_f32_e32 v159, v144, v163
	v_mul_f32_e32 v6, v145, v163
	ds_read_b128 v[2:5], v1 offset:800
	s_waitcnt vmcnt(34)
	v_fmac_f32_e32 v160, v9, v167
	v_fma_f32 v161, v8, v167, -v161
	v_fmac_f32_e32 v204, v143, v166
	v_fma_f32 v142, v142, v166, -v162
	;; [unrolled: 2-line block ×3, first 2 shown]
	s_clause 0x7
	buffer_load_dword v162, off, s[0:3], 0 offset:380
	buffer_load_dword v163, off, s[0:3], 0 offset:388
	buffer_load_dword v165, off, s[0:3], 0 offset:396
	buffer_load_dword v166, off, s[0:3], 0 offset:404
	buffer_load_dword v167, off, s[0:3], 0 offset:400
	buffer_load_dword v205, off, s[0:3], 0 offset:392
	buffer_load_dword v206, off, s[0:3], 0 offset:384
	buffer_load_dword v207, off, s[0:3], 0 offset:376
	s_waitcnt vmcnt(41) lgkmcnt(3)
	v_mul_f32_e32 v6, v147, v168
	s_waitcnt vmcnt(40)
	v_mul_f32_e32 v7, v149, v169
	v_mul_f32_e32 v144, v146, v168
	v_mul_f32_e32 v145, v148, v169
	s_waitcnt vmcnt(39) lgkmcnt(2)
	v_mul_f32_e32 v168, v150, v170
	v_fma_f32 v146, v146, v164, -v6
	s_waitcnt vmcnt(34)
	v_fma_f32 v148, v148, v175, -v7
	ds_read_b128 v[6:9], v1 offset:816
	v_mul_f32_e32 v169, v151, v170
	v_fmac_f32_e32 v144, v147, v164
	v_mul_f32_e32 v147, v152, v171
	v_mul_f32_e32 v164, v153, v171
	v_fmac_f32_e32 v145, v149, v175
	v_fmac_f32_e32 v168, v151, v174
	v_fma_f32 v149, v150, v174, -v169
	v_fmac_f32_e32 v147, v153, v173
	v_fma_f32 v150, v152, v173, -v164
	s_waitcnt vmcnt(33) lgkmcnt(2)
	v_mul_f32_e32 v151, v154, v176
	v_mul_f32_e32 v152, v155, v176
	s_waitcnt vmcnt(32)
	v_mul_f32_e32 v153, v156, v177
	s_waitcnt vmcnt(31) lgkmcnt(1)
	v_mul_f32_e32 v174, v2, v178
	v_mul_f32_e32 v175, v3, v178
	;; [unrolled: 1-line block ×3, first 2 shown]
	v_fmac_f32_e32 v151, v155, v172
	v_fma_f32 v152, v154, v172, -v152
	s_waitcnt vmcnt(30)
	v_mul_f32_e32 v154, v4, v179
	v_mul_f32_e32 v155, v5, v179
	s_waitcnt vmcnt(26)
	v_fmac_f32_e32 v153, v157, v183
	v_fmac_f32_e32 v174, v3, v182
	v_fma_f32 v157, v2, v182, -v175
	s_waitcnt vmcnt(25) lgkmcnt(0)
	v_mul_f32_e32 v182, v6, v184
	v_mul_f32_e32 v2, v7, v184
	v_add_f32_e32 v3, 0, v201
	s_clause 0x3
	buffer_load_dword v164, off, s[0:3], 0 offset:412
	buffer_load_dword v169, off, s[0:3], 0 offset:420
	;; [unrolled: 1-line block ×4, first 2 shown]
	v_fma_f32 v156, v156, v183, -v173
	s_clause 0x3
	buffer_load_dword v172, off, s[0:3], 0 offset:444
	buffer_load_dword v173, off, s[0:3], 0 offset:452
	;; [unrolled: 1-line block ×4, first 2 shown]
	v_fmac_f32_e32 v154, v5, v181
	v_fma_f32 v155, v4, v181, -v155
	s_clause 0x3
	buffer_load_dword v175, off, s[0:3], 0 offset:476
	buffer_load_dword v178, off, s[0:3], 0 offset:484
	;; [unrolled: 1-line block ×4, first 2 shown]
	v_add_f32_e32 v4, 0, v10
	buffer_load_dword v10, off, s[0:3], 0 offset:508
	v_fmac_f32_e32 v182, v7, v180
	v_fma_f32 v180, v6, v180, -v2
	v_add_f32_e32 v2, v3, v11
	s_clause 0x3
	buffer_load_dword v11, off, s[0:3], 0 offset:432
	buffer_load_dword v183, off, s[0:3], 0 offset:424
	buffer_load_dword v184, off, s[0:3], 0 offset:416
	buffer_load_dword v201, off, s[0:3], 0 offset:408
	v_add_f32_e32 v6, v4, v202
	v_add_f32_e32 v7, v2, v12
	s_waitcnt vmcnt(41)
	v_mul_f32_e32 v2, v9, v185
	v_mul_f32_e32 v12, v8, v185
	v_add_f32_e32 v6, v6, v158
	v_add_f32_e32 v7, v7, v161
	s_waitcnt vmcnt(37)
	v_fma_f32 v185, v8, v189, -v2
	ds_read_b128 v[2:5], v1 offset:832
	v_fmac_f32_e32 v12, v9, v189
	s_clause 0x3
	buffer_load_dword v189, off, s[0:3], 0 offset:464
	buffer_load_dword v202, off, s[0:3], 0 offset:456
	buffer_load_dword v208, off, s[0:3], 0 offset:448
	buffer_load_dword v209, off, s[0:3], 0 offset:440
	v_add_f32_e32 v7, v7, v142
	v_add_f32_e32 v6, v6, v160
	v_add_f32_e32 v142, v7, v143
	v_add_f32_e32 v6, v6, v204
	v_add_f32_e32 v142, v142, v146
	v_add_f32_e32 v143, v6, v159
	ds_read_b128 v[6:9], v1 offset:848
	v_add_f32_e32 v143, v143, v144
	s_waitcnt vmcnt(40) lgkmcnt(1)
	v_mul_f32_e32 v158, v2, v190
	v_mul_f32_e32 v146, v3, v190
	s_waitcnt vmcnt(39)
	v_mul_f32_e32 v160, v4, v191
	v_fmac_f32_e32 v158, v3, v188
	v_fma_f32 v159, v2, v188, -v146
	s_clause 0x4
	buffer_load_dword v188, off, s[0:3], 0 offset:496
	buffer_load_dword v190, off, s[0:3], 0 offset:488
	;; [unrolled: 1-line block ×5, first 2 shown]
	v_add_f32_e32 v3, v143, v145
	v_add_f32_e32 v2, v142, v148
	v_mul_f32_e32 v142, v5, v191
	v_fmac_f32_e32 v160, v5, v187
	v_add_f32_e32 v3, v3, v168
	buffer_load_dword v168, off, s[0:3], 0 offset:184
	v_add_f32_e32 v2, v2, v149
	v_fma_f32 v161, v4, v187, -v142
	s_waitcnt vmcnt(44) lgkmcnt(0)
	v_mul_f32_e32 v187, v6, v192
	v_add_f32_e32 v143, v3, v147
	v_mul_f32_e32 v148, v7, v192
	v_add_f32_e32 v2, v2, v150
	s_waitcnt vmcnt(43)
	v_mul_f32_e32 v191, v8, v193
	v_mul_f32_e32 v149, v9, v193
	v_add_f32_e32 v147, v143, v151
	ds_read_b128 v[142:145], v1 offset:880
	v_add_f32_e32 v146, v2, v152
	ds_read_b128 v[2:5], v1 offset:864
	v_fmac_f32_e32 v187, v7, v186
	v_add_f32_e32 v147, v147, v153
	v_fma_f32 v186, v6, v186, -v148
	v_add_f32_e32 v146, v146, v156
	s_waitcnt vmcnt(36)
	v_fmac_f32_e32 v191, v9, v200
	v_fma_f32 v192, v8, v200, -v149
	v_add_f32_e32 v151, v147, v174
	v_add_f32_e32 v150, v146, v157
	ds_read_b128 v[6:9], v1 offset:896
	ds_read_b128 v[146:149], v1 offset:912
	v_add_f32_e32 v151, v151, v154
	v_add_f32_e32 v150, v150, v155
	;; [unrolled: 1-line block ×3, first 2 shown]
	s_waitcnt lgkmcnt(3)
	v_mul_f32_e32 v154, v143, v196
	v_add_f32_e32 v150, v150, v180
	v_mul_f32_e32 v180, v142, v196
	s_waitcnt lgkmcnt(2)
	v_mul_f32_e32 v152, v3, v194
	v_add_f32_e32 v12, v151, v12
	v_mul_f32_e32 v174, v2, v194
	v_add_f32_e32 v155, v150, v185
	v_mul_f32_e32 v153, v5, v195
	v_fma_f32 v194, v2, v199, -v152
	v_add_f32_e32 v12, v12, v158
	v_mul_f32_e32 v193, v4, v195
	v_add_f32_e32 v159, v155, v159
	v_fmac_f32_e32 v174, v3, v199
	v_fma_f32 v195, v4, v198, -v153
	v_add_f32_e32 v12, v12, v160
	v_fmac_f32_e32 v193, v5, v198
	v_add_f32_e32 v158, v159, v161
	v_fmac_f32_e32 v180, v143, v197
	ds_read_b128 v[2:5], v1 offset:928
	ds_read_b128 v[150:153], v1 offset:944
	v_add_f32_e32 v12, v12, v187
	v_add_f32_e32 v12, v12, v191
	;; [unrolled: 1-line block ×5, first 2 shown]
	s_waitcnt vmcnt(34)
	v_mul_f32_e32 v182, v144, v162
	s_waitcnt vmcnt(33) lgkmcnt(3)
	v_mul_f32_e32 v196, v6, v163
	v_mul_f32_e32 v159, v7, v163
	v_mul_f32_e32 v156, v145, v162
	v_fma_f32 v162, v142, v197, -v154
	s_waitcnt vmcnt(32)
	v_mul_f32_e32 v197, v8, v165
	s_waitcnt vmcnt(28)
	v_fmac_f32_e32 v196, v7, v206
	v_add_f32_e32 v7, v158, v186
	s_waitcnt vmcnt(27)
	v_fma_f32 v185, v144, v207, -v156
	v_fmac_f32_e32 v182, v145, v207
	v_mul_f32_e32 v160, v9, v165
	v_fma_f32 v163, v6, v206, -v159
	v_add_f32_e32 v186, v7, v192
	ds_read_b128 v[142:145], v1 offset:960
	ds_read_b128 v[154:157], v1 offset:976
	v_add_f32_e32 v12, v12, v182
	v_fmac_f32_e32 v197, v9, v205
	v_fma_f32 v165, v8, v205, -v160
	v_add_f32_e32 v186, v186, v194
	ds_read_b128 v[6:9], v1 offset:992
	ds_read_b128 v[158:161], v1 offset:1008
	s_waitcnt lgkmcnt(6)
	v_mul_f32_e32 v1, v146, v166
	v_mul_f32_e32 v166, v147, v166
	v_add_f32_e32 v12, v12, v196
	v_add_f32_e32 v186, v186, v195
	v_fmac_f32_e32 v1, v147, v167
	v_fma_f32 v146, v146, v167, -v166
	v_add_f32_e32 v12, v12, v197
	v_add_f32_e32 v162, v186, v162
	v_add_f32_e32 v1, v12, v1
	v_add_f32_e32 v162, v162, v185
	v_add_f32_e32 v162, v162, v163
	s_waitcnt vmcnt(26)
	v_mul_f32_e32 v174, v148, v164
	v_mul_f32_e32 v164, v149, v164
	s_waitcnt vmcnt(25) lgkmcnt(5)
	v_mul_f32_e32 v187, v2, v169
	s_waitcnt vmcnt(24)
	v_mul_f32_e32 v12, v5, v170
	v_add_f32_e32 v162, v162, v165
	v_mul_f32_e32 v165, v3, v169
	v_mul_f32_e32 v191, v4, v170
	s_waitcnt vmcnt(23) lgkmcnt(4)
	v_mul_f32_e32 v192, v150, v171
	s_waitcnt vmcnt(22)
	v_mul_f32_e32 v186, v152, v172
	v_add_f32_e32 v146, v162, v146
	s_waitcnt vmcnt(21) lgkmcnt(3)
	v_mul_f32_e32 v180, v142, v173
	s_waitcnt vmcnt(20)
	v_mul_f32_e32 v193, v144, v176
	s_waitcnt vmcnt(12)
	v_fma_f32 v4, v4, v183, -v12
	s_waitcnt vmcnt(11)
	v_fmac_f32_e32 v187, v3, v184
	s_waitcnt vmcnt(10)
	v_fma_f32 v148, v148, v201, -v164
	v_fmac_f32_e32 v174, v149, v201
	v_fma_f32 v2, v2, v184, -v165
	v_fmac_f32_e32 v191, v5, v183
	v_fmac_f32_e32 v192, v151, v11
	v_add_f32_e32 v3, v146, v148
	v_add_f32_e32 v1, v1, v174
	v_mul_f32_e32 v146, v151, v171
	s_waitcnt lgkmcnt(2)
	v_mul_f32_e32 v185, v154, v177
	v_mul_f32_e32 v182, v156, v175
	v_add_f32_e32 v2, v3, v2
	v_add_f32_e32 v1, v1, v187
	v_mul_f32_e32 v3, v153, v172
	v_fma_f32 v5, v150, v11, -v146
	s_waitcnt vmcnt(6)
	v_fmac_f32_e32 v186, v153, v209
	v_add_f32_e32 v2, v2, v4
	v_add_f32_e32 v1, v1, v191
	v_mul_f32_e32 v4, v143, v173
	v_fma_f32 v3, v152, v209, -v3
	v_fmac_f32_e32 v180, v143, v208
	v_add_f32_e32 v2, v2, v5
	v_add_f32_e32 v1, v1, v192
	v_mul_f32_e32 v5, v145, v176
	v_fma_f32 v4, v142, v208, -v4
	;; [unrolled: 5-line block ×4, first 2 shown]
	s_waitcnt lgkmcnt(1)
	v_mul_f32_e32 v194, v6, v178
	v_add_f32_e32 v2, v2, v5
	v_add_f32_e32 v1, v1, v193
	v_mul_f32_e32 v5, v7, v178
	s_waitcnt vmcnt(2)
	v_fma_f32 v4, v156, v210, -v4
	v_fmac_f32_e32 v182, v157, v210
	v_add_f32_e32 v2, v2, v3
	v_add_f32_e32 v1, v1, v185
	v_mul_f32_e32 v3, v9, v179
	v_fma_f32 v5, v6, v204, -v5
	v_mul_f32_e32 v163, v8, v179
	v_add_f32_e32 v2, v2, v4
	v_fmac_f32_e32 v194, v7, v204
	v_add_f32_e32 v1, v1, v182
	s_waitcnt lgkmcnt(0)
	v_mul_f32_e32 v4, v159, v181
	v_fma_f32 v3, v8, v190, -v3
	v_add_f32_e32 v2, v2, v5
	v_mul_f32_e32 v195, v158, v181
	v_fmac_f32_e32 v163, v9, v190
	v_add_f32_e32 v1, v1, v194
	v_mul_f32_e32 v5, v161, v10
	v_fma_f32 v4, v158, v188, -v4
	v_add_f32_e32 v2, v2, v3
	v_mul_f32_e32 v147, v160, v10
	v_fmac_f32_e32 v195, v159, v188
	v_add_f32_e32 v1, v1, v163
	s_waitcnt vmcnt(1)
	v_fma_f32 v3, v160, v211, -v5
	v_add_f32_e32 v2, v2, v4
	v_fmac_f32_e32 v147, v161, v211
	v_add_f32_e32 v1, v1, v195
	v_add_f32_e32 v2, v2, v3
	;; [unrolled: 1-line block ×3, first 2 shown]
	s_waitcnt vmcnt(0)
	v_sub_f32_e32 v2, v168, v2
	v_sub_f32_e32 v1, v203, v1
	buffer_store_dword v2, off, s[0:3], 0 offset:184
	buffer_store_dword v1, off, s[0:3], 0 offset:188
	v_cmpx_lt_u32_e32 22, v0
	s_cbranch_execz .LBB127_353
; %bb.352:
	s_clause 0x1
	buffer_load_dword v1, off, s[0:3], 0 offset:176
	buffer_load_dword v2, off, s[0:3], 0 offset:180
	v_mov_b32_e32 v3, 0
	buffer_store_dword v3, off, s[0:3], 0 offset:176
	buffer_store_dword v3, off, s[0:3], 0 offset:180
	s_waitcnt vmcnt(0)
	ds_write_b64 v141, v[1:2]
.LBB127_353:
	s_or_b32 exec_lo, exec_lo, s4
	s_waitcnt lgkmcnt(0)
	s_waitcnt_vscnt null, 0x0
	s_barrier
	buffer_gl0_inv
	s_clause 0x23
	buffer_load_dword v145, off, s[0:3], 0 offset:188
	buffer_load_dword v144, off, s[0:3], 0 offset:196
	;; [unrolled: 1-line block ×36, first 2 shown]
	v_mov_b32_e32 v142, 0
	s_mov_b32 s4, exec_lo
	ds_read2_b64 v[5:8], v142 offset0:87 offset1:88
	s_clause 0x1
	buffer_load_dword v187, off, s[0:3], 0 offset:324
	buffer_load_dword v186, off, s[0:3], 0 offset:332
	ds_read2_b64 v[1:4], v142 offset0:89 offset1:90
	s_clause 0x8
	buffer_load_dword v184, off, s[0:3], 0 offset:340
	buffer_load_dword v170, off, s[0:3], 0 offset:348
	;; [unrolled: 1-line block ×9, first 2 shown]
	ds_read2_b64 v[9:12], v142 offset0:91 offset1:92
	ds_read2_b64 v[190:193], v142 offset0:93 offset1:94
	buffer_load_dword v202, off, s[0:3], 0 offset:180
	ds_read2_b64 v[194:197], v142 offset0:95 offset1:96
	ds_read2_b64 v[198:201], v142 offset0:97 offset1:98
	s_waitcnt vmcnt(47) lgkmcnt(5)
	v_mul_f32_e32 v203, v5, v145
	v_mul_f32_e32 v145, v6, v145
	s_waitcnt vmcnt(46)
	v_mul_f32_e32 v204, v7, v144
	v_mul_f32_e32 v144, v8, v144
	s_waitcnt vmcnt(43)
	v_fmac_f32_e32 v203, v6, v150
	v_fma_f32 v145, v5, v150, -v145
	s_waitcnt vmcnt(42) lgkmcnt(4)
	v_mul_f32_e32 v150, v1, v149
	v_mul_f32_e32 v149, v2, v149
	v_fmac_f32_e32 v204, v8, v147
	v_fma_f32 v144, v7, v147, -v144
	s_waitcnt vmcnt(41)
	v_mul_f32_e32 v147, v3, v148
	v_mul_f32_e32 v148, v4, v148
	v_fmac_f32_e32 v150, v2, v143
	v_fma_f32 v143, v1, v143, -v149
	s_waitcnt vmcnt(40) lgkmcnt(3)
	v_mul_f32_e32 v149, v9, v146
	v_mul_f32_e32 v1, v10, v146
	s_waitcnt vmcnt(36)
	v_fma_f32 v146, v3, v157, -v148
	s_waitcnt vmcnt(35)
	v_mul_f32_e32 v148, v11, v156
	v_mul_f32_e32 v2, v12, v156
	ds_read2_b64 v[5:8], v142 offset0:99 offset1:100
	v_fmac_f32_e32 v147, v4, v157
	v_fmac_f32_e32 v149, v10, v153
	;; [unrolled: 1-line block ×3, first 2 shown]
	v_fma_f32 v10, v11, v152, -v2
	s_clause 0x6
	buffer_load_dword v152, off, s[0:3], 0 offset:368
	buffer_load_dword v157, off, s[0:3], 0 offset:376
	;; [unrolled: 1-line block ×7, first 2 shown]
	s_waitcnt vmcnt(41) lgkmcnt(3)
	v_mul_f32_e32 v3, v191, v155
	s_waitcnt vmcnt(40)
	v_mul_f32_e32 v4, v193, v154
	v_fma_f32 v9, v9, v153, -v1
	v_mul_f32_e32 v156, v190, v155
	v_mul_f32_e32 v155, v192, v154
	v_fma_f32 v11, v190, v151, -v3
	s_waitcnt vmcnt(36)
	v_fma_f32 v12, v192, v169, -v4
	ds_read2_b64 v[1:4], v142 offset0:101 offset1:102
	v_fmac_f32_e32 v156, v191, v151
	s_waitcnt vmcnt(35) lgkmcnt(3)
	v_mul_f32_e32 v151, v194, v166
	v_mul_f32_e32 v153, v195, v166
	s_waitcnt vmcnt(34)
	v_mul_f32_e32 v154, v196, v165
	v_mul_f32_e32 v165, v197, v165
	v_fmac_f32_e32 v155, v193, v169
	s_waitcnt vmcnt(33) lgkmcnt(2)
	v_mul_f32_e32 v166, v198, v164
	v_mul_f32_e32 v164, v199, v164
	v_fmac_f32_e32 v151, v195, v161
	v_fma_f32 v153, v194, v161, -v153
	s_waitcnt vmcnt(32)
	v_mul_f32_e32 v161, v200, v162
	v_mul_f32_e32 v162, v201, v162
	v_fmac_f32_e32 v154, v197, v160
	v_fma_f32 v160, v196, v160, -v165
	s_waitcnt vmcnt(31) lgkmcnt(1)
	v_mul_f32_e32 v165, v5, v171
	v_mul_f32_e32 v169, v6, v171
	s_waitcnt vmcnt(26)
	v_mul_f32_e32 v195, v7, v181
	v_mul_f32_e32 v181, v8, v181
	v_fmac_f32_e32 v166, v199, v159
	v_fma_f32 v159, v198, v159, -v164
	v_fmac_f32_e32 v161, v201, v183
	v_fma_f32 v162, v200, v183, -v162
	s_clause 0x7
	buffer_load_dword v164, off, s[0:3], 0 offset:404
	buffer_load_dword v171, off, s[0:3], 0 offset:412
	;; [unrolled: 1-line block ×8, first 2 shown]
	v_fmac_f32_e32 v165, v6, v180
	v_fma_f32 v169, v5, v180, -v169
	v_fmac_f32_e32 v195, v8, v178
	v_fma_f32 v178, v7, v178, -v181
	s_waitcnt vmcnt(33) lgkmcnt(0)
	v_mul_f32_e32 v181, v1, v179
	v_mul_f32_e32 v5, v2, v179
	v_add_f32_e32 v6, 0, v203
	s_clause 0x3
	buffer_load_dword v180, off, s[0:3], 0 offset:436
	buffer_load_dword v196, off, s[0:3], 0 offset:444
	;; [unrolled: 1-line block ×4, first 2 shown]
	v_fmac_f32_e32 v181, v2, v176
	v_fma_f32 v176, v1, v176, -v5
	v_add_f32_e32 v1, 0, v145
	v_add_f32_e32 v2, v6, v204
	s_clause 0x4
	buffer_load_dword v198, off, s[0:3], 0 offset:468
	buffer_load_dword v199, off, s[0:3], 0 offset:476
	;; [unrolled: 1-line block ×5, first 2 shown]
	v_add_f32_e32 v1, v1, v144
	v_add_f32_e32 v5, v2, v150
	s_waitcnt vmcnt(41)
	v_mul_f32_e32 v150, v3, v173
	v_mul_f32_e32 v2, v4, v173
	buffer_load_dword v173, off, s[0:3], 0 offset:508
	v_add_f32_e32 v6, v1, v143
	v_add_f32_e32 v5, v5, v147
	s_waitcnt vmcnt(38)
	v_fmac_f32_e32 v150, v4, v189
	v_fma_f32 v189, v3, v189, -v2
	ds_read2_b64 v[1:4], v142 offset0:103 offset1:104
	v_add_f32_e32 v6, v6, v146
	s_clause 0x3
	buffer_load_dword v204, off, s[0:3], 0 offset:456
	buffer_load_dword v210, off, s[0:3], 0 offset:448
	;; [unrolled: 1-line block ×4, first 2 shown]
	v_add_f32_e32 v5, v5, v149
	v_add_f32_e32 v6, v6, v9
	;; [unrolled: 1-line block ×5, first 2 shown]
	ds_read2_b64 v[5:8], v142 offset0:105 offset1:106
	v_add_f32_e32 v9, v9, v11
	v_add_f32_e32 v10, v10, v155
	s_waitcnt vmcnt(41) lgkmcnt(1)
	v_mul_f32_e32 v147, v1, v185
	v_mul_f32_e32 v11, v2, v185
	v_fmac_f32_e32 v147, v2, v182
	v_fma_f32 v148, v1, v182, -v11
	s_clause 0x6
	buffer_load_dword v182, off, s[0:3], 0 offset:488
	buffer_load_dword v185, off, s[0:3], 0 offset:480
	;; [unrolled: 1-line block ×7, first 2 shown]
	v_add_f32_e32 v1, v9, v12
	v_add_f32_e32 v2, v10, v151
	s_waitcnt vmcnt(47)
	v_mul_f32_e32 v151, v3, v187
	v_mul_f32_e32 v9, v4, v187
	s_waitcnt vmcnt(46) lgkmcnt(0)
	v_mul_f32_e32 v155, v5, v186
	v_add_f32_e32 v1, v1, v153
	v_add_f32_e32 v2, v2, v154
	v_fmac_f32_e32 v151, v4, v177
	v_fma_f32 v153, v3, v177, -v9
	v_mul_f32_e32 v145, v6, v186
	v_add_f32_e32 v1, v1, v160
	v_add_f32_e32 v2, v2, v166
	s_waitcnt vmcnt(45)
	v_mul_f32_e32 v156, v7, v184
	v_mul_f32_e32 v146, v8, v184
	v_fmac_f32_e32 v155, v6, v167
	v_add_f32_e32 v10, v1, v159
	v_add_f32_e32 v143, v2, v161
	ds_read2_b64 v[1:4], v142 offset0:107 offset1:108
	v_fma_f32 v159, v5, v167, -v145
	s_waitcnt vmcnt(38)
	v_fmac_f32_e32 v156, v8, v188
	v_add_f32_e32 v144, v10, v162
	ds_read2_b64 v[9:12], v142 offset0:109 offset1:110
	v_add_f32_e32 v143, v143, v165
	v_fma_f32 v160, v7, v188, -v146
	v_add_f32_e32 v144, v144, v169
	v_add_f32_e32 v149, v143, v195
	;; [unrolled: 1-line block ×3, first 2 shown]
	ds_read2_b64 v[5:8], v142 offset0:111 offset1:112
	ds_read2_b64 v[143:146], v142 offset0:113 offset1:114
	v_add_f32_e32 v149, v149, v181
	v_add_f32_e32 v154, v154, v176
	;; [unrolled: 1-line block ×3, first 2 shown]
	s_waitcnt lgkmcnt(3)
	v_mul_f32_e32 v161, v1, v170
	v_mul_f32_e32 v162, v2, v170
	v_add_f32_e32 v150, v154, v189
	v_mul_f32_e32 v165, v3, v168
	v_mul_f32_e32 v166, v4, v168
	s_waitcnt lgkmcnt(2)
	v_mul_f32_e32 v167, v9, v175
	v_mul_f32_e32 v154, v10, v175
	v_add_f32_e32 v169, v149, v147
	v_add_f32_e32 v170, v150, v148
	v_fmac_f32_e32 v165, v4, v172
	v_fma_f32 v166, v3, v172, -v166
	v_fmac_f32_e32 v167, v10, v158
	v_fma_f32 v172, v9, v158, -v154
	v_add_f32_e32 v158, v169, v151
	v_add_f32_e32 v169, v170, v153
	v_fma_f32 v162, v1, v174, -v162
	v_fmac_f32_e32 v161, v2, v174
	s_waitcnt vmcnt(37)
	v_mul_f32_e32 v168, v11, v163
	v_add_f32_e32 v155, v158, v155
	v_add_f32_e32 v158, v169, v159
	v_mul_f32_e32 v163, v12, v163
	ds_read2_b64 v[1:4], v142 offset0:115 offset1:116
	ds_read2_b64 v[147:150], v142 offset0:117 offset1:118
	s_waitcnt vmcnt(35)
	v_fma_f32 v163, v11, v152, -v163
	v_fmac_f32_e32 v168, v12, v152
	s_waitcnt vmcnt(33) lgkmcnt(3)
	v_mul_f32_e32 v170, v5, v205
	v_mul_f32_e32 v159, v6, v205
	s_waitcnt vmcnt(31)
	v_mul_f32_e32 v174, v8, v207
	v_mul_f32_e32 v169, v7, v207
	s_waitcnt vmcnt(30) lgkmcnt(2)
	v_mul_f32_e32 v176, v144, v208
	v_fmac_f32_e32 v170, v6, v157
	v_add_f32_e32 v6, v155, v156
	v_add_f32_e32 v155, v158, v160
	v_fma_f32 v175, v5, v157, -v159
	v_fma_f32 v174, v7, v206, -v174
	v_fmac_f32_e32 v169, v8, v206
	v_add_f32_e32 v161, v6, v161
	v_add_f32_e32 v162, v155, v162
	ds_read2_b64 v[9:12], v142 offset0:119 offset1:120
	ds_read2_b64 v[151:154], v142 offset0:121 offset1:122
	ds_read2_b64 v[5:8], v142 offset0:123 offset1:124
	ds_read2_b64 v[155:158], v142 offset0:125 offset1:126
	ds_read_b64 v[159:160], v142 offset:1016
	v_add_f32_e32 v161, v161, v165
	v_add_f32_e32 v162, v162, v166
	v_mul_f32_e32 v165, v143, v208
	s_waitcnt vmcnt(29)
	v_fma_f32 v143, v143, v209, -v176
	v_add_f32_e32 v161, v161, v167
	v_add_f32_e32 v162, v162, v172
	v_fmac_f32_e32 v165, v144, v209
	v_add_f32_e32 v161, v161, v168
	v_add_f32_e32 v162, v162, v163
	s_waitcnt vmcnt(28)
	v_mul_f32_e32 v166, v145, v164
	v_mul_f32_e32 v164, v146, v164
	s_waitcnt vmcnt(27) lgkmcnt(6)
	v_mul_f32_e32 v167, v1, v171
	v_add_f32_e32 v161, v161, v170
	v_add_f32_e32 v162, v162, v175
	v_mul_f32_e32 v171, v2, v171
	s_waitcnt vmcnt(26)
	v_mul_f32_e32 v172, v3, v183
	s_waitcnt vmcnt(21)
	v_fma_f32 v145, v145, v194, -v164
	v_add_f32_e32 v161, v161, v169
	v_add_f32_e32 v162, v162, v174
	v_fmac_f32_e32 v166, v146, v194
	v_mul_f32_e32 v169, v4, v183
	v_fmac_f32_e32 v167, v2, v193
	v_add_f32_e32 v161, v161, v165
	v_add_f32_e32 v143, v162, v143
	v_fma_f32 v1, v1, v193, -v171
	v_fma_f32 v3, v3, v192, -v169
	s_waitcnt lgkmcnt(5)
	v_mul_f32_e32 v144, v147, v190
	v_fmac_f32_e32 v172, v4, v192
	v_add_f32_e32 v2, v143, v145
	v_add_f32_e32 v143, v161, v166
	v_mul_f32_e32 v145, v148, v190
	s_waitcnt vmcnt(20)
	v_mul_f32_e32 v4, v150, v180
	v_mul_f32_e32 v168, v149, v180
	v_add_f32_e32 v1, v2, v1
	v_add_f32_e32 v2, v143, v167
	v_fma_f32 v143, v147, v191, -v145
	v_fmac_f32_e32 v144, v148, v191
	s_waitcnt vmcnt(19) lgkmcnt(4)
	v_mul_f32_e32 v163, v9, v196
	v_add_f32_e32 v1, v1, v3
	v_add_f32_e32 v2, v2, v172
	v_mul_f32_e32 v3, v10, v196
	s_waitcnt vmcnt(18)
	v_mul_f32_e32 v146, v11, v179
	s_waitcnt vmcnt(17) lgkmcnt(3)
	v_mul_f32_e32 v164, v151, v197
	v_add_f32_e32 v1, v1, v143
	s_waitcnt vmcnt(7)
	v_fma_f32 v4, v149, v212, -v4
	v_fmac_f32_e32 v168, v150, v212
	v_add_f32_e32 v2, v2, v144
	v_mul_f32_e32 v143, v12, v179
	v_fma_f32 v3, v9, v211, -v3
	v_add_f32_e32 v1, v1, v4
	v_fmac_f32_e32 v163, v10, v211
	v_add_f32_e32 v2, v2, v168
	v_mul_f32_e32 v4, v152, v197
	v_fma_f32 v9, v11, v210, -v143
	v_add_f32_e32 v1, v1, v3
	v_fmac_f32_e32 v146, v12, v210
	v_add_f32_e32 v2, v2, v163
	v_mul_f32_e32 v3, v154, v198
	v_fma_f32 v4, v151, v204, -v4
	v_add_f32_e32 v1, v1, v9
	v_mul_f32_e32 v170, v153, v198
	v_fmac_f32_e32 v164, v152, v204
	v_add_f32_e32 v2, v2, v146
	s_waitcnt lgkmcnt(2)
	v_mul_f32_e32 v9, v6, v199
	v_add_f32_e32 v1, v1, v4
	v_mul_f32_e32 v175, v5, v199
	v_mul_f32_e32 v4, v8, v200
	v_add_f32_e32 v2, v2, v164
	s_waitcnt vmcnt(4)
	v_fma_f32 v5, v5, v213, -v9
	s_waitcnt vmcnt(3)
	v_fma_f32 v3, v153, v214, -v3
	v_fmac_f32_e32 v170, v154, v214
	v_mul_f32_e32 v176, v7, v200
	v_fmac_f32_e32 v175, v6, v213
	v_fma_f32 v4, v7, v185, -v4
	v_add_f32_e32 v1, v1, v3
	v_add_f32_e32 v2, v2, v170
	s_waitcnt lgkmcnt(1)
	v_mul_f32_e32 v3, v156, v201
	v_mul_f32_e32 v174, v155, v201
	v_fmac_f32_e32 v176, v8, v185
	v_add_f32_e32 v1, v1, v5
	v_add_f32_e32 v2, v2, v175
	v_mul_f32_e32 v5, v158, v203
	v_fma_f32 v3, v155, v182, -v3
	v_mul_f32_e32 v177, v157, v203
	v_add_f32_e32 v1, v1, v4
	v_fmac_f32_e32 v174, v156, v182
	v_add_f32_e32 v2, v2, v176
	s_waitcnt lgkmcnt(0)
	v_mul_f32_e32 v4, v160, v173
	s_waitcnt vmcnt(1)
	v_fma_f32 v5, v157, v216, -v5
	v_add_f32_e32 v1, v1, v3
	v_mul_f32_e32 v162, v159, v173
	v_fmac_f32_e32 v177, v158, v216
	v_add_f32_e32 v2, v2, v174
	v_fma_f32 v3, v159, v215, -v4
	v_add_f32_e32 v1, v1, v5
	v_fmac_f32_e32 v162, v160, v215
	v_add_f32_e32 v2, v2, v177
	v_add_f32_e32 v1, v1, v3
	;; [unrolled: 1-line block ×3, first 2 shown]
	s_waitcnt vmcnt(0)
	v_sub_f32_e32 v1, v217, v1
	v_sub_f32_e32 v2, v202, v2
	buffer_store_dword v1, off, s[0:3], 0 offset:176
	buffer_store_dword v2, off, s[0:3], 0 offset:180
	v_cmpx_lt_u32_e32 21, v0
	s_cbranch_execz .LBB127_355
; %bb.354:
	s_clause 0x1
	buffer_load_dword v1, off, s[0:3], 0 offset:168
	buffer_load_dword v2, off, s[0:3], 0 offset:172
	buffer_store_dword v142, off, s[0:3], 0 offset:168
	buffer_store_dword v142, off, s[0:3], 0 offset:172
	s_waitcnt vmcnt(0)
	ds_write_b64 v141, v[1:2]
.LBB127_355:
	s_or_b32 exec_lo, exec_lo, s4
	s_waitcnt lgkmcnt(0)
	s_waitcnt_vscnt null, 0x0
	s_barrier
	buffer_gl0_inv
	s_clause 0x24
	buffer_load_dword v143, off, s[0:3], 0 offset:180
	buffer_load_dword v144, off, s[0:3], 0 offset:188
	buffer_load_dword v146, off, s[0:3], 0 offset:196
	buffer_load_dword v145, off, s[0:3], 0 offset:192
	buffer_load_dword v147, off, s[0:3], 0 offset:184
	buffer_load_dword v149, off, s[0:3], 0 offset:176
	buffer_load_dword v148, off, s[0:3], 0 offset:204
	buffer_load_dword v150, off, s[0:3], 0 offset:224
	buffer_load_dword v151, off, s[0:3], 0 offset:216
	buffer_load_dword v153, off, s[0:3], 0 offset:208
	buffer_load_dword v159, off, s[0:3], 0 offset:200
	buffer_load_dword v156, off, s[0:3], 0 offset:212
	buffer_load_dword v157, off, s[0:3], 0 offset:220
	buffer_load_dword v155, off, s[0:3], 0 offset:228
	buffer_load_dword v154, off, s[0:3], 0 offset:236
	buffer_load_dword v152, off, s[0:3], 0 offset:244
	buffer_load_dword v158, off, s[0:3], 0 offset:252
	buffer_load_dword v160, off, s[0:3], 0 offset:256
	buffer_load_dword v163, off, s[0:3], 0 offset:248
	buffer_load_dword v165, off, s[0:3], 0 offset:240
	buffer_load_dword v170, off, s[0:3], 0 offset:232
	buffer_load_dword v164, off, s[0:3], 0 offset:260
	buffer_load_dword v162, off, s[0:3], 0 offset:268
	buffer_load_dword v161, off, s[0:3], 0 offset:276
	buffer_load_dword v168, off, s[0:3], 0 offset:288
	buffer_load_dword v172, off, s[0:3], 0 offset:280
	buffer_load_dword v173, off, s[0:3], 0 offset:272
	buffer_load_dword v176, off, s[0:3], 0 offset:264
	buffer_load_dword v175, off, s[0:3], 0 offset:284
	buffer_load_dword v174, off, s[0:3], 0 offset:292
	buffer_load_dword v171, off, s[0:3], 0 offset:300
	buffer_load_dword v166, off, s[0:3], 0 offset:320
	buffer_load_dword v181, off, s[0:3], 0 offset:312
	buffer_load_dword v182, off, s[0:3], 0 offset:304
	buffer_load_dword v187, off, s[0:3], 0 offset:296
	buffer_load_dword v186, off, s[0:3], 0 offset:308
	buffer_load_dword v184, off, s[0:3], 0 offset:316
	ds_read_b128 v[9:12], v142 offset:688
	ds_read_b128 v[5:8], v142 offset:704
	s_clause 0x8
	buffer_load_dword v188, off, s[0:3], 0 offset:324
	buffer_load_dword v183, off, s[0:3], 0 offset:332
	;; [unrolled: 1-line block ×9, first 2 shown]
	ds_read_b128 v[1:4], v142 offset:720
	ds_read_b128 v[189:192], v142 offset:736
	;; [unrolled: 1-line block ×4, first 2 shown]
	buffer_load_dword v201, off, s[0:3], 0 offset:172
	s_mov_b32 s4, exec_lo
	s_waitcnt vmcnt(46) lgkmcnt(5)
	v_mul_f32_e32 v202, v9, v143
	s_waitcnt vmcnt(45)
	v_mul_f32_e32 v203, v11, v144
	v_mul_f32_e32 v143, v10, v143
	;; [unrolled: 1-line block ×3, first 2 shown]
	s_waitcnt vmcnt(44) lgkmcnt(4)
	v_mul_f32_e32 v204, v5, v146
	v_mul_f32_e32 v146, v6, v146
	s_waitcnt vmcnt(41)
	v_fmac_f32_e32 v202, v10, v149
	v_fma_f32 v143, v9, v149, -v143
	s_waitcnt vmcnt(40)
	v_mul_f32_e32 v149, v7, v148
	v_mul_f32_e32 v9, v8, v148
	v_fmac_f32_e32 v203, v12, v147
	v_fma_f32 v144, v11, v147, -v144
	s_waitcnt vmcnt(35) lgkmcnt(3)
	v_mul_f32_e32 v147, v1, v156
	v_mul_f32_e32 v156, v2, v156
	v_fmac_f32_e32 v204, v6, v145
	v_fma_f32 v145, v5, v145, -v146
	v_fmac_f32_e32 v149, v8, v159
	v_fma_f32 v146, v7, v159, -v9
	s_waitcnt vmcnt(34)
	v_mul_f32_e32 v148, v3, v157
	v_mul_f32_e32 v157, v4, v157
	s_waitcnt vmcnt(33) lgkmcnt(2)
	v_mul_f32_e32 v159, v189, v155
	v_mul_f32_e32 v155, v190, v155
	v_fmac_f32_e32 v147, v2, v153
	v_fma_f32 v153, v1, v153, -v156
	s_waitcnt vmcnt(32)
	v_mul_f32_e32 v156, v191, v154
	v_mul_f32_e32 v1, v192, v154
	ds_read_b128 v[5:8], v142 offset:784
	ds_read_b128 v[9:12], v142 offset:800
	v_fmac_f32_e32 v148, v4, v151
	v_fma_f32 v151, v3, v151, -v157
	s_waitcnt vmcnt(31) lgkmcnt(3)
	v_mul_f32_e32 v157, v193, v152
	s_waitcnt vmcnt(30)
	v_mul_f32_e32 v154, v195, v158
	v_mul_f32_e32 v2, v194, v152
	;; [unrolled: 1-line block ×3, first 2 shown]
	v_fmac_f32_e32 v159, v190, v150
	v_fma_f32 v150, v189, v150, -v155
	s_waitcnt vmcnt(26)
	v_fmac_f32_e32 v156, v192, v170
	v_fma_f32 v152, v191, v170, -v1
	s_clause 0x7
	buffer_load_dword v155, off, s[0:3], 0 offset:364
	buffer_load_dword v158, off, s[0:3], 0 offset:368
	;; [unrolled: 1-line block ×8, first 2 shown]
	v_fmac_f32_e32 v157, v194, v165
	v_fmac_f32_e32 v154, v196, v163
	v_fma_f32 v165, v193, v165, -v2
	v_fma_f32 v163, v195, v163, -v3
	ds_read_b128 v[1:4], v142 offset:816
	s_waitcnt vmcnt(33) lgkmcnt(3)
	v_mul_f32_e32 v193, v197, v164
	v_mul_f32_e32 v164, v198, v164
	s_waitcnt vmcnt(32)
	v_mul_f32_e32 v195, v199, v162
	v_mul_f32_e32 v162, v200, v162
	buffer_load_dword v194, off, s[0:3], 0 offset:396
	v_fmac_f32_e32 v193, v198, v160
	v_fma_f32 v160, v197, v160, -v164
	s_waitcnt vmcnt(32) lgkmcnt(2)
	v_mul_f32_e32 v164, v5, v161
	s_waitcnt vmcnt(28)
	v_fmac_f32_e32 v195, v200, v176
	v_fma_f32 v162, v199, v176, -v162
	s_waitcnt vmcnt(27)
	v_mul_f32_e32 v176, v7, v175
	v_mul_f32_e32 v161, v6, v161
	;; [unrolled: 1-line block ×3, first 2 shown]
	s_waitcnt vmcnt(26) lgkmcnt(1)
	v_mul_f32_e32 v196, v9, v174
	v_mul_f32_e32 v174, v10, v174
	v_fmac_f32_e32 v164, v6, v173
	v_fmac_f32_e32 v176, v8, v172
	v_fma_f32 v161, v5, v173, -v161
	v_fma_f32 v172, v7, v172, -v175
	s_clause 0x4
	buffer_load_dword v173, off, s[0:3], 0 offset:404
	buffer_load_dword v175, off, s[0:3], 0 offset:416
	;; [unrolled: 1-line block ×5, first 2 shown]
	s_waitcnt vmcnt(30)
	v_mul_f32_e32 v200, v11, v171
	v_mul_f32_e32 v171, v12, v171
	v_fmac_f32_e32 v196, v10, v168
	v_fma_f32 v168, v9, v168, -v174
	s_waitcnt vmcnt(25) lgkmcnt(0)
	v_mul_f32_e32 v174, v1, v186
	v_mul_f32_e32 v9, v2, v186
	ds_read_b128 v[5:8], v142 offset:832
	v_fmac_f32_e32 v200, v12, v187
	v_fma_f32 v171, v11, v187, -v171
	s_clause 0x1
	buffer_load_dword v186, off, s[0:3], 0 offset:412
	buffer_load_dword v187, off, s[0:3], 0 offset:420
	v_fmac_f32_e32 v174, v2, v182
	v_fma_f32 v182, v1, v182, -v9
	v_add_f32_e32 v1, 0, v202
	s_waitcnt vmcnt(26)
	v_mul_f32_e32 v206, v3, v184
	v_mul_f32_e32 v10, v4, v184
	s_clause 0x2
	buffer_load_dword v184, off, s[0:3], 0 offset:428
	buffer_load_dword v207, off, s[0:3], 0 offset:436
	;; [unrolled: 1-line block ×3, first 2 shown]
	v_add_f32_e32 v1, v1, v203
	s_clause 0x6
	buffer_load_dword v202, off, s[0:3], 0 offset:452
	buffer_load_dword v209, off, s[0:3], 0 offset:460
	;; [unrolled: 1-line block ×7, first 2 shown]
	v_add_f32_e32 v1, v1, v204
	s_clause 0x4
	buffer_load_dword v204, off, s[0:3], 0 offset:500
	buffer_load_dword v214, off, s[0:3], 0 offset:448
	;; [unrolled: 1-line block ×5, first 2 shown]
	v_add_f32_e32 v2, 0, v143
	v_fmac_f32_e32 v206, v4, v181
	v_add_f32_e32 v1, v1, v149
	v_fma_f32 v181, v3, v181, -v10
	s_waitcnt vmcnt(40) lgkmcnt(0)
	v_mul_f32_e32 v3, v6, v188
	v_add_f32_e32 v2, v2, v144
	v_add_f32_e32 v1, v1, v147
	;; [unrolled: 1-line block ×6, first 2 shown]
	s_clause 0x6
	buffer_load_dword v159, off, s[0:3], 0 offset:480
	buffer_load_dword v218, off, s[0:3], 0 offset:472
	;; [unrolled: 1-line block ×7, first 2 shown]
	v_add_f32_e32 v2, v2, v153
	v_add_f32_e32 v1, v1, v156
	s_waitcnt vmcnt(46)
	v_mul_f32_e32 v156, v7, v183
	v_add_f32_e32 v2, v2, v151
	v_mul_f32_e32 v151, v5, v188
	v_add_f32_e32 v1, v1, v157
	s_waitcnt vmcnt(39)
	v_fmac_f32_e32 v156, v8, v185
	v_add_f32_e32 v2, v2, v150
	v_fmac_f32_e32 v151, v6, v166
	v_add_f32_e32 v1, v1, v154
	v_add_f32_e32 v2, v2, v152
	v_fma_f32 v152, v5, v166, -v3
	v_add_f32_e32 v6, v1, v193
	v_add_f32_e32 v2, v2, v165
	buffer_load_dword v165, off, s[0:3], 0 offset:168
	v_add_f32_e32 v10, v6, v195
	v_add_f32_e32 v2, v2, v163
	;; [unrolled: 1-line block ×4, first 2 shown]
	ds_read_b128 v[1:4], v142 offset:848
	v_add_f32_e32 v144, v144, v176
	v_add_f32_e32 v9, v5, v162
	v_mul_f32_e32 v5, v8, v183
	v_add_f32_e32 v143, v9, v161
	v_fma_f32 v157, v7, v185, -v5
	ds_read_b128 v[5:8], v142 offset:864
	ds_read_b128 v[9:12], v142 offset:880
	v_add_f32_e32 v143, v143, v172
	v_add_f32_e32 v147, v143, v168
	s_waitcnt lgkmcnt(2)
	v_mul_f32_e32 v145, v2, v179
	v_mul_f32_e32 v160, v1, v179
	;; [unrolled: 1-line block ×3, first 2 shown]
	v_fma_f32 v161, v1, v180, -v145
	v_add_f32_e32 v1, v144, v196
	v_fmac_f32_e32 v160, v2, v180
	v_add_f32_e32 v2, v147, v171
	ds_read_b128 v[143:146], v142 offset:896
	v_mul_f32_e32 v147, v4, v178
	v_add_f32_e32 v1, v1, v200
	s_waitcnt lgkmcnt(2)
	v_mul_f32_e32 v163, v5, v177
	v_mul_f32_e32 v148, v6, v177
	v_add_f32_e32 v2, v2, v182
	v_fmac_f32_e32 v162, v4, v169
	v_add_f32_e32 v1, v1, v174
	v_fmac_f32_e32 v163, v6, v167
	v_fma_f32 v167, v5, v167, -v148
	v_add_f32_e32 v5, v2, v181
	v_add_f32_e32 v6, v1, v206
	s_waitcnt vmcnt(38)
	v_mul_f32_e32 v164, v7, v155
	v_mul_f32_e32 v153, v8, v155
	s_waitcnt vmcnt(36) lgkmcnt(1)
	v_mul_f32_e32 v166, v9, v170
	v_mul_f32_e32 v154, v10, v170
	v_fma_f32 v155, v3, v169, -v147
	s_waitcnt vmcnt(33) lgkmcnt(0)
	v_mul_f32_e32 v171, v143, v191
	ds_read_b128 v[1:4], v142 offset:912
	ds_read_b128 v[147:150], v142 offset:928
	v_fmac_f32_e32 v166, v10, v158
	v_add_f32_e32 v10, v5, v152
	v_fma_f32 v169, v9, v158, -v154
	v_add_f32_e32 v9, v6, v151
	s_waitcnt vmcnt(31)
	v_fma_f32 v168, v7, v205, -v153
	v_fmac_f32_e32 v164, v8, v205
	v_add_f32_e32 v10, v10, v157
	v_mul_f32_e32 v157, v12, v190
	v_add_f32_e32 v9, v9, v156
	v_mul_f32_e32 v156, v144, v191
	v_mul_f32_e32 v170, v11, v190
	v_add_f32_e32 v10, v10, v161
	v_fma_f32 v174, v11, v189, -v157
	s_waitcnt vmcnt(30)
	v_mul_f32_e32 v161, v145, v194
	v_fma_f32 v176, v143, v192, -v156
	v_add_f32_e32 v143, v9, v160
	v_add_f32_e32 v160, v10, v155
	v_fmac_f32_e32 v170, v12, v189
	v_mul_f32_e32 v172, v146, v194
	v_fmac_f32_e32 v171, v144, v192
	v_add_f32_e32 v162, v143, v162
	v_add_f32_e32 v160, v160, v167
	s_waitcnt vmcnt(29) lgkmcnt(1)
	v_mul_f32_e32 v167, v2, v173
	ds_read_b128 v[5:8], v142 offset:944
	ds_read_b128 v[151:154], v142 offset:960
	ds_read_b128 v[9:12], v142 offset:976
	ds_read_b128 v[155:158], v142 offset:992
	v_add_f32_e32 v162, v162, v163
	v_add_f32_e32 v160, v160, v168
	s_waitcnt vmcnt(25)
	v_fmac_f32_e32 v161, v146, v199
	v_fma_f32 v146, v145, v199, -v172
	v_mul_f32_e32 v172, v1, v173
	v_add_f32_e32 v162, v162, v164
	v_add_f32_e32 v160, v160, v169
	v_fma_f32 v1, v1, v198, -v167
	ds_read_b128 v[142:145], v142 offset:1008
	s_waitcnt vmcnt(24)
	v_mul_f32_e32 v173, v4, v186
	v_add_f32_e32 v162, v162, v166
	v_add_f32_e32 v160, v160, v174
	v_mul_f32_e32 v163, v3, v186
	v_fmac_f32_e32 v172, v2, v198
	v_fma_f32 v3, v3, v197, -v173
	v_add_f32_e32 v162, v162, v170
	v_add_f32_e32 v160, v160, v176
	s_waitcnt vmcnt(23) lgkmcnt(5)
	v_mul_f32_e32 v168, v147, v187
	v_fmac_f32_e32 v163, v4, v197
	s_waitcnt vmcnt(22)
	v_mul_f32_e32 v164, v149, v184
	v_add_f32_e32 v162, v162, v171
	v_add_f32_e32 v146, v160, v146
	v_fmac_f32_e32 v168, v148, v175
	s_waitcnt vmcnt(21) lgkmcnt(4)
	v_mul_f32_e32 v177, v5, v207
	s_waitcnt vmcnt(20)
	v_mul_f32_e32 v169, v7, v208
	v_add_f32_e32 v160, v162, v161
	v_mul_f32_e32 v161, v148, v187
	v_add_f32_e32 v1, v146, v1
	v_mul_f32_e32 v146, v150, v184
	s_waitcnt vmcnt(8)
	v_fmac_f32_e32 v164, v150, v217
	v_add_f32_e32 v4, v160, v172
	v_fma_f32 v147, v147, v175, -v161
	v_add_f32_e32 v1, v1, v3
	v_fma_f32 v146, v149, v217, -v146
	v_fmac_f32_e32 v177, v6, v216
	v_add_f32_e32 v3, v4, v163
	v_mul_f32_e32 v4, v6, v207
	v_add_f32_e32 v1, v1, v147
	v_mul_f32_e32 v147, v8, v208
	s_waitcnt lgkmcnt(3)
	v_mul_f32_e32 v166, v151, v202
	v_add_f32_e32 v3, v3, v168
	v_fma_f32 v4, v5, v216, -v4
	v_add_f32_e32 v1, v1, v146
	v_mul_f32_e32 v5, v152, v202
	v_fma_f32 v6, v7, v215, -v147
	v_add_f32_e32 v3, v3, v164
	v_fmac_f32_e32 v169, v8, v215
	v_add_f32_e32 v1, v1, v4
	v_mul_f32_e32 v4, v154, v209
	v_fma_f32 v5, v151, v214, -v5
	v_add_f32_e32 v3, v3, v177
	v_mul_f32_e32 v178, v153, v209
	v_add_f32_e32 v1, v1, v6
	v_fmac_f32_e32 v166, v152, v214
	s_waitcnt lgkmcnt(2)
	v_mul_f32_e32 v6, v10, v210
	v_add_f32_e32 v3, v3, v169
	s_waitcnt vmcnt(4)
	v_fma_f32 v4, v153, v220, -v4
	v_add_f32_e32 v1, v1, v5
	v_mul_f32_e32 v174, v9, v210
	v_fmac_f32_e32 v178, v154, v220
	v_add_f32_e32 v3, v3, v166
	v_mul_f32_e32 v5, v12, v203
	v_fma_f32 v6, v9, v219, -v6
	v_add_f32_e32 v1, v1, v4
	v_mul_f32_e32 v170, v11, v203
	v_fmac_f32_e32 v174, v10, v219
	v_add_f32_e32 v3, v3, v178
	s_waitcnt lgkmcnt(1)
	v_mul_f32_e32 v4, v156, v211
	v_fma_f32 v5, v11, v218, -v5
	v_add_f32_e32 v1, v1, v6
	v_mul_f32_e32 v179, v155, v211
	v_fmac_f32_e32 v170, v12, v218
	v_add_f32_e32 v3, v3, v174
	v_mul_f32_e32 v6, v158, v212
	v_fma_f32 v4, v155, v159, -v4
	v_add_f32_e32 v1, v1, v5
	v_mul_f32_e32 v176, v157, v212
	v_fmac_f32_e32 v179, v156, v159
	v_add_f32_e32 v3, v3, v170
	s_waitcnt lgkmcnt(0)
	v_mul_f32_e32 v5, v143, v204
	s_waitcnt vmcnt(1)
	v_fma_f32 v6, v157, v223, -v6
	v_add_f32_e32 v1, v1, v4
	v_mul_f32_e32 v171, v142, v204
	v_fmac_f32_e32 v176, v158, v223
	v_add_f32_e32 v3, v3, v179
	v_mul_f32_e32 v4, v145, v213
	v_fma_f32 v5, v142, v222, -v5
	v_add_f32_e32 v1, v1, v6
	v_mul_f32_e32 v2, v144, v213
	v_fmac_f32_e32 v171, v143, v222
	v_add_f32_e32 v3, v3, v176
	v_fma_f32 v4, v144, v221, -v4
	v_add_f32_e32 v1, v1, v5
	v_fmac_f32_e32 v2, v145, v221
	v_add_f32_e32 v3, v3, v171
	v_add_f32_e32 v1, v1, v4
	;; [unrolled: 1-line block ×3, first 2 shown]
	s_waitcnt vmcnt(0)
	v_sub_f32_e32 v1, v165, v1
	v_sub_f32_e32 v2, v201, v2
	buffer_store_dword v1, off, s[0:3], 0 offset:168
	buffer_store_dword v2, off, s[0:3], 0 offset:172
	v_cmpx_lt_u32_e32 20, v0
	s_cbranch_execz .LBB127_357
; %bb.356:
	s_clause 0x1
	buffer_load_dword v1, off, s[0:3], 0 offset:160
	buffer_load_dword v2, off, s[0:3], 0 offset:164
	v_mov_b32_e32 v3, 0
	buffer_store_dword v3, off, s[0:3], 0 offset:160
	buffer_store_dword v3, off, s[0:3], 0 offset:164
	s_waitcnt vmcnt(0)
	ds_write_b64 v141, v[1:2]
.LBB127_357:
	s_or_b32 exec_lo, exec_lo, s4
	s_waitcnt lgkmcnt(0)
	s_waitcnt_vscnt null, 0x0
	s_barrier
	buffer_gl0_inv
	s_clause 0x25
	buffer_load_dword v144, off, s[0:3], 0 offset:172
	buffer_load_dword v145, off, s[0:3], 0 offset:180
	;; [unrolled: 1-line block ×38, first 2 shown]
	v_mov_b32_e32 v142, 0
	ds_read2_b64 v[9:12], v142 offset0:85 offset1:86
	ds_read2_b64 v[1:4], v142 offset0:87 offset1:88
	s_clause 0x7
	buffer_load_dword v185, off, s[0:3], 0 offset:324
	buffer_load_dword v182, off, s[0:3], 0 offset:332
	;; [unrolled: 1-line block ×8, first 2 shown]
	ds_read2_b64 v[5:8], v142 offset0:89 offset1:90
	s_clause 0x9
	buffer_load_dword v180, off, s[0:3], 0 offset:356
	buffer_load_dword v167, off, s[0:3], 0 offset:360
	;; [unrolled: 1-line block ×10, first 2 shown]
	ds_read2_b64 v[192:195], v142 offset0:91 offset1:92
	s_mov_b32 s4, exec_lo
	s_waitcnt vmcnt(55) lgkmcnt(3)
	v_mul_f32_e32 v203, v9, v144
	v_mul_f32_e32 v144, v10, v144
	s_waitcnt vmcnt(54)
	v_mul_f32_e32 v204, v11, v145
	v_mul_f32_e32 v145, v12, v145
	s_waitcnt vmcnt(51)
	v_fmac_f32_e32 v203, v10, v150
	v_fma_f32 v150, v9, v150, -v144
	s_waitcnt vmcnt(50) lgkmcnt(2)
	v_mul_f32_e32 v205, v1, v149
	v_mul_f32_e32 v144, v2, v149
	v_fmac_f32_e32 v204, v12, v147
	v_fma_f32 v147, v11, v147, -v145
	ds_read2_b64 v[9:12], v142 offset0:93 offset1:94
	s_waitcnt vmcnt(49)
	v_mul_f32_e32 v149, v3, v148
	v_mul_f32_e32 v145, v4, v148
	v_fmac_f32_e32 v205, v2, v143
	v_fma_f32 v148, v1, v143, -v144
	s_waitcnt vmcnt(48) lgkmcnt(2)
	v_mul_f32_e32 v206, v5, v146
	v_mul_f32_e32 v143, v6, v146
	s_waitcnt vmcnt(44)
	v_fmac_f32_e32 v149, v4, v158
	v_fma_f32 v158, v3, v158, -v145
	ds_read2_b64 v[1:4], v142 offset0:95 offset1:96
	s_waitcnt vmcnt(43)
	v_mul_f32_e32 v207, v7, v156
	v_mul_f32_e32 v144, v8, v156
	v_fmac_f32_e32 v206, v6, v154
	v_fma_f32 v154, v5, v154, -v143
	s_waitcnt vmcnt(42) lgkmcnt(2)
	v_mul_f32_e32 v156, v192, v155
	v_fmac_f32_e32 v207, v8, v152
	v_fma_f32 v152, v7, v152, -v144
	ds_read2_b64 v[5:8], v142 offset0:97 offset1:98
	v_mul_f32_e32 v143, v193, v155
	s_waitcnt vmcnt(41)
	v_mul_f32_e32 v155, v194, v153
	v_mul_f32_e32 v144, v195, v153
	s_waitcnt vmcnt(40) lgkmcnt(2)
	v_mul_f32_e32 v153, v9, v157
	v_mul_f32_e32 v157, v10, v157
	v_fmac_f32_e32 v156, v193, v151
	v_fma_f32 v151, v192, v151, -v143
	s_waitcnt vmcnt(36)
	v_fmac_f32_e32 v155, v195, v166
	v_fma_f32 v166, v194, v166, -v144
	ds_read2_b64 v[143:146], v142 offset0:99 offset1:100
	s_waitcnt vmcnt(35)
	v_mul_f32_e32 v192, v11, v165
	v_mul_f32_e32 v165, v12, v165
	v_fmac_f32_e32 v153, v10, v162
	v_fma_f32 v157, v9, v162, -v157
	s_waitcnt vmcnt(34) lgkmcnt(2)
	v_mul_f32_e32 v162, v1, v163
	v_mul_f32_e32 v163, v2, v163
	v_fmac_f32_e32 v192, v12, v160
	v_fma_f32 v160, v11, v160, -v165
	ds_read2_b64 v[9:12], v142 offset0:101 offset1:102
	v_fmac_f32_e32 v162, v2, v159
	v_fma_f32 v159, v1, v159, -v163
	s_waitcnt vmcnt(32) lgkmcnt(2)
	v_mul_f32_e32 v163, v5, v164
	v_mul_f32_e32 v1, v6, v164
	;; [unrolled: 1-line block ×4, first 2 shown]
	s_waitcnt vmcnt(27)
	v_mul_f32_e32 v2, v8, v176
	v_fmac_f32_e32 v163, v6, v173
	v_add_f32_e32 v6, 0, v203
	v_fmac_f32_e32 v165, v4, v177
	v_fma_f32 v161, v3, v177, -v161
	v_mul_f32_e32 v177, v7, v176
	s_waitcnt vmcnt(26) lgkmcnt(1)
	v_mul_f32_e32 v164, v143, v175
	v_add_f32_e32 v6, v6, v204
	v_mul_f32_e32 v3, v144, v175
	s_waitcnt vmcnt(25)
	v_mul_f32_e32 v175, v145, v174
	v_mul_f32_e32 v4, v146, v174
	s_clause 0x6
	buffer_load_dword v174, off, s[0:3], 0 offset:396
	buffer_load_dword v176, off, s[0:3], 0 offset:408
	;; [unrolled: 1-line block ×7, first 2 shown]
	v_add_f32_e32 v6, v6, v205
	v_fma_f32 v173, v5, v173, -v1
	v_fmac_f32_e32 v164, v144, v170
	v_fma_f32 v143, v143, v170, -v3
	s_waitcnt vmcnt(27) lgkmcnt(0)
	v_mul_f32_e32 v170, v9, v189
	v_mul_f32_e32 v5, v10, v189
	v_add_f32_e32 v6, v6, v149
	v_fmac_f32_e32 v177, v8, v172
	v_fma_f32 v172, v7, v172, -v2
	v_fmac_f32_e32 v175, v146, v190
	v_fma_f32 v144, v145, v190, -v4
	buffer_load_dword v189, off, s[0:3], 0 offset:420
	s_waitcnt vmcnt(27)
	v_mul_f32_e32 v190, v11, v184
	v_fmac_f32_e32 v170, v10, v186
	v_fma_f32 v186, v9, v186, -v5
	v_add_f32_e32 v5, 0, v150
	v_mul_f32_e32 v7, v12, v184
	v_add_f32_e32 v6, v6, v206
	ds_read2_b64 v[1:4], v142 offset0:103 offset1:104
	s_clause 0x1
	buffer_load_dword v203, off, s[0:3], 0 offset:428
	buffer_load_dword v204, off, s[0:3], 0 offset:436
	v_add_f32_e32 v5, v5, v147
	buffer_load_dword v184, off, s[0:3], 0 offset:444
	v_fmac_f32_e32 v190, v12, v181
	v_fma_f32 v147, v11, v181, -v7
	s_clause 0x7
	buffer_load_dword v181, off, s[0:3], 0 offset:452
	buffer_load_dword v205, off, s[0:3], 0 offset:460
	;; [unrolled: 1-line block ×8, first 2 shown]
	v_add_f32_e32 v6, v6, v207
	s_clause 0x3
	buffer_load_dword v207, off, s[0:3], 0 offset:440
	buffer_load_dword v215, off, s[0:3], 0 offset:432
	buffer_load_dword v216, off, s[0:3], 0 offset:424
	buffer_load_dword v217, off, s[0:3], 0 offset:416
	v_add_f32_e32 v5, v5, v148
	s_clause 0x3
	buffer_load_dword v218, off, s[0:3], 0 offset:472
	buffer_load_dword v219, off, s[0:3], 0 offset:464
	buffer_load_dword v220, off, s[0:3], 0 offset:456
	buffer_load_dword v221, off, s[0:3], 0 offset:448
	v_add_f32_e32 v6, v6, v156
	v_add_f32_e32 v5, v5, v158
	;; [unrolled: 1-line block ×3, first 2 shown]
	s_waitcnt vmcnt(45) lgkmcnt(0)
	v_mul_f32_e32 v148, v1, v188
	v_add_f32_e32 v5, v5, v154
	v_mul_f32_e32 v7, v2, v188
	v_add_f32_e32 v6, v6, v153
	v_fmac_f32_e32 v148, v2, v168
	v_add_f32_e32 v5, v5, v152
	v_fma_f32 v149, v1, v168, -v7
	v_add_f32_e32 v6, v6, v192
	v_add_f32_e32 v5, v5, v151
	s_waitcnt vmcnt(44)
	v_mul_f32_e32 v151, v3, v185
	v_add_f32_e32 v6, v6, v162
	v_add_f32_e32 v5, v5, v166
	s_clause 0x4
	buffer_load_dword v166, off, s[0:3], 0 offset:504
	buffer_load_dword v192, off, s[0:3], 0 offset:496
	buffer_load_dword v222, off, s[0:3], 0 offset:488
	buffer_load_dword v223, off, s[0:3], 0 offset:480
	buffer_load_dword v224, off, s[0:3], 0 offset:160
	v_add_f32_e32 v1, v6, v165
	s_waitcnt vmcnt(42)
	v_fmac_f32_e32 v151, v4, v187
	v_add_f32_e32 v5, v5, v157
	v_add_f32_e32 v9, v1, v163
	v_mul_f32_e32 v1, v4, v185
	v_add_f32_e32 v5, v5, v160
	v_add_f32_e32 v145, v9, v177
	v_fma_f32 v152, v3, v187, -v1
	v_add_f32_e32 v5, v5, v159
	v_add_f32_e32 v145, v145, v164
	;; [unrolled: 1-line block ×3, first 2 shown]
	ds_read2_b64 v[5:8], v142 offset0:105 offset1:106
	v_add_f32_e32 v153, v145, v175
	v_add_f32_e32 v10, v2, v173
	ds_read2_b64 v[1:4], v142 offset0:107 offset1:108
	v_add_f32_e32 v146, v10, v172
	ds_read2_b64 v[9:12], v142 offset0:109 offset1:110
	v_add_f32_e32 v143, v146, v143
	s_waitcnt lgkmcnt(2)
	v_mul_f32_e32 v150, v6, v182
	v_mul_f32_e32 v155, v5, v182
	;; [unrolled: 1-line block ×3, first 2 shown]
	v_fma_f32 v156, v5, v183, -v150
	v_add_f32_e32 v5, v143, v144
	ds_read2_b64 v[143:146], v142 offset0:111 offset1:112
	v_fmac_f32_e32 v155, v6, v183
	v_add_f32_e32 v6, v153, v170
	s_waitcnt lgkmcnt(2)
	v_mul_f32_e32 v158, v1, v178
	v_add_f32_e32 v5, v5, v186
	v_mul_f32_e32 v153, v2, v178
	s_waitcnt vmcnt(39) lgkmcnt(1)
	v_mul_f32_e32 v162, v9, v196
	v_add_f32_e32 v6, v6, v190
	v_fmac_f32_e32 v158, v2, v169
	v_add_f32_e32 v5, v5, v147
	v_fma_f32 v160, v1, v169, -v153
	v_mul_f32_e32 v153, v10, v196
	v_add_f32_e32 v1, v6, v148
	v_mul_f32_e32 v150, v8, v179
	v_add_f32_e32 v2, v5, v149
	v_fmac_f32_e32 v162, v10, v167
	v_fma_f32 v164, v9, v167, -v153
	v_add_f32_e32 v10, v1, v151
	v_fma_f32 v159, v7, v171, -v150
	v_add_f32_e32 v9, v2, v152
	v_fmac_f32_e32 v157, v8, v171
	v_mul_f32_e32 v154, v4, v180
	v_add_f32_e32 v10, v10, v155
	s_waitcnt vmcnt(36) lgkmcnt(0)
	v_mul_f32_e32 v167, v143, v199
	v_add_f32_e32 v9, v9, v156
	v_mul_f32_e32 v156, v144, v199
	v_mul_f32_e32 v161, v3, v180
	v_add_f32_e32 v10, v10, v157
	s_waitcnt vmcnt(34)
	v_fma_f32 v163, v3, v201, -v154
	ds_read2_b64 v[5:8], v142 offset0:113 offset1:114
	ds_read2_b64 v[147:150], v142 offset0:115 offset1:116
	v_fma_f32 v171, v143, v200, -v156
	v_add_f32_e32 v143, v9, v159
	v_fmac_f32_e32 v161, v4, v201
	v_add_f32_e32 v172, v10, v158
	v_mul_f32_e32 v155, v12, v198
	v_mul_f32_e32 v165, v11, v198
	v_add_f32_e32 v173, v143, v160
	s_waitcnt vmcnt(33)
	v_mul_f32_e32 v169, v146, v202
	v_add_f32_e32 v161, v172, v161
	v_fma_f32 v170, v11, v197, -v155
	v_fmac_f32_e32 v165, v12, v197
	v_add_f32_e32 v163, v173, v163
	v_mul_f32_e32 v168, v145, v202
	v_add_f32_e32 v161, v161, v162
	v_fmac_f32_e32 v167, v144, v200
	ds_read2_b64 v[1:4], v142 offset0:117 offset1:118
	ds_read2_b64 v[151:154], v142 offset0:119 offset1:120
	v_add_f32_e32 v163, v163, v164
	ds_read2_b64 v[9:12], v142 offset0:121 offset1:122
	ds_read2_b64 v[155:158], v142 offset0:123 offset1:124
	v_add_f32_e32 v161, v161, v165
	v_add_f32_e32 v163, v163, v170
	;; [unrolled: 1-line block ×4, first 2 shown]
	s_waitcnt vmcnt(31) lgkmcnt(5)
	v_mul_f32_e32 v172, v5, v174
	v_mul_f32_e32 v174, v6, v174
	s_waitcnt vmcnt(27)
	v_fma_f32 v169, v145, v195, -v169
	v_fmac_f32_e32 v168, v146, v195
	s_waitcnt vmcnt(26)
	v_mul_f32_e32 v175, v8, v208
	v_fma_f32 v5, v5, v194, -v174
	v_mul_f32_e32 v173, v7, v208
	v_add_f32_e32 v163, v163, v169
	v_fmac_f32_e32 v172, v6, v194
	v_add_f32_e32 v161, v161, v168
	s_waitcnt vmcnt(25) lgkmcnt(4)
	v_mul_f32_e32 v174, v148, v209
	v_fma_f32 v7, v7, v193, -v175
	v_add_f32_e32 v5, v163, v5
	v_mul_f32_e32 v162, v147, v209
	v_fmac_f32_e32 v173, v8, v193
	v_add_f32_e32 v161, v161, v172
	s_waitcnt vmcnt(24)
	v_mul_f32_e32 v168, v150, v189
	v_fma_f32 v147, v147, v176, -v174
	v_add_f32_e32 v5, v5, v7
	v_mul_f32_e32 v164, v149, v189
	v_fmac_f32_e32 v162, v148, v176
	v_add_f32_e32 v7, v161, v173
	ds_read2_b64 v[143:146], v142 offset0:125 offset1:126
	ds_read_b64 v[159:160], v142 offset:1016
	s_waitcnt vmcnt(23) lgkmcnt(5)
	v_mul_f32_e32 v6, v1, v203
	v_mul_f32_e32 v148, v2, v203
	v_add_f32_e32 v5, v5, v147
	v_add_f32_e32 v7, v7, v162
	s_waitcnt vmcnt(22)
	v_mul_f32_e32 v147, v4, v204
	v_mul_f32_e32 v165, v3, v204
	s_waitcnt vmcnt(21) lgkmcnt(4)
	v_mul_f32_e32 v170, v151, v184
	s_waitcnt vmcnt(20)
	v_mul_f32_e32 v8, v153, v181
	s_waitcnt vmcnt(19) lgkmcnt(3)
	v_mul_f32_e32 v175, v9, v205
	s_waitcnt vmcnt(10)
	v_fmac_f32_e32 v6, v2, v216
	s_waitcnt vmcnt(9)
	v_fma_f32 v149, v149, v217, -v168
	v_fmac_f32_e32 v164, v150, v217
	v_fma_f32 v1, v1, v216, -v148
	v_fma_f32 v3, v3, v215, -v147
	v_fmac_f32_e32 v165, v4, v215
	v_add_f32_e32 v2, v5, v149
	v_add_f32_e32 v5, v7, v164
	v_mul_f32_e32 v7, v152, v184
	v_mul_f32_e32 v4, v154, v181
	v_fmac_f32_e32 v170, v152, v207
	v_add_f32_e32 v1, v2, v1
	v_add_f32_e32 v2, v5, v6
	v_fma_f32 v5, v151, v207, -v7
	s_waitcnt vmcnt(5)
	v_fma_f32 v4, v153, v221, -v4
	v_fmac_f32_e32 v8, v154, v221
	v_add_f32_e32 v1, v1, v3
	v_add_f32_e32 v2, v2, v165
	v_mul_f32_e32 v3, v10, v205
	v_mul_f32_e32 v167, v11, v210
	v_fmac_f32_e32 v175, v10, v220
	v_add_f32_e32 v1, v1, v5
	v_add_f32_e32 v2, v2, v170
	v_mul_f32_e32 v5, v12, v210
	v_fma_f32 v3, v9, v220, -v3
	s_waitcnt lgkmcnt(2)
	v_mul_f32_e32 v171, v155, v211
	v_add_f32_e32 v1, v1, v4
	v_add_f32_e32 v2, v2, v8
	v_mul_f32_e32 v4, v156, v211
	v_fma_f32 v5, v11, v219, -v5
	v_fmac_f32_e32 v167, v12, v219
	v_add_f32_e32 v1, v1, v3
	v_add_f32_e32 v2, v2, v175
	v_mul_f32_e32 v3, v158, v212
	v_fma_f32 v4, v155, v218, -v4
	v_mul_f32_e32 v177, v157, v212
	v_add_f32_e32 v1, v1, v5
	v_fmac_f32_e32 v171, v156, v218
	v_add_f32_e32 v2, v2, v167
	s_waitcnt lgkmcnt(1)
	v_mul_f32_e32 v5, v144, v206
	s_waitcnt vmcnt(1)
	v_fma_f32 v3, v157, v223, -v3
	v_add_f32_e32 v1, v1, v4
	v_mul_f32_e32 v169, v143, v206
	v_fmac_f32_e32 v177, v158, v223
	v_add_f32_e32 v2, v2, v171
	v_mul_f32_e32 v4, v146, v213
	v_fma_f32 v5, v143, v222, -v5
	v_add_f32_e32 v1, v1, v3
	v_mul_f32_e32 v178, v145, v213
	v_fmac_f32_e32 v169, v144, v222
	v_add_f32_e32 v2, v2, v177
	s_waitcnt lgkmcnt(0)
	v_mul_f32_e32 v3, v160, v214
	v_fma_f32 v4, v145, v192, -v4
	v_add_f32_e32 v1, v1, v5
	v_mul_f32_e32 v163, v159, v214
	v_fmac_f32_e32 v178, v146, v192
	v_add_f32_e32 v2, v2, v169
	v_fma_f32 v3, v159, v166, -v3
	v_add_f32_e32 v1, v1, v4
	v_fmac_f32_e32 v163, v160, v166
	v_add_f32_e32 v2, v2, v178
	v_add_f32_e32 v1, v1, v3
	;; [unrolled: 1-line block ×3, first 2 shown]
	s_waitcnt vmcnt(0)
	v_sub_f32_e32 v1, v224, v1
	v_sub_f32_e32 v2, v191, v2
	buffer_store_dword v1, off, s[0:3], 0 offset:160
	buffer_store_dword v2, off, s[0:3], 0 offset:164
	v_cmpx_lt_u32_e32 19, v0
	s_cbranch_execz .LBB127_359
; %bb.358:
	s_clause 0x1
	buffer_load_dword v1, off, s[0:3], 0 offset:152
	buffer_load_dword v2, off, s[0:3], 0 offset:156
	buffer_store_dword v142, off, s[0:3], 0 offset:152
	buffer_store_dword v142, off, s[0:3], 0 offset:156
	s_waitcnt vmcnt(0)
	ds_write_b64 v141, v[1:2]
.LBB127_359:
	s_or_b32 exec_lo, exec_lo, s4
	s_waitcnt lgkmcnt(0)
	s_waitcnt_vscnt null, 0x0
	s_barrier
	buffer_gl0_inv
	s_clause 0x2b
	buffer_load_dword v165, off, s[0:3], 0 offset:164
	buffer_load_dword v166, off, s[0:3], 0 offset:172
	;; [unrolled: 1-line block ×44, first 2 shown]
	ds_read_b128 v[9:12], v142 offset:672
	s_clause 0x1
	buffer_load_dword v191, off, s[0:3], 0 offset:332
	buffer_load_dword v185, off, s[0:3], 0 offset:340
	ds_read_b128 v[5:8], v142 offset:688
	ds_read_b128 v[1:4], v142 offset:704
	s_clause 0x7
	buffer_load_dword v186, off, s[0:3], 0 offset:348
	buffer_load_dword v175, off, s[0:3], 0 offset:356
	;; [unrolled: 1-line block ×8, first 2 shown]
	ds_read_b128 v[192:195], v142 offset:720
	buffer_load_dword v203, off, s[0:3], 0 offset:156
	s_mov_b32 s4, exec_lo
	s_waitcnt vmcnt(54) lgkmcnt(3)
	v_mul_f32_e32 v201, v9, v165
	s_waitcnt vmcnt(53)
	v_mul_f32_e32 v202, v11, v166
	v_mul_f32_e32 v165, v10, v165
	v_mul_f32_e32 v166, v12, v166
	s_waitcnt vmcnt(50)
	v_fmac_f32_e32 v201, v10, v149
	v_fmac_f32_e32 v202, v12, v148
	v_fma_f32 v149, v9, v149, -v165
	v_fma_f32 v148, v11, v148, -v166
	ds_read_b128 v[9:12], v142 offset:736
	s_waitcnt vmcnt(49) lgkmcnt(3)
	v_mul_f32_e32 v165, v5, v146
	v_mul_f32_e32 v146, v6, v146
	s_waitcnt vmcnt(48)
	v_mul_f32_e32 v166, v7, v145
	v_mul_f32_e32 v145, v8, v145
	s_waitcnt vmcnt(47) lgkmcnt(2)
	v_mul_f32_e32 v204, v1, v144
	v_fmac_f32_e32 v165, v6, v143
	v_fma_f32 v205, v5, v143, -v146
	s_waitcnt vmcnt(46)
	v_mul_f32_e32 v206, v3, v147
	v_mul_f32_e32 v143, v2, v144
	;; [unrolled: 1-line block ×3, first 2 shown]
	s_waitcnt vmcnt(42)
	v_fmac_f32_e32 v166, v8, v155
	v_fma_f32 v147, v7, v155, -v145
	ds_read_b128 v[5:8], v142 offset:752
	v_fmac_f32_e32 v204, v2, v154
	v_fmac_f32_e32 v206, v4, v152
	v_fma_f32 v154, v1, v154, -v143
	v_fma_f32 v152, v3, v152, -v144
	ds_read_b128 v[1:4], v142 offset:768
	s_waitcnt vmcnt(41) lgkmcnt(3)
	v_mul_f32_e32 v155, v192, v153
	v_mul_f32_e32 v143, v193, v153
	s_waitcnt vmcnt(40)
	v_mul_f32_e32 v153, v194, v151
	v_mul_f32_e32 v144, v195, v151
	s_waitcnt vmcnt(39) lgkmcnt(2)
	v_mul_f32_e32 v151, v9, v156
	v_fmac_f32_e32 v155, v193, v150
	v_fma_f32 v150, v192, v150, -v143
	s_waitcnt vmcnt(34)
	v_fmac_f32_e32 v153, v195, v163
	v_fma_f32 v163, v194, v163, -v144
	ds_read_b128 v[143:146], v142 offset:784
	v_mul_f32_e32 v192, v11, v157
	v_mul_f32_e32 v157, v12, v157
	;; [unrolled: 1-line block ×3, first 2 shown]
	v_fmac_f32_e32 v151, v10, v162
	s_waitcnt vmcnt(32) lgkmcnt(2)
	v_mul_f32_e32 v193, v7, v159
	v_fmac_f32_e32 v192, v12, v160
	v_fma_f32 v157, v11, v160, -v157
	v_mul_f32_e32 v160, v5, v161
	v_mul_f32_e32 v161, v6, v161
	v_mul_f32_e32 v159, v8, v159
	v_fma_f32 v156, v9, v162, -v156
	ds_read_b128 v[9:12], v142 offset:800
	v_fmac_f32_e32 v160, v6, v158
	v_fma_f32 v158, v5, v158, -v161
	s_waitcnt vmcnt(31) lgkmcnt(2)
	v_mul_f32_e32 v161, v1, v164
	v_mul_f32_e32 v5, v2, v164
	buffer_load_dword v162, off, s[0:3], 0 offset:380
	s_waitcnt vmcnt(28)
	v_fmac_f32_e32 v193, v8, v179
	v_fma_f32 v159, v7, v179, -v159
	s_clause 0x3
	buffer_load_dword v164, off, s[0:3], 0 offset:400
	buffer_load_dword v179, off, s[0:3], 0 offset:392
	buffer_load_dword v194, off, s[0:3], 0 offset:384
	buffer_load_dword v195, off, s[0:3], 0 offset:376
	s_waitcnt vmcnt(31)
	v_mul_f32_e32 v207, v3, v178
	v_mul_f32_e32 v6, v4, v178
	v_fmac_f32_e32 v161, v2, v173
	v_fma_f32 v173, v1, v173, -v5
	s_waitcnt vmcnt(30) lgkmcnt(1)
	v_mul_f32_e32 v178, v143, v170
	s_waitcnt vmcnt(29)
	v_mul_f32_e32 v208, v145, v171
	v_mul_f32_e32 v1, v144, v170
	;; [unrolled: 1-line block ×3, first 2 shown]
	s_clause 0x2
	buffer_load_dword v170, off, s[0:3], 0 offset:388
	buffer_load_dword v171, off, s[0:3], 0 offset:396
	;; [unrolled: 1-line block ×3, first 2 shown]
	v_fmac_f32_e32 v207, v4, v169
	v_fma_f32 v169, v3, v169, -v6
	v_fmac_f32_e32 v178, v144, v167
	v_fma_f32 v143, v143, v167, -v1
	s_waitcnt vmcnt(28)
	v_fma_f32 v144, v145, v190, -v2
	ds_read_b128 v[1:4], v142 offset:816
	s_waitcnt vmcnt(27) lgkmcnt(1)
	v_mul_f32_e32 v5, v10, v188
	v_add_f32_e32 v6, 0, v201
	v_fmac_f32_e32 v208, v146, v190
	v_add_f32_e32 v7, 0, v149
	v_mul_f32_e32 v145, v9, v188
	v_fma_f32 v146, v9, v184, -v5
	v_add_f32_e32 v5, v6, v202
	s_waitcnt vmcnt(26)
	v_mul_f32_e32 v167, v11, v187
	v_add_f32_e32 v6, v7, v148
	v_mul_f32_e32 v8, v12, v187
	v_fmac_f32_e32 v145, v10, v184
	v_add_f32_e32 v5, v5, v165
	s_clause 0x3
	buffer_load_dword v184, off, s[0:3], 0 offset:412
	buffer_load_dword v187, off, s[0:3], 0 offset:420
	buffer_load_dword v188, off, s[0:3], 0 offset:428
	buffer_load_dword v190, off, s[0:3], 0 offset:436
	v_add_f32_e32 v6, v6, v205
	v_fmac_f32_e32 v167, v12, v182
	v_fma_f32 v148, v11, v182, -v8
	v_add_f32_e32 v5, v5, v166
	s_clause 0x3
	buffer_load_dword v165, off, s[0:3], 0 offset:444
	buffer_load_dword v182, off, s[0:3], 0 offset:452
	;; [unrolled: 1-line block ×4, first 2 shown]
	v_add_f32_e32 v6, v6, v147
	s_waitcnt vmcnt(33) lgkmcnt(0)
	v_mul_f32_e32 v147, v1, v180
	v_mul_f32_e32 v7, v2, v180
	v_add_f32_e32 v5, v5, v204
	s_clause 0x3
	buffer_load_dword v166, off, s[0:3], 0 offset:476
	buffer_load_dword v205, off, s[0:3], 0 offset:484
	;; [unrolled: 1-line block ×4, first 2 shown]
	v_add_f32_e32 v6, v6, v154
	buffer_load_dword v180, off, s[0:3], 0 offset:508
	v_fmac_f32_e32 v147, v2, v176
	v_fma_f32 v149, v1, v176, -v7
	v_add_f32_e32 v5, v5, v206
	s_clause 0x3
	buffer_load_dword v176, off, s[0:3], 0 offset:432
	buffer_load_dword v204, off, s[0:3], 0 offset:424
	;; [unrolled: 1-line block ×4, first 2 shown]
	v_add_f32_e32 v1, v6, v152
	v_add_f32_e32 v5, v5, v155
	;; [unrolled: 1-line block ×3, first 2 shown]
	s_waitcnt vmcnt(41)
	v_mul_f32_e32 v150, v3, v174
	v_mul_f32_e32 v1, v4, v174
	v_add_f32_e32 v5, v5, v153
	v_add_f32_e32 v6, v6, v163
	s_waitcnt vmcnt(37)
	v_fmac_f32_e32 v150, v4, v189
	v_fma_f32 v152, v3, v189, -v1
	ds_read_b128 v[1:4], v142 offset:832
	s_clause 0x3
	buffer_load_dword v163, off, s[0:3], 0 offset:464
	buffer_load_dword v174, off, s[0:3], 0 offset:456
	;; [unrolled: 1-line block ×4, first 2 shown]
	v_add_f32_e32 v6, v6, v156
	v_add_f32_e32 v5, v5, v151
	;; [unrolled: 1-line block ×4, first 2 shown]
	ds_read_b128 v[5:8], v142 offset:848
	v_add_f32_e32 v9, v9, v158
	v_add_f32_e32 v10, v10, v160
	s_waitcnt vmcnt(40) lgkmcnt(1)
	v_mul_f32_e32 v151, v1, v183
	v_mul_f32_e32 v11, v2, v183
	s_waitcnt vmcnt(39)
	v_mul_f32_e32 v155, v3, v191
	v_fmac_f32_e32 v151, v2, v181
	v_fma_f32 v153, v1, v181, -v11
	v_add_f32_e32 v1, v9, v159
	s_clause 0x3
	buffer_load_dword v159, off, s[0:3], 0 offset:496
	buffer_load_dword v160, off, s[0:3], 0 offset:488
	;; [unrolled: 1-line block ×4, first 2 shown]
	v_add_f32_e32 v2, v10, v193
	v_mul_f32_e32 v9, v4, v191
	v_fmac_f32_e32 v155, v4, v177
	v_add_f32_e32 v1, v1, v173
	buffer_load_dword v173, off, s[0:3], 0 offset:504
	v_add_f32_e32 v2, v2, v161
	buffer_load_dword v161, off, s[0:3], 0 offset:152
	v_fma_f32 v156, v3, v177, -v9
	v_add_f32_e32 v1, v1, v169
	s_waitcnt vmcnt(44) lgkmcnt(0)
	v_mul_f32_e32 v157, v5, v185
	v_add_f32_e32 v10, v2, v207
	s_waitcnt vmcnt(43)
	v_mul_f32_e32 v158, v7, v186
	v_mul_f32_e32 v169, v8, v186
	v_add_f32_e32 v143, v1, v143
	ds_read_b128 v[1:4], v142 offset:864
	v_add_f32_e32 v154, v10, v178
	ds_read_b128 v[9:12], v142 offset:880
	v_fmac_f32_e32 v157, v6, v168
	v_add_f32_e32 v143, v143, v144
	v_mul_f32_e32 v144, v6, v185
	v_add_f32_e32 v154, v154, v208
	s_waitcnt vmcnt(36)
	v_fmac_f32_e32 v158, v8, v200
	v_fma_f32 v169, v7, v200, -v169
	v_add_f32_e32 v177, v143, v146
	v_fma_f32 v168, v5, v168, -v144
	v_add_f32_e32 v154, v154, v145
	ds_read_b128 v[5:8], v142 offset:896
	ds_read_b128 v[143:146], v142 offset:912
	v_add_f32_e32 v148, v177, v148
	v_add_f32_e32 v154, v154, v167
	;; [unrolled: 1-line block ×3, first 2 shown]
	s_waitcnt lgkmcnt(3)
	v_mul_f32_e32 v177, v1, v175
	v_add_f32_e32 v147, v154, v147
	v_mul_f32_e32 v175, v2, v175
	v_mul_f32_e32 v167, v3, v172
	v_add_f32_e32 v152, v148, v152
	v_mul_f32_e32 v172, v4, v172
	v_add_f32_e32 v186, v147, v150
	v_fma_f32 v175, v1, v199, -v175
	v_fmac_f32_e32 v177, v2, v199
	v_add_f32_e32 v192, v152, v153
	s_waitcnt lgkmcnt(2)
	v_mul_f32_e32 v154, v10, v196
	v_add_f32_e32 v186, v186, v151
	v_fma_f32 v172, v3, v198, -v172
	v_mul_f32_e32 v178, v9, v196
	v_add_f32_e32 v156, v192, v156
	v_fmac_f32_e32 v167, v4, v198
	v_add_f32_e32 v155, v186, v155
	v_fma_f32 v191, v9, v197, -v154
	v_fmac_f32_e32 v178, v10, v197
	ds_read_b128 v[1:4], v142 offset:928
	ds_read_b128 v[147:150], v142 offset:944
	v_add_f32_e32 v155, v155, v157
	s_waitcnt vmcnt(34)
	v_mul_f32_e32 v185, v11, v162
	v_mul_f32_e32 v162, v12, v162
	s_waitcnt vmcnt(30)
	v_fmac_f32_e32 v185, v12, v195
	v_fma_f32 v162, v11, v195, -v162
	ds_read_b128 v[9:12], v142 offset:960
	ds_read_b128 v[151:154], v142 offset:976
	s_waitcnt vmcnt(29) lgkmcnt(5)
	v_mul_f32_e32 v192, v5, v170
	v_mul_f32_e32 v170, v6, v170
	s_waitcnt vmcnt(28)
	v_mul_f32_e32 v186, v7, v171
	v_mul_f32_e32 v171, v8, v171
	v_fmac_f32_e32 v192, v6, v194
	v_add_f32_e32 v6, v156, v168
	v_fma_f32 v168, v5, v194, -v170
	v_fma_f32 v170, v7, v179, -v171
	v_add_f32_e32 v171, v155, v158
	v_fmac_f32_e32 v186, v8, v179
	v_add_f32_e32 v169, v6, v169
	ds_read_b128 v[5:8], v142 offset:992
	ds_read_b128 v[155:158], v142 offset:1008
	s_waitcnt vmcnt(27) lgkmcnt(6)
	v_mul_f32_e32 v142, v143, v209
	v_add_f32_e32 v171, v171, v177
	v_add_f32_e32 v169, v169, v175
	v_mul_f32_e32 v175, v144, v209
	s_waitcnt vmcnt(26)
	v_mul_f32_e32 v179, v146, v184
	v_add_f32_e32 v167, v171, v167
	v_mul_f32_e32 v177, v145, v184
	v_add_f32_e32 v169, v169, v172
	v_fma_f32 v143, v143, v164, -v175
	v_fmac_f32_e32 v142, v144, v164
	v_add_f32_e32 v167, v167, v178
	s_waitcnt vmcnt(25) lgkmcnt(5)
	v_mul_f32_e32 v172, v1, v187
	v_add_f32_e32 v169, v169, v191
	s_waitcnt vmcnt(24)
	v_mul_f32_e32 v171, v3, v188
	s_waitcnt vmcnt(23) lgkmcnt(4)
	v_mul_f32_e32 v184, v147, v190
	v_add_f32_e32 v167, v167, v185
	s_waitcnt vmcnt(22)
	v_mul_f32_e32 v191, v149, v165
	v_add_f32_e32 v162, v169, v162
	s_waitcnt vmcnt(21) lgkmcnt(3)
	v_mul_f32_e32 v178, v9, v182
	s_waitcnt vmcnt(20)
	v_mul_f32_e32 v193, v11, v201
	v_add_f32_e32 v167, v167, v192
	s_waitcnt vmcnt(12)
	v_fmac_f32_e32 v171, v4, v204
	v_add_f32_e32 v162, v162, v168
	s_waitcnt vmcnt(10)
	v_fma_f32 v145, v145, v212, -v179
	v_fmac_f32_e32 v177, v146, v212
	v_add_f32_e32 v164, v167, v186
	v_mul_f32_e32 v167, v2, v187
	v_add_f32_e32 v162, v162, v170
	v_mul_f32_e32 v146, v4, v188
	v_fmac_f32_e32 v172, v2, v206
	v_add_f32_e32 v142, v164, v142
	v_fma_f32 v1, v1, v206, -v167
	v_add_f32_e32 v143, v162, v143
	v_fma_f32 v3, v3, v204, -v146
	v_mul_f32_e32 v4, v150, v165
	v_add_f32_e32 v142, v142, v177
	v_fmac_f32_e32 v184, v148, v176
	v_add_f32_e32 v2, v143, v145
	v_mul_f32_e32 v143, v148, v190
	s_waitcnt vmcnt(6)
	v_fma_f32 v4, v149, v213, -v4
	v_fmac_f32_e32 v191, v150, v213
	v_fmac_f32_e32 v178, v10, v189
	v_add_f32_e32 v1, v2, v1
	v_add_f32_e32 v2, v142, v172
	v_fma_f32 v142, v147, v176, -v143
	s_waitcnt lgkmcnt(2)
	v_mul_f32_e32 v169, v151, v202
	v_fmac_f32_e32 v193, v12, v174
	v_add_f32_e32 v1, v1, v3
	v_add_f32_e32 v2, v2, v171
	v_mul_f32_e32 v3, v10, v182
	v_mul_f32_e32 v185, v153, v166
	v_fmac_f32_e32 v169, v152, v163
	v_add_f32_e32 v1, v1, v142
	v_add_f32_e32 v2, v2, v184
	v_mul_f32_e32 v142, v12, v201
	v_fma_f32 v3, v9, v189, -v3
	s_waitcnt lgkmcnt(1)
	v_mul_f32_e32 v194, v5, v205
	v_add_f32_e32 v1, v1, v4
	v_add_f32_e32 v2, v2, v191
	v_mul_f32_e32 v4, v152, v202
	v_fma_f32 v9, v11, v174, -v142
	v_mul_f32_e32 v168, v7, v210
	v_add_f32_e32 v1, v1, v3
	v_add_f32_e32 v2, v2, v178
	v_mul_f32_e32 v3, v154, v166
	v_fma_f32 v4, v151, v163, -v4
	s_waitcnt vmcnt(2)
	v_fmac_f32_e32 v185, v154, v183
	v_add_f32_e32 v1, v1, v9
	v_add_f32_e32 v2, v2, v193
	v_mul_f32_e32 v9, v6, v205
	v_fma_f32 v3, v153, v183, -v3
	v_fmac_f32_e32 v194, v6, v181
	v_add_f32_e32 v1, v1, v4
	v_add_f32_e32 v2, v2, v169
	v_mul_f32_e32 v4, v8, v210
	v_fma_f32 v5, v5, v181, -v9
	s_waitcnt lgkmcnt(0)
	v_mul_f32_e32 v192, v155, v211
	v_add_f32_e32 v1, v1, v3
	v_add_f32_e32 v2, v2, v185
	v_mul_f32_e32 v3, v156, v211
	v_fma_f32 v4, v7, v160, -v4
	v_fmac_f32_e32 v168, v8, v160
	v_add_f32_e32 v1, v1, v5
	v_add_f32_e32 v2, v2, v194
	v_mul_f32_e32 v5, v158, v180
	v_fma_f32 v3, v155, v159, -v3
	v_mul_f32_e32 v144, v157, v180
	v_add_f32_e32 v1, v1, v4
	v_fmac_f32_e32 v192, v156, v159
	v_add_f32_e32 v2, v2, v168
	s_waitcnt vmcnt(1)
	v_fma_f32 v4, v157, v173, -v5
	v_fmac_f32_e32 v144, v158, v173
	v_add_f32_e32 v1, v1, v3
	v_add_f32_e32 v2, v2, v192
	;; [unrolled: 1-line block ×4, first 2 shown]
	s_waitcnt vmcnt(0)
	v_sub_f32_e32 v1, v161, v1
	v_sub_f32_e32 v2, v203, v2
	buffer_store_dword v1, off, s[0:3], 0 offset:152
	buffer_store_dword v2, off, s[0:3], 0 offset:156
	v_cmpx_lt_u32_e32 18, v0
	s_cbranch_execz .LBB127_361
; %bb.360:
	s_clause 0x1
	buffer_load_dword v1, off, s[0:3], 0 offset:144
	buffer_load_dword v2, off, s[0:3], 0 offset:148
	v_mov_b32_e32 v3, 0
	buffer_store_dword v3, off, s[0:3], 0 offset:144
	buffer_store_dword v3, off, s[0:3], 0 offset:148
	s_waitcnt vmcnt(0)
	ds_write_b64 v141, v[1:2]
.LBB127_361:
	s_or_b32 exec_lo, exec_lo, s4
	s_waitcnt lgkmcnt(0)
	s_waitcnt_vscnt null, 0x0
	s_barrier
	buffer_gl0_inv
	s_clause 0x2b
	buffer_load_dword v144, off, s[0:3], 0 offset:156
	buffer_load_dword v145, off, s[0:3], 0 offset:164
	;; [unrolled: 1-line block ×44, first 2 shown]
	v_mov_b32_e32 v142, 0
	ds_read2_b64 v[9:12], v142 offset0:83 offset1:84
	ds_read2_b64 v[5:8], v142 offset0:85 offset1:86
	s_clause 0x1
	buffer_load_dword v191, off, s[0:3], 0 offset:324
	buffer_load_dword v186, off, s[0:3], 0 offset:332
	ds_read2_b64 v[1:4], v142 offset0:87 offset1:88
	s_clause 0x9
	buffer_load_dword v185, off, s[0:3], 0 offset:340
	buffer_load_dword v173, off, s[0:3], 0 offset:348
	;; [unrolled: 1-line block ×10, first 2 shown]
	ds_read2_b64 v[193:196], v142 offset0:89 offset1:90
	s_mov_b32 s4, exec_lo
	s_waitcnt vmcnt(55) lgkmcnt(3)
	v_mul_f32_e32 v203, v9, v144
	v_mul_f32_e32 v144, v10, v144
	s_waitcnt vmcnt(54)
	v_mul_f32_e32 v204, v11, v145
	v_mul_f32_e32 v145, v12, v145
	s_waitcnt vmcnt(51)
	v_fmac_f32_e32 v203, v10, v150
	v_fma_f32 v150, v9, v150, -v144
	s_waitcnt vmcnt(50) lgkmcnt(2)
	v_mul_f32_e32 v205, v5, v149
	v_mul_f32_e32 v144, v6, v149
	v_fmac_f32_e32 v204, v12, v146
	v_fma_f32 v149, v11, v146, -v145
	ds_read2_b64 v[9:12], v142 offset0:91 offset1:92
	s_waitcnt vmcnt(49)
	v_mul_f32_e32 v206, v7, v147
	v_mul_f32_e32 v145, v8, v147
	v_fmac_f32_e32 v205, v6, v143
	v_fma_f32 v147, v5, v143, -v144
	s_waitcnt vmcnt(48) lgkmcnt(2)
	v_mul_f32_e32 v207, v1, v148
	v_mul_f32_e32 v143, v2, v148
	s_waitcnt vmcnt(44)
	v_fmac_f32_e32 v206, v8, v157
	v_fma_f32 v148, v7, v157, -v145
	ds_read2_b64 v[5:8], v142 offset0:93 offset1:94
	s_waitcnt vmcnt(43)
	v_mul_f32_e32 v157, v3, v156
	v_mul_f32_e32 v144, v4, v156
	v_fmac_f32_e32 v207, v2, v154
	v_fma_f32 v154, v1, v154, -v143
	s_waitcnt vmcnt(42) lgkmcnt(2)
	v_mul_f32_e32 v156, v193, v155
	v_mul_f32_e32 v143, v194, v155
	v_fmac_f32_e32 v157, v4, v152
	v_fma_f32 v152, v3, v152, -v144
	ds_read2_b64 v[1:4], v142 offset0:95 offset1:96
	s_waitcnt vmcnt(41)
	v_mul_f32_e32 v155, v195, v153
	v_mul_f32_e32 v144, v196, v153
	v_fmac_f32_e32 v156, v194, v151
	v_fma_f32 v151, v193, v151, -v143
	s_waitcnt vmcnt(40) lgkmcnt(2)
	v_mul_f32_e32 v153, v9, v158
	s_waitcnt vmcnt(36)
	v_fmac_f32_e32 v155, v196, v165
	v_fma_f32 v165, v195, v165, -v144
	ds_read2_b64 v[143:146], v142 offset0:97 offset1:98
	v_mul_f32_e32 v158, v10, v158
	s_waitcnt vmcnt(35)
	v_mul_f32_e32 v193, v11, v164
	v_mul_f32_e32 v164, v12, v164
	v_fmac_f32_e32 v153, v10, v162
	v_fma_f32 v158, v9, v162, -v158
	s_waitcnt vmcnt(34) lgkmcnt(2)
	v_mul_f32_e32 v162, v5, v163
	v_mul_f32_e32 v163, v6, v163
	v_fmac_f32_e32 v193, v12, v160
	v_fma_f32 v160, v11, v160, -v164
	s_waitcnt vmcnt(33)
	v_mul_f32_e32 v164, v7, v161
	v_mul_f32_e32 v161, v8, v161
	v_fmac_f32_e32 v162, v6, v159
	v_fma_f32 v159, v5, v159, -v163
	s_waitcnt vmcnt(32) lgkmcnt(1)
	v_mul_f32_e32 v163, v1, v166
	v_mul_f32_e32 v5, v2, v166
	ds_read2_b64 v[9:12], v142 offset0:99 offset1:100
	s_waitcnt vmcnt(28)
	v_fmac_f32_e32 v164, v8, v179
	v_fma_f32 v161, v7, v179, -v161
	s_clause 0x3
	buffer_load_dword v166, off, s[0:3], 0 offset:392
	buffer_load_dword v179, off, s[0:3], 0 offset:384
	;; [unrolled: 1-line block ×4, first 2 shown]
	s_waitcnt vmcnt(31)
	v_mul_f32_e32 v196, v3, v177
	v_mul_f32_e32 v6, v4, v177
	v_fmac_f32_e32 v163, v2, v175
	v_fma_f32 v175, v1, v175, -v5
	s_waitcnt vmcnt(30) lgkmcnt(1)
	v_mul_f32_e32 v177, v143, v171
	s_waitcnt vmcnt(29)
	v_mul_f32_e32 v208, v145, v172
	v_mul_f32_e32 v1, v144, v171
	;; [unrolled: 1-line block ×3, first 2 shown]
	s_clause 0x2
	buffer_load_dword v171, off, s[0:3], 0 offset:380
	buffer_load_dword v172, off, s[0:3], 0 offset:388
	;; [unrolled: 1-line block ×3, first 2 shown]
	v_fmac_f32_e32 v196, v4, v169
	v_fma_f32 v169, v3, v169, -v6
	v_fmac_f32_e32 v177, v144, v168
	v_fma_f32 v143, v143, v168, -v1
	s_waitcnt vmcnt(28)
	v_fma_f32 v144, v145, v190, -v2
	ds_read2_b64 v[1:4], v142 offset0:101 offset1:102
	v_add_f32_e32 v5, 0, v203
	s_waitcnt vmcnt(27) lgkmcnt(1)
	v_mul_f32_e32 v6, v10, v187
	v_add_f32_e32 v8, 0, v150
	v_fmac_f32_e32 v208, v146, v190
	v_mul_f32_e32 v145, v9, v187
	v_add_f32_e32 v5, v5, v204
	v_fma_f32 v150, v9, v184, -v6
	v_add_f32_e32 v6, v8, v149
	s_waitcnt vmcnt(26)
	v_mul_f32_e32 v146, v11, v188
	v_mul_f32_e32 v7, v12, v188
	v_add_f32_e32 v5, v5, v205
	v_fmac_f32_e32 v145, v10, v184
	v_add_f32_e32 v6, v6, v147
	v_fmac_f32_e32 v146, v12, v183
	v_fma_f32 v168, v11, v183, -v7
	v_add_f32_e32 v5, v5, v206
	s_clause 0x7
	buffer_load_dword v183, off, s[0:3], 0 offset:404
	buffer_load_dword v184, off, s[0:3], 0 offset:412
	;; [unrolled: 1-line block ×8, first 2 shown]
	v_add_f32_e32 v6, v6, v148
	s_clause 0x1
	buffer_load_dword v206, off, s[0:3], 0 offset:436
	buffer_load_dword v210, off, s[0:3], 0 offset:444
	s_waitcnt vmcnt(35) lgkmcnt(0)
	v_mul_f32_e32 v147, v1, v180
	v_mul_f32_e32 v7, v2, v180
	v_add_f32_e32 v5, v5, v207
	s_waitcnt vmcnt(34)
	v_mul_f32_e32 v149, v3, v176
	s_clause 0x1
	buffer_load_dword v180, off, s[0:3], 0 offset:452
	buffer_load_dword v207, off, s[0:3], 0 offset:460
	v_fmac_f32_e32 v147, v2, v178
	v_fma_f32 v148, v1, v178, -v7
	v_add_f32_e32 v1, v6, v154
	v_add_f32_e32 v2, v5, v157
	s_clause 0x3
	buffer_load_dword v178, off, s[0:3], 0 offset:468
	buffer_load_dword v211, off, s[0:3], 0 offset:476
	;; [unrolled: 1-line block ×4, first 2 shown]
	s_waitcnt vmcnt(36)
	v_fmac_f32_e32 v149, v4, v189
	buffer_load_dword v214, off, s[0:3], 0 offset:500
	v_add_f32_e32 v1, v1, v152
	v_add_f32_e32 v5, v2, v156
	v_mul_f32_e32 v2, v4, v176
	buffer_load_dword v176, off, s[0:3], 0 offset:508
	v_add_f32_e32 v6, v1, v151
	v_add_f32_e32 v5, v5, v155
	v_fma_f32 v151, v3, v189, -v2
	ds_read2_b64 v[1:4], v142 offset0:103 offset1:104
	v_add_f32_e32 v6, v6, v165
	v_add_f32_e32 v5, v5, v153
	s_clause 0x3
	buffer_load_dword v165, off, s[0:3], 0 offset:456
	buffer_load_dword v189, off, s[0:3], 0 offset:448
	buffer_load_dword v215, off, s[0:3], 0 offset:440
	buffer_load_dword v216, off, s[0:3], 0 offset:432
	v_add_f32_e32 v6, v6, v158
	v_add_f32_e32 v5, v5, v193
	v_add_f32_e32 v9, v6, v160
	v_add_f32_e32 v10, v5, v162
	ds_read2_b64 v[5:8], v142 offset0:105 offset1:106
	v_add_f32_e32 v9, v9, v159
	v_add_f32_e32 v10, v10, v164
	s_waitcnt vmcnt(41) lgkmcnt(1)
	v_mul_f32_e32 v152, v1, v182
	v_mul_f32_e32 v11, v2, v182
	s_waitcnt vmcnt(40)
	v_mul_f32_e32 v154, v3, v191
	v_fmac_f32_e32 v152, v2, v181
	v_fma_f32 v153, v1, v181, -v11
	v_add_f32_e32 v1, v9, v161
	v_add_f32_e32 v2, v10, v163
	s_clause 0x3
	buffer_load_dword v161, off, s[0:3], 0 offset:488
	buffer_load_dword v162, off, s[0:3], 0 offset:480
	;; [unrolled: 1-line block ×4, first 2 shown]
	v_mul_f32_e32 v9, v4, v191
	v_fmac_f32_e32 v154, v4, v174
	v_add_f32_e32 v1, v1, v175
	s_clause 0x1
	buffer_load_dword v175, off, s[0:3], 0 offset:504
	buffer_load_dword v181, off, s[0:3], 0 offset:496
	v_add_f32_e32 v2, v2, v196
	s_waitcnt vmcnt(45) lgkmcnt(0)
	v_mul_f32_e32 v156, v5, v186
	s_waitcnt vmcnt(44)
	v_mul_f32_e32 v157, v7, v185
	v_add_f32_e32 v1, v1, v169
	buffer_load_dword v169, off, s[0:3], 0 offset:144
	v_add_f32_e32 v2, v2, v177
	v_fma_f32 v155, v3, v174, -v9
	v_fmac_f32_e32 v156, v6, v167
	v_add_f32_e32 v10, v1, v143
	s_waitcnt vmcnt(38)
	v_fmac_f32_e32 v157, v8, v201
	v_add_f32_e32 v143, v2, v208
	ds_read2_b64 v[1:4], v142 offset0:107 offset1:108
	v_add_f32_e32 v144, v10, v144
	ds_read2_b64 v[9:12], v142 offset0:109 offset1:110
	v_add_f32_e32 v143, v143, v145
	v_mul_f32_e32 v145, v6, v186
	v_add_f32_e32 v144, v144, v150
	v_mul_f32_e32 v150, v8, v185
	v_add_f32_e32 v159, v143, v146
	v_fma_f32 v158, v5, v167, -v145
	v_fma_f32 v160, v7, v201, -v150
	v_add_f32_e32 v150, v144, v168
	v_add_f32_e32 v147, v159, v147
	ds_read2_b64 v[5:8], v142 offset0:111 offset1:112
	ds_read2_b64 v[143:146], v142 offset0:113 offset1:114
	v_add_f32_e32 v148, v150, v148
	v_add_f32_e32 v147, v147, v149
	s_waitcnt lgkmcnt(3)
	v_mul_f32_e32 v167, v2, v173
	v_mul_f32_e32 v159, v1, v173
	;; [unrolled: 1-line block ×3, first 2 shown]
	v_add_f32_e32 v148, v148, v151
	v_add_f32_e32 v152, v147, v152
	v_fma_f32 v167, v1, v200, -v167
	v_mul_f32_e32 v168, v3, v170
	v_fmac_f32_e32 v159, v2, v200
	v_add_f32_e32 v153, v148, v153
	v_add_f32_e32 v185, v152, v154
	s_waitcnt lgkmcnt(2)
	v_mul_f32_e32 v151, v10, v198
	v_fma_f32 v174, v3, v199, -v150
	v_mul_f32_e32 v170, v9, v198
	v_add_f32_e32 v155, v153, v155
	v_add_f32_e32 v156, v185, v156
	v_fmac_f32_e32 v168, v4, v199
	s_waitcnt vmcnt(37)
	v_mul_f32_e32 v177, v12, v202
	v_fma_f32 v182, v9, v197, -v151
	v_add_f32_e32 v155, v155, v158
	v_mul_f32_e32 v173, v11, v202
	v_fmac_f32_e32 v170, v10, v197
	ds_read2_b64 v[1:4], v142 offset0:115 offset1:116
	ds_read2_b64 v[147:150], v142 offset0:117 offset1:118
	v_add_f32_e32 v155, v155, v160
	v_add_f32_e32 v167, v155, v167
	;; [unrolled: 1-line block ×4, first 2 shown]
	s_waitcnt vmcnt(32)
	v_fma_f32 v177, v11, v195, -v177
	v_fmac_f32_e32 v173, v12, v195
	ds_read2_b64 v[9:12], v142 offset0:119 offset1:120
	ds_read2_b64 v[151:154], v142 offset0:121 offset1:122
	v_add_f32_e32 v167, v167, v177
	s_waitcnt vmcnt(31) lgkmcnt(5)
	v_mul_f32_e32 v185, v5, v171
	s_waitcnt vmcnt(30)
	v_mul_f32_e32 v186, v7, v172
	v_mul_f32_e32 v158, v6, v171
	;; [unrolled: 1-line block ×3, first 2 shown]
	s_waitcnt vmcnt(29) lgkmcnt(4)
	v_mul_f32_e32 v191, v144, v209
	v_fmac_f32_e32 v185, v6, v194
	v_add_f32_e32 v6, v156, v157
	v_fmac_f32_e32 v186, v8, v179
	v_fma_f32 v171, v7, v179, -v171
	v_fma_f32 v172, v5, v194, -v158
	v_add_f32_e32 v179, v6, v159
	ds_read2_b64 v[5:8], v142 offset0:123 offset1:124
	ds_read2_b64 v[155:158], v142 offset0:125 offset1:126
	ds_read_b64 v[159:160], v142 offset:1016
	v_add_f32_e32 v167, v167, v172
	v_add_f32_e32 v168, v179, v168
	v_mul_f32_e32 v179, v143, v209
	v_fma_f32 v143, v143, v166, -v191
	s_waitcnt vmcnt(28)
	v_mul_f32_e32 v174, v145, v183
	v_mul_f32_e32 v183, v146, v183
	v_add_f32_e32 v168, v168, v170
	v_fmac_f32_e32 v179, v144, v166
	v_add_f32_e32 v167, v167, v171
	s_waitcnt vmcnt(27) lgkmcnt(6)
	v_mul_f32_e32 v170, v1, v184
	v_mul_f32_e32 v177, v2, v184
	v_add_f32_e32 v166, v168, v173
	s_waitcnt vmcnt(21)
	v_fma_f32 v145, v145, v205, -v183
	v_add_f32_e32 v143, v167, v143
	v_fmac_f32_e32 v174, v146, v205
	v_mul_f32_e32 v171, v4, v187
	v_add_f32_e32 v166, v166, v185
	v_fmac_f32_e32 v170, v2, v204
	v_fma_f32 v1, v1, v204, -v177
	v_add_f32_e32 v2, v143, v145
	v_mul_f32_e32 v182, v3, v187
	v_add_f32_e32 v166, v166, v186
	s_waitcnt lgkmcnt(5)
	v_mul_f32_e32 v145, v148, v188
	v_fma_f32 v3, v3, v203, -v171
	v_add_f32_e32 v1, v2, v1
	v_mul_f32_e32 v144, v147, v188
	v_add_f32_e32 v166, v166, v179
	v_fmac_f32_e32 v182, v4, v203
	s_waitcnt vmcnt(20)
	v_mul_f32_e32 v4, v150, v206
	v_add_f32_e32 v1, v1, v3
	v_mul_f32_e32 v168, v149, v206
	v_add_f32_e32 v143, v166, v174
	v_fmac_f32_e32 v144, v148, v190
	s_waitcnt vmcnt(19) lgkmcnt(4)
	v_mul_f32_e32 v3, v10, v210
	v_mul_f32_e32 v173, v9, v210
	s_waitcnt vmcnt(18)
	v_mul_f32_e32 v146, v11, v180
	v_add_f32_e32 v2, v143, v170
	v_fma_f32 v143, v147, v190, -v145
	s_waitcnt vmcnt(7)
	v_fma_f32 v4, v149, v216, -v4
	v_fmac_f32_e32 v168, v150, v216
	v_fma_f32 v3, v9, v215, -v3
	v_add_f32_e32 v2, v2, v182
	v_add_f32_e32 v1, v1, v143
	v_mul_f32_e32 v143, v12, v180
	v_fmac_f32_e32 v173, v10, v215
	s_waitcnt lgkmcnt(3)
	v_mul_f32_e32 v183, v151, v207
	v_add_f32_e32 v2, v2, v144
	v_add_f32_e32 v1, v1, v4
	v_mul_f32_e32 v4, v152, v207
	v_fma_f32 v9, v11, v189, -v143
	v_fmac_f32_e32 v146, v12, v189
	v_add_f32_e32 v2, v2, v168
	v_add_f32_e32 v1, v1, v3
	v_mul_f32_e32 v3, v154, v178
	v_fma_f32 v4, v151, v165, -v4
	v_mul_f32_e32 v172, v153, v178
	v_add_f32_e32 v2, v2, v173
	v_add_f32_e32 v1, v1, v9
	v_fmac_f32_e32 v183, v152, v165
	s_waitcnt lgkmcnt(2)
	v_mul_f32_e32 v9, v6, v211
	v_mul_f32_e32 v184, v5, v211
	v_add_f32_e32 v2, v2, v146
	s_waitcnt vmcnt(3)
	v_fma_f32 v3, v153, v164, -v3
	v_add_f32_e32 v1, v1, v4
	v_fmac_f32_e32 v172, v154, v164
	v_mul_f32_e32 v4, v8, v212
	v_add_f32_e32 v2, v2, v183
	v_fma_f32 v5, v5, v163, -v9
	v_add_f32_e32 v1, v1, v3
	v_mul_f32_e32 v185, v7, v212
	v_fmac_f32_e32 v184, v6, v163
	v_add_f32_e32 v2, v2, v172
	s_waitcnt lgkmcnt(1)
	v_mul_f32_e32 v3, v156, v213
	v_fma_f32 v4, v7, v162, -v4
	v_add_f32_e32 v1, v1, v5
	v_mul_f32_e32 v186, v155, v213
	v_fmac_f32_e32 v185, v8, v162
	v_add_f32_e32 v2, v2, v184
	v_mul_f32_e32 v5, v158, v214
	v_fma_f32 v3, v155, v161, -v3
	v_add_f32_e32 v1, v1, v4
	v_mul_f32_e32 v187, v157, v214
	v_fmac_f32_e32 v186, v156, v161
	v_add_f32_e32 v2, v2, v185
	s_waitcnt lgkmcnt(0)
	v_mul_f32_e32 v4, v160, v176
	s_waitcnt vmcnt(1)
	v_fma_f32 v5, v157, v181, -v5
	v_add_f32_e32 v1, v1, v3
	v_mul_f32_e32 v167, v159, v176
	v_fmac_f32_e32 v187, v158, v181
	v_add_f32_e32 v2, v2, v186
	v_fma_f32 v3, v159, v175, -v4
	v_add_f32_e32 v1, v1, v5
	v_fmac_f32_e32 v167, v160, v175
	v_add_f32_e32 v2, v2, v187
	v_add_f32_e32 v1, v1, v3
	;; [unrolled: 1-line block ×3, first 2 shown]
	s_waitcnt vmcnt(0)
	v_sub_f32_e32 v1, v169, v1
	v_sub_f32_e32 v2, v192, v2
	buffer_store_dword v1, off, s[0:3], 0 offset:144
	buffer_store_dword v2, off, s[0:3], 0 offset:148
	v_cmpx_lt_u32_e32 17, v0
	s_cbranch_execz .LBB127_363
; %bb.362:
	s_clause 0x1
	buffer_load_dword v1, off, s[0:3], 0 offset:136
	buffer_load_dword v2, off, s[0:3], 0 offset:140
	buffer_store_dword v142, off, s[0:3], 0 offset:136
	buffer_store_dword v142, off, s[0:3], 0 offset:140
	s_waitcnt vmcnt(0)
	ds_write_b64 v141, v[1:2]
.LBB127_363:
	s_or_b32 exec_lo, exec_lo, s4
	s_waitcnt lgkmcnt(0)
	s_waitcnt_vscnt null, 0x0
	s_barrier
	buffer_gl0_inv
	s_clause 0x2c
	buffer_load_dword v183, off, s[0:3], 0 offset:148
	buffer_load_dword v184, off, s[0:3], 0 offset:156
	;; [unrolled: 1-line block ×45, first 2 shown]
	ds_read_b128 v[5:8], v142 offset:656
	buffer_load_dword v177, off, s[0:3], 0 offset:324
	ds_read_b128 v[1:4], v142 offset:672
	ds_read_b128 v[193:196], v142 offset:688
	s_clause 0x7
	buffer_load_dword v191, off, s[0:3], 0 offset:332
	buffer_load_dword v189, off, s[0:3], 0 offset:340
	;; [unrolled: 1-line block ×8, first 2 shown]
	ds_read_b128 v[197:200], v142 offset:704
	s_mov_b32 s4, exec_lo
	s_waitcnt vmcnt(53) lgkmcnt(3)
	v_mul_f32_e32 v201, v5, v183
	s_waitcnt vmcnt(52)
	v_mul_f32_e32 v202, v7, v184
	v_mul_f32_e32 v203, v6, v183
	;; [unrolled: 1-line block ×3, first 2 shown]
	buffer_load_dword v183, off, s[0:3], 0 offset:140
	s_waitcnt vmcnt(50)
	v_fmac_f32_e32 v201, v6, v145
	v_fmac_f32_e32 v202, v8, v144
	v_fma_f32 v203, v5, v145, -v203
	v_fma_f32 v184, v7, v144, -v184
	ds_read_b128 v[5:8], v142 offset:720
	s_waitcnt vmcnt(49) lgkmcnt(3)
	v_mul_f32_e32 v204, v1, v12
	v_mul_f32_e32 v12, v2, v12
	s_waitcnt vmcnt(48)
	v_mul_f32_e32 v205, v3, v11
	v_mul_f32_e32 v11, v4, v11
	s_waitcnt vmcnt(47) lgkmcnt(2)
	v_mul_f32_e32 v206, v193, v10
	v_fmac_f32_e32 v204, v2, v9
	v_fma_f32 v207, v1, v9, -v12
	s_waitcnt vmcnt(46)
	v_mul_f32_e32 v208, v195, v143
	v_mul_f32_e32 v9, v194, v10
	;; [unrolled: 1-line block ×3, first 2 shown]
	s_waitcnt vmcnt(42)
	v_fmac_f32_e32 v205, v4, v151
	v_fma_f32 v151, v3, v151, -v11
	ds_read_b128 v[1:4], v142 offset:736
	v_fmac_f32_e32 v206, v194, v150
	v_fmac_f32_e32 v208, v196, v148
	v_fma_f32 v150, v193, v150, -v9
	v_fma_f32 v148, v195, v148, -v10
	ds_read_b128 v[9:12], v142 offset:752
	s_waitcnt vmcnt(41) lgkmcnt(3)
	v_mul_f32_e32 v193, v197, v149
	v_mul_f32_e32 v143, v198, v149
	s_waitcnt vmcnt(40)
	v_mul_f32_e32 v149, v199, v147
	v_mul_f32_e32 v144, v200, v147
	s_waitcnt vmcnt(39) lgkmcnt(2)
	v_mul_f32_e32 v147, v5, v152
	v_fmac_f32_e32 v193, v198, v146
	v_fma_f32 v194, v197, v146, -v143
	s_waitcnt vmcnt(34)
	v_fmac_f32_e32 v149, v200, v159
	v_fma_f32 v159, v199, v159, -v144
	ds_read_b128 v[143:146], v142 offset:768
	v_mul_f32_e32 v195, v7, v153
	v_mul_f32_e32 v152, v6, v152
	;; [unrolled: 1-line block ×3, first 2 shown]
	v_fmac_f32_e32 v147, v6, v158
	v_fmac_f32_e32 v195, v8, v156
	v_fma_f32 v152, v5, v158, -v152
	v_fma_f32 v153, v7, v156, -v153
	ds_read_b128 v[5:8], v142 offset:784
	s_waitcnt vmcnt(33) lgkmcnt(3)
	v_mul_f32_e32 v156, v1, v157
	v_mul_f32_e32 v157, v2, v157
	s_waitcnt vmcnt(32)
	v_mul_f32_e32 v158, v3, v155
	v_mul_f32_e32 v155, v4, v155
	s_waitcnt vmcnt(31) lgkmcnt(2)
	v_mul_f32_e32 v196, v9, v160
	v_fmac_f32_e32 v156, v2, v154
	v_fma_f32 v154, v1, v154, -v157
	s_waitcnt vmcnt(30)
	v_mul_f32_e32 v157, v11, v161
	v_mul_f32_e32 v161, v12, v161
	s_waitcnt vmcnt(26)
	v_fmac_f32_e32 v158, v4, v168
	v_fma_f32 v155, v3, v168, -v155
	ds_read_b128 v[1:4], v142 offset:800
	v_mul_f32_e32 v160, v10, v160
	v_fmac_f32_e32 v157, v12, v165
	v_fma_f32 v161, v11, v165, -v161
	s_waitcnt vmcnt(25) lgkmcnt(2)
	v_mul_f32_e32 v165, v143, v163
	v_mul_f32_e32 v163, v144, v163
	v_fmac_f32_e32 v196, v10, v167
	v_fma_f32 v160, v9, v167, -v160
	ds_read_b128 v[9:12], v142 offset:816
	v_fmac_f32_e32 v165, v144, v162
	v_fma_f32 v143, v143, v162, -v163
	s_clause 0x1
	buffer_load_dword v162, off, s[0:3], 0 offset:364
	buffer_load_dword v163, off, s[0:3], 0 offset:372
	s_waitcnt vmcnt(26)
	v_mul_f32_e32 v167, v145, v164
	v_mul_f32_e32 v164, v146, v164
	s_waitcnt vmcnt(25) lgkmcnt(2)
	v_mul_f32_e32 v168, v5, v169
	v_mul_f32_e32 v169, v6, v169
	s_waitcnt vmcnt(21)
	v_fmac_f32_e32 v167, v146, v176
	v_fma_f32 v144, v145, v176, -v164
	s_waitcnt vmcnt(20)
	v_mul_f32_e32 v145, v7, v175
	v_mul_f32_e32 v146, v8, v175
	v_fmac_f32_e32 v168, v6, v174
	v_fma_f32 v164, v5, v174, -v169
	s_clause 0x3
	buffer_load_dword v169, off, s[0:3], 0 offset:384
	buffer_load_dword v174, off, s[0:3], 0 offset:376
	;; [unrolled: 1-line block ×4, first 2 shown]
	v_fmac_f32_e32 v145, v8, v171
	v_fma_f32 v146, v7, v171, -v146
	s_waitcnt vmcnt(23) lgkmcnt(1)
	v_mul_f32_e32 v171, v1, v172
	s_waitcnt vmcnt(22)
	v_mul_f32_e32 v197, v3, v173
	v_mul_f32_e32 v5, v2, v172
	;; [unrolled: 1-line block ×3, first 2 shown]
	s_clause 0x1
	buffer_load_dword v172, off, s[0:3], 0 offset:380
	buffer_load_dword v173, off, s[0:3], 0 offset:388
	s_waitcnt vmcnt(18) lgkmcnt(0)
	v_mul_f32_e32 v200, v11, v181
	v_fmac_f32_e32 v197, v4, v182
	v_fmac_f32_e32 v171, v2, v170
	v_fma_f32 v182, v3, v182, -v6
	v_mul_f32_e32 v6, v12, v181
	v_fma_f32 v170, v1, v170, -v5
	v_mul_f32_e32 v199, v9, v180
	v_mul_f32_e32 v5, v10, v180
	v_fmac_f32_e32 v200, v12, v178
	v_fma_f32 v178, v11, v178, -v6
	v_add_f32_e32 v6, 0, v203
	v_fmac_f32_e32 v199, v10, v179
	v_fma_f32 v179, v9, v179, -v5
	v_add_f32_e32 v5, 0, v201
	buffer_load_dword v198, off, s[0:3], 0 offset:396
	v_add_f32_e32 v6, v6, v184
	ds_read_b128 v[1:4], v142 offset:832
	s_clause 0x3
	buffer_load_dword v180, off, s[0:3], 0 offset:416
	buffer_load_dword v181, off, s[0:3], 0 offset:408
	;; [unrolled: 1-line block ×4, first 2 shown]
	v_add_f32_e32 v5, v5, v202
	s_clause 0x2
	buffer_load_dword v202, off, s[0:3], 0 offset:404
	buffer_load_dword v184, off, s[0:3], 0 offset:412
	;; [unrolled: 1-line block ×3, first 2 shown]
	v_add_f32_e32 v6, v6, v207
	v_add_f32_e32 v5, v5, v204
	;; [unrolled: 1-line block ×4, first 2 shown]
	s_clause 0x2
	buffer_load_dword v204, off, s[0:3], 0 offset:428
	buffer_load_dword v205, off, s[0:3], 0 offset:436
	;; [unrolled: 1-line block ×3, first 2 shown]
	v_add_f32_e32 v6, v6, v150
	v_add_f32_e32 v5, v5, v206
	s_clause 0x2
	buffer_load_dword v206, off, s[0:3], 0 offset:452
	buffer_load_dword v210, off, s[0:3], 0 offset:460
	;; [unrolled: 1-line block ×3, first 2 shown]
	s_waitcnt vmcnt(31) lgkmcnt(0)
	v_mul_f32_e32 v151, v1, v177
	v_add_f32_e32 v6, v6, v148
	v_add_f32_e32 v5, v5, v208
	s_clause 0x2
	buffer_load_dword v208, off, s[0:3], 0 offset:476
	buffer_load_dword v212, off, s[0:3], 0 offset:484
	;; [unrolled: 1-line block ×3, first 2 shown]
	v_mul_f32_e32 v7, v2, v177
	v_add_f32_e32 v6, v6, v194
	v_add_f32_e32 v5, v5, v193
	s_clause 0x1
	buffer_load_dword v193, off, s[0:3], 0 offset:500
	buffer_load_dword v194, off, s[0:3], 0 offset:508
	v_fmac_f32_e32 v151, v2, v166
	v_add_f32_e32 v6, v6, v159
	s_clause 0x3
	buffer_load_dword v159, off, s[0:3], 0 offset:448
	buffer_load_dword v214, off, s[0:3], 0 offset:440
	;; [unrolled: 1-line block ×4, first 2 shown]
	v_add_f32_e32 v5, v5, v149
	v_add_f32_e32 v6, v6, v152
	v_fma_f32 v152, v1, v166, -v7
	v_add_f32_e32 v5, v5, v147
	v_add_f32_e32 v6, v6, v153
	;; [unrolled: 1-line block ×3, first 2 shown]
	s_clause 0x3
	buffer_load_dword v195, off, s[0:3], 0 offset:480
	buffer_load_dword v217, off, s[0:3], 0 offset:472
	;; [unrolled: 1-line block ×4, first 2 shown]
	v_add_f32_e32 v6, v6, v154
	v_add_f32_e32 v5, v5, v156
	v_add_f32_e32 v6, v6, v155
	s_waitcnt vmcnt(43)
	v_mul_f32_e32 v155, v3, v191
	v_add_f32_e32 v5, v5, v158
	v_add_f32_e32 v6, v6, v160
	s_waitcnt vmcnt(36)
	v_fmac_f32_e32 v155, v4, v192
	v_add_f32_e32 v5, v5, v196
	s_clause 0x3
	buffer_load_dword v196, off, s[0:3], 0 offset:504
	buffer_load_dword v220, off, s[0:3], 0 offset:496
	;; [unrolled: 1-line block ×4, first 2 shown]
	v_add_f32_e32 v6, v6, v161
	v_add_f32_e32 v5, v5, v157
	;; [unrolled: 1-line block ×4, first 2 shown]
	ds_read_b128 v[5:8], v142 offset:848
	v_add_f32_e32 v9, v1, v144
	v_mul_f32_e32 v1, v4, v191
	v_add_f32_e32 v10, v2, v167
	v_add_f32_e32 v143, v9, v164
	v_fma_f32 v156, v3, v192, -v1
	ds_read_b128 v[1:4], v142 offset:864
	v_add_f32_e32 v144, v10, v168
	ds_read_b128 v[9:12], v142 offset:880
	v_add_f32_e32 v143, v143, v146
	v_add_f32_e32 v144, v144, v145
	;; [unrolled: 1-line block ×3, first 2 shown]
	s_waitcnt lgkmcnt(2)
	v_mul_f32_e32 v146, v6, v189
	v_mul_f32_e32 v157, v5, v189
	;; [unrolled: 1-line block ×3, first 2 shown]
	v_fma_f32 v158, v5, v190, -v146
	v_add_f32_e32 v5, v144, v171
	v_fmac_f32_e32 v157, v6, v190
	v_add_f32_e32 v6, v147, v182
	ds_read_b128 v[143:146], v142 offset:896
	s_waitcnt lgkmcnt(2)
	v_mul_f32_e32 v148, v2, v187
	v_add_f32_e32 v5, v5, v197
	v_mul_f32_e32 v164, v1, v187
	v_add_f32_e32 v6, v6, v179
	v_mul_f32_e32 v147, v8, v188
	v_fma_f32 v167, v1, v185, -v148
	v_add_f32_e32 v5, v5, v199
	v_fmac_f32_e32 v164, v2, v185
	v_add_f32_e32 v1, v6, v178
	v_fma_f32 v166, v7, v186, -v147
	v_fmac_f32_e32 v161, v8, v186
	v_add_f32_e32 v2, v5, v200
	ds_read_b128 v[5:8], v142 offset:912
	ds_read_b128 v[147:150], v142 offset:928
	s_waitcnt vmcnt(38)
	v_mul_f32_e32 v165, v3, v162
	v_mul_f32_e32 v153, v4, v162
	s_waitcnt vmcnt(37) lgkmcnt(3)
	v_mul_f32_e32 v162, v9, v163
	v_mul_f32_e32 v154, v10, v163
	s_waitcnt vmcnt(34)
	v_fmac_f32_e32 v162, v10, v175
	v_add_f32_e32 v10, v1, v152
	v_fma_f32 v168, v9, v175, -v154
	v_add_f32_e32 v9, v2, v151
	s_waitcnt vmcnt(33)
	v_fma_f32 v163, v3, v176, -v153
	v_fmac_f32_e32 v165, v4, v176
	v_add_f32_e32 v10, v10, v156
	s_waitcnt vmcnt(32)
	v_mul_f32_e32 v170, v11, v172
	v_add_f32_e32 v9, v9, v155
	s_waitcnt vmcnt(31) lgkmcnt(2)
	v_mul_f32_e32 v171, v143, v173
	v_mul_f32_e32 v155, v144, v173
	v_add_f32_e32 v10, v10, v158
	v_mul_f32_e32 v156, v12, v172
	v_fmac_f32_e32 v170, v12, v174
	v_fmac_f32_e32 v171, v144, v169
	v_fma_f32 v169, v143, v169, -v155
	v_add_f32_e32 v143, v9, v157
	v_add_f32_e32 v166, v10, v166
	v_fma_f32 v174, v11, v174, -v156
	ds_read_b128 v[1:4], v142 offset:944
	ds_read_b128 v[151:154], v142 offset:960
	;; [unrolled: 1-line block ×4, first 2 shown]
	v_add_f32_e32 v161, v143, v161
	v_add_f32_e32 v166, v166, v167
	s_waitcnt vmcnt(30)
	v_mul_f32_e32 v172, v145, v198
	v_mul_f32_e32 v173, v146, v198
	v_add_f32_e32 v161, v161, v164
	v_add_f32_e32 v163, v166, v163
	s_waitcnt vmcnt(26)
	v_fmac_f32_e32 v172, v146, v209
	v_fma_f32 v146, v145, v209, -v173
	s_waitcnt vmcnt(25) lgkmcnt(5)
	v_mul_f32_e32 v167, v6, v202
	v_add_f32_e32 v161, v161, v165
	v_add_f32_e32 v163, v163, v168
	v_mul_f32_e32 v173, v5, v202
	s_waitcnt vmcnt(24)
	v_mul_f32_e32 v175, v8, v184
	v_fma_f32 v5, v5, v201, -v167
	v_add_f32_e32 v161, v161, v162
	v_add_f32_e32 v163, v163, v174
	v_mul_f32_e32 v164, v7, v184
	v_fmac_f32_e32 v173, v6, v201
	v_fma_f32 v7, v7, v181, -v175
	v_add_f32_e32 v161, v161, v170
	v_add_f32_e32 v163, v163, v169
	s_waitcnt vmcnt(23) lgkmcnt(4)
	v_mul_f32_e32 v166, v147, v203
	v_fmac_f32_e32 v164, v8, v181
	s_waitcnt vmcnt(22)
	v_mul_f32_e32 v165, v149, v204
	v_add_f32_e32 v161, v161, v171
	v_add_f32_e32 v146, v163, v146
	v_mul_f32_e32 v163, v148, v203
	v_fmac_f32_e32 v166, v148, v180
	s_waitcnt vmcnt(21) lgkmcnt(3)
	v_mul_f32_e32 v176, v1, v205
	v_add_f32_e32 v161, v161, v172
	v_add_f32_e32 v5, v146, v5
	v_mul_f32_e32 v146, v150, v204
	v_fma_f32 v147, v147, v180, -v163
	s_waitcnt vmcnt(20)
	v_mul_f32_e32 v168, v3, v207
	v_add_f32_e32 v8, v161, v173
	v_add_f32_e32 v5, v5, v7
	s_waitcnt vmcnt(8)
	v_fma_f32 v146, v149, v216, -v146
	v_fmac_f32_e32 v165, v150, v216
	v_fmac_f32_e32 v176, v2, v215
	v_add_f32_e32 v7, v8, v164
	v_mul_f32_e32 v8, v2, v205
	v_add_f32_e32 v5, v5, v147
	v_mul_f32_e32 v147, v4, v207
	s_waitcnt lgkmcnt(2)
	v_mul_f32_e32 v162, v151, v206
	v_add_f32_e32 v7, v7, v166
	v_fma_f32 v1, v1, v215, -v8
	v_add_f32_e32 v2, v5, v146
	v_fma_f32 v3, v3, v214, -v147
	v_fmac_f32_e32 v168, v4, v214
	v_add_f32_e32 v5, v7, v165
	v_mul_f32_e32 v7, v152, v206
	v_add_f32_e32 v1, v2, v1
	v_mul_f32_e32 v4, v154, v210
	v_mul_f32_e32 v177, v153, v210
	v_add_f32_e32 v2, v5, v176
	v_fma_f32 v5, v151, v159, -v7
	v_add_f32_e32 v1, v1, v3
	v_fmac_f32_e32 v162, v152, v159
	ds_read_b128 v[142:145], v142 offset:1008
	v_add_f32_e32 v2, v2, v168
	s_waitcnt lgkmcnt(2)
	v_mul_f32_e32 v3, v10, v211
	s_waitcnt vmcnt(4)
	v_fma_f32 v4, v153, v219, -v4
	v_add_f32_e32 v1, v1, v5
	v_mul_f32_e32 v174, v9, v211
	v_fmac_f32_e32 v177, v154, v219
	v_add_f32_e32 v2, v2, v162
	v_mul_f32_e32 v5, v12, v208
	v_fma_f32 v3, v9, v218, -v3
	v_add_f32_e32 v1, v1, v4
	v_mul_f32_e32 v170, v11, v208
	v_fmac_f32_e32 v174, v10, v218
	v_add_f32_e32 v2, v2, v177
	s_waitcnt lgkmcnt(1)
	v_mul_f32_e32 v4, v156, v212
	v_fma_f32 v5, v11, v217, -v5
	v_add_f32_e32 v1, v1, v3
	v_mul_f32_e32 v178, v155, v212
	v_fmac_f32_e32 v170, v12, v217
	v_add_f32_e32 v2, v2, v174
	v_mul_f32_e32 v3, v158, v213
	v_fma_f32 v4, v155, v195, -v4
	v_add_f32_e32 v1, v1, v5
	v_mul_f32_e32 v169, v157, v213
	v_fmac_f32_e32 v178, v156, v195
	v_add_f32_e32 v2, v2, v170
	s_waitcnt lgkmcnt(0)
	v_mul_f32_e32 v5, v143, v193
	s_waitcnt vmcnt(1)
	v_fma_f32 v3, v157, v221, -v3
	v_add_f32_e32 v1, v1, v4
	v_mul_f32_e32 v171, v142, v193
	v_fmac_f32_e32 v169, v158, v221
	v_add_f32_e32 v2, v2, v178
	v_mul_f32_e32 v4, v145, v194
	v_fma_f32 v5, v142, v220, -v5
	v_add_f32_e32 v1, v1, v3
	v_mul_f32_e32 v6, v144, v194
	v_fmac_f32_e32 v171, v143, v220
	v_add_f32_e32 v2, v2, v169
	v_fma_f32 v3, v144, v196, -v4
	v_add_f32_e32 v1, v1, v5
	v_fmac_f32_e32 v6, v145, v196
	v_add_f32_e32 v2, v2, v171
	v_add_f32_e32 v1, v1, v3
	;; [unrolled: 1-line block ×3, first 2 shown]
	s_waitcnt vmcnt(0)
	v_sub_f32_e32 v1, v160, v1
	v_sub_f32_e32 v2, v183, v2
	buffer_store_dword v1, off, s[0:3], 0 offset:136
	buffer_store_dword v2, off, s[0:3], 0 offset:140
	v_cmpx_lt_u32_e32 16, v0
	s_cbranch_execz .LBB127_365
; %bb.364:
	s_clause 0x1
	buffer_load_dword v1, off, s[0:3], 0 offset:128
	buffer_load_dword v2, off, s[0:3], 0 offset:132
	v_mov_b32_e32 v3, 0
	buffer_store_dword v3, off, s[0:3], 0 offset:128
	buffer_store_dword v3, off, s[0:3], 0 offset:132
	s_waitcnt vmcnt(0)
	ds_write_b64 v141, v[1:2]
.LBB127_365:
	s_or_b32 exec_lo, exec_lo, s4
	s_waitcnt lgkmcnt(0)
	s_waitcnt_vscnt null, 0x0
	s_barrier
	buffer_gl0_inv
	s_clause 0x2c
	buffer_load_dword v11, off, s[0:3], 0 offset:140
	buffer_load_dword v12, off, s[0:3], 0 offset:148
	;; [unrolled: 1-line block ×45, first 2 shown]
	v_mov_b32_e32 v9, 0
	ds_read2_b64 v[5:8], v9 offset0:81 offset1:82
	ds_read2_b64 v[1:4], v9 offset0:83 offset1:84
	s_clause 0x9
	buffer_load_dword v190, off, s[0:3], 0 offset:316
	buffer_load_dword v187, off, s[0:3], 0 offset:324
	;; [unrolled: 1-line block ×10, first 2 shown]
	ds_read2_b64 v[194:197], v9 offset0:85 offset1:86
	ds_read2_b64 v[198:201], v9 offset0:87 offset1:88
	s_mov_b32 s4, exec_lo
	s_waitcnt vmcnt(54) lgkmcnt(3)
	v_mul_f32_e32 v202, v5, v11
	v_mul_f32_e32 v11, v6, v11
	s_waitcnt vmcnt(53)
	v_mul_f32_e32 v203, v7, v12
	v_mul_f32_e32 v12, v8, v12
	s_waitcnt vmcnt(52) lgkmcnt(2)
	v_mul_f32_e32 v204, v1, v142
	s_waitcnt vmcnt(49)
	v_fmac_f32_e32 v202, v6, v145
	v_fma_f32 v11, v5, v145, -v11
	s_waitcnt vmcnt(48)
	v_mul_f32_e32 v205, v3, v144
	v_mul_f32_e32 v5, v2, v142
	;; [unrolled: 1-line block ×3, first 2 shown]
	v_fmac_f32_e32 v203, v8, v143
	s_waitcnt vmcnt(43) lgkmcnt(1)
	v_mul_f32_e32 v206, v194, v152
	v_mul_f32_e32 v142, v195, v152
	v_fma_f32 v12, v7, v143, -v12
	v_fmac_f32_e32 v204, v2, v10
	v_fmac_f32_e32 v205, v4, v153
	v_fma_f32 v10, v1, v10, -v5
	v_fma_f32 v153, v3, v153, -v6
	ds_read2_b64 v[1:4], v9 offset0:89 offset1:90
	ds_read2_b64 v[5:8], v9 offset0:91 offset1:92
	s_waitcnt vmcnt(42)
	v_mul_f32_e32 v152, v196, v151
	v_mul_f32_e32 v143, v197, v151
	s_waitcnt vmcnt(41) lgkmcnt(2)
	v_mul_f32_e32 v151, v198, v149
	v_fmac_f32_e32 v206, v195, v148
	v_fma_f32 v194, v194, v148, -v142
	s_waitcnt vmcnt(40)
	v_mul_f32_e32 v195, v200, v150
	v_mul_f32_e32 v142, v199, v149
	;; [unrolled: 1-line block ×3, first 2 shown]
	v_fmac_f32_e32 v152, v197, v147
	v_fma_f32 v150, v196, v147, -v143
	v_fmac_f32_e32 v151, v199, v146
	s_waitcnt vmcnt(36)
	v_fmac_f32_e32 v195, v201, v161
	v_fma_f32 v196, v198, v146, -v142
	v_fma_f32 v161, v200, v161, -v144
	ds_read2_b64 v[142:145], v9 offset0:93 offset1:94
	ds_read2_b64 v[146:149], v9 offset0:95 offset1:96
	s_waitcnt vmcnt(35) lgkmcnt(3)
	v_mul_f32_e32 v197, v1, v159
	s_waitcnt vmcnt(34)
	v_mul_f32_e32 v198, v3, v160
	v_mul_f32_e32 v159, v2, v159
	;; [unrolled: 1-line block ×3, first 2 shown]
	s_waitcnt vmcnt(33) lgkmcnt(2)
	v_mul_f32_e32 v199, v5, v158
	v_mul_f32_e32 v158, v6, v158
	v_fmac_f32_e32 v197, v2, v156
	v_fmac_f32_e32 v198, v4, v155
	v_fma_f32 v156, v1, v156, -v159
	v_fma_f32 v155, v3, v155, -v160
	s_clause 0x1
	buffer_load_dword v159, off, s[0:3], 0 offset:356
	buffer_load_dword v160, off, s[0:3], 0 offset:364
	s_waitcnt vmcnt(34)
	v_mul_f32_e32 v200, v7, v157
	v_mul_f32_e32 v157, v8, v157
	v_fmac_f32_e32 v199, v6, v154
	v_fma_f32 v154, v5, v154, -v158
	ds_read2_b64 v[1:4], v9 offset0:97 offset1:98
	s_waitcnt vmcnt(29) lgkmcnt(2)
	v_mul_f32_e32 v158, v142, v169
	v_mul_f32_e32 v5, v143, v169
	s_waitcnt vmcnt(28)
	v_mul_f32_e32 v6, v145, v170
	v_fmac_f32_e32 v200, v8, v172
	v_fma_f32 v157, v7, v172, -v157
	v_fmac_f32_e32 v158, v143, v164
	v_fma_f32 v142, v142, v164, -v5
	v_fma_f32 v143, v144, v163, -v6
	ds_read2_b64 v[5:8], v9 offset0:99 offset1:100
	v_mul_f32_e32 v172, v144, v170
	s_waitcnt vmcnt(27) lgkmcnt(2)
	v_mul_f32_e32 v169, v146, v166
	s_waitcnt vmcnt(26)
	v_mul_f32_e32 v170, v148, v167
	v_mul_f32_e32 v166, v147, v166
	;; [unrolled: 1-line block ×3, first 2 shown]
	v_fmac_f32_e32 v172, v145, v163
	v_fmac_f32_e32 v169, v147, v162
	s_waitcnt vmcnt(22)
	v_fmac_f32_e32 v170, v149, v185
	v_fma_f32 v144, v146, v162, -v166
	v_fma_f32 v145, v148, v185, -v167
	s_clause 0x5
	buffer_load_dword v162, off, s[0:3], 0 offset:372
	buffer_load_dword v163, off, s[0:3], 0 offset:380
	;; [unrolled: 1-line block ×6, first 2 shown]
	s_waitcnt vmcnt(27) lgkmcnt(1)
	v_mul_f32_e32 v146, v1, v180
	s_waitcnt vmcnt(26)
	v_mul_f32_e32 v147, v3, v181
	v_mul_f32_e32 v148, v2, v180
	;; [unrolled: 1-line block ×3, first 2 shown]
	v_add_f32_e32 v181, 0, v202
	v_fmac_f32_e32 v146, v2, v178
	v_fmac_f32_e32 v147, v4, v174
	v_fma_f32 v148, v1, v178, -v148
	v_fma_f32 v149, v3, v174, -v149
	ds_read2_b64 v[1:4], v9 offset0:101 offset1:102
	s_waitcnt vmcnt(25) lgkmcnt(1)
	v_mul_f32_e32 v174, v5, v175
	v_mul_f32_e32 v175, v6, v175
	buffer_load_dword v180, off, s[0:3], 0 offset:388
	s_waitcnt vmcnt(25)
	v_mul_f32_e32 v178, v7, v176
	v_mul_f32_e32 v176, v8, v176
	v_fmac_f32_e32 v174, v6, v173
	v_add_f32_e32 v6, 0, v11
	v_add_f32_e32 v11, v181, v203
	v_fma_f32 v173, v5, v173, -v175
	s_waitcnt vmcnt(21)
	v_fmac_f32_e32 v178, v8, v192
	v_fma_f32 v175, v7, v192, -v176
	v_add_f32_e32 v5, v6, v12
	v_add_f32_e32 v11, v11, v204
	s_clause 0x4
	buffer_load_dword v12, off, s[0:3], 0 offset:408
	buffer_load_dword v176, off, s[0:3], 0 offset:400
	;; [unrolled: 1-line block ×5, first 2 shown]
	v_add_f32_e32 v10, v5, v10
	v_add_f32_e32 v11, v11, v205
	ds_read2_b64 v[5:8], v9 offset0:103 offset1:104
	s_waitcnt vmcnt(25) lgkmcnt(1)
	v_mul_f32_e32 v202, v1, v191
	v_mul_f32_e32 v191, v2, v191
	v_add_f32_e32 v10, v10, v153
	v_add_f32_e32 v11, v11, v206
	s_clause 0x1
	buffer_load_dword v203, off, s[0:3], 0 offset:404
	buffer_load_dword v204, off, s[0:3], 0 offset:412
	v_fmac_f32_e32 v202, v2, v188
	v_fma_f32 v153, v1, v188, -v191
	v_add_f32_e32 v1, v10, v194
	v_add_f32_e32 v2, v11, v152
	buffer_load_dword v205, off, s[0:3], 0 offset:420
	s_waitcnt vmcnt(27)
	v_mul_f32_e32 v188, v3, v186
	v_mul_f32_e32 v10, v4, v186
	v_add_f32_e32 v1, v1, v150
	v_add_f32_e32 v2, v2, v151
	s_clause 0x2
	buffer_load_dword v191, off, s[0:3], 0 offset:428
	buffer_load_dword v194, off, s[0:3], 0 offset:436
	;; [unrolled: 1-line block ×3, first 2 shown]
	v_fmac_f32_e32 v188, v4, v182
	v_fma_f32 v10, v3, v182, -v10
	v_add_f32_e32 v2, v2, v195
	s_clause 0x1
	buffer_load_dword v182, off, s[0:3], 0 offset:452
	buffer_load_dword v206, off, s[0:3], 0 offset:460
	v_add_f32_e32 v1, v1, v196
	s_clause 0x2
	buffer_load_dword v195, off, s[0:3], 0 offset:468
	buffer_load_dword v196, off, s[0:3], 0 offset:476
	;; [unrolled: 1-line block ×3, first 2 shown]
	s_waitcnt vmcnt(34) lgkmcnt(0)
	v_mul_f32_e32 v11, v5, v190
	v_add_f32_e32 v2, v2, v197
	s_clause 0x2
	buffer_load_dword v197, off, s[0:3], 0 offset:492
	buffer_load_dword v208, off, s[0:3], 0 offset:500
	;; [unrolled: 1-line block ×3, first 2 shown]
	v_add_f32_e32 v1, v1, v161
	v_mul_f32_e32 v3, v6, v190
	v_fmac_f32_e32 v11, v6, v165
	v_add_f32_e32 v2, v2, v198
	s_clause 0x3
	buffer_load_dword v198, off, s[0:3], 0 offset:440
	buffer_load_dword v210, off, s[0:3], 0 offset:432
	buffer_load_dword v211, off, s[0:3], 0 offset:424
	buffer_load_dword v212, off, s[0:3], 0 offset:416
	v_add_f32_e32 v1, v1, v156
	v_fma_f32 v150, v5, v165, -v3
	v_add_f32_e32 v2, v2, v199
	v_add_f32_e32 v1, v1, v155
	;; [unrolled: 1-line block ×3, first 2 shown]
	s_clause 0x3
	buffer_load_dword v199, off, s[0:3], 0 offset:472
	buffer_load_dword v200, off, s[0:3], 0 offset:464
	;; [unrolled: 1-line block ×4, first 2 shown]
	v_add_f32_e32 v1, v1, v154
	s_waitcnt vmcnt(44)
	v_mul_f32_e32 v154, v7, v187
	v_add_f32_e32 v2, v2, v158
	v_add_f32_e32 v1, v1, v157
	s_waitcnt vmcnt(37)
	v_fmac_f32_e32 v154, v8, v189
	v_add_f32_e32 v2, v2, v172
	s_clause 0x4
	buffer_load_dword v172, off, s[0:3], 0 offset:504
	buffer_load_dword v215, off, s[0:3], 0 offset:496
	;; [unrolled: 1-line block ×5, first 2 shown]
	v_add_f32_e32 v1, v1, v142
	v_add_f32_e32 v2, v2, v169
	;; [unrolled: 1-line block ×6, first 2 shown]
	v_mul_f32_e32 v5, v8, v187
	v_add_f32_e32 v6, v1, v145
	ds_read2_b64 v[1:4], v9 offset0:105 offset1:106
	v_add_f32_e32 v146, v142, v147
	v_fma_f32 v155, v7, v189, -v5
	v_add_f32_e32 v143, v6, v148
	ds_read2_b64 v[5:8], v9 offset0:107 offset1:108
	v_add_f32_e32 v146, v146, v174
	v_add_f32_e32 v147, v143, v149
	ds_read2_b64 v[142:145], v9 offset0:109 offset1:110
	v_add_f32_e32 v151, v146, v178
	v_add_f32_e32 v147, v147, v173
	s_waitcnt lgkmcnt(2)
	v_mul_f32_e32 v148, v2, v183
	v_mul_f32_e32 v158, v1, v183
	;; [unrolled: 1-line block ×3, first 2 shown]
	v_fma_f32 v161, v1, v184, -v148
	v_add_f32_e32 v1, v147, v175
	v_fmac_f32_e32 v158, v2, v184
	v_add_f32_e32 v2, v151, v202
	s_waitcnt lgkmcnt(1)
	v_mul_f32_e32 v169, v5, v177
	v_mul_f32_e32 v152, v6, v177
	v_add_f32_e32 v1, v1, v153
	ds_read2_b64 v[146:149], v9 offset0:111 offset1:112
	v_add_f32_e32 v2, v2, v188
	v_fmac_f32_e32 v169, v6, v168
	v_fma_f32 v168, v5, v168, -v152
	v_add_f32_e32 v1, v1, v10
	v_mul_f32_e32 v151, v4, v179
	v_add_f32_e32 v5, v2, v11
	v_fmac_f32_e32 v165, v4, v171
	v_add_f32_e32 v6, v1, v150
	v_fma_f32 v10, v3, v171, -v151
	ds_read2_b64 v[1:4], v9 offset0:113 offset1:114
	ds_read2_b64 v[150:153], v9 offset0:115 offset1:116
	s_waitcnt vmcnt(40)
	v_mul_f32_e32 v156, v8, v159
	s_waitcnt vmcnt(39) lgkmcnt(3)
	v_mul_f32_e32 v173, v142, v160
	v_mul_f32_e32 v11, v143, v160
	;; [unrolled: 1-line block ×3, first 2 shown]
	s_waitcnt vmcnt(38)
	v_mul_f32_e32 v174, v144, v162
	s_waitcnt vmcnt(34)
	v_fmac_f32_e32 v173, v143, v167
	v_fma_f32 v167, v142, v167, -v11
	v_add_f32_e32 v11, v6, v155
	v_add_f32_e32 v143, v5, v154
	s_waitcnt vmcnt(33)
	v_fma_f32 v171, v7, v185, -v156
	v_fmac_f32_e32 v170, v8, v185
	v_fmac_f32_e32 v174, v145, v166
	v_add_f32_e32 v11, v11, v161
	v_add_f32_e32 v142, v143, v158
	v_mul_f32_e32 v143, v145, v162
	s_waitcnt lgkmcnt(2)
	v_mul_f32_e32 v162, v146, v163
	v_mul_f32_e32 v158, v147, v163
	v_add_f32_e32 v10, v11, v10
	v_add_f32_e32 v142, v142, v165
	v_fma_f32 v166, v144, v166, -v143
	s_waitcnt vmcnt(32)
	v_mul_f32_e32 v163, v149, v180
	v_fmac_f32_e32 v162, v147, v164
	v_add_f32_e32 v168, v10, v168
	v_add_f32_e32 v169, v142, v169
	v_fma_f32 v164, v146, v164, -v158
	v_mul_f32_e32 v165, v148, v180
	ds_read2_b64 v[5:8], v9 offset0:117 offset1:118
	ds_read2_b64 v[154:157], v9 offset0:119 offset1:120
	v_add_f32_e32 v168, v168, v171
	v_add_f32_e32 v169, v169, v170
	s_waitcnt vmcnt(28)
	v_fma_f32 v163, v148, v192, -v163
	s_waitcnt vmcnt(27) lgkmcnt(3)
	v_mul_f32_e32 v175, v2, v201
	v_fmac_f32_e32 v165, v149, v192
	v_add_f32_e32 v167, v168, v167
	v_add_f32_e32 v169, v169, v173
	v_mul_f32_e32 v170, v1, v201
	v_fma_f32 v1, v1, v181, -v175
	ds_read2_b64 v[142:145], v9 offset0:121 offset1:122
	ds_read2_b64 v[158:161], v9 offset0:123 offset1:124
	v_add_f32_e32 v166, v167, v166
	v_add_f32_e32 v169, v169, v174
	s_waitcnt vmcnt(26)
	v_mul_f32_e32 v177, v4, v203
	v_mul_f32_e32 v171, v3, v203
	v_fmac_f32_e32 v170, v2, v181
	v_add_f32_e32 v164, v166, v164
	v_add_f32_e32 v162, v169, v162
	s_waitcnt vmcnt(25) lgkmcnt(4)
	v_mul_f32_e32 v173, v150, v204
	v_mul_f32_e32 v175, v151, v204
	v_fma_f32 v3, v3, v176, -v177
	v_add_f32_e32 v163, v164, v163
	v_add_f32_e32 v162, v162, v165
	v_fmac_f32_e32 v171, v4, v176
	s_waitcnt vmcnt(24)
	v_mul_f32_e32 v164, v153, v205
	v_fmac_f32_e32 v173, v151, v12
	v_add_f32_e32 v1, v163, v1
	v_add_f32_e32 v162, v162, v170
	v_fma_f32 v12, v150, v12, -v175
	v_mul_f32_e32 v168, v152, v205
	s_waitcnt vmcnt(23) lgkmcnt(3)
	v_mul_f32_e32 v150, v6, v191
	v_add_f32_e32 v1, v1, v3
	v_add_f32_e32 v3, v162, v171
	v_mul_f32_e32 v2, v5, v191
	s_waitcnt vmcnt(22)
	v_mul_f32_e32 v174, v7, v194
	s_waitcnt vmcnt(21) lgkmcnt(2)
	v_mul_f32_e32 v167, v154, v186
	v_add_f32_e32 v1, v1, v12
	v_add_f32_e32 v3, v3, v173
	v_mul_f32_e32 v12, v8, v194
	s_waitcnt vmcnt(9)
	v_fma_f32 v151, v152, v212, -v164
	v_fmac_f32_e32 v168, v153, v212
	v_fma_f32 v5, v5, v211, -v150
	v_fmac_f32_e32 v2, v6, v211
	v_mul_f32_e32 v6, v155, v186
	v_add_f32_e32 v1, v1, v151
	v_add_f32_e32 v3, v3, v168
	v_fma_f32 v7, v7, v210, -v12
	v_fmac_f32_e32 v174, v8, v210
	v_mul_f32_e32 v4, v156, v182
	v_add_f32_e32 v1, v1, v5
	v_add_f32_e32 v2, v3, v2
	v_mul_f32_e32 v3, v157, v182
	v_fma_f32 v5, v154, v198, -v6
	v_fmac_f32_e32 v167, v155, v198
	v_add_f32_e32 v1, v1, v7
	v_add_f32_e32 v2, v2, v174
	s_waitcnt lgkmcnt(1)
	v_mul_f32_e32 v6, v143, v206
	s_waitcnt vmcnt(5)
	v_fma_f32 v3, v156, v214, -v3
	ds_read2_b64 v[146:149], v9 offset0:125 offset1:126
	ds_read_b64 v[10:11], v9 offset:1016
	v_add_f32_e32 v1, v1, v5
	v_mul_f32_e32 v176, v142, v206
	v_fmac_f32_e32 v4, v157, v214
	v_add_f32_e32 v2, v2, v167
	v_mul_f32_e32 v5, v145, v195
	v_fma_f32 v6, v142, v213, -v6
	v_add_f32_e32 v1, v1, v3
	v_mul_f32_e32 v166, v144, v195
	v_fmac_f32_e32 v176, v143, v213
	v_add_f32_e32 v2, v2, v4
	s_waitcnt lgkmcnt(2)
	v_mul_f32_e32 v3, v159, v196
	v_fma_f32 v4, v144, v200, -v5
	v_add_f32_e32 v1, v1, v6
	v_mul_f32_e32 v169, v158, v196
	v_fmac_f32_e32 v166, v145, v200
	v_add_f32_e32 v2, v2, v176
	v_mul_f32_e32 v5, v161, v207
	v_fma_f32 v3, v158, v199, -v3
	v_add_f32_e32 v1, v1, v4
	v_mul_f32_e32 v177, v160, v207
	v_fmac_f32_e32 v169, v159, v199
	v_add_f32_e32 v2, v2, v166
	s_waitcnt lgkmcnt(1)
	v_mul_f32_e32 v4, v147, v197
	s_waitcnt vmcnt(1)
	v_fma_f32 v5, v160, v217, -v5
	v_add_f32_e32 v1, v1, v3
	v_mul_f32_e32 v165, v146, v197
	v_fmac_f32_e32 v177, v161, v217
	v_add_f32_e32 v2, v2, v169
	v_mul_f32_e32 v3, v149, v208
	v_fma_f32 v4, v146, v216, -v4
	v_add_f32_e32 v1, v1, v5
	v_mul_f32_e32 v178, v148, v208
	v_fmac_f32_e32 v165, v147, v216
	v_add_f32_e32 v2, v2, v177
	s_waitcnt lgkmcnt(0)
	v_mul_f32_e32 v5, v11, v209
	v_fma_f32 v3, v148, v215, -v3
	v_add_f32_e32 v1, v1, v4
	v_mul_f32_e32 v163, v10, v209
	v_fmac_f32_e32 v178, v149, v215
	v_add_f32_e32 v2, v2, v165
	v_fma_f32 v4, v10, v172, -v5
	v_add_f32_e32 v1, v1, v3
	v_fmac_f32_e32 v163, v11, v172
	v_add_f32_e32 v2, v2, v178
	v_add_f32_e32 v1, v1, v4
	;; [unrolled: 1-line block ×3, first 2 shown]
	s_waitcnt vmcnt(0)
	v_sub_f32_e32 v1, v218, v1
	v_sub_f32_e32 v2, v193, v2
	buffer_store_dword v1, off, s[0:3], 0 offset:128
	buffer_store_dword v2, off, s[0:3], 0 offset:132
	v_cmpx_lt_u32_e32 15, v0
	s_cbranch_execz .LBB127_367
; %bb.366:
	s_clause 0x1
	buffer_load_dword v1, off, s[0:3], 0 offset:120
	buffer_load_dword v2, off, s[0:3], 0 offset:124
	buffer_store_dword v9, off, s[0:3], 0 offset:120
	buffer_store_dword v9, off, s[0:3], 0 offset:124
	s_waitcnt vmcnt(0)
	ds_write_b64 v141, v[1:2]
.LBB127_367:
	s_or_b32 exec_lo, exec_lo, s4
	s_waitcnt lgkmcnt(0)
	s_waitcnt_vscnt null, 0x0
	s_barrier
	buffer_gl0_inv
	s_clause 0x33
	buffer_load_dword v176, off, s[0:3], 0 offset:132
	buffer_load_dword v177, off, s[0:3], 0 offset:140
	;; [unrolled: 1-line block ×52, first 2 shown]
	ds_read_b128 v[185:188], v9 offset:640
	ds_read_b128 v[189:192], v9 offset:656
	;; [unrolled: 1-line block ×3, first 2 shown]
	s_clause 0x1
	buffer_load_dword v182, off, s[0:3], 0 offset:324
	buffer_load_dword v183, off, s[0:3], 0 offset:332
	ds_read_b128 v[197:200], v9 offset:688
	s_mov_b32 s4, exec_lo
	s_waitcnt vmcnt(53) lgkmcnt(3)
	v_mul_f32_e32 v201, v185, v176
	v_mul_f32_e32 v202, v186, v176
	s_waitcnt vmcnt(52)
	v_mul_f32_e32 v203, v187, v177
	v_mul_f32_e32 v177, v188, v177
	buffer_load_dword v176, off, s[0:3], 0 offset:124
	s_waitcnt vmcnt(50)
	v_fmac_f32_e32 v201, v186, v7
	v_fma_f32 v202, v185, v7, -v202
	v_fmac_f32_e32 v203, v188, v5
	v_fma_f32 v177, v187, v5, -v177
	ds_read_b128 v[185:188], v9 offset:704
	s_waitcnt vmcnt(49) lgkmcnt(3)
	v_mul_f32_e32 v204, v189, v2
	s_waitcnt vmcnt(48)
	v_mul_f32_e32 v205, v191, v3
	v_mul_f32_e32 v2, v190, v2
	;; [unrolled: 1-line block ×3, first 2 shown]
	s_waitcnt vmcnt(47) lgkmcnt(2)
	v_mul_f32_e32 v206, v193, v6
	v_mul_f32_e32 v5, v194, v6
	v_fmac_f32_e32 v204, v190, v1
	v_fma_f32 v207, v189, v1, -v2
	s_waitcnt vmcnt(46)
	v_mul_f32_e32 v208, v195, v4
	v_mul_f32_e32 v6, v196, v4
	s_waitcnt vmcnt(42)
	v_fma_f32 v209, v191, v143, -v3
	ds_read_b128 v[1:4], v9 offset:720
	v_fmac_f32_e32 v205, v192, v143
	v_fmac_f32_e32 v206, v194, v142
	v_fma_f32 v193, v193, v142, -v5
	v_fmac_f32_e32 v208, v196, v11
	v_fma_f32 v11, v195, v11, -v6
	ds_read_b128 v[189:192], v9 offset:736
	s_waitcnt vmcnt(41) lgkmcnt(3)
	v_mul_f32_e32 v194, v197, v12
	v_mul_f32_e32 v5, v198, v12
	s_waitcnt vmcnt(40)
	v_mul_f32_e32 v12, v199, v10
	v_mul_f32_e32 v6, v200, v10
	s_waitcnt vmcnt(39) lgkmcnt(2)
	v_mul_f32_e32 v10, v185, v144
	v_fmac_f32_e32 v194, v198, v8
	v_fma_f32 v195, v197, v8, -v5
	v_mul_f32_e32 v142, v186, v144
	s_waitcnt vmcnt(38)
	v_mul_f32_e32 v143, v188, v145
	s_waitcnt vmcnt(34)
	v_fmac_f32_e32 v12, v200, v151
	v_fma_f32 v151, v199, v151, -v6
	ds_read_b128 v[5:8], v9 offset:752
	v_mul_f32_e32 v196, v187, v145
	v_fmac_f32_e32 v10, v186, v150
	v_fma_f32 v150, v185, v150, -v142
	v_fma_f32 v185, v187, v148, -v143
	ds_read_b128 v[142:145], v9 offset:768
	v_fmac_f32_e32 v196, v188, v148
	s_waitcnt vmcnt(33) lgkmcnt(3)
	v_mul_f32_e32 v186, v1, v149
	v_mul_f32_e32 v148, v2, v149
	s_waitcnt vmcnt(32)
	v_mul_f32_e32 v187, v3, v147
	v_mul_f32_e32 v147, v4, v147
	s_waitcnt vmcnt(31) lgkmcnt(2)
	v_mul_f32_e32 v188, v189, v152
	v_fmac_f32_e32 v186, v2, v146
	v_fma_f32 v197, v1, v146, -v148
	v_mul_f32_e32 v146, v190, v152
	s_waitcnt vmcnt(30)
	v_mul_f32_e32 v198, v191, v153
	v_mul_f32_e32 v148, v192, v153
	s_waitcnt vmcnt(26)
	v_fmac_f32_e32 v187, v4, v159
	v_fma_f32 v152, v3, v159, -v147
	ds_read_b128 v[1:4], v9 offset:784
	v_fmac_f32_e32 v188, v190, v158
	v_fma_f32 v153, v189, v158, -v146
	s_waitcnt vmcnt(25) lgkmcnt(2)
	v_mul_f32_e32 v158, v5, v157
	v_fmac_f32_e32 v198, v192, v156
	v_fma_f32 v156, v191, v156, -v148
	ds_read_b128 v[146:149], v9 offset:800
	v_mul_f32_e32 v157, v6, v157
	s_waitcnt vmcnt(24)
	v_mul_f32_e32 v159, v7, v155
	v_mul_f32_e32 v155, v8, v155
	s_waitcnt vmcnt(23) lgkmcnt(2)
	v_mul_f32_e32 v189, v142, v160
	v_fmac_f32_e32 v158, v6, v154
	v_mul_f32_e32 v6, v143, v160
	v_fma_f32 v5, v5, v154, -v157
	s_waitcnt vmcnt(22)
	v_mul_f32_e32 v154, v144, v161
	v_mul_f32_e32 v157, v145, v161
	s_waitcnt vmcnt(18)
	v_fmac_f32_e32 v159, v8, v168
	v_fma_f32 v7, v7, v168, -v155
	v_fmac_f32_e32 v189, v143, v167
	v_fma_f32 v6, v142, v167, -v6
	s_clause 0x5
	buffer_load_dword v155, off, s[0:3], 0 offset:348
	buffer_load_dword v160, off, s[0:3], 0 offset:352
	;; [unrolled: 1-line block ×6, first 2 shown]
	v_fma_f32 v142, v144, v163, -v157
	s_waitcnt vmcnt(23) lgkmcnt(1)
	v_mul_f32_e32 v143, v1, v164
	s_waitcnt vmcnt(22)
	v_mul_f32_e32 v157, v3, v165
	v_mul_f32_e32 v8, v2, v164
	;; [unrolled: 1-line block ×3, first 2 shown]
	v_fmac_f32_e32 v154, v145, v163
	v_fmac_f32_e32 v143, v2, v162
	s_waitcnt vmcnt(18)
	v_fmac_f32_e32 v157, v4, v175
	v_fma_f32 v145, v1, v162, -v8
	v_fma_f32 v162, v3, v175, -v144
	s_waitcnt vmcnt(17) lgkmcnt(0)
	v_mul_f32_e32 v175, v146, v173
	v_mul_f32_e32 v8, v147, v173
	s_clause 0x1
	buffer_load_dword v163, off, s[0:3], 0 offset:364
	buffer_load_dword v164, off, s[0:3], 0 offset:372
	ds_read_b128 v[1:4], v9 offset:816
	buffer_load_dword v165, off, s[0:3], 0 offset:380
	s_waitcnt vmcnt(19)
	v_mul_f32_e32 v191, v148, v174
	v_mul_f32_e32 v144, v149, v174
	v_fmac_f32_e32 v175, v147, v172
	v_fma_f32 v146, v146, v172, -v8
	s_clause 0x5
	buffer_load_dword v172, off, s[0:3], 0 offset:400
	buffer_load_dword v173, off, s[0:3], 0 offset:392
	;; [unrolled: 1-line block ×6, first 2 shown]
	v_fmac_f32_e32 v191, v149, v171
	v_fma_f32 v171, v148, v171, -v144
	v_add_f32_e32 v8, 0, v201
	v_add_f32_e32 v144, 0, v202
	;; [unrolled: 1-line block ×4, first 2 shown]
	buffer_load_dword v177, off, s[0:3], 0 offset:404
	s_waitcnt vmcnt(25) lgkmcnt(0)
	v_mul_f32_e32 v147, v2, v170
	v_add_f32_e32 v8, v8, v204
	v_add_f32_e32 v144, v144, v207
	s_waitcnt vmcnt(24)
	v_mul_f32_e32 v148, v4, v169
	s_clause 0x3
	buffer_load_dword v201, off, s[0:3], 0 offset:412
	buffer_load_dword v202, off, s[0:3], 0 offset:420
	;; [unrolled: 1-line block ×4, first 2 shown]
	v_add_f32_e32 v8, v8, v205
	v_add_f32_e32 v144, v144, v209
	v_mul_f32_e32 v205, v1, v170
	v_mul_f32_e32 v170, v3, v169
	v_add_f32_e32 v8, v8, v206
	v_add_f32_e32 v144, v144, v193
	v_fmac_f32_e32 v205, v2, v166
	v_fma_f32 v166, v1, v166, -v147
	s_clause 0x3
	buffer_load_dword v169, off, s[0:3], 0 offset:444
	buffer_load_dword v193, off, s[0:3], 0 offset:452
	;; [unrolled: 1-line block ×4, first 2 shown]
	v_add_f32_e32 v1, v8, v208
	v_add_f32_e32 v2, v144, v11
	s_waitcnt vmcnt(27)
	v_fmac_f32_e32 v170, v4, v184
	v_fma_f32 v11, v3, v184, -v148
	s_clause 0x1
	buffer_load_dword v184, off, s[0:3], 0 offset:476
	buffer_load_dword v208, off, s[0:3], 0 offset:484
	v_add_f32_e32 v1, v1, v194
	v_add_f32_e32 v2, v2, v195
	s_clause 0x6
	buffer_load_dword v194, off, s[0:3], 0 offset:492
	buffer_load_dword v195, off, s[0:3], 0 offset:500
	;; [unrolled: 1-line block ×7, first 2 shown]
	v_add_f32_e32 v1, v1, v12
	v_add_f32_e32 v2, v2, v151
	;; [unrolled: 1-line block ×6, first 2 shown]
	s_clause 0x3
	buffer_load_dword v185, off, s[0:3], 0 offset:464
	buffer_load_dword v196, off, s[0:3], 0 offset:456
	;; [unrolled: 1-line block ×4, first 2 shown]
	v_add_f32_e32 v1, v1, v186
	v_add_f32_e32 v2, v2, v197
	;; [unrolled: 1-line block ×3, first 2 shown]
	s_clause 0x4
	buffer_load_dword v186, off, s[0:3], 0 offset:496
	buffer_load_dword v187, off, s[0:3], 0 offset:488
	;; [unrolled: 1-line block ×5, first 2 shown]
	v_add_f32_e32 v2, v2, v152
	v_add_f32_e32 v1, v1, v188
	buffer_load_dword v188, off, s[0:3], 0 offset:504
	v_add_f32_e32 v2, v2, v153
	v_add_f32_e32 v1, v1, v198
	;; [unrolled: 1-line block ×5, first 2 shown]
	ds_read_b128 v[1:4], v9 offset:832
	v_add_f32_e32 v5, v5, v7
	v_add_f32_e32 v7, v8, v159
	;; [unrolled: 1-line block ×4, first 2 shown]
	ds_read_b128 v[5:8], v9 offset:848
	v_add_f32_e32 v10, v10, v142
	v_add_f32_e32 v12, v12, v154
	;; [unrolled: 1-line block ×4, first 2 shown]
	s_waitcnt vmcnt(44) lgkmcnt(1)
	v_mul_f32_e32 v158, v3, v183
	v_mul_f32_e32 v144, v4, v183
	;; [unrolled: 1-line block ×3, first 2 shown]
	v_add_f32_e32 v10, v10, v162
	v_add_f32_e32 v12, v12, v157
	v_mul_f32_e32 v142, v2, v182
	v_fmac_f32_e32 v158, v4, v180
	v_fma_f32 v159, v3, v180, -v144
	v_add_f32_e32 v10, v10, v146
	v_add_f32_e32 v12, v12, v175
	s_waitcnt lgkmcnt(0)
	v_mul_f32_e32 v162, v5, v179
	v_mul_f32_e32 v147, v6, v179
	v_fmac_f32_e32 v156, v2, v181
	v_fma_f32 v154, v1, v181, -v142
	ds_read_b128 v[1:4], v9 offset:864
	ds_read_b128 v[142:145], v9 offset:880
	v_add_f32_e32 v10, v10, v171
	v_fmac_f32_e32 v162, v6, v178
	v_fma_f32 v178, v5, v178, -v147
	v_add_f32_e32 v12, v12, v191
	v_add_f32_e32 v10, v10, v166
	;; [unrolled: 1-line block ×9, first 2 shown]
	s_waitcnt vmcnt(42)
	v_mul_f32_e32 v180, v7, v155
	v_mul_f32_e32 v148, v8, v155
	s_waitcnt vmcnt(40) lgkmcnt(1)
	v_mul_f32_e32 v171, v1, v161
	v_mul_f32_e32 v150, v2, v161
	s_waitcnt vmcnt(37)
	v_fmac_f32_e32 v180, v8, v190
	v_fma_f32 v179, v7, v190, -v148
	ds_read_b128 v[5:8], v9 offset:896
	ds_read_b128 v[146:149], v9 offset:912
	v_fmac_f32_e32 v171, v2, v160
	v_fma_f32 v160, v1, v160, -v150
	s_waitcnt vmcnt(36)
	v_mul_f32_e32 v161, v3, v163
	v_mul_f32_e32 v151, v4, v163
	s_waitcnt vmcnt(35) lgkmcnt(2)
	v_mul_f32_e32 v163, v142, v164
	v_mul_f32_e32 v155, v143, v164
	s_waitcnt vmcnt(34)
	v_mul_f32_e32 v12, v145, v165
	v_mul_f32_e32 v166, v144, v165
	v_fmac_f32_e32 v161, v4, v168
	v_fmac_f32_e32 v163, v143, v167
	v_fma_f32 v165, v142, v167, -v155
	s_waitcnt vmcnt(29) lgkmcnt(1)
	v_mul_f32_e32 v159, v5, v199
	v_fma_f32 v167, v144, v192, -v12
	v_mul_f32_e32 v12, v6, v199
	v_fma_f32 v164, v3, v168, -v151
	s_waitcnt vmcnt(28)
	v_mul_f32_e32 v158, v7, v200
	v_fmac_f32_e32 v159, v6, v174
	v_add_f32_e32 v6, v10, v178
	v_mul_f32_e32 v168, v8, v200
	v_add_f32_e32 v10, v11, v162
	v_fmac_f32_e32 v158, v8, v173
	ds_read_b128 v[1:4], v9 offset:928
	ds_read_b128 v[150:153], v9 offset:944
	v_add_f32_e32 v170, v6, v179
	v_fma_f32 v168, v7, v173, -v168
	v_add_f32_e32 v173, v10, v180
	v_fmac_f32_e32 v166, v145, v192
	v_fma_f32 v162, v5, v174, -v12
	v_add_f32_e32 v160, v170, v160
	s_waitcnt vmcnt(27) lgkmcnt(2)
	v_mul_f32_e32 v170, v147, v177
	v_add_f32_e32 v171, v173, v171
	v_mul_f32_e32 v174, v146, v177
	s_waitcnt vmcnt(26)
	v_mul_f32_e32 v175, v149, v201
	v_add_f32_e32 v160, v160, v164
	v_fma_f32 v146, v146, v172, -v170
	v_add_f32_e32 v161, v171, v161
	v_mul_f32_e32 v173, v148, v201
	v_fmac_f32_e32 v174, v147, v172
	v_add_f32_e32 v160, v160, v165
	ds_read_b128 v[142:145], v9 offset:960
	ds_read_b128 v[154:157], v9 offset:976
	v_add_f32_e32 v161, v161, v163
	s_waitcnt vmcnt(25) lgkmcnt(3)
	v_mul_f32_e32 v164, v1, v202
	s_waitcnt vmcnt(24)
	v_mul_f32_e32 v171, v3, v203
	v_add_f32_e32 v160, v160, v167
	s_waitcnt vmcnt(23) lgkmcnt(2)
	v_mul_f32_e32 v177, v150, v204
	v_add_f32_e32 v161, v161, v166
	s_waitcnt vmcnt(22)
	v_mul_f32_e32 v165, v152, v169
	s_waitcnt vmcnt(12)
	v_fmac_f32_e32 v171, v4, v211
	v_add_f32_e32 v160, v160, v162
	s_waitcnt vmcnt(10)
	v_fma_f32 v148, v148, v213, -v175
	v_add_f32_e32 v159, v161, v159
	v_fmac_f32_e32 v173, v149, v213
	v_fmac_f32_e32 v164, v2, v212
	v_add_f32_e32 v160, v160, v168
	v_fmac_f32_e32 v177, v151, v210
	v_add_f32_e32 v158, v159, v158
	v_mul_f32_e32 v159, v2, v202
	ds_read_b128 v[5:8], v9 offset:992
	ds_read_b128 v[9:12], v9 offset:1008
	v_add_f32_e32 v146, v160, v146
	s_waitcnt lgkmcnt(3)
	v_mul_f32_e32 v163, v142, v193
	v_add_f32_e32 v149, v158, v174
	v_mul_f32_e32 v158, v4, v203
	v_fma_f32 v1, v1, v212, -v159
	v_add_f32_e32 v2, v146, v148
	v_mul_f32_e32 v148, v151, v204
	v_add_f32_e32 v146, v149, v173
	v_fma_f32 v3, v3, v211, -v158
	v_mul_f32_e32 v4, v153, v169
	v_add_f32_e32 v1, v2, v1
	s_waitcnt vmcnt(6)
	v_fmac_f32_e32 v165, v153, v215
	v_add_f32_e32 v2, v146, v164
	v_fma_f32 v146, v150, v210, -v148
	v_fma_f32 v4, v152, v215, -v4
	v_add_f32_e32 v1, v1, v3
	v_mul_f32_e32 v3, v143, v193
	v_add_f32_e32 v2, v2, v171
	v_mul_f32_e32 v178, v144, v206
	v_fmac_f32_e32 v163, v143, v214
	v_add_f32_e32 v1, v1, v146
	v_mul_f32_e32 v146, v145, v206
	v_add_f32_e32 v2, v2, v177
	v_fma_f32 v3, v142, v214, -v3
	s_waitcnt lgkmcnt(2)
	v_mul_f32_e32 v167, v154, v207
	v_add_f32_e32 v1, v1, v4
	v_mul_f32_e32 v4, v155, v207
	v_add_f32_e32 v2, v2, v165
	v_fma_f32 v142, v144, v196, -v146
	v_fmac_f32_e32 v178, v145, v196
	v_add_f32_e32 v1, v1, v3
	v_mul_f32_e32 v3, v157, v184
	v_add_f32_e32 v2, v2, v163
	v_fma_f32 v4, v154, v185, -v4
	v_mul_f32_e32 v166, v156, v184
	v_add_f32_e32 v1, v1, v142
	v_fmac_f32_e32 v167, v155, v185
	v_add_f32_e32 v2, v2, v178
	s_waitcnt lgkmcnt(1)
	v_mul_f32_e32 v142, v6, v208
	s_waitcnt vmcnt(2)
	v_fma_f32 v3, v156, v216, -v3
	v_add_f32_e32 v1, v1, v4
	v_mul_f32_e32 v179, v5, v208
	v_fmac_f32_e32 v166, v157, v216
	v_add_f32_e32 v2, v2, v167
	v_mul_f32_e32 v4, v8, v194
	v_fma_f32 v5, v5, v197, -v142
	v_add_f32_e32 v1, v1, v3
	v_mul_f32_e32 v162, v7, v194
	v_fmac_f32_e32 v179, v6, v197
	v_add_f32_e32 v2, v2, v166
	s_waitcnt lgkmcnt(0)
	v_mul_f32_e32 v3, v10, v195
	v_fma_f32 v4, v7, v187, -v4
	v_add_f32_e32 v1, v1, v5
	v_mul_f32_e32 v161, v9, v195
	v_fmac_f32_e32 v162, v8, v187
	v_add_f32_e32 v2, v2, v179
	v_mul_f32_e32 v5, v12, v209
	v_fma_f32 v3, v9, v186, -v3
	v_add_f32_e32 v1, v1, v4
	v_mul_f32_e32 v147, v11, v209
	v_fmac_f32_e32 v161, v10, v186
	v_add_f32_e32 v2, v2, v162
	s_waitcnt vmcnt(0)
	v_fma_f32 v4, v11, v188, -v5
	v_add_f32_e32 v1, v1, v3
	v_fmac_f32_e32 v147, v12, v188
	v_add_f32_e32 v2, v2, v161
	v_add_f32_e32 v1, v1, v4
	v_add_f32_e32 v2, v2, v147
	v_sub_f32_e32 v1, v217, v1
	v_sub_f32_e32 v2, v176, v2
	buffer_store_dword v1, off, s[0:3], 0 offset:120
	buffer_store_dword v2, off, s[0:3], 0 offset:124
	v_cmpx_lt_u32_e32 14, v0
	s_cbranch_execz .LBB127_369
; %bb.368:
	s_clause 0x1
	buffer_load_dword v1, off, s[0:3], 0 offset:112
	buffer_load_dword v2, off, s[0:3], 0 offset:116
	v_mov_b32_e32 v3, 0
	buffer_store_dword v3, off, s[0:3], 0 offset:112
	buffer_store_dword v3, off, s[0:3], 0 offset:116
	s_waitcnt vmcnt(0)
	ds_write_b64 v141, v[1:2]
.LBB127_369:
	s_or_b32 exec_lo, exec_lo, s4
	s_waitcnt lgkmcnt(0)
	s_waitcnt_vscnt null, 0x0
	s_barrier
	buffer_gl0_inv
	s_clause 0x33
	buffer_load_dword v11, off, s[0:3], 0 offset:124
	buffer_load_dword v12, off, s[0:3], 0 offset:132
	;; [unrolled: 1-line block ×52, first 2 shown]
	v_mov_b32_e32 v9, 0
	ds_read2_b64 v[5:8], v9 offset0:79 offset1:80
	ds_read2_b64 v[1:4], v9 offset0:81 offset1:82
	;; [unrolled: 1-line block ×3, first 2 shown]
	s_clause 0x2
	buffer_load_dword v191, off, s[0:3], 0 offset:316
	buffer_load_dword v192, off, s[0:3], 0 offset:324
	buffer_load_dword v193, off, s[0:3], 0 offset:116
	ds_read2_b64 v[198:201], v9 offset0:85 offset1:86
	s_mov_b32 s4, exec_lo
	s_waitcnt vmcnt(54) lgkmcnt(3)
	v_mul_f32_e32 v202, v5, v11
	s_waitcnt vmcnt(53)
	v_mul_f32_e32 v203, v7, v12
	v_mul_f32_e32 v11, v6, v11
	;; [unrolled: 1-line block ×3, first 2 shown]
	s_waitcnt vmcnt(50)
	v_fmac_f32_e32 v202, v6, v147
	v_fmac_f32_e32 v203, v8, v145
	v_fma_f32 v11, v5, v147, -v11
	v_fma_f32 v12, v7, v145, -v12
	ds_read2_b64 v[5:8], v9 offset0:87 offset1:88
	s_waitcnt vmcnt(49) lgkmcnt(3)
	v_mul_f32_e32 v204, v1, v142
	s_waitcnt vmcnt(48)
	v_mul_f32_e32 v205, v3, v143
	v_mul_f32_e32 v142, v2, v142
	;; [unrolled: 1-line block ×3, first 2 shown]
	s_waitcnt vmcnt(47) lgkmcnt(2)
	v_mul_f32_e32 v206, v194, v146
	v_mul_f32_e32 v145, v195, v146
	v_fmac_f32_e32 v204, v2, v10
	v_fma_f32 v10, v1, v10, -v142
	s_waitcnt vmcnt(46)
	v_mul_f32_e32 v207, v196, v144
	v_mul_f32_e32 v142, v197, v144
	s_waitcnt vmcnt(42)
	v_fmac_f32_e32 v205, v4, v153
	v_fma_f32 v153, v3, v153, -v143
	ds_read2_b64 v[1:4], v9 offset0:89 offset1:90
	v_fmac_f32_e32 v206, v195, v152
	v_fma_f32 v152, v194, v152, -v145
	v_fmac_f32_e32 v207, v197, v150
	v_fma_f32 v150, v196, v150, -v142
	ds_read2_b64 v[142:145], v9 offset0:91 offset1:92
	s_waitcnt vmcnt(41) lgkmcnt(3)
	v_mul_f32_e32 v194, v198, v151
	v_mul_f32_e32 v146, v199, v151
	s_waitcnt vmcnt(40)
	v_mul_f32_e32 v151, v200, v149
	v_mul_f32_e32 v147, v201, v149
	s_waitcnt vmcnt(39) lgkmcnt(2)
	v_mul_f32_e32 v195, v5, v154
	v_fmac_f32_e32 v194, v199, v148
	v_fma_f32 v196, v198, v148, -v146
	s_waitcnt vmcnt(38)
	v_mul_f32_e32 v197, v7, v155
	v_mul_f32_e32 v154, v6, v154
	v_mul_f32_e32 v155, v8, v155
	s_waitcnt vmcnt(34)
	v_fmac_f32_e32 v151, v201, v161
	v_fma_f32 v161, v200, v161, -v147
	ds_read2_b64 v[146:149], v9 offset0:93 offset1:94
	v_fmac_f32_e32 v195, v6, v160
	v_fmac_f32_e32 v197, v8, v158
	v_fma_f32 v154, v5, v160, -v154
	v_fma_f32 v155, v7, v158, -v155
	ds_read2_b64 v[5:8], v9 offset0:95 offset1:96
	s_waitcnt vmcnt(33) lgkmcnt(3)
	v_mul_f32_e32 v158, v1, v159
	v_mul_f32_e32 v159, v2, v159
	s_waitcnt vmcnt(32)
	v_mul_f32_e32 v160, v3, v157
	v_mul_f32_e32 v157, v4, v157
	s_waitcnt vmcnt(31) lgkmcnt(2)
	v_mul_f32_e32 v198, v142, v162
	v_fmac_f32_e32 v158, v2, v156
	v_fma_f32 v156, v1, v156, -v159
	s_waitcnt vmcnt(30)
	v_mul_f32_e32 v159, v144, v163
	v_mul_f32_e32 v163, v145, v163
	;; [unrolled: 1-line block ×3, first 2 shown]
	s_waitcnt vmcnt(26)
	v_fmac_f32_e32 v160, v4, v170
	v_fma_f32 v157, v3, v170, -v157
	v_fmac_f32_e32 v159, v145, v167
	v_fma_f32 v163, v144, v167, -v163
	s_waitcnt vmcnt(25) lgkmcnt(1)
	v_mul_f32_e32 v167, v146, v168
	v_mul_f32_e32 v168, v147, v168
	ds_read2_b64 v[1:4], v9 offset0:97 offset1:98
	v_fmac_f32_e32 v198, v143, v169
	v_fma_f32 v162, v142, v169, -v162
	s_waitcnt vmcnt(24)
	v_mul_f32_e32 v169, v148, v166
	v_mul_f32_e32 v166, v149, v166
	s_waitcnt vmcnt(23) lgkmcnt(1)
	v_mul_f32_e32 v170, v5, v171
	v_fmac_f32_e32 v167, v147, v164
	v_fma_f32 v146, v146, v164, -v168
	v_mul_f32_e32 v164, v6, v171
	ds_read2_b64 v[142:145], v9 offset0:99 offset1:100
	s_waitcnt vmcnt(22)
	v_mul_f32_e32 v147, v7, v173
	v_mul_f32_e32 v168, v8, v173
	s_waitcnt vmcnt(18)
	v_fmac_f32_e32 v169, v149, v181
	v_fma_f32 v148, v148, v181, -v166
	v_fmac_f32_e32 v170, v6, v180
	v_fma_f32 v5, v5, v180, -v164
	s_clause 0x5
	buffer_load_dword v149, off, s[0:3], 0 offset:340
	buffer_load_dword v164, off, s[0:3], 0 offset:344
	;; [unrolled: 1-line block ×6, first 2 shown]
	v_fmac_f32_e32 v147, v8, v179
	v_fma_f32 v6, v7, v179, -v168
	s_clause 0x1
	buffer_load_dword v168, off, s[0:3], 0 offset:356
	buffer_load_dword v179, off, s[0:3], 0 offset:364
	s_waitcnt vmcnt(25) lgkmcnt(1)
	v_mul_f32_e32 v181, v1, v177
	s_waitcnt vmcnt(24)
	v_mul_f32_e32 v199, v3, v178
	v_mul_f32_e32 v7, v2, v177
	;; [unrolled: 1-line block ×3, first 2 shown]
	buffer_load_dword v177, off, s[0:3], 0 offset:372
	v_fmac_f32_e32 v181, v2, v175
	s_waitcnt vmcnt(21)
	v_fmac_f32_e32 v199, v4, v189
	v_fma_f32 v175, v1, v175, -v7
	v_fma_f32 v178, v3, v189, -v8
	ds_read2_b64 v[1:4], v9 offset0:101 offset1:102
	s_waitcnt vmcnt(20) lgkmcnt(1)
	v_mul_f32_e32 v189, v142, v187
	s_waitcnt vmcnt(19)
	v_mul_f32_e32 v200, v144, v188
	v_mul_f32_e32 v7, v143, v187
	;; [unrolled: 1-line block ×3, first 2 shown]
	s_clause 0x4
	buffer_load_dword v187, off, s[0:3], 0 offset:392
	buffer_load_dword v188, off, s[0:3], 0 offset:384
	;; [unrolled: 1-line block ×5, first 2 shown]
	v_fmac_f32_e32 v189, v143, v186
	v_fmac_f32_e32 v200, v145, v185
	v_fma_f32 v186, v142, v186, -v7
	v_add_f32_e32 v7, 0, v202
	v_fma_f32 v185, v144, v185, -v8
	buffer_load_dword v202, off, s[0:3], 0 offset:388
	v_add_f32_e32 v8, 0, v11
	v_add_f32_e32 v7, v7, v203
	buffer_load_dword v203, off, s[0:3], 0 offset:396
	v_add_f32_e32 v8, v8, v12
	v_add_f32_e32 v7, v7, v204
	s_waitcnt vmcnt(25) lgkmcnt(0)
	v_mul_f32_e32 v11, v1, v184
	v_mul_f32_e32 v12, v2, v184
	s_waitcnt vmcnt(24)
	v_mul_f32_e32 v184, v3, v183
	v_mul_f32_e32 v142, v4, v183
	v_fmac_f32_e32 v11, v2, v182
	v_add_f32_e32 v2, v7, v205
	v_fma_f32 v12, v1, v182, -v12
	s_clause 0x2
	buffer_load_dword v182, off, s[0:3], 0 offset:404
	buffer_load_dword v183, off, s[0:3], 0 offset:412
	;; [unrolled: 1-line block ×3, first 2 shown]
	v_add_f32_e32 v1, v8, v10
	buffer_load_dword v205, off, s[0:3], 0 offset:436
	v_add_f32_e32 v2, v2, v206
	s_waitcnt vmcnt(23)
	v_fmac_f32_e32 v184, v4, v190
	v_fma_f32 v10, v3, v190, -v142
	s_clause 0x5
	buffer_load_dword v190, off, s[0:3], 0 offset:428
	buffer_load_dword v206, off, s[0:3], 0 offset:424
	;; [unrolled: 1-line block ×6, first 2 shown]
	v_add_f32_e32 v1, v1, v153
	v_add_f32_e32 v2, v2, v207
	s_clause 0x1
	buffer_load_dword v207, off, s[0:3], 0 offset:452
	buffer_load_dword v214, off, s[0:3], 0 offset:460
	v_add_f32_e32 v1, v1, v152
	v_add_f32_e32 v2, v2, v194
	;; [unrolled: 1-line block ×6, first 2 shown]
	s_clause 0x5
	buffer_load_dword v194, off, s[0:3], 0 offset:468
	buffer_load_dword v196, off, s[0:3], 0 offset:476
	;; [unrolled: 1-line block ×6, first 2 shown]
	v_add_f32_e32 v2, v2, v197
	s_clause 0x3
	buffer_load_dword v197, off, s[0:3], 0 offset:456
	buffer_load_dword v218, off, s[0:3], 0 offset:448
	;; [unrolled: 1-line block ×4, first 2 shown]
	v_add_f32_e32 v1, v1, v161
	v_add_f32_e32 v2, v2, v158
	;; [unrolled: 1-line block ×6, first 2 shown]
	s_clause 0x3
	buffer_load_dword v198, off, s[0:3], 0 offset:488
	buffer_load_dword v221, off, s[0:3], 0 offset:480
	;; [unrolled: 1-line block ×4, first 2 shown]
	v_add_f32_e32 v1, v1, v156
	v_add_f32_e32 v2, v2, v159
	;; [unrolled: 1-line block ×5, first 2 shown]
	s_clause 0x1
	buffer_load_dword v162, off, s[0:3], 0 offset:504
	buffer_load_dword v224, off, s[0:3], 0 offset:496
	v_add_f32_e32 v7, v2, v169
	v_add_f32_e32 v1, v1, v163
	buffer_load_dword v163, off, s[0:3], 0 offset:112
	v_add_f32_e32 v7, v7, v170
	v_add_f32_e32 v1, v1, v146
	;; [unrolled: 1-line block ×4, first 2 shown]
	ds_read2_b64 v[1:4], v9 offset0:103 offset1:104
	v_add_f32_e32 v142, v142, v181
	v_add_f32_e32 v5, v8, v5
	;; [unrolled: 1-line block ×4, first 2 shown]
	ds_read2_b64 v[5:8], v9 offset0:105 offset1:106
	v_add_f32_e32 v146, v146, v189
	v_add_f32_e32 v143, v143, v175
	;; [unrolled: 1-line block ×4, first 2 shown]
	s_waitcnt vmcnt(47) lgkmcnt(1)
	v_mul_f32_e32 v150, v1, v191
	s_waitcnt vmcnt(46)
	v_mul_f32_e32 v154, v3, v192
	v_mul_f32_e32 v144, v2, v191
	;; [unrolled: 1-line block ×3, first 2 shown]
	v_add_f32_e32 v147, v147, v186
	v_fmac_f32_e32 v150, v2, v176
	v_fmac_f32_e32 v154, v4, v174
	v_fma_f32 v151, v1, v176, -v144
	v_fma_f32 v155, v3, v174, -v145
	v_add_f32_e32 v153, v147, v185
	ds_read2_b64 v[1:4], v9 offset0:107 offset1:108
	ds_read2_b64 v[142:145], v9 offset0:109 offset1:110
	s_waitcnt lgkmcnt(2)
	v_mul_f32_e32 v158, v5, v172
	v_mul_f32_e32 v148, v6, v172
	v_add_f32_e32 v12, v153, v12
	v_add_f32_e32 v11, v152, v11
	v_fmac_f32_e32 v158, v6, v165
	v_fma_f32 v160, v5, v165, -v148
	v_add_f32_e32 v10, v12, v10
	v_add_f32_e32 v11, v11, v184
	;; [unrolled: 1-line block ×8, first 2 shown]
	s_waitcnt vmcnt(44)
	v_mul_f32_e32 v159, v7, v149
	v_mul_f32_e32 v149, v8, v149
	s_waitcnt vmcnt(42) lgkmcnt(1)
	v_mul_f32_e32 v165, v1, v166
	v_mul_f32_e32 v152, v2, v166
	s_waitcnt vmcnt(39)
	v_fmac_f32_e32 v159, v8, v180
	v_fma_f32 v161, v7, v180, -v149
	ds_read2_b64 v[5:8], v9 offset0:111 offset1:112
	ds_read2_b64 v[146:149], v9 offset0:113 offset1:114
	s_waitcnt vmcnt(37) lgkmcnt(2)
	v_mul_f32_e32 v167, v142, v179
	v_mul_f32_e32 v156, v143, v179
	;; [unrolled: 1-line block ×3, first 2 shown]
	v_fmac_f32_e32 v165, v2, v164
	v_fma_f32 v164, v1, v164, -v152
	v_fmac_f32_e32 v167, v143, v171
	v_fma_f32 v169, v142, v171, -v156
	v_add_f32_e32 v10, v10, v161
	v_mul_f32_e32 v166, v3, v168
	v_fma_f32 v168, v3, v173, -v153
	s_waitcnt vmcnt(36)
	v_mul_f32_e32 v157, v145, v177
	v_mul_f32_e32 v12, v144, v177
	v_add_f32_e32 v164, v10, v164
	v_fmac_f32_e32 v166, v4, v173
	ds_read2_b64 v[1:4], v9 offset0:115 offset1:116
	ds_read2_b64 v[150:153], v9 offset0:117 offset1:118
	s_waitcnt vmcnt(32)
	v_fma_f32 v170, v144, v208, -v157
	v_fmac_f32_e32 v12, v145, v208
	v_add_f32_e32 v164, v164, v168
	s_waitcnt vmcnt(31) lgkmcnt(3)
	v_mul_f32_e32 v171, v5, v209
	v_mul_f32_e32 v158, v6, v209
	ds_read2_b64 v[142:145], v9 offset0:119 offset1:120
	ds_read2_b64 v[154:157], v9 offset0:121 offset1:122
	s_waitcnt vmcnt(30)
	v_mul_f32_e32 v160, v8, v202
	v_add_f32_e32 v164, v164, v169
	v_fmac_f32_e32 v171, v6, v201
	v_add_f32_e32 v6, v11, v159
	v_fma_f32 v173, v5, v201, -v158
	v_mul_f32_e32 v172, v7, v202
	v_add_f32_e32 v164, v164, v170
	v_fma_f32 v174, v7, v188, -v160
	v_add_f32_e32 v165, v6, v165
	s_waitcnt vmcnt(29) lgkmcnt(4)
	v_mul_f32_e32 v175, v147, v203
	v_fmac_f32_e32 v172, v8, v188
	v_add_f32_e32 v164, v164, v173
	ds_read2_b64 v[5:8], v9 offset0:123 offset1:124
	ds_read2_b64 v[158:161], v9 offset0:125 offset1:126
	ds_read_b64 v[10:11], v9 offset:1016
	v_add_f32_e32 v165, v165, v166
	v_mul_f32_e32 v166, v146, v203
	s_waitcnt vmcnt(28)
	v_mul_f32_e32 v176, v149, v182
	v_fma_f32 v146, v146, v187, -v175
	v_add_f32_e32 v164, v164, v174
	v_add_f32_e32 v165, v165, v167
	v_mul_f32_e32 v168, v148, v182
	v_fmac_f32_e32 v166, v147, v187
	s_waitcnt vmcnt(27) lgkmcnt(6)
	v_mul_f32_e32 v167, v1, v183
	v_mul_f32_e32 v175, v2, v183
	v_add_f32_e32 v12, v165, v12
	s_waitcnt vmcnt(20)
	v_fma_f32 v148, v148, v212, -v176
	v_add_f32_e32 v146, v164, v146
	v_fmac_f32_e32 v168, v149, v212
	v_fmac_f32_e32 v167, v2, v211
	v_add_f32_e32 v12, v12, v171
	v_fma_f32 v1, v1, v211, -v175
	v_add_f32_e32 v2, v146, v148
	v_mul_f32_e32 v169, v3, v204
	s_waitcnt lgkmcnt(5)
	v_mul_f32_e32 v146, v151, v190
	v_add_f32_e32 v12, v12, v172
	v_mul_f32_e32 v172, v4, v204
	v_add_f32_e32 v1, v2, v1
	v_mul_f32_e32 v147, v150, v190
	v_fmac_f32_e32 v169, v4, v210
	v_add_f32_e32 v12, v12, v166
	v_fma_f32 v3, v3, v210, -v172
	v_mul_f32_e32 v4, v153, v205
	v_mul_f32_e32 v165, v152, v205
	v_fmac_f32_e32 v147, v151, v206
	v_add_f32_e32 v12, v12, v168
	v_add_f32_e32 v1, v1, v3
	s_waitcnt vmcnt(19) lgkmcnt(4)
	v_mul_f32_e32 v3, v143, v213
	s_waitcnt vmcnt(7)
	v_fma_f32 v4, v152, v220, -v4
	v_mul_f32_e32 v170, v142, v213
	v_add_f32_e32 v2, v12, v167
	v_fma_f32 v12, v150, v206, -v146
	v_fmac_f32_e32 v165, v153, v220
	v_fma_f32 v3, v142, v219, -v3
	v_mul_f32_e32 v149, v144, v207
	v_add_f32_e32 v2, v2, v169
	v_add_f32_e32 v1, v1, v12
	v_mul_f32_e32 v12, v145, v207
	v_fmac_f32_e32 v170, v143, v219
	s_waitcnt lgkmcnt(3)
	v_mul_f32_e32 v176, v154, v214
	v_add_f32_e32 v2, v2, v147
	v_add_f32_e32 v1, v1, v4
	v_mul_f32_e32 v4, v155, v214
	v_fma_f32 v12, v144, v218, -v12
	v_fmac_f32_e32 v149, v145, v218
	v_add_f32_e32 v2, v2, v165
	v_add_f32_e32 v1, v1, v3
	v_mul_f32_e32 v3, v157, v194
	v_fma_f32 v4, v154, v197, -v4
	v_mul_f32_e32 v171, v156, v194
	v_add_f32_e32 v2, v2, v170
	v_add_f32_e32 v1, v1, v12
	v_fmac_f32_e32 v176, v155, v197
	s_waitcnt lgkmcnt(2)
	v_mul_f32_e32 v12, v6, v196
	s_waitcnt vmcnt(3)
	v_fma_f32 v3, v156, v223, -v3
	v_add_f32_e32 v2, v2, v149
	v_add_f32_e32 v1, v1, v4
	v_mul_f32_e32 v173, v5, v196
	v_fmac_f32_e32 v171, v157, v223
	v_mul_f32_e32 v4, v8, v215
	v_add_f32_e32 v2, v2, v176
	v_fma_f32 v5, v5, v222, -v12
	v_add_f32_e32 v1, v1, v3
	v_mul_f32_e32 v177, v7, v215
	v_fmac_f32_e32 v173, v6, v222
	v_add_f32_e32 v2, v2, v171
	s_waitcnt lgkmcnt(1)
	v_mul_f32_e32 v3, v159, v216
	v_fma_f32 v4, v7, v221, -v4
	v_add_f32_e32 v1, v1, v5
	v_mul_f32_e32 v174, v158, v216
	v_fmac_f32_e32 v177, v8, v221
	v_add_f32_e32 v2, v2, v173
	v_mul_f32_e32 v5, v161, v217
	v_fma_f32 v3, v158, v198, -v3
	v_add_f32_e32 v1, v1, v4
	v_mul_f32_e32 v178, v160, v217
	v_fmac_f32_e32 v174, v159, v198
	v_add_f32_e32 v2, v2, v177
	s_waitcnt lgkmcnt(0)
	v_mul_f32_e32 v4, v11, v195
	s_waitcnt vmcnt(1)
	v_fma_f32 v5, v160, v224, -v5
	v_add_f32_e32 v1, v1, v3
	v_mul_f32_e32 v164, v10, v195
	v_fmac_f32_e32 v178, v161, v224
	v_add_f32_e32 v2, v2, v174
	v_fma_f32 v3, v10, v162, -v4
	v_add_f32_e32 v1, v1, v5
	v_fmac_f32_e32 v164, v11, v162
	v_add_f32_e32 v2, v2, v178
	v_add_f32_e32 v1, v1, v3
	;; [unrolled: 1-line block ×3, first 2 shown]
	s_waitcnt vmcnt(0)
	v_sub_f32_e32 v1, v163, v1
	v_sub_f32_e32 v2, v193, v2
	buffer_store_dword v1, off, s[0:3], 0 offset:112
	buffer_store_dword v2, off, s[0:3], 0 offset:116
	v_cmpx_lt_u32_e32 13, v0
	s_cbranch_execz .LBB127_371
; %bb.370:
	s_clause 0x1
	buffer_load_dword v1, off, s[0:3], 0 offset:104
	buffer_load_dword v2, off, s[0:3], 0 offset:108
	buffer_store_dword v9, off, s[0:3], 0 offset:104
	buffer_store_dword v9, off, s[0:3], 0 offset:108
	s_waitcnt vmcnt(0)
	ds_write_b64 v141, v[1:2]
.LBB127_371:
	s_or_b32 exec_lo, exec_lo, s4
	s_waitcnt lgkmcnt(0)
	s_waitcnt_vscnt null, 0x0
	s_barrier
	buffer_gl0_inv
	s_clause 0x35
	buffer_load_dword v1, off, s[0:3], 0 offset:116
	buffer_load_dword v3, off, s[0:3], 0 offset:124
	;; [unrolled: 1-line block ×54, first 2 shown]
	ds_read_b128 v[186:189], v9 offset:624
	ds_read_b128 v[190:193], v9 offset:640
	;; [unrolled: 1-line block ×4, first 2 shown]
	buffer_load_dword v180, off, s[0:3], 0 offset:108
	s_mov_b32 s4, exec_lo
	s_waitcnt vmcnt(54) lgkmcnt(3)
	v_mul_f32_e32 v202, v186, v1
	v_mul_f32_e32 v1, v187, v1
	s_waitcnt vmcnt(53)
	v_mul_f32_e32 v203, v188, v3
	v_mul_f32_e32 v3, v189, v3
	s_waitcnt vmcnt(52) lgkmcnt(2)
	v_mul_f32_e32 v204, v190, v5
	v_mul_f32_e32 v5, v191, v5
	s_waitcnt vmcnt(49)
	v_fma_f32 v205, v186, v7, -v1
	s_waitcnt vmcnt(48)
	v_mul_f32_e32 v1, v193, v6
	v_fmac_f32_e32 v202, v187, v7
	v_fmac_f32_e32 v203, v189, v4
	v_fma_f32 v207, v188, v4, -v3
	v_fmac_f32_e32 v204, v191, v2
	v_fma_f32 v190, v190, v2, -v5
	s_waitcnt vmcnt(44)
	v_fma_f32 v191, v192, v145, -v1
	ds_read_b128 v[1:4], v9 offset:688
	ds_read_b128 v[186:189], v9 offset:704
	v_mul_f32_e32 v206, v192, v6
	s_waitcnt vmcnt(43) lgkmcnt(3)
	v_mul_f32_e32 v192, v194, v144
	v_mul_f32_e32 v5, v195, v144
	s_waitcnt vmcnt(42)
	v_mul_f32_e32 v6, v197, v143
	s_waitcnt vmcnt(41) lgkmcnt(2)
	v_mul_f32_e32 v208, v198, v12
	v_fmac_f32_e32 v206, v193, v145
	v_mul_f32_e32 v193, v196, v143
	v_fmac_f32_e32 v192, v195, v11
	v_fma_f32 v11, v194, v11, -v5
	s_waitcnt vmcnt(40)
	v_mul_f32_e32 v194, v200, v142
	v_mul_f32_e32 v5, v199, v12
	;; [unrolled: 1-line block ×3, first 2 shown]
	v_fmac_f32_e32 v193, v197, v10
	v_fma_f32 v10, v196, v10, -v6
	v_fmac_f32_e32 v208, v199, v8
	s_waitcnt vmcnt(36)
	v_fmac_f32_e32 v194, v201, v153
	v_fma_f32 v12, v198, v8, -v5
	v_fma_f32 v153, v200, v153, -v7
	ds_read_b128 v[5:8], v9 offset:720
	ds_read_b128 v[142:145], v9 offset:736
	s_waitcnt vmcnt(35) lgkmcnt(3)
	v_mul_f32_e32 v195, v1, v152
	v_mul_f32_e32 v152, v2, v152
	s_waitcnt vmcnt(34)
	v_mul_f32_e32 v196, v3, v151
	v_mul_f32_e32 v151, v4, v151
	s_waitcnt vmcnt(33) lgkmcnt(2)
	v_mul_f32_e32 v197, v186, v149
	v_fmac_f32_e32 v195, v2, v148
	v_fma_f32 v152, v1, v148, -v152
	s_waitcnt vmcnt(32)
	v_mul_f32_e32 v198, v188, v150
	v_mul_f32_e32 v1, v187, v149
	;; [unrolled: 1-line block ×3, first 2 shown]
	v_fmac_f32_e32 v196, v4, v147
	v_fma_f32 v150, v3, v147, -v151
	v_fmac_f32_e32 v197, v187, v146
	s_waitcnt vmcnt(28)
	v_fmac_f32_e32 v198, v189, v160
	v_fma_f32 v151, v186, v146, -v1
	v_fma_f32 v160, v188, v160, -v2
	ds_read_b128 v[1:4], v9 offset:752
	ds_read_b128 v[146:149], v9 offset:768
	s_waitcnt vmcnt(27) lgkmcnt(3)
	v_mul_f32_e32 v186, v5, v159
	v_mul_f32_e32 v159, v6, v159
	s_waitcnt vmcnt(26)
	v_mul_f32_e32 v187, v7, v158
	v_mul_f32_e32 v158, v8, v158
	s_waitcnt vmcnt(25) lgkmcnt(2)
	v_mul_f32_e32 v188, v142, v157
	v_mul_f32_e32 v157, v143, v157
	v_fmac_f32_e32 v186, v6, v156
	v_fma_f32 v156, v5, v156, -v159
	s_waitcnt vmcnt(24)
	v_mul_f32_e32 v159, v144, v161
	v_mul_f32_e32 v5, v145, v161
	v_fmac_f32_e32 v187, v8, v155
	v_fma_f32 v155, v7, v155, -v158
	v_fmac_f32_e32 v188, v143, v154
	v_fma_f32 v154, v142, v154, -v157
	s_waitcnt vmcnt(20)
	v_fmac_f32_e32 v159, v145, v168
	v_fma_f32 v157, v144, v168, -v5
	ds_read_b128 v[5:8], v9 offset:784
	ds_read_b128 v[142:145], v9 offset:800
	s_waitcnt vmcnt(19) lgkmcnt(3)
	v_mul_f32_e32 v161, v2, v167
	v_mul_f32_e32 v158, v1, v167
	s_waitcnt vmcnt(18)
	v_mul_f32_e32 v167, v3, v166
	v_mul_f32_e32 v166, v4, v166
	s_waitcnt vmcnt(17) lgkmcnt(2)
	v_mul_f32_e32 v168, v146, v165
	v_fma_f32 v161, v1, v164, -v161
	s_waitcnt vmcnt(16)
	v_mul_f32_e32 v1, v149, v169
	v_mul_f32_e32 v165, v147, v165
	v_fmac_f32_e32 v158, v2, v164
	v_mul_f32_e32 v164, v148, v169
	v_fmac_f32_e32 v167, v4, v163
	v_fma_f32 v163, v3, v163, -v166
	s_clause 0x4
	buffer_load_dword v166, off, s[0:3], 0 offset:332
	buffer_load_dword v169, off, s[0:3], 0 offset:352
	;; [unrolled: 1-line block ×5, first 2 shown]
	v_fmac_f32_e32 v168, v147, v162
	s_waitcnt vmcnt(17)
	v_fma_f32 v147, v148, v177, -v1
	ds_read_b128 v[1:4], v9 offset:816
	v_fmac_f32_e32 v164, v149, v177
	v_fma_f32 v146, v146, v162, -v165
	s_waitcnt vmcnt(16) lgkmcnt(2)
	v_mul_f32_e32 v148, v5, v175
	v_mul_f32_e32 v149, v6, v175
	s_waitcnt vmcnt(15)
	v_mul_f32_e32 v162, v7, v174
	v_mul_f32_e32 v165, v8, v174
	buffer_load_dword v174, off, s[0:3], 0 offset:348
	v_fmac_f32_e32 v148, v6, v173
	v_fma_f32 v149, v5, v173, -v149
	buffer_load_dword v173, off, s[0:3], 0 offset:340
	v_fmac_f32_e32 v162, v8, v171
	v_fma_f32 v165, v7, v171, -v165
	s_waitcnt vmcnt(16) lgkmcnt(1)
	v_mul_f32_e32 v171, v142, v172
	v_mul_f32_e32 v5, v143, v172
	s_waitcnt vmcnt(15)
	v_mul_f32_e32 v6, v145, v176
	v_mul_f32_e32 v172, v144, v176
	v_fmac_f32_e32 v171, v143, v170
	v_fma_f32 v170, v142, v170, -v5
	s_waitcnt vmcnt(10)
	v_fma_f32 v175, v144, v185, -v6
	ds_read_b128 v[5:8], v9 offset:832
	s_waitcnt vmcnt(9) lgkmcnt(1)
	v_mul_f32_e32 v176, v1, v184
	v_mul_f32_e32 v142, v2, v184
	s_waitcnt vmcnt(8)
	v_mul_f32_e32 v201, v3, v183
	v_fmac_f32_e32 v172, v145, v185
	s_clause 0x2
	buffer_load_dword v177, off, s[0:3], 0 offset:356
	buffer_load_dword v184, off, s[0:3], 0 offset:364
	;; [unrolled: 1-line block ×3, first 2 shown]
	v_fmac_f32_e32 v176, v2, v182
	v_fma_f32 v182, v1, v182, -v142
	v_mul_f32_e32 v1, v4, v183
	v_fmac_f32_e32 v201, v4, v181
	v_add_f32_e32 v2, 0, v205
	s_clause 0x3
	buffer_load_dword v183, off, s[0:3], 0 offset:384
	buffer_load_dword v209, off, s[0:3], 0 offset:376
	;; [unrolled: 1-line block ×4, first 2 shown]
	v_fma_f32 v181, v3, v181, -v1
	v_add_f32_e32 v1, 0, v202
	v_add_f32_e32 v2, v2, v207
	buffer_load_dword v202, off, s[0:3], 0 offset:380
	v_add_f32_e32 v1, v1, v203
	v_add_f32_e32 v2, v2, v190
	s_waitcnt lgkmcnt(0)
	v_mul_f32_e32 v3, v6, v179
	v_add_f32_e32 v1, v1, v204
	s_clause 0x1
	buffer_load_dword v203, off, s[0:3], 0 offset:388
	buffer_load_dword v204, off, s[0:3], 0 offset:396
	v_add_f32_e32 v2, v2, v191
	v_add_f32_e32 v1, v1, v206
	;; [unrolled: 1-line block ×3, first 2 shown]
	v_fma_f32 v11, v5, v178, -v3
	v_add_f32_e32 v1, v1, v192
	s_clause 0x5
	buffer_load_dword v190, off, s[0:3], 0 offset:416
	buffer_load_dword v191, off, s[0:3], 0 offset:408
	;; [unrolled: 1-line block ×6, first 2 shown]
	v_add_f32_e32 v2, v2, v10
	v_add_f32_e32 v1, v1, v193
	buffer_load_dword v193, off, s[0:3], 0 offset:404
	v_mul_f32_e32 v10, v5, v179
	v_add_f32_e32 v2, v2, v12
	v_add_f32_e32 v1, v1, v208
	v_fmac_f32_e32 v10, v6, v178
	v_add_f32_e32 v2, v2, v153
	v_add_f32_e32 v1, v1, v194
	s_clause 0x2
	buffer_load_dword v194, off, s[0:3], 0 offset:428
	buffer_load_dword v208, off, s[0:3], 0 offset:436
	buffer_load_dword v212, off, s[0:3], 0 offset:444
	v_add_f32_e32 v2, v2, v152
	v_add_f32_e32 v1, v1, v195
	s_clause 0x2
	buffer_load_dword v195, off, s[0:3], 0 offset:452
	buffer_load_dword v213, off, s[0:3], 0 offset:460
	buffer_load_dword v214, off, s[0:3], 0 offset:468
	v_add_f32_e32 v2, v2, v150
	v_add_f32_e32 v1, v1, v196
	s_clause 0x3
	buffer_load_dword v196, off, s[0:3], 0 offset:476
	buffer_load_dword v215, off, s[0:3], 0 offset:484
	buffer_load_dword v216, off, s[0:3], 0 offset:492
	buffer_load_dword v217, off, s[0:3], 0 offset:508
	v_add_f32_e32 v2, v2, v151
	v_add_f32_e32 v1, v1, v197
	buffer_load_dword v197, off, s[0:3], 0 offset:500
	v_add_f32_e32 v2, v2, v160
	v_add_f32_e32 v1, v1, v198
	;; [unrolled: 1-line block ×4, first 2 shown]
	s_clause 0x3
	buffer_load_dword v186, off, s[0:3], 0 offset:448
	buffer_load_dword v198, off, s[0:3], 0 offset:440
	;; [unrolled: 1-line block ×4, first 2 shown]
	v_add_f32_e32 v2, v2, v155
	v_add_f32_e32 v1, v1, v187
	;; [unrolled: 1-line block ×4, first 2 shown]
	s_clause 0x7
	buffer_load_dword v187, off, s[0:3], 0 offset:480
	buffer_load_dword v188, off, s[0:3], 0 offset:472
	;; [unrolled: 1-line block ×8, first 2 shown]
	v_add_f32_e32 v2, v2, v157
	v_add_f32_e32 v1, v1, v159
	;; [unrolled: 1-line block ×8, first 2 shown]
	ds_read_b128 v[1:4], v9 offset:848
	v_add_f32_e32 v12, v5, v147
	v_add_f32_e32 v142, v6, v164
	;; [unrolled: 1-line block ×4, first 2 shown]
	ds_read_b128 v[142:145], v9 offset:880
	v_add_f32_e32 v12, v12, v165
	v_add_f32_e32 v146, v146, v162
	;; [unrolled: 1-line block ×3, first 2 shown]
	s_waitcnt vmcnt(46)
	v_mul_f32_e32 v158, v7, v166
	v_mul_f32_e32 v5, v8, v166
	s_waitcnt vmcnt(42)
	v_fmac_f32_e32 v158, v8, v200
	v_fma_f32 v159, v7, v200, -v5
	ds_read_b128 v[5:8], v9 offset:864
	s_waitcnt vmcnt(41) lgkmcnt(2)
	v_mul_f32_e32 v150, v4, v174
	s_waitcnt vmcnt(40)
	v_mul_f32_e32 v147, v2, v173
	v_mul_f32_e32 v160, v1, v173
	v_fma_f32 v165, v3, v189, -v150
	v_fma_f32 v161, v1, v199, -v147
	v_add_f32_e32 v1, v146, v171
	v_fmac_f32_e32 v160, v2, v199
	v_add_f32_e32 v2, v12, v175
	ds_read_b128 v[146:149], v9 offset:896
	v_mul_f32_e32 v12, v3, v174
	v_add_f32_e32 v1, v1, v172
	v_add_f32_e32 v2, v2, v182
	s_waitcnt vmcnt(39) lgkmcnt(1)
	v_mul_f32_e32 v151, v6, v177
	v_mul_f32_e32 v162, v5, v177
	v_add_f32_e32 v1, v1, v176
	s_waitcnt vmcnt(37)
	v_mul_f32_e32 v164, v142, v185
	v_fmac_f32_e32 v12, v4, v189
	v_fma_f32 v166, v5, v169, -v151
	v_add_f32_e32 v5, v2, v181
	v_fmac_f32_e32 v162, v6, v169
	v_add_f32_e32 v6, v1, v201
	v_mul_f32_e32 v154, v8, v184
	v_mul_f32_e32 v155, v143, v185
	v_add_f32_e32 v11, v5, v11
	s_waitcnt vmcnt(34)
	v_fmac_f32_e32 v164, v143, v210
	v_add_f32_e32 v10, v6, v10
	v_mul_f32_e32 v163, v7, v184
	s_waitcnt vmcnt(33)
	v_fma_f32 v167, v7, v211, -v154
	v_add_f32_e32 v11, v11, v159
	ds_read_b128 v[1:4], v9 offset:912
	ds_read_b128 v[150:153], v9 offset:928
	v_add_f32_e32 v10, v10, v158
	v_fmac_f32_e32 v163, v8, v211
	v_fma_f32 v168, v142, v210, -v155
	s_waitcnt vmcnt(31) lgkmcnt(2)
	v_mul_f32_e32 v170, v146, v203
	v_add_f32_e32 v11, v11, v161
	s_waitcnt vmcnt(30)
	v_mul_f32_e32 v171, v148, v204
	v_add_f32_e32 v10, v10, v160
	v_mul_f32_e32 v143, v147, v203
	v_fmac_f32_e32 v170, v147, v183
	v_add_f32_e32 v147, v11, v165
	v_mul_f32_e32 v172, v149, v204
	v_mul_f32_e32 v142, v145, v202
	;; [unrolled: 1-line block ×3, first 2 shown]
	v_fma_f32 v146, v146, v183, -v143
	s_waitcnt vmcnt(26)
	v_fmac_f32_e32 v171, v149, v205
	v_add_f32_e32 v149, v10, v12
	v_add_f32_e32 v147, v147, v166
	v_fma_f32 v173, v144, v209, -v142
	v_fmac_f32_e32 v169, v145, v209
	v_fma_f32 v148, v148, v205, -v172
	v_add_f32_e32 v149, v149, v162
	v_add_f32_e32 v147, v147, v167
	s_waitcnt vmcnt(23) lgkmcnt(1)
	v_mul_f32_e32 v166, v2, v193
	ds_read_b128 v[5:8], v9 offset:944
	ds_read_b128 v[154:157], v9 offset:960
	v_mul_f32_e32 v165, v1, v193
	v_add_f32_e32 v149, v149, v163
	v_add_f32_e32 v147, v147, v168
	v_mul_f32_e32 v172, v4, v206
	v_fma_f32 v1, v1, v192, -v166
	v_mul_f32_e32 v162, v3, v206
	v_add_f32_e32 v149, v149, v164
	v_add_f32_e32 v147, v147, v173
	v_fmac_f32_e32 v165, v2, v192
	v_fma_f32 v3, v3, v191, -v172
	s_waitcnt lgkmcnt(2)
	v_mul_f32_e32 v167, v150, v207
	v_add_f32_e32 v149, v149, v169
	v_add_f32_e32 v146, v147, v146
	v_fmac_f32_e32 v162, v4, v191
	s_waitcnt vmcnt(22)
	v_mul_f32_e32 v163, v152, v194
	v_fmac_f32_e32 v167, v151, v190
	v_add_f32_e32 v149, v149, v170
	v_add_f32_e32 v146, v146, v148
	ds_read_b128 v[142:145], v9 offset:976
	ds_read_b128 v[158:161], v9 offset:992
	s_waitcnt vmcnt(21) lgkmcnt(3)
	v_mul_f32_e32 v174, v5, v208
	s_waitcnt vmcnt(20)
	v_mul_f32_e32 v168, v7, v212
	v_add_f32_e32 v148, v149, v171
	v_mul_f32_e32 v149, v151, v207
	v_add_f32_e32 v1, v146, v1
	v_mul_f32_e32 v146, v153, v194
	s_waitcnt vmcnt(19) lgkmcnt(2)
	v_mul_f32_e32 v164, v154, v195
	v_add_f32_e32 v4, v148, v165
	v_fma_f32 v148, v150, v190, -v149
	v_add_f32_e32 v1, v1, v3
	s_waitcnt vmcnt(9)
	v_fmac_f32_e32 v174, v6, v218
	s_waitcnt vmcnt(8)
	v_fma_f32 v146, v152, v219, -v146
	v_add_f32_e32 v3, v4, v162
	v_mul_f32_e32 v4, v6, v208
	v_add_f32_e32 v1, v1, v148
	v_fmac_f32_e32 v163, v153, v219
	v_mul_f32_e32 v148, v8, v212
	v_add_f32_e32 v3, v3, v167
	v_fma_f32 v4, v5, v218, -v4
	v_add_f32_e32 v1, v1, v146
	v_mul_f32_e32 v5, v155, v195
	v_fma_f32 v6, v7, v198, -v148
	v_add_f32_e32 v3, v3, v163
	v_fmac_f32_e32 v168, v8, v198
	v_add_f32_e32 v1, v1, v4
	v_mul_f32_e32 v4, v157, v213
	v_fma_f32 v5, v154, v186, -v5
	v_add_f32_e32 v3, v3, v174
	v_mul_f32_e32 v175, v156, v213
	v_add_f32_e32 v1, v1, v6
	v_fmac_f32_e32 v164, v155, v186
	ds_read_b128 v[9:12], v9 offset:1008
	v_add_f32_e32 v3, v3, v168
	s_waitcnt lgkmcnt(2)
	v_mul_f32_e32 v6, v143, v214
	s_waitcnt vmcnt(4)
	v_fma_f32 v4, v156, v221, -v4
	v_add_f32_e32 v1, v1, v5
	v_mul_f32_e32 v173, v142, v214
	v_fmac_f32_e32 v175, v157, v221
	v_add_f32_e32 v3, v3, v164
	v_mul_f32_e32 v5, v145, v196
	v_fma_f32 v6, v142, v220, -v6
	v_add_f32_e32 v1, v1, v4
	v_mul_f32_e32 v169, v144, v196
	v_fmac_f32_e32 v173, v143, v220
	v_add_f32_e32 v3, v3, v175
	s_waitcnt lgkmcnt(1)
	v_mul_f32_e32 v4, v159, v215
	v_fma_f32 v5, v144, v188, -v5
	v_add_f32_e32 v1, v1, v6
	v_mul_f32_e32 v176, v158, v215
	v_fmac_f32_e32 v169, v145, v188
	v_add_f32_e32 v3, v3, v173
	v_mul_f32_e32 v6, v161, v216
	v_fma_f32 v4, v158, v187, -v4
	v_add_f32_e32 v1, v1, v5
	v_mul_f32_e32 v147, v160, v216
	v_fmac_f32_e32 v176, v159, v187
	v_add_f32_e32 v3, v3, v169
	s_waitcnt lgkmcnt(0)
	v_mul_f32_e32 v5, v10, v197
	s_waitcnt vmcnt(1)
	v_fma_f32 v6, v160, v224, -v6
	v_add_f32_e32 v1, v1, v4
	v_mul_f32_e32 v170, v9, v197
	v_fmac_f32_e32 v147, v161, v224
	v_add_f32_e32 v3, v3, v176
	v_mul_f32_e32 v4, v12, v217
	v_fma_f32 v5, v9, v223, -v5
	v_add_f32_e32 v1, v1, v6
	v_mul_f32_e32 v2, v11, v217
	v_fmac_f32_e32 v170, v10, v223
	v_add_f32_e32 v3, v3, v147
	v_fma_f32 v4, v11, v222, -v4
	v_add_f32_e32 v1, v1, v5
	v_fmac_f32_e32 v2, v12, v222
	v_add_f32_e32 v3, v3, v170
	v_add_f32_e32 v1, v1, v4
	;; [unrolled: 1-line block ×3, first 2 shown]
	s_waitcnt vmcnt(0)
	v_sub_f32_e32 v1, v225, v1
	v_sub_f32_e32 v2, v180, v2
	buffer_store_dword v1, off, s[0:3], 0 offset:104
	buffer_store_dword v2, off, s[0:3], 0 offset:108
	v_cmpx_lt_u32_e32 12, v0
	s_cbranch_execz .LBB127_373
; %bb.372:
	s_clause 0x1
	buffer_load_dword v1, off, s[0:3], 0 offset:96
	buffer_load_dword v2, off, s[0:3], 0 offset:100
	v_mov_b32_e32 v3, 0
	buffer_store_dword v3, off, s[0:3], 0 offset:96
	buffer_store_dword v3, off, s[0:3], 0 offset:100
	s_waitcnt vmcnt(0)
	ds_write_b64 v141, v[1:2]
.LBB127_373:
	s_or_b32 exec_lo, exec_lo, s4
	s_waitcnt lgkmcnt(0)
	s_waitcnt_vscnt null, 0x0
	s_barrier
	buffer_gl0_inv
	s_clause 0x34
	buffer_load_dword v2, off, s[0:3], 0 offset:108
	buffer_load_dword v3, off, s[0:3], 0 offset:116
	;; [unrolled: 1-line block ×53, first 2 shown]
	v_mov_b32_e32 v1, 0
	ds_read2_b64 v[180:183], v1 offset0:77 offset1:78
	ds_read2_b64 v[184:187], v1 offset0:79 offset1:80
	s_clause 0x1
	buffer_load_dword v179, off, s[0:3], 0 offset:316
	buffer_load_dword v201, off, s[0:3], 0 offset:100
	ds_read2_b64 v[188:191], v1 offset0:81 offset1:82
	ds_read2_b64 v[192:195], v1 offset0:83 offset1:84
	s_mov_b32 s4, exec_lo
	s_waitcnt vmcnt(54) lgkmcnt(3)
	v_mul_f32_e32 v202, v180, v2
	v_mul_f32_e32 v2, v181, v2
	s_waitcnt vmcnt(53)
	v_mul_f32_e32 v203, v182, v3
	v_mul_f32_e32 v3, v183, v3
	s_waitcnt vmcnt(52) lgkmcnt(2)
	v_mul_f32_e32 v204, v184, v5
	v_mul_f32_e32 v5, v185, v5
	s_waitcnt vmcnt(49)
	v_fmac_f32_e32 v202, v181, v163
	v_fma_f32 v2, v180, v163, -v2
	s_waitcnt vmcnt(48)
	v_mul_f32_e32 v163, v186, v161
	v_mul_f32_e32 v161, v187, v161
	v_fmac_f32_e32 v203, v183, v158
	v_fma_f32 v3, v182, v158, -v3
	v_fmac_f32_e32 v204, v185, v153
	v_fma_f32 v5, v184, v153, -v5
	s_waitcnt vmcnt(44)
	v_fmac_f32_e32 v163, v187, v177
	v_fma_f32 v177, v186, v177, -v161
	ds_read2_b64 v[180:183], v1 offset0:85 offset1:86
	ds_read2_b64 v[184:187], v1 offset0:87 offset1:88
	s_waitcnt vmcnt(43) lgkmcnt(3)
	v_mul_f32_e32 v205, v188, v175
	v_mul_f32_e32 v153, v189, v175
	s_waitcnt vmcnt(41) lgkmcnt(2)
	v_mul_f32_e32 v207, v192, v173
	v_mul_f32_e32 v206, v190, v174
	;; [unrolled: 1-line block ×3, first 2 shown]
	v_fmac_f32_e32 v205, v189, v164
	v_fma_f32 v164, v188, v164, -v153
	s_waitcnt vmcnt(40)
	v_mul_f32_e32 v153, v195, v168
	v_mul_f32_e32 v208, v194, v168
	;; [unrolled: 1-line block ×3, first 2 shown]
	v_fmac_f32_e32 v207, v193, v154
	v_fmac_f32_e32 v206, v191, v159
	s_waitcnt vmcnt(36)
	v_fma_f32 v193, v194, v176, -v153
	v_fma_f32 v209, v190, v159, -v158
	v_fmac_f32_e32 v208, v195, v176
	ds_read2_b64 v[173:176], v1 offset0:89 offset1:90
	ds_read2_b64 v[188:191], v1 offset0:91 offset1:92
	v_fma_f32 v192, v192, v154, -v161
	v_add_f32_e32 v2, 0, v2
	s_waitcnt vmcnt(35) lgkmcnt(3)
	v_mul_f32_e32 v194, v180, v172
	v_mul_f32_e32 v153, v181, v172
	s_waitcnt vmcnt(34)
	v_mul_f32_e32 v172, v182, v170
	v_mul_f32_e32 v154, v183, v170
	s_waitcnt vmcnt(33) lgkmcnt(2)
	v_mul_f32_e32 v158, v185, v169
	v_fmac_f32_e32 v194, v181, v160
	v_fma_f32 v180, v180, v160, -v153
	s_waitcnt vmcnt(32)
	v_mul_f32_e32 v181, v186, v165
	v_mul_f32_e32 v153, v187, v165
	;; [unrolled: 1-line block ×3, first 2 shown]
	v_fmac_f32_e32 v172, v183, v155
	v_fma_f32 v165, v182, v155, -v154
	v_fma_f32 v182, v184, v149, -v158
	s_waitcnt vmcnt(28)
	v_fmac_f32_e32 v181, v187, v171
	v_fma_f32 v183, v186, v171, -v153
	ds_read2_b64 v[158:161], v1 offset0:93 offset1:94
	ds_read2_b64 v[168:171], v1 offset0:95 offset1:96
	v_fmac_f32_e32 v195, v185, v149
	s_waitcnt vmcnt(27) lgkmcnt(3)
	v_mul_f32_e32 v184, v173, v167
	v_mul_f32_e32 v149, v174, v167
	s_waitcnt vmcnt(26)
	v_mul_f32_e32 v167, v175, v166
	v_mul_f32_e32 v153, v176, v166
	s_waitcnt vmcnt(25) lgkmcnt(2)
	v_mul_f32_e32 v166, v188, v162
	v_mul_f32_e32 v154, v189, v162
	v_fmac_f32_e32 v184, v174, v156
	v_fma_f32 v156, v173, v156, -v149
	v_fmac_f32_e32 v167, v176, v151
	v_fma_f32 v162, v175, v151, -v153
	s_clause 0x4
	buffer_load_dword v173, off, s[0:3], 0 offset:324
	buffer_load_dword v174, off, s[0:3], 0 offset:344
	;; [unrolled: 1-line block ×5, first 2 shown]
	s_waitcnt vmcnt(29)
	v_mul_f32_e32 v186, v190, v150
	v_mul_f32_e32 v149, v191, v150
	v_fmac_f32_e32 v166, v189, v11
	v_fma_f32 v187, v188, v11, -v154
	v_add_f32_e32 v2, v2, v3
	s_waitcnt vmcnt(24)
	v_fmac_f32_e32 v186, v191, v157
	s_waitcnt lgkmcnt(1)
	v_mul_f32_e32 v188, v158, v148
	v_mul_f32_e32 v11, v159, v148
	v_fma_f32 v157, v190, v157, -v149
	ds_read2_b64 v[148:151], v1 offset0:97 offset1:98
	s_waitcnt vmcnt(23)
	v_mul_f32_e32 v189, v160, v152
	v_fmac_f32_e32 v188, v159, v147
	v_fma_f32 v147, v158, v147, -v11
	buffer_load_dword v158, off, s[0:3], 0 offset:332
	v_mul_f32_e32 v152, v161, v152
	v_fmac_f32_e32 v189, v161, v143
	s_waitcnt vmcnt(23) lgkmcnt(1)
	v_mul_f32_e32 v159, v168, v145
	v_mul_f32_e32 v11, v169, v145
	s_waitcnt vmcnt(22)
	v_mul_f32_e32 v145, v170, v142
	v_fma_f32 v143, v160, v143, -v152
	s_clause 0x1
	buffer_load_dword v160, off, s[0:3], 0 offset:340
	buffer_load_dword v161, off, s[0:3], 0 offset:348
	v_mul_f32_e32 v142, v171, v142
	v_fmac_f32_e32 v159, v169, v9
	v_fma_f32 v168, v168, v9, -v11
	s_clause 0x1
	buffer_load_dword v169, off, s[0:3], 0 offset:356
	buffer_load_dword v190, off, s[0:3], 0 offset:364
	ds_read2_b64 v[152:155], v1 offset0:99 offset1:100
	v_add_f32_e32 v11, 0, v202
	s_waitcnt vmcnt(22)
	v_fmac_f32_e32 v145, v171, v146
	v_fma_f32 v142, v170, v146, -v142
	s_waitcnt vmcnt(21) lgkmcnt(1)
	v_mul_f32_e32 v9, v149, v144
	s_waitcnt vmcnt(20)
	v_mul_f32_e32 v3, v151, v12
	v_mul_f32_e32 v146, v148, v144
	;; [unrolled: 1-line block ×3, first 2 shown]
	v_add_f32_e32 v2, v2, v5
	v_fma_f32 v12, v148, v10, -v9
	v_fma_f32 v148, v150, v8, -v3
	v_add_f32_e32 v3, v11, v203
	s_clause 0x3
	buffer_load_dword v170, off, s[0:3], 0 offset:376
	buffer_load_dword v171, off, s[0:3], 0 offset:368
	;; [unrolled: 1-line block ×4, first 2 shown]
	v_add_f32_e32 v2, v2, v177
	v_fmac_f32_e32 v146, v149, v10
	v_fmac_f32_e32 v144, v151, v8
	v_add_f32_e32 v3, v3, v204
	s_clause 0x2
	buffer_load_dword v177, off, s[0:3], 0 offset:372
	buffer_load_dword v203, off, s[0:3], 0 offset:380
	;; [unrolled: 1-line block ×3, first 2 shown]
	v_add_f32_e32 v2, v2, v164
	ds_read2_b64 v[8:11], v1 offset0:101 offset1:102
	s_waitcnt vmcnt(26) lgkmcnt(1)
	v_mul_f32_e32 v5, v153, v7
	v_add_f32_e32 v3, v3, v163
	s_waitcnt vmcnt(25)
	v_mul_f32_e32 v150, v154, v6
	v_mul_f32_e32 v6, v155, v6
	v_add_f32_e32 v2, v2, v209
	v_mul_f32_e32 v149, v152, v7
	v_add_f32_e32 v3, v3, v205
	v_fma_f32 v151, v152, v4, -v5
	s_waitcnt vmcnt(21)
	v_fma_f32 v152, v154, v198, -v6
	v_add_f32_e32 v6, v2, v192
	v_fmac_f32_e32 v150, v155, v198
	v_add_f32_e32 v3, v3, v206
	s_clause 0x4
	buffer_load_dword v163, off, s[0:3], 0 offset:408
	buffer_load_dword v164, off, s[0:3], 0 offset:400
	buffer_load_dword v192, off, s[0:3], 0 offset:392
	buffer_load_dword v198, off, s[0:3], 0 offset:384
	buffer_load_dword v205, off, s[0:3], 0 offset:396
	v_fmac_f32_e32 v149, v153, v4
	v_add_f32_e32 v6, v6, v193
	v_add_f32_e32 v7, v3, v207
	ds_read2_b64 v[2:5], v1 offset0:103 offset1:104
	v_add_f32_e32 v6, v6, v180
	s_waitcnt vmcnt(25) lgkmcnt(1)
	v_mul_f32_e32 v153, v8, v199
	v_add_f32_e32 v7, v7, v208
	v_mul_f32_e32 v154, v9, v199
	s_clause 0x1
	buffer_load_dword v193, off, s[0:3], 0 offset:404
	buffer_load_dword v199, off, s[0:3], 0 offset:412
	v_add_f32_e32 v6, v6, v165
	buffer_load_dword v180, off, s[0:3], 0 offset:420
	v_add_f32_e32 v7, v7, v194
	v_fma_f32 v154, v8, v197, -v154
	s_waitcnt vmcnt(27)
	v_mul_f32_e32 v155, v10, v200
	v_add_f32_e32 v6, v6, v182
	v_mul_f32_e32 v8, v11, v200
	v_add_f32_e32 v7, v7, v172
	v_fmac_f32_e32 v153, v9, v197
	s_clause 0x1
	buffer_load_dword v165, off, s[0:3], 0 offset:428
	buffer_load_dword v194, off, s[0:3], 0 offset:436
	v_add_f32_e32 v6, v6, v183
	buffer_load_dword v172, off, s[0:3], 0 offset:444
	v_add_f32_e32 v7, v7, v195
	v_fmac_f32_e32 v155, v11, v196
	v_fma_f32 v10, v10, v196, -v8
	v_add_f32_e32 v6, v6, v156
	s_clause 0x1
	buffer_load_dword v182, off, s[0:3], 0 offset:452
	buffer_load_dword v196, off, s[0:3], 0 offset:460
	v_add_f32_e32 v7, v7, v181
	s_clause 0x5
	buffer_load_dword v183, off, s[0:3], 0 offset:468
	buffer_load_dword v195, off, s[0:3], 0 offset:476
	;; [unrolled: 1-line block ×6, first 2 shown]
	v_add_f32_e32 v6, v6, v162
	s_waitcnt vmcnt(37) lgkmcnt(0)
	v_mul_f32_e32 v11, v2, v179
	v_add_f32_e32 v7, v7, v184
	s_clause 0x3
	buffer_load_dword v162, off, s[0:3], 0 offset:440
	buffer_load_dword v184, off, s[0:3], 0 offset:432
	;; [unrolled: 1-line block ×4, first 2 shown]
	v_mul_f32_e32 v8, v3, v179
	v_add_f32_e32 v6, v6, v187
	v_fmac_f32_e32 v11, v3, v178
	v_add_f32_e32 v7, v7, v167
	v_fma_f32 v156, v2, v178, -v8
	v_add_f32_e32 v6, v6, v157
	v_add_f32_e32 v7, v7, v166
	s_clause 0x3
	buffer_load_dword v166, off, s[0:3], 0 offset:472
	buffer_load_dword v167, off, s[0:3], 0 offset:464
	;; [unrolled: 1-line block ×4, first 2 shown]
	v_add_f32_e32 v6, v6, v147
	v_add_f32_e32 v7, v7, v186
	;; [unrolled: 1-line block ×4, first 2 shown]
	s_clause 0x3
	buffer_load_dword v186, off, s[0:3], 0 offset:504
	buffer_load_dword v188, off, s[0:3], 0 offset:496
	;; [unrolled: 1-line block ×4, first 2 shown]
	v_add_f32_e32 v6, v6, v168
	v_add_f32_e32 v7, v7, v189
	buffer_load_dword v189, off, s[0:3], 0 offset:96
	v_add_f32_e32 v2, v6, v142
	v_add_f32_e32 v7, v7, v159
	;; [unrolled: 1-line block ×4, first 2 shown]
	ds_read2_b64 v[6:9], v1 offset0:105 offset1:106
	v_add_f32_e32 v12, v12, v148
	v_add_f32_e32 v142, v3, v146
	;; [unrolled: 1-line block ×4, first 2 shown]
	ds_read2_b64 v[142:145], v1 offset0:109 offset1:110
	v_add_f32_e32 v12, v12, v152
	v_add_f32_e32 v146, v146, v149
	s_waitcnt vmcnt(48)
	v_mul_f32_e32 v157, v4, v173
	v_mul_f32_e32 v2, v5, v173
	s_waitcnt vmcnt(44)
	v_fmac_f32_e32 v157, v5, v185
	v_fma_f32 v159, v4, v185, -v2
	ds_read2_b64 v[2:5], v1 offset0:107 offset1:108
	s_waitcnt vmcnt(43) lgkmcnt(2)
	v_mul_f32_e32 v147, v7, v158
	v_mul_f32_e32 v168, v6, v158
	v_fma_f32 v158, v6, v176, -v147
	v_add_f32_e32 v6, v146, v150
	v_fmac_f32_e32 v168, v7, v176
	v_add_f32_e32 v7, v12, v154
	s_waitcnt vmcnt(41) lgkmcnt(0)
	v_mul_f32_e32 v151, v3, v161
	v_mul_f32_e32 v173, v2, v161
	v_add_f32_e32 v6, v6, v153
	ds_read2_b64 v[146:149], v1 offset0:111 offset1:112
	v_add_f32_e32 v7, v7, v10
	s_waitcnt vmcnt(40)
	v_mul_f32_e32 v10, v5, v169
	v_fma_f32 v161, v2, v174, -v151
	v_add_f32_e32 v6, v6, v155
	v_mul_f32_e32 v12, v8, v160
	v_add_f32_e32 v2, v7, v156
	v_mul_f32_e32 v150, v9, v160
	v_fmac_f32_e32 v173, v3, v174
	v_add_f32_e32 v3, v6, v11
	s_waitcnt vmcnt(39)
	v_mul_f32_e32 v11, v143, v190
	v_fmac_f32_e32 v12, v9, v175
	s_waitcnt vmcnt(35)
	v_fma_f32 v174, v4, v202, -v10
	v_add_f32_e32 v10, v2, v159
	v_fma_f32 v160, v8, v175, -v150
	v_fma_f32 v175, v142, v191, -v11
	v_add_f32_e32 v11, v3, v157
	v_mul_f32_e32 v176, v4, v169
	v_add_f32_e32 v10, v10, v158
	v_mul_f32_e32 v169, v142, v190
	ds_read2_b64 v[6:9], v1 offset0:113 offset1:114
	ds_read2_b64 v[150:153], v1 offset0:115 offset1:116
	v_add_f32_e32 v11, v11, v168
	v_fmac_f32_e32 v176, v5, v202
	v_add_f32_e32 v10, v10, v160
	s_waitcnt vmcnt(34)
	v_mul_f32_e32 v178, v144, v177
	v_mul_f32_e32 v142, v145, v177
	v_add_f32_e32 v11, v11, v12
	v_fmac_f32_e32 v169, v143, v191
	v_add_f32_e32 v12, v10, v161
	s_waitcnt vmcnt(33) lgkmcnt(2)
	v_mul_f32_e32 v168, v146, v203
	v_mul_f32_e32 v143, v147, v203
	v_add_f32_e32 v173, v11, v173
	v_fmac_f32_e32 v178, v145, v171
	v_add_f32_e32 v12, v12, v174
	v_fma_f32 v171, v144, v171, -v142
	s_waitcnt vmcnt(32)
	v_mul_f32_e32 v179, v149, v204
	v_add_f32_e32 v173, v173, v176
	v_fmac_f32_e32 v168, v147, v170
	v_add_f32_e32 v12, v12, v175
	v_fma_f32 v170, v146, v170, -v143
	v_mul_f32_e32 v177, v148, v204
	v_add_f32_e32 v169, v173, v169
	s_waitcnt vmcnt(28)
	v_fma_f32 v179, v148, v198, -v179
	v_add_f32_e32 v12, v12, v171
	s_waitcnt vmcnt(27) lgkmcnt(1)
	v_mul_f32_e32 v185, v7, v205
	ds_read2_b64 v[2:5], v1 offset0:117 offset1:118
	ds_read2_b64 v[154:157], v1 offset0:119 offset1:120
	v_add_f32_e32 v169, v169, v178
	v_fmac_f32_e32 v177, v149, v198
	v_add_f32_e32 v12, v12, v170
	v_mul_f32_e32 v174, v6, v205
	s_waitcnt vmcnt(26)
	v_mul_f32_e32 v190, v9, v193
	v_add_f32_e32 v168, v169, v168
	v_fma_f32 v6, v6, v192, -v185
	v_add_f32_e32 v12, v12, v179
	v_mul_f32_e32 v176, v8, v193
	v_fmac_f32_e32 v174, v7, v192
	v_add_f32_e32 v168, v168, v177
	s_waitcnt vmcnt(25) lgkmcnt(2)
	v_mul_f32_e32 v185, v151, v199
	v_fma_f32 v8, v8, v164, -v190
	v_add_f32_e32 v6, v12, v6
	v_mul_f32_e32 v175, v150, v199
	v_fmac_f32_e32 v176, v9, v164
	v_add_f32_e32 v12, v168, v174
	s_waitcnt vmcnt(24)
	v_mul_f32_e32 v177, v153, v180
	v_fma_f32 v150, v150, v163, -v185
	v_add_f32_e32 v6, v6, v8
	v_mul_f32_e32 v173, v152, v180
	v_fmac_f32_e32 v175, v151, v163
	v_add_f32_e32 v8, v12, v176
	s_waitcnt vmcnt(23) lgkmcnt(1)
	v_mul_f32_e32 v7, v2, v165
	v_mul_f32_e32 v12, v3, v165
	s_waitcnt vmcnt(9)
	v_fma_f32 v151, v152, v208, -v177
	v_add_f32_e32 v6, v6, v150
	ds_read2_b64 v[142:145], v1 offset0:121 offset1:122
	ds_read2_b64 v[158:161], v1 offset0:123 offset1:124
	v_fmac_f32_e32 v173, v153, v208
	v_add_f32_e32 v8, v8, v175
	v_mul_f32_e32 v150, v5, v194
	v_fmac_f32_e32 v7, v3, v207
	v_fma_f32 v2, v2, v207, -v12
	v_add_f32_e32 v3, v6, v151
	v_mul_f32_e32 v171, v4, v194
	v_add_f32_e32 v6, v8, v173
	s_waitcnt lgkmcnt(2)
	v_mul_f32_e32 v8, v155, v172
	v_fma_f32 v4, v4, v184, -v150
	v_add_f32_e32 v2, v3, v2
	v_mul_f32_e32 v178, v154, v172
	v_fmac_f32_e32 v171, v5, v184
	v_add_f32_e32 v3, v6, v7
	v_mul_f32_e32 v5, v157, v182
	v_fma_f32 v6, v154, v162, -v8
	v_add_f32_e32 v2, v2, v4
	v_mul_f32_e32 v9, v156, v182
	v_fmac_f32_e32 v178, v155, v162
	v_add_f32_e32 v3, v3, v171
	s_waitcnt lgkmcnt(1)
	v_mul_f32_e32 v4, v143, v196
	s_waitcnt vmcnt(5)
	v_fma_f32 v5, v156, v209, -v5
	v_add_f32_e32 v2, v2, v6
	ds_read2_b64 v[146:149], v1 offset0:125 offset1:126
	ds_read_b64 v[10:11], v1 offset:1016
	v_mul_f32_e32 v164, v142, v196
	v_fmac_f32_e32 v9, v157, v209
	v_add_f32_e32 v3, v3, v178
	v_mul_f32_e32 v6, v145, v183
	v_fma_f32 v4, v142, v187, -v4
	v_add_f32_e32 v2, v2, v5
	v_mul_f32_e32 v169, v144, v183
	v_fmac_f32_e32 v164, v143, v187
	v_add_f32_e32 v3, v3, v9
	s_waitcnt lgkmcnt(2)
	v_mul_f32_e32 v5, v159, v195
	v_fma_f32 v6, v144, v167, -v6
	v_add_f32_e32 v2, v2, v4
	v_mul_f32_e32 v170, v158, v195
	v_fmac_f32_e32 v169, v145, v167
	v_add_f32_e32 v3, v3, v164
	v_mul_f32_e32 v4, v161, v197
	v_fma_f32 v5, v158, v166, -v5
	v_add_f32_e32 v2, v2, v6
	v_mul_f32_e32 v190, v160, v197
	v_fmac_f32_e32 v170, v159, v166
	v_add_f32_e32 v3, v3, v169
	s_waitcnt lgkmcnt(1)
	v_mul_f32_e32 v6, v147, v181
	s_waitcnt vmcnt(1)
	v_fma_f32 v4, v160, v211, -v4
	v_add_f32_e32 v2, v2, v5
	v_mul_f32_e32 v179, v146, v181
	v_fmac_f32_e32 v190, v161, v211
	v_add_f32_e32 v3, v3, v170
	v_mul_f32_e32 v5, v149, v200
	v_fma_f32 v6, v146, v210, -v6
	v_add_f32_e32 v2, v2, v4
	v_mul_f32_e32 v180, v148, v200
	v_fmac_f32_e32 v179, v147, v210
	v_add_f32_e32 v3, v3, v190
	s_waitcnt lgkmcnt(0)
	v_mul_f32_e32 v4, v11, v206
	v_fma_f32 v5, v148, v188, -v5
	v_add_f32_e32 v2, v2, v6
	v_mul_f32_e32 v168, v10, v206
	v_fmac_f32_e32 v180, v149, v188
	v_add_f32_e32 v3, v3, v179
	v_fma_f32 v4, v10, v186, -v4
	v_add_f32_e32 v2, v2, v5
	v_fmac_f32_e32 v168, v11, v186
	v_add_f32_e32 v3, v3, v180
	v_add_f32_e32 v2, v2, v4
	;; [unrolled: 1-line block ×3, first 2 shown]
	s_waitcnt vmcnt(0)
	v_sub_f32_e32 v2, v189, v2
	v_sub_f32_e32 v3, v201, v3
	buffer_store_dword v2, off, s[0:3], 0 offset:96
	buffer_store_dword v3, off, s[0:3], 0 offset:100
	v_cmpx_lt_u32_e32 11, v0
	s_cbranch_execz .LBB127_375
; %bb.374:
	s_clause 0x1
	buffer_load_dword v2, off, s[0:3], 0 offset:88
	buffer_load_dword v3, off, s[0:3], 0 offset:92
	buffer_store_dword v1, off, s[0:3], 0 offset:88
	buffer_store_dword v1, off, s[0:3], 0 offset:92
	s_waitcnt vmcnt(0)
	ds_write_b64 v141, v[2:3]
.LBB127_375:
	s_or_b32 exec_lo, exec_lo, s4
	s_waitcnt lgkmcnt(0)
	s_waitcnt_vscnt null, 0x0
	s_barrier
	buffer_gl0_inv
	s_clause 0x3b
	buffer_load_dword v4, off, s[0:3], 0 offset:100
	buffer_load_dword v3, off, s[0:3], 0 offset:112
	;; [unrolled: 1-line block ×60, first 2 shown]
	ds_read_b128 v[187:190], v1 offset:608
	ds_read_b128 v[191:194], v1 offset:624
	;; [unrolled: 1-line block ×3, first 2 shown]
	buffer_load_dword v204, off, s[0:3], 0 offset:92
	s_mov_b32 s4, exec_lo
	s_waitcnt vmcnt(60) lgkmcnt(2)
	v_mul_f32_e32 v203, v187, v4
	v_mul_f32_e32 v4, v188, v4
	s_waitcnt vmcnt(56)
	v_mul_f32_e32 v205, v189, v10
	v_mul_f32_e32 v10, v190, v10
	v_fmac_f32_e32 v203, v188, v11
	v_fma_f32 v4, v187, v11, -v4
	s_waitcnt vmcnt(55) lgkmcnt(1)
	v_mul_f32_e32 v206, v191, v9
	v_fmac_f32_e32 v205, v190, v7
	v_fma_f32 v7, v189, v7, -v10
	ds_read_b128 v[187:190], v1 offset:656
	v_mul_f32_e32 v9, v192, v9
	s_waitcnt vmcnt(54)
	v_mul_f32_e32 v207, v193, v5
	v_mul_f32_e32 v5, v194, v5
	v_fmac_f32_e32 v206, v192, v3
	s_waitcnt vmcnt(48) lgkmcnt(1)
	v_mul_f32_e32 v208, v197, v173
	v_fma_f32 v3, v191, v3, -v9
	v_fmac_f32_e32 v207, v194, v177
	v_fma_f32 v5, v193, v177, -v5
	v_mul_f32_e32 v9, v196, v176
	ds_read_b128 v[191:194], v1 offset:672
	v_mul_f32_e32 v177, v195, v176
	v_fmac_f32_e32 v208, v198, v164
	v_add_f32_e32 v4, 0, v4
	v_fma_f32 v176, v195, v172, -v9
	v_mul_f32_e32 v9, v198, v173
	v_fmac_f32_e32 v177, v196, v172
	v_add_f32_e32 v4, v4, v7
	v_fma_f32 v209, v197, v164, -v9
	s_waitcnt vmcnt(47) lgkmcnt(1)
	v_mul_f32_e32 v210, v187, v168
	v_mul_f32_e32 v9, v188, v168
	ds_read_b128 v[195:198], v1 offset:688
	s_waitcnt vmcnt(46)
	v_mul_f32_e32 v211, v189, v161
	v_add_f32_e32 v3, v4, v3
	v_fmac_f32_e32 v210, v188, v152
	v_fma_f32 v152, v187, v152, -v9
	v_mul_f32_e32 v9, v190, v161
	s_waitcnt vmcnt(42)
	v_fmac_f32_e32 v211, v190, v175
	s_waitcnt vmcnt(41) lgkmcnt(1)
	v_mul_f32_e32 v213, v191, v174
	v_fma_f32 v212, v189, v175, -v9
	v_mul_f32_e32 v9, v192, v174
	ds_read_b128 v[172:175], v1 offset:704
	ds_read_b128 v[187:190], v1 offset:720
	v_fmac_f32_e32 v213, v192, v167
	s_waitcnt vmcnt(40)
	v_mul_f32_e32 v192, v193, v169
	v_fma_f32 v191, v191, v167, -v9
	v_mul_f32_e32 v9, v194, v169
	v_fmac_f32_e32 v192, v194, v159
	s_waitcnt vmcnt(39) lgkmcnt(2)
	v_mul_f32_e32 v194, v195, v165
	v_fma_f32 v193, v193, v159, -v9
	v_mul_f32_e32 v9, v196, v165
	s_waitcnt vmcnt(38)
	v_mul_f32_e32 v165, v197, v157
	v_fmac_f32_e32 v194, v196, v147
	v_fma_f32 v147, v195, v147, -v9
	v_mul_f32_e32 v9, v198, v157
	s_waitcnt vmcnt(34)
	v_fmac_f32_e32 v165, v198, v171
	s_waitcnt vmcnt(33) lgkmcnt(1)
	v_mul_f32_e32 v195, v172, v170
	s_waitcnt vmcnt(30) lgkmcnt(0)
	v_mul_f32_e32 v10, v190, v154
	v_fma_f32 v171, v197, v171, -v9
	v_mul_f32_e32 v9, v173, v170
	ds_read_b128 v[167:170], v1 offset:736
	v_fmac_f32_e32 v195, v173, v160
	v_mul_f32_e32 v173, v174, v162
	v_fma_f32 v172, v172, v160, -v9
	v_mul_f32_e32 v9, v175, v162
	v_fmac_f32_e32 v173, v175, v150
	v_mul_f32_e32 v175, v189, v154
	s_waitcnt vmcnt(26)
	v_fma_f32 v154, v189, v166, -v10
	v_fma_f32 v150, v174, v150, -v9
	v_mul_f32_e32 v174, v187, v158
	v_mul_f32_e32 v9, v188, v158
	ds_read_b128 v[157:160], v1 offset:752
	v_fmac_f32_e32 v175, v190, v166
	v_fmac_f32_e32 v174, v188, v143
	v_fma_f32 v143, v187, v143, -v9
	s_waitcnt vmcnt(25) lgkmcnt(1)
	v_mul_f32_e32 v166, v167, v163
	v_mul_f32_e32 v9, v168, v163
	ds_read_b128 v[161:164], v1 offset:768
	v_fmac_f32_e32 v166, v168, v153
	v_fma_f32 v153, v167, v153, -v9
	s_waitcnt vmcnt(24)
	v_mul_f32_e32 v167, v169, v155
	v_mul_f32_e32 v9, v170, v155
	buffer_load_dword v155, off, s[0:3], 0 offset:332
	v_fmac_f32_e32 v167, v170, v145
	v_fma_f32 v145, v169, v145, -v9
	s_waitcnt vmcnt(24) lgkmcnt(1)
	v_mul_f32_e32 v168, v157, v148
	v_mul_f32_e32 v9, v158, v148
	s_waitcnt vmcnt(23)
	v_mul_f32_e32 v148, v159, v146
	v_mul_f32_e32 v10, v160, v146
	buffer_load_dword v146, off, s[0:3], 0 offset:340
	v_fmac_f32_e32 v168, v158, v12
	v_fma_f32 v157, v157, v12, -v9
	s_waitcnt vmcnt(20)
	v_fmac_f32_e32 v148, v160, v156
	v_fma_f32 v156, v159, v156, -v10
	ds_read_b128 v[9:12], v1 offset:784
	s_waitcnt vmcnt(18) lgkmcnt(1)
	v_mul_f32_e32 v159, v163, v149
	v_mul_f32_e32 v149, v164, v149
	;; [unrolled: 1-line block ×4, first 2 shown]
	buffer_load_dword v160, off, s[0:3], 0 offset:348
	v_fmac_f32_e32 v159, v164, v142
	v_fma_f32 v142, v163, v142, -v149
	v_add_f32_e32 v163, 0, v203
	v_fmac_f32_e32 v158, v162, v144
	v_fma_f32 v144, v161, v144, -v151
	s_clause 0x6
	buffer_load_dword v161, off, s[0:3], 0 offset:368
	buffer_load_dword v151, off, s[0:3], 0 offset:360
	;; [unrolled: 1-line block ×7, first 2 shown]
	v_add_f32_e32 v7, v163, v205
	buffer_load_dword v163, off, s[0:3], 0 offset:380
	v_add_f32_e32 v7, v7, v206
	s_waitcnt vmcnt(26) lgkmcnt(0)
	v_mul_f32_e32 v187, v9, v8
	v_mul_f32_e32 v4, v10, v8
	s_waitcnt vmcnt(25)
	v_mul_f32_e32 v188, v11, v6
	v_mul_f32_e32 v6, v12, v6
	v_add_f32_e32 v8, v3, v5
	v_add_f32_e32 v7, v7, v207
	v_fmac_f32_e32 v187, v10, v2
	v_fma_f32 v10, v9, v2, -v4
	s_waitcnt vmcnt(21)
	v_fma_f32 v11, v11, v199, -v6
	ds_read_b128 v[2:5], v1 offset:800
	v_add_f32_e32 v6, v8, v176
	v_add_f32_e32 v7, v7, v177
	v_fmac_f32_e32 v188, v12, v199
	s_clause 0x6
	buffer_load_dword v12, off, s[0:3], 0 offset:400
	buffer_load_dword v176, off, s[0:3], 0 offset:392
	;; [unrolled: 1-line block ×7, first 2 shown]
	v_add_f32_e32 v6, v6, v209
	v_add_f32_e32 v7, v7, v208
	;; [unrolled: 1-line block ×6, first 2 shown]
	ds_read_b128 v[6:9], v1 offset:816
	s_waitcnt vmcnt(27) lgkmcnt(1)
	v_mul_f32_e32 v199, v2, v186
	v_mul_f32_e32 v186, v3, v186
	v_add_f32_e32 v152, v152, v213
	v_add_f32_e32 v191, v198, v191
	s_waitcnt vmcnt(26)
	v_mul_f32_e32 v198, v4, v185
	v_fmac_f32_e32 v199, v3, v183
	v_fma_f32 v183, v2, v183, -v186
	v_add_f32_e32 v3, v152, v192
	v_add_f32_e32 v2, v191, v193
	v_mul_f32_e32 v185, v5, v185
	s_clause 0x3
	buffer_load_dword v186, off, s[0:3], 0 offset:412
	buffer_load_dword v191, off, s[0:3], 0 offset:420
	;; [unrolled: 1-line block ×4, first 2 shown]
	v_fmac_f32_e32 v198, v5, v182
	v_add_f32_e32 v3, v3, v194
	v_add_f32_e32 v2, v2, v147
	v_fma_f32 v152, v4, v182, -v185
	s_clause 0x3
	buffer_load_dword v182, off, s[0:3], 0 offset:444
	buffer_load_dword v185, off, s[0:3], 0 offset:452
	;; [unrolled: 1-line block ×4, first 2 shown]
	v_add_f32_e32 v3, v3, v165
	v_add_f32_e32 v2, v2, v171
	s_waitcnt vmcnt(33) lgkmcnt(0)
	v_mul_f32_e32 v207, v6, v180
	v_mul_f32_e32 v4, v7, v180
	s_clause 0x3
	buffer_load_dword v165, off, s[0:3], 0 offset:476
	buffer_load_dword v171, off, s[0:3], 0 offset:484
	;; [unrolled: 1-line block ×4, first 2 shown]
	v_add_f32_e32 v3, v3, v195
	v_add_f32_e32 v2, v2, v172
	buffer_load_dword v172, off, s[0:3], 0 offset:508
	v_fmac_f32_e32 v207, v7, v179
	v_fma_f32 v179, v6, v179, -v4
	v_add_f32_e32 v6, v3, v173
	s_clause 0x3
	buffer_load_dword v173, off, s[0:3], 0 offset:432
	buffer_load_dword v180, off, s[0:3], 0 offset:424
	;; [unrolled: 1-line block ×4, first 2 shown]
	v_add_f32_e32 v2, v2, v150
	s_waitcnt vmcnt(41)
	v_mul_f32_e32 v150, v8, v178
	v_add_f32_e32 v6, v6, v174
	v_add_f32_e32 v7, v2, v143
	v_mul_f32_e32 v2, v9, v178
	s_waitcnt vmcnt(37)
	v_fmac_f32_e32 v150, v9, v201
	v_add_f32_e32 v6, v6, v175
	v_add_f32_e32 v7, v7, v154
	v_fma_f32 v178, v8, v201, -v2
	ds_read_b128 v[2:5], v1 offset:832
	s_clause 0x3
	buffer_load_dword v174, off, s[0:3], 0 offset:464
	buffer_load_dword v175, off, s[0:3], 0 offset:456
	;; [unrolled: 1-line block ×4, first 2 shown]
	v_add_f32_e32 v6, v6, v166
	v_add_f32_e32 v7, v7, v153
	;; [unrolled: 1-line block ×4, first 2 shown]
	ds_read_b128 v[6:9], v1 offset:848
	v_add_f32_e32 v143, v143, v157
	v_add_f32_e32 v145, v145, v168
	s_waitcnt vmcnt(40) lgkmcnt(1)
	v_mul_f32_e32 v154, v2, v202
	v_mul_f32_e32 v147, v3, v202
	v_fmac_f32_e32 v154, v3, v200
	v_fma_f32 v157, v2, v200, -v147
	s_clause 0x5
	buffer_load_dword v166, off, s[0:3], 0 offset:496
	buffer_load_dword v167, off, s[0:3], 0 offset:488
	;; [unrolled: 1-line block ×6, first 2 shown]
	v_add_f32_e32 v2, v143, v156
	v_add_f32_e32 v3, v145, v148
	;; [unrolled: 1-line block ×18, first 2 shown]
	s_waitcnt vmcnt(44)
	v_mul_f32_e32 v158, v4, v155
	v_mul_f32_e32 v142, v5, v155
	v_fmac_f32_e32 v158, v5, v184
	v_fma_f32 v159, v4, v184, -v142
	ds_read_b128 v[2:5], v1 offset:864
	ds_read_b128 v[142:145], v1 offset:880
	s_waitcnt vmcnt(43) lgkmcnt(2)
	v_mul_f32_e32 v11, v6, v146
	v_mul_f32_e32 v146, v7, v146
	v_add_f32_e32 v10, v10, v159
	v_fmac_f32_e32 v11, v7, v181
	s_waitcnt vmcnt(42)
	v_mul_f32_e32 v184, v8, v160
	v_mul_f32_e32 v148, v9, v160
	v_fma_f32 v160, v6, v181, -v146
	s_waitcnt vmcnt(38)
	v_fmac_f32_e32 v184, v9, v149
	v_fma_f32 v181, v8, v149, -v148
	ds_read_b128 v[6:9], v1 offset:896
	ds_read_b128 v[146:149], v1 offset:912
	s_waitcnt vmcnt(36) lgkmcnt(3)
	v_mul_f32_e32 v155, v5, v169
	v_mul_f32_e32 v183, v2, v164
	;; [unrolled: 1-line block ×4, first 2 shown]
	s_waitcnt vmcnt(35) lgkmcnt(2)
	v_mul_f32_e32 v169, v142, v170
	v_mul_f32_e32 v156, v143, v170
	v_fma_f32 v179, v4, v151, -v155
	v_add_f32_e32 v155, v153, v150
	v_fmac_f32_e32 v183, v3, v162
	v_fmac_f32_e32 v169, v143, v161
	v_fma_f32 v178, v142, v161, -v156
	v_fma_f32 v162, v2, v162, -v152
	v_add_f32_e32 v161, v155, v154
	v_fmac_f32_e32 v164, v5, v151
	s_waitcnt vmcnt(34)
	v_mul_f32_e32 v170, v144, v163
	v_mul_f32_e32 v163, v145, v163
	ds_read_b128 v[2:5], v1 offset:928
	ds_read_b128 v[150:153], v1 offset:944
	v_add_f32_e32 v158, v161, v158
	s_waitcnt vmcnt(29) lgkmcnt(3)
	v_mul_f32_e32 v187, v6, v190
	v_mul_f32_e32 v159, v7, v190
	v_fma_f32 v163, v144, v189, -v163
	v_fmac_f32_e32 v170, v145, v189
	s_waitcnt vmcnt(28)
	v_mul_f32_e32 v188, v8, v196
	v_fmac_f32_e32 v187, v7, v177
	v_add_f32_e32 v7, v10, v160
	v_add_f32_e32 v10, v158, v11
	v_fma_f32 v11, v6, v177, -v159
	v_mul_f32_e32 v161, v9, v196
	ds_read_b128 v[142:145], v1 offset:960
	ds_read_b128 v[154:157], v1 offset:976
	v_add_f32_e32 v177, v7, v181
	v_add_f32_e32 v10, v10, v184
	v_fmac_f32_e32 v188, v9, v176
	v_fma_f32 v176, v8, v176, -v161
	ds_read_b128 v[6:9], v1 offset:992
	ds_read_b128 v[158:161], v1 offset:1008
	v_add_f32_e32 v162, v177, v162
	v_add_f32_e32 v10, v10, v183
	s_waitcnt vmcnt(27) lgkmcnt(6)
	v_mul_f32_e32 v1, v146, v197
	v_mul_f32_e32 v177, v147, v197
	v_add_f32_e32 v162, v162, v179
	v_add_f32_e32 v10, v10, v164
	v_fmac_f32_e32 v1, v147, v12
	s_waitcnt vmcnt(26)
	v_mul_f32_e32 v183, v149, v186
	v_fma_f32 v12, v146, v12, -v177
	v_add_f32_e32 v162, v162, v178
	v_add_f32_e32 v10, v10, v169
	v_mul_f32_e32 v181, v148, v186
	s_waitcnt vmcnt(25) lgkmcnt(5)
	v_mul_f32_e32 v179, v2, v191
	v_mul_f32_e32 v147, v3, v191
	v_add_f32_e32 v162, v162, v163
	v_add_f32_e32 v10, v10, v170
	s_waitcnt vmcnt(24)
	v_mul_f32_e32 v164, v4, v192
	s_waitcnt vmcnt(23) lgkmcnt(4)
	v_mul_f32_e32 v184, v150, v193
	s_waitcnt vmcnt(22)
	v_mul_f32_e32 v178, v152, v182
	v_add_f32_e32 v11, v162, v11
	v_add_f32_e32 v10, v10, v187
	s_waitcnt vmcnt(21) lgkmcnt(3)
	v_mul_f32_e32 v169, v142, v185
	s_waitcnt vmcnt(20)
	v_mul_f32_e32 v186, v144, v194
	s_waitcnt vmcnt(19) lgkmcnt(2)
	v_mul_f32_e32 v163, v154, v203
	v_add_f32_e32 v11, v11, v176
	v_add_f32_e32 v10, v10, v188
	s_waitcnt vmcnt(12)
	v_fmac_f32_e32 v164, v5, v180
	s_waitcnt vmcnt(11)
	v_fmac_f32_e32 v179, v3, v195
	s_waitcnt vmcnt(10)
	v_fma_f32 v148, v148, v208, -v183
	v_add_f32_e32 v11, v11, v12
	v_fmac_f32_e32 v181, v149, v208
	v_add_f32_e32 v1, v10, v1
	v_mul_f32_e32 v10, v5, v192
	v_fma_f32 v2, v2, v195, -v147
	v_add_f32_e32 v3, v11, v148
	v_mul_f32_e32 v11, v151, v193
	v_add_f32_e32 v1, v1, v181
	v_fma_f32 v4, v4, v180, -v10
	v_fmac_f32_e32 v184, v151, v173
	v_add_f32_e32 v2, v3, v2
	v_mul_f32_e32 v3, v153, v182
	v_add_f32_e32 v1, v1, v179
	v_fma_f32 v5, v150, v173, -v11
	s_waitcnt vmcnt(6)
	v_fmac_f32_e32 v178, v153, v209
	v_add_f32_e32 v2, v2, v4
	v_mul_f32_e32 v4, v143, v185
	v_add_f32_e32 v1, v1, v164
	v_fma_f32 v3, v152, v209, -v3
	v_fmac_f32_e32 v169, v143, v201
	v_add_f32_e32 v2, v2, v5
	v_mul_f32_e32 v5, v145, v194
	v_add_f32_e32 v1, v1, v184
	v_fma_f32 v4, v142, v201, -v4
	;; [unrolled: 5-line block ×3, first 2 shown]
	v_mul_f32_e32 v170, v156, v165
	v_add_f32_e32 v2, v2, v4
	v_mul_f32_e32 v4, v157, v165
	v_add_f32_e32 v1, v1, v169
	v_fma_f32 v3, v154, v174, -v3
	v_fmac_f32_e32 v163, v155, v174
	v_add_f32_e32 v2, v2, v5
	s_waitcnt lgkmcnt(1)
	v_mul_f32_e32 v5, v7, v171
	v_add_f32_e32 v1, v1, v186
	v_mul_f32_e32 v189, v6, v171
	s_waitcnt vmcnt(2)
	v_fma_f32 v4, v156, v200, -v4
	v_add_f32_e32 v2, v2, v3
	v_fmac_f32_e32 v170, v157, v200
	v_add_f32_e32 v1, v1, v163
	v_mul_f32_e32 v3, v9, v205
	v_fma_f32 v5, v6, v168, -v5
	v_add_f32_e32 v2, v2, v4
	v_mul_f32_e32 v162, v8, v205
	v_fmac_f32_e32 v189, v7, v168
	v_add_f32_e32 v1, v1, v170
	s_waitcnt lgkmcnt(0)
	v_mul_f32_e32 v4, v159, v206
	v_fma_f32 v3, v8, v167, -v3
	v_add_f32_e32 v2, v2, v5
	v_mul_f32_e32 v187, v158, v206
	v_fmac_f32_e32 v162, v9, v167
	v_add_f32_e32 v1, v1, v189
	v_mul_f32_e32 v5, v161, v172
	v_fma_f32 v4, v158, v166, -v4
	v_add_f32_e32 v2, v2, v3
	v_mul_f32_e32 v146, v160, v172
	v_fmac_f32_e32 v187, v159, v166
	v_add_f32_e32 v1, v1, v162
	s_waitcnt vmcnt(1)
	v_fma_f32 v3, v160, v202, -v5
	v_add_f32_e32 v2, v2, v4
	v_fmac_f32_e32 v146, v161, v202
	v_add_f32_e32 v1, v1, v187
	v_add_f32_e32 v2, v2, v3
	;; [unrolled: 1-line block ×3, first 2 shown]
	s_waitcnt vmcnt(0)
	v_sub_f32_e32 v2, v210, v2
	v_sub_f32_e32 v1, v204, v1
	buffer_store_dword v2, off, s[0:3], 0 offset:88
	buffer_store_dword v1, off, s[0:3], 0 offset:92
	v_cmpx_lt_u32_e32 10, v0
	s_cbranch_execz .LBB127_377
; %bb.376:
	s_clause 0x1
	buffer_load_dword v1, off, s[0:3], 0 offset:80
	buffer_load_dword v2, off, s[0:3], 0 offset:84
	v_mov_b32_e32 v3, 0
	buffer_store_dword v3, off, s[0:3], 0 offset:80
	buffer_store_dword v3, off, s[0:3], 0 offset:84
	s_waitcnt vmcnt(0)
	ds_write_b64 v141, v[1:2]
.LBB127_377:
	s_or_b32 exec_lo, exec_lo, s4
	s_waitcnt lgkmcnt(0)
	s_waitcnt_vscnt null, 0x0
	s_barrier
	buffer_gl0_inv
	s_clause 0x3b
	buffer_load_dword v9, off, s[0:3], 0 offset:92
	buffer_load_dword v2, off, s[0:3], 0 offset:104
	;; [unrolled: 1-line block ×60, first 2 shown]
	v_mov_b32_e32 v1, 0
	ds_read2_b64 v[187:190], v1 offset0:75 offset1:76
	ds_read2_b64 v[191:194], v1 offset0:77 offset1:78
	;; [unrolled: 1-line block ×3, first 2 shown]
	buffer_load_dword v204, off, s[0:3], 0 offset:84
	s_mov_b32 s4, exec_lo
	s_waitcnt vmcnt(60) lgkmcnt(2)
	v_mul_f32_e32 v203, v187, v9
	v_mul_f32_e32 v9, v188, v9
	s_waitcnt vmcnt(56)
	v_mul_f32_e32 v205, v189, v6
	v_mul_f32_e32 v6, v190, v6
	v_fmac_f32_e32 v203, v188, v7
	v_fma_f32 v9, v187, v7, -v9
	s_waitcnt vmcnt(55) lgkmcnt(1)
	v_mul_f32_e32 v207, v191, v5
	v_fmac_f32_e32 v205, v190, v4
	v_fma_f32 v206, v189, v4, -v6
	v_mul_f32_e32 v187, v192, v5
	ds_read2_b64 v[4:7], v1 offset0:81 offset1:82
	v_fmac_f32_e32 v207, v192, v2
	s_waitcnt vmcnt(54)
	v_mul_f32_e32 v209, v193, v3
	s_waitcnt vmcnt(49) lgkmcnt(1)
	v_mul_f32_e32 v210, v195, v176
	v_fma_f32 v208, v191, v2, -v187
	v_mul_f32_e32 v2, v194, v3
	ds_read2_b64 v[187:190], v1 offset0:83 offset1:84
	v_fmac_f32_e32 v209, v194, v177
	v_fmac_f32_e32 v210, v196, v172
	v_add_f32_e32 v9, 0, v9
	v_fma_f32 v177, v193, v177, -v2
	v_mul_f32_e32 v2, v196, v176
	ds_read2_b64 v[191:194], v1 offset0:85 offset1:86
	v_add_f32_e32 v9, v9, v206
	v_fma_f32 v176, v195, v172, -v2
	s_waitcnt vmcnt(48)
	v_mul_f32_e32 v195, v197, v173
	v_mul_f32_e32 v2, v198, v173
	v_add_f32_e32 v9, v9, v208
	s_waitcnt vmcnt(47) lgkmcnt(2)
	v_mul_f32_e32 v196, v4, v168
	v_fmac_f32_e32 v195, v198, v164
	v_fma_f32 v164, v197, v164, -v2
	v_mul_f32_e32 v2, v5, v168
	v_fmac_f32_e32 v196, v5, v152
	s_waitcnt vmcnt(46)
	v_mul_f32_e32 v197, v6, v161
	v_fma_f32 v152, v4, v152, -v2
	v_mul_f32_e32 v2, v7, v161
	s_waitcnt vmcnt(42)
	v_fmac_f32_e32 v197, v7, v175
	s_waitcnt vmcnt(41) lgkmcnt(1)
	v_mul_f32_e32 v161, v187, v174
	v_mul_f32_e32 v7, v188, v174
	v_fma_f32 v6, v6, v175, -v2
	ds_read2_b64 v[2:5], v1 offset0:87 offset1:88
	ds_read2_b64 v[172:175], v1 offset0:89 offset1:90
	v_fmac_f32_e32 v161, v188, v167
	v_fma_f32 v187, v187, v167, -v7
	s_waitcnt vmcnt(40)
	v_mul_f32_e32 v188, v189, v169
	v_mul_f32_e32 v7, v190, v169
	v_fmac_f32_e32 v188, v190, v159
	v_fma_f32 v189, v189, v159, -v7
	s_waitcnt vmcnt(39) lgkmcnt(2)
	v_mul_f32_e32 v190, v191, v165
	v_mul_f32_e32 v7, v192, v165
	s_waitcnt vmcnt(38)
	v_mul_f32_e32 v165, v193, v157
	v_fmac_f32_e32 v190, v192, v147
	v_fma_f32 v147, v191, v147, -v7
	v_mul_f32_e32 v7, v194, v157
	s_waitcnt vmcnt(34)
	v_fmac_f32_e32 v165, v194, v171
	s_waitcnt vmcnt(33) lgkmcnt(1)
	v_mul_f32_e32 v191, v2, v170
	s_waitcnt vmcnt(30) lgkmcnt(0)
	v_mul_f32_e32 v194, v174, v154
	v_fma_f32 v171, v193, v171, -v7
	v_mul_f32_e32 v7, v3, v170
	ds_read2_b64 v[167:170], v1 offset0:91 offset1:92
	v_mul_f32_e32 v193, v4, v162
	v_fmac_f32_e32 v191, v3, v160
	s_waitcnt vmcnt(26)
	v_fmac_f32_e32 v194, v175, v166
	v_fma_f32 v192, v2, v160, -v7
	v_mul_f32_e32 v2, v5, v162
	v_fmac_f32_e32 v193, v5, v150
	v_mul_f32_e32 v162, v172, v158
	v_mul_f32_e32 v7, v175, v154
	v_fma_f32 v150, v4, v150, -v2
	v_mul_f32_e32 v2, v173, v158
	v_fmac_f32_e32 v162, v173, v143
	v_fma_f32 v154, v174, v166, -v7
	ds_read2_b64 v[157:160], v1 offset0:95 offset1:96
	v_fma_f32 v143, v172, v143, -v2
	ds_read2_b64 v[2:5], v1 offset0:93 offset1:94
	s_waitcnt vmcnt(25) lgkmcnt(2)
	v_mul_f32_e32 v166, v167, v163
	v_mul_f32_e32 v7, v168, v163
	s_waitcnt vmcnt(24)
	v_mul_f32_e32 v163, v169, v155
	v_fmac_f32_e32 v166, v168, v153
	v_fma_f32 v153, v167, v153, -v7
	v_mul_f32_e32 v7, v170, v155
	v_fmac_f32_e32 v163, v170, v145
	s_clause 0x1
	buffer_load_dword v155, off, s[0:3], 0 offset:324
	buffer_load_dword v168, off, s[0:3], 0 offset:332
	v_fma_f32 v145, v169, v145, -v7
	buffer_load_dword v169, off, s[0:3], 0 offset:340
	s_waitcnt vmcnt(26) lgkmcnt(0)
	v_mul_f32_e32 v167, v2, v148
	v_mul_f32_e32 v7, v3, v148
	s_waitcnt vmcnt(25)
	v_mul_f32_e32 v148, v4, v146
	v_mul_f32_e32 v146, v5, v146
	v_fmac_f32_e32 v167, v3, v12
	v_fma_f32 v12, v2, v12, -v7
	s_waitcnt vmcnt(21)
	v_fmac_f32_e32 v148, v5, v156
	v_fma_f32 v146, v4, v156, -v146
	ds_read2_b64 v[2:5], v1 offset0:97 offset1:98
	s_waitcnt vmcnt(20)
	v_mul_f32_e32 v156, v157, v151
	v_mul_f32_e32 v7, v158, v151
	s_waitcnt vmcnt(19)
	v_mul_f32_e32 v151, v159, v149
	v_mul_f32_e32 v149, v160, v149
	v_fmac_f32_e32 v156, v158, v144
	v_fma_f32 v144, v157, v144, -v7
	v_add_f32_e32 v7, 0, v203
	v_fmac_f32_e32 v151, v160, v142
	v_fma_f32 v142, v159, v142, -v149
	s_clause 0x6
	buffer_load_dword v157, off, s[0:3], 0 offset:360
	buffer_load_dword v158, off, s[0:3], 0 offset:352
	buffer_load_dword v159, off, s[0:3], 0 offset:344
	buffer_load_dword v149, off, s[0:3], 0 offset:336
	buffer_load_dword v160, off, s[0:3], 0 offset:348
	buffer_load_dword v170, off, s[0:3], 0 offset:356
	buffer_load_dword v172, off, s[0:3], 0 offset:364
	v_add_f32_e32 v7, v7, v205
	buffer_load_dword v173, off, s[0:3], 0 offset:372
	v_add_f32_e32 v7, v7, v207
	s_waitcnt vmcnt(26) lgkmcnt(0)
	v_mul_f32_e32 v174, v2, v11
	v_mul_f32_e32 v11, v3, v11
	s_waitcnt vmcnt(25)
	v_mul_f32_e32 v175, v4, v10
	v_add_f32_e32 v7, v7, v209
	v_mul_f32_e32 v10, v5, v10
	v_fmac_f32_e32 v174, v3, v8
	v_fma_f32 v11, v2, v8, -v11
	v_add_f32_e32 v8, v9, v177
	v_add_f32_e32 v7, v7, v210
	s_waitcnt vmcnt(21)
	v_fmac_f32_e32 v175, v5, v199
	v_fma_f32 v10, v4, v199, -v10
	ds_read2_b64 v[2:5], v1 offset0:99 offset1:100
	v_add_f32_e32 v8, v8, v176
	v_add_f32_e32 v7, v7, v195
	s_clause 0x3
	buffer_load_dword v176, off, s[0:3], 0 offset:392
	buffer_load_dword v177, off, s[0:3], 0 offset:384
	;; [unrolled: 1-line block ×4, first 2 shown]
	v_add_f32_e32 v8, v8, v164
	v_add_f32_e32 v8, v8, v152
	;; [unrolled: 1-line block ×3, first 2 shown]
	s_clause 0x2
	buffer_load_dword v164, off, s[0:3], 0 offset:380
	buffer_load_dword v195, off, s[0:3], 0 offset:388
	;; [unrolled: 1-line block ×3, first 2 shown]
	v_add_f32_e32 v203, v8, v6
	v_add_f32_e32 v152, v152, v197
	ds_read2_b64 v[6:9], v1 offset0:101 offset1:102
	s_waitcnt vmcnt(27) lgkmcnt(1)
	v_mul_f32_e32 v197, v2, v186
	v_mul_f32_e32 v186, v3, v186
	v_add_f32_e32 v187, v203, v187
	s_waitcnt vmcnt(26)
	v_mul_f32_e32 v203, v4, v185
	v_mul_f32_e32 v185, v5, v185
	v_fmac_f32_e32 v197, v3, v184
	v_add_f32_e32 v3, v152, v161
	v_add_f32_e32 v152, v187, v189
	v_fma_f32 v161, v2, v184, -v186
	v_fmac_f32_e32 v203, v5, v182
	v_fma_f32 v182, v4, v182, -v185
	v_add_f32_e32 v2, v3, v188
	v_add_f32_e32 v3, v152, v147
	s_clause 0x7
	buffer_load_dword v184, off, s[0:3], 0 offset:404
	buffer_load_dword v185, off, s[0:3], 0 offset:412
	buffer_load_dword v186, off, s[0:3], 0 offset:420
	buffer_load_dword v187, off, s[0:3], 0 offset:428
	buffer_load_dword v188, off, s[0:3], 0 offset:424
	buffer_load_dword v189, off, s[0:3], 0 offset:416
	buffer_load_dword v205, off, s[0:3], 0 offset:408
	buffer_load_dword v206, off, s[0:3], 0 offset:400
	v_add_f32_e32 v2, v2, v190
	v_add_f32_e32 v3, v3, v171
	s_waitcnt vmcnt(33) lgkmcnt(0)
	v_mul_f32_e32 v152, v6, v181
	v_mul_f32_e32 v4, v7, v181
	s_clause 0x1
	buffer_load_dword v171, off, s[0:3], 0 offset:436
	buffer_load_dword v190, off, s[0:3], 0 offset:444
	v_add_f32_e32 v2, v2, v165
	v_add_f32_e32 v3, v3, v192
	v_fmac_f32_e32 v152, v7, v179
	v_fma_f32 v179, v6, v179, -v4
	s_clause 0x1
	buffer_load_dword v165, off, s[0:3], 0 offset:452
	buffer_load_dword v181, off, s[0:3], 0 offset:460
	v_add_f32_e32 v2, v2, v191
	v_add_f32_e32 v3, v3, v150
	s_clause 0x3
	buffer_load_dword v191, off, s[0:3], 0 offset:468
	buffer_load_dword v192, off, s[0:3], 0 offset:476
	buffer_load_dword v207, off, s[0:3], 0 offset:484
	buffer_load_dword v208, off, s[0:3], 0 offset:492
	s_waitcnt vmcnt(40)
	v_mul_f32_e32 v150, v8, v178
	v_add_f32_e32 v2, v2, v193
	v_add_f32_e32 v6, v3, v143
	v_mul_f32_e32 v3, v9, v178
	buffer_load_dword v193, off, s[0:3], 0 offset:500
	s_waitcnt vmcnt(37)
	v_fmac_f32_e32 v150, v9, v201
	v_add_f32_e32 v7, v2, v162
	v_add_f32_e32 v6, v6, v154
	v_fma_f32 v178, v8, v201, -v3
	ds_read2_b64 v[2:5], v1 offset0:103 offset1:104
	buffer_load_dword v162, off, s[0:3], 0 offset:508
	v_add_f32_e32 v7, v7, v194
	v_add_f32_e32 v6, v6, v153
	v_add_f32_e32 v7, v7, v166
	s_clause 0x3
	buffer_load_dword v166, off, s[0:3], 0 offset:456
	buffer_load_dword v194, off, s[0:3], 0 offset:448
	;; [unrolled: 1-line block ×4, first 2 shown]
	v_add_f32_e32 v6, v6, v145
	v_add_f32_e32 v143, v7, v163
	;; [unrolled: 1-line block ×3, first 2 shown]
	ds_read2_b64 v[6:9], v1 offset0:105 offset1:106
	v_add_f32_e32 v143, v143, v167
	v_add_f32_e32 v12, v12, v146
	s_waitcnt vmcnt(41) lgkmcnt(1)
	v_mul_f32_e32 v153, v2, v202
	v_mul_f32_e32 v145, v3, v202
	v_fmac_f32_e32 v153, v3, v200
	v_fma_f32 v154, v2, v200, -v145
	v_add_f32_e32 v3, v12, v144
	s_clause 0x6
	buffer_load_dword v12, off, s[0:3], 0 offset:488
	buffer_load_dword v163, off, s[0:3], 0 offset:480
	;; [unrolled: 1-line block ×7, first 2 shown]
	v_add_f32_e32 v2, v143, v148
	v_add_f32_e32 v3, v3, v142
	;; [unrolled: 1-line block ×18, first 2 shown]
	s_waitcnt vmcnt(46)
	v_mul_f32_e32 v11, v4, v155
	v_mul_f32_e32 v142, v5, v155
	s_waitcnt vmcnt(45) lgkmcnt(0)
	v_mul_f32_e32 v161, v6, v168
	v_mul_f32_e32 v147, v7, v168
	s_waitcnt vmcnt(44)
	v_mul_f32_e32 v168, v8, v169
	v_mul_f32_e32 v148, v9, v169
	v_fmac_f32_e32 v11, v5, v183
	v_fma_f32 v155, v4, v183, -v142
	ds_read2_b64 v[2:5], v1 offset0:107 offset1:108
	ds_read2_b64 v[142:145], v1 offset0:109 offset1:110
	v_fmac_f32_e32 v161, v7, v180
	v_fma_f32 v169, v6, v180, -v147
	v_add_f32_e32 v10, v10, v155
	v_add_f32_e32 v11, v154, v11
	;; [unrolled: 1-line block ×4, first 2 shown]
	s_waitcnt vmcnt(40)
	v_fmac_f32_e32 v168, v9, v149
	v_fma_f32 v174, v8, v149, -v148
	ds_read2_b64 v[6:9], v1 offset0:111 offset1:112
	ds_read2_b64 v[146:149], v1 offset0:113 offset1:114
	s_waitcnt vmcnt(39) lgkmcnt(3)
	v_mul_f32_e32 v175, v2, v160
	v_mul_f32_e32 v156, v3, v160
	s_waitcnt vmcnt(38)
	v_mul_f32_e32 v179, v4, v170
	v_mul_f32_e32 v152, v5, v170
	s_waitcnt vmcnt(37) lgkmcnt(2)
	v_mul_f32_e32 v170, v142, v172
	v_mul_f32_e32 v160, v143, v172
	v_fmac_f32_e32 v175, v3, v159
	v_fma_f32 v159, v2, v159, -v156
	v_fmac_f32_e32 v179, v5, v158
	v_fma_f32 v172, v4, v158, -v152
	s_waitcnt vmcnt(36)
	v_mul_f32_e32 v178, v144, v173
	v_mul_f32_e32 v156, v145, v173
	v_fma_f32 v173, v142, v157, -v160
	v_fmac_f32_e32 v170, v143, v157
	ds_read2_b64 v[2:5], v1 offset0:115 offset1:116
	ds_read2_b64 v[150:153], v1 offset0:117 offset1:118
	s_waitcnt vmcnt(32)
	v_fma_f32 v180, v144, v199, -v156
	v_fmac_f32_e32 v178, v145, v199
	ds_read2_b64 v[142:145], v1 offset0:119 offset1:120
	ds_read2_b64 v[154:157], v1 offset0:121 offset1:122
	s_waitcnt vmcnt(31) lgkmcnt(5)
	v_mul_f32_e32 v169, v6, v164
	v_mul_f32_e32 v158, v7, v164
	s_waitcnt vmcnt(30)
	v_mul_f32_e32 v160, v9, v195
	v_mul_f32_e32 v182, v8, v195
	v_fmac_f32_e32 v169, v7, v198
	v_add_f32_e32 v7, v10, v174
	v_add_f32_e32 v10, v11, v168
	v_fma_f32 v164, v6, v198, -v158
	v_fma_f32 v168, v8, v177, -v160
	v_fmac_f32_e32 v182, v9, v177
	v_add_f32_e32 v174, v7, v159
	v_add_f32_e32 v175, v10, v175
	ds_read2_b64 v[6:9], v1 offset0:123 offset1:124
	ds_read2_b64 v[158:161], v1 offset0:125 offset1:126
	ds_read_b64 v[10:11], v1 offset:1016
	s_waitcnt vmcnt(28) lgkmcnt(7)
	v_mul_f32_e32 v183, v149, v184
	v_add_f32_e32 v172, v174, v172
	v_add_f32_e32 v175, v175, v179
	v_mul_f32_e32 v179, v147, v196
	v_mul_f32_e32 v174, v146, v196
	;; [unrolled: 1-line block ×3, first 2 shown]
	v_add_f32_e32 v172, v172, v173
	v_add_f32_e32 v170, v175, v170
	v_fma_f32 v146, v146, v176, -v179
	v_fmac_f32_e32 v174, v147, v176
	s_waitcnt vmcnt(27) lgkmcnt(6)
	v_mul_f32_e32 v173, v2, v185
	v_add_f32_e32 v172, v172, v180
	v_add_f32_e32 v170, v170, v178
	v_mul_f32_e32 v179, v3, v185
	s_waitcnt vmcnt(21)
	v_fma_f32 v148, v148, v206, -v183
	v_fmac_f32_e32 v177, v149, v206
	v_add_f32_e32 v164, v172, v164
	v_add_f32_e32 v169, v170, v169
	v_fmac_f32_e32 v173, v3, v205
	v_fma_f32 v2, v2, v205, -v179
	v_mul_f32_e32 v175, v4, v186
	v_add_f32_e32 v164, v164, v168
	v_add_f32_e32 v168, v169, v182
	v_mul_f32_e32 v169, v5, v186
	s_waitcnt lgkmcnt(5)
	v_mul_f32_e32 v147, v150, v187
	v_fmac_f32_e32 v175, v5, v189
	v_add_f32_e32 v146, v164, v146
	v_add_f32_e32 v164, v168, v174
	v_fma_f32 v4, v4, v189, -v169
	s_waitcnt vmcnt(20)
	v_mul_f32_e32 v5, v153, v171
	v_mul_f32_e32 v176, v152, v171
	v_add_f32_e32 v3, v146, v148
	v_add_f32_e32 v146, v164, v177
	v_mul_f32_e32 v148, v151, v187
	v_fmac_f32_e32 v147, v151, v188
	s_waitcnt vmcnt(19) lgkmcnt(4)
	v_mul_f32_e32 v178, v142, v190
	v_add_f32_e32 v2, v3, v2
	v_add_f32_e32 v3, v146, v173
	v_fma_f32 v146, v150, v188, -v148
	s_waitcnt vmcnt(18)
	v_mul_f32_e32 v149, v144, v165
	s_waitcnt vmcnt(8)
	v_fmac_f32_e32 v178, v143, v201
	v_add_f32_e32 v2, v2, v4
	v_add_f32_e32 v3, v3, v175
	v_mul_f32_e32 v4, v143, v190
	s_waitcnt vmcnt(7)
	v_fma_f32 v5, v152, v209, -v5
	v_fmac_f32_e32 v176, v153, v209
	v_add_f32_e32 v2, v2, v146
	v_add_f32_e32 v3, v3, v147
	v_mul_f32_e32 v146, v145, v165
	v_fma_f32 v4, v142, v201, -v4
	s_waitcnt lgkmcnt(3)
	v_mul_f32_e32 v180, v154, v181
	v_add_f32_e32 v2, v2, v5
	v_add_f32_e32 v3, v3, v176
	v_mul_f32_e32 v5, v155, v181
	v_fma_f32 v142, v144, v194, -v146
	v_fmac_f32_e32 v149, v145, v194
	v_add_f32_e32 v2, v2, v4
	v_add_f32_e32 v3, v3, v178
	v_mul_f32_e32 v4, v157, v191
	v_fma_f32 v5, v154, v166, -v5
	v_mul_f32_e32 v170, v156, v191
	v_add_f32_e32 v2, v2, v142
	v_fmac_f32_e32 v180, v155, v166
	v_add_f32_e32 v3, v3, v149
	s_waitcnt lgkmcnt(2)
	v_mul_f32_e32 v142, v7, v192
	s_waitcnt vmcnt(3)
	v_fma_f32 v4, v156, v200, -v4
	v_add_f32_e32 v2, v2, v5
	v_mul_f32_e32 v172, v6, v192
	v_fmac_f32_e32 v170, v157, v200
	v_add_f32_e32 v3, v3, v180
	v_mul_f32_e32 v5, v9, v207
	v_fma_f32 v6, v6, v167, -v142
	v_add_f32_e32 v2, v2, v4
	v_mul_f32_e32 v183, v8, v207
	v_fmac_f32_e32 v172, v7, v167
	v_add_f32_e32 v3, v3, v170
	s_waitcnt lgkmcnt(1)
	v_mul_f32_e32 v4, v159, v208
	v_fma_f32 v5, v8, v163, -v5
	v_add_f32_e32 v2, v2, v6
	v_mul_f32_e32 v182, v158, v208
	v_fmac_f32_e32 v183, v9, v163
	v_add_f32_e32 v3, v3, v172
	v_mul_f32_e32 v6, v161, v193
	v_fma_f32 v4, v158, v12, -v4
	v_add_f32_e32 v2, v2, v5
	v_mul_f32_e32 v184, v160, v193
	v_fmac_f32_e32 v182, v159, v12
	v_add_f32_e32 v3, v3, v183
	s_waitcnt lgkmcnt(0)
	v_mul_f32_e32 v5, v11, v162
	s_waitcnt vmcnt(1)
	v_fma_f32 v6, v160, v210, -v6
	v_add_f32_e32 v2, v2, v4
	v_mul_f32_e32 v168, v10, v162
	v_fmac_f32_e32 v184, v161, v210
	v_add_f32_e32 v3, v3, v182
	v_fma_f32 v4, v10, v202, -v5
	v_add_f32_e32 v2, v2, v6
	v_fmac_f32_e32 v168, v11, v202
	v_add_f32_e32 v3, v3, v184
	v_add_f32_e32 v2, v2, v4
	;; [unrolled: 1-line block ×3, first 2 shown]
	s_waitcnt vmcnt(0)
	v_sub_f32_e32 v2, v211, v2
	v_sub_f32_e32 v3, v204, v3
	buffer_store_dword v2, off, s[0:3], 0 offset:80
	buffer_store_dword v3, off, s[0:3], 0 offset:84
	v_cmpx_lt_u32_e32 9, v0
	s_cbranch_execz .LBB127_379
; %bb.378:
	s_clause 0x1
	buffer_load_dword v2, off, s[0:3], 0 offset:72
	buffer_load_dword v3, off, s[0:3], 0 offset:76
	buffer_store_dword v1, off, s[0:3], 0 offset:72
	buffer_store_dword v1, off, s[0:3], 0 offset:76
	s_waitcnt vmcnt(0)
	ds_write_b64 v141, v[2:3]
.LBB127_379:
	s_or_b32 exec_lo, exec_lo, s4
	s_waitcnt lgkmcnt(0)
	s_waitcnt_vscnt null, 0x0
	s_barrier
	buffer_gl0_inv
	s_clause 0x3c
	buffer_load_dword v9, off, s[0:3], 0 offset:84
	buffer_load_dword v10, off, s[0:3], 0 offset:92
	;; [unrolled: 1-line block ×61, first 2 shown]
	ds_read_b128 v[187:190], v1 offset:592
	ds_read_b128 v[191:194], v1 offset:608
	buffer_load_dword v202, off, s[0:3], 0 offset:76
	s_mov_b32 s4, exec_lo
	s_waitcnt vmcnt(61) lgkmcnt(1)
	v_mul_f32_e32 v200, v187, v9
	v_mul_f32_e32 v9, v188, v9
	s_waitcnt vmcnt(60)
	v_mul_f32_e32 v201, v189, v10
	v_mul_f32_e32 v10, v190, v10
	s_waitcnt vmcnt(57)
	v_fmac_f32_e32 v200, v188, v6
	v_fma_f32 v203, v187, v6, -v9
	v_fmac_f32_e32 v201, v190, v5
	v_fma_f32 v204, v189, v5, -v10
	ds_read_b128 v[187:190], v1 offset:624
	s_waitcnt vmcnt(56) lgkmcnt(1)
	v_mul_f32_e32 v205, v191, v4
	v_mul_f32_e32 v4, v192, v4
	s_waitcnt vmcnt(55)
	v_mul_f32_e32 v206, v193, v3
	v_mul_f32_e32 v3, v194, v3
	v_fmac_f32_e32 v205, v192, v2
	v_fma_f32 v191, v191, v2, -v4
	s_waitcnt vmcnt(51)
	v_fmac_f32_e32 v206, v194, v177
	v_fma_f32 v177, v193, v177, -v3
	ds_read_b128 v[2:5], v1 offset:640
	s_waitcnt vmcnt(50) lgkmcnt(1)
	v_mul_f32_e32 v192, v187, v176
	v_mul_f32_e32 v6, v188, v176
	s_waitcnt vmcnt(49)
	v_mul_f32_e32 v176, v189, v174
	v_mul_f32_e32 v9, v190, v174
	v_fmac_f32_e32 v192, v188, v170
	v_fma_f32 v170, v187, v170, -v6
	v_fmac_f32_e32 v176, v190, v163
	v_fma_f32 v163, v189, v163, -v9
	ds_read_b128 v[187:190], v1 offset:656
	s_waitcnt vmcnt(48) lgkmcnt(1)
	v_mul_f32_e32 v193, v2, v168
	v_mul_f32_e32 v6, v3, v168
	s_waitcnt vmcnt(47)
	v_mul_f32_e32 v194, v4, v166
	v_mul_f32_e32 v9, v5, v166
	v_fmac_f32_e32 v193, v3, v149
	v_fma_f32 v149, v2, v149, -v6
	s_waitcnt vmcnt(43)
	v_fmac_f32_e32 v194, v5, v175
	v_fma_f32 v207, v4, v175, -v9
	ds_read_b128 v[2:5], v1 offset:672
	s_waitcnt vmcnt(42) lgkmcnt(1)
	v_mul_f32_e32 v208, v187, v173
	v_mul_f32_e32 v6, v188, v173
	s_waitcnt vmcnt(41)
	v_mul_f32_e32 v209, v189, v172
	v_mul_f32_e32 v9, v190, v172
	ds_read_b128 v[172:175], v1 offset:688
	v_fmac_f32_e32 v208, v188, v164
	v_fma_f32 v164, v187, v164, -v6
	v_fmac_f32_e32 v209, v190, v158
	v_fma_f32 v187, v189, v158, -v9
	s_waitcnt vmcnt(40) lgkmcnt(1)
	v_mul_f32_e32 v188, v2, v162
	v_mul_f32_e32 v6, v3, v162
	s_waitcnt vmcnt(39)
	v_mul_f32_e32 v162, v4, v160
	v_mul_f32_e32 v9, v5, v160
	v_fmac_f32_e32 v188, v3, v145
	v_fma_f32 v145, v2, v145, -v6
	s_waitcnt vmcnt(35)
	v_fmac_f32_e32 v162, v5, v171
	v_fma_f32 v171, v4, v171, -v9
	ds_read_b128 v[2:5], v1 offset:704
	s_waitcnt vmcnt(34) lgkmcnt(1)
	v_mul_f32_e32 v189, v172, v169
	v_mul_f32_e32 v6, v173, v169
	s_waitcnt vmcnt(33)
	v_mul_f32_e32 v190, v174, v167
	v_mul_f32_e32 v9, v175, v167
	ds_read_b128 v[166:169], v1 offset:720
	v_fmac_f32_e32 v189, v173, v156
	v_fma_f32 v156, v172, v156, -v6
	v_fmac_f32_e32 v190, v175, v151
	v_fma_f32 v151, v174, v151, -v9
	;; [unrolled: 23-line block ×3, first 2 shown]
	s_waitcnt vmcnt(24) lgkmcnt(1)
	v_mul_f32_e32 v166, v2, v148
	v_mul_f32_e32 v6, v3, v148
	s_waitcnt vmcnt(23)
	v_mul_f32_e32 v148, v4, v147
	v_mul_f32_e32 v9, v5, v147
	v_fmac_f32_e32 v166, v3, v8
	v_fma_f32 v147, v2, v8, -v6
	s_waitcnt vmcnt(19)
	v_fmac_f32_e32 v148, v5, v157
	v_fma_f32 v157, v4, v157, -v9
	ds_read_b128 v[2:5], v1 offset:768
	s_waitcnt vmcnt(18) lgkmcnt(1)
	v_mul_f32_e32 v167, v158, v154
	v_mul_f32_e32 v6, v159, v154
	s_waitcnt vmcnt(17)
	v_mul_f32_e32 v154, v160, v152
	v_mul_f32_e32 v8, v161, v152
	v_fmac_f32_e32 v167, v159, v144
	v_fma_f32 v144, v158, v144, -v6
	v_fmac_f32_e32 v154, v161, v12
	v_fma_f32 v12, v160, v12, -v8
	ds_read_b128 v[8:11], v1 offset:784
	s_waitcnt vmcnt(16) lgkmcnt(1)
	v_mul_f32_e32 v152, v2, v143
	v_mul_f32_e32 v6, v3, v143
	s_waitcnt vmcnt(15)
	v_mul_f32_e32 v143, v4, v142
	v_mul_f32_e32 v142, v5, v142
	v_fmac_f32_e32 v152, v3, v7
	v_fma_f32 v158, v2, v7, -v6
	s_waitcnt vmcnt(11)
	v_fmac_f32_e32 v143, v5, v186
	v_fma_f32 v142, v4, v186, -v142
	ds_read_b128 v[2:5], v1 offset:800
	s_waitcnt vmcnt(10) lgkmcnt(1)
	v_mul_f32_e32 v159, v8, v185
	v_mul_f32_e32 v6, v9, v185
	s_waitcnt vmcnt(9)
	v_mul_f32_e32 v7, v11, v184
	v_mul_f32_e32 v160, v10, v184
	buffer_load_dword v184, off, s[0:3], 0 offset:332
	v_fmac_f32_e32 v159, v9, v183
	v_fma_f32 v161, v8, v183, -v6
	v_fma_f32 v10, v10, v180, -v7
	ds_read_b128 v[6:9], v1 offset:816
	v_fmac_f32_e32 v160, v11, v180
	buffer_load_dword v11, off, s[0:3], 0 offset:324
	s_waitcnt vmcnt(10) lgkmcnt(1)
	v_mul_f32_e32 v168, v2, v182
	v_mul_f32_e32 v169, v3, v182
	s_waitcnt vmcnt(9)
	v_mul_f32_e32 v175, v4, v181
	v_mul_f32_e32 v180, v5, v181
	v_fmac_f32_e32 v168, v3, v179
	v_fma_f32 v169, v2, v179, -v169
	s_waitcnt vmcnt(5)
	v_fmac_f32_e32 v175, v5, v197
	v_fma_f32 v179, v4, v197, -v180
	ds_read_b128 v[2:5], v1 offset:832
	s_waitcnt vmcnt(4) lgkmcnt(1)
	v_mul_f32_e32 v180, v6, v198
	v_mul_f32_e32 v181, v7, v198
	s_waitcnt vmcnt(3)
	v_mul_f32_e32 v182, v8, v199
	v_mul_f32_e32 v183, v9, v199
	v_fmac_f32_e32 v180, v7, v196
	v_fma_f32 v181, v6, v196, -v181
	v_fmac_f32_e32 v182, v9, v195
	v_fma_f32 v183, v8, v195, -v183
	s_clause 0x4
	buffer_load_dword v185, off, s[0:3], 0 offset:352
	buffer_load_dword v186, off, s[0:3], 0 offset:344
	;; [unrolled: 1-line block ×5, first 2 shown]
	v_add_f32_e32 v7, 0, v200
	v_add_f32_e32 v6, 0, v203
	s_clause 0x1
	buffer_load_dword v198, off, s[0:3], 0 offset:348
	buffer_load_dword v199, off, s[0:3], 0 offset:356
	v_add_f32_e32 v7, v7, v201
	v_add_f32_e32 v6, v6, v204
	;; [unrolled: 1-line block ×4, first 2 shown]
	s_clause 0x1
	buffer_load_dword v191, off, s[0:3], 0 offset:364
	buffer_load_dword v200, off, s[0:3], 0 offset:372
	v_add_f32_e32 v7, v7, v206
	v_add_f32_e32 v6, v6, v177
	;; [unrolled: 1-line block ×4, first 2 shown]
	s_clause 0x3
	buffer_load_dword v170, off, s[0:3], 0 offset:384
	buffer_load_dword v177, off, s[0:3], 0 offset:376
	;; [unrolled: 1-line block ×4, first 2 shown]
	v_add_f32_e32 v7, v7, v176
	v_add_f32_e32 v6, v6, v163
	s_clause 0x2
	buffer_load_dword v163, off, s[0:3], 0 offset:380
	buffer_load_dword v176, off, s[0:3], 0 offset:388
	buffer_load_dword v192, off, s[0:3], 0 offset:396
	v_add_f32_e32 v7, v7, v193
	v_add_f32_e32 v6, v6, v149
	;; [unrolled: 1-line block ×6, first 2 shown]
	s_clause 0x4
	buffer_load_dword v164, off, s[0:3], 0 offset:416
	buffer_load_dword v193, off, s[0:3], 0 offset:408
	;; [unrolled: 1-line block ×5, first 2 shown]
	v_add_f32_e32 v7, v7, v209
	v_add_f32_e32 v6, v6, v187
	buffer_load_dword v187, off, s[0:3], 0 offset:404
	v_add_f32_e32 v7, v7, v188
	v_add_f32_e32 v6, v6, v145
	buffer_load_dword v188, off, s[0:3], 0 offset:420
	v_add_f32_e32 v7, v7, v162
	v_add_f32_e32 v6, v6, v171
	s_clause 0x4
	buffer_load_dword v171, off, s[0:3], 0 offset:428
	buffer_load_dword v206, off, s[0:3], 0 offset:436
	;; [unrolled: 1-line block ×5, first 2 shown]
	v_add_f32_e32 v7, v7, v189
	v_add_f32_e32 v6, v6, v156
	s_clause 0x3
	buffer_load_dword v189, off, s[0:3], 0 offset:468
	buffer_load_dword v209, off, s[0:3], 0 offset:476
	;; [unrolled: 1-line block ×4, first 2 shown]
	v_add_f32_e32 v7, v7, v190
	v_add_f32_e32 v6, v6, v151
	buffer_load_dword v190, off, s[0:3], 0 offset:492
	v_add_f32_e32 v7, v7, v172
	v_add_f32_e32 v6, v6, v153
	buffer_load_dword v172, off, s[0:3], 0 offset:508
	v_add_f32_e32 v7, v7, v155
	v_add_f32_e32 v6, v6, v165
	v_add_f32_e32 v7, v7, v173
	s_clause 0x3
	buffer_load_dword v165, off, s[0:3], 0 offset:448
	buffer_load_dword v173, off, s[0:3], 0 offset:440
	;; [unrolled: 1-line block ×4, first 2 shown]
	v_add_f32_e32 v6, v6, v150
	v_add_f32_e32 v7, v7, v174
	;; [unrolled: 1-line block ×4, first 2 shown]
	s_clause 0x6
	buffer_load_dword v166, off, s[0:3], 0 offset:480
	buffer_load_dword v174, off, s[0:3], 0 offset:472
	;; [unrolled: 1-line block ×7, first 2 shown]
	v_add_f32_e32 v6, v6, v147
	v_add_f32_e32 v7, v7, v148
	;; [unrolled: 1-line block ×4, first 2 shown]
	buffer_load_dword v167, off, s[0:3], 0 offset:72
	v_add_f32_e32 v6, v6, v144
	v_add_f32_e32 v7, v7, v154
	;; [unrolled: 1-line block ×3, first 2 shown]
	s_waitcnt vmcnt(46) lgkmcnt(0)
	v_mul_f32_e32 v12, v2, v11
	v_mul_f32_e32 v8, v3, v11
	v_fmac_f32_e32 v12, v3, v178
	v_fma_f32 v11, v2, v178, -v8
	v_add_f32_e32 v2, v6, v158
	v_add_f32_e32 v3, v7, v152
	ds_read_b128 v[6:9], v1 offset:848
	v_mul_f32_e32 v158, v4, v184
	v_add_f32_e32 v142, v2, v142
	v_mul_f32_e32 v2, v5, v184
	v_add_f32_e32 v143, v3, v143
	v_add_f32_e32 v146, v142, v161
	;; [unrolled: 1-line block ×3, first 2 shown]
	ds_read_b128 v[142:145], v1 offset:880
	v_add_f32_e32 v10, v146, v10
	v_add_f32_e32 v147, v147, v160
	s_waitcnt vmcnt(42)
	v_fmac_f32_e32 v158, v5, v196
	v_fma_f32 v178, v4, v196, -v2
	ds_read_b128 v[2:5], v1 offset:864
	s_waitcnt vmcnt(41) lgkmcnt(2)
	v_mul_f32_e32 v146, v7, v197
	v_mul_f32_e32 v159, v6, v197
	v_add_f32_e32 v10, v10, v169
	s_waitcnt vmcnt(40)
	v_mul_f32_e32 v150, v9, v198
	v_fma_f32 v160, v6, v195, -v146
	v_add_f32_e32 v6, v147, v168
	v_fmac_f32_e32 v159, v7, v195
	v_add_f32_e32 v7, v10, v179
	v_mul_f32_e32 v10, v8, v198
	ds_read_b128 v[146:149], v1 offset:896
	v_add_f32_e32 v6, v6, v175
	v_fma_f32 v161, v8, v186, -v150
	v_add_f32_e32 v7, v7, v181
	v_fmac_f32_e32 v10, v9, v186
	s_waitcnt vmcnt(37) lgkmcnt(2)
	v_mul_f32_e32 v155, v143, v200
	v_add_f32_e32 v6, v6, v180
	v_mul_f32_e32 v175, v142, v200
	s_waitcnt lgkmcnt(1)
	v_mul_f32_e32 v151, v3, v199
	v_mul_f32_e32 v168, v2, v199
	;; [unrolled: 1-line block ×4, first 2 shown]
	s_waitcnt vmcnt(34)
	v_fma_f32 v181, v142, v201, -v155
	v_fma_f32 v179, v2, v185, -v151
	v_add_f32_e32 v2, v7, v183
	v_fmac_f32_e32 v168, v3, v185
	v_add_f32_e32 v3, v6, v182
	s_waitcnt vmcnt(33)
	v_fma_f32 v180, v4, v203, -v154
	ds_read_b128 v[6:9], v1 offset:912
	ds_read_b128 v[150:153], v1 offset:928
	v_add_f32_e32 v11, v2, v11
	v_fmac_f32_e32 v169, v5, v203
	v_add_f32_e32 v12, v3, v12
	s_waitcnt vmcnt(32)
	v_mul_f32_e32 v142, v145, v163
	v_fmac_f32_e32 v175, v143, v201
	v_add_f32_e32 v11, v11, v178
	v_mul_f32_e32 v178, v144, v163
	v_add_f32_e32 v12, v12, v158
	s_waitcnt vmcnt(31) lgkmcnt(2)
	v_mul_f32_e32 v163, v146, v176
	v_mul_f32_e32 v143, v147, v176
	v_add_f32_e32 v11, v11, v160
	v_fmac_f32_e32 v178, v145, v177
	v_add_f32_e32 v12, v12, v159
	v_fma_f32 v177, v144, v177, -v142
	s_waitcnt vmcnt(30)
	v_mul_f32_e32 v176, v149, v192
	v_add_f32_e32 v11, v11, v161
	v_fmac_f32_e32 v163, v147, v170
	v_add_f32_e32 v10, v12, v10
	v_fma_f32 v170, v146, v170, -v143
	v_mul_f32_e32 v182, v148, v192
	v_add_f32_e32 v11, v11, v179
	s_waitcnt vmcnt(26)
	v_fma_f32 v176, v148, v204, -v176
	v_add_f32_e32 v10, v10, v168
	s_waitcnt vmcnt(24) lgkmcnt(1)
	v_mul_f32_e32 v12, v7, v187
	ds_read_b128 v[2:5], v1 offset:944
	ds_read_b128 v[154:157], v1 offset:960
	v_add_f32_e32 v11, v11, v180
	ds_read_b128 v[142:145], v1 offset:976
	ds_read_b128 v[158:161], v1 offset:992
	v_add_f32_e32 v10, v10, v169
	v_fmac_f32_e32 v182, v149, v204
	ds_read_b128 v[146:149], v1 offset:1008
	v_add_f32_e32 v11, v11, v181
	v_mul_f32_e32 v1, v6, v187
	v_add_f32_e32 v10, v10, v175
	v_mul_f32_e32 v179, v9, v205
	v_fma_f32 v6, v6, v194, -v12
	v_add_f32_e32 v11, v11, v177
	v_mul_f32_e32 v168, v8, v205
	v_add_f32_e32 v10, v10, v178
	v_fmac_f32_e32 v1, v7, v194
	s_waitcnt vmcnt(23) lgkmcnt(5)
	v_mul_f32_e32 v12, v151, v188
	v_add_f32_e32 v11, v11, v170
	v_fma_f32 v8, v8, v193, -v179
	v_add_f32_e32 v10, v10, v163
	v_mul_f32_e32 v180, v150, v188
	v_fmac_f32_e32 v168, v9, v193
	v_add_f32_e32 v11, v11, v176
	s_waitcnt vmcnt(22)
	v_mul_f32_e32 v9, v153, v171
	v_add_f32_e32 v10, v10, v182
	v_mul_f32_e32 v169, v152, v171
	v_fmac_f32_e32 v180, v151, v164
	v_add_f32_e32 v6, v11, v6
	s_waitcnt vmcnt(21) lgkmcnt(4)
	v_mul_f32_e32 v183, v2, v206
	v_add_f32_e32 v1, v10, v1
	v_fma_f32 v10, v150, v164, -v12
	s_waitcnt vmcnt(8)
	v_fma_f32 v9, v152, v213, -v9
	v_add_f32_e32 v6, v6, v8
	v_mul_f32_e32 v8, v3, v206
	v_add_f32_e32 v1, v1, v168
	v_fmac_f32_e32 v169, v153, v213
	v_fmac_f32_e32 v183, v3, v212
	v_add_f32_e32 v6, v6, v10
	v_mul_f32_e32 v10, v5, v162
	v_add_f32_e32 v1, v1, v180
	v_fma_f32 v2, v2, v212, -v8
	v_mul_f32_e32 v181, v4, v162
	v_add_f32_e32 v3, v6, v9
	s_waitcnt lgkmcnt(3)
	v_mul_f32_e32 v6, v155, v207
	v_add_f32_e32 v1, v1, v169
	v_fma_f32 v4, v4, v173, -v10
	v_mul_f32_e32 v175, v154, v207
	v_add_f32_e32 v2, v3, v2
	v_fmac_f32_e32 v181, v5, v173
	v_add_f32_e32 v1, v1, v183
	v_mul_f32_e32 v3, v157, v208
	v_fma_f32 v5, v154, v165, -v6
	v_add_f32_e32 v2, v2, v4
	v_mul_f32_e32 v184, v156, v208
	v_fmac_f32_e32 v175, v155, v165
	v_add_f32_e32 v1, v1, v181
	s_waitcnt lgkmcnt(2)
	v_mul_f32_e32 v4, v143, v189
	s_waitcnt vmcnt(4)
	v_fma_f32 v3, v156, v215, -v3
	v_add_f32_e32 v2, v2, v5
	v_mul_f32_e32 v177, v142, v189
	v_fmac_f32_e32 v184, v157, v215
	v_add_f32_e32 v1, v1, v175
	v_mul_f32_e32 v5, v145, v209
	v_fma_f32 v4, v142, v214, -v4
	v_add_f32_e32 v2, v2, v3
	v_mul_f32_e32 v178, v144, v209
	v_fmac_f32_e32 v177, v143, v214
	v_add_f32_e32 v1, v1, v184
	s_waitcnt lgkmcnt(1)
	v_mul_f32_e32 v3, v159, v210
	v_fma_f32 v5, v144, v174, -v5
	v_add_f32_e32 v2, v2, v4
	v_mul_f32_e32 v185, v158, v210
	v_fmac_f32_e32 v178, v145, v174
	v_add_f32_e32 v1, v1, v177
	v_mul_f32_e32 v4, v161, v190
	v_fma_f32 v3, v158, v166, -v3
	v_add_f32_e32 v2, v2, v5
	v_mul_f32_e32 v170, v160, v190
	v_fmac_f32_e32 v185, v159, v166
	v_add_f32_e32 v1, v1, v178
	s_waitcnt lgkmcnt(0)
	v_mul_f32_e32 v5, v147, v211
	s_waitcnt vmcnt(1)
	v_fma_f32 v4, v160, v218, -v4
	v_add_f32_e32 v2, v2, v3
	v_mul_f32_e32 v163, v146, v211
	v_fmac_f32_e32 v170, v161, v218
	v_add_f32_e32 v1, v1, v185
	v_mul_f32_e32 v3, v149, v172
	v_fma_f32 v5, v146, v217, -v5
	v_add_f32_e32 v2, v2, v4
	v_mul_f32_e32 v7, v148, v172
	v_fmac_f32_e32 v163, v147, v217
	v_add_f32_e32 v1, v1, v170
	v_fma_f32 v3, v148, v216, -v3
	v_add_f32_e32 v2, v2, v5
	v_fmac_f32_e32 v7, v149, v216
	v_add_f32_e32 v1, v1, v163
	v_add_f32_e32 v2, v2, v3
	;; [unrolled: 1-line block ×3, first 2 shown]
	s_waitcnt vmcnt(0)
	v_sub_f32_e32 v2, v167, v2
	v_sub_f32_e32 v1, v202, v1
	buffer_store_dword v2, off, s[0:3], 0 offset:72
	buffer_store_dword v1, off, s[0:3], 0 offset:76
	v_cmpx_lt_u32_e32 8, v0
	s_cbranch_execz .LBB127_381
; %bb.380:
	s_clause 0x1
	buffer_load_dword v1, off, s[0:3], 0 offset:64
	buffer_load_dword v2, off, s[0:3], 0 offset:68
	v_mov_b32_e32 v3, 0
	buffer_store_dword v3, off, s[0:3], 0 offset:64
	buffer_store_dword v3, off, s[0:3], 0 offset:68
	s_waitcnt vmcnt(0)
	ds_write_b64 v141, v[1:2]
.LBB127_381:
	s_or_b32 exec_lo, exec_lo, s4
	s_waitcnt lgkmcnt(0)
	s_waitcnt_vscnt null, 0x0
	s_barrier
	buffer_gl0_inv
	s_clause 0x3c
	buffer_load_dword v2, off, s[0:3], 0 offset:76
	buffer_load_dword v3, off, s[0:3], 0 offset:84
	;; [unrolled: 1-line block ×61, first 2 shown]
	v_mov_b32_e32 v1, 0
	ds_read2_b64 v[190:193], v1 offset0:73 offset1:74
	ds_read2_b64 v[194:197], v1 offset0:75 offset1:76
	buffer_load_dword v188, off, s[0:3], 0 offset:68
	s_mov_b32 s4, exec_lo
	s_waitcnt vmcnt(61) lgkmcnt(1)
	v_mul_f32_e32 v201, v190, v2
	v_mul_f32_e32 v2, v191, v2
	s_waitcnt vmcnt(60)
	v_mul_f32_e32 v202, v192, v3
	v_mul_f32_e32 v3, v193, v3
	s_waitcnt vmcnt(59) lgkmcnt(0)
	v_mul_f32_e32 v203, v194, v4
	v_mul_f32_e32 v204, v195, v4
	s_waitcnt vmcnt(58)
	v_mul_f32_e32 v205, v196, v5
	v_mul_f32_e32 v206, v197, v5
	s_waitcnt vmcnt(55)
	v_fmac_f32_e32 v201, v191, v8
	v_fma_f32 v8, v190, v8, -v2
	v_fmac_f32_e32 v202, v193, v7
	v_fma_f32 v7, v192, v7, -v3
	ds_read2_b64 v[2:5], v1 offset0:77 offset1:78
	ds_read2_b64 v[190:193], v1 offset0:79 offset1:80
	v_fmac_f32_e32 v203, v195, v6
	v_fma_f32 v6, v194, v6, -v204
	s_waitcnt vmcnt(51)
	v_fma_f32 v194, v196, v172, -v206
	v_fmac_f32_e32 v205, v197, v172
	v_add_f32_e32 v8, 0, v8
	v_add_f32_e32 v7, v8, v7
	;; [unrolled: 1-line block ×3, first 2 shown]
	s_waitcnt vmcnt(50) lgkmcnt(1)
	v_mul_f32_e32 v195, v2, v169
	v_mul_f32_e32 v169, v3, v169
	s_waitcnt vmcnt(49)
	v_mul_f32_e32 v196, v4, v167
	v_mul_f32_e32 v167, v5, v167
	s_waitcnt vmcnt(48) lgkmcnt(0)
	v_mul_f32_e32 v197, v190, v164
	v_fmac_f32_e32 v195, v3, v151
	v_fma_f32 v151, v2, v151, -v169
	v_fmac_f32_e32 v196, v5, v147
	v_fma_f32 v167, v4, v147, -v167
	ds_read2_b64 v[2:5], v1 offset0:81 offset1:82
	v_mul_f32_e32 v164, v191, v164
	s_waitcnt vmcnt(47)
	v_mul_f32_e32 v204, v192, v162
	v_mul_f32_e32 v162, v193, v162
	v_fmac_f32_e32 v197, v191, v142
	v_fma_f32 v142, v190, v142, -v164
	s_waitcnt vmcnt(43)
	v_fmac_f32_e32 v204, v193, v177
	v_fma_f32 v169, v192, v177, -v162
	ds_read2_b64 v[190:193], v1 offset0:83 offset1:84
	s_waitcnt vmcnt(42) lgkmcnt(1)
	v_mul_f32_e32 v177, v2, v176
	v_mul_f32_e32 v147, v3, v176
	s_waitcnt vmcnt(41)
	v_mul_f32_e32 v176, v4, v175
	v_mul_f32_e32 v162, v5, v175
	v_fmac_f32_e32 v177, v3, v157
	v_fma_f32 v157, v2, v157, -v147
	v_fmac_f32_e32 v176, v5, v154
	v_fma_f32 v154, v4, v154, -v162
	ds_read2_b64 v[2:5], v1 offset0:85 offset1:86
	s_waitcnt vmcnt(40) lgkmcnt(1)
	v_mul_f32_e32 v175, v190, v173
	s_waitcnt vmcnt(39)
	v_mul_f32_e32 v206, v192, v171
	v_mul_f32_e32 v171, v193, v171
	;; [unrolled: 1-line block ×3, first 2 shown]
	v_fmac_f32_e32 v175, v191, v148
	s_waitcnt vmcnt(35)
	v_fmac_f32_e32 v206, v193, v174
	v_fma_f32 v191, v192, v174, -v171
	ds_read2_b64 v[171:174], v1 offset0:87 offset1:88
	v_fma_f32 v190, v190, v148, -v164
	s_waitcnt vmcnt(34) lgkmcnt(1)
	v_mul_f32_e32 v192, v2, v170
	v_mul_f32_e32 v147, v3, v170
	s_waitcnt vmcnt(33)
	v_mul_f32_e32 v170, v4, v168
	v_mul_f32_e32 v148, v5, v168
	v_fmac_f32_e32 v192, v3, v152
	v_fma_f32 v152, v2, v152, -v147
	v_fmac_f32_e32 v170, v5, v149
	v_fma_f32 v207, v4, v149, -v148
	ds_read2_b64 v[2:5], v1 offset0:89 offset1:90
	s_waitcnt vmcnt(32) lgkmcnt(1)
	v_mul_f32_e32 v168, v171, v165
	v_mul_f32_e32 v162, v172, v165
	s_waitcnt vmcnt(31)
	v_mul_f32_e32 v193, v173, v163
	v_mul_f32_e32 v163, v174, v163
	v_fmac_f32_e32 v168, v172, v143
	v_fma_f32 v143, v171, v143, -v162
	s_waitcnt vmcnt(27)
	v_fmac_f32_e32 v193, v174, v166
	v_fma_f32 v166, v173, v166, -v163
	ds_read2_b64 v[162:165], v1 offset0:91 offset1:92
	s_waitcnt vmcnt(26) lgkmcnt(1)
	v_mul_f32_e32 v171, v2, v161
	v_mul_f32_e32 v147, v3, v161
	s_waitcnt vmcnt(25)
	v_mul_f32_e32 v161, v4, v160
	v_mul_f32_e32 v148, v5, v160
	v_fmac_f32_e32 v171, v3, v146
	v_fma_f32 v172, v2, v146, -v147
	v_fmac_f32_e32 v161, v5, v144
	v_fma_f32 v144, v4, v144, -v148
	ds_read2_b64 v[2:5], v1 offset0:93 offset1:94
	s_waitcnt vmcnt(24) lgkmcnt(1)
	v_mul_f32_e32 v160, v162, v158
	v_mul_f32_e32 v149, v163, v158
	s_waitcnt vmcnt(23)
	v_mul_f32_e32 v158, v164, v156
	v_mul_f32_e32 v156, v165, v156
	v_fmac_f32_e32 v160, v163, v10
	v_fma_f32 v10, v162, v10, -v149
	ds_read2_b64 v[146:149], v1 offset0:95 offset1:96
	s_waitcnt vmcnt(19)
	v_fmac_f32_e32 v158, v165, v159
	v_fma_f32 v156, v164, v159, -v156
	buffer_load_dword v159, off, s[0:3], 0 offset:316
	s_waitcnt vmcnt(18) lgkmcnt(1)
	v_mul_f32_e32 v163, v4, v153
	v_mul_f32_e32 v153, v5, v153
	;; [unrolled: 1-line block ×4, first 2 shown]
	v_fmac_f32_e32 v163, v5, v11
	v_fma_f32 v11, v4, v11, -v153
	s_clause 0x4
	buffer_load_dword v153, off, s[0:3], 0 offset:324
	buffer_load_dword v165, off, s[0:3], 0 offset:344
	;; [unrolled: 1-line block ×5, first 2 shown]
	s_waitcnt vmcnt(22) lgkmcnt(0)
	v_mul_f32_e32 v164, v146, v150
	v_mul_f32_e32 v150, v147, v150
	v_fmac_f32_e32 v162, v3, v145
	v_fma_f32 v145, v2, v145, -v155
	s_waitcnt vmcnt(21)
	v_mul_f32_e32 v2, v149, v12
	v_mul_f32_e32 v155, v148, v12
	v_fmac_f32_e32 v164, v147, v9
	v_fma_f32 v12, v146, v9, -v150
	v_add_f32_e32 v9, 0, v201
	s_waitcnt vmcnt(17)
	v_fma_f32 v146, v148, v186, -v2
	ds_read2_b64 v[2:5], v1 offset0:97 offset1:98
	buffer_load_dword v147, off, s[0:3], 0 offset:332
	v_add_f32_e32 v148, v6, v194
	v_add_f32_e32 v8, v9, v202
	v_fmac_f32_e32 v155, v149, v186
	s_clause 0x2
	buffer_load_dword v150, off, s[0:3], 0 offset:340
	buffer_load_dword v186, off, s[0:3], 0 offset:348
	;; [unrolled: 1-line block ×3, first 2 shown]
	v_add_f32_e32 v148, v148, v151
	v_add_f32_e32 v7, v8, v203
	;; [unrolled: 1-line block ×4, first 2 shown]
	ds_read2_b64 v[6:9], v1 offset0:99 offset1:100
	buffer_load_dword v167, off, s[0:3], 0 offset:364
	v_add_f32_e32 v149, v149, v195
	s_waitcnt vmcnt(21) lgkmcnt(1)
	v_mul_f32_e32 v151, v2, v185
	v_mul_f32_e32 v185, v3, v185
	s_waitcnt vmcnt(20)
	v_mul_f32_e32 v195, v4, v184
	v_mul_f32_e32 v184, v5, v184
	v_fmac_f32_e32 v151, v3, v183
	v_fma_f32 v183, v2, v183, -v185
	v_add_f32_e32 v2, v149, v196
	v_fmac_f32_e32 v195, v5, v182
	v_fma_f32 v182, v4, v182, -v184
	s_clause 0x3
	buffer_load_dword v184, off, s[0:3], 0 offset:376
	buffer_load_dword v185, off, s[0:3], 0 offset:368
	;; [unrolled: 1-line block ×4, first 2 shown]
	v_add_f32_e32 v3, v148, v142
	v_add_f32_e32 v2, v2, v197
	s_waitcnt vmcnt(23) lgkmcnt(0)
	v_mul_f32_e32 v149, v6, v180
	v_add_f32_e32 v142, v3, v169
	s_clause 0x2
	buffer_load_dword v169, off, s[0:3], 0 offset:372
	buffer_load_dword v197, off, s[0:3], 0 offset:380
	;; [unrolled: 1-line block ×3, first 2 shown]
	v_add_f32_e32 v148, v2, v204
	ds_read2_b64 v[2:5], v1 offset0:101 offset1:102
	v_fmac_f32_e32 v149, v7, v178
	v_add_f32_e32 v142, v142, v157
	v_mul_f32_e32 v157, v7, v180
	v_add_f32_e32 v148, v148, v177
	s_waitcnt vmcnt(25)
	v_mul_f32_e32 v177, v8, v179
	v_mul_f32_e32 v179, v9, v179
	v_add_f32_e32 v7, v142, v154
	v_fma_f32 v154, v6, v178, -v157
	v_add_f32_e32 v6, v148, v176
	s_waitcnt vmcnt(21)
	v_fmac_f32_e32 v177, v9, v199
	v_fma_f32 v157, v8, v199, -v179
	v_add_f32_e32 v142, v7, v190
	s_clause 0x4
	buffer_load_dword v176, off, s[0:3], 0 offset:408
	buffer_load_dword v178, off, s[0:3], 0 offset:400
	;; [unrolled: 1-line block ×5, first 2 shown]
	v_add_f32_e32 v148, v6, v175
	ds_read2_b64 v[6:9], v1 offset0:103 offset1:104
	v_add_f32_e32 v142, v142, v191
	v_add_f32_e32 v148, v148, v206
	s_waitcnt vmcnt(25) lgkmcnt(1)
	v_mul_f32_e32 v191, v3, v200
	v_mul_f32_e32 v175, v2, v200
	v_add_f32_e32 v142, v142, v152
	s_clause 0x2
	buffer_load_dword v199, off, s[0:3], 0 offset:404
	buffer_load_dword v200, off, s[0:3], 0 offset:412
	;; [unrolled: 1-line block ×3, first 2 shown]
	v_fma_f32 v152, v2, v198, -v191
	v_add_f32_e32 v2, v148, v192
	v_fmac_f32_e32 v175, v3, v198
	v_add_f32_e32 v3, v142, v207
	s_waitcnt vmcnt(27)
	v_mul_f32_e32 v191, v4, v189
	s_clause 0x1
	buffer_load_dword v192, off, s[0:3], 0 offset:428
	buffer_load_dword v198, off, s[0:3], 0 offset:436
	v_add_f32_e32 v2, v2, v170
	v_mul_f32_e32 v142, v5, v189
	v_add_f32_e32 v3, v3, v143
	s_clause 0x2
	buffer_load_dword v170, off, s[0:3], 0 offset:444
	buffer_load_dword v189, off, s[0:3], 0 offset:452
	;; [unrolled: 1-line block ×3, first 2 shown]
	v_add_f32_e32 v2, v2, v168
	v_fmac_f32_e32 v191, v5, v187
	v_add_f32_e32 v3, v3, v166
	s_clause 0x2
	buffer_load_dword v166, off, s[0:3], 0 offset:468
	buffer_load_dword v168, off, s[0:3], 0 offset:476
	;; [unrolled: 1-line block ×3, first 2 shown]
	v_fma_f32 v187, v4, v187, -v142
	v_add_f32_e32 v2, v2, v193
	v_add_f32_e32 v3, v3, v172
	s_clause 0x2
	buffer_load_dword v172, off, s[0:3], 0 offset:492
	buffer_load_dword v193, off, s[0:3], 0 offset:500
	;; [unrolled: 1-line block ×3, first 2 shown]
	v_add_f32_e32 v2, v2, v171
	s_clause 0x7
	buffer_load_dword v171, off, s[0:3], 0 offset:440
	buffer_load_dword v207, off, s[0:3], 0 offset:432
	;; [unrolled: 1-line block ×8, first 2 shown]
	v_add_f32_e32 v3, v3, v144
	v_add_f32_e32 v2, v2, v161
	v_add_f32_e32 v3, v3, v10
	v_add_f32_e32 v2, v2, v160
	v_add_f32_e32 v3, v3, v156
	v_add_f32_e32 v2, v2, v158
	v_add_f32_e32 v3, v3, v145
	v_add_f32_e32 v2, v2, v162
	s_clause 0x3
	buffer_load_dword v162, off, s[0:3], 0 offset:504
	buffer_load_dword v215, off, s[0:3], 0 offset:496
	;; [unrolled: 1-line block ×4, first 2 shown]
	v_add_f32_e32 v3, v3, v11
	v_add_f32_e32 v2, v2, v163
	buffer_load_dword v163, off, s[0:3], 0 offset:64
	v_add_f32_e32 v3, v3, v12
	v_add_f32_e32 v2, v2, v164
	s_waitcnt vmcnt(49) lgkmcnt(0)
	v_mul_f32_e32 v10, v6, v159
	v_mul_f32_e32 v4, v7, v159
	v_fmac_f32_e32 v10, v7, v181
	v_fma_f32 v11, v6, v181, -v4
	v_add_f32_e32 v6, v3, v146
	v_add_f32_e32 v7, v2, v155
	ds_read2_b64 v[2:5], v1 offset0:105 offset1:106
	v_add_f32_e32 v12, v6, v183
	s_waitcnt vmcnt(48)
	v_mul_f32_e32 v155, v8, v153
	v_mul_f32_e32 v6, v9, v153
	v_add_f32_e32 v142, v7, v151
	v_add_f32_e32 v12, v12, v182
	s_waitcnt vmcnt(44)
	v_fmac_f32_e32 v155, v9, v208
	v_fma_f32 v156, v8, v208, -v6
	ds_read2_b64 v[6:9], v1 offset0:107 offset1:108
	v_add_f32_e32 v146, v142, v195
	v_add_f32_e32 v12, v12, v154
	ds_read2_b64 v[142:145], v1 offset0:109 offset1:110
	v_add_f32_e32 v146, v146, v149
	v_add_f32_e32 v12, v12, v157
	s_waitcnt vmcnt(43) lgkmcnt(2)
	v_mul_f32_e32 v158, v2, v147
	v_mul_f32_e32 v147, v3, v147
	v_fmac_f32_e32 v158, v3, v174
	v_fma_f32 v159, v2, v174, -v147
	v_add_f32_e32 v2, v146, v177
	v_add_f32_e32 v3, v12, v152
	ds_read2_b64 v[146:149], v1 offset0:111 offset1:112
	s_waitcnt vmcnt(42)
	v_mul_f32_e32 v12, v4, v150
	s_waitcnt vmcnt(41) lgkmcnt(2)
	v_mul_f32_e32 v151, v7, v186
	v_add_f32_e32 v2, v2, v175
	v_add_f32_e32 v3, v3, v187
	v_mul_f32_e32 v164, v6, v186
	v_mul_f32_e32 v150, v5, v150
	v_fma_f32 v161, v6, v165, -v151
	v_add_f32_e32 v2, v2, v191
	v_add_f32_e32 v6, v3, v11
	v_fmac_f32_e32 v164, v7, v165
	s_waitcnt vmcnt(39) lgkmcnt(1)
	v_mul_f32_e32 v175, v142, v167
	v_fma_f32 v160, v4, v173, -v150
	v_add_f32_e32 v7, v2, v10
	v_mul_f32_e32 v10, v143, v167
	v_add_f32_e32 v11, v6, v156
	v_fmac_f32_e32 v12, v5, v173
	v_mul_f32_e32 v154, v9, v194
	v_mul_f32_e32 v174, v8, v194
	s_waitcnt vmcnt(36)
	v_fma_f32 v167, v142, v196, -v10
	v_add_f32_e32 v10, v7, v155
	v_add_f32_e32 v11, v11, v159
	s_waitcnt vmcnt(35)
	v_fma_f32 v165, v8, v201, -v154
	ds_read2_b64 v[2:5], v1 offset0:113 offset1:114
	ds_read2_b64 v[150:153], v1 offset0:115 offset1:116
	v_fmac_f32_e32 v174, v9, v201
	v_add_f32_e32 v10, v10, v158
	v_add_f32_e32 v11, v11, v160
	s_waitcnt vmcnt(34)
	v_mul_f32_e32 v142, v145, v169
	v_fmac_f32_e32 v175, v143, v196
	v_mul_f32_e32 v173, v144, v169
	v_add_f32_e32 v10, v10, v12
	v_add_f32_e32 v12, v11, v161
	s_waitcnt vmcnt(33) lgkmcnt(2)
	v_mul_f32_e32 v143, v147, v197
	v_fma_f32 v182, v144, v185, -v142
	v_mul_f32_e32 v169, v146, v197
	v_add_f32_e32 v164, v10, v164
	v_add_f32_e32 v12, v12, v165
	v_fmac_f32_e32 v173, v145, v185
	s_waitcnt vmcnt(32)
	v_mul_f32_e32 v177, v148, v202
	v_mul_f32_e32 v181, v149, v202
	v_add_f32_e32 v164, v164, v174
	v_add_f32_e32 v12, v12, v167
	v_fma_f32 v183, v146, v184, -v143
	v_fmac_f32_e32 v169, v147, v184
	s_waitcnt vmcnt(28)
	v_fmac_f32_e32 v177, v149, v180
	v_add_f32_e32 v164, v164, v175
	v_add_f32_e32 v12, v12, v182
	v_fma_f32 v180, v148, v180, -v181
	s_waitcnt vmcnt(27) lgkmcnt(1)
	v_mul_f32_e32 v181, v3, v190
	ds_read2_b64 v[6:9], v1 offset0:117 offset1:118
	ds_read2_b64 v[154:157], v1 offset0:119 offset1:120
	v_add_f32_e32 v164, v164, v173
	v_add_f32_e32 v12, v12, v183
	v_mul_f32_e32 v165, v2, v190
	s_waitcnt vmcnt(26)
	v_mul_f32_e32 v184, v5, v199
	v_fma_f32 v2, v2, v179, -v181
	v_add_f32_e32 v164, v164, v169
	v_add_f32_e32 v12, v12, v180
	v_mul_f32_e32 v174, v4, v199
	v_fmac_f32_e32 v165, v3, v179
	s_waitcnt vmcnt(25) lgkmcnt(2)
	v_mul_f32_e32 v181, v151, v200
	v_add_f32_e32 v164, v164, v177
	v_fma_f32 v4, v4, v178, -v184
	v_add_f32_e32 v2, v12, v2
	v_mul_f32_e32 v167, v150, v200
	v_fmac_f32_e32 v174, v5, v178
	v_add_f32_e32 v12, v164, v165
	s_waitcnt vmcnt(24)
	v_mul_f32_e32 v177, v153, v203
	v_fma_f32 v150, v150, v176, -v181
	v_add_f32_e32 v2, v2, v4
	v_mul_f32_e32 v175, v152, v203
	v_fmac_f32_e32 v167, v151, v176
	v_add_f32_e32 v4, v12, v174
	s_waitcnt vmcnt(23) lgkmcnt(1)
	v_mul_f32_e32 v12, v7, v192
	v_add_f32_e32 v2, v2, v150
	ds_read2_b64 v[142:145], v1 offset0:121 offset1:122
	ds_read2_b64 v[158:161], v1 offset0:123 offset1:124
	s_waitcnt vmcnt(9)
	v_fma_f32 v151, v152, v210, -v177
	v_mul_f32_e32 v3, v6, v192
	v_fmac_f32_e32 v175, v153, v210
	v_add_f32_e32 v4, v4, v167
	v_mul_f32_e32 v150, v9, v198
	v_fma_f32 v6, v6, v209, -v12
	v_add_f32_e32 v2, v2, v151
	v_mul_f32_e32 v179, v8, v198
	v_fmac_f32_e32 v3, v7, v209
	v_add_f32_e32 v4, v4, v175
	s_waitcnt lgkmcnt(2)
	v_mul_f32_e32 v7, v155, v170
	v_fma_f32 v8, v8, v207, -v150
	v_add_f32_e32 v2, v2, v6
	v_mul_f32_e32 v173, v154, v170
	v_fmac_f32_e32 v179, v9, v207
	v_add_f32_e32 v3, v4, v3
	v_mul_f32_e32 v4, v157, v189
	v_fma_f32 v6, v154, v171, -v7
	v_add_f32_e32 v2, v2, v8
	v_mul_f32_e32 v5, v156, v189
	v_fmac_f32_e32 v173, v155, v171
	v_add_f32_e32 v3, v3, v179
	s_waitcnt lgkmcnt(1)
	v_mul_f32_e32 v7, v143, v204
	s_waitcnt vmcnt(5)
	v_fma_f32 v4, v156, v214, -v4
	v_add_f32_e32 v2, v2, v6
	ds_read2_b64 v[146:149], v1 offset0:125 offset1:126
	ds_read_b64 v[10:11], v1 offset:1016
	v_mul_f32_e32 v178, v142, v204
	v_fmac_f32_e32 v5, v157, v214
	v_add_f32_e32 v3, v3, v173
	v_mul_f32_e32 v6, v145, v166
	v_fma_f32 v7, v142, v213, -v7
	v_add_f32_e32 v2, v2, v4
	v_mul_f32_e32 v169, v144, v166
	v_fmac_f32_e32 v178, v143, v213
	v_add_f32_e32 v3, v3, v5
	s_waitcnt lgkmcnt(2)
	v_mul_f32_e32 v4, v159, v168
	v_fma_f32 v5, v144, v212, -v6
	v_add_f32_e32 v2, v2, v7
	v_mul_f32_e32 v182, v158, v168
	v_fmac_f32_e32 v169, v145, v212
	v_add_f32_e32 v3, v3, v178
	v_mul_f32_e32 v6, v161, v205
	v_fma_f32 v4, v158, v211, -v4
	v_add_f32_e32 v2, v2, v5
	v_mul_f32_e32 v183, v160, v205
	v_fmac_f32_e32 v182, v159, v211
	v_add_f32_e32 v3, v3, v169
	s_waitcnt lgkmcnt(1)
	v_mul_f32_e32 v5, v147, v172
	s_waitcnt vmcnt(1)
	v_fma_f32 v6, v160, v217, -v6
	v_add_f32_e32 v2, v2, v4
	v_mul_f32_e32 v180, v146, v172
	v_fmac_f32_e32 v183, v161, v217
	v_add_f32_e32 v3, v3, v182
	v_mul_f32_e32 v4, v149, v193
	v_fma_f32 v5, v146, v216, -v5
	v_add_f32_e32 v2, v2, v6
	v_mul_f32_e32 v184, v148, v193
	v_fmac_f32_e32 v180, v147, v216
	v_add_f32_e32 v3, v3, v183
	s_waitcnt lgkmcnt(0)
	v_mul_f32_e32 v6, v11, v206
	v_fma_f32 v4, v148, v215, -v4
	v_add_f32_e32 v2, v2, v5
	v_mul_f32_e32 v164, v10, v206
	v_fmac_f32_e32 v184, v149, v215
	v_add_f32_e32 v3, v3, v180
	v_fma_f32 v5, v10, v162, -v6
	v_add_f32_e32 v2, v2, v4
	v_fmac_f32_e32 v164, v11, v162
	v_add_f32_e32 v3, v3, v184
	v_add_f32_e32 v2, v2, v5
	;; [unrolled: 1-line block ×3, first 2 shown]
	s_waitcnt vmcnt(0)
	v_sub_f32_e32 v2, v163, v2
	v_sub_f32_e32 v3, v188, v3
	buffer_store_dword v2, off, s[0:3], 0 offset:64
	buffer_store_dword v3, off, s[0:3], 0 offset:68
	v_cmpx_lt_u32_e32 7, v0
	s_cbranch_execz .LBB127_383
; %bb.382:
	s_clause 0x1
	buffer_load_dword v2, off, s[0:3], 0 offset:56
	buffer_load_dword v3, off, s[0:3], 0 offset:60
	buffer_store_dword v1, off, s[0:3], 0 offset:56
	buffer_store_dword v1, off, s[0:3], 0 offset:60
	s_waitcnt vmcnt(0)
	ds_write_b64 v141, v[2:3]
.LBB127_383:
	s_or_b32 exec_lo, exec_lo, s4
	s_waitcnt lgkmcnt(0)
	s_waitcnt_vscnt null, 0x0
	s_barrier
	buffer_gl0_inv
	s_clause 0x34
	buffer_load_dword v177, off, s[0:3], 0 offset:68
	buffer_load_dword v178, off, s[0:3], 0 offset:76
	;; [unrolled: 1-line block ×53, first 2 shown]
	ds_read_b128 v[185:188], v1 offset:576
	ds_read_b128 v[189:192], v1 offset:592
	ds_read_b128 v[193:196], v1 offset:608
	ds_read_b128 v[197:200], v1 offset:624
	s_mov_b32 s4, exec_lo
	s_waitcnt vmcnt(52) lgkmcnt(3)
	v_mul_f32_e32 v180, v185, v177
	v_mul_f32_e32 v201, v186, v177
	s_waitcnt vmcnt(51)
	v_mul_f32_e32 v177, v187, v178
	v_mul_f32_e32 v202, v188, v178
	buffer_load_dword v178, off, s[0:3], 0 offset:60
	s_waitcnt vmcnt(49)
	v_fmac_f32_e32 v180, v186, v6
	v_fma_f32 v201, v185, v6, -v201
	v_fmac_f32_e32 v177, v188, v5
	v_fma_f32 v202, v187, v5, -v202
	ds_read_b128 v[185:188], v1 offset:640
	s_waitcnt vmcnt(48) lgkmcnt(3)
	v_mul_f32_e32 v203, v189, v4
	v_mul_f32_e32 v4, v190, v4
	s_waitcnt vmcnt(47)
	v_mul_f32_e32 v204, v191, v3
	v_mul_f32_e32 v3, v192, v3
	s_waitcnt vmcnt(46) lgkmcnt(2)
	v_mul_f32_e32 v205, v193, v8
	v_fmac_f32_e32 v203, v190, v2
	v_fma_f32 v207, v189, v2, -v4
	s_waitcnt vmcnt(41)
	v_fmac_f32_e32 v204, v192, v143
	v_fma_f32 v143, v191, v143, -v3
	ds_read_b128 v[2:5], v1 offset:656
	ds_read_b128 v[189:192], v1 offset:672
	v_mul_f32_e32 v6, v194, v8
	v_mul_f32_e32 v206, v195, v7
	;; [unrolled: 1-line block ×3, first 2 shown]
	v_fmac_f32_e32 v205, v194, v142
	v_fma_f32 v142, v193, v142, -v6
	v_fmac_f32_e32 v206, v196, v11
	v_fma_f32 v11, v195, v11, -v7
	s_waitcnt vmcnt(40) lgkmcnt(3)
	v_mul_f32_e32 v193, v197, v12
	v_mul_f32_e32 v6, v198, v12
	s_waitcnt vmcnt(39)
	v_mul_f32_e32 v12, v199, v10
	v_mul_f32_e32 v7, v200, v10
	s_waitcnt vmcnt(34) lgkmcnt(2)
	v_mul_f32_e32 v195, v185, v174
	v_fmac_f32_e32 v193, v198, v9
	v_fma_f32 v194, v197, v9, -v6
	v_fmac_f32_e32 v12, v200, v175
	v_fma_f32 v175, v199, v175, -v7
	ds_read_b128 v[6:9], v1 offset:688
	v_mul_f32_e32 v174, v186, v174
	s_waitcnt vmcnt(33)
	v_mul_f32_e32 v196, v187, v173
	v_mul_f32_e32 v173, v188, v173
	s_waitcnt vmcnt(32) lgkmcnt(2)
	v_mul_f32_e32 v197, v2, v172
	v_mul_f32_e32 v172, v3, v172
	v_fmac_f32_e32 v195, v186, v167
	v_fma_f32 v174, v185, v167, -v174
	s_waitcnt vmcnt(31)
	v_mul_f32_e32 v185, v4, v171
	v_mul_f32_e32 v167, v5, v171
	v_fmac_f32_e32 v196, v188, v163
	v_fma_f32 v163, v187, v163, -v173
	s_waitcnt vmcnt(30) lgkmcnt(1)
	v_mul_f32_e32 v171, v189, v168
	v_mul_f32_e32 v173, v190, v168
	s_waitcnt vmcnt(29)
	v_mul_f32_e32 v186, v191, v169
	v_mul_f32_e32 v187, v192, v169
	buffer_load_dword v10, off, s[0:3], 0 offset:276
	v_fmac_f32_e32 v197, v3, v153
	v_fma_f32 v153, v2, v153, -v172
	s_waitcnt vmcnt(26)
	v_fmac_f32_e32 v185, v5, v170
	v_fma_f32 v172, v4, v170, -v167
	ds_read_b128 v[2:5], v1 offset:704
	ds_read_b128 v[167:170], v1 offset:720
	v_fmac_f32_e32 v171, v190, v166
	v_fma_f32 v166, v189, v166, -v173
	v_fmac_f32_e32 v186, v192, v164
	v_fma_f32 v164, v191, v164, -v187
	s_clause 0x4
	buffer_load_dword v173, off, s[0:3], 0 offset:284
	buffer_load_dword v187, off, s[0:3], 0 offset:304
	;; [unrolled: 1-line block ×5, first 2 shown]
	s_waitcnt vmcnt(30) lgkmcnt(2)
	v_mul_f32_e32 v191, v6, v159
	v_mul_f32_e32 v159, v7, v159
	s_waitcnt vmcnt(29)
	v_mul_f32_e32 v192, v8, v157
	v_mul_f32_e32 v157, v9, v157
	v_fmac_f32_e32 v191, v7, v149
	v_fma_f32 v149, v6, v149, -v159
	s_waitcnt vmcnt(25)
	v_fmac_f32_e32 v192, v9, v165
	v_fma_f32 v157, v8, v165, -v157
	ds_read_b128 v[6:9], v1 offset:736
	s_waitcnt vmcnt(24) lgkmcnt(2)
	v_mul_f32_e32 v159, v2, v162
	v_mul_f32_e32 v162, v3, v162
	s_waitcnt vmcnt(23)
	v_mul_f32_e32 v165, v4, v161
	v_mul_f32_e32 v161, v5, v161
	v_fmac_f32_e32 v159, v3, v154
	v_fma_f32 v154, v2, v154, -v162
	s_waitcnt vmcnt(22) lgkmcnt(1)
	v_mul_f32_e32 v162, v167, v158
	v_mul_f32_e32 v2, v168, v158
	v_fmac_f32_e32 v165, v5, v150
	v_fma_f32 v150, v4, v150, -v161
	s_waitcnt vmcnt(21)
	v_mul_f32_e32 v158, v169, v152
	v_mul_f32_e32 v3, v170, v152
	s_clause 0x1
	buffer_load_dword v152, off, s[0:3], 0 offset:292
	buffer_load_dword v161, off, s[0:3], 0 offset:300
	v_fmac_f32_e32 v162, v168, v145
	v_fma_f32 v145, v167, v145, -v2
	s_waitcnt vmcnt(19)
	v_fmac_f32_e32 v158, v170, v160
	v_fma_f32 v160, v169, v160, -v3
	ds_read_b128 v[2:5], v1 offset:752
	s_waitcnt vmcnt(18) lgkmcnt(1)
	v_mul_f32_e32 v167, v6, v156
	v_mul_f32_e32 v156, v7, v156
	s_waitcnt vmcnt(17)
	v_mul_f32_e32 v168, v8, v155
	v_mul_f32_e32 v155, v9, v155
	v_fmac_f32_e32 v167, v7, v151
	v_fma_f32 v151, v6, v151, -v156
	v_fmac_f32_e32 v168, v9, v146
	v_fma_f32 v146, v8, v146, -v155
	ds_read_b128 v[6:9], v1 offset:768
	buffer_load_dword v155, off, s[0:3], 0 offset:308
	s_waitcnt vmcnt(16) lgkmcnt(1)
	v_mul_f32_e32 v169, v4, v147
	v_mul_f32_e32 v147, v5, v147
	;; [unrolled: 1-line block ×4, first 2 shown]
	s_waitcnt vmcnt(12)
	v_fmac_f32_e32 v169, v5, v184
	v_fma_f32 v147, v4, v184, -v147
	buffer_load_dword v184, off, s[0:3], 0 offset:316
	v_fmac_f32_e32 v156, v3, v144
	v_fma_f32 v144, v2, v144, -v148
	s_waitcnt vmcnt(12) lgkmcnt(0)
	v_mul_f32_e32 v148, v6, v183
	v_mul_f32_e32 v170, v7, v183
	s_waitcnt vmcnt(11)
	v_mul_f32_e32 v183, v8, v182
	v_mul_f32_e32 v182, v9, v182
	ds_read_b128 v[2:5], v1 offset:784
	v_fmac_f32_e32 v148, v7, v181
	v_fma_f32 v170, v6, v181, -v170
	v_fmac_f32_e32 v183, v9, v179
	v_fma_f32 v179, v8, v179, -v182
	s_clause 0x4
	buffer_load_dword v181, off, s[0:3], 0 offset:336
	buffer_load_dword v182, off, s[0:3], 0 offset:328
	;; [unrolled: 1-line block ×5, first 2 shown]
	v_add_f32_e32 v6, 0, v201
	v_add_f32_e32 v7, 0, v180
	buffer_load_dword v201, off, s[0:3], 0 offset:332
	v_add_f32_e32 v6, v6, v202
	v_add_f32_e32 v7, v7, v177
	s_clause 0x1
	buffer_load_dword v177, off, s[0:3], 0 offset:340
	buffer_load_dword v180, off, s[0:3], 0 offset:348
	v_add_f32_e32 v6, v6, v207
	v_add_f32_e32 v7, v7, v203
	;; [unrolled: 1-line block ×4, first 2 shown]
	s_clause 0x3
	buffer_load_dword v202, off, s[0:3], 0 offset:368
	buffer_load_dword v203, off, s[0:3], 0 offset:360
	;; [unrolled: 1-line block ×4, first 2 shown]
	v_add_f32_e32 v6, v6, v142
	v_add_f32_e32 v7, v7, v205
	;; [unrolled: 1-line block ×4, first 2 shown]
	s_clause 0x3
	buffer_load_dword v11, off, s[0:3], 0 offset:356
	buffer_load_dword v205, off, s[0:3], 0 offset:364
	;; [unrolled: 1-line block ×4, first 2 shown]
	v_add_f32_e32 v6, v6, v194
	v_add_f32_e32 v7, v7, v193
	;; [unrolled: 1-line block ×14, first 2 shown]
	s_waitcnt vmcnt(25) lgkmcnt(0)
	v_mul_f32_e32 v142, v2, v10
	v_mul_f32_e32 v8, v3, v10
	v_fmac_f32_e32 v142, v3, v176
	s_waitcnt vmcnt(24)
	v_mul_f32_e32 v10, v4, v173
	v_mul_f32_e32 v9, v5, v173
	v_fma_f32 v143, v2, v176, -v8
	s_waitcnt vmcnt(20)
	v_fmac_f32_e32 v10, v5, v190
	v_fma_f32 v12, v4, v190, -v9
	ds_read_b128 v[2:5], v1 offset:800
	s_clause 0x6
	buffer_load_dword v173, off, s[0:3], 0 offset:400
	buffer_load_dword v174, off, s[0:3], 0 offset:392
	;; [unrolled: 1-line block ×7, first 2 shown]
	ds_read_b128 v[6:9], v1 offset:816
	s_waitcnt vmcnt(26) lgkmcnt(1)
	v_mul_f32_e32 v185, v2, v152
	v_mul_f32_e32 v152, v3, v152
	s_waitcnt vmcnt(25)
	v_mul_f32_e32 v172, v4, v161
	v_mul_f32_e32 v161, v5, v161
	v_fmac_f32_e32 v185, v3, v189
	v_add_f32_e32 v3, v153, v186
	v_fma_f32 v152, v2, v189, -v152
	v_add_f32_e32 v2, v166, v164
	v_fma_f32 v153, v4, v188, -v161
	s_clause 0x3
	buffer_load_dword v164, off, s[0:3], 0 offset:412
	buffer_load_dword v166, off, s[0:3], 0 offset:420
	buffer_load_dword v171, off, s[0:3], 0 offset:428
	buffer_load_dword v186, off, s[0:3], 0 offset:436
	v_add_f32_e32 v3, v3, v191
	v_fmac_f32_e32 v172, v5, v188
	v_add_f32_e32 v2, v2, v149
	s_clause 0x3
	buffer_load_dword v188, off, s[0:3], 0 offset:444
	buffer_load_dword v189, off, s[0:3], 0 offset:452
	;; [unrolled: 1-line block ×4, first 2 shown]
	v_add_f32_e32 v3, v3, v192
	s_waitcnt vmcnt(32) lgkmcnt(0)
	v_mul_f32_e32 v4, v7, v155
	v_add_f32_e32 v2, v2, v157
	v_mul_f32_e32 v157, v6, v155
	s_clause 0x3
	buffer_load_dword v192, off, s[0:3], 0 offset:476
	buffer_load_dword v195, off, s[0:3], 0 offset:484
	;; [unrolled: 1-line block ×4, first 2 shown]
	v_add_f32_e32 v3, v3, v159
	buffer_load_dword v209, off, s[0:3], 0 offset:508
	v_add_f32_e32 v2, v2, v154
	v_fmac_f32_e32 v157, v7, v187
	v_fma_f32 v154, v6, v187, -v4
	v_add_f32_e32 v6, v3, v165
	s_clause 0x3
	buffer_load_dword v165, off, s[0:3], 0 offset:432
	buffer_load_dword v187, off, s[0:3], 0 offset:424
	;; [unrolled: 1-line block ×4, first 2 shown]
	v_add_f32_e32 v2, v2, v150
	v_add_f32_e32 v6, v6, v162
	;; [unrolled: 1-line block ×3, first 2 shown]
	s_waitcnt vmcnt(40)
	v_mul_f32_e32 v2, v9, v184
	v_mul_f32_e32 v150, v8, v184
	v_add_f32_e32 v6, v6, v158
	v_add_f32_e32 v7, v7, v160
	;; [unrolled: 1-line block ×4, first 2 shown]
	s_waitcnt vmcnt(36)
	v_fma_f32 v155, v8, v199, -v2
	ds_read_b128 v[2:5], v1 offset:832
	v_fmac_f32_e32 v150, v9, v199
	s_clause 0x3
	buffer_load_dword v162, off, s[0:3], 0 offset:464
	buffer_load_dword v184, off, s[0:3], 0 offset:456
	;; [unrolled: 1-line block ×4, first 2 shown]
	v_add_f32_e32 v145, v7, v146
	v_add_f32_e32 v146, v6, v168
	ds_read_b128 v[6:9], v1 offset:848
	v_add_f32_e32 v144, v145, v144
	v_add_f32_e32 v146, v146, v156
	s_waitcnt vmcnt(39) lgkmcnt(1)
	v_mul_f32_e32 v158, v2, v200
	v_mul_f32_e32 v145, v3, v200
	s_waitcnt vmcnt(38)
	v_mul_f32_e32 v159, v4, v201
	v_fmac_f32_e32 v158, v3, v198
	v_fma_f32 v156, v2, v198, -v145
	v_add_f32_e32 v3, v146, v169
	s_clause 0x3
	buffer_load_dword v167, off, s[0:3], 0 offset:496
	buffer_load_dword v168, off, s[0:3], 0 offset:488
	;; [unrolled: 1-line block ×4, first 2 shown]
	v_add_f32_e32 v2, v144, v147
	buffer_load_dword v200, off, s[0:3], 0 offset:56
	v_mul_f32_e32 v144, v5, v201
	v_add_f32_e32 v3, v3, v148
	v_fmac_f32_e32 v159, v5, v182
	v_add_f32_e32 v2, v2, v170
	buffer_load_dword v170, off, s[0:3], 0 offset:504
	v_fma_f32 v160, v4, v182, -v144
	v_add_f32_e32 v145, v3, v183
	s_waitcnt vmcnt(43) lgkmcnt(0)
	v_mul_f32_e32 v161, v6, v177
	v_add_f32_e32 v2, v2, v179
	v_add_f32_e32 v147, v145, v142
	v_fmac_f32_e32 v161, v7, v181
	v_add_f32_e32 v146, v2, v143
	ds_read_b128 v[2:5], v1 offset:864
	ds_read_b128 v[142:145], v1 offset:880
	v_add_f32_e32 v10, v147, v10
	s_waitcnt vmcnt(42)
	v_mul_f32_e32 v147, v9, v180
	v_add_f32_e32 v12, v146, v12
	v_mul_f32_e32 v146, v7, v177
	v_mul_f32_e32 v177, v8, v180
	v_add_f32_e32 v10, v10, v185
	s_waitcnt vmcnt(38)
	v_fma_f32 v180, v8, v207, -v147
	v_add_f32_e32 v12, v12, v152
	v_fma_f32 v179, v6, v181, -v146
	v_fmac_f32_e32 v177, v9, v207
	ds_read_b128 v[6:9], v1 offset:896
	ds_read_b128 v[146:149], v1 offset:912
	v_add_f32_e32 v10, v10, v172
	v_add_f32_e32 v12, v12, v153
	;; [unrolled: 1-line block ×4, first 2 shown]
	s_waitcnt vmcnt(36) lgkmcnt(3)
	v_mul_f32_e32 v172, v4, v205
	s_waitcnt vmcnt(35) lgkmcnt(2)
	v_mul_f32_e32 v182, v142, v208
	v_mul_f32_e32 v154, v143, v208
	v_add_f32_e32 v10, v10, v150
	v_add_f32_e32 v12, v12, v155
	v_mul_f32_e32 v151, v5, v205
	v_fmac_f32_e32 v182, v143, v202
	v_fma_f32 v201, v142, v202, -v154
	v_add_f32_e32 v10, v10, v158
	v_add_f32_e32 v12, v12, v156
	v_mul_f32_e32 v181, v2, v11
	v_mul_f32_e32 v11, v3, v11
	v_fmac_f32_e32 v172, v5, v203
	v_add_f32_e32 v10, v10, v159
	v_add_f32_e32 v12, v12, v160
	v_fma_f32 v185, v4, v203, -v151
	v_fma_f32 v11, v2, v204, -v11
	v_fmac_f32_e32 v181, v3, v204
	v_add_f32_e32 v10, v10, v161
	s_waitcnt vmcnt(34)
	v_mul_f32_e32 v183, v144, v206
	v_mul_f32_e32 v155, v145, v206
	ds_read_b128 v[2:5], v1 offset:928
	ds_read_b128 v[150:153], v1 offset:944
	v_add_f32_e32 v10, v10, v177
	v_add_f32_e32 v10, v10, v181
	;; [unrolled: 1-line block ×4, first 2 shown]
	s_waitcnt vmcnt(29) lgkmcnt(3)
	v_mul_f32_e32 v202, v6, v163
	s_waitcnt vmcnt(28)
	v_mul_f32_e32 v203, v8, v190
	v_mul_f32_e32 v158, v7, v163
	;; [unrolled: 1-line block ×3, first 2 shown]
	v_fmac_f32_e32 v183, v145, v176
	v_fmac_f32_e32 v202, v7, v175
	v_add_f32_e32 v7, v12, v179
	v_fmac_f32_e32 v203, v9, v174
	v_fma_f32 v163, v8, v174, -v159
	v_fma_f32 v176, v144, v176, -v155
	;; [unrolled: 1-line block ×3, first 2 shown]
	v_add_f32_e32 v174, v7, v180
	v_add_f32_e32 v10, v10, v183
	ds_read_b128 v[142:145], v1 offset:960
	ds_read_b128 v[154:157], v1 offset:976
	;; [unrolled: 1-line block ×4, first 2 shown]
	s_waitcnt vmcnt(27) lgkmcnt(6)
	v_mul_f32_e32 v1, v146, v193
	v_add_f32_e32 v11, v174, v11
	v_mul_f32_e32 v174, v147, v193
	v_add_f32_e32 v10, v10, v202
	v_fmac_f32_e32 v1, v147, v173
	v_add_f32_e32 v11, v11, v185
	v_fma_f32 v146, v146, v173, -v174
	v_add_f32_e32 v10, v10, v203
	v_add_f32_e32 v11, v11, v201
	;; [unrolled: 1-line block ×3, first 2 shown]
	s_waitcnt vmcnt(26)
	v_mul_f32_e32 v175, v148, v164
	v_add_f32_e32 v11, v11, v176
	v_mul_f32_e32 v164, v149, v164
	s_waitcnt vmcnt(25) lgkmcnt(5)
	v_mul_f32_e32 v177, v2, v166
	s_waitcnt vmcnt(24)
	v_mul_f32_e32 v10, v5, v171
	v_mul_f32_e32 v172, v4, v171
	v_add_f32_e32 v11, v11, v12
	s_waitcnt vmcnt(23) lgkmcnt(4)
	v_mul_f32_e32 v179, v150, v186
	s_waitcnt vmcnt(22)
	v_mul_f32_e32 v180, v152, v188
	s_waitcnt vmcnt(21) lgkmcnt(3)
	v_mul_f32_e32 v181, v142, v189
	s_waitcnt vmcnt(20)
	v_mul_f32_e32 v182, v144, v191
	v_add_f32_e32 v11, v11, v163
	v_mul_f32_e32 v163, v3, v166
	s_waitcnt vmcnt(19) lgkmcnt(2)
	v_mul_f32_e32 v176, v154, v194
	s_waitcnt vmcnt(18)
	v_mul_f32_e32 v183, v156, v192
	s_waitcnt vmcnt(17) lgkmcnt(1)
	v_mul_f32_e32 v185, v6, v195
	v_add_f32_e32 v11, v11, v146
	s_waitcnt vmcnt(13)
	v_fmac_f32_e32 v179, v151, v165
	s_waitcnt vmcnt(12)
	v_fma_f32 v4, v4, v187, -v10
	s_waitcnt vmcnt(11)
	v_fmac_f32_e32 v177, v3, v210
	s_waitcnt vmcnt(10)
	v_fma_f32 v148, v148, v211, -v164
	v_fmac_f32_e32 v175, v149, v211
	v_fma_f32 v2, v2, v210, -v163
	v_fmac_f32_e32 v172, v5, v187
	v_mul_f32_e32 v12, v8, v196
	v_add_f32_e32 v3, v11, v148
	v_add_f32_e32 v1, v1, v175
	v_mul_f32_e32 v11, v151, v186
	s_waitcnt lgkmcnt(0)
	v_mul_f32_e32 v190, v158, v197
	v_mul_f32_e32 v147, v160, v209
	v_add_f32_e32 v2, v3, v2
	v_add_f32_e32 v1, v1, v177
	v_mul_f32_e32 v3, v153, v188
	v_fma_f32 v5, v150, v165, -v11
	v_add_f32_e32 v2, v2, v4
	v_add_f32_e32 v1, v1, v172
	v_mul_f32_e32 v4, v143, v189
	s_waitcnt vmcnt(8)
	v_fmac_f32_e32 v182, v145, v184
	s_waitcnt vmcnt(7)
	v_fmac_f32_e32 v181, v143, v199
	s_waitcnt vmcnt(6)
	v_fma_f32 v3, v152, v212, -v3
	v_add_f32_e32 v2, v2, v5
	v_fmac_f32_e32 v180, v153, v212
	v_add_f32_e32 v1, v1, v179
	v_mul_f32_e32 v5, v145, v191
	v_fma_f32 v4, v142, v199, -v4
	v_add_f32_e32 v2, v2, v3
	v_mul_f32_e32 v3, v155, v194
	v_add_f32_e32 v1, v1, v180
	v_fma_f32 v5, v144, v184, -v5
	v_fmac_f32_e32 v176, v155, v162
	v_add_f32_e32 v2, v2, v4
	v_mul_f32_e32 v4, v157, v192
	v_add_f32_e32 v1, v1, v181
	v_fma_f32 v3, v154, v162, -v3
	v_add_f32_e32 v2, v2, v5
	v_mul_f32_e32 v5, v7, v195
	v_add_f32_e32 v1, v1, v182
	v_add_f32_e32 v2, v2, v3
	v_mul_f32_e32 v3, v9, v196
	v_add_f32_e32 v1, v1, v176
	s_waitcnt vmcnt(4)
	v_fmac_f32_e32 v12, v9, v168
	s_waitcnt vmcnt(3)
	v_fma_f32 v5, v6, v169, -v5
	s_waitcnt vmcnt(2)
	v_fma_f32 v4, v156, v198, -v4
	v_fmac_f32_e32 v183, v157, v198
	v_fmac_f32_e32 v185, v7, v169
	v_fma_f32 v3, v8, v168, -v3
	v_fmac_f32_e32 v190, v159, v167
	v_add_f32_e32 v2, v2, v4
	v_add_f32_e32 v1, v1, v183
	v_mul_f32_e32 v4, v159, v197
	s_waitcnt vmcnt(0)
	v_fmac_f32_e32 v147, v161, v170
	v_add_f32_e32 v2, v2, v5
	v_add_f32_e32 v1, v1, v185
	v_mul_f32_e32 v5, v161, v209
	v_fma_f32 v4, v158, v167, -v4
	v_add_f32_e32 v2, v2, v3
	v_add_f32_e32 v1, v1, v12
	v_fma_f32 v3, v160, v170, -v5
	v_add_f32_e32 v2, v2, v4
	v_add_f32_e32 v1, v1, v190
	;; [unrolled: 1-line block ×4, first 2 shown]
	v_sub_f32_e32 v2, v200, v2
	v_sub_f32_e32 v1, v178, v1
	buffer_store_dword v2, off, s[0:3], 0 offset:56
	buffer_store_dword v1, off, s[0:3], 0 offset:60
	v_cmpx_lt_u32_e32 6, v0
	s_cbranch_execz .LBB127_385
; %bb.384:
	s_clause 0x1
	buffer_load_dword v1, off, s[0:3], 0 offset:48
	buffer_load_dword v2, off, s[0:3], 0 offset:52
	v_mov_b32_e32 v3, 0
	buffer_store_dword v3, off, s[0:3], 0 offset:48
	buffer_store_dword v3, off, s[0:3], 0 offset:52
	s_waitcnt vmcnt(0)
	ds_write_b64 v141, v[1:2]
.LBB127_385:
	s_or_b32 exec_lo, exec_lo, s4
	s_waitcnt lgkmcnt(0)
	s_waitcnt_vscnt null, 0x0
	s_barrier
	buffer_gl0_inv
	s_clause 0x34
	buffer_load_dword v2, off, s[0:3], 0 offset:60
	buffer_load_dword v3, off, s[0:3], 0 offset:68
	;; [unrolled: 1-line block ×53, first 2 shown]
	v_mov_b32_e32 v1, 0
	ds_read2_b64 v[185:188], v1 offset0:71 offset1:72
	ds_read2_b64 v[189:192], v1 offset0:73 offset1:74
	;; [unrolled: 1-line block ×4, first 2 shown]
	buffer_load_dword v184, off, s[0:3], 0 offset:52
	s_mov_b32 s4, exec_lo
	s_waitcnt vmcnt(53) lgkmcnt(3)
	v_mul_f32_e32 v201, v185, v2
	v_mul_f32_e32 v2, v186, v2
	s_waitcnt vmcnt(52)
	v_mul_f32_e32 v202, v187, v3
	v_mul_f32_e32 v3, v188, v3
	s_waitcnt vmcnt(49)
	v_fmac_f32_e32 v201, v186, v8
	v_fma_f32 v203, v185, v8, -v2
	v_fmac_f32_e32 v202, v188, v7
	v_fma_f32 v204, v187, v7, -v3
	ds_read2_b64 v[185:188], v1 offset0:79 offset1:80
	s_waitcnt vmcnt(48) lgkmcnt(3)
	v_mul_f32_e32 v205, v189, v6
	v_mul_f32_e32 v2, v190, v6
	s_waitcnt vmcnt(47)
	v_mul_f32_e32 v3, v192, v5
	v_mul_f32_e32 v206, v191, v5
	s_waitcnt vmcnt(46) lgkmcnt(2)
	v_mul_f32_e32 v6, v194, v10
	s_waitcnt vmcnt(45)
	v_mul_f32_e32 v7, v196, v9
	v_fmac_f32_e32 v205, v190, v4
	v_fma_f32 v189, v189, v4, -v2
	s_waitcnt vmcnt(41)
	v_fma_f32 v190, v191, v145, -v3
	ds_read2_b64 v[2:5], v1 offset0:81 offset1:82
	v_mul_f32_e32 v207, v193, v10
	v_mul_f32_e32 v10, v195, v9
	v_fmac_f32_e32 v206, v192, v145
	v_fma_f32 v191, v193, v144, -v6
	v_fma_f32 v192, v195, v142, -v7
	ds_read2_b64 v[6:9], v1 offset0:83 offset1:84
	v_fmac_f32_e32 v10, v196, v142
	s_waitcnt vmcnt(40) lgkmcnt(3)
	v_mul_f32_e32 v193, v197, v143
	v_mul_f32_e32 v142, v198, v143
	v_fmac_f32_e32 v207, v194, v144
	s_waitcnt vmcnt(39)
	v_mul_f32_e32 v194, v199, v12
	v_mul_f32_e32 v12, v200, v12
	v_fmac_f32_e32 v193, v198, v11
	v_fma_f32 v11, v197, v11, -v142
	ds_read2_b64 v[142:145], v1 offset0:85 offset1:86
	s_waitcnt vmcnt(35)
	v_fmac_f32_e32 v194, v200, v177
	v_fma_f32 v12, v199, v177, -v12
	s_waitcnt vmcnt(34) lgkmcnt(3)
	v_mul_f32_e32 v177, v185, v176
	v_mul_f32_e32 v176, v186, v176
	s_waitcnt vmcnt(33)
	v_mul_f32_e32 v196, v187, v175
	v_mul_f32_e32 v175, v188, v175
	s_waitcnt vmcnt(32) lgkmcnt(2)
	v_mul_f32_e32 v197, v2, v174
	v_mul_f32_e32 v174, v3, v174
	v_fmac_f32_e32 v177, v186, v169
	v_fma_f32 v176, v185, v169, -v176
	s_waitcnt vmcnt(31)
	v_mul_f32_e32 v185, v4, v173
	v_mul_f32_e32 v169, v5, v173
	v_fmac_f32_e32 v196, v188, v165
	v_fma_f32 v165, v187, v165, -v175
	s_waitcnt vmcnt(30) lgkmcnt(1)
	v_mul_f32_e32 v173, v6, v170
	v_mul_f32_e32 v175, v7, v170
	s_waitcnt vmcnt(29)
	v_mul_f32_e32 v186, v8, v171
	v_mul_f32_e32 v187, v9, v171
	buffer_load_dword v195, off, s[0:3], 0 offset:268
	v_fmac_f32_e32 v197, v3, v155
	v_fma_f32 v155, v2, v155, -v174
	s_waitcnt vmcnt(26)
	v_fmac_f32_e32 v185, v5, v172
	v_fma_f32 v174, v4, v172, -v169
	ds_read2_b64 v[2:5], v1 offset0:87 offset1:88
	ds_read2_b64 v[169:172], v1 offset0:89 offset1:90
	v_fmac_f32_e32 v173, v7, v168
	v_fma_f32 v168, v6, v168, -v175
	v_fmac_f32_e32 v186, v9, v166
	v_fma_f32 v166, v8, v166, -v187
	s_clause 0x4
	buffer_load_dword v175, off, s[0:3], 0 offset:276
	buffer_load_dword v187, off, s[0:3], 0 offset:296
	;; [unrolled: 1-line block ×5, first 2 shown]
	s_waitcnt vmcnt(30) lgkmcnt(2)
	v_mul_f32_e32 v200, v142, v161
	v_mul_f32_e32 v6, v143, v161
	s_waitcnt vmcnt(29)
	v_mul_f32_e32 v7, v145, v159
	v_mul_f32_e32 v161, v144, v159
	v_fmac_f32_e32 v200, v143, v151
	v_fma_f32 v142, v142, v151, -v6
	s_waitcnt vmcnt(25)
	v_fma_f32 v143, v144, v167, -v7
	ds_read2_b64 v[6:9], v1 offset0:91 offset1:92
	v_fmac_f32_e32 v161, v145, v167
	s_waitcnt vmcnt(24) lgkmcnt(2)
	v_mul_f32_e32 v144, v2, v164
	v_mul_f32_e32 v145, v3, v164
	s_waitcnt vmcnt(23)
	v_mul_f32_e32 v151, v4, v163
	v_mul_f32_e32 v159, v5, v163
	v_fmac_f32_e32 v144, v3, v156
	v_fma_f32 v145, v2, v156, -v145
	s_waitcnt vmcnt(22) lgkmcnt(1)
	v_mul_f32_e32 v156, v169, v160
	v_mul_f32_e32 v2, v170, v160
	v_fmac_f32_e32 v151, v5, v152
	v_fma_f32 v152, v4, v152, -v159
	s_waitcnt vmcnt(21)
	v_mul_f32_e32 v159, v171, v154
	v_mul_f32_e32 v3, v172, v154
	s_clause 0x1
	buffer_load_dword v154, off, s[0:3], 0 offset:284
	buffer_load_dword v160, off, s[0:3], 0 offset:292
	v_fmac_f32_e32 v156, v170, v147
	v_fma_f32 v147, v169, v147, -v2
	s_waitcnt vmcnt(19)
	v_fmac_f32_e32 v159, v172, v162
	v_fma_f32 v162, v171, v162, -v3
	ds_read2_b64 v[2:5], v1 offset0:93 offset1:94
	s_waitcnt vmcnt(18) lgkmcnt(1)
	v_mul_f32_e32 v163, v6, v158
	v_mul_f32_e32 v158, v7, v158
	s_waitcnt vmcnt(17)
	v_mul_f32_e32 v164, v8, v157
	v_mul_f32_e32 v157, v9, v157
	buffer_load_dword v172, off, s[0:3], 0 offset:308
	v_fmac_f32_e32 v163, v7, v153
	v_fma_f32 v153, v6, v153, -v158
	v_fmac_f32_e32 v164, v9, v148
	v_fma_f32 v148, v8, v148, -v157
	ds_read2_b64 v[6:9], v1 offset0:95 offset1:96
	buffer_load_dword v157, off, s[0:3], 0 offset:300
	s_waitcnt vmcnt(18) lgkmcnt(1)
	v_mul_f32_e32 v158, v2, v150
	v_mul_f32_e32 v150, v3, v150
	s_waitcnt vmcnt(17)
	v_mul_f32_e32 v167, v4, v149
	v_mul_f32_e32 v149, v5, v149
	v_fmac_f32_e32 v158, v3, v146
	v_fma_f32 v146, v2, v146, -v150
	s_waitcnt vmcnt(13)
	v_fmac_f32_e32 v167, v5, v183
	v_fma_f32 v149, v4, v183, -v149
	ds_read2_b64 v[2:5], v1 offset0:97 offset1:98
	s_waitcnt vmcnt(12) lgkmcnt(1)
	v_mul_f32_e32 v150, v6, v182
	v_mul_f32_e32 v169, v7, v182
	s_waitcnt vmcnt(11)
	v_mul_f32_e32 v170, v8, v181
	v_mul_f32_e32 v171, v9, v181
	v_fmac_f32_e32 v150, v7, v180
	v_fma_f32 v169, v6, v180, -v169
	v_fmac_f32_e32 v170, v9, v179
	v_fma_f32 v171, v8, v179, -v171
	s_clause 0x4
	buffer_load_dword v179, off, s[0:3], 0 offset:328
	buffer_load_dword v180, off, s[0:3], 0 offset:320
	;; [unrolled: 1-line block ×5, first 2 shown]
	v_add_f32_e32 v6, 0, v201
	v_add_f32_e32 v7, 0, v203
	buffer_load_dword v201, off, s[0:3], 0 offset:324
	v_add_f32_e32 v6, v6, v202
	v_add_f32_e32 v7, v7, v204
	;; [unrolled: 1-line block ×4, first 2 shown]
	s_clause 0x1
	buffer_load_dword v189, off, s[0:3], 0 offset:332
	buffer_load_dword v202, off, s[0:3], 0 offset:340
	v_add_f32_e32 v6, v6, v206
	v_add_f32_e32 v7, v7, v190
	s_clause 0x3
	buffer_load_dword v190, off, s[0:3], 0 offset:360
	buffer_load_dword v203, off, s[0:3], 0 offset:352
	;; [unrolled: 1-line block ×4, first 2 shown]
	v_add_f32_e32 v6, v6, v207
	v_add_f32_e32 v7, v7, v191
	v_add_f32_e32 v6, v6, v10
	v_add_f32_e32 v7, v7, v192
	s_clause 0x3
	buffer_load_dword v10, off, s[0:3], 0 offset:348
	buffer_load_dword v191, off, s[0:3], 0 offset:356
	;; [unrolled: 1-line block ×4, first 2 shown]
	v_add_f32_e32 v6, v6, v193
	v_add_f32_e32 v7, v7, v11
	;; [unrolled: 1-line block ×13, first 2 shown]
	s_waitcnt vmcnt(25) lgkmcnt(0)
	v_mul_f32_e32 v193, v2, v195
	v_mul_f32_e32 v8, v3, v195
	v_fmac_f32_e32 v193, v3, v178
	s_waitcnt vmcnt(24)
	v_mul_f32_e32 v11, v4, v175
	v_mul_f32_e32 v9, v5, v175
	v_fma_f32 v175, v2, v178, -v8
	s_waitcnt vmcnt(20)
	v_fmac_f32_e32 v11, v5, v199
	v_fma_f32 v12, v4, v199, -v9
	ds_read2_b64 v[2:5], v1 offset0:99 offset1:100
	s_clause 0x6
	buffer_load_dword v176, off, s[0:3], 0 offset:392
	buffer_load_dword v177, off, s[0:3], 0 offset:384
	;; [unrolled: 1-line block ×7, first 2 shown]
	ds_read2_b64 v[6:9], v1 offset0:101 offset1:102
	s_waitcnt vmcnt(26) lgkmcnt(1)
	v_mul_f32_e32 v185, v2, v154
	v_mul_f32_e32 v154, v3, v154
	s_waitcnt vmcnt(25)
	v_mul_f32_e32 v174, v4, v160
	v_mul_f32_e32 v160, v5, v160
	v_fmac_f32_e32 v185, v3, v198
	v_add_f32_e32 v3, v155, v173
	v_add_f32_e32 v155, v168, v166
	v_fma_f32 v154, v2, v198, -v154
	v_fmac_f32_e32 v174, v5, v188
	v_fma_f32 v160, v4, v188, -v160
	v_add_f32_e32 v2, v3, v186
	v_add_f32_e32 v3, v155, v142
	s_clause 0x7
	buffer_load_dword v166, off, s[0:3], 0 offset:404
	buffer_load_dword v168, off, s[0:3], 0 offset:412
	;; [unrolled: 1-line block ×8, first 2 shown]
	v_add_f32_e32 v2, v2, v200
	v_add_f32_e32 v3, v3, v143
	s_waitcnt vmcnt(31) lgkmcnt(0)
	v_mul_f32_e32 v155, v6, v157
	v_mul_f32_e32 v4, v7, v157
	s_clause 0x1
	buffer_load_dword v200, off, s[0:3], 0 offset:436
	buffer_load_dword v207, off, s[0:3], 0 offset:444
	v_add_f32_e32 v2, v2, v161
	v_add_f32_e32 v3, v3, v145
	v_fmac_f32_e32 v155, v7, v187
	v_fma_f32 v157, v6, v187, -v4
	s_clause 0x1
	buffer_load_dword v208, off, s[0:3], 0 offset:452
	buffer_load_dword v209, off, s[0:3], 0 offset:460
	v_add_f32_e32 v2, v2, v144
	v_add_f32_e32 v3, v3, v152
	s_clause 0x4
	buffer_load_dword v187, off, s[0:3], 0 offset:468
	buffer_load_dword v210, off, s[0:3], 0 offset:476
	;; [unrolled: 1-line block ×5, first 2 shown]
	v_add_f32_e32 v2, v2, v151
	v_add_f32_e32 v6, v3, v147
	v_mul_f32_e32 v3, v9, v172
	v_mul_f32_e32 v151, v8, v172
	buffer_load_dword v172, off, s[0:3], 0 offset:508
	v_add_f32_e32 v7, v2, v156
	v_add_f32_e32 v6, v6, v162
	;; [unrolled: 1-line block ×4, first 2 shown]
	s_waitcnt vmcnt(37)
	v_fma_f32 v152, v8, v182, -v3
	ds_read2_b64 v[2:5], v1 offset0:103 offset1:104
	v_fmac_f32_e32 v151, v9, v182
	v_add_f32_e32 v7, v7, v163
	s_clause 0x3
	buffer_load_dword v162, off, s[0:3], 0 offset:456
	buffer_load_dword v163, off, s[0:3], 0 offset:448
	;; [unrolled: 1-line block ×4, first 2 shown]
	v_add_f32_e32 v6, v6, v148
	v_add_f32_e32 v142, v7, v164
	v_add_f32_e32 v143, v6, v146
	ds_read2_b64 v[6:9], v1 offset0:105 offset1:106
	v_add_f32_e32 v142, v142, v158
	v_add_f32_e32 v143, v143, v149
	s_waitcnt vmcnt(40) lgkmcnt(1)
	v_mul_f32_e32 v153, v2, v183
	v_mul_f32_e32 v144, v3, v183
	s_waitcnt vmcnt(39)
	v_mul_f32_e32 v158, v4, v201
	v_fmac_f32_e32 v153, v3, v181
	v_fma_f32 v156, v2, v181, -v144
	v_add_f32_e32 v2, v142, v167
	v_add_f32_e32 v3, v143, v169
	s_clause 0x3
	buffer_load_dword v164, off, s[0:3], 0 offset:488
	buffer_load_dword v167, off, s[0:3], 0 offset:480
	;; [unrolled: 1-line block ×4, first 2 shown]
	v_mul_f32_e32 v142, v5, v201
	s_waitcnt vmcnt(42) lgkmcnt(0)
	v_mul_f32_e32 v161, v6, v189
	v_add_f32_e32 v2, v2, v150
	v_add_f32_e32 v3, v3, v171
	s_clause 0x1
	buffer_load_dword v171, off, s[0:3], 0 offset:504
	buffer_load_dword v183, off, s[0:3], 0 offset:496
	v_mul_f32_e32 v146, v7, v189
	s_waitcnt vmcnt(43)
	v_mul_f32_e32 v147, v9, v202
	v_add_f32_e32 v2, v2, v170
	buffer_load_dword v170, off, s[0:3], 0 offset:48
	v_add_f32_e32 v3, v3, v175
	v_mul_f32_e32 v175, v8, v202
	v_fmac_f32_e32 v158, v5, v180
	v_add_f32_e32 v143, v2, v193
	v_fma_f32 v159, v4, v180, -v142
	v_add_f32_e32 v12, v3, v12
	ds_read2_b64 v[2:5], v1 offset0:107 offset1:108
	v_fmac_f32_e32 v161, v7, v179
	v_add_f32_e32 v11, v143, v11
	ds_read2_b64 v[142:145], v1 offset0:109 offset1:110
	v_add_f32_e32 v12, v12, v154
	v_fma_f32 v179, v6, v179, -v146
	s_waitcnt vmcnt(40)
	v_fmac_f32_e32 v175, v9, v205
	v_add_f32_e32 v11, v11, v185
	v_add_f32_e32 v12, v12, v160
	v_fma_f32 v160, v8, v205, -v147
	ds_read2_b64 v[6:9], v1 offset0:111 offset1:112
	ds_read2_b64 v[146:149], v1 offset0:113 offset1:114
	v_add_f32_e32 v11, v11, v174
	v_add_f32_e32 v12, v12, v157
	;; [unrolled: 1-line block ×4, first 2 shown]
	s_waitcnt vmcnt(39) lgkmcnt(3)
	v_mul_f32_e32 v174, v2, v10
	v_mul_f32_e32 v10, v3, v10
	v_add_f32_e32 v11, v11, v151
	s_waitcnt vmcnt(38)
	v_mul_f32_e32 v150, v5, v191
	v_add_f32_e32 v12, v12, v156
	v_mul_f32_e32 v180, v4, v191
	v_fma_f32 v10, v2, v204, -v10
	v_add_f32_e32 v11, v11, v153
	v_fmac_f32_e32 v174, v3, v204
	v_add_f32_e32 v12, v12, v159
	s_waitcnt vmcnt(37) lgkmcnt(2)
	v_mul_f32_e32 v185, v142, v206
	v_mul_f32_e32 v154, v143, v206
	v_add_f32_e32 v11, v11, v158
	v_fma_f32 v191, v4, v203, -v150
	v_add_f32_e32 v12, v12, v179
	v_fmac_f32_e32 v180, v5, v203
	s_waitcnt vmcnt(36)
	v_mul_f32_e32 v155, v145, v192
	v_add_f32_e32 v11, v11, v161
	v_fmac_f32_e32 v185, v143, v190
	v_fma_f32 v190, v142, v190, -v154
	v_mul_f32_e32 v189, v144, v192
	ds_read2_b64 v[2:5], v1 offset0:115 offset1:116
	ds_read2_b64 v[150:153], v1 offset0:117 offset1:118
	v_add_f32_e32 v11, v11, v175
	v_add_f32_e32 v174, v11, v174
	;; [unrolled: 1-line block ×4, first 2 shown]
	s_waitcnt vmcnt(31) lgkmcnt(3)
	v_mul_f32_e32 v179, v6, v165
	v_mul_f32_e32 v158, v7, v165
	v_fma_f32 v192, v144, v194, -v155
	v_fmac_f32_e32 v189, v145, v194
	s_waitcnt vmcnt(30)
	v_mul_f32_e32 v159, v9, v195
	v_fmac_f32_e32 v179, v7, v178
	v_add_f32_e32 v7, v12, v160
	v_fma_f32 v12, v6, v178, -v158
	v_mul_f32_e32 v193, v8, v195
	v_add_f32_e32 v174, v174, v189
	v_fma_f32 v165, v8, v177, -v159
	v_add_f32_e32 v175, v7, v10
	s_waitcnt vmcnt(29) lgkmcnt(2)
	v_mul_f32_e32 v180, v147, v196
	v_fmac_f32_e32 v193, v9, v177
	v_mul_f32_e32 v177, v146, v196
	v_add_f32_e32 v174, v174, v179
	v_add_f32_e32 v175, v175, v191
	v_fma_f32 v146, v146, v176, -v180
	ds_read2_b64 v[142:145], v1 offset0:119 offset1:120
	ds_read2_b64 v[154:157], v1 offset0:121 offset1:122
	v_fmac_f32_e32 v177, v147, v176
	ds_read2_b64 v[6:9], v1 offset0:123 offset1:124
	ds_read2_b64 v[158:161], v1 offset0:125 offset1:126
	ds_read_b64 v[10:11], v1 offset:1016
	v_add_f32_e32 v175, v175, v190
	v_add_f32_e32 v175, v175, v192
	s_waitcnt vmcnt(28)
	v_mul_f32_e32 v178, v148, v166
	v_mul_f32_e32 v166, v149, v166
	v_add_f32_e32 v12, v175, v12
	s_waitcnt vmcnt(27) lgkmcnt(6)
	v_mul_f32_e32 v190, v2, v168
	v_mul_f32_e32 v168, v3, v168
	s_waitcnt vmcnt(26)
	v_mul_f32_e32 v185, v4, v173
	v_mul_f32_e32 v173, v5, v173
	v_add_f32_e32 v12, v12, v165
	v_add_f32_e32 v165, v174, v193
	s_waitcnt vmcnt(21)
	v_fma_f32 v148, v148, v199, -v166
	v_fmac_f32_e32 v178, v149, v199
	v_fmac_f32_e32 v190, v3, v198
	v_add_f32_e32 v12, v12, v146
	v_add_f32_e32 v146, v165, v177
	v_fma_f32 v2, v2, v198, -v168
	v_fma_f32 v4, v4, v197, -v173
	s_waitcnt lgkmcnt(5)
	v_mul_f32_e32 v147, v150, v186
	v_add_f32_e32 v3, v12, v148
	v_add_f32_e32 v12, v146, v178
	v_mul_f32_e32 v146, v151, v186
	v_fmac_f32_e32 v185, v5, v197
	s_waitcnt vmcnt(20)
	v_mul_f32_e32 v5, v153, v200
	v_add_f32_e32 v2, v3, v2
	v_add_f32_e32 v3, v12, v190
	v_fma_f32 v12, v150, v188, -v146
	v_mul_f32_e32 v176, v152, v200
	v_fmac_f32_e32 v147, v151, v188
	v_add_f32_e32 v2, v2, v4
	v_add_f32_e32 v3, v3, v185
	s_waitcnt vmcnt(19) lgkmcnt(4)
	v_mul_f32_e32 v4, v143, v207
	v_mul_f32_e32 v180, v142, v207
	s_waitcnt vmcnt(18)
	v_mul_f32_e32 v149, v144, v208
	v_add_f32_e32 v2, v2, v12
	v_add_f32_e32 v3, v3, v147
	v_mul_f32_e32 v12, v145, v208
	s_waitcnt vmcnt(17) lgkmcnt(3)
	v_mul_f32_e32 v166, v154, v209
	s_waitcnt vmcnt(16)
	v_mul_f32_e32 v175, v156, v187
	s_waitcnt vmcnt(15) lgkmcnt(2)
	v_mul_f32_e32 v179, v6, v210
	s_waitcnt vmcnt(14)
	;; [unrolled: 4-line block ×3, first 2 shown]
	v_fma_f32 v12, v144, v163, -v12
	s_waitcnt vmcnt(8)
	v_fma_f32 v4, v142, v182, -v4
	s_waitcnt vmcnt(7)
	v_fma_f32 v5, v152, v214, -v5
	v_fmac_f32_e32 v176, v153, v214
	v_fmac_f32_e32 v180, v143, v182
	;; [unrolled: 1-line block ×4, first 2 shown]
	v_add_f32_e32 v2, v2, v5
	v_add_f32_e32 v3, v3, v176
	v_mul_f32_e32 v5, v155, v209
	v_mul_f32_e32 v191, v160, v213
	s_waitcnt lgkmcnt(0)
	v_mul_f32_e32 v165, v10, v172
	v_add_f32_e32 v2, v2, v4
	v_add_f32_e32 v3, v3, v180
	v_mul_f32_e32 v4, v157, v187
	v_fma_f32 v5, v154, v162, -v5
	v_add_f32_e32 v2, v2, v12
	v_add_f32_e32 v3, v3, v149
	v_mul_f32_e32 v12, v7, v210
	v_add_f32_e32 v2, v2, v5
	v_add_f32_e32 v3, v3, v166
	v_mul_f32_e32 v5, v9, v211
	s_waitcnt vmcnt(6)
	v_fmac_f32_e32 v174, v159, v164
	s_waitcnt vmcnt(5)
	v_fmac_f32_e32 v189, v9, v167
	s_waitcnt vmcnt(4)
	v_fma_f32 v6, v6, v169, -v12
	s_waitcnt vmcnt(3)
	v_fma_f32 v4, v156, v181, -v4
	v_fmac_f32_e32 v175, v157, v181
	v_fmac_f32_e32 v179, v7, v169
	v_fma_f32 v5, v8, v167, -v5
	s_waitcnt vmcnt(2)
	v_fmac_f32_e32 v165, v11, v171
	v_add_f32_e32 v2, v2, v4
	v_add_f32_e32 v3, v3, v175
	v_mul_f32_e32 v4, v159, v212
	s_waitcnt vmcnt(1)
	v_fmac_f32_e32 v191, v161, v183
	v_add_f32_e32 v2, v2, v6
	v_add_f32_e32 v3, v3, v179
	v_mul_f32_e32 v6, v161, v213
	v_fma_f32 v4, v158, v164, -v4
	v_add_f32_e32 v2, v2, v5
	v_add_f32_e32 v3, v3, v189
	v_mul_f32_e32 v5, v11, v172
	v_fma_f32 v6, v160, v183, -v6
	v_add_f32_e32 v2, v2, v4
	v_add_f32_e32 v3, v3, v174
	v_fma_f32 v4, v10, v171, -v5
	v_add_f32_e32 v2, v2, v6
	v_add_f32_e32 v3, v3, v191
	;; [unrolled: 1-line block ×4, first 2 shown]
	s_waitcnt vmcnt(0)
	v_sub_f32_e32 v2, v170, v2
	v_sub_f32_e32 v3, v184, v3
	buffer_store_dword v2, off, s[0:3], 0 offset:48
	buffer_store_dword v3, off, s[0:3], 0 offset:52
	v_cmpx_lt_u32_e32 5, v0
	s_cbranch_execz .LBB127_387
; %bb.386:
	s_clause 0x1
	buffer_load_dword v2, off, s[0:3], 0 offset:40
	buffer_load_dword v3, off, s[0:3], 0 offset:44
	buffer_store_dword v1, off, s[0:3], 0 offset:40
	buffer_store_dword v1, off, s[0:3], 0 offset:44
	s_waitcnt vmcnt(0)
	ds_write_b64 v141, v[2:3]
.LBB127_387:
	s_or_b32 exec_lo, exec_lo, s4
	s_waitcnt lgkmcnt(0)
	s_waitcnt_vscnt null, 0x0
	s_barrier
	buffer_gl0_inv
	s_clause 0x3c
	buffer_load_dword v176, off, s[0:3], 0 offset:52
	buffer_load_dword v177, off, s[0:3], 0 offset:60
	;; [unrolled: 1-line block ×61, first 2 shown]
	ds_read_b128 v[190:193], v1 offset:560
	ds_read_b128 v[194:197], v1 offset:576
	s_mov_b32 s4, exec_lo
	s_waitcnt vmcnt(60) lgkmcnt(1)
	v_mul_f32_e32 v186, v190, v176
	v_mul_f32_e32 v201, v191, v176
	s_waitcnt vmcnt(59)
	v_mul_f32_e32 v176, v192, v177
	v_mul_f32_e32 v202, v193, v177
	buffer_load_dword v177, off, s[0:3], 0 offset:44
	s_waitcnt vmcnt(57)
	v_fmac_f32_e32 v186, v191, v6
	v_fma_f32 v201, v190, v6, -v201
	v_fmac_f32_e32 v176, v193, v5
	v_fma_f32 v202, v192, v5, -v202
	ds_read_b128 v[190:193], v1 offset:592
	s_waitcnt vmcnt(56) lgkmcnt(1)
	v_mul_f32_e32 v203, v194, v4
	v_mul_f32_e32 v4, v195, v4
	s_waitcnt vmcnt(55)
	v_mul_f32_e32 v204, v196, v3
	v_mul_f32_e32 v3, v197, v3
	v_fmac_f32_e32 v203, v195, v2
	v_fma_f32 v194, v194, v2, -v4
	s_waitcnt vmcnt(51)
	v_fmac_f32_e32 v204, v197, v143
	v_fma_f32 v143, v196, v143, -v3
	ds_read_b128 v[2:5], v1 offset:608
	s_waitcnt vmcnt(50) lgkmcnt(1)
	v_mul_f32_e32 v195, v190, v142
	v_mul_f32_e32 v6, v191, v142
	s_waitcnt vmcnt(49)
	v_mul_f32_e32 v142, v192, v12
	v_mul_f32_e32 v12, v193, v12
	v_fmac_f32_e32 v195, v191, v11
	v_fma_f32 v11, v190, v11, -v6
	v_fmac_f32_e32 v142, v193, v8
	v_fma_f32 v12, v192, v8, -v12
	ds_read_b128 v[190:193], v1 offset:624
	s_waitcnt vmcnt(48) lgkmcnt(1)
	v_mul_f32_e32 v196, v2, v10
	v_mul_f32_e32 v6, v3, v10
	s_waitcnt vmcnt(47)
	v_mul_f32_e32 v10, v4, v9
	v_mul_f32_e32 v8, v5, v9
	v_fmac_f32_e32 v196, v3, v7
	v_fma_f32 v197, v2, v7, -v6
	s_waitcnt vmcnt(43)
	v_fmac_f32_e32 v10, v5, v175
	v_fma_f32 v175, v4, v175, -v8
	ds_read_b128 v[2:5], v1 offset:640
	s_waitcnt vmcnt(42) lgkmcnt(1)
	v_mul_f32_e32 v205, v190, v174
	v_mul_f32_e32 v6, v191, v174
	s_waitcnt vmcnt(41)
	v_mul_f32_e32 v174, v192, v173
	v_mul_f32_e32 v7, v193, v173
	v_fmac_f32_e32 v205, v191, v168
	v_fma_f32 v168, v190, v168, -v6
	v_fmac_f32_e32 v174, v193, v163
	v_fma_f32 v163, v192, v163, -v7
	ds_read_b128 v[6:9], v1 offset:656
	s_waitcnt vmcnt(40) lgkmcnt(1)
	v_mul_f32_e32 v173, v2, v167
	v_mul_f32_e32 v167, v3, v167
	s_waitcnt vmcnt(39)
	v_mul_f32_e32 v190, v4, v165
	v_mul_f32_e32 v165, v5, v165
	buffer_load_dword v191, off, s[0:3], 0 offset:292
	v_fmac_f32_e32 v173, v3, v151
	v_fma_f32 v151, v2, v151, -v167
	s_waitcnt vmcnt(36)
	v_fmac_f32_e32 v190, v5, v172
	v_fma_f32 v165, v4, v172, -v165
	ds_read_b128 v[2:5], v1 offset:672
	s_waitcnt vmcnt(35) lgkmcnt(1)
	v_mul_f32_e32 v167, v6, v171
	v_mul_f32_e32 v171, v7, v171
	s_waitcnt vmcnt(34)
	v_mul_f32_e32 v172, v8, v170
	v_mul_f32_e32 v170, v9, v170
	v_fmac_f32_e32 v167, v7, v161
	v_fma_f32 v161, v6, v161, -v171
	v_fmac_f32_e32 v172, v9, v156
	v_fma_f32 v156, v8, v156, -v170
	ds_read_b128 v[6:9], v1 offset:688
	s_waitcnt vmcnt(33) lgkmcnt(1)
	v_mul_f32_e32 v170, v2, v160
	v_mul_f32_e32 v160, v3, v160
	s_waitcnt vmcnt(32)
	v_mul_f32_e32 v171, v4, v158
	v_mul_f32_e32 v158, v5, v158
	v_fmac_f32_e32 v170, v3, v146
	v_fma_f32 v146, v2, v146, -v160
	s_waitcnt vmcnt(28)
	v_fmac_f32_e32 v171, v5, v169
	v_fma_f32 v158, v4, v169, -v158
	ds_read_b128 v[2:5], v1 offset:704
	s_waitcnt vmcnt(27) lgkmcnt(1)
	v_mul_f32_e32 v160, v6, v166
	v_mul_f32_e32 v166, v7, v166
	s_waitcnt vmcnt(26)
	v_mul_f32_e32 v169, v8, v164
	v_mul_f32_e32 v164, v9, v164
	v_fmac_f32_e32 v160, v7, v155
	v_fma_f32 v155, v6, v155, -v166
	v_fmac_f32_e32 v169, v9, v152
	v_fma_f32 v152, v8, v152, -v164
	ds_read_b128 v[6:9], v1 offset:720
	s_waitcnt vmcnt(25) lgkmcnt(1)
	v_mul_f32_e32 v164, v2, v154
	v_mul_f32_e32 v154, v3, v154
	s_waitcnt vmcnt(24)
	v_mul_f32_e32 v166, v4, v153
	v_mul_f32_e32 v153, v5, v153
	;; [unrolled: 23-line block ×4, first 2 shown]
	v_fmac_f32_e32 v183, v3, v178
	v_fma_f32 v178, v2, v178, -v181
	s_waitcnt vmcnt(4)
	v_fmac_f32_e32 v184, v5, v198
	v_fma_f32 v180, v4, v198, -v180
	ds_read_b128 v[2:5], v1 offset:800
	s_waitcnt vmcnt(3) lgkmcnt(1)
	v_mul_f32_e32 v181, v6, v199
	v_mul_f32_e32 v192, v7, v199
	buffer_load_dword v199, off, s[0:3], 0 offset:300
	s_waitcnt vmcnt(3)
	v_mul_f32_e32 v193, v8, v200
	v_mul_f32_e32 v198, v9, v200
	v_fmac_f32_e32 v181, v7, v189
	v_fma_f32 v189, v6, v189, -v192
	v_fmac_f32_e32 v193, v9, v188
	v_fma_f32 v188, v8, v188, -v198
	s_clause 0x4
	buffer_load_dword v192, off, s[0:3], 0 offset:320
	buffer_load_dword v198, off, s[0:3], 0 offset:312
	;; [unrolled: 1-line block ×5, first 2 shown]
	s_waitcnt vmcnt(6) lgkmcnt(0)
	v_mul_f32_e32 v207, v2, v191
	v_mul_f32_e32 v7, v3, v191
	v_fmac_f32_e32 v207, v3, v187
	v_fma_f32 v187, v2, v187, -v7
	s_waitcnt vmcnt(5)
	v_mul_f32_e32 v191, v4, v199
	v_mul_f32_e32 v2, v5, v199
	s_waitcnt vmcnt(1)
	v_fmac_f32_e32 v191, v5, v6
	v_fma_f32 v199, v4, v6, -v2
	ds_read_b128 v[2:5], v1 offset:816
	ds_read_b128 v[6:9], v1 offset:832
	s_waitcnt vmcnt(0) lgkmcnt(1)
	v_mul_f32_e32 v208, v2, v206
	v_mul_f32_e32 v206, v3, v206
	v_fmac_f32_e32 v208, v3, v200
	v_fma_f32 v200, v2, v200, -v206
	s_clause 0x1
	buffer_load_dword v2, off, s[0:3], 0 offset:316
	buffer_load_dword v3, off, s[0:3], 0 offset:324
	s_waitcnt vmcnt(1)
	v_mul_f32_e32 v206, v4, v2
	v_mul_f32_e32 v2, v5, v2
	v_fmac_f32_e32 v206, v5, v198
	v_fma_f32 v198, v4, v198, -v2
	v_add_f32_e32 v2, 0, v201
	v_add_f32_e32 v4, 0, v186
	v_add_f32_e32 v2, v2, v202
	v_add_f32_e32 v4, v4, v176
	buffer_load_dword v176, off, s[0:3], 0 offset:332
	v_add_f32_e32 v2, v2, v194
	v_add_f32_e32 v4, v4, v203
	;; [unrolled: 1-line block ×3, first 2 shown]
	s_clause 0x3
	buffer_load_dword v186, off, s[0:3], 0 offset:352
	buffer_load_dword v194, off, s[0:3], 0 offset:344
	;; [unrolled: 1-line block ×4, first 2 shown]
	v_add_f32_e32 v4, v4, v204
	v_add_f32_e32 v2, v2, v11
	buffer_load_dword v11, off, s[0:3], 0 offset:340
	v_add_f32_e32 v4, v4, v195
	v_add_f32_e32 v2, v2, v12
	s_clause 0x1
	buffer_load_dword v12, off, s[0:3], 0 offset:348
	buffer_load_dword v195, off, s[0:3], 0 offset:356
	v_add_f32_e32 v4, v4, v142
	v_add_f32_e32 v2, v2, v197
	s_clause 0x1
	buffer_load_dword v197, off, s[0:3], 0 offset:364
	buffer_load_dword v202, off, s[0:3], 0 offset:372
	v_add_f32_e32 v4, v4, v196
	v_add_f32_e32 v2, v2, v175
	;; [unrolled: 1-line block ×4, first 2 shown]
	s_clause 0x3
	buffer_load_dword v10, off, s[0:3], 0 offset:384
	buffer_load_dword v168, off, s[0:3], 0 offset:376
	;; [unrolled: 1-line block ×4, first 2 shown]
	v_add_f32_e32 v4, v4, v205
	v_add_f32_e32 v2, v2, v163
	buffer_load_dword v163, off, s[0:3], 0 offset:380
	v_add_f32_e32 v4, v4, v174
	s_clause 0x1
	buffer_load_dword v174, off, s[0:3], 0 offset:388
	buffer_load_dword v203, off, s[0:3], 0 offset:396
	v_add_f32_e32 v2, v2, v151
	v_add_f32_e32 v4, v4, v173
	;; [unrolled: 1-line block ×4, first 2 shown]
	s_clause 0x3
	buffer_load_dword v165, off, s[0:3], 0 offset:416
	buffer_load_dword v173, off, s[0:3], 0 offset:408
	;; [unrolled: 1-line block ×4, first 2 shown]
	v_add_f32_e32 v2, v2, v161
	v_add_f32_e32 v4, v4, v167
	buffer_load_dword v167, off, s[0:3], 0 offset:404
	v_add_f32_e32 v2, v2, v156
	v_add_f32_e32 v4, v4, v172
	buffer_load_dword v172, off, s[0:3], 0 offset:412
	v_add_f32_e32 v2, v2, v146
	v_add_f32_e32 v4, v4, v170
	s_clause 0x2
	buffer_load_dword v170, off, s[0:3], 0 offset:420
	buffer_load_dword v205, off, s[0:3], 0 offset:428
	buffer_load_dword v209, off, s[0:3], 0 offset:436
	v_add_f32_e32 v2, v2, v158
	v_add_f32_e32 v4, v4, v171
	s_clause 0x2
	buffer_load_dword v171, off, s[0:3], 0 offset:444
	buffer_load_dword v210, off, s[0:3], 0 offset:452
	;; [unrolled: 1-line block ×3, first 2 shown]
	v_add_f32_e32 v2, v2, v155
	buffer_load_dword v212, off, s[0:3], 0 offset:468
	v_add_f32_e32 v4, v4, v160
	s_clause 0x2
	buffer_load_dword v213, off, s[0:3], 0 offset:476
	buffer_load_dword v214, off, s[0:3], 0 offset:484
	;; [unrolled: 1-line block ×3, first 2 shown]
	v_add_f32_e32 v2, v2, v152
	v_add_f32_e32 v4, v4, v169
	buffer_load_dword v169, off, s[0:3], 0 offset:492
	v_add_f32_e32 v2, v2, v145
	v_add_f32_e32 v4, v4, v164
	buffer_load_dword v164, off, s[0:3], 0 offset:508
	v_add_f32_e32 v2, v2, v153
	v_add_f32_e32 v4, v4, v166
	s_clause 0x3
	buffer_load_dword v166, off, s[0:3], 0 offset:448
	buffer_load_dword v216, off, s[0:3], 0 offset:440
	;; [unrolled: 1-line block ×4, first 2 shown]
	v_add_f32_e32 v2, v2, v150
	v_add_f32_e32 v4, v4, v154
	s_waitcnt vmcnt(39) lgkmcnt(0)
	v_mul_f32_e32 v154, v6, v3
	v_mul_f32_e32 v3, v7, v3
	v_add_f32_e32 v2, v2, v147
	v_add_f32_e32 v4, v4, v162
	s_clause 0x3
	buffer_load_dword v162, off, s[0:3], 0 offset:480
	buffer_load_dword v219, off, s[0:3], 0 offset:472
	;; [unrolled: 1-line block ×4, first 2 shown]
	v_fmac_f32_e32 v154, v7, v192
	v_add_f32_e32 v2, v2, v144
	v_fma_f32 v155, v6, v192, -v3
	v_add_f32_e32 v4, v4, v157
	v_add_f32_e32 v2, v2, v148
	;; [unrolled: 1-line block ×4, first 2 shown]
	s_clause 0x3
	buffer_load_dword v182, off, s[0:3], 0 offset:504
	buffer_load_dword v222, off, s[0:3], 0 offset:496
	;; [unrolled: 1-line block ×4, first 2 shown]
	v_add_f32_e32 v4, v4, v149
	v_add_f32_e32 v2, v2, v179
	v_add_f32_e32 v4, v4, v185
	v_add_f32_e32 v6, v2, v178
	v_add_f32_e32 v7, v4, v183
	ds_read_b128 v[2:5], v1 offset:848
	v_add_f32_e32 v142, v6, v180
	v_add_f32_e32 v146, v142, v189
	;; [unrolled: 1-line block ×4, first 2 shown]
	s_waitcnt vmcnt(46)
	v_mul_f32_e32 v158, v8, v176
	v_mul_f32_e32 v6, v9, v176
	s_waitcnt vmcnt(42)
	v_fmac_f32_e32 v158, v9, v143
	v_fma_f32 v159, v8, v143, -v6
	v_add_f32_e32 v143, v7, v184
	ds_read_b128 v[6:9], v1 offset:864
	s_waitcnt vmcnt(41) lgkmcnt(1)
	v_mul_f32_e32 v160, v2, v11
	v_mul_f32_e32 v11, v3, v11
	v_add_f32_e32 v147, v143, v181
	ds_read_b128 v[142:145], v1 offset:880
	s_waitcnt vmcnt(40)
	v_mul_f32_e32 v176, v4, v12
	v_fmac_f32_e32 v160, v3, v201
	v_fma_f32 v11, v2, v201, -v11
	v_add_f32_e32 v147, v147, v193
	v_add_f32_e32 v3, v150, v199
	v_mul_f32_e32 v12, v5, v12
	v_fmac_f32_e32 v176, v5, v194
	v_add_f32_e32 v2, v147, v207
	ds_read_b128 v[146:149], v1 offset:896
	v_add_f32_e32 v3, v3, v200
	v_fma_f32 v12, v4, v194, -v12
	v_add_f32_e32 v2, v2, v191
	s_waitcnt vmcnt(39) lgkmcnt(2)
	v_mul_f32_e32 v150, v7, v195
	v_mul_f32_e32 v178, v6, v195
	s_waitcnt vmcnt(38)
	v_mul_f32_e32 v156, v9, v197
	v_mul_f32_e32 v179, v8, v197
	v_add_f32_e32 v2, v2, v208
	s_waitcnt vmcnt(37) lgkmcnt(1)
	v_mul_f32_e32 v180, v142, v202
	v_fma_f32 v181, v6, v186, -v150
	v_add_f32_e32 v6, v3, v198
	v_fmac_f32_e32 v178, v7, v186
	v_add_f32_e32 v7, v2, v206
	v_mul_f32_e32 v157, v143, v202
	s_waitcnt vmcnt(34)
	v_fmac_f32_e32 v180, v143, v175
	v_add_f32_e32 v143, v6, v155
	s_waitcnt vmcnt(32)
	v_mul_f32_e32 v184, v144, v163
	v_fma_f32 v183, v8, v196, -v156
	v_fma_f32 v175, v142, v175, -v157
	v_add_f32_e32 v142, v7, v154
	v_add_f32_e32 v143, v143, v159
	v_mul_f32_e32 v159, v145, v163
	s_waitcnt vmcnt(31) lgkmcnt(0)
	v_mul_f32_e32 v163, v146, v174
	ds_read_b128 v[2:5], v1 offset:912
	ds_read_b128 v[150:153], v1 offset:928
	v_add_f32_e32 v142, v142, v158
	v_add_f32_e32 v11, v143, v11
	v_mul_f32_e32 v143, v147, v174
	s_waitcnt vmcnt(30)
	v_mul_f32_e32 v174, v149, v203
	v_fmac_f32_e32 v163, v147, v10
	v_fmac_f32_e32 v179, v9, v196
	v_add_f32_e32 v11, v11, v12
	v_fma_f32 v10, v146, v10, -v143
	v_add_f32_e32 v146, v142, v160
	s_waitcnt vmcnt(26)
	v_fma_f32 v12, v148, v204, -v174
	v_fmac_f32_e32 v184, v145, v168
	v_add_f32_e32 v11, v11, v181
	v_fma_f32 v168, v144, v168, -v159
	v_add_f32_e32 v174, v146, v176
	v_mul_f32_e32 v185, v148, v203
	ds_read_b128 v[6:9], v1 offset:944
	ds_read_b128 v[154:157], v1 offset:960
	v_add_f32_e32 v11, v11, v183
	ds_read_b128 v[142:145], v1 offset:976
	ds_read_b128 v[158:161], v1 offset:992
	v_add_f32_e32 v174, v174, v178
	v_fmac_f32_e32 v185, v149, v204
	ds_read_b128 v[146:149], v1 offset:1008
	v_add_f32_e32 v11, v11, v175
	s_waitcnt vmcnt(25) lgkmcnt(6)
	v_mul_f32_e32 v1, v2, v167
	v_add_f32_e32 v174, v174, v179
	v_mul_f32_e32 v167, v3, v167
	s_waitcnt vmcnt(24)
	v_mul_f32_e32 v176, v4, v172
	v_add_f32_e32 v11, v11, v168
	v_mul_f32_e32 v172, v5, v172
	v_add_f32_e32 v174, v174, v180
	v_fma_f32 v2, v2, v190, -v167
	v_fmac_f32_e32 v1, v3, v190
	v_add_f32_e32 v10, v11, v10
	v_fma_f32 v4, v4, v173, -v172
	v_add_f32_e32 v174, v174, v184
	s_waitcnt vmcnt(23) lgkmcnt(5)
	v_mul_f32_e32 v178, v150, v170
	v_fmac_f32_e32 v176, v5, v173
	v_add_f32_e32 v10, v10, v12
	s_waitcnt vmcnt(22)
	v_mul_f32_e32 v5, v153, v205
	v_add_f32_e32 v163, v174, v163
	v_mul_f32_e32 v179, v152, v205
	v_fmac_f32_e32 v178, v151, v165
	v_add_f32_e32 v2, v10, v2
	s_waitcnt vmcnt(8)
	v_fma_f32 v5, v152, v218, -v5
	v_add_f32_e32 v12, v163, v185
	v_mul_f32_e32 v163, v151, v170
	s_waitcnt lgkmcnt(4)
	v_mul_f32_e32 v181, v6, v209
	v_add_f32_e32 v2, v2, v4
	v_mul_f32_e32 v4, v7, v209
	v_add_f32_e32 v1, v12, v1
	v_fma_f32 v10, v150, v165, -v163
	v_fmac_f32_e32 v179, v153, v218
	v_mul_f32_e32 v175, v8, v171
	v_fma_f32 v4, v6, v217, -v4
	v_add_f32_e32 v1, v1, v176
	v_add_f32_e32 v2, v2, v10
	v_mul_f32_e32 v10, v9, v171
	v_fmac_f32_e32 v181, v7, v217
	s_waitcnt lgkmcnt(3)
	v_mul_f32_e32 v180, v154, v210
	v_add_f32_e32 v1, v1, v178
	v_add_f32_e32 v2, v2, v5
	v_mul_f32_e32 v5, v155, v210
	v_fma_f32 v6, v8, v216, -v10
	v_fmac_f32_e32 v175, v9, v216
	v_add_f32_e32 v1, v1, v179
	v_add_f32_e32 v2, v2, v4
	v_mul_f32_e32 v4, v157, v211
	v_fma_f32 v5, v154, v166, -v5
	v_mul_f32_e32 v183, v156, v211
	v_add_f32_e32 v1, v1, v181
	v_add_f32_e32 v2, v2, v6
	v_fmac_f32_e32 v180, v155, v166
	s_waitcnt lgkmcnt(2)
	v_mul_f32_e32 v6, v143, v212
	s_waitcnt vmcnt(4)
	v_fma_f32 v4, v156, v221, -v4
	v_add_f32_e32 v1, v1, v175
	v_add_f32_e32 v2, v2, v5
	v_mul_f32_e32 v168, v142, v212
	v_fmac_f32_e32 v183, v157, v221
	v_mul_f32_e32 v5, v145, v213
	v_add_f32_e32 v1, v1, v180
	v_fma_f32 v6, v142, v220, -v6
	v_add_f32_e32 v2, v2, v4
	v_mul_f32_e32 v184, v144, v213
	v_fmac_f32_e32 v168, v143, v220
	v_add_f32_e32 v1, v1, v183
	s_waitcnt lgkmcnt(1)
	v_mul_f32_e32 v4, v159, v214
	v_fma_f32 v5, v144, v219, -v5
	v_add_f32_e32 v2, v2, v6
	v_mul_f32_e32 v186, v158, v214
	v_fmac_f32_e32 v184, v145, v219
	v_add_f32_e32 v1, v1, v168
	v_mul_f32_e32 v6, v161, v169
	v_fma_f32 v4, v158, v162, -v4
	v_add_f32_e32 v2, v2, v5
	v_mul_f32_e32 v11, v160, v169
	v_fmac_f32_e32 v186, v159, v162
	v_add_f32_e32 v1, v1, v184
	s_waitcnt lgkmcnt(0)
	v_mul_f32_e32 v5, v147, v215
	s_waitcnt vmcnt(1)
	v_fma_f32 v6, v160, v223, -v6
	v_add_f32_e32 v2, v2, v4
	v_mul_f32_e32 v174, v146, v215
	v_fmac_f32_e32 v11, v161, v223
	v_add_f32_e32 v1, v1, v186
	v_mul_f32_e32 v4, v149, v164
	v_fma_f32 v5, v146, v222, -v5
	v_add_f32_e32 v2, v2, v6
	v_mul_f32_e32 v3, v148, v164
	v_fmac_f32_e32 v174, v147, v222
	v_add_f32_e32 v1, v1, v11
	v_fma_f32 v4, v148, v182, -v4
	v_add_f32_e32 v2, v2, v5
	v_fmac_f32_e32 v3, v149, v182
	v_add_f32_e32 v1, v1, v174
	v_add_f32_e32 v2, v2, v4
	;; [unrolled: 1-line block ×3, first 2 shown]
	s_waitcnt vmcnt(0)
	v_sub_f32_e32 v2, v224, v2
	v_sub_f32_e32 v1, v177, v1
	buffer_store_dword v2, off, s[0:3], 0 offset:40
	buffer_store_dword v1, off, s[0:3], 0 offset:44
	v_cmpx_lt_u32_e32 4, v0
	s_cbranch_execz .LBB127_389
; %bb.388:
	s_clause 0x1
	buffer_load_dword v1, off, s[0:3], 0 offset:32
	buffer_load_dword v2, off, s[0:3], 0 offset:36
	v_mov_b32_e32 v3, 0
	buffer_store_dword v3, off, s[0:3], 0 offset:32
	buffer_store_dword v3, off, s[0:3], 0 offset:36
	s_waitcnt vmcnt(0)
	ds_write_b64 v141, v[1:2]
.LBB127_389:
	s_or_b32 exec_lo, exec_lo, s4
	s_waitcnt lgkmcnt(0)
	s_waitcnt_vscnt null, 0x0
	s_barrier
	buffer_gl0_inv
	s_clause 0x34
	buffer_load_dword v11, off, s[0:3], 0 offset:44
	buffer_load_dword v10, off, s[0:3], 0 offset:52
	;; [unrolled: 1-line block ×53, first 2 shown]
	v_mov_b32_e32 v9, 0
	ds_read2_b64 v[195:198], v9 offset0:69 offset1:70
	ds_read2_b64 v[5:8], v9 offset0:71 offset1:72
	;; [unrolled: 1-line block ×3, first 2 shown]
	s_clause 0x2
	buffer_load_dword v188, off, s[0:3], 0 offset:252
	buffer_load_dword v187, off, s[0:3], 0 offset:260
	;; [unrolled: 1-line block ×3, first 2 shown]
	ds_read2_b64 v[199:202], v9 offset0:75 offset1:76
	s_mov_b32 s4, exec_lo
	s_waitcnt vmcnt(55) lgkmcnt(3)
	v_mul_f32_e32 v203, v195, v11
	v_mul_f32_e32 v11, v196, v11
	s_waitcnt vmcnt(54)
	v_mul_f32_e32 v204, v197, v10
	v_mul_f32_e32 v10, v198, v10
	s_waitcnt vmcnt(51)
	v_fmac_f32_e32 v203, v196, v145
	v_fma_f32 v11, v195, v145, -v11
	v_fmac_f32_e32 v204, v198, v142
	v_fma_f32 v10, v197, v142, -v10
	ds_read2_b64 v[195:198], v9 offset0:77 offset1:78
	s_waitcnt vmcnt(50) lgkmcnt(3)
	v_mul_f32_e32 v205, v5, v144
	v_mul_f32_e32 v144, v6, v144
	s_waitcnt vmcnt(49)
	v_mul_f32_e32 v206, v7, v143
	v_mul_f32_e32 v142, v8, v143
	s_waitcnt vmcnt(48) lgkmcnt(2)
	v_mul_f32_e32 v207, v1, v146
	v_fmac_f32_e32 v205, v6, v12
	v_fma_f32 v12, v5, v12, -v144
	v_mul_f32_e32 v143, v2, v146
	s_waitcnt vmcnt(44)
	v_fmac_f32_e32 v206, v8, v154
	v_fma_f32 v154, v7, v154, -v142
	ds_read2_b64 v[5:8], v9 offset0:79 offset1:80
	s_waitcnt vmcnt(43)
	v_mul_f32_e32 v208, v3, v153
	v_mul_f32_e32 v142, v4, v153
	v_fmac_f32_e32 v207, v2, v151
	v_fma_f32 v151, v1, v151, -v143
	s_waitcnt vmcnt(42) lgkmcnt(2)
	v_mul_f32_e32 v153, v199, v152
	v_mul_f32_e32 v143, v200, v152
	v_fmac_f32_e32 v208, v4, v149
	v_fma_f32 v152, v3, v149, -v142
	ds_read2_b64 v[1:4], v9 offset0:81 offset1:82
	s_waitcnt vmcnt(41)
	v_mul_f32_e32 v209, v201, v150
	v_mul_f32_e32 v142, v202, v150
	v_fmac_f32_e32 v153, v200, v147
	v_fma_f32 v150, v199, v147, -v143
	s_waitcnt vmcnt(40) lgkmcnt(2)
	v_mul_f32_e32 v199, v195, v148
	v_mul_f32_e32 v146, v196, v148
	s_waitcnt vmcnt(36)
	v_fmac_f32_e32 v209, v202, v183
	v_fma_f32 v183, v201, v183, -v142
	ds_read2_b64 v[142:145], v9 offset0:83 offset1:84
	s_waitcnt vmcnt(35)
	v_mul_f32_e32 v200, v197, v182
	v_mul_f32_e32 v147, v198, v182
	v_fmac_f32_e32 v199, v196, v176
	v_fma_f32 v176, v195, v176, -v146
	s_waitcnt vmcnt(34) lgkmcnt(2)
	v_mul_f32_e32 v182, v5, v177
	v_fmac_f32_e32 v200, v198, v168
	v_fma_f32 v168, v197, v168, -v147
	ds_read2_b64 v[146:149], v9 offset0:85 offset1:86
	v_mul_f32_e32 v177, v6, v177
	s_waitcnt vmcnt(33)
	v_mul_f32_e32 v195, v7, v171
	v_mul_f32_e32 v171, v8, v171
	v_fmac_f32_e32 v182, v6, v160
	v_fma_f32 v160, v5, v160, -v177
	s_waitcnt vmcnt(32) lgkmcnt(2)
	v_mul_f32_e32 v177, v1, v179
	v_mul_f32_e32 v179, v2, v179
	s_waitcnt vmcnt(28)
	v_fmac_f32_e32 v195, v8, v185
	v_fma_f32 v171, v7, v185, -v171
	s_waitcnt vmcnt(27)
	v_mul_f32_e32 v185, v3, v184
	v_mul_f32_e32 v184, v4, v184
	ds_read2_b64 v[5:8], v9 offset0:87 offset1:88
	v_fmac_f32_e32 v177, v2, v178
	v_fma_f32 v178, v1, v178, -v179
	s_waitcnt vmcnt(26) lgkmcnt(2)
	v_mul_f32_e32 v179, v142, v180
	v_mul_f32_e32 v180, v143, v180
	v_fmac_f32_e32 v185, v4, v172
	v_fma_f32 v172, v3, v172, -v184
	s_waitcnt vmcnt(25)
	v_mul_f32_e32 v184, v144, v175
	v_mul_f32_e32 v175, v145, v175
	ds_read2_b64 v[1:4], v9 offset0:89 offset1:90
	v_fmac_f32_e32 v179, v143, v164
	v_fma_f32 v164, v142, v164, -v180
	s_waitcnt vmcnt(24) lgkmcnt(2)
	v_mul_f32_e32 v180, v146, v173
	v_mul_f32_e32 v142, v147, v173
	s_waitcnt vmcnt(20)
	v_fmac_f32_e32 v184, v145, v181
	v_fma_f32 v173, v144, v181, -v175
	s_clause 0x3
	buffer_load_dword v175, off, s[0:3], 0 offset:280
	buffer_load_dword v181, off, s[0:3], 0 offset:272
	;; [unrolled: 1-line block ×4, first 2 shown]
	v_fmac_f32_e32 v180, v147, v167
	v_fma_f32 v146, v146, v167, -v142
	s_waitcnt vmcnt(23)
	v_mul_f32_e32 v198, v148, v174
	s_waitcnt vmcnt(22) lgkmcnt(1)
	v_mul_f32_e32 v147, v5, v169
	v_mul_f32_e32 v167, v6, v169
	;; [unrolled: 1-line block ×3, first 2 shown]
	buffer_load_dword v174, off, s[0:3], 0 offset:292
	v_fmac_f32_e32 v198, v149, v161
	v_fmac_f32_e32 v147, v6, v156
	v_fma_f32 v156, v5, v156, -v167
	v_fma_f32 v148, v148, v161, -v143
	ds_read2_b64 v[142:145], v9 offset0:91 offset1:92
	s_waitcnt vmcnt(16) lgkmcnt(1)
	v_mul_f32_e32 v167, v3, v166
	v_mul_f32_e32 v166, v4, v166
	v_mul_f32_e32 v149, v7, v165
	v_mul_f32_e32 v161, v8, v165
	v_mul_f32_e32 v165, v1, v163
	v_mul_f32_e32 v5, v2, v163
	buffer_load_dword v163, off, s[0:3], 0 offset:268
	v_fmac_f32_e32 v167, v4, v157
	v_fma_f32 v157, v3, v157, -v166
	buffer_load_dword v166, off, s[0:3], 0 offset:276
	v_fmac_f32_e32 v149, v8, v170
	v_fma_f32 v161, v7, v170, -v161
	v_fmac_f32_e32 v165, v2, v162
	v_fma_f32 v162, v1, v162, -v5
	ds_read2_b64 v[5:8], v9 offset0:93 offset1:94
	s_waitcnt vmcnt(17) lgkmcnt(1)
	v_mul_f32_e32 v169, v142, v159
	v_mul_f32_e32 v1, v143, v159
	s_waitcnt vmcnt(16)
	v_mul_f32_e32 v159, v144, v158
	v_mul_f32_e32 v2, v145, v158
	buffer_load_dword v158, off, s[0:3], 0 offset:284
	v_fmac_f32_e32 v169, v143, v155
	v_fma_f32 v142, v142, v155, -v1
	s_waitcnt vmcnt(13)
	v_fmac_f32_e32 v159, v145, v193
	v_fma_f32 v143, v144, v193, -v2
	ds_read2_b64 v[1:4], v9 offset0:95 offset1:96
	s_waitcnt vmcnt(12) lgkmcnt(1)
	v_mul_f32_e32 v144, v5, v192
	v_mul_f32_e32 v145, v6, v192
	s_waitcnt vmcnt(11)
	v_mul_f32_e32 v155, v7, v191
	v_mul_f32_e32 v170, v8, v191
	v_fmac_f32_e32 v144, v6, v190
	v_fma_f32 v145, v5, v190, -v145
	v_fmac_f32_e32 v155, v8, v189
	v_fma_f32 v170, v7, v189, -v170
	s_clause 0x5
	buffer_load_dword v189, off, s[0:3], 0 offset:312
	buffer_load_dword v190, off, s[0:3], 0 offset:304
	;; [unrolled: 1-line block ×6, first 2 shown]
	v_add_f32_e32 v5, 0, v11
	v_add_f32_e32 v6, 0, v203
	buffer_load_dword v11, off, s[0:3], 0 offset:324
	s_waitcnt vmcnt(17) lgkmcnt(0)
	v_mul_f32_e32 v7, v2, v188
	v_add_f32_e32 v5, v5, v10
	buffer_load_dword v10, off, s[0:3], 0 offset:316
	v_add_f32_e32 v6, v6, v204
	s_waitcnt vmcnt(17)
	v_mul_f32_e32 v8, v4, v187
	v_add_f32_e32 v5, v5, v12
	v_mul_f32_e32 v12, v1, v188
	v_add_f32_e32 v6, v6, v205
	;; [unrolled: 2-line block ×3, first 2 shown]
	v_fmac_f32_e32 v12, v2, v186
	v_fma_f32 v154, v1, v186, -v7
	v_add_f32_e32 v6, v6, v206
	v_add_f32_e32 v5, v5, v151
	s_clause 0x3
	buffer_load_dword v151, off, s[0:3], 0 offset:344
	buffer_load_dword v186, off, s[0:3], 0 offset:336
	;; [unrolled: 1-line block ×4, first 2 shown]
	v_add_f32_e32 v6, v6, v207
	v_add_f32_e32 v5, v5, v152
	buffer_load_dword v152, off, s[0:3], 0 offset:332
	v_add_f32_e32 v6, v6, v208
	v_add_f32_e32 v5, v5, v150
	;; [unrolled: 1-line block ×8, first 2 shown]
	s_waitcnt vmcnt(17)
	v_fmac_f32_e32 v188, v4, v197
	v_fma_f32 v197, v3, v197, -v8
	ds_read2_b64 v[1:4], v9 offset0:97 offset1:98
	s_clause 0x2
	buffer_load_dword v153, off, s[0:3], 0 offset:340
	buffer_load_dword v183, off, s[0:3], 0 offset:348
	;; [unrolled: 1-line block ×3, first 2 shown]
	ds_read2_b64 v[5:8], v9 offset0:99 offset1:100
	buffer_load_dword v168, off, s[0:3], 0 offset:364
	s_waitcnt vmcnt(19) lgkmcnt(1)
	v_mul_f32_e32 v176, v1, v163
	v_mul_f32_e32 v163, v2, v163
	s_waitcnt vmcnt(18)
	v_mul_f32_e32 v204, v3, v166
	v_mul_f32_e32 v166, v4, v166
	v_fmac_f32_e32 v176, v2, v196
	v_fma_f32 v163, v1, v196, -v163
	v_add_f32_e32 v1, v199, v200
	v_fmac_f32_e32 v204, v4, v181
	v_fma_f32 v166, v3, v181, -v166
	v_add_f32_e32 v2, v150, v160
	s_clause 0x3
	buffer_load_dword v160, off, s[0:3], 0 offset:376
	buffer_load_dword v181, off, s[0:3], 0 offset:368
	;; [unrolled: 1-line block ×4, first 2 shown]
	v_add_f32_e32 v1, v1, v182
	v_add_f32_e32 v150, v2, v171
	s_clause 0x2
	buffer_load_dword v171, off, s[0:3], 0 offset:372
	buffer_load_dword v182, off, s[0:3], 0 offset:380
	;; [unrolled: 1-line block ×3, first 2 shown]
	v_add_f32_e32 v195, v1, v195
	ds_read2_b64 v[1:4], v9 offset0:101 offset1:102
	v_add_f32_e32 v150, v150, v178
	s_waitcnt vmcnt(24) lgkmcnt(1)
	v_mul_f32_e32 v178, v5, v158
	v_mul_f32_e32 v158, v6, v158
	v_add_f32_e32 v177, v195, v177
	v_mul_f32_e32 v195, v7, v174
	v_mul_f32_e32 v174, v8, v174
	v_fmac_f32_e32 v178, v6, v175
	v_add_f32_e32 v6, v150, v172
	v_fma_f32 v150, v5, v175, -v158
	v_add_f32_e32 v5, v177, v185
	v_add_f32_e32 v164, v6, v164
	s_waitcnt vmcnt(20)
	v_fmac_f32_e32 v195, v8, v192
	v_add_f32_e32 v179, v5, v179
	v_fma_f32 v158, v7, v192, -v174
	s_clause 0x4
	buffer_load_dword v172, off, s[0:3], 0 offset:408
	buffer_load_dword v174, off, s[0:3], 0 offset:400
	;; [unrolled: 1-line block ×5, first 2 shown]
	v_add_f32_e32 v164, v164, v173
	s_waitcnt vmcnt(24) lgkmcnt(0)
	v_mul_f32_e32 v173, v2, v193
	v_add_f32_e32 v179, v179, v184
	v_mul_f32_e32 v192, v1, v193
	ds_read2_b64 v[5:8], v9 offset0:103 offset1:104
	v_add_f32_e32 v146, v164, v146
	v_fma_f32 v173, v1, v191, -v173
	v_add_f32_e32 v1, v179, v180
	v_fmac_f32_e32 v192, v2, v191
	s_clause 0x1
	buffer_load_dword v184, off, s[0:3], 0 offset:404
	buffer_load_dword v193, off, s[0:3], 0 offset:412
	v_add_f32_e32 v2, v146, v148
	buffer_load_dword v164, off, s[0:3], 0 offset:420
	v_add_f32_e32 v1, v1, v198
	s_waitcnt vmcnt(26)
	v_mul_f32_e32 v191, v3, v201
	v_mul_f32_e32 v146, v4, v201
	v_add_f32_e32 v2, v2, v156
	s_clause 0x1
	buffer_load_dword v179, off, s[0:3], 0 offset:428
	buffer_load_dword v180, off, s[0:3], 0 offset:436
	v_add_f32_e32 v1, v1, v147
	buffer_load_dword v198, off, s[0:3], 0 offset:444
	v_fmac_f32_e32 v191, v4, v190
	v_add_f32_e32 v2, v2, v161
	v_fma_f32 v156, v3, v190, -v146
	v_add_f32_e32 v1, v1, v149
	s_clause 0x4
	buffer_load_dword v190, off, s[0:3], 0 offset:452
	buffer_load_dword v201, off, s[0:3], 0 offset:460
	;; [unrolled: 1-line block ×5, first 2 shown]
	v_add_f32_e32 v2, v2, v162
	s_clause 0x2
	buffer_load_dword v162, off, s[0:3], 0 offset:492
	buffer_load_dword v208, off, s[0:3], 0 offset:500
	;; [unrolled: 1-line block ×3, first 2 shown]
	v_add_f32_e32 v1, v1, v165
	s_clause 0x3
	buffer_load_dword v165, off, s[0:3], 0 offset:440
	buffer_load_dword v210, off, s[0:3], 0 offset:432
	;; [unrolled: 1-line block ×4, first 2 shown]
	s_waitcnt vmcnt(39) lgkmcnt(0)
	v_mul_f32_e32 v3, v6, v10
	v_add_f32_e32 v2, v2, v157
	v_add_f32_e32 v1, v1, v167
	;; [unrolled: 1-line block ×4, first 2 shown]
	s_clause 0x3
	buffer_load_dword v167, off, s[0:3], 0 offset:472
	buffer_load_dword v169, off, s[0:3], 0 offset:464
	;; [unrolled: 1-line block ×4, first 2 shown]
	v_add_f32_e32 v2, v2, v143
	v_add_f32_e32 v1, v1, v159
	;; [unrolled: 1-line block ×5, first 2 shown]
	s_clause 0x4
	buffer_load_dword v170, off, s[0:3], 0 offset:504
	buffer_load_dword v215, off, s[0:3], 0 offset:496
	;; [unrolled: 1-line block ×5, first 2 shown]
	v_add_f32_e32 v1, v1, v155
	v_mul_f32_e32 v155, v7, v11
	v_add_f32_e32 v2, v2, v154
	v_mul_f32_e32 v154, v5, v10
	v_fma_f32 v10, v5, v189, -v3
	v_add_f32_e32 v1, v1, v12
	s_waitcnt vmcnt(44)
	v_fmac_f32_e32 v155, v8, v202
	v_add_f32_e32 v5, v2, v197
	v_fmac_f32_e32 v154, v6, v189
	v_add_f32_e32 v6, v1, v188
	ds_read2_b64 v[1:4], v9 offset0:105 offset1:106
	v_add_f32_e32 v12, v5, v163
	v_mul_f32_e32 v5, v8, v11
	v_add_f32_e32 v142, v6, v176
	v_add_f32_e32 v12, v12, v166
	v_fma_f32 v11, v7, v202, -v5
	ds_read2_b64 v[5:8], v9 offset0:107 offset1:108
	v_add_f32_e32 v146, v142, v204
	ds_read2_b64 v[142:145], v9 offset0:109 offset1:110
	v_add_f32_e32 v12, v12, v150
	v_add_f32_e32 v146, v146, v178
	;; [unrolled: 1-line block ×3, first 2 shown]
	s_waitcnt vmcnt(43) lgkmcnt(2)
	v_mul_f32_e32 v147, v2, v152
	v_mul_f32_e32 v159, v1, v152
	v_fma_f32 v158, v1, v187, -v147
	v_add_f32_e32 v1, v146, v195
	v_fmac_f32_e32 v159, v2, v187
	v_add_f32_e32 v2, v12, v173
	ds_read2_b64 v[146:149], v9 offset0:111 offset1:112
	v_add_f32_e32 v1, v1, v192
	v_add_f32_e32 v2, v2, v156
	;; [unrolled: 1-line block ×3, first 2 shown]
	s_waitcnt vmcnt(42)
	v_mul_f32_e32 v150, v4, v153
	s_waitcnt vmcnt(41) lgkmcnt(2)
	v_mul_f32_e32 v152, v6, v183
	v_mul_f32_e32 v163, v5, v183
	;; [unrolled: 1-line block ×3, first 2 shown]
	s_waitcnt vmcnt(40)
	v_mul_f32_e32 v156, v8, v203
	v_fma_f32 v161, v3, v186, -v150
	v_fma_f32 v176, v5, v151, -v152
	v_add_f32_e32 v5, v2, v10
	v_fmac_f32_e32 v163, v6, v151
	v_add_f32_e32 v6, v1, v154
	s_waitcnt vmcnt(39) lgkmcnt(1)
	v_mul_f32_e32 v10, v143, v168
	v_fmac_f32_e32 v12, v4, v186
	v_add_f32_e32 v11, v5, v11
	v_mul_f32_e32 v166, v7, v203
	v_mul_f32_e32 v173, v142, v168
	ds_read2_b64 v[1:4], v9 offset0:113 offset1:114
	ds_read2_b64 v[150:153], v9 offset0:115 offset1:116
	v_add_f32_e32 v11, v11, v158
	v_add_f32_e32 v11, v11, v161
	s_waitcnt vmcnt(36)
	v_fma_f32 v178, v142, v196, -v10
	v_add_f32_e32 v10, v6, v155
	s_waitcnt vmcnt(35)
	v_fma_f32 v168, v7, v199, -v156
	v_fmac_f32_e32 v166, v8, v199
	s_waitcnt vmcnt(34)
	v_mul_f32_e32 v183, v144, v171
	v_mul_f32_e32 v142, v145, v171
	v_add_f32_e32 v10, v10, v159
	v_fmac_f32_e32 v173, v143, v196
	s_waitcnt vmcnt(33) lgkmcnt(2)
	v_mul_f32_e32 v143, v147, v182
	v_fmac_f32_e32 v183, v145, v181
	v_fma_f32 v181, v144, v181, -v142
	v_add_f32_e32 v10, v10, v12
	v_add_f32_e32 v12, v11, v176
	v_mul_f32_e32 v171, v146, v182
	s_waitcnt vmcnt(32)
	v_mul_f32_e32 v186, v148, v200
	v_mul_f32_e32 v182, v149, v200
	v_add_f32_e32 v163, v10, v163
	v_add_f32_e32 v12, v12, v168
	v_fma_f32 v187, v146, v160, -v143
	v_fmac_f32_e32 v171, v147, v160
	ds_read2_b64 v[5:8], v9 offset0:117 offset1:118
	ds_read2_b64 v[154:157], v9 offset0:119 offset1:120
	v_add_f32_e32 v163, v163, v166
	v_add_f32_e32 v12, v12, v178
	ds_read2_b64 v[142:145], v9 offset0:121 offset1:122
	ds_read2_b64 v[158:161], v9 offset0:123 offset1:124
	s_waitcnt vmcnt(28)
	v_fmac_f32_e32 v186, v149, v177
	v_add_f32_e32 v163, v163, v173
	v_add_f32_e32 v12, v12, v181
	v_fma_f32 v176, v148, v177, -v182
	s_waitcnt vmcnt(27) lgkmcnt(5)
	v_mul_f32_e32 v177, v2, v185
	v_mul_f32_e32 v168, v1, v185
	v_add_f32_e32 v163, v163, v183
	v_add_f32_e32 v12, v12, v187
	ds_read2_b64 v[146:149], v9 offset0:125 offset1:126
	ds_read_b64 v[10:11], v9 offset:1016
	v_fma_f32 v1, v1, v175, -v177
	s_waitcnt vmcnt(26)
	v_mul_f32_e32 v182, v4, v184
	v_add_f32_e32 v163, v163, v171
	v_add_f32_e32 v12, v12, v176
	v_mul_f32_e32 v166, v3, v184
	v_fmac_f32_e32 v168, v2, v175
	s_waitcnt vmcnt(25) lgkmcnt(6)
	v_mul_f32_e32 v181, v151, v193
	v_add_f32_e32 v163, v163, v186
	v_fma_f32 v3, v3, v174, -v182
	v_add_f32_e32 v1, v12, v1
	v_mul_f32_e32 v178, v150, v193
	v_fmac_f32_e32 v166, v4, v174
	v_add_f32_e32 v12, v163, v168
	s_waitcnt vmcnt(24)
	v_mul_f32_e32 v173, v152, v164
	v_mul_f32_e32 v164, v153, v164
	v_fma_f32 v150, v150, v172, -v181
	v_add_f32_e32 v1, v1, v3
	v_fmac_f32_e32 v178, v151, v172
	v_add_f32_e32 v3, v12, v166
	s_waitcnt vmcnt(23) lgkmcnt(5)
	v_mul_f32_e32 v12, v6, v179
	v_mul_f32_e32 v2, v5, v179
	s_waitcnt vmcnt(9)
	v_fma_f32 v151, v152, v212, -v164
	v_add_f32_e32 v1, v1, v150
	v_fmac_f32_e32 v173, v153, v212
	v_add_f32_e32 v3, v3, v178
	v_mul_f32_e32 v150, v8, v180
	v_fma_f32 v5, v5, v211, -v12
	v_add_f32_e32 v1, v1, v151
	v_mul_f32_e32 v175, v7, v180
	v_fmac_f32_e32 v2, v6, v211
	v_add_f32_e32 v3, v3, v173
	s_waitcnt lgkmcnt(4)
	v_mul_f32_e32 v6, v155, v198
	v_fma_f32 v7, v7, v210, -v150
	v_add_f32_e32 v1, v1, v5
	v_mul_f32_e32 v177, v154, v198
	v_fmac_f32_e32 v175, v8, v210
	v_add_f32_e32 v2, v3, v2
	v_mul_f32_e32 v3, v157, v190
	v_fma_f32 v5, v154, v165, -v6
	v_add_f32_e32 v1, v1, v7
	v_mul_f32_e32 v4, v156, v190
	v_fmac_f32_e32 v177, v155, v165
	v_add_f32_e32 v2, v2, v175
	s_waitcnt lgkmcnt(3)
	v_mul_f32_e32 v6, v143, v201
	s_waitcnt vmcnt(5)
	v_fma_f32 v3, v156, v214, -v3
	v_add_f32_e32 v1, v1, v5
	v_mul_f32_e32 v174, v142, v201
	v_fmac_f32_e32 v4, v157, v214
	v_add_f32_e32 v2, v2, v177
	v_mul_f32_e32 v5, v145, v205
	v_fma_f32 v6, v142, v213, -v6
	v_add_f32_e32 v1, v1, v3
	v_mul_f32_e32 v171, v144, v205
	v_fmac_f32_e32 v174, v143, v213
	v_add_f32_e32 v2, v2, v4
	s_waitcnt lgkmcnt(2)
	v_mul_f32_e32 v3, v159, v206
	v_fma_f32 v4, v144, v169, -v5
	v_add_f32_e32 v1, v1, v6
	v_mul_f32_e32 v182, v158, v206
	v_fmac_f32_e32 v171, v145, v169
	v_add_f32_e32 v2, v2, v174
	v_mul_f32_e32 v5, v161, v207
	v_fma_f32 v3, v158, v167, -v3
	v_add_f32_e32 v1, v1, v4
	v_mul_f32_e32 v183, v160, v207
	v_fmac_f32_e32 v182, v159, v167
	v_add_f32_e32 v2, v2, v171
	s_waitcnt lgkmcnt(1)
	v_mul_f32_e32 v4, v147, v162
	s_waitcnt vmcnt(1)
	v_fma_f32 v5, v160, v217, -v5
	v_add_f32_e32 v1, v1, v3
	v_mul_f32_e32 v176, v146, v162
	v_fmac_f32_e32 v183, v161, v217
	v_add_f32_e32 v2, v2, v182
	v_mul_f32_e32 v3, v149, v208
	v_fma_f32 v4, v146, v216, -v4
	v_add_f32_e32 v1, v1, v5
	v_mul_f32_e32 v184, v148, v208
	v_fmac_f32_e32 v176, v147, v216
	v_add_f32_e32 v2, v2, v183
	s_waitcnt lgkmcnt(0)
	v_mul_f32_e32 v5, v11, v209
	v_fma_f32 v3, v148, v215, -v3
	v_add_f32_e32 v1, v1, v4
	v_mul_f32_e32 v163, v10, v209
	v_fmac_f32_e32 v184, v149, v215
	v_add_f32_e32 v2, v2, v176
	v_fma_f32 v4, v10, v170, -v5
	v_add_f32_e32 v1, v1, v3
	v_fmac_f32_e32 v163, v11, v170
	v_add_f32_e32 v2, v2, v184
	v_add_f32_e32 v1, v1, v4
	;; [unrolled: 1-line block ×3, first 2 shown]
	s_waitcnt vmcnt(0)
	v_sub_f32_e32 v1, v218, v1
	v_sub_f32_e32 v2, v194, v2
	buffer_store_dword v1, off, s[0:3], 0 offset:32
	buffer_store_dword v2, off, s[0:3], 0 offset:36
	v_cmpx_lt_u32_e32 3, v0
	s_cbranch_execz .LBB127_391
; %bb.390:
	s_clause 0x1
	buffer_load_dword v1, off, s[0:3], 0 offset:24
	buffer_load_dword v2, off, s[0:3], 0 offset:28
	buffer_store_dword v9, off, s[0:3], 0 offset:24
	buffer_store_dword v9, off, s[0:3], 0 offset:28
	s_waitcnt vmcnt(0)
	ds_write_b64 v141, v[1:2]
.LBB127_391:
	s_or_b32 exec_lo, exec_lo, s4
	s_waitcnt lgkmcnt(0)
	s_waitcnt_vscnt null, 0x0
	s_barrier
	buffer_gl0_inv
	s_clause 0x3c
	buffer_load_dword v176, off, s[0:3], 0 offset:36
	buffer_load_dword v177, off, s[0:3], 0 offset:44
	;; [unrolled: 1-line block ×61, first 2 shown]
	ds_read_b128 v[193:196], v9 offset:544
	ds_read_b128 v[197:200], v9 offset:560
	s_mov_b32 s4, exec_lo
	s_waitcnt vmcnt(60) lgkmcnt(1)
	v_mul_f32_e32 v187, v193, v176
	v_mul_f32_e32 v201, v194, v176
	s_waitcnt vmcnt(59)
	v_mul_f32_e32 v176, v195, v177
	v_mul_f32_e32 v202, v196, v177
	buffer_load_dword v177, off, s[0:3], 0 offset:28
	s_waitcnt vmcnt(57)
	v_fmac_f32_e32 v187, v194, v5
	v_fma_f32 v201, v193, v5, -v201
	v_fmac_f32_e32 v176, v196, v4
	v_fma_f32 v202, v195, v4, -v202
	ds_read_b128 v[193:196], v9 offset:576
	s_waitcnt vmcnt(56) lgkmcnt(1)
	v_mul_f32_e32 v203, v197, v3
	v_mul_f32_e32 v3, v198, v3
	s_waitcnt vmcnt(55)
	v_mul_f32_e32 v204, v199, v2
	v_mul_f32_e32 v2, v200, v2
	v_fmac_f32_e32 v203, v198, v1
	v_fma_f32 v197, v197, v1, -v3
	s_waitcnt vmcnt(51)
	v_fmac_f32_e32 v204, v200, v143
	v_fma_f32 v143, v199, v143, -v2
	ds_read_b128 v[1:4], v9 offset:592
	s_waitcnt vmcnt(50) lgkmcnt(1)
	v_mul_f32_e32 v198, v193, v142
	v_mul_f32_e32 v5, v194, v142
	s_waitcnt vmcnt(49)
	v_mul_f32_e32 v142, v195, v12
	v_mul_f32_e32 v12, v196, v12
	v_fmac_f32_e32 v198, v194, v11
	v_fma_f32 v11, v193, v11, -v5
	v_fmac_f32_e32 v142, v196, v7
	v_fma_f32 v12, v195, v7, -v12
	ds_read_b128 v[193:196], v9 offset:608
	s_waitcnt vmcnt(48) lgkmcnt(1)
	v_mul_f32_e32 v199, v1, v10
	v_mul_f32_e32 v5, v2, v10
	s_waitcnt vmcnt(47)
	v_mul_f32_e32 v10, v3, v8
	v_mul_f32_e32 v7, v4, v8
	v_fmac_f32_e32 v199, v2, v6
	v_fma_f32 v200, v1, v6, -v5
	s_waitcnt vmcnt(43)
	v_fmac_f32_e32 v10, v4, v151
	v_fma_f32 v151, v3, v151, -v7
	ds_read_b128 v[1:4], v9 offset:624
	s_waitcnt vmcnt(42) lgkmcnt(1)
	v_mul_f32_e32 v205, v193, v150
	v_mul_f32_e32 v5, v194, v150
	s_waitcnt vmcnt(41)
	v_mul_f32_e32 v150, v195, v149
	v_mul_f32_e32 v6, v196, v149
	v_fmac_f32_e32 v205, v194, v148
	v_fma_f32 v148, v193, v148, -v5
	v_fmac_f32_e32 v150, v196, v145
	v_fma_f32 v145, v195, v145, -v6
	ds_read_b128 v[5:8], v9 offset:640
	s_waitcnt vmcnt(40) lgkmcnt(1)
	v_mul_f32_e32 v149, v1, v147
	v_mul_f32_e32 v147, v2, v147
	s_waitcnt vmcnt(39)
	v_mul_f32_e32 v193, v3, v146
	v_mul_f32_e32 v146, v4, v146
	s_clause 0x1
	buffer_load_dword v194, off, s[0:3], 0 offset:276
	buffer_load_dword v195, off, s[0:3], 0 offset:284
	v_fmac_f32_e32 v149, v2, v144
	v_fma_f32 v144, v1, v144, -v147
	s_waitcnt vmcnt(37)
	v_fmac_f32_e32 v193, v4, v175
	v_fma_f32 v146, v3, v175, -v146
	ds_read_b128 v[1:4], v9 offset:656
	s_waitcnt vmcnt(36) lgkmcnt(1)
	v_mul_f32_e32 v147, v5, v174
	v_mul_f32_e32 v174, v6, v174
	s_waitcnt vmcnt(35)
	v_mul_f32_e32 v175, v7, v173
	v_mul_f32_e32 v173, v8, v173
	v_fmac_f32_e32 v147, v6, v168
	v_fma_f32 v168, v5, v168, -v174
	v_fmac_f32_e32 v175, v8, v163
	v_fma_f32 v163, v7, v163, -v173
	ds_read_b128 v[5:8], v9 offset:672
	s_waitcnt vmcnt(34) lgkmcnt(1)
	v_mul_f32_e32 v173, v1, v167
	v_mul_f32_e32 v167, v2, v167
	s_waitcnt vmcnt(33)
	v_mul_f32_e32 v174, v3, v165
	v_mul_f32_e32 v165, v4, v165
	v_fmac_f32_e32 v173, v2, v154
	v_fma_f32 v154, v1, v154, -v167
	s_waitcnt vmcnt(29)
	v_fmac_f32_e32 v174, v4, v172
	v_fma_f32 v165, v3, v172, -v165
	ds_read_b128 v[1:4], v9 offset:688
	s_waitcnt vmcnt(28) lgkmcnt(1)
	v_mul_f32_e32 v167, v5, v171
	v_mul_f32_e32 v171, v6, v171
	s_waitcnt vmcnt(27)
	v_mul_f32_e32 v172, v7, v170
	v_mul_f32_e32 v170, v8, v170
	v_fmac_f32_e32 v167, v6, v162
	v_fma_f32 v162, v5, v162, -v171
	v_fmac_f32_e32 v172, v8, v159
	v_fma_f32 v159, v7, v159, -v170
	ds_read_b128 v[5:8], v9 offset:704
	s_waitcnt vmcnt(26) lgkmcnt(1)
	v_mul_f32_e32 v170, v1, v161
	v_mul_f32_e32 v161, v2, v161
	s_waitcnt vmcnt(25)
	v_mul_f32_e32 v171, v3, v160
	v_mul_f32_e32 v160, v4, v160
	;; [unrolled: 23-line block ×4, first 2 shown]
	v_fmac_f32_e32 v183, v2, v178
	v_fma_f32 v178, v1, v178, -v181
	s_waitcnt vmcnt(5)
	v_fmac_f32_e32 v184, v4, v192
	v_fma_f32 v180, v3, v192, -v180
	ds_read_b128 v[1:4], v9 offset:784
	s_waitcnt vmcnt(4) lgkmcnt(1)
	v_mul_f32_e32 v181, v5, v191
	v_mul_f32_e32 v191, v6, v191
	s_waitcnt vmcnt(3)
	v_mul_f32_e32 v192, v7, v190
	v_mul_f32_e32 v190, v8, v190
	v_fmac_f32_e32 v181, v6, v189
	v_fma_f32 v189, v5, v189, -v191
	v_fmac_f32_e32 v192, v8, v188
	v_fma_f32 v188, v7, v188, -v190
	s_clause 0x5
	buffer_load_dword v190, off, s[0:3], 0 offset:304
	buffer_load_dword v191, off, s[0:3], 0 offset:296
	;; [unrolled: 1-line block ×6, first 2 shown]
	v_add_f32_e32 v6, 0, v201
	buffer_load_dword v201, off, s[0:3], 0 offset:308
	v_add_f32_e32 v7, 0, v187
	v_add_f32_e32 v6, v6, v202
	;; [unrolled: 1-line block ×3, first 2 shown]
	buffer_load_dword v176, off, s[0:3], 0 offset:316
	v_add_f32_e32 v6, v6, v197
	v_add_f32_e32 v7, v7, v203
	;; [unrolled: 1-line block ×3, first 2 shown]
	s_clause 0x3
	buffer_load_dword v187, off, s[0:3], 0 offset:336
	buffer_load_dword v143, off, s[0:3], 0 offset:328
	;; [unrolled: 1-line block ×4, first 2 shown]
	v_add_f32_e32 v7, v7, v204
	v_add_f32_e32 v6, v6, v11
	buffer_load_dword v11, off, s[0:3], 0 offset:324
	v_add_f32_e32 v7, v7, v198
	buffer_load_dword v198, off, s[0:3], 0 offset:332
	v_add_f32_e32 v6, v6, v12
	v_add_f32_e32 v7, v7, v142
	;; [unrolled: 1-line block ×5, first 2 shown]
	s_clause 0x1
	buffer_load_dword v12, off, s[0:3], 0 offset:340
	buffer_load_dword v151, off, s[0:3], 0 offset:348
	v_add_f32_e32 v7, v7, v10
	v_add_f32_e32 v6, v6, v148
	s_clause 0x3
	buffer_load_dword v10, off, s[0:3], 0 offset:368
	buffer_load_dword v199, off, s[0:3], 0 offset:360
	;; [unrolled: 1-line block ×4, first 2 shown]
	v_add_f32_e32 v7, v7, v205
	s_clause 0x3
	buffer_load_dword v203, off, s[0:3], 0 offset:356
	buffer_load_dword v204, off, s[0:3], 0 offset:364
	;; [unrolled: 1-line block ×4, first 2 shown]
	v_add_f32_e32 v6, v6, v145
	v_add_f32_e32 v7, v7, v150
	;; [unrolled: 1-line block ×6, first 2 shown]
	s_waitcnt vmcnt(25) lgkmcnt(0)
	v_mul_f32_e32 v142, v1, v194
	s_waitcnt vmcnt(24)
	v_mul_f32_e32 v149, v3, v195
	v_mul_f32_e32 v144, v4, v195
	;; [unrolled: 1-line block ×3, first 2 shown]
	v_fmac_f32_e32 v142, v2, v186
	v_fma_f32 v145, v1, v186, -v8
	s_waitcnt vmcnt(20)
	v_fmac_f32_e32 v149, v4, v5
	v_fma_f32 v146, v3, v5, -v144
	v_add_f32_e32 v5, v6, v168
	v_add_f32_e32 v6, v7, v147
	ds_read_b128 v[1:4], v9 offset:800
	s_clause 0x3
	buffer_load_dword v168, off, s[0:3], 0 offset:400
	buffer_load_dword v186, off, s[0:3], 0 offset:392
	;; [unrolled: 1-line block ×4, first 2 shown]
	v_add_f32_e32 v5, v5, v163
	v_add_f32_e32 v6, v6, v175
	;; [unrolled: 1-line block ×4, first 2 shown]
	s_clause 0x2
	buffer_load_dword v163, off, s[0:3], 0 offset:388
	buffer_load_dword v173, off, s[0:3], 0 offset:396
	;; [unrolled: 1-line block ×3, first 2 shown]
	v_add_f32_e32 v147, v5, v165
	v_add_f32_e32 v144, v144, v174
	ds_read_b128 v[5:8], v9 offset:816
	v_add_f32_e32 v147, v147, v162
	v_add_f32_e32 v144, v144, v167
	s_waitcnt vmcnt(26) lgkmcnt(1)
	v_mul_f32_e32 v150, v1, v206
	v_mul_f32_e32 v154, v2, v206
	s_waitcnt vmcnt(25)
	v_mul_f32_e32 v165, v4, v207
	v_mul_f32_e32 v162, v3, v207
	v_fmac_f32_e32 v150, v2, v196
	v_add_f32_e32 v2, v144, v172
	v_fma_f32 v154, v1, v196, -v154
	v_add_f32_e32 v1, v147, v159
	v_fma_f32 v165, v3, v191, -v165
	s_clause 0x3
	buffer_load_dword v159, off, s[0:3], 0 offset:412
	buffer_load_dword v167, off, s[0:3], 0 offset:420
	buffer_load_dword v172, off, s[0:3], 0 offset:428
	buffer_load_dword v174, off, s[0:3], 0 offset:436
	v_add_f32_e32 v2, v2, v170
	v_fmac_f32_e32 v162, v4, v191
	v_add_f32_e32 v1, v1, v153
	s_clause 0x3
	buffer_load_dword v170, off, s[0:3], 0 offset:444
	buffer_load_dword v191, off, s[0:3], 0 offset:452
	;; [unrolled: 1-line block ×4, first 2 shown]
	s_waitcnt vmcnt(32) lgkmcnt(0)
	v_mul_f32_e32 v153, v5, v201
	v_add_f32_e32 v2, v2, v171
	v_mul_f32_e32 v3, v6, v201
	v_add_f32_e32 v1, v1, v160
	s_clause 0x3
	buffer_load_dword v160, off, s[0:3], 0 offset:476
	buffer_load_dword v171, off, s[0:3], 0 offset:484
	;; [unrolled: 1-line block ×4, first 2 shown]
	v_fmac_f32_e32 v153, v6, v190
	v_add_f32_e32 v2, v2, v161
	v_fma_f32 v161, v5, v190, -v3
	v_add_f32_e32 v1, v1, v158
	buffer_load_dword v158, off, s[0:3], 0 offset:508
	v_add_f32_e32 v5, v2, v169
	s_clause 0x3
	buffer_load_dword v169, off, s[0:3], 0 offset:432
	buffer_load_dword v190, off, s[0:3], 0 offset:424
	;; [unrolled: 1-line block ×4, first 2 shown]
	v_add_f32_e32 v1, v1, v155
	v_add_f32_e32 v5, v5, v164
	v_add_f32_e32 v6, v1, v152
	s_waitcnt vmcnt(40)
	v_mul_f32_e32 v1, v8, v176
	v_mul_f32_e32 v152, v7, v176
	v_add_f32_e32 v5, v5, v166
	v_add_f32_e32 v6, v6, v156
	s_waitcnt vmcnt(36)
	v_fma_f32 v155, v7, v202, -v1
	ds_read_b128 v[1:4], v9 offset:832
	v_add_f32_e32 v5, v5, v157
	v_fmac_f32_e32 v152, v8, v202
	v_add_f32_e32 v6, v6, v182
	s_clause 0x3
	buffer_load_dword v164, off, s[0:3], 0 offset:464
	buffer_load_dword v166, off, s[0:3], 0 offset:456
	;; [unrolled: 1-line block ×4, first 2 shown]
	v_add_f32_e32 v147, v5, v185
	v_add_f32_e32 v144, v6, v179
	ds_read_b128 v[5:8], v9 offset:848
	v_add_f32_e32 v147, v147, v183
	v_add_f32_e32 v144, v144, v178
	s_waitcnt vmcnt(39) lgkmcnt(1)
	v_mul_f32_e32 v156, v1, v11
	v_mul_f32_e32 v11, v2, v11
	s_waitcnt vmcnt(38)
	v_mul_f32_e32 v185, v3, v198
	v_fmac_f32_e32 v156, v2, v197
	v_fma_f32 v11, v1, v197, -v11
	v_add_f32_e32 v1, v144, v180
	s_clause 0x3
	buffer_load_dword v178, off, s[0:3], 0 offset:496
	buffer_load_dword v179, off, s[0:3], 0 offset:488
	;; [unrolled: 1-line block ×4, first 2 shown]
	v_add_f32_e32 v2, v147, v184
	buffer_load_dword v184, off, s[0:3], 0 offset:504
	v_mul_f32_e32 v144, v4, v198
	v_add_f32_e32 v1, v1, v189
	v_fmac_f32_e32 v185, v4, v143
	v_add_f32_e32 v2, v2, v181
	buffer_load_dword v181, off, s[0:3], 0 offset:24
	s_waitcnt vmcnt(43) lgkmcnt(0)
	v_mul_f32_e32 v189, v5, v12
	v_add_f32_e32 v1, v1, v188
	v_fma_f32 v188, v3, v143, -v144
	v_add_f32_e32 v147, v2, v192
	s_waitcnt vmcnt(42)
	v_mul_f32_e32 v192, v7, v151
	v_mul_f32_e32 v12, v6, v12
	v_add_f32_e32 v157, v1, v145
	ds_read_b128 v[1:4], v9 offset:864
	v_add_f32_e32 v147, v147, v142
	ds_read_b128 v[142:145], v9 offset:880
	v_fmac_f32_e32 v189, v6, v187
	v_add_f32_e32 v146, v157, v146
	v_fma_f32 v12, v5, v187, -v12
	v_add_f32_e32 v147, v147, v149
	v_mul_f32_e32 v149, v8, v151
	s_waitcnt vmcnt(38)
	v_fmac_f32_e32 v192, v8, v148
	v_add_f32_e32 v151, v146, v154
	v_add_f32_e32 v150, v147, v150
	v_fma_f32 v187, v7, v148, -v149
	ds_read_b128 v[5:8], v9 offset:896
	ds_read_b128 v[146:149], v9 offset:912
	v_add_f32_e32 v151, v151, v165
	v_add_f32_e32 v150, v150, v162
	;; [unrolled: 1-line block ×3, first 2 shown]
	s_waitcnt vmcnt(37) lgkmcnt(3)
	v_mul_f32_e32 v165, v1, v203
	v_mul_f32_e32 v154, v2, v203
	v_add_f32_e32 v150, v150, v153
	s_waitcnt vmcnt(35) lgkmcnt(2)
	v_mul_f32_e32 v161, v142, v205
	v_mul_f32_e32 v197, v143, v205
	v_fmac_f32_e32 v165, v2, v200
	v_fma_f32 v200, v1, v200, -v154
	v_add_f32_e32 v154, v151, v155
	v_add_f32_e32 v155, v150, v152
	v_fmac_f32_e32 v161, v143, v10
	v_fma_f32 v197, v142, v10, -v197
	v_mul_f32_e32 v162, v3, v204
	v_add_f32_e32 v10, v154, v11
	v_add_f32_e32 v11, v155, v156
	v_mul_f32_e32 v157, v4, v204
	s_waitcnt vmcnt(34)
	v_mul_f32_e32 v198, v144, v208
	v_fmac_f32_e32 v162, v4, v199
	v_add_f32_e32 v10, v10, v188
	v_add_f32_e32 v11, v11, v185
	v_fma_f32 v199, v3, v199, -v157
	v_mul_f32_e32 v157, v145, v208
	ds_read_b128 v[1:4], v9 offset:928
	ds_read_b128 v[150:153], v9 offset:944
	s_waitcnt vmcnt(30)
	v_fmac_f32_e32 v198, v145, v194
	v_fma_f32 v194, v144, v194, -v157
	ds_read_b128 v[142:145], v9 offset:960
	ds_read_b128 v[154:157], v9 offset:976
	s_waitcnt vmcnt(29) lgkmcnt(5)
	v_mul_f32_e32 v188, v5, v163
	s_waitcnt vmcnt(28)
	v_mul_f32_e32 v185, v7, v173
	v_mul_f32_e32 v163, v6, v163
	;; [unrolled: 1-line block ×3, first 2 shown]
	v_fmac_f32_e32 v188, v6, v193
	v_add_f32_e32 v6, v10, v12
	v_add_f32_e32 v10, v11, v189
	v_fmac_f32_e32 v185, v8, v186
	v_fma_f32 v173, v7, v186, -v173
	v_fma_f32 v163, v5, v193, -v163
	v_add_f32_e32 v186, v6, v187
	v_add_f32_e32 v187, v10, v192
	s_waitcnt vmcnt(27) lgkmcnt(4)
	v_mul_f32_e32 v189, v146, v175
	v_mul_f32_e32 v175, v147, v175
	ds_read_b128 v[5:8], v9 offset:992
	ds_read_b128 v[9:12], v9 offset:1008
	v_add_f32_e32 v186, v186, v200
	v_add_f32_e32 v165, v187, v165
	v_fmac_f32_e32 v189, v147, v168
	s_waitcnt vmcnt(26)
	v_mul_f32_e32 v187, v148, v159
	v_mul_f32_e32 v159, v149, v159
	v_add_f32_e32 v186, v186, v199
	v_add_f32_e32 v162, v165, v162
	v_fma_f32 v146, v146, v168, -v175
	s_waitcnt vmcnt(25) lgkmcnt(5)
	v_mul_f32_e32 v192, v1, v167
	v_mul_f32_e32 v167, v2, v167
	v_add_f32_e32 v186, v186, v197
	v_add_f32_e32 v161, v162, v161
	s_waitcnt vmcnt(24)
	v_mul_f32_e32 v165, v3, v172
	s_waitcnt vmcnt(23) lgkmcnt(4)
	v_mul_f32_e32 v193, v150, v174
	s_waitcnt vmcnt(22)
	v_mul_f32_e32 v197, v152, v170
	v_add_f32_e32 v186, v186, v194
	v_add_f32_e32 v161, v161, v198
	s_waitcnt vmcnt(21) lgkmcnt(3)
	v_mul_f32_e32 v162, v142, v191
	s_waitcnt vmcnt(20)
	v_mul_f32_e32 v199, v144, v195
	s_waitcnt vmcnt(19) lgkmcnt(2)
	v_mul_f32_e32 v194, v154, v196
	v_add_f32_e32 v163, v186, v163
	v_add_f32_e32 v161, v161, v188
	s_waitcnt vmcnt(11)
	v_fmac_f32_e32 v192, v2, v201
	s_waitcnt vmcnt(10)
	v_fma_f32 v148, v148, v209, -v159
	v_fmac_f32_e32 v187, v149, v209
	v_add_f32_e32 v163, v163, v173
	v_add_f32_e32 v161, v161, v185
	v_mul_f32_e32 v159, v4, v172
	v_fma_f32 v1, v1, v201, -v167
	v_fmac_f32_e32 v165, v4, v190
	v_add_f32_e32 v146, v163, v146
	v_add_f32_e32 v149, v161, v189
	v_fma_f32 v3, v3, v190, -v159
	v_mul_f32_e32 v4, v153, v170
	v_fmac_f32_e32 v193, v151, v169
	v_add_f32_e32 v2, v146, v148
	v_add_f32_e32 v146, v149, v187
	v_mul_f32_e32 v148, v151, v174
	s_waitcnt vmcnt(8)
	v_fmac_f32_e32 v199, v145, v166
	s_waitcnt vmcnt(7)
	v_fmac_f32_e32 v162, v143, v176
	v_add_f32_e32 v1, v2, v1
	v_add_f32_e32 v2, v146, v192
	v_fma_f32 v146, v150, v169, -v148
	s_waitcnt vmcnt(6)
	v_fma_f32 v4, v152, v182, -v4
	v_fmac_f32_e32 v197, v153, v182
	v_add_f32_e32 v1, v1, v3
	v_add_f32_e32 v2, v2, v165
	v_mul_f32_e32 v3, v143, v191
	v_mul_f32_e32 v198, v156, v160
	v_fmac_f32_e32 v194, v155, v164
	v_add_f32_e32 v1, v1, v146
	v_add_f32_e32 v2, v2, v193
	v_mul_f32_e32 v146, v145, v195
	v_fma_f32 v3, v142, v176, -v3
	s_waitcnt lgkmcnt(1)
	v_mul_f32_e32 v200, v5, v171
	v_add_f32_e32 v1, v1, v4
	v_add_f32_e32 v2, v2, v197
	v_mul_f32_e32 v4, v155, v196
	v_fma_f32 v142, v144, v166, -v146
	v_mul_f32_e32 v186, v7, v206
	v_add_f32_e32 v1, v1, v3
	v_add_f32_e32 v2, v2, v162
	v_mul_f32_e32 v3, v157, v160
	v_fma_f32 v4, v154, v164, -v4
	s_waitcnt vmcnt(2)
	v_fmac_f32_e32 v198, v157, v183
	v_add_f32_e32 v1, v1, v142
	v_add_f32_e32 v2, v2, v199
	v_mul_f32_e32 v142, v6, v171
	v_fma_f32 v3, v156, v183, -v3
	v_fmac_f32_e32 v200, v6, v180
	v_add_f32_e32 v1, v1, v4
	v_add_f32_e32 v2, v2, v194
	v_mul_f32_e32 v4, v8, v206
	v_fma_f32 v5, v5, v180, -v142
	s_waitcnt lgkmcnt(0)
	v_mul_f32_e32 v188, v9, v207
	v_add_f32_e32 v1, v1, v3
	v_add_f32_e32 v2, v2, v198
	v_mul_f32_e32 v3, v10, v207
	v_fma_f32 v4, v7, v179, -v4
	v_fmac_f32_e32 v186, v8, v179
	v_add_f32_e32 v1, v1, v5
	v_add_f32_e32 v2, v2, v200
	v_mul_f32_e32 v5, v12, v158
	v_fma_f32 v3, v9, v178, -v3
	v_mul_f32_e32 v147, v11, v158
	v_add_f32_e32 v1, v1, v4
	v_fmac_f32_e32 v188, v10, v178
	v_add_f32_e32 v2, v2, v186
	s_waitcnt vmcnt(1)
	v_fma_f32 v4, v11, v184, -v5
	v_fmac_f32_e32 v147, v12, v184
	v_add_f32_e32 v1, v1, v3
	v_add_f32_e32 v2, v2, v188
	;; [unrolled: 1-line block ×4, first 2 shown]
	s_waitcnt vmcnt(0)
	v_sub_f32_e32 v1, v181, v1
	v_sub_f32_e32 v2, v177, v2
	buffer_store_dword v1, off, s[0:3], 0 offset:24
	buffer_store_dword v2, off, s[0:3], 0 offset:28
	v_cmpx_lt_u32_e32 2, v0
	s_cbranch_execz .LBB127_393
; %bb.392:
	s_clause 0x1
	buffer_load_dword v1, off, s[0:3], 0 offset:16
	buffer_load_dword v2, off, s[0:3], 0 offset:20
	v_mov_b32_e32 v3, 0
	buffer_store_dword v3, off, s[0:3], 0 offset:16
	buffer_store_dword v3, off, s[0:3], 0 offset:20
	s_waitcnt vmcnt(0)
	ds_write_b64 v141, v[1:2]
.LBB127_393:
	s_or_b32 exec_lo, exec_lo, s4
	s_waitcnt lgkmcnt(0)
	s_waitcnt_vscnt null, 0x0
	s_barrier
	buffer_gl0_inv
	s_clause 0x3c
	buffer_load_dword v176, off, s[0:3], 0 offset:28
	buffer_load_dword v177, off, s[0:3], 0 offset:36
	;; [unrolled: 1-line block ×61, first 2 shown]
	v_mov_b32_e32 v1, 0
	ds_read2_b64 v[193:196], v1 offset0:67 offset1:68
	ds_read2_b64 v[197:200], v1 offset0:69 offset1:70
	s_mov_b32 s4, exec_lo
	s_waitcnt vmcnt(60) lgkmcnt(1)
	v_mul_f32_e32 v188, v193, v176
	v_mul_f32_e32 v201, v194, v176
	s_waitcnt vmcnt(59)
	v_mul_f32_e32 v176, v195, v177
	v_mul_f32_e32 v202, v196, v177
	buffer_load_dword v177, off, s[0:3], 0 offset:20
	s_waitcnt vmcnt(57)
	v_fmac_f32_e32 v188, v194, v6
	v_fma_f32 v201, v193, v6, -v201
	v_fmac_f32_e32 v176, v196, v5
	v_fma_f32 v202, v195, v5, -v202
	ds_read2_b64 v[193:196], v1 offset0:71 offset1:72
	s_waitcnt vmcnt(56) lgkmcnt(1)
	v_mul_f32_e32 v203, v197, v4
	v_mul_f32_e32 v4, v198, v4
	s_waitcnt vmcnt(55)
	v_mul_f32_e32 v204, v199, v3
	v_mul_f32_e32 v3, v200, v3
	v_fmac_f32_e32 v203, v198, v2
	v_fma_f32 v197, v197, v2, -v4
	s_waitcnt vmcnt(51)
	v_fmac_f32_e32 v204, v200, v143
	v_fma_f32 v143, v199, v143, -v3
	ds_read2_b64 v[2:5], v1 offset0:73 offset1:74
	s_waitcnt vmcnt(50) lgkmcnt(1)
	v_mul_f32_e32 v198, v193, v142
	v_mul_f32_e32 v6, v194, v142
	s_waitcnt vmcnt(49)
	v_mul_f32_e32 v142, v195, v12
	v_mul_f32_e32 v12, v196, v12
	v_fmac_f32_e32 v198, v194, v11
	v_fma_f32 v11, v193, v11, -v6
	v_fmac_f32_e32 v142, v196, v8
	v_fma_f32 v12, v195, v8, -v12
	ds_read2_b64 v[193:196], v1 offset0:75 offset1:76
	s_waitcnt vmcnt(48) lgkmcnt(1)
	v_mul_f32_e32 v199, v2, v10
	v_mul_f32_e32 v6, v3, v10
	s_waitcnt vmcnt(47)
	v_mul_f32_e32 v10, v4, v9
	v_mul_f32_e32 v8, v5, v9
	v_fmac_f32_e32 v199, v3, v7
	v_fma_f32 v200, v2, v7, -v6
	s_waitcnt vmcnt(43)
	v_fmac_f32_e32 v10, v5, v151
	v_fma_f32 v151, v4, v151, -v8
	ds_read2_b64 v[2:5], v1 offset0:77 offset1:78
	s_waitcnt vmcnt(42) lgkmcnt(1)
	v_mul_f32_e32 v205, v193, v150
	v_mul_f32_e32 v6, v194, v150
	s_waitcnt vmcnt(41)
	v_mul_f32_e32 v150, v195, v149
	v_mul_f32_e32 v7, v196, v149
	v_fmac_f32_e32 v205, v194, v148
	v_fma_f32 v148, v193, v148, -v6
	v_fmac_f32_e32 v150, v196, v145
	v_fma_f32 v145, v195, v145, -v7
	ds_read2_b64 v[6:9], v1 offset0:79 offset1:80
	s_waitcnt vmcnt(40) lgkmcnt(1)
	v_mul_f32_e32 v149, v2, v147
	v_mul_f32_e32 v147, v3, v147
	s_waitcnt vmcnt(39)
	v_mul_f32_e32 v193, v4, v146
	v_mul_f32_e32 v146, v5, v146
	s_clause 0x1
	buffer_load_dword v194, off, s[0:3], 0 offset:268
	buffer_load_dword v195, off, s[0:3], 0 offset:276
	v_fmac_f32_e32 v149, v3, v144
	v_fma_f32 v144, v2, v144, -v147
	s_waitcnt vmcnt(37)
	v_fmac_f32_e32 v193, v5, v175
	v_fma_f32 v146, v4, v175, -v146
	ds_read2_b64 v[2:5], v1 offset0:81 offset1:82
	s_waitcnt vmcnt(36) lgkmcnt(1)
	v_mul_f32_e32 v147, v6, v174
	v_mul_f32_e32 v174, v7, v174
	s_waitcnt vmcnt(35)
	v_mul_f32_e32 v175, v8, v173
	v_mul_f32_e32 v173, v9, v173
	v_fmac_f32_e32 v147, v7, v168
	v_fma_f32 v168, v6, v168, -v174
	v_fmac_f32_e32 v175, v9, v163
	v_fma_f32 v163, v8, v163, -v173
	ds_read2_b64 v[6:9], v1 offset0:83 offset1:84
	s_waitcnt vmcnt(34) lgkmcnt(1)
	v_mul_f32_e32 v173, v2, v167
	v_mul_f32_e32 v167, v3, v167
	s_waitcnt vmcnt(33)
	v_mul_f32_e32 v174, v4, v165
	v_mul_f32_e32 v165, v5, v165
	v_fmac_f32_e32 v173, v3, v154
	v_fma_f32 v154, v2, v154, -v167
	s_waitcnt vmcnt(29)
	v_fmac_f32_e32 v174, v5, v172
	v_fma_f32 v165, v4, v172, -v165
	ds_read2_b64 v[2:5], v1 offset0:85 offset1:86
	s_waitcnt vmcnt(28) lgkmcnt(1)
	v_mul_f32_e32 v167, v6, v171
	v_mul_f32_e32 v171, v7, v171
	s_waitcnt vmcnt(27)
	v_mul_f32_e32 v172, v8, v170
	v_mul_f32_e32 v170, v9, v170
	v_fmac_f32_e32 v167, v7, v162
	v_fma_f32 v162, v6, v162, -v171
	v_fmac_f32_e32 v172, v9, v159
	v_fma_f32 v159, v8, v159, -v170
	ds_read2_b64 v[6:9], v1 offset0:87 offset1:88
	s_waitcnt vmcnt(26) lgkmcnt(1)
	v_mul_f32_e32 v170, v2, v161
	v_mul_f32_e32 v161, v3, v161
	s_waitcnt vmcnt(25)
	v_mul_f32_e32 v171, v4, v160
	v_mul_f32_e32 v160, v5, v160
	;; [unrolled: 23-line block ×4, first 2 shown]
	v_fmac_f32_e32 v183, v3, v178
	v_fma_f32 v178, v2, v178, -v181
	s_waitcnt vmcnt(5)
	v_fmac_f32_e32 v184, v5, v192
	v_fma_f32 v180, v4, v192, -v180
	ds_read2_b64 v[2:5], v1 offset0:97 offset1:98
	s_waitcnt vmcnt(4) lgkmcnt(1)
	v_mul_f32_e32 v181, v6, v191
	v_mul_f32_e32 v191, v7, v191
	s_waitcnt vmcnt(3)
	v_mul_f32_e32 v192, v8, v190
	v_mul_f32_e32 v190, v9, v190
	v_fmac_f32_e32 v181, v7, v189
	v_fma_f32 v189, v6, v189, -v191
	v_fmac_f32_e32 v192, v9, v187
	v_fma_f32 v187, v8, v187, -v190
	s_clause 0x5
	buffer_load_dword v190, off, s[0:3], 0 offset:296
	buffer_load_dword v191, off, s[0:3], 0 offset:288
	;; [unrolled: 1-line block ×6, first 2 shown]
	v_add_f32_e32 v7, 0, v188
	v_add_f32_e32 v8, 0, v201
	buffer_load_dword v188, off, s[0:3], 0 offset:308
	v_add_f32_e32 v7, v7, v176
	buffer_load_dword v176, off, s[0:3], 0 offset:300
	v_add_f32_e32 v8, v8, v202
	v_add_f32_e32 v7, v7, v203
	;; [unrolled: 1-line block ×5, first 2 shown]
	s_clause 0x3
	buffer_load_dword v197, off, s[0:3], 0 offset:328
	buffer_load_dword v143, off, s[0:3], 0 offset:320
	buffer_load_dword v201, off, s[0:3], 0 offset:312
	buffer_load_dword v202, off, s[0:3], 0 offset:304
	v_add_f32_e32 v7, v7, v198
	buffer_load_dword v198, off, s[0:3], 0 offset:316
	v_add_f32_e32 v8, v8, v11
	buffer_load_dword v11, off, s[0:3], 0 offset:324
	v_add_f32_e32 v7, v7, v142
	v_add_f32_e32 v8, v8, v12
	;; [unrolled: 1-line block ×5, first 2 shown]
	s_clause 0x1
	buffer_load_dword v10, off, s[0:3], 0 offset:332
	buffer_load_dword v12, off, s[0:3], 0 offset:340
	v_add_f32_e32 v8, v8, v151
	s_clause 0x3
	buffer_load_dword v199, off, s[0:3], 0 offset:360
	buffer_load_dword v151, off, s[0:3], 0 offset:352
	;; [unrolled: 1-line block ×4, first 2 shown]
	v_add_f32_e32 v7, v7, v205
	v_add_f32_e32 v8, v8, v148
	;; [unrolled: 1-line block ×3, first 2 shown]
	s_clause 0x2
	buffer_load_dword v150, off, s[0:3], 0 offset:348
	buffer_load_dword v204, off, s[0:3], 0 offset:356
	;; [unrolled: 1-line block ×3, first 2 shown]
	v_add_f32_e32 v8, v8, v145
	buffer_load_dword v208, off, s[0:3], 0 offset:372
	v_add_f32_e32 v7, v7, v149
	v_add_f32_e32 v8, v8, v144
	;; [unrolled: 1-line block ×8, first 2 shown]
	s_waitcnt vmcnt(25) lgkmcnt(0)
	v_mul_f32_e32 v142, v2, v194
	v_mul_f32_e32 v9, v3, v194
	s_waitcnt vmcnt(24)
	v_mul_f32_e32 v144, v4, v195
	v_mul_f32_e32 v145, v5, v195
	v_fmac_f32_e32 v142, v3, v186
	v_fma_f32 v148, v2, v186, -v9
	s_waitcnt vmcnt(20)
	v_fmac_f32_e32 v144, v5, v6
	v_fma_f32 v145, v4, v6, -v145
	ds_read2_b64 v[2:5], v1 offset0:99 offset1:100
	v_add_f32_e32 v6, v8, v168
	s_clause 0x3
	buffer_load_dword v168, off, s[0:3], 0 offset:392
	buffer_load_dword v186, off, s[0:3], 0 offset:384
	;; [unrolled: 1-line block ×4, first 2 shown]
	v_add_f32_e32 v6, v6, v163
	s_clause 0x2
	buffer_load_dword v163, off, s[0:3], 0 offset:380
	buffer_load_dword v173, off, s[0:3], 0 offset:388
	;; [unrolled: 1-line block ×3, first 2 shown]
	v_add_f32_e32 v6, v6, v154
	v_add_f32_e32 v147, v6, v165
	ds_read2_b64 v[6:9], v1 offset0:101 offset1:102
	s_waitcnt vmcnt(26) lgkmcnt(1)
	v_mul_f32_e32 v149, v2, v206
	v_add_f32_e32 v147, v147, v162
	v_mul_f32_e32 v154, v3, v206
	s_waitcnt vmcnt(25)
	v_mul_f32_e32 v162, v4, v207
	v_mul_f32_e32 v165, v5, v207
	v_fmac_f32_e32 v149, v3, v196
	v_add_f32_e32 v3, v146, v167
	v_add_f32_e32 v146, v147, v159
	v_fma_f32 v147, v2, v196, -v154
	v_fmac_f32_e32 v162, v5, v191
	v_fma_f32 v154, v4, v191, -v165
	v_add_f32_e32 v2, v3, v172
	v_add_f32_e32 v3, v146, v153
	s_clause 0x7
	buffer_load_dword v165, off, s[0:3], 0 offset:404
	buffer_load_dword v167, off, s[0:3], 0 offset:412
	;; [unrolled: 1-line block ×8, first 2 shown]
	v_add_f32_e32 v2, v2, v170
	v_add_f32_e32 v3, v3, v160
	s_waitcnt vmcnt(31) lgkmcnt(0)
	v_mul_f32_e32 v4, v7, v176
	v_mul_f32_e32 v153, v6, v176
	s_clause 0x1
	buffer_load_dword v170, off, s[0:3], 0 offset:436
	buffer_load_dword v207, off, s[0:3], 0 offset:444
	v_add_f32_e32 v2, v2, v171
	v_add_f32_e32 v3, v3, v158
	v_fma_f32 v158, v6, v190, -v4
	v_fmac_f32_e32 v153, v7, v190
	s_clause 0x1
	buffer_load_dword v171, off, s[0:3], 0 offset:452
	buffer_load_dword v176, off, s[0:3], 0 offset:460
	v_add_f32_e32 v2, v2, v161
	v_add_f32_e32 v3, v3, v155
	s_clause 0x3
	buffer_load_dword v190, off, s[0:3], 0 offset:468
	buffer_load_dword v209, off, s[0:3], 0 offset:476
	buffer_load_dword v210, off, s[0:3], 0 offset:484
	buffer_load_dword v211, off, s[0:3], 0 offset:492
	v_add_f32_e32 v2, v2, v169
	v_add_f32_e32 v6, v3, v152
	v_mul_f32_e32 v152, v8, v188
	v_mul_f32_e32 v3, v9, v188
	buffer_load_dword v169, off, s[0:3], 0 offset:500
	v_add_f32_e32 v7, v2, v164
	v_add_f32_e32 v6, v6, v156
	buffer_load_dword v164, off, s[0:3], 0 offset:508
	s_waitcnt vmcnt(37)
	v_fmac_f32_e32 v152, v9, v202
	v_fma_f32 v155, v8, v202, -v3
	ds_read2_b64 v[2:5], v1 offset0:103 offset1:104
	v_add_f32_e32 v7, v7, v166
	v_add_f32_e32 v6, v6, v182
	s_clause 0x3
	buffer_load_dword v166, off, s[0:3], 0 offset:456
	buffer_load_dword v182, off, s[0:3], 0 offset:448
	;; [unrolled: 1-line block ×4, first 2 shown]
	v_add_f32_e32 v7, v7, v157
	v_add_f32_e32 v6, v6, v179
	;; [unrolled: 1-line block ×4, first 2 shown]
	ds_read2_b64 v[6:9], v1 offset0:105 offset1:106
	v_add_f32_e32 v146, v146, v183
	v_add_f32_e32 v156, v156, v180
	s_clause 0x3
	buffer_load_dword v178, off, s[0:3], 0 offset:488
	buffer_load_dword v179, off, s[0:3], 0 offset:480
	;; [unrolled: 1-line block ×4, first 2 shown]
	s_waitcnt vmcnt(44) lgkmcnt(1)
	v_mul_f32_e32 v159, v3, v198
	v_mul_f32_e32 v157, v2, v198
	v_fma_f32 v159, v2, v201, -v159
	v_add_f32_e32 v2, v146, v184
	v_fmac_f32_e32 v157, v3, v201
	v_add_f32_e32 v3, v156, v189
	s_waitcnt vmcnt(43)
	v_mul_f32_e32 v156, v4, v11
	v_mul_f32_e32 v11, v5, v11
	v_add_f32_e32 v2, v2, v181
	s_clause 0x2
	buffer_load_dword v181, off, s[0:3], 0 offset:504
	buffer_load_dword v184, off, s[0:3], 0 offset:496
	;; [unrolled: 1-line block ×3, first 2 shown]
	v_add_f32_e32 v3, v3, v187
	v_fmac_f32_e32 v156, v5, v143
	v_add_f32_e32 v2, v2, v192
	v_fma_f32 v11, v4, v143, -v11
	s_waitcnt vmcnt(45) lgkmcnt(0)
	v_mul_f32_e32 v160, v6, v10
	v_add_f32_e32 v3, v3, v148
	v_mul_f32_e32 v10, v7, v10
	v_add_f32_e32 v142, v2, v142
	s_waitcnt vmcnt(44)
	v_mul_f32_e32 v161, v8, v12
	v_mul_f32_e32 v12, v9, v12
	v_add_f32_e32 v146, v3, v145
	ds_read2_b64 v[2:5], v1 offset0:107 offset1:108
	v_add_f32_e32 v148, v142, v144
	ds_read2_b64 v[142:145], v1 offset0:109 offset1:110
	v_fmac_f32_e32 v160, v7, v197
	v_add_f32_e32 v146, v146, v147
	v_fma_f32 v10, v6, v197, -v10
	v_add_f32_e32 v147, v148, v149
	s_waitcnt vmcnt(40)
	v_fmac_f32_e32 v161, v9, v203
	v_fma_f32 v12, v8, v203, -v12
	v_add_f32_e32 v154, v146, v154
	v_add_f32_e32 v162, v147, v162
	ds_read2_b64 v[6:9], v1 offset0:111 offset1:112
	ds_read2_b64 v[146:149], v1 offset0:113 offset1:114
	v_add_f32_e32 v154, v154, v158
	v_add_f32_e32 v153, v162, v153
	;; [unrolled: 1-line block ×3, first 2 shown]
	s_waitcnt vmcnt(39) lgkmcnt(3)
	v_mul_f32_e32 v158, v2, v150
	v_add_f32_e32 v152, v153, v152
	s_waitcnt vmcnt(36) lgkmcnt(2)
	v_mul_f32_e32 v192, v144, v208
	v_mul_f32_e32 v189, v142, v205
	v_add_f32_e32 v154, v154, v159
	v_mul_f32_e32 v159, v145, v208
	v_add_f32_e32 v157, v152, v157
	v_mul_f32_e32 v155, v143, v205
	v_mul_f32_e32 v150, v3, v150
	v_add_f32_e32 v11, v154, v11
	v_fmac_f32_e32 v189, v143, v199
	v_mul_f32_e32 v187, v5, v204
	v_fma_f32 v198, v142, v199, -v155
	v_fma_f32 v197, v2, v200, -v150
	v_add_f32_e32 v10, v11, v10
	v_mul_f32_e32 v162, v4, v204
	v_fmac_f32_e32 v158, v3, v200
	v_fma_f32 v187, v4, v151, -v187
	v_fmac_f32_e32 v162, v5, v151
	ds_read2_b64 v[2:5], v1 offset0:115 offset1:116
	ds_read2_b64 v[150:153], v1 offset0:117 offset1:118
	s_waitcnt vmcnt(32)
	v_fmac_f32_e32 v192, v145, v194
	v_fma_f32 v194, v144, v194, -v159
	v_add_f32_e32 v159, v157, v156
	s_waitcnt vmcnt(31) lgkmcnt(3)
	v_mul_f32_e32 v199, v6, v163
	s_waitcnt vmcnt(30)
	v_mul_f32_e32 v200, v8, v173
	ds_read2_b64 v[142:145], v1 offset0:119 offset1:120
	ds_read2_b64 v[154:157], v1 offset0:121 offset1:122
	v_add_f32_e32 v11, v159, v160
	v_mul_f32_e32 v159, v7, v163
	v_fmac_f32_e32 v199, v7, v193
	v_add_f32_e32 v7, v10, v12
	v_mul_f32_e32 v160, v9, v173
	v_add_f32_e32 v10, v11, v161
	v_fmac_f32_e32 v200, v9, v186
	v_fma_f32 v12, v6, v193, -v159
	v_add_f32_e32 v173, v7, v197
	v_fma_f32 v163, v8, v186, -v160
	v_add_f32_e32 v186, v10, v158
	ds_read2_b64 v[6:9], v1 offset0:123 offset1:124
	ds_read2_b64 v[158:161], v1 offset0:125 offset1:126
	ds_read_b64 v[10:11], v1 offset:1016
	v_add_f32_e32 v173, v173, v187
	s_waitcnt vmcnt(29) lgkmcnt(7)
	v_mul_f32_e32 v187, v146, v175
	v_add_f32_e32 v162, v186, v162
	v_mul_f32_e32 v175, v147, v175
	s_waitcnt vmcnt(28)
	v_mul_f32_e32 v186, v148, v165
	v_add_f32_e32 v173, v173, v198
	v_fmac_f32_e32 v187, v147, v168
	v_add_f32_e32 v162, v162, v189
	v_fma_f32 v146, v146, v168, -v175
	v_mul_f32_e32 v165, v149, v165
	v_add_f32_e32 v168, v173, v194
	s_waitcnt vmcnt(27) lgkmcnt(6)
	v_mul_f32_e32 v193, v2, v167
	v_add_f32_e32 v162, v162, v192
	v_mul_f32_e32 v167, v3, v167
	s_waitcnt vmcnt(21)
	v_fma_f32 v148, v148, v206, -v165
	v_add_f32_e32 v12, v168, v12
	v_fmac_f32_e32 v186, v149, v206
	v_add_f32_e32 v162, v162, v199
	v_fmac_f32_e32 v193, v3, v196
	v_fma_f32 v2, v2, v196, -v167
	v_add_f32_e32 v12, v12, v163
	v_mul_f32_e32 v163, v5, v172
	v_add_f32_e32 v162, v162, v200
	v_mul_f32_e32 v189, v4, v172
	s_waitcnt lgkmcnt(5)
	v_mul_f32_e32 v147, v150, v174
	v_add_f32_e32 v12, v12, v146
	v_fma_f32 v4, v4, v195, -v163
	v_add_f32_e32 v146, v162, v187
	v_fmac_f32_e32 v189, v5, v195
	s_waitcnt vmcnt(20)
	v_mul_f32_e32 v5, v153, v170
	v_add_f32_e32 v3, v12, v148
	v_mul_f32_e32 v173, v152, v170
	v_add_f32_e32 v12, v146, v186
	v_mul_f32_e32 v146, v151, v174
	v_fmac_f32_e32 v147, v151, v191
	v_add_f32_e32 v2, v3, v2
	s_waitcnt vmcnt(19) lgkmcnt(4)
	v_mul_f32_e32 v175, v142, v207
	v_add_f32_e32 v3, v12, v193
	v_fma_f32 v12, v150, v191, -v146
	s_waitcnt vmcnt(18)
	v_mul_f32_e32 v149, v144, v171
	v_add_f32_e32 v2, v2, v4
	v_mul_f32_e32 v4, v143, v207
	v_add_f32_e32 v3, v3, v189
	s_waitcnt vmcnt(7)
	v_fma_f32 v5, v152, v202, -v5
	v_fmac_f32_e32 v173, v153, v202
	v_add_f32_e32 v2, v2, v12
	v_mul_f32_e32 v12, v145, v171
	v_add_f32_e32 v3, v3, v147
	v_fma_f32 v4, v142, v188, -v4
	v_fmac_f32_e32 v175, v143, v188
	v_add_f32_e32 v2, v2, v5
	s_waitcnt lgkmcnt(3)
	v_mul_f32_e32 v5, v155, v176
	v_add_f32_e32 v3, v3, v173
	v_fma_f32 v12, v144, v182, -v12
	v_mul_f32_e32 v165, v154, v176
	v_add_f32_e32 v2, v2, v4
	v_fmac_f32_e32 v149, v145, v182
	v_add_f32_e32 v3, v3, v175
	v_mul_f32_e32 v4, v157, v190
	v_fma_f32 v5, v154, v166, -v5
	v_add_f32_e32 v2, v2, v12
	v_mul_f32_e32 v168, v156, v190
	v_fmac_f32_e32 v165, v155, v166
	v_add_f32_e32 v3, v3, v149
	s_waitcnt lgkmcnt(2)
	v_mul_f32_e32 v12, v7, v209
	s_waitcnt vmcnt(3)
	v_fma_f32 v4, v156, v183, -v4
	v_add_f32_e32 v2, v2, v5
	v_mul_f32_e32 v192, v6, v209
	v_fmac_f32_e32 v168, v157, v183
	v_add_f32_e32 v3, v3, v165
	v_mul_f32_e32 v5, v9, v210
	v_fma_f32 v6, v6, v180, -v12
	v_add_f32_e32 v2, v2, v4
	v_mul_f32_e32 v194, v8, v210
	v_fmac_f32_e32 v192, v7, v180
	v_add_f32_e32 v3, v3, v168
	s_waitcnt lgkmcnt(1)
	v_mul_f32_e32 v4, v159, v211
	v_fma_f32 v5, v8, v179, -v5
	v_add_f32_e32 v2, v2, v6
	v_mul_f32_e32 v172, v158, v211
	v_fmac_f32_e32 v194, v9, v179
	v_add_f32_e32 v3, v3, v192
	v_mul_f32_e32 v6, v161, v169
	v_fma_f32 v4, v158, v178, -v4
	v_add_f32_e32 v2, v2, v5
	v_mul_f32_e32 v197, v160, v169
	v_fmac_f32_e32 v172, v159, v178
	v_add_f32_e32 v3, v3, v194
	s_waitcnt lgkmcnt(0)
	v_mul_f32_e32 v5, v11, v164
	s_waitcnt vmcnt(1)
	v_fma_f32 v6, v160, v184, -v6
	v_add_f32_e32 v2, v2, v4
	v_mul_f32_e32 v162, v10, v164
	v_fmac_f32_e32 v197, v161, v184
	v_add_f32_e32 v3, v3, v172
	v_fma_f32 v4, v10, v181, -v5
	v_add_f32_e32 v2, v2, v6
	v_fmac_f32_e32 v162, v11, v181
	v_add_f32_e32 v3, v3, v197
	v_add_f32_e32 v2, v2, v4
	;; [unrolled: 1-line block ×3, first 2 shown]
	s_waitcnt vmcnt(0)
	v_sub_f32_e32 v2, v185, v2
	v_sub_f32_e32 v3, v177, v3
	buffer_store_dword v2, off, s[0:3], 0 offset:16
	buffer_store_dword v3, off, s[0:3], 0 offset:20
	v_cmpx_lt_u32_e32 1, v0
	s_cbranch_execz .LBB127_395
; %bb.394:
	s_clause 0x1
	buffer_load_dword v2, off, s[0:3], 0 offset:8
	buffer_load_dword v3, off, s[0:3], 0 offset:12
	buffer_store_dword v1, off, s[0:3], 0 offset:8
	buffer_store_dword v1, off, s[0:3], 0 offset:12
	s_waitcnt vmcnt(0)
	ds_write_b64 v141, v[2:3]
.LBB127_395:
	s_or_b32 exec_lo, exec_lo, s4
	s_waitcnt lgkmcnt(0)
	s_waitcnt_vscnt null, 0x0
	s_barrier
	buffer_gl0_inv
	s_clause 0x3c
	buffer_load_dword v176, off, s[0:3], 0 offset:20
	buffer_load_dword v177, off, s[0:3], 0 offset:28
	;; [unrolled: 1-line block ×61, first 2 shown]
	ds_read_b128 v[193:196], v1 offset:528
	ds_read_b128 v[197:200], v1 offset:544
	s_mov_b32 s4, exec_lo
	s_waitcnt vmcnt(60) lgkmcnt(1)
	v_mul_f32_e32 v186, v193, v176
	v_mul_f32_e32 v201, v194, v176
	s_waitcnt vmcnt(59)
	v_mul_f32_e32 v176, v195, v177
	v_mul_f32_e32 v202, v196, v177
	buffer_load_dword v177, off, s[0:3], 0 offset:12
	s_waitcnt vmcnt(57)
	v_fmac_f32_e32 v186, v194, v6
	v_fma_f32 v201, v193, v6, -v201
	v_fmac_f32_e32 v176, v196, v5
	v_fma_f32 v202, v195, v5, -v202
	ds_read_b128 v[193:196], v1 offset:560
	s_waitcnt vmcnt(56) lgkmcnt(1)
	v_mul_f32_e32 v203, v197, v4
	v_mul_f32_e32 v4, v198, v4
	s_waitcnt vmcnt(55)
	v_mul_f32_e32 v204, v199, v3
	v_mul_f32_e32 v3, v200, v3
	v_fmac_f32_e32 v203, v198, v2
	v_fma_f32 v197, v197, v2, -v4
	s_waitcnt vmcnt(51)
	v_fmac_f32_e32 v204, v200, v143
	v_fma_f32 v143, v199, v143, -v3
	ds_read_b128 v[2:5], v1 offset:576
	s_waitcnt vmcnt(50) lgkmcnt(1)
	v_mul_f32_e32 v198, v193, v142
	v_mul_f32_e32 v6, v194, v142
	s_waitcnt vmcnt(49)
	v_mul_f32_e32 v142, v195, v12
	v_mul_f32_e32 v12, v196, v12
	v_fmac_f32_e32 v198, v194, v11
	v_fma_f32 v11, v193, v11, -v6
	v_fmac_f32_e32 v142, v196, v8
	v_fma_f32 v12, v195, v8, -v12
	ds_read_b128 v[193:196], v1 offset:592
	s_waitcnt vmcnt(48) lgkmcnt(1)
	v_mul_f32_e32 v199, v2, v10
	v_mul_f32_e32 v6, v3, v10
	s_waitcnt vmcnt(47)
	v_mul_f32_e32 v10, v4, v9
	v_mul_f32_e32 v8, v5, v9
	v_fmac_f32_e32 v199, v3, v7
	v_fma_f32 v200, v2, v7, -v6
	s_waitcnt vmcnt(43)
	v_fmac_f32_e32 v10, v5, v151
	v_fma_f32 v151, v4, v151, -v8
	ds_read_b128 v[2:5], v1 offset:608
	s_waitcnt vmcnt(42) lgkmcnt(1)
	v_mul_f32_e32 v205, v193, v150
	v_mul_f32_e32 v6, v194, v150
	s_waitcnt vmcnt(41)
	v_mul_f32_e32 v150, v195, v149
	v_mul_f32_e32 v7, v196, v149
	v_fmac_f32_e32 v205, v194, v148
	v_fma_f32 v148, v193, v148, -v6
	v_fmac_f32_e32 v150, v196, v145
	v_fma_f32 v145, v195, v145, -v7
	ds_read_b128 v[6:9], v1 offset:624
	s_waitcnt vmcnt(40) lgkmcnt(1)
	v_mul_f32_e32 v149, v2, v147
	v_mul_f32_e32 v147, v3, v147
	s_waitcnt vmcnt(39)
	v_mul_f32_e32 v193, v4, v146
	v_mul_f32_e32 v146, v5, v146
	s_clause 0x1
	buffer_load_dword v194, off, s[0:3], 0 offset:260
	buffer_load_dword v195, off, s[0:3], 0 offset:268
	v_fmac_f32_e32 v149, v3, v144
	v_fma_f32 v144, v2, v144, -v147
	s_waitcnt vmcnt(37)
	v_fmac_f32_e32 v193, v5, v175
	v_fma_f32 v146, v4, v175, -v146
	ds_read_b128 v[2:5], v1 offset:640
	s_waitcnt vmcnt(36) lgkmcnt(1)
	v_mul_f32_e32 v147, v6, v174
	v_mul_f32_e32 v174, v7, v174
	s_waitcnt vmcnt(35)
	v_mul_f32_e32 v175, v8, v173
	v_mul_f32_e32 v173, v9, v173
	v_fmac_f32_e32 v147, v7, v168
	v_fma_f32 v168, v6, v168, -v174
	v_fmac_f32_e32 v175, v9, v163
	v_fma_f32 v163, v8, v163, -v173
	ds_read_b128 v[6:9], v1 offset:656
	s_waitcnt vmcnt(34) lgkmcnt(1)
	v_mul_f32_e32 v173, v2, v167
	v_mul_f32_e32 v167, v3, v167
	s_waitcnt vmcnt(33)
	v_mul_f32_e32 v174, v4, v165
	v_mul_f32_e32 v165, v5, v165
	v_fmac_f32_e32 v173, v3, v154
	v_fma_f32 v154, v2, v154, -v167
	s_waitcnt vmcnt(29)
	v_fmac_f32_e32 v174, v5, v172
	v_fma_f32 v165, v4, v172, -v165
	ds_read_b128 v[2:5], v1 offset:672
	s_waitcnt vmcnt(28) lgkmcnt(1)
	v_mul_f32_e32 v167, v6, v171
	v_mul_f32_e32 v171, v7, v171
	s_waitcnt vmcnt(27)
	v_mul_f32_e32 v172, v8, v170
	v_mul_f32_e32 v170, v9, v170
	v_fmac_f32_e32 v167, v7, v162
	v_fma_f32 v162, v6, v162, -v171
	v_fmac_f32_e32 v172, v9, v159
	v_fma_f32 v159, v8, v159, -v170
	ds_read_b128 v[6:9], v1 offset:688
	s_waitcnt vmcnt(26) lgkmcnt(1)
	v_mul_f32_e32 v170, v2, v161
	v_mul_f32_e32 v161, v3, v161
	s_waitcnt vmcnt(25)
	v_mul_f32_e32 v171, v4, v160
	v_mul_f32_e32 v160, v5, v160
	;; [unrolled: 23-line block ×4, first 2 shown]
	v_fmac_f32_e32 v183, v3, v178
	v_fma_f32 v178, v2, v178, -v181
	s_waitcnt vmcnt(5)
	v_fmac_f32_e32 v184, v5, v192
	v_fma_f32 v180, v4, v192, -v180
	ds_read_b128 v[2:5], v1 offset:768
	s_waitcnt vmcnt(4) lgkmcnt(1)
	v_mul_f32_e32 v181, v6, v191
	v_mul_f32_e32 v191, v7, v191
	s_waitcnt vmcnt(3)
	v_mul_f32_e32 v192, v8, v190
	v_mul_f32_e32 v190, v9, v190
	v_fmac_f32_e32 v181, v7, v189
	v_fma_f32 v189, v6, v189, -v191
	v_fmac_f32_e32 v192, v9, v188
	v_fma_f32 v188, v8, v188, -v190
	s_clause 0x4
	buffer_load_dword v190, off, s[0:3], 0 offset:288
	buffer_load_dword v191, off, s[0:3], 0 offset:280
	;; [unrolled: 1-line block ×5, first 2 shown]
	s_waitcnt vmcnt(6) lgkmcnt(0)
	v_mul_f32_e32 v207, v2, v194
	v_mul_f32_e32 v7, v3, v194
	s_waitcnt vmcnt(5)
	v_mul_f32_e32 v194, v4, v195
	v_fmac_f32_e32 v207, v3, v187
	v_fma_f32 v187, v2, v187, -v7
	v_mul_f32_e32 v2, v5, v195
	s_waitcnt vmcnt(1)
	v_fmac_f32_e32 v194, v5, v6
	v_fma_f32 v195, v4, v6, -v2
	ds_read_b128 v[2:5], v1 offset:784
	ds_read_b128 v[6:9], v1 offset:800
	s_waitcnt vmcnt(0) lgkmcnt(1)
	v_mul_f32_e32 v208, v2, v206
	v_mul_f32_e32 v206, v3, v206
	v_fmac_f32_e32 v208, v3, v196
	v_fma_f32 v196, v2, v196, -v206
	buffer_load_dword v2, off, s[0:3], 0 offset:284
	s_waitcnt vmcnt(0)
	v_mul_f32_e32 v206, v4, v2
	v_mul_f32_e32 v2, v5, v2
	v_fmac_f32_e32 v206, v5, v191
	v_fma_f32 v191, v4, v191, -v2
	buffer_load_dword v2, off, s[0:3], 0 offset:292
	s_waitcnt vmcnt(0) lgkmcnt(0)
	v_mul_f32_e32 v209, v6, v2
	v_mul_f32_e32 v2, v7, v2
	v_fmac_f32_e32 v209, v7, v190
	v_fma_f32 v190, v6, v190, -v2
	s_clause 0x5
	buffer_load_dword v2, off, s[0:3], 0 offset:300
	buffer_load_dword v210, off, s[0:3], 0 offset:320
	;; [unrolled: 1-line block ×6, first 2 shown]
	s_waitcnt vmcnt(5)
	v_mul_f32_e32 v213, v8, v2
	v_mul_f32_e32 v2, v9, v2
	s_waitcnt vmcnt(1)
	v_fmac_f32_e32 v213, v9, v3
	v_fma_f32 v214, v8, v3, -v2
	ds_read_b128 v[2:5], v1 offset:816
	ds_read_b128 v[6:9], v1 offset:832
	s_waitcnt vmcnt(0) lgkmcnt(1)
	v_mul_f32_e32 v216, v2, v215
	v_mul_f32_e32 v215, v3, v215
	v_fmac_f32_e32 v216, v3, v212
	v_fma_f32 v212, v2, v212, -v215
	buffer_load_dword v2, off, s[0:3], 0 offset:316
	v_add_f32_e32 v3, 0, v186
	v_add_f32_e32 v3, v3, v176
	;; [unrolled: 1-line block ×30, first 2 shown]
	s_waitcnt vmcnt(0)
	v_mul_f32_e32 v215, v4, v2
	v_mul_f32_e32 v2, v5, v2
	v_fmac_f32_e32 v215, v5, v211
	v_fma_f32 v211, v4, v211, -v2
	v_add_f32_e32 v2, 0, v201
	buffer_load_dword v4, off, s[0:3], 0 offset:324
	v_add_f32_e32 v2, v2, v202
	v_add_f32_e32 v2, v2, v197
	;; [unrolled: 1-line block ×4, first 2 shown]
	buffer_load_dword v11, off, s[0:3], 0 offset:332
	v_add_f32_e32 v2, v2, v12
	v_add_f32_e32 v2, v2, v200
	;; [unrolled: 1-line block ×3, first 2 shown]
	s_clause 0x3
	buffer_load_dword v10, off, s[0:3], 0 offset:352
	buffer_load_dword v12, off, s[0:3], 0 offset:344
	;; [unrolled: 1-line block ×4, first 2 shown]
	v_add_f32_e32 v2, v2, v148
	s_clause 0x4
	buffer_load_dword v148, off, s[0:3], 0 offset:340
	buffer_load_dword v176, off, s[0:3], 0 offset:348
	;; [unrolled: 1-line block ×5, first 2 shown]
	v_add_f32_e32 v2, v2, v145
	v_add_f32_e32 v2, v2, v144
	;; [unrolled: 1-line block ×4, first 2 shown]
	s_clause 0x3
	buffer_load_dword v168, off, s[0:3], 0 offset:384
	buffer_load_dword v193, off, s[0:3], 0 offset:376
	buffer_load_dword v198, off, s[0:3], 0 offset:368
	buffer_load_dword v199, off, s[0:3], 0 offset:360
	v_add_f32_e32 v2, v2, v163
	s_clause 0x2
	buffer_load_dword v163, off, s[0:3], 0 offset:380
	buffer_load_dword v175, off, s[0:3], 0 offset:388
	;; [unrolled: 1-line block ×3, first 2 shown]
	v_add_f32_e32 v2, v2, v154
	v_add_f32_e32 v2, v2, v165
	;; [unrolled: 1-line block ×3, first 2 shown]
	s_clause 0x6
	buffer_load_dword v162, off, s[0:3], 0 offset:416
	buffer_load_dword v165, off, s[0:3], 0 offset:408
	;; [unrolled: 1-line block ×7, first 2 shown]
	v_add_f32_e32 v2, v2, v159
	s_clause 0x5
	buffer_load_dword v201, off, s[0:3], 0 offset:428
	buffer_load_dword v202, off, s[0:3], 0 offset:436
	;; [unrolled: 1-line block ×6, first 2 shown]
	v_add_f32_e32 v2, v2, v153
	s_clause 0x4
	buffer_load_dword v217, off, s[0:3], 0 offset:476
	buffer_load_dword v218, off, s[0:3], 0 offset:484
	buffer_load_dword v169, off, s[0:3], 0 offset:492
	buffer_load_dword v219, off, s[0:3], 0 offset:500
	buffer_load_dword v164, off, s[0:3], 0 offset:508
	v_add_f32_e32 v2, v2, v160
	v_add_f32_e32 v2, v2, v158
	;; [unrolled: 1-line block ×6, first 2 shown]
	s_clause 0x3
	buffer_load_dword v166, off, s[0:3], 0 offset:448
	buffer_load_dword v182, off, s[0:3], 0 offset:440
	;; [unrolled: 1-line block ×4, first 2 shown]
	v_add_f32_e32 v2, v2, v179
	v_add_f32_e32 v2, v2, v178
	s_clause 0x3
	buffer_load_dword v178, off, s[0:3], 0 offset:480
	buffer_load_dword v179, off, s[0:3], 0 offset:472
	buffer_load_dword v183, off, s[0:3], 0 offset:464
	buffer_load_dword v185, off, s[0:3], 0 offset:456
	v_add_f32_e32 v2, v2, v180
	v_add_f32_e32 v2, v2, v189
	s_clause 0x3
	buffer_load_dword v180, off, s[0:3], 0 offset:504
	buffer_load_dword v184, off, s[0:3], 0 offset:496
	;; [unrolled: 1-line block ×4, first 2 shown]
	v_add_f32_e32 v2, v2, v188
	s_waitcnt vmcnt(47) lgkmcnt(0)
	v_mul_f32_e32 v154, v6, v4
	v_mul_f32_e32 v4, v7, v4
	v_fmac_f32_e32 v154, v7, v210
	v_fma_f32 v155, v6, v210, -v4
	v_add_f32_e32 v6, v2, v187
	v_add_f32_e32 v7, v3, v207
	ds_read_b128 v[2:5], v1 offset:848
	v_add_f32_e32 v143, v6, v195
	v_add_f32_e32 v146, v143, v196
	s_waitcnt vmcnt(46)
	v_mul_f32_e32 v158, v8, v11
	v_mul_f32_e32 v6, v9, v11
	v_add_f32_e32 v146, v146, v191
	v_add_f32_e32 v152, v146, v190
	s_waitcnt vmcnt(42)
	v_fmac_f32_e32 v158, v9, v142
	v_fma_f32 v11, v8, v142, -v6
	v_add_f32_e32 v142, v7, v194
	ds_read_b128 v[6:9], v1 offset:864
	s_waitcnt vmcnt(41) lgkmcnt(1)
	v_mul_f32_e32 v159, v2, v148
	v_mul_f32_e32 v148, v3, v148
	v_add_f32_e32 v147, v142, v208
	ds_read_b128 v[142:145], v1 offset:880
	s_waitcnt vmcnt(40)
	v_mul_f32_e32 v187, v4, v176
	v_fmac_f32_e32 v159, v3, v151
	v_fma_f32 v160, v2, v151, -v148
	v_add_f32_e32 v147, v147, v206
	v_add_f32_e32 v3, v152, v214
	v_mul_f32_e32 v151, v5, v176
	v_fmac_f32_e32 v187, v5, v12
	v_add_f32_e32 v2, v147, v209
	ds_read_b128 v[146:149], v1 offset:896
	v_add_f32_e32 v3, v3, v212
	v_fma_f32 v12, v4, v12, -v151
	v_add_f32_e32 v2, v2, v213
	s_waitcnt vmcnt(39) lgkmcnt(2)
	v_mul_f32_e32 v176, v6, v186
	v_mul_f32_e32 v152, v7, v186
	s_waitcnt vmcnt(38)
	v_mul_f32_e32 v186, v8, v150
	v_mul_f32_e32 v156, v9, v150
	v_add_f32_e32 v2, v2, v216
	s_waitcnt vmcnt(37) lgkmcnt(1)
	v_mul_f32_e32 v188, v142, v197
	v_fmac_f32_e32 v176, v7, v10
	v_fma_f32 v10, v6, v10, -v152
	v_add_f32_e32 v6, v3, v211
	v_add_f32_e32 v7, v2, v215
	v_mul_f32_e32 v157, v143, v197
	s_waitcnt vmcnt(34)
	v_fmac_f32_e32 v188, v143, v198
	ds_read_b128 v[2:5], v1 offset:912
	ds_read_b128 v[150:153], v1 offset:928
	v_add_f32_e32 v143, v6, v155
	s_waitcnt vmcnt(32)
	v_mul_f32_e32 v192, v144, v163
	v_fma_f32 v191, v142, v198, -v157
	v_add_f32_e32 v142, v7, v154
	s_waitcnt vmcnt(30) lgkmcnt(2)
	v_mul_f32_e32 v194, v148, v200
	v_add_f32_e32 v11, v143, v11
	v_mul_f32_e32 v143, v145, v163
	v_mul_f32_e32 v163, v146, v175
	v_add_f32_e32 v142, v142, v158
	v_mul_f32_e32 v158, v147, v175
	v_add_f32_e32 v11, v11, v160
	v_mul_f32_e32 v175, v149, v200
	v_fmac_f32_e32 v163, v147, v168
	s_waitcnt vmcnt(26)
	v_fmac_f32_e32 v194, v149, v174
	v_fma_f32 v168, v146, v168, -v158
	v_add_f32_e32 v146, v142, v159
	v_add_f32_e32 v11, v11, v12
	v_fma_f32 v12, v148, v174, -v175
	v_fma_f32 v190, v8, v199, -v156
	v_fmac_f32_e32 v186, v9, v199
	v_add_f32_e32 v174, v146, v187
	v_add_f32_e32 v10, v11, v10
	ds_read_b128 v[6:9], v1 offset:944
	ds_read_b128 v[154:157], v1 offset:960
	v_fmac_f32_e32 v192, v145, v193
	v_fma_f32 v193, v144, v193, -v143
	ds_read_b128 v[142:145], v1 offset:976
	ds_read_b128 v[158:161], v1 offset:992
	;; [unrolled: 1-line block ×3, first 2 shown]
	s_waitcnt vmcnt(25) lgkmcnt(6)
	v_mul_f32_e32 v1, v2, v167
	v_mul_f32_e32 v11, v3, v167
	v_add_f32_e32 v167, v174, v176
	v_add_f32_e32 v10, v10, v190
	s_waitcnt vmcnt(24)
	v_mul_f32_e32 v174, v4, v172
	v_mul_f32_e32 v172, v5, v172
	v_fma_f32 v2, v2, v173, -v11
	v_add_f32_e32 v167, v167, v186
	v_add_f32_e32 v10, v10, v191
	v_fmac_f32_e32 v1, v3, v173
	v_fma_f32 v4, v4, v165, -v172
	s_waitcnt vmcnt(23) lgkmcnt(5)
	v_mul_f32_e32 v175, v150, v170
	v_add_f32_e32 v167, v167, v188
	v_add_f32_e32 v10, v10, v193
	v_fmac_f32_e32 v174, v5, v165
	s_waitcnt vmcnt(22)
	v_mul_f32_e32 v5, v153, v201
	v_mul_f32_e32 v176, v152, v201
	v_add_f32_e32 v167, v167, v192
	v_add_f32_e32 v10, v10, v168
	v_fmac_f32_e32 v175, v151, v162
	s_waitcnt vmcnt(21) lgkmcnt(4)
	v_mul_f32_e32 v186, v6, v202
	s_waitcnt vmcnt(20)
	v_mul_f32_e32 v187, v8, v171
	v_add_f32_e32 v163, v167, v163
	v_add_f32_e32 v10, v10, v12
	v_mul_f32_e32 v12, v151, v170
	s_waitcnt vmcnt(8)
	v_fma_f32 v5, v152, v221, -v5
	v_fmac_f32_e32 v176, v153, v221
	v_add_f32_e32 v11, v163, v194
	v_add_f32_e32 v2, v10, v2
	v_fma_f32 v10, v150, v162, -v12
	v_fmac_f32_e32 v186, v7, v220
	s_waitcnt lgkmcnt(3)
	v_mul_f32_e32 v188, v154, v203
	v_add_f32_e32 v1, v11, v1
	v_add_f32_e32 v2, v2, v4
	v_mul_f32_e32 v4, v7, v202
	v_fmac_f32_e32 v187, v9, v182
	v_mul_f32_e32 v190, v156, v204
	v_add_f32_e32 v1, v1, v174
	v_add_f32_e32 v2, v2, v10
	v_mul_f32_e32 v10, v9, v171
	v_fma_f32 v4, v6, v220, -v4
	v_fmac_f32_e32 v188, v155, v166
	v_add_f32_e32 v1, v1, v175
	v_add_f32_e32 v2, v2, v5
	v_mul_f32_e32 v5, v155, v203
	v_fma_f32 v6, v8, v182, -v10
	s_waitcnt lgkmcnt(2)
	v_mul_f32_e32 v191, v142, v205
	v_add_f32_e32 v1, v1, v176
	v_add_f32_e32 v2, v2, v4
	v_mul_f32_e32 v4, v157, v204
	v_fma_f32 v5, v154, v166, -v5
	s_waitcnt vmcnt(4)
	v_fmac_f32_e32 v190, v157, v185
	v_add_f32_e32 v1, v1, v186
	v_add_f32_e32 v2, v2, v6
	v_mul_f32_e32 v6, v143, v205
	v_fma_f32 v4, v156, v185, -v4
	v_mul_f32_e32 v192, v144, v217
	v_add_f32_e32 v1, v1, v187
	v_add_f32_e32 v2, v2, v5
	v_mul_f32_e32 v5, v145, v217
	v_fma_f32 v6, v142, v183, -v6
	v_fmac_f32_e32 v191, v143, v183
	v_add_f32_e32 v1, v1, v188
	v_add_f32_e32 v2, v2, v4
	s_waitcnt lgkmcnt(1)
	v_mul_f32_e32 v4, v159, v218
	v_fma_f32 v5, v144, v179, -v5
	v_mul_f32_e32 v193, v158, v218
	v_add_f32_e32 v1, v1, v190
	v_add_f32_e32 v2, v2, v6
	v_fmac_f32_e32 v192, v145, v179
	v_mul_f32_e32 v6, v161, v169
	v_fma_f32 v4, v158, v178, -v4
	v_add_f32_e32 v1, v1, v191
	v_add_f32_e32 v2, v2, v5
	v_mul_f32_e32 v168, v160, v169
	v_fmac_f32_e32 v193, v159, v178
	s_waitcnt lgkmcnt(0)
	v_mul_f32_e32 v5, v147, v219
	v_add_f32_e32 v1, v1, v192
	s_waitcnt vmcnt(1)
	v_fma_f32 v6, v160, v189, -v6
	v_add_f32_e32 v2, v2, v4
	v_mul_f32_e32 v167, v146, v219
	v_fmac_f32_e32 v168, v161, v189
	v_add_f32_e32 v1, v1, v193
	v_mul_f32_e32 v4, v149, v164
	v_fma_f32 v5, v146, v184, -v5
	v_add_f32_e32 v2, v2, v6
	v_mul_f32_e32 v3, v148, v164
	v_fmac_f32_e32 v167, v147, v184
	v_add_f32_e32 v1, v1, v168
	v_fma_f32 v4, v148, v180, -v4
	v_add_f32_e32 v2, v2, v5
	v_fmac_f32_e32 v3, v149, v180
	v_add_f32_e32 v1, v1, v167
	v_add_f32_e32 v2, v2, v4
	;; [unrolled: 1-line block ×3, first 2 shown]
	s_waitcnt vmcnt(0)
	v_sub_f32_e32 v2, v181, v2
	v_sub_f32_e32 v1, v177, v1
	buffer_store_dword v2, off, s[0:3], 0 offset:8
	buffer_store_dword v1, off, s[0:3], 0 offset:12
	v_cmpx_ne_u32_e32 0, v0
	s_cbranch_execz .LBB127_397
; %bb.396:
	s_clause 0x1
	buffer_load_dword v0, off, s[0:3], 0
	buffer_load_dword v1, off, s[0:3], 0 offset:4
	v_mov_b32_e32 v2, 0
	buffer_store_dword v2, off, s[0:3], 0
	buffer_store_dword v2, off, s[0:3], 0 offset:4
	s_waitcnt vmcnt(0)
	ds_write_b64 v141, v[0:1]
.LBB127_397:
	s_or_b32 exec_lo, exec_lo, s4
	s_waitcnt lgkmcnt(0)
	s_waitcnt_vscnt null, 0x0
	s_barrier
	buffer_gl0_inv
	s_clause 0x3c
	buffer_load_dword v181, off, s[0:3], 0 offset:12
	buffer_load_dword v0, off, s[0:3], 0 offset:24
	;; [unrolled: 1-line block ×61, first 2 shown]
	v_mov_b32_e32 v142, 0
	ds_read2_b64 v[191:194], v142 offset0:65 offset1:66
	ds_read2_b64 v[195:198], v142 offset0:67 offset1:68
	;; [unrolled: 1-line block ×3, first 2 shown]
	s_and_b32 vcc_lo, exec_lo, s16
	s_waitcnt vmcnt(60) lgkmcnt(2)
	v_mul_f32_e32 v184, v191, v181
	v_mul_f32_e32 v203, v192, v181
	buffer_load_dword v181, off, s[0:3], 0 offset:4
	s_waitcnt vmcnt(57)
	v_mul_f32_e32 v204, v193, v4
	v_mul_f32_e32 v4, v194, v4
	v_fmac_f32_e32 v184, v192, v5
	v_fma_f32 v203, v191, v5, -v203
	s_waitcnt vmcnt(56) lgkmcnt(1)
	v_mul_f32_e32 v206, v195, v3
	v_fmac_f32_e32 v204, v194, v2
	v_fma_f32 v205, v193, v2, -v4
	v_mul_f32_e32 v191, v196, v3
	ds_read2_b64 v[2:5], v142 offset0:71 offset1:72
	v_fmac_f32_e32 v206, v196, v0
	s_waitcnt vmcnt(55)
	v_mul_f32_e32 v196, v197, v1
	v_fma_f32 v195, v195, v0, -v191
	v_mul_f32_e32 v0, v198, v1
	ds_read2_b64 v[191:194], v142 offset0:73 offset1:74
	s_waitcnt vmcnt(51)
	v_fmac_f32_e32 v196, v198, v141
	s_waitcnt vmcnt(49) lgkmcnt(2)
	v_mul_f32_e32 v198, v201, v11
	v_fma_f32 v141, v197, v141, -v0
	v_mul_f32_e32 v0, v200, v12
	v_mul_f32_e32 v197, v199, v12
	v_fmac_f32_e32 v198, v202, v8
	v_fma_f32 v12, v199, v10, -v0
	v_mul_f32_e32 v0, v202, v11
	v_fmac_f32_e32 v197, v200, v10
	s_waitcnt vmcnt(48) lgkmcnt(1)
	v_mul_f32_e32 v200, v2, v9
	s_waitcnt vmcnt(47)
	v_mul_f32_e32 v202, v4, v7
	v_fma_f32 v199, v201, v8, -v0
	v_mul_f32_e32 v0, v3, v9
	ds_read2_b64 v[8:11], v142 offset0:75 offset1:76
	v_fmac_f32_e32 v200, v3, v6
	s_waitcnt vmcnt(43)
	v_fmac_f32_e32 v202, v5, v150
	s_waitcnt vmcnt(42) lgkmcnt(1)
	v_mul_f32_e32 v207, v191, v149
	v_fma_f32 v201, v2, v6, -v0
	v_mul_f32_e32 v0, v5, v7
	v_fmac_f32_e32 v207, v192, v147
	v_fma_f32 v150, v4, v150, -v0
	v_mul_f32_e32 v4, v192, v149
	ds_read2_b64 v[0:3], v142 offset0:77 offset1:78
	s_waitcnt vmcnt(41)
	v_mul_f32_e32 v149, v193, v148
	v_fma_f32 v147, v191, v147, -v4
	v_mul_f32_e32 v4, v194, v148
	v_fmac_f32_e32 v149, v194, v145
	s_waitcnt vmcnt(40) lgkmcnt(1)
	v_mul_f32_e32 v148, v8, v146
	v_mul_f32_e32 v146, v9, v146
	v_fma_f32 v145, v193, v145, -v4
	ds_read2_b64 v[4:7], v142 offset0:79 offset1:80
	v_fmac_f32_e32 v148, v9, v143
	v_fma_f32 v143, v8, v143, -v146
	s_waitcnt vmcnt(39)
	v_mul_f32_e32 v146, v10, v144
	v_mul_f32_e32 v8, v11, v144
	s_waitcnt vmcnt(35)
	v_fmac_f32_e32 v146, v11, v174
	v_fma_f32 v144, v10, v174, -v8
	ds_read2_b64 v[8:11], v142 offset0:81 offset1:82
	s_waitcnt vmcnt(34) lgkmcnt(2)
	v_mul_f32_e32 v174, v0, v173
	v_mul_f32_e32 v173, v1, v173
	v_fmac_f32_e32 v174, v1, v169
	v_fma_f32 v169, v0, v169, -v173
	s_waitcnt vmcnt(33)
	v_mul_f32_e32 v173, v2, v170
	v_mul_f32_e32 v0, v3, v170
	s_waitcnt vmcnt(32) lgkmcnt(1)
	v_mul_f32_e32 v170, v4, v167
	v_mul_f32_e32 v167, v5, v167
	v_fmac_f32_e32 v173, v3, v163
	v_fma_f32 v163, v2, v163, -v0
	ds_read2_b64 v[0:3], v142 offset0:83 offset1:84
	v_fmac_f32_e32 v170, v5, v155
	v_fma_f32 v155, v4, v155, -v167
	s_waitcnt vmcnt(31)
	v_mul_f32_e32 v167, v6, v161
	v_mul_f32_e32 v4, v7, v161
	s_waitcnt vmcnt(27)
	v_fmac_f32_e32 v167, v7, v172
	v_fma_f32 v161, v6, v172, -v4
	s_waitcnt vmcnt(26) lgkmcnt(1)
	v_mul_f32_e32 v172, v8, v171
	v_mul_f32_e32 v171, v9, v171
	ds_read2_b64 v[4:7], v142 offset0:85 offset1:86
	v_fmac_f32_e32 v172, v9, v164
	v_fma_f32 v164, v8, v164, -v171
	s_waitcnt vmcnt(25)
	v_mul_f32_e32 v171, v10, v165
	v_mul_f32_e32 v8, v11, v165
	s_waitcnt vmcnt(24) lgkmcnt(1)
	v_mul_f32_e32 v165, v0, v162
	v_mul_f32_e32 v162, v1, v162
	v_fmac_f32_e32 v171, v11, v158
	v_fma_f32 v158, v10, v158, -v8
	ds_read2_b64 v[8:11], v142 offset0:87 offset1:88
	v_fmac_f32_e32 v165, v1, v152
	v_fma_f32 v152, v0, v152, -v162
	s_waitcnt vmcnt(23)
	v_mul_f32_e32 v162, v2, v156
	v_mul_f32_e32 v0, v3, v156
	s_waitcnt vmcnt(19)
	v_fmac_f32_e32 v162, v3, v168
	v_fma_f32 v156, v2, v168, -v0
	s_waitcnt vmcnt(18) lgkmcnt(1)
	v_mul_f32_e32 v168, v4, v166
	v_mul_f32_e32 v166, v5, v166
	ds_read2_b64 v[0:3], v142 offset0:89 offset1:90
	v_fmac_f32_e32 v168, v5, v159
	v_fma_f32 v159, v4, v159, -v166
	s_waitcnt vmcnt(17)
	v_mul_f32_e32 v166, v6, v160
	v_mul_f32_e32 v4, v7, v160
	s_waitcnt vmcnt(16) lgkmcnt(1)
	v_mul_f32_e32 v160, v8, v157
	v_mul_f32_e32 v157, v9, v157
	v_fmac_f32_e32 v166, v7, v154
	v_fma_f32 v154, v6, v154, -v4
	ds_read2_b64 v[4:7], v142 offset0:91 offset1:92
	v_fmac_f32_e32 v160, v9, v151
	v_fma_f32 v151, v8, v151, -v157
	s_waitcnt vmcnt(15)
	v_mul_f32_e32 v157, v10, v153
	v_mul_f32_e32 v8, v11, v153
	s_waitcnt vmcnt(11)
	v_fmac_f32_e32 v157, v11, v183
	v_fma_f32 v153, v10, v183, -v8
	ds_read2_b64 v[8:11], v142 offset0:93 offset1:94
	s_waitcnt vmcnt(10) lgkmcnt(2)
	v_mul_f32_e32 v183, v0, v182
	v_mul_f32_e32 v182, v1, v182
	v_fmac_f32_e32 v183, v1, v179
	v_fma_f32 v179, v0, v179, -v182
	s_waitcnt vmcnt(9)
	v_mul_f32_e32 v182, v2, v180
	v_mul_f32_e32 v0, v3, v180
	s_waitcnt vmcnt(8) lgkmcnt(1)
	v_mul_f32_e32 v180, v4, v178
	s_waitcnt vmcnt(7)
	v_mul_f32_e32 v1, v7, v177
	v_fmac_f32_e32 v182, v3, v176
	v_fma_f32 v176, v2, v176, -v0
	v_mul_f32_e32 v0, v5, v178
	v_mul_f32_e32 v178, v6, v177
	buffer_load_dword v177, off, s[0:3], 0 offset:252
	v_fmac_f32_e32 v180, v5, v175
	v_fma_f32 v175, v4, v175, -v0
	s_waitcnt vmcnt(4)
	v_fmac_f32_e32 v178, v7, v190
	v_fma_f32 v190, v6, v190, -v1
	buffer_load_dword v6, off, s[0:3], 0 offset:260
	ds_read2_b64 v[0:3], v142 offset0:95 offset1:96
	s_waitcnt vmcnt(4) lgkmcnt(1)
	v_mul_f32_e32 v191, v8, v189
	v_mul_f32_e32 v4, v9, v189
	s_waitcnt vmcnt(3)
	v_mul_f32_e32 v189, v10, v188
	v_mul_f32_e32 v5, v11, v188
	v_fmac_f32_e32 v191, v9, v187
	v_fma_f32 v8, v8, v187, -v4
	v_fmac_f32_e32 v189, v11, v186
	v_fma_f32 v9, v10, v186, -v5
	s_clause 0x4
	buffer_load_dword v10, off, s[0:3], 0 offset:280
	buffer_load_dword v11, off, s[0:3], 0 offset:272
	;; [unrolled: 1-line block ×5, first 2 shown]
	s_waitcnt vmcnt(6) lgkmcnt(0)
	v_mul_f32_e32 v188, v0, v177
	v_mul_f32_e32 v5, v1, v177
	v_fmac_f32_e32 v188, v1, v185
	s_waitcnt vmcnt(5)
	v_mul_f32_e32 v177, v2, v6
	v_mul_f32_e32 v6, v3, v6
	v_fma_f32 v185, v0, v185, -v5
	s_waitcnt vmcnt(1)
	v_fmac_f32_e32 v177, v3, v4
	v_fma_f32 v192, v2, v4, -v6
	ds_read2_b64 v[0:3], v142 offset0:97 offset1:98
	ds_read2_b64 v[4:7], v142 offset0:99 offset1:100
	s_waitcnt vmcnt(0) lgkmcnt(1)
	v_mul_f32_e32 v193, v0, v187
	v_mul_f32_e32 v187, v1, v187
	v_fmac_f32_e32 v193, v1, v186
	v_fma_f32 v186, v0, v186, -v187
	buffer_load_dword v0, off, s[0:3], 0 offset:276
	v_add_f32_e32 v1, 0, v203
	v_add_f32_e32 v1, v1, v205
	;; [unrolled: 1-line block ×11, first 2 shown]
	s_waitcnt vmcnt(0)
	v_mul_f32_e32 v187, v2, v0
	v_mul_f32_e32 v0, v3, v0
	v_fmac_f32_e32 v187, v3, v11
	v_fma_f32 v11, v2, v11, -v0
	v_add_f32_e32 v0, 0, v184
	s_clause 0x1
	buffer_load_dword v2, off, s[0:3], 0 offset:284
	buffer_load_dword v3, off, s[0:3], 0 offset:292
	v_add_f32_e32 v0, v0, v204
	v_add_f32_e32 v0, v0, v206
	v_add_f32_e32 v0, v0, v196
	s_clause 0x5
	buffer_load_dword v184, off, s[0:3], 0 offset:312
	buffer_load_dword v194, off, s[0:3], 0 offset:304
	;; [unrolled: 1-line block ×6, first 2 shown]
	v_add_f32_e32 v0, v0, v197
	buffer_load_dword v197, off, s[0:3], 0 offset:308
	v_add_f32_e32 v0, v0, v198
	buffer_load_dword v198, off, s[0:3], 0 offset:324
	v_add_f32_e32 v0, v0, v200
	v_add_f32_e32 v0, v0, v202
	s_clause 0x6
	buffer_load_dword v199, off, s[0:3], 0 offset:344
	buffer_load_dword v200, off, s[0:3], 0 offset:336
	buffer_load_dword v201, off, s[0:3], 0 offset:328
	buffer_load_dword v202, off, s[0:3], 0 offset:320
	buffer_load_dword v150, off, s[0:3], 0 offset:332
	buffer_load_dword v147, off, s[0:3], 0 offset:340
	buffer_load_dword v203, off, s[0:3], 0 offset:348
	v_add_f32_e32 v0, v0, v207
	v_add_f32_e32 v0, v0, v149
	;; [unrolled: 1-line block ×3, first 2 shown]
	s_clause 0x1
	buffer_load_dword v148, off, s[0:3], 0 offset:356
	buffer_load_dword v205, off, s[0:3], 0 offset:364
	s_waitcnt vmcnt(18) lgkmcnt(0)
	v_mul_f32_e32 v149, v4, v2
	v_mul_f32_e32 v2, v5, v2
	s_waitcnt vmcnt(17)
	v_mul_f32_e32 v204, v6, v3
	v_mul_f32_e32 v3, v7, v3
	v_fmac_f32_e32 v149, v5, v10
	v_fma_f32 v143, v4, v10, -v2
	v_add_f32_e32 v4, v0, v146
	v_add_f32_e32 v5, v1, v144
	;; [unrolled: 1-line block ×4, first 2 shown]
	s_waitcnt vmcnt(13)
	v_fma_f32 v145, v6, v196, -v3
	ds_read2_b64 v[0:3], v142 offset0:101 offset1:102
	v_fmac_f32_e32 v204, v7, v196
	s_clause 0x3
	buffer_load_dword v169, off, s[0:3], 0 offset:376
	buffer_load_dword v174, off, s[0:3], 0 offset:368
	;; [unrolled: 1-line block ×4, first 2 shown]
	v_add_f32_e32 v5, v5, v163
	v_add_f32_e32 v4, v4, v173
	;; [unrolled: 1-line block ×3, first 2 shown]
	s_clause 0x1
	buffer_load_dword v155, off, s[0:3], 0 offset:372
	buffer_load_dword v163, off, s[0:3], 0 offset:380
	v_add_f32_e32 v144, v4, v170
	ds_read2_b64 v[4:7], v142 offset0:103 offset1:104
	v_add_f32_e32 v10, v10, v161
	v_add_f32_e32 v144, v144, v167
	buffer_load_dword v167, off, s[0:3], 0 offset:388
	v_add_f32_e32 v10, v10, v164
	s_waitcnt vmcnt(19) lgkmcnt(1)
	v_mul_f32_e32 v161, v0, v141
	v_mul_f32_e32 v141, v1, v141
	v_fmac_f32_e32 v161, v1, v195
	v_fma_f32 v141, v0, v195, -v141
	v_add_f32_e32 v0, v144, v172
	v_add_f32_e32 v1, v10, v158
	s_clause 0x3
	buffer_load_dword v164, off, s[0:3], 0 offset:408
	buffer_load_dword v170, off, s[0:3], 0 offset:400
	;; [unrolled: 1-line block ×4, first 2 shown]
	s_waitcnt vmcnt(21)
	v_mul_f32_e32 v10, v3, v197
	v_add_f32_e32 v0, v0, v171
	v_add_f32_e32 v1, v1, v152
	buffer_load_dword v171, off, s[0:3], 0 offset:396
	v_mul_f32_e32 v152, v2, v197
	v_fma_f32 v158, v2, v194, -v10
	v_add_f32_e32 v0, v0, v165
	v_add_f32_e32 v1, v1, v156
	buffer_load_dword v165, off, s[0:3], 0 offset:404
	v_fmac_f32_e32 v152, v3, v194
	s_clause 0x1
	buffer_load_dword v194, off, s[0:3], 0 offset:412
	buffer_load_dword v195, off, s[0:3], 0 offset:420
	v_add_f32_e32 v0, v0, v162
	v_add_f32_e32 v1, v1, v159
	s_clause 0x2
	buffer_load_dword v162, off, s[0:3], 0 offset:428
	buffer_load_dword v197, off, s[0:3], 0 offset:436
	;; [unrolled: 1-line block ×3, first 2 shown]
	s_waitcnt lgkmcnt(0)
	v_mul_f32_e32 v2, v5, v12
	s_waitcnt vmcnt(27)
	v_mul_f32_e32 v156, v6, v198
	v_add_f32_e32 v0, v0, v168
	v_add_f32_e32 v1, v1, v154
	s_clause 0x1
	buffer_load_dword v168, off, s[0:3], 0 offset:452
	buffer_load_dword v208, off, s[0:3], 0 offset:460
	s_waitcnt vmcnt(25)
	v_fmac_f32_e32 v156, v7, v202
	v_add_f32_e32 v0, v0, v166
	v_add_f32_e32 v1, v1, v151
	s_clause 0x5
	buffer_load_dword v166, off, s[0:3], 0 offset:468
	buffer_load_dword v209, off, s[0:3], 0 offset:476
	;; [unrolled: 1-line block ×6, first 2 shown]
	v_add_f32_e32 v0, v0, v160
	v_add_f32_e32 v1, v1, v153
	v_mul_f32_e32 v151, v4, v12
	v_fma_f32 v12, v4, v184, -v2
	v_add_f32_e32 v0, v0, v157
	v_add_f32_e32 v1, v1, v179
	v_fmac_f32_e32 v151, v5, v184
	v_add_f32_e32 v0, v0, v183
	s_clause 0x3
	buffer_load_dword v179, off, s[0:3], 0 offset:440
	buffer_load_dword v183, off, s[0:3], 0 offset:432
	;; [unrolled: 1-line block ×4, first 2 shown]
	v_add_f32_e32 v1, v1, v176
	v_add_f32_e32 v0, v0, v182
	v_add_f32_e32 v1, v1, v175
	v_add_f32_e32 v0, v0, v180
	s_clause 0x3
	buffer_load_dword v175, off, s[0:3], 0 offset:472
	buffer_load_dword v176, off, s[0:3], 0 offset:464
	;; [unrolled: 1-line block ×4, first 2 shown]
	v_add_f32_e32 v1, v1, v190
	v_add_f32_e32 v0, v0, v178
	;; [unrolled: 1-line block ×4, first 2 shown]
	s_clause 0x4
	buffer_load_dword v178, off, s[0:3], 0 offset:504
	buffer_load_dword v190, off, s[0:3], 0 offset:496
	;; [unrolled: 1-line block ×4, first 2 shown]
	buffer_load_dword v217, off, s[0:3], 0
	v_add_f32_e32 v1, v1, v9
	v_add_f32_e32 v0, v0, v189
	;; [unrolled: 1-line block ×5, first 2 shown]
	ds_read2_b64 v[0:3], v142 offset0:105 offset1:106
	v_add_f32_e32 v8, v4, v177
	v_mul_f32_e32 v4, v7, v198
	v_add_f32_e32 v9, v5, v186
	v_add_f32_e32 v144, v8, v193
	v_fma_f32 v153, v6, v202, -v4
	ds_read2_b64 v[4:7], v142 offset0:107 offset1:108
	v_add_f32_e32 v146, v9, v11
	ds_read2_b64 v[8:11], v142 offset0:109 offset1:110
	v_add_f32_e32 v144, v144, v187
	v_add_f32_e32 v143, v146, v143
	v_add_f32_e32 v149, v144, v149
	s_waitcnt vmcnt(43) lgkmcnt(2)
	v_mul_f32_e32 v157, v0, v150
	v_mul_f32_e32 v150, v1, v150
	s_waitcnt vmcnt(42)
	v_mul_f32_e32 v160, v2, v147
	v_mul_f32_e32 v147, v3, v147
	v_fmac_f32_e32 v157, v1, v201
	v_fma_f32 v159, v0, v201, -v150
	v_add_f32_e32 v0, v143, v145
	v_add_f32_e32 v1, v149, v204
	ds_read2_b64 v[143:146], v142 offset0:111 offset1:112
	s_waitcnt vmcnt(41) lgkmcnt(2)
	v_mul_f32_e32 v149, v5, v203
	s_waitcnt vmcnt(39) lgkmcnt(1)
	v_mul_f32_e32 v177, v8, v205
	v_add_f32_e32 v0, v0, v141
	v_add_f32_e32 v1, v1, v161
	v_mul_f32_e32 v141, v4, v203
	v_fma_f32 v184, v4, v199, -v149
	v_fmac_f32_e32 v160, v3, v200
	v_add_f32_e32 v0, v0, v158
	v_add_f32_e32 v4, v1, v152
	v_fmac_f32_e32 v141, v5, v199
	v_fma_f32 v158, v2, v200, -v147
	v_mul_f32_e32 v154, v7, v148
	v_add_f32_e32 v5, v0, v12
	v_mul_f32_e32 v12, v9, v205
	v_mul_f32_e32 v161, v6, v148
	ds_read2_b64 v[0:3], v142 offset0:113 offset1:114
	ds_read2_b64 v[147:150], v142 offset0:115 offset1:116
	s_waitcnt vmcnt(36)
	v_fmac_f32_e32 v177, v9, v196
	v_add_f32_e32 v9, v4, v151
	v_fma_f32 v12, v8, v196, -v12
	v_add_f32_e32 v8, v5, v153
	s_waitcnt vmcnt(35)
	v_fma_f32 v185, v6, v206, -v154
	v_fmac_f32_e32 v161, v7, v206
	v_add_f32_e32 v9, v9, v156
	s_waitcnt vmcnt(34)
	v_mul_f32_e32 v186, v10, v155
	v_add_f32_e32 v8, v8, v159
	s_waitcnt vmcnt(33) lgkmcnt(2)
	v_mul_f32_e32 v187, v143, v163
	v_mul_f32_e32 v156, v144, v163
	;; [unrolled: 1-line block ×3, first 2 shown]
	v_add_f32_e32 v9, v9, v157
	v_fmac_f32_e32 v186, v11, v174
	v_fmac_f32_e32 v187, v144, v169
	v_fma_f32 v169, v143, v169, -v156
	v_add_f32_e32 v143, v8, v158
	s_waitcnt vmcnt(32)
	v_mul_f32_e32 v163, v145, v167
	v_mul_f32_e32 v159, v146, v167
	v_fma_f32 v167, v10, v174, -v155
	v_add_f32_e32 v174, v9, v160
	v_add_f32_e32 v184, v143, v184
	ds_read2_b64 v[4:7], v142 offset0:117 offset1:118
	ds_read2_b64 v[151:154], v142 offset0:119 offset1:120
	ds_read2_b64 v[8:11], v142 offset0:121 offset1:122
	ds_read2_b64 v[155:158], v142 offset0:123 offset1:124
	v_add_f32_e32 v141, v174, v141
	v_add_f32_e32 v184, v184, v185
	s_waitcnt vmcnt(28)
	v_fmac_f32_e32 v163, v146, v173
	v_fma_f32 v173, v145, v173, -v159
	v_add_f32_e32 v141, v141, v161
	v_add_f32_e32 v12, v184, v12
	ds_read2_b64 v[143:146], v142 offset0:125 offset1:126
	ds_read_b64 v[159:160], v142 offset:1016
	s_waitcnt vmcnt(27) lgkmcnt(7)
	v_mul_f32_e32 v174, v0, v171
	v_mul_f32_e32 v171, v1, v171
	v_add_f32_e32 v141, v141, v177
	v_add_f32_e32 v12, v12, v167
	s_waitcnt vmcnt(26)
	v_mul_f32_e32 v161, v3, v165
	v_fma_f32 v0, v0, v172, -v171
	v_add_f32_e32 v141, v141, v186
	v_add_f32_e32 v12, v12, v169
	v_mul_f32_e32 v185, v2, v165
	v_fmac_f32_e32 v174, v1, v172
	s_waitcnt vmcnt(25) lgkmcnt(6)
	v_mul_f32_e32 v172, v148, v194
	v_add_f32_e32 v141, v141, v187
	v_add_f32_e32 v12, v12, v173
	v_fma_f32 v2, v2, v170, -v161
	v_mul_f32_e32 v165, v147, v194
	v_fmac_f32_e32 v185, v3, v170
	v_add_f32_e32 v141, v141, v163
	v_add_f32_e32 v0, v12, v0
	s_waitcnt vmcnt(24)
	v_mul_f32_e32 v173, v150, v195
	v_fma_f32 v147, v147, v164, -v172
	v_mul_f32_e32 v184, v149, v195
	v_add_f32_e32 v12, v141, v174
	v_add_f32_e32 v0, v0, v2
	v_fmac_f32_e32 v165, v148, v164
	s_waitcnt vmcnt(23) lgkmcnt(5)
	v_mul_f32_e32 v177, v4, v162
	s_waitcnt vmcnt(22)
	v_mul_f32_e32 v167, v6, v197
	v_add_f32_e32 v2, v12, v185
	v_mul_f32_e32 v12, v5, v162
	v_add_f32_e32 v0, v0, v147
	v_mul_f32_e32 v147, v7, v197
	s_waitcnt vmcnt(21) lgkmcnt(4)
	v_mul_f32_e32 v1, v151, v207
	v_add_f32_e32 v2, v2, v165
	s_waitcnt vmcnt(10)
	v_fma_f32 v4, v4, v214, -v12
	s_waitcnt vmcnt(9)
	v_fma_f32 v148, v149, v215, -v173
	v_fmac_f32_e32 v184, v150, v215
	v_fmac_f32_e32 v177, v5, v214
	v_mul_f32_e32 v5, v152, v207
	v_fma_f32 v6, v6, v183, -v147
	v_add_f32_e32 v0, v0, v148
	v_add_f32_e32 v2, v2, v184
	v_fmac_f32_e32 v167, v7, v183
	v_fma_f32 v5, v151, v179, -v5
	v_mul_f32_e32 v171, v153, v168
	v_add_f32_e32 v0, v0, v4
	v_add_f32_e32 v2, v2, v177
	v_mul_f32_e32 v4, v154, v168
	v_fmac_f32_e32 v1, v152, v179
	s_waitcnt lgkmcnt(3)
	v_mul_f32_e32 v169, v8, v208
	v_add_f32_e32 v0, v0, v6
	v_add_f32_e32 v2, v2, v167
	v_mul_f32_e32 v6, v9, v208
	s_waitcnt vmcnt(5)
	v_fma_f32 v4, v153, v182, -v4
	v_fmac_f32_e32 v171, v154, v182
	v_add_f32_e32 v0, v0, v5
	v_add_f32_e32 v1, v2, v1
	v_mul_f32_e32 v2, v11, v166
	v_fma_f32 v5, v8, v180, -v6
	v_mul_f32_e32 v186, v10, v166
	v_add_f32_e32 v0, v0, v4
	v_fmac_f32_e32 v169, v9, v180
	v_add_f32_e32 v1, v1, v171
	s_waitcnt lgkmcnt(2)
	v_mul_f32_e32 v4, v156, v209
	v_fma_f32 v2, v10, v176, -v2
	v_add_f32_e32 v0, v0, v5
	v_mul_f32_e32 v3, v155, v209
	v_fmac_f32_e32 v186, v11, v176
	v_add_f32_e32 v1, v1, v169
	v_mul_f32_e32 v5, v158, v210
	v_fma_f32 v4, v155, v175, -v4
	v_add_f32_e32 v0, v0, v2
	v_mul_f32_e32 v161, v157, v210
	v_fmac_f32_e32 v3, v156, v175
	v_add_f32_e32 v1, v1, v186
	s_waitcnt lgkmcnt(1)
	v_mul_f32_e32 v2, v144, v211
	s_waitcnt vmcnt(1)
	v_fma_f32 v5, v157, v216, -v5
	v_add_f32_e32 v0, v0, v4
	v_mul_f32_e32 v163, v143, v211
	v_fmac_f32_e32 v161, v158, v216
	v_add_f32_e32 v1, v1, v3
	v_mul_f32_e32 v3, v146, v212
	v_fma_f32 v2, v143, v191, -v2
	v_add_f32_e32 v0, v0, v5
	v_mul_f32_e32 v170, v145, v212
	v_fmac_f32_e32 v163, v144, v191
	v_add_f32_e32 v1, v1, v161
	s_waitcnt lgkmcnt(0)
	v_mul_f32_e32 v4, v160, v213
	v_fma_f32 v3, v145, v190, -v3
	v_add_f32_e32 v0, v0, v2
	v_mul_f32_e32 v141, v159, v213
	v_fmac_f32_e32 v170, v146, v190
	v_add_f32_e32 v1, v1, v163
	v_fma_f32 v2, v159, v178, -v4
	v_add_f32_e32 v0, v0, v3
	v_fmac_f32_e32 v141, v160, v178
	v_add_f32_e32 v1, v1, v170
	v_add_f32_e32 v0, v0, v2
	;; [unrolled: 1-line block ×3, first 2 shown]
	s_waitcnt vmcnt(0)
	v_sub_f32_e32 v0, v217, v0
	v_sub_f32_e32 v1, v181, v1
	buffer_store_dword v0, off, s[0:3], 0
	buffer_store_dword v1, off, s[0:3], 0 offset:4
	s_cbranch_vccz .LBB127_524
; %bb.398:
	global_load_dword v0, v142, s[12:13] offset:248
	s_waitcnt vmcnt(0)
	v_add_nc_u32_e32 v0, -1, v0
	v_cmp_ne_u32_e32 vcc_lo, 62, v0
	s_cbranch_vccz .LBB127_400
; %bb.399:
	v_lshlrev_b32_e32 v0, 3, v0
	s_clause 0x3
	buffer_load_dword v1, v0, s[0:3], 0 offen
	buffer_load_dword v2, v0, s[0:3], 0 offen offset:4
	buffer_load_dword v3, off, s[0:3], 0 offset:500
	buffer_load_dword v4, off, s[0:3], 0 offset:496
	s_waitcnt vmcnt(3)
	buffer_store_dword v1, off, s[0:3], 0 offset:496
	s_waitcnt vmcnt(2)
	buffer_store_dword v2, off, s[0:3], 0 offset:500
	s_waitcnt vmcnt(1)
	buffer_store_dword v3, v0, s[0:3], 0 offen offset:4
	s_waitcnt vmcnt(0)
	buffer_store_dword v4, v0, s[0:3], 0 offen
.LBB127_400:
	v_mov_b32_e32 v0, 0
	global_load_dword v1, v0, s[12:13] offset:244
	s_waitcnt vmcnt(0)
	v_add_nc_u32_e32 v1, -1, v1
	v_cmp_eq_u32_e32 vcc_lo, 61, v1
	s_cbranch_vccnz .LBB127_402
; %bb.401:
	v_lshlrev_b32_e32 v1, 3, v1
	s_clause 0x3
	buffer_load_dword v2, v1, s[0:3], 0 offen
	buffer_load_dword v3, v1, s[0:3], 0 offen offset:4
	buffer_load_dword v4, off, s[0:3], 0 offset:488
	buffer_load_dword v5, off, s[0:3], 0 offset:492
	s_waitcnt vmcnt(3)
	buffer_store_dword v2, off, s[0:3], 0 offset:488
	s_waitcnt vmcnt(2)
	buffer_store_dword v3, off, s[0:3], 0 offset:492
	s_waitcnt vmcnt(1)
	buffer_store_dword v4, v1, s[0:3], 0 offen
	s_waitcnt vmcnt(0)
	buffer_store_dword v5, v1, s[0:3], 0 offen offset:4
.LBB127_402:
	global_load_dword v0, v0, s[12:13] offset:240
	s_waitcnt vmcnt(0)
	v_add_nc_u32_e32 v0, -1, v0
	v_cmp_eq_u32_e32 vcc_lo, 60, v0
	s_cbranch_vccnz .LBB127_404
; %bb.403:
	v_lshlrev_b32_e32 v0, 3, v0
	s_clause 0x3
	buffer_load_dword v1, v0, s[0:3], 0 offen
	buffer_load_dword v2, v0, s[0:3], 0 offen offset:4
	buffer_load_dword v3, off, s[0:3], 0 offset:484
	buffer_load_dword v4, off, s[0:3], 0 offset:480
	s_waitcnt vmcnt(3)
	buffer_store_dword v1, off, s[0:3], 0 offset:480
	s_waitcnt vmcnt(2)
	buffer_store_dword v2, off, s[0:3], 0 offset:484
	s_waitcnt vmcnt(1)
	buffer_store_dword v3, v0, s[0:3], 0 offen offset:4
	s_waitcnt vmcnt(0)
	buffer_store_dword v4, v0, s[0:3], 0 offen
.LBB127_404:
	v_mov_b32_e32 v0, 0
	global_load_dword v1, v0, s[12:13] offset:236
	s_waitcnt vmcnt(0)
	v_add_nc_u32_e32 v1, -1, v1
	v_cmp_eq_u32_e32 vcc_lo, 59, v1
	s_cbranch_vccnz .LBB127_406
; %bb.405:
	v_lshlrev_b32_e32 v1, 3, v1
	s_clause 0x3
	buffer_load_dword v2, v1, s[0:3], 0 offen
	buffer_load_dword v3, v1, s[0:3], 0 offen offset:4
	buffer_load_dword v4, off, s[0:3], 0 offset:472
	buffer_load_dword v5, off, s[0:3], 0 offset:476
	s_waitcnt vmcnt(3)
	buffer_store_dword v2, off, s[0:3], 0 offset:472
	s_waitcnt vmcnt(2)
	buffer_store_dword v3, off, s[0:3], 0 offset:476
	s_waitcnt vmcnt(1)
	buffer_store_dword v4, v1, s[0:3], 0 offen
	s_waitcnt vmcnt(0)
	buffer_store_dword v5, v1, s[0:3], 0 offen offset:4
.LBB127_406:
	global_load_dword v0, v0, s[12:13] offset:232
	s_waitcnt vmcnt(0)
	v_add_nc_u32_e32 v0, -1, v0
	v_cmp_eq_u32_e32 vcc_lo, 58, v0
	s_cbranch_vccnz .LBB127_408
; %bb.407:
	v_lshlrev_b32_e32 v0, 3, v0
	s_clause 0x3
	buffer_load_dword v1, v0, s[0:3], 0 offen
	buffer_load_dword v2, v0, s[0:3], 0 offen offset:4
	buffer_load_dword v3, off, s[0:3], 0 offset:468
	buffer_load_dword v4, off, s[0:3], 0 offset:464
	s_waitcnt vmcnt(3)
	buffer_store_dword v1, off, s[0:3], 0 offset:464
	s_waitcnt vmcnt(2)
	buffer_store_dword v2, off, s[0:3], 0 offset:468
	s_waitcnt vmcnt(1)
	buffer_store_dword v3, v0, s[0:3], 0 offen offset:4
	s_waitcnt vmcnt(0)
	buffer_store_dword v4, v0, s[0:3], 0 offen
.LBB127_408:
	;; [unrolled: 43-line block ×30, first 2 shown]
	v_mov_b32_e32 v0, 0
	global_load_dword v1, v0, s[12:13] offset:4
	s_waitcnt vmcnt(0)
	v_add_nc_u32_e32 v1, -1, v1
	v_cmp_eq_u32_e32 vcc_lo, 1, v1
	s_cbranch_vccnz .LBB127_522
; %bb.521:
	v_lshlrev_b32_e32 v1, 3, v1
	s_clause 0x3
	buffer_load_dword v2, v1, s[0:3], 0 offen
	buffer_load_dword v3, v1, s[0:3], 0 offen offset:4
	buffer_load_dword v4, off, s[0:3], 0 offset:8
	buffer_load_dword v5, off, s[0:3], 0 offset:12
	s_waitcnt vmcnt(3)
	buffer_store_dword v2, off, s[0:3], 0 offset:8
	s_waitcnt vmcnt(2)
	buffer_store_dword v3, off, s[0:3], 0 offset:12
	s_waitcnt vmcnt(1)
	buffer_store_dword v4, v1, s[0:3], 0 offen
	s_waitcnt vmcnt(0)
	buffer_store_dword v5, v1, s[0:3], 0 offen offset:4
.LBB127_522:
	global_load_dword v0, v0, s[12:13]
	s_waitcnt vmcnt(0)
	v_add_nc_u32_e32 v0, -1, v0
	v_cmp_eq_u32_e32 vcc_lo, 0, v0
	s_cbranch_vccnz .LBB127_524
; %bb.523:
	v_lshlrev_b32_e32 v0, 3, v0
	s_clause 0x3
	buffer_load_dword v1, v0, s[0:3], 0 offen
	buffer_load_dword v2, v0, s[0:3], 0 offen offset:4
	buffer_load_dword v3, off, s[0:3], 0 offset:4
	buffer_load_dword v4, off, s[0:3], 0
	s_waitcnt vmcnt(3)
	buffer_store_dword v1, off, s[0:3], 0
	s_waitcnt vmcnt(2)
	buffer_store_dword v2, off, s[0:3], 0 offset:4
	s_waitcnt vmcnt(1)
	buffer_store_dword v3, v0, s[0:3], 0 offen offset:4
	s_waitcnt vmcnt(0)
	buffer_store_dword v4, v0, s[0:3], 0 offen
.LBB127_524:
	s_clause 0x1
	buffer_load_dword v0, off, s[0:3], 0
	buffer_load_dword v1, off, s[0:3], 0 offset:4
	s_waitcnt vmcnt(0)
	flat_store_dwordx2 v[13:14], v[0:1]
	s_clause 0x1
	buffer_load_dword v0, off, s[0:3], 0 offset:8
	buffer_load_dword v1, off, s[0:3], 0 offset:12
	s_waitcnt vmcnt(0)
	flat_store_dwordx2 v[15:16], v[0:1]
	s_clause 0x1
	buffer_load_dword v0, off, s[0:3], 0 offset:16
	;; [unrolled: 5-line block ×63, first 2 shown]
	buffer_load_dword v1, off, s[0:3], 0 offset:508
	s_waitcnt vmcnt(0)
	flat_store_dwordx2 v[139:140], v[0:1]
	s_endpgm
	.section	.rodata,"a",@progbits
	.p2align	6, 0x0
	.amdhsa_kernel _ZN9rocsolver6v33100L18getri_kernel_smallILi64E19rocblas_complex_numIfEPKPS3_EEvT1_iilPiilS8_bb
		.amdhsa_group_segment_fixed_size 1028
		.amdhsa_private_segment_fixed_size 528
		.amdhsa_kernarg_size 60
		.amdhsa_user_sgpr_count 6
		.amdhsa_user_sgpr_private_segment_buffer 1
		.amdhsa_user_sgpr_dispatch_ptr 0
		.amdhsa_user_sgpr_queue_ptr 0
		.amdhsa_user_sgpr_kernarg_segment_ptr 1
		.amdhsa_user_sgpr_dispatch_id 0
		.amdhsa_user_sgpr_flat_scratch_init 0
		.amdhsa_user_sgpr_private_segment_size 0
		.amdhsa_wavefront_size32 1
		.amdhsa_uses_dynamic_stack 0
		.amdhsa_system_sgpr_private_segment_wavefront_offset 1
		.amdhsa_system_sgpr_workgroup_id_x 1
		.amdhsa_system_sgpr_workgroup_id_y 0
		.amdhsa_system_sgpr_workgroup_id_z 0
		.amdhsa_system_sgpr_workgroup_info 0
		.amdhsa_system_vgpr_workitem_id 0
		.amdhsa_next_free_vgpr 252
		.amdhsa_next_free_sgpr 20
		.amdhsa_reserve_vcc 1
		.amdhsa_reserve_flat_scratch 0
		.amdhsa_float_round_mode_32 0
		.amdhsa_float_round_mode_16_64 0
		.amdhsa_float_denorm_mode_32 3
		.amdhsa_float_denorm_mode_16_64 3
		.amdhsa_dx10_clamp 1
		.amdhsa_ieee_mode 1
		.amdhsa_fp16_overflow 0
		.amdhsa_workgroup_processor_mode 1
		.amdhsa_memory_ordered 1
		.amdhsa_forward_progress 1
		.amdhsa_shared_vgpr_count 0
		.amdhsa_exception_fp_ieee_invalid_op 0
		.amdhsa_exception_fp_denorm_src 0
		.amdhsa_exception_fp_ieee_div_zero 0
		.amdhsa_exception_fp_ieee_overflow 0
		.amdhsa_exception_fp_ieee_underflow 0
		.amdhsa_exception_fp_ieee_inexact 0
		.amdhsa_exception_int_div_zero 0
	.end_amdhsa_kernel
	.section	.text._ZN9rocsolver6v33100L18getri_kernel_smallILi64E19rocblas_complex_numIfEPKPS3_EEvT1_iilPiilS8_bb,"axG",@progbits,_ZN9rocsolver6v33100L18getri_kernel_smallILi64E19rocblas_complex_numIfEPKPS3_EEvT1_iilPiilS8_bb,comdat
.Lfunc_end127:
	.size	_ZN9rocsolver6v33100L18getri_kernel_smallILi64E19rocblas_complex_numIfEPKPS3_EEvT1_iilPiilS8_bb, .Lfunc_end127-_ZN9rocsolver6v33100L18getri_kernel_smallILi64E19rocblas_complex_numIfEPKPS3_EEvT1_iilPiilS8_bb
                                        ; -- End function
	.set _ZN9rocsolver6v33100L18getri_kernel_smallILi64E19rocblas_complex_numIfEPKPS3_EEvT1_iilPiilS8_bb.num_vgpr, 252
	.set _ZN9rocsolver6v33100L18getri_kernel_smallILi64E19rocblas_complex_numIfEPKPS3_EEvT1_iilPiilS8_bb.num_agpr, 0
	.set _ZN9rocsolver6v33100L18getri_kernel_smallILi64E19rocblas_complex_numIfEPKPS3_EEvT1_iilPiilS8_bb.numbered_sgpr, 20
	.set _ZN9rocsolver6v33100L18getri_kernel_smallILi64E19rocblas_complex_numIfEPKPS3_EEvT1_iilPiilS8_bb.num_named_barrier, 0
	.set _ZN9rocsolver6v33100L18getri_kernel_smallILi64E19rocblas_complex_numIfEPKPS3_EEvT1_iilPiilS8_bb.private_seg_size, 528
	.set _ZN9rocsolver6v33100L18getri_kernel_smallILi64E19rocblas_complex_numIfEPKPS3_EEvT1_iilPiilS8_bb.uses_vcc, 1
	.set _ZN9rocsolver6v33100L18getri_kernel_smallILi64E19rocblas_complex_numIfEPKPS3_EEvT1_iilPiilS8_bb.uses_flat_scratch, 0
	.set _ZN9rocsolver6v33100L18getri_kernel_smallILi64E19rocblas_complex_numIfEPKPS3_EEvT1_iilPiilS8_bb.has_dyn_sized_stack, 0
	.set _ZN9rocsolver6v33100L18getri_kernel_smallILi64E19rocblas_complex_numIfEPKPS3_EEvT1_iilPiilS8_bb.has_recursion, 0
	.set _ZN9rocsolver6v33100L18getri_kernel_smallILi64E19rocblas_complex_numIfEPKPS3_EEvT1_iilPiilS8_bb.has_indirect_call, 0
	.section	.AMDGPU.csdata,"",@progbits
; Kernel info:
; codeLenInByte = 147304
; TotalNumSgprs: 22
; NumVgprs: 252
; ScratchSize: 528
; MemoryBound: 0
; FloatMode: 240
; IeeeMode: 1
; LDSByteSize: 1028 bytes/workgroup (compile time only)
; SGPRBlocks: 0
; VGPRBlocks: 31
; NumSGPRsForWavesPerEU: 22
; NumVGPRsForWavesPerEU: 252
; Occupancy: 4
; WaveLimiterHint : 1
; COMPUTE_PGM_RSRC2:SCRATCH_EN: 1
; COMPUTE_PGM_RSRC2:USER_SGPR: 6
; COMPUTE_PGM_RSRC2:TRAP_HANDLER: 0
; COMPUTE_PGM_RSRC2:TGID_X_EN: 1
; COMPUTE_PGM_RSRC2:TGID_Y_EN: 0
; COMPUTE_PGM_RSRC2:TGID_Z_EN: 0
; COMPUTE_PGM_RSRC2:TIDIG_COMP_CNT: 0
	.section	.AMDGPU.gpr_maximums,"",@progbits
	.set amdgpu.max_num_vgpr, 0
	.set amdgpu.max_num_agpr, 0
	.set amdgpu.max_num_sgpr, 0
	.section	.AMDGPU.csdata,"",@progbits
	.type	__hip_cuid_3ea39151af213171,@object ; @__hip_cuid_3ea39151af213171
	.section	.bss,"aw",@nobits
	.globl	__hip_cuid_3ea39151af213171
__hip_cuid_3ea39151af213171:
	.byte	0                               ; 0x0
	.size	__hip_cuid_3ea39151af213171, 1

	.ident	"AMD clang version 22.0.0git (https://github.com/RadeonOpenCompute/llvm-project roc-7.2.4 26084 f58b06dce1f9c15707c5f808fd002e18c2accf7e)"
	.section	".note.GNU-stack","",@progbits
	.addrsig
	.addrsig_sym __hip_cuid_3ea39151af213171
	.amdgpu_metadata
---
amdhsa.kernels:
  - .args:
      - .address_space:  global
        .offset:         0
        .size:           8
        .value_kind:     global_buffer
      - .offset:         8
        .size:           4
        .value_kind:     by_value
      - .offset:         12
        .size:           4
        .value_kind:     by_value
      - .offset:         16
        .size:           8
        .value_kind:     by_value
      - .address_space:  global
        .offset:         24
        .size:           8
        .value_kind:     global_buffer
      - .offset:         32
        .size:           4
        .value_kind:     by_value
      - .offset:         40
        .size:           8
        .value_kind:     by_value
      - .address_space:  global
        .offset:         48
        .size:           8
        .value_kind:     global_buffer
      - .offset:         56
        .size:           1
        .value_kind:     by_value
      - .offset:         57
        .size:           1
        .value_kind:     by_value
    .group_segment_fixed_size: 4
    .kernarg_segment_align: 8
    .kernarg_segment_size: 60
    .language:       OpenCL C
    .language_version:
      - 2
      - 0
    .max_flat_workgroup_size: 64
    .name:           _ZN9rocsolver6v33100L18getri_kernel_smallILi1E19rocblas_complex_numIfEPS3_EEvT1_iilPiilS6_bb
    .private_segment_fixed_size: 0
    .sgpr_count:     16
    .sgpr_spill_count: 0
    .symbol:         _ZN9rocsolver6v33100L18getri_kernel_smallILi1E19rocblas_complex_numIfEPS3_EEvT1_iilPiilS6_bb.kd
    .uniform_work_group_size: 1
    .uses_dynamic_stack: false
    .vgpr_count:     7
    .vgpr_spill_count: 0
    .wavefront_size: 32
    .workgroup_processor_mode: 1
  - .args:
      - .address_space:  global
        .offset:         0
        .size:           8
        .value_kind:     global_buffer
      - .offset:         8
        .size:           4
        .value_kind:     by_value
      - .offset:         12
        .size:           4
        .value_kind:     by_value
      - .offset:         16
        .size:           8
        .value_kind:     by_value
      - .address_space:  global
        .offset:         24
        .size:           8
        .value_kind:     global_buffer
      - .offset:         32
        .size:           4
        .value_kind:     by_value
      - .offset:         40
        .size:           8
        .value_kind:     by_value
      - .address_space:  global
        .offset:         48
        .size:           8
        .value_kind:     global_buffer
      - .offset:         56
        .size:           1
        .value_kind:     by_value
      - .offset:         57
        .size:           1
        .value_kind:     by_value
    .group_segment_fixed_size: 36
    .kernarg_segment_align: 8
    .kernarg_segment_size: 60
    .language:       OpenCL C
    .language_version:
      - 2
      - 0
    .max_flat_workgroup_size: 64
    .name:           _ZN9rocsolver6v33100L18getri_kernel_smallILi2E19rocblas_complex_numIfEPS3_EEvT1_iilPiilS6_bb
    .private_segment_fixed_size: 32
    .sgpr_count:     26
    .sgpr_spill_count: 0
    .symbol:         _ZN9rocsolver6v33100L18getri_kernel_smallILi2E19rocblas_complex_numIfEPS3_EEvT1_iilPiilS6_bb.kd
    .uniform_work_group_size: 1
    .uses_dynamic_stack: false
    .vgpr_count:     14
    .vgpr_spill_count: 0
    .wavefront_size: 32
    .workgroup_processor_mode: 1
  - .args:
      - .address_space:  global
        .offset:         0
        .size:           8
        .value_kind:     global_buffer
      - .offset:         8
        .size:           4
        .value_kind:     by_value
      - .offset:         12
        .size:           4
        .value_kind:     by_value
      - .offset:         16
        .size:           8
        .value_kind:     by_value
      - .address_space:  global
        .offset:         24
        .size:           8
        .value_kind:     global_buffer
      - .offset:         32
        .size:           4
        .value_kind:     by_value
      - .offset:         40
        .size:           8
        .value_kind:     by_value
      - .address_space:  global
        .offset:         48
        .size:           8
        .value_kind:     global_buffer
      - .offset:         56
        .size:           1
        .value_kind:     by_value
      - .offset:         57
        .size:           1
        .value_kind:     by_value
    .group_segment_fixed_size: 56
    .kernarg_segment_align: 8
    .kernarg_segment_size: 60
    .language:       OpenCL C
    .language_version:
      - 2
      - 0
    .max_flat_workgroup_size: 64
    .name:           _ZN9rocsolver6v33100L18getri_kernel_smallILi3E19rocblas_complex_numIfEPS3_EEvT1_iilPiilS6_bb
    .private_segment_fixed_size: 32
    .sgpr_count:     25
    .sgpr_spill_count: 0
    .symbol:         _ZN9rocsolver6v33100L18getri_kernel_smallILi3E19rocblas_complex_numIfEPS3_EEvT1_iilPiilS6_bb.kd
    .uniform_work_group_size: 1
    .uses_dynamic_stack: false
    .vgpr_count:     19
    .vgpr_spill_count: 0
    .wavefront_size: 32
    .workgroup_processor_mode: 1
  - .args:
      - .address_space:  global
        .offset:         0
        .size:           8
        .value_kind:     global_buffer
      - .offset:         8
        .size:           4
        .value_kind:     by_value
      - .offset:         12
        .size:           4
        .value_kind:     by_value
      - .offset:         16
        .size:           8
        .value_kind:     by_value
      - .address_space:  global
        .offset:         24
        .size:           8
        .value_kind:     global_buffer
      - .offset:         32
        .size:           4
        .value_kind:     by_value
      - .offset:         40
        .size:           8
        .value_kind:     by_value
      - .address_space:  global
        .offset:         48
        .size:           8
        .value_kind:     global_buffer
      - .offset:         56
        .size:           1
        .value_kind:     by_value
      - .offset:         57
        .size:           1
        .value_kind:     by_value
    .group_segment_fixed_size: 68
    .kernarg_segment_align: 8
    .kernarg_segment_size: 60
    .language:       OpenCL C
    .language_version:
      - 2
      - 0
    .max_flat_workgroup_size: 64
    .name:           _ZN9rocsolver6v33100L18getri_kernel_smallILi4E19rocblas_complex_numIfEPS3_EEvT1_iilPiilS6_bb
    .private_segment_fixed_size: 48
    .sgpr_count:     25
    .sgpr_spill_count: 0
    .symbol:         _ZN9rocsolver6v33100L18getri_kernel_smallILi4E19rocblas_complex_numIfEPS3_EEvT1_iilPiilS6_bb.kd
    .uniform_work_group_size: 1
    .uses_dynamic_stack: false
    .vgpr_count:     27
    .vgpr_spill_count: 0
    .wavefront_size: 32
    .workgroup_processor_mode: 1
  - .args:
      - .address_space:  global
        .offset:         0
        .size:           8
        .value_kind:     global_buffer
      - .offset:         8
        .size:           4
        .value_kind:     by_value
      - .offset:         12
        .size:           4
        .value_kind:     by_value
      - .offset:         16
        .size:           8
        .value_kind:     by_value
      - .address_space:  global
        .offset:         24
        .size:           8
        .value_kind:     global_buffer
      - .offset:         32
        .size:           4
        .value_kind:     by_value
      - .offset:         40
        .size:           8
        .value_kind:     by_value
      - .address_space:  global
        .offset:         48
        .size:           8
        .value_kind:     global_buffer
      - .offset:         56
        .size:           1
        .value_kind:     by_value
      - .offset:         57
        .size:           1
        .value_kind:     by_value
    .group_segment_fixed_size: 88
    .kernarg_segment_align: 8
    .kernarg_segment_size: 60
    .language:       OpenCL C
    .language_version:
      - 2
      - 0
    .max_flat_workgroup_size: 64
    .name:           _ZN9rocsolver6v33100L18getri_kernel_smallILi5E19rocblas_complex_numIfEPS3_EEvT1_iilPiilS6_bb
    .private_segment_fixed_size: 48
    .sgpr_count:     25
    .sgpr_spill_count: 0
    .symbol:         _ZN9rocsolver6v33100L18getri_kernel_smallILi5E19rocblas_complex_numIfEPS3_EEvT1_iilPiilS6_bb.kd
    .uniform_work_group_size: 1
    .uses_dynamic_stack: false
    .vgpr_count:     32
    .vgpr_spill_count: 0
    .wavefront_size: 32
    .workgroup_processor_mode: 1
  - .args:
      - .address_space:  global
        .offset:         0
        .size:           8
        .value_kind:     global_buffer
      - .offset:         8
        .size:           4
        .value_kind:     by_value
      - .offset:         12
        .size:           4
        .value_kind:     by_value
      - .offset:         16
        .size:           8
        .value_kind:     by_value
      - .address_space:  global
        .offset:         24
        .size:           8
        .value_kind:     global_buffer
      - .offset:         32
        .size:           4
        .value_kind:     by_value
      - .offset:         40
        .size:           8
        .value_kind:     by_value
      - .address_space:  global
        .offset:         48
        .size:           8
        .value_kind:     global_buffer
      - .offset:         56
        .size:           1
        .value_kind:     by_value
      - .offset:         57
        .size:           1
        .value_kind:     by_value
    .group_segment_fixed_size: 100
    .kernarg_segment_align: 8
    .kernarg_segment_size: 60
    .language:       OpenCL C
    .language_version:
      - 2
      - 0
    .max_flat_workgroup_size: 64
    .name:           _ZN9rocsolver6v33100L18getri_kernel_smallILi6E19rocblas_complex_numIfEPS3_EEvT1_iilPiilS6_bb
    .private_segment_fixed_size: 64
    .sgpr_count:     25
    .sgpr_spill_count: 0
    .symbol:         _ZN9rocsolver6v33100L18getri_kernel_smallILi6E19rocblas_complex_numIfEPS3_EEvT1_iilPiilS6_bb.kd
    .uniform_work_group_size: 1
    .uses_dynamic_stack: false
    .vgpr_count:     40
    .vgpr_spill_count: 0
    .wavefront_size: 32
    .workgroup_processor_mode: 1
  - .args:
      - .address_space:  global
        .offset:         0
        .size:           8
        .value_kind:     global_buffer
      - .offset:         8
        .size:           4
        .value_kind:     by_value
      - .offset:         12
        .size:           4
        .value_kind:     by_value
      - .offset:         16
        .size:           8
        .value_kind:     by_value
      - .address_space:  global
        .offset:         24
        .size:           8
        .value_kind:     global_buffer
      - .offset:         32
        .size:           4
        .value_kind:     by_value
      - .offset:         40
        .size:           8
        .value_kind:     by_value
      - .address_space:  global
        .offset:         48
        .size:           8
        .value_kind:     global_buffer
      - .offset:         56
        .size:           1
        .value_kind:     by_value
      - .offset:         57
        .size:           1
        .value_kind:     by_value
    .group_segment_fixed_size: 120
    .kernarg_segment_align: 8
    .kernarg_segment_size: 60
    .language:       OpenCL C
    .language_version:
      - 2
      - 0
    .max_flat_workgroup_size: 64
    .name:           _ZN9rocsolver6v33100L18getri_kernel_smallILi7E19rocblas_complex_numIfEPS3_EEvT1_iilPiilS6_bb
    .private_segment_fixed_size: 64
    .sgpr_count:     25
    .sgpr_spill_count: 0
    .symbol:         _ZN9rocsolver6v33100L18getri_kernel_smallILi7E19rocblas_complex_numIfEPS3_EEvT1_iilPiilS6_bb.kd
    .uniform_work_group_size: 1
    .uses_dynamic_stack: false
    .vgpr_count:     46
    .vgpr_spill_count: 0
    .wavefront_size: 32
    .workgroup_processor_mode: 1
  - .args:
      - .address_space:  global
        .offset:         0
        .size:           8
        .value_kind:     global_buffer
      - .offset:         8
        .size:           4
        .value_kind:     by_value
      - .offset:         12
        .size:           4
        .value_kind:     by_value
      - .offset:         16
        .size:           8
        .value_kind:     by_value
      - .address_space:  global
        .offset:         24
        .size:           8
        .value_kind:     global_buffer
      - .offset:         32
        .size:           4
        .value_kind:     by_value
      - .offset:         40
        .size:           8
        .value_kind:     by_value
      - .address_space:  global
        .offset:         48
        .size:           8
        .value_kind:     global_buffer
      - .offset:         56
        .size:           1
        .value_kind:     by_value
      - .offset:         57
        .size:           1
        .value_kind:     by_value
    .group_segment_fixed_size: 132
    .kernarg_segment_align: 8
    .kernarg_segment_size: 60
    .language:       OpenCL C
    .language_version:
      - 2
      - 0
    .max_flat_workgroup_size: 64
    .name:           _ZN9rocsolver6v33100L18getri_kernel_smallILi8E19rocblas_complex_numIfEPS3_EEvT1_iilPiilS6_bb
    .private_segment_fixed_size: 80
    .sgpr_count:     25
    .sgpr_spill_count: 0
    .symbol:         _ZN9rocsolver6v33100L18getri_kernel_smallILi8E19rocblas_complex_numIfEPS3_EEvT1_iilPiilS6_bb.kd
    .uniform_work_group_size: 1
    .uses_dynamic_stack: false
    .vgpr_count:     54
    .vgpr_spill_count: 0
    .wavefront_size: 32
    .workgroup_processor_mode: 1
  - .args:
      - .address_space:  global
        .offset:         0
        .size:           8
        .value_kind:     global_buffer
      - .offset:         8
        .size:           4
        .value_kind:     by_value
      - .offset:         12
        .size:           4
        .value_kind:     by_value
      - .offset:         16
        .size:           8
        .value_kind:     by_value
      - .address_space:  global
        .offset:         24
        .size:           8
        .value_kind:     global_buffer
      - .offset:         32
        .size:           4
        .value_kind:     by_value
      - .offset:         40
        .size:           8
        .value_kind:     by_value
      - .address_space:  global
        .offset:         48
        .size:           8
        .value_kind:     global_buffer
      - .offset:         56
        .size:           1
        .value_kind:     by_value
      - .offset:         57
        .size:           1
        .value_kind:     by_value
    .group_segment_fixed_size: 152
    .kernarg_segment_align: 8
    .kernarg_segment_size: 60
    .language:       OpenCL C
    .language_version:
      - 2
      - 0
    .max_flat_workgroup_size: 64
    .name:           _ZN9rocsolver6v33100L18getri_kernel_smallILi9E19rocblas_complex_numIfEPS3_EEvT1_iilPiilS6_bb
    .private_segment_fixed_size: 80
    .sgpr_count:     25
    .sgpr_spill_count: 0
    .symbol:         _ZN9rocsolver6v33100L18getri_kernel_smallILi9E19rocblas_complex_numIfEPS3_EEvT1_iilPiilS6_bb.kd
    .uniform_work_group_size: 1
    .uses_dynamic_stack: false
    .vgpr_count:     60
    .vgpr_spill_count: 0
    .wavefront_size: 32
    .workgroup_processor_mode: 1
  - .args:
      - .address_space:  global
        .offset:         0
        .size:           8
        .value_kind:     global_buffer
      - .offset:         8
        .size:           4
        .value_kind:     by_value
      - .offset:         12
        .size:           4
        .value_kind:     by_value
      - .offset:         16
        .size:           8
        .value_kind:     by_value
      - .address_space:  global
        .offset:         24
        .size:           8
        .value_kind:     global_buffer
      - .offset:         32
        .size:           4
        .value_kind:     by_value
      - .offset:         40
        .size:           8
        .value_kind:     by_value
      - .address_space:  global
        .offset:         48
        .size:           8
        .value_kind:     global_buffer
      - .offset:         56
        .size:           1
        .value_kind:     by_value
      - .offset:         57
        .size:           1
        .value_kind:     by_value
    .group_segment_fixed_size: 164
    .kernarg_segment_align: 8
    .kernarg_segment_size: 60
    .language:       OpenCL C
    .language_version:
      - 2
      - 0
    .max_flat_workgroup_size: 64
    .name:           _ZN9rocsolver6v33100L18getri_kernel_smallILi10E19rocblas_complex_numIfEPS3_EEvT1_iilPiilS6_bb
    .private_segment_fixed_size: 96
    .sgpr_count:     25
    .sgpr_spill_count: 0
    .symbol:         _ZN9rocsolver6v33100L18getri_kernel_smallILi10E19rocblas_complex_numIfEPS3_EEvT1_iilPiilS6_bb.kd
    .uniform_work_group_size: 1
    .uses_dynamic_stack: false
    .vgpr_count:     68
    .vgpr_spill_count: 0
    .wavefront_size: 32
    .workgroup_processor_mode: 1
  - .args:
      - .address_space:  global
        .offset:         0
        .size:           8
        .value_kind:     global_buffer
      - .offset:         8
        .size:           4
        .value_kind:     by_value
      - .offset:         12
        .size:           4
        .value_kind:     by_value
      - .offset:         16
        .size:           8
        .value_kind:     by_value
      - .address_space:  global
        .offset:         24
        .size:           8
        .value_kind:     global_buffer
      - .offset:         32
        .size:           4
        .value_kind:     by_value
      - .offset:         40
        .size:           8
        .value_kind:     by_value
      - .address_space:  global
        .offset:         48
        .size:           8
        .value_kind:     global_buffer
      - .offset:         56
        .size:           1
        .value_kind:     by_value
      - .offset:         57
        .size:           1
        .value_kind:     by_value
    .group_segment_fixed_size: 184
    .kernarg_segment_align: 8
    .kernarg_segment_size: 60
    .language:       OpenCL C
    .language_version:
      - 2
      - 0
    .max_flat_workgroup_size: 64
    .name:           _ZN9rocsolver6v33100L18getri_kernel_smallILi11E19rocblas_complex_numIfEPS3_EEvT1_iilPiilS6_bb
    .private_segment_fixed_size: 96
    .sgpr_count:     25
    .sgpr_spill_count: 0
    .symbol:         _ZN9rocsolver6v33100L18getri_kernel_smallILi11E19rocblas_complex_numIfEPS3_EEvT1_iilPiilS6_bb.kd
    .uniform_work_group_size: 1
    .uses_dynamic_stack: false
    .vgpr_count:     74
    .vgpr_spill_count: 0
    .wavefront_size: 32
    .workgroup_processor_mode: 1
  - .args:
      - .address_space:  global
        .offset:         0
        .size:           8
        .value_kind:     global_buffer
      - .offset:         8
        .size:           4
        .value_kind:     by_value
      - .offset:         12
        .size:           4
        .value_kind:     by_value
      - .offset:         16
        .size:           8
        .value_kind:     by_value
      - .address_space:  global
        .offset:         24
        .size:           8
        .value_kind:     global_buffer
      - .offset:         32
        .size:           4
        .value_kind:     by_value
      - .offset:         40
        .size:           8
        .value_kind:     by_value
      - .address_space:  global
        .offset:         48
        .size:           8
        .value_kind:     global_buffer
      - .offset:         56
        .size:           1
        .value_kind:     by_value
      - .offset:         57
        .size:           1
        .value_kind:     by_value
    .group_segment_fixed_size: 196
    .kernarg_segment_align: 8
    .kernarg_segment_size: 60
    .language:       OpenCL C
    .language_version:
      - 2
      - 0
    .max_flat_workgroup_size: 64
    .name:           _ZN9rocsolver6v33100L18getri_kernel_smallILi12E19rocblas_complex_numIfEPS3_EEvT1_iilPiilS6_bb
    .private_segment_fixed_size: 112
    .sgpr_count:     25
    .sgpr_spill_count: 0
    .symbol:         _ZN9rocsolver6v33100L18getri_kernel_smallILi12E19rocblas_complex_numIfEPS3_EEvT1_iilPiilS6_bb.kd
    .uniform_work_group_size: 1
    .uses_dynamic_stack: false
    .vgpr_count:     82
    .vgpr_spill_count: 0
    .wavefront_size: 32
    .workgroup_processor_mode: 1
  - .args:
      - .address_space:  global
        .offset:         0
        .size:           8
        .value_kind:     global_buffer
      - .offset:         8
        .size:           4
        .value_kind:     by_value
      - .offset:         12
        .size:           4
        .value_kind:     by_value
      - .offset:         16
        .size:           8
        .value_kind:     by_value
      - .address_space:  global
        .offset:         24
        .size:           8
        .value_kind:     global_buffer
      - .offset:         32
        .size:           4
        .value_kind:     by_value
      - .offset:         40
        .size:           8
        .value_kind:     by_value
      - .address_space:  global
        .offset:         48
        .size:           8
        .value_kind:     global_buffer
      - .offset:         56
        .size:           1
        .value_kind:     by_value
      - .offset:         57
        .size:           1
        .value_kind:     by_value
    .group_segment_fixed_size: 216
    .kernarg_segment_align: 8
    .kernarg_segment_size: 60
    .language:       OpenCL C
    .language_version:
      - 2
      - 0
    .max_flat_workgroup_size: 64
    .name:           _ZN9rocsolver6v33100L18getri_kernel_smallILi13E19rocblas_complex_numIfEPS3_EEvT1_iilPiilS6_bb
    .private_segment_fixed_size: 112
    .sgpr_count:     25
    .sgpr_spill_count: 0
    .symbol:         _ZN9rocsolver6v33100L18getri_kernel_smallILi13E19rocblas_complex_numIfEPS3_EEvT1_iilPiilS6_bb.kd
    .uniform_work_group_size: 1
    .uses_dynamic_stack: false
    .vgpr_count:     88
    .vgpr_spill_count: 0
    .wavefront_size: 32
    .workgroup_processor_mode: 1
  - .args:
      - .address_space:  global
        .offset:         0
        .size:           8
        .value_kind:     global_buffer
      - .offset:         8
        .size:           4
        .value_kind:     by_value
      - .offset:         12
        .size:           4
        .value_kind:     by_value
      - .offset:         16
        .size:           8
        .value_kind:     by_value
      - .address_space:  global
        .offset:         24
        .size:           8
        .value_kind:     global_buffer
      - .offset:         32
        .size:           4
        .value_kind:     by_value
      - .offset:         40
        .size:           8
        .value_kind:     by_value
      - .address_space:  global
        .offset:         48
        .size:           8
        .value_kind:     global_buffer
      - .offset:         56
        .size:           1
        .value_kind:     by_value
      - .offset:         57
        .size:           1
        .value_kind:     by_value
    .group_segment_fixed_size: 228
    .kernarg_segment_align: 8
    .kernarg_segment_size: 60
    .language:       OpenCL C
    .language_version:
      - 2
      - 0
    .max_flat_workgroup_size: 64
    .name:           _ZN9rocsolver6v33100L18getri_kernel_smallILi14E19rocblas_complex_numIfEPS3_EEvT1_iilPiilS6_bb
    .private_segment_fixed_size: 128
    .sgpr_count:     25
    .sgpr_spill_count: 0
    .symbol:         _ZN9rocsolver6v33100L18getri_kernel_smallILi14E19rocblas_complex_numIfEPS3_EEvT1_iilPiilS6_bb.kd
    .uniform_work_group_size: 1
    .uses_dynamic_stack: false
    .vgpr_count:     96
    .vgpr_spill_count: 0
    .wavefront_size: 32
    .workgroup_processor_mode: 1
  - .args:
      - .address_space:  global
        .offset:         0
        .size:           8
        .value_kind:     global_buffer
      - .offset:         8
        .size:           4
        .value_kind:     by_value
      - .offset:         12
        .size:           4
        .value_kind:     by_value
      - .offset:         16
        .size:           8
        .value_kind:     by_value
      - .address_space:  global
        .offset:         24
        .size:           8
        .value_kind:     global_buffer
      - .offset:         32
        .size:           4
        .value_kind:     by_value
      - .offset:         40
        .size:           8
        .value_kind:     by_value
      - .address_space:  global
        .offset:         48
        .size:           8
        .value_kind:     global_buffer
      - .offset:         56
        .size:           1
        .value_kind:     by_value
      - .offset:         57
        .size:           1
        .value_kind:     by_value
    .group_segment_fixed_size: 248
    .kernarg_segment_align: 8
    .kernarg_segment_size: 60
    .language:       OpenCL C
    .language_version:
      - 2
      - 0
    .max_flat_workgroup_size: 64
    .name:           _ZN9rocsolver6v33100L18getri_kernel_smallILi15E19rocblas_complex_numIfEPS3_EEvT1_iilPiilS6_bb
    .private_segment_fixed_size: 128
    .sgpr_count:     25
    .sgpr_spill_count: 0
    .symbol:         _ZN9rocsolver6v33100L18getri_kernel_smallILi15E19rocblas_complex_numIfEPS3_EEvT1_iilPiilS6_bb.kd
    .uniform_work_group_size: 1
    .uses_dynamic_stack: false
    .vgpr_count:     102
    .vgpr_spill_count: 0
    .wavefront_size: 32
    .workgroup_processor_mode: 1
  - .args:
      - .address_space:  global
        .offset:         0
        .size:           8
        .value_kind:     global_buffer
      - .offset:         8
        .size:           4
        .value_kind:     by_value
      - .offset:         12
        .size:           4
        .value_kind:     by_value
      - .offset:         16
        .size:           8
        .value_kind:     by_value
      - .address_space:  global
        .offset:         24
        .size:           8
        .value_kind:     global_buffer
      - .offset:         32
        .size:           4
        .value_kind:     by_value
      - .offset:         40
        .size:           8
        .value_kind:     by_value
      - .address_space:  global
        .offset:         48
        .size:           8
        .value_kind:     global_buffer
      - .offset:         56
        .size:           1
        .value_kind:     by_value
      - .offset:         57
        .size:           1
        .value_kind:     by_value
    .group_segment_fixed_size: 260
    .kernarg_segment_align: 8
    .kernarg_segment_size: 60
    .language:       OpenCL C
    .language_version:
      - 2
      - 0
    .max_flat_workgroup_size: 64
    .name:           _ZN9rocsolver6v33100L18getri_kernel_smallILi16E19rocblas_complex_numIfEPS3_EEvT1_iilPiilS6_bb
    .private_segment_fixed_size: 144
    .sgpr_count:     25
    .sgpr_spill_count: 0
    .symbol:         _ZN9rocsolver6v33100L18getri_kernel_smallILi16E19rocblas_complex_numIfEPS3_EEvT1_iilPiilS6_bb.kd
    .uniform_work_group_size: 1
    .uses_dynamic_stack: false
    .vgpr_count:     110
    .vgpr_spill_count: 0
    .wavefront_size: 32
    .workgroup_processor_mode: 1
  - .args:
      - .address_space:  global
        .offset:         0
        .size:           8
        .value_kind:     global_buffer
      - .offset:         8
        .size:           4
        .value_kind:     by_value
      - .offset:         12
        .size:           4
        .value_kind:     by_value
      - .offset:         16
        .size:           8
        .value_kind:     by_value
      - .address_space:  global
        .offset:         24
        .size:           8
        .value_kind:     global_buffer
      - .offset:         32
        .size:           4
        .value_kind:     by_value
      - .offset:         40
        .size:           8
        .value_kind:     by_value
      - .address_space:  global
        .offset:         48
        .size:           8
        .value_kind:     global_buffer
      - .offset:         56
        .size:           1
        .value_kind:     by_value
      - .offset:         57
        .size:           1
        .value_kind:     by_value
    .group_segment_fixed_size: 280
    .kernarg_segment_align: 8
    .kernarg_segment_size: 60
    .language:       OpenCL C
    .language_version:
      - 2
      - 0
    .max_flat_workgroup_size: 64
    .name:           _ZN9rocsolver6v33100L18getri_kernel_smallILi17E19rocblas_complex_numIfEPS3_EEvT1_iilPiilS6_bb
    .private_segment_fixed_size: 144
    .sgpr_count:     25
    .sgpr_spill_count: 0
    .symbol:         _ZN9rocsolver6v33100L18getri_kernel_smallILi17E19rocblas_complex_numIfEPS3_EEvT1_iilPiilS6_bb.kd
    .uniform_work_group_size: 1
    .uses_dynamic_stack: false
    .vgpr_count:     116
    .vgpr_spill_count: 0
    .wavefront_size: 32
    .workgroup_processor_mode: 1
  - .args:
      - .address_space:  global
        .offset:         0
        .size:           8
        .value_kind:     global_buffer
      - .offset:         8
        .size:           4
        .value_kind:     by_value
      - .offset:         12
        .size:           4
        .value_kind:     by_value
      - .offset:         16
        .size:           8
        .value_kind:     by_value
      - .address_space:  global
        .offset:         24
        .size:           8
        .value_kind:     global_buffer
      - .offset:         32
        .size:           4
        .value_kind:     by_value
      - .offset:         40
        .size:           8
        .value_kind:     by_value
      - .address_space:  global
        .offset:         48
        .size:           8
        .value_kind:     global_buffer
      - .offset:         56
        .size:           1
        .value_kind:     by_value
      - .offset:         57
        .size:           1
        .value_kind:     by_value
    .group_segment_fixed_size: 292
    .kernarg_segment_align: 8
    .kernarg_segment_size: 60
    .language:       OpenCL C
    .language_version:
      - 2
      - 0
    .max_flat_workgroup_size: 64
    .name:           _ZN9rocsolver6v33100L18getri_kernel_smallILi18E19rocblas_complex_numIfEPS3_EEvT1_iilPiilS6_bb
    .private_segment_fixed_size: 160
    .sgpr_count:     25
    .sgpr_spill_count: 0
    .symbol:         _ZN9rocsolver6v33100L18getri_kernel_smallILi18E19rocblas_complex_numIfEPS3_EEvT1_iilPiilS6_bb.kd
    .uniform_work_group_size: 1
    .uses_dynamic_stack: false
    .vgpr_count:     124
    .vgpr_spill_count: 0
    .wavefront_size: 32
    .workgroup_processor_mode: 1
  - .args:
      - .address_space:  global
        .offset:         0
        .size:           8
        .value_kind:     global_buffer
      - .offset:         8
        .size:           4
        .value_kind:     by_value
      - .offset:         12
        .size:           4
        .value_kind:     by_value
      - .offset:         16
        .size:           8
        .value_kind:     by_value
      - .address_space:  global
        .offset:         24
        .size:           8
        .value_kind:     global_buffer
      - .offset:         32
        .size:           4
        .value_kind:     by_value
      - .offset:         40
        .size:           8
        .value_kind:     by_value
      - .address_space:  global
        .offset:         48
        .size:           8
        .value_kind:     global_buffer
      - .offset:         56
        .size:           1
        .value_kind:     by_value
      - .offset:         57
        .size:           1
        .value_kind:     by_value
    .group_segment_fixed_size: 312
    .kernarg_segment_align: 8
    .kernarg_segment_size: 60
    .language:       OpenCL C
    .language_version:
      - 2
      - 0
    .max_flat_workgroup_size: 64
    .name:           _ZN9rocsolver6v33100L18getri_kernel_smallILi19E19rocblas_complex_numIfEPS3_EEvT1_iilPiilS6_bb
    .private_segment_fixed_size: 160
    .sgpr_count:     25
    .sgpr_spill_count: 0
    .symbol:         _ZN9rocsolver6v33100L18getri_kernel_smallILi19E19rocblas_complex_numIfEPS3_EEvT1_iilPiilS6_bb.kd
    .uniform_work_group_size: 1
    .uses_dynamic_stack: false
    .vgpr_count:     130
    .vgpr_spill_count: 0
    .wavefront_size: 32
    .workgroup_processor_mode: 1
  - .args:
      - .address_space:  global
        .offset:         0
        .size:           8
        .value_kind:     global_buffer
      - .offset:         8
        .size:           4
        .value_kind:     by_value
      - .offset:         12
        .size:           4
        .value_kind:     by_value
      - .offset:         16
        .size:           8
        .value_kind:     by_value
      - .address_space:  global
        .offset:         24
        .size:           8
        .value_kind:     global_buffer
      - .offset:         32
        .size:           4
        .value_kind:     by_value
      - .offset:         40
        .size:           8
        .value_kind:     by_value
      - .address_space:  global
        .offset:         48
        .size:           8
        .value_kind:     global_buffer
      - .offset:         56
        .size:           1
        .value_kind:     by_value
      - .offset:         57
        .size:           1
        .value_kind:     by_value
    .group_segment_fixed_size: 324
    .kernarg_segment_align: 8
    .kernarg_segment_size: 60
    .language:       OpenCL C
    .language_version:
      - 2
      - 0
    .max_flat_workgroup_size: 64
    .name:           _ZN9rocsolver6v33100L18getri_kernel_smallILi20E19rocblas_complex_numIfEPS3_EEvT1_iilPiilS6_bb
    .private_segment_fixed_size: 176
    .sgpr_count:     25
    .sgpr_spill_count: 0
    .symbol:         _ZN9rocsolver6v33100L18getri_kernel_smallILi20E19rocblas_complex_numIfEPS3_EEvT1_iilPiilS6_bb.kd
    .uniform_work_group_size: 1
    .uses_dynamic_stack: false
    .vgpr_count:     138
    .vgpr_spill_count: 0
    .wavefront_size: 32
    .workgroup_processor_mode: 1
  - .args:
      - .address_space:  global
        .offset:         0
        .size:           8
        .value_kind:     global_buffer
      - .offset:         8
        .size:           4
        .value_kind:     by_value
      - .offset:         12
        .size:           4
        .value_kind:     by_value
      - .offset:         16
        .size:           8
        .value_kind:     by_value
      - .address_space:  global
        .offset:         24
        .size:           8
        .value_kind:     global_buffer
      - .offset:         32
        .size:           4
        .value_kind:     by_value
      - .offset:         40
        .size:           8
        .value_kind:     by_value
      - .address_space:  global
        .offset:         48
        .size:           8
        .value_kind:     global_buffer
      - .offset:         56
        .size:           1
        .value_kind:     by_value
      - .offset:         57
        .size:           1
        .value_kind:     by_value
    .group_segment_fixed_size: 344
    .kernarg_segment_align: 8
    .kernarg_segment_size: 60
    .language:       OpenCL C
    .language_version:
      - 2
      - 0
    .max_flat_workgroup_size: 64
    .name:           _ZN9rocsolver6v33100L18getri_kernel_smallILi21E19rocblas_complex_numIfEPS3_EEvT1_iilPiilS6_bb
    .private_segment_fixed_size: 176
    .sgpr_count:     25
    .sgpr_spill_count: 0
    .symbol:         _ZN9rocsolver6v33100L18getri_kernel_smallILi21E19rocblas_complex_numIfEPS3_EEvT1_iilPiilS6_bb.kd
    .uniform_work_group_size: 1
    .uses_dynamic_stack: false
    .vgpr_count:     144
    .vgpr_spill_count: 0
    .wavefront_size: 32
    .workgroup_processor_mode: 1
  - .args:
      - .address_space:  global
        .offset:         0
        .size:           8
        .value_kind:     global_buffer
      - .offset:         8
        .size:           4
        .value_kind:     by_value
      - .offset:         12
        .size:           4
        .value_kind:     by_value
      - .offset:         16
        .size:           8
        .value_kind:     by_value
      - .address_space:  global
        .offset:         24
        .size:           8
        .value_kind:     global_buffer
      - .offset:         32
        .size:           4
        .value_kind:     by_value
      - .offset:         40
        .size:           8
        .value_kind:     by_value
      - .address_space:  global
        .offset:         48
        .size:           8
        .value_kind:     global_buffer
      - .offset:         56
        .size:           1
        .value_kind:     by_value
      - .offset:         57
        .size:           1
        .value_kind:     by_value
    .group_segment_fixed_size: 356
    .kernarg_segment_align: 8
    .kernarg_segment_size: 60
    .language:       OpenCL C
    .language_version:
      - 2
      - 0
    .max_flat_workgroup_size: 64
    .name:           _ZN9rocsolver6v33100L18getri_kernel_smallILi22E19rocblas_complex_numIfEPS3_EEvT1_iilPiilS6_bb
    .private_segment_fixed_size: 192
    .sgpr_count:     25
    .sgpr_spill_count: 0
    .symbol:         _ZN9rocsolver6v33100L18getri_kernel_smallILi22E19rocblas_complex_numIfEPS3_EEvT1_iilPiilS6_bb.kd
    .uniform_work_group_size: 1
    .uses_dynamic_stack: false
    .vgpr_count:     152
    .vgpr_spill_count: 0
    .wavefront_size: 32
    .workgroup_processor_mode: 1
  - .args:
      - .address_space:  global
        .offset:         0
        .size:           8
        .value_kind:     global_buffer
      - .offset:         8
        .size:           4
        .value_kind:     by_value
      - .offset:         12
        .size:           4
        .value_kind:     by_value
      - .offset:         16
        .size:           8
        .value_kind:     by_value
      - .address_space:  global
        .offset:         24
        .size:           8
        .value_kind:     global_buffer
      - .offset:         32
        .size:           4
        .value_kind:     by_value
      - .offset:         40
        .size:           8
        .value_kind:     by_value
      - .address_space:  global
        .offset:         48
        .size:           8
        .value_kind:     global_buffer
      - .offset:         56
        .size:           1
        .value_kind:     by_value
      - .offset:         57
        .size:           1
        .value_kind:     by_value
    .group_segment_fixed_size: 376
    .kernarg_segment_align: 8
    .kernarg_segment_size: 60
    .language:       OpenCL C
    .language_version:
      - 2
      - 0
    .max_flat_workgroup_size: 64
    .name:           _ZN9rocsolver6v33100L18getri_kernel_smallILi23E19rocblas_complex_numIfEPS3_EEvT1_iilPiilS6_bb
    .private_segment_fixed_size: 192
    .sgpr_count:     25
    .sgpr_spill_count: 0
    .symbol:         _ZN9rocsolver6v33100L18getri_kernel_smallILi23E19rocblas_complex_numIfEPS3_EEvT1_iilPiilS6_bb.kd
    .uniform_work_group_size: 1
    .uses_dynamic_stack: false
    .vgpr_count:     158
    .vgpr_spill_count: 0
    .wavefront_size: 32
    .workgroup_processor_mode: 1
  - .args:
      - .address_space:  global
        .offset:         0
        .size:           8
        .value_kind:     global_buffer
      - .offset:         8
        .size:           4
        .value_kind:     by_value
      - .offset:         12
        .size:           4
        .value_kind:     by_value
      - .offset:         16
        .size:           8
        .value_kind:     by_value
      - .address_space:  global
        .offset:         24
        .size:           8
        .value_kind:     global_buffer
      - .offset:         32
        .size:           4
        .value_kind:     by_value
      - .offset:         40
        .size:           8
        .value_kind:     by_value
      - .address_space:  global
        .offset:         48
        .size:           8
        .value_kind:     global_buffer
      - .offset:         56
        .size:           1
        .value_kind:     by_value
      - .offset:         57
        .size:           1
        .value_kind:     by_value
    .group_segment_fixed_size: 388
    .kernarg_segment_align: 8
    .kernarg_segment_size: 60
    .language:       OpenCL C
    .language_version:
      - 2
      - 0
    .max_flat_workgroup_size: 64
    .name:           _ZN9rocsolver6v33100L18getri_kernel_smallILi24E19rocblas_complex_numIfEPS3_EEvT1_iilPiilS6_bb
    .private_segment_fixed_size: 208
    .sgpr_count:     25
    .sgpr_spill_count: 0
    .symbol:         _ZN9rocsolver6v33100L18getri_kernel_smallILi24E19rocblas_complex_numIfEPS3_EEvT1_iilPiilS6_bb.kd
    .uniform_work_group_size: 1
    .uses_dynamic_stack: false
    .vgpr_count:     166
    .vgpr_spill_count: 0
    .wavefront_size: 32
    .workgroup_processor_mode: 1
  - .args:
      - .address_space:  global
        .offset:         0
        .size:           8
        .value_kind:     global_buffer
      - .offset:         8
        .size:           4
        .value_kind:     by_value
      - .offset:         12
        .size:           4
        .value_kind:     by_value
      - .offset:         16
        .size:           8
        .value_kind:     by_value
      - .address_space:  global
        .offset:         24
        .size:           8
        .value_kind:     global_buffer
      - .offset:         32
        .size:           4
        .value_kind:     by_value
      - .offset:         40
        .size:           8
        .value_kind:     by_value
      - .address_space:  global
        .offset:         48
        .size:           8
        .value_kind:     global_buffer
      - .offset:         56
        .size:           1
        .value_kind:     by_value
      - .offset:         57
        .size:           1
        .value_kind:     by_value
    .group_segment_fixed_size: 408
    .kernarg_segment_align: 8
    .kernarg_segment_size: 60
    .language:       OpenCL C
    .language_version:
      - 2
      - 0
    .max_flat_workgroup_size: 64
    .name:           _ZN9rocsolver6v33100L18getri_kernel_smallILi25E19rocblas_complex_numIfEPS3_EEvT1_iilPiilS6_bb
    .private_segment_fixed_size: 208
    .sgpr_count:     25
    .sgpr_spill_count: 0
    .symbol:         _ZN9rocsolver6v33100L18getri_kernel_smallILi25E19rocblas_complex_numIfEPS3_EEvT1_iilPiilS6_bb.kd
    .uniform_work_group_size: 1
    .uses_dynamic_stack: false
    .vgpr_count:     172
    .vgpr_spill_count: 0
    .wavefront_size: 32
    .workgroup_processor_mode: 1
  - .args:
      - .address_space:  global
        .offset:         0
        .size:           8
        .value_kind:     global_buffer
      - .offset:         8
        .size:           4
        .value_kind:     by_value
      - .offset:         12
        .size:           4
        .value_kind:     by_value
      - .offset:         16
        .size:           8
        .value_kind:     by_value
      - .address_space:  global
        .offset:         24
        .size:           8
        .value_kind:     global_buffer
      - .offset:         32
        .size:           4
        .value_kind:     by_value
      - .offset:         40
        .size:           8
        .value_kind:     by_value
      - .address_space:  global
        .offset:         48
        .size:           8
        .value_kind:     global_buffer
      - .offset:         56
        .size:           1
        .value_kind:     by_value
      - .offset:         57
        .size:           1
        .value_kind:     by_value
    .group_segment_fixed_size: 420
    .kernarg_segment_align: 8
    .kernarg_segment_size: 60
    .language:       OpenCL C
    .language_version:
      - 2
      - 0
    .max_flat_workgroup_size: 64
    .name:           _ZN9rocsolver6v33100L18getri_kernel_smallILi26E19rocblas_complex_numIfEPS3_EEvT1_iilPiilS6_bb
    .private_segment_fixed_size: 224
    .sgpr_count:     25
    .sgpr_spill_count: 0
    .symbol:         _ZN9rocsolver6v33100L18getri_kernel_smallILi26E19rocblas_complex_numIfEPS3_EEvT1_iilPiilS6_bb.kd
    .uniform_work_group_size: 1
    .uses_dynamic_stack: false
    .vgpr_count:     180
    .vgpr_spill_count: 0
    .wavefront_size: 32
    .workgroup_processor_mode: 1
  - .args:
      - .address_space:  global
        .offset:         0
        .size:           8
        .value_kind:     global_buffer
      - .offset:         8
        .size:           4
        .value_kind:     by_value
      - .offset:         12
        .size:           4
        .value_kind:     by_value
      - .offset:         16
        .size:           8
        .value_kind:     by_value
      - .address_space:  global
        .offset:         24
        .size:           8
        .value_kind:     global_buffer
      - .offset:         32
        .size:           4
        .value_kind:     by_value
      - .offset:         40
        .size:           8
        .value_kind:     by_value
      - .address_space:  global
        .offset:         48
        .size:           8
        .value_kind:     global_buffer
      - .offset:         56
        .size:           1
        .value_kind:     by_value
      - .offset:         57
        .size:           1
        .value_kind:     by_value
    .group_segment_fixed_size: 440
    .kernarg_segment_align: 8
    .kernarg_segment_size: 60
    .language:       OpenCL C
    .language_version:
      - 2
      - 0
    .max_flat_workgroup_size: 64
    .name:           _ZN9rocsolver6v33100L18getri_kernel_smallILi27E19rocblas_complex_numIfEPS3_EEvT1_iilPiilS6_bb
    .private_segment_fixed_size: 224
    .sgpr_count:     25
    .sgpr_spill_count: 0
    .symbol:         _ZN9rocsolver6v33100L18getri_kernel_smallILi27E19rocblas_complex_numIfEPS3_EEvT1_iilPiilS6_bb.kd
    .uniform_work_group_size: 1
    .uses_dynamic_stack: false
    .vgpr_count:     186
    .vgpr_spill_count: 0
    .wavefront_size: 32
    .workgroup_processor_mode: 1
  - .args:
      - .address_space:  global
        .offset:         0
        .size:           8
        .value_kind:     global_buffer
      - .offset:         8
        .size:           4
        .value_kind:     by_value
      - .offset:         12
        .size:           4
        .value_kind:     by_value
      - .offset:         16
        .size:           8
        .value_kind:     by_value
      - .address_space:  global
        .offset:         24
        .size:           8
        .value_kind:     global_buffer
      - .offset:         32
        .size:           4
        .value_kind:     by_value
      - .offset:         40
        .size:           8
        .value_kind:     by_value
      - .address_space:  global
        .offset:         48
        .size:           8
        .value_kind:     global_buffer
      - .offset:         56
        .size:           1
        .value_kind:     by_value
      - .offset:         57
        .size:           1
        .value_kind:     by_value
    .group_segment_fixed_size: 452
    .kernarg_segment_align: 8
    .kernarg_segment_size: 60
    .language:       OpenCL C
    .language_version:
      - 2
      - 0
    .max_flat_workgroup_size: 64
    .name:           _ZN9rocsolver6v33100L18getri_kernel_smallILi28E19rocblas_complex_numIfEPS3_EEvT1_iilPiilS6_bb
    .private_segment_fixed_size: 240
    .sgpr_count:     25
    .sgpr_spill_count: 0
    .symbol:         _ZN9rocsolver6v33100L18getri_kernel_smallILi28E19rocblas_complex_numIfEPS3_EEvT1_iilPiilS6_bb.kd
    .uniform_work_group_size: 1
    .uses_dynamic_stack: false
    .vgpr_count:     194
    .vgpr_spill_count: 0
    .wavefront_size: 32
    .workgroup_processor_mode: 1
  - .args:
      - .address_space:  global
        .offset:         0
        .size:           8
        .value_kind:     global_buffer
      - .offset:         8
        .size:           4
        .value_kind:     by_value
      - .offset:         12
        .size:           4
        .value_kind:     by_value
      - .offset:         16
        .size:           8
        .value_kind:     by_value
      - .address_space:  global
        .offset:         24
        .size:           8
        .value_kind:     global_buffer
      - .offset:         32
        .size:           4
        .value_kind:     by_value
      - .offset:         40
        .size:           8
        .value_kind:     by_value
      - .address_space:  global
        .offset:         48
        .size:           8
        .value_kind:     global_buffer
      - .offset:         56
        .size:           1
        .value_kind:     by_value
      - .offset:         57
        .size:           1
        .value_kind:     by_value
    .group_segment_fixed_size: 472
    .kernarg_segment_align: 8
    .kernarg_segment_size: 60
    .language:       OpenCL C
    .language_version:
      - 2
      - 0
    .max_flat_workgroup_size: 64
    .name:           _ZN9rocsolver6v33100L18getri_kernel_smallILi29E19rocblas_complex_numIfEPS3_EEvT1_iilPiilS6_bb
    .private_segment_fixed_size: 240
    .sgpr_count:     25
    .sgpr_spill_count: 0
    .symbol:         _ZN9rocsolver6v33100L18getri_kernel_smallILi29E19rocblas_complex_numIfEPS3_EEvT1_iilPiilS6_bb.kd
    .uniform_work_group_size: 1
    .uses_dynamic_stack: false
    .vgpr_count:     200
    .vgpr_spill_count: 0
    .wavefront_size: 32
    .workgroup_processor_mode: 1
  - .args:
      - .address_space:  global
        .offset:         0
        .size:           8
        .value_kind:     global_buffer
      - .offset:         8
        .size:           4
        .value_kind:     by_value
      - .offset:         12
        .size:           4
        .value_kind:     by_value
      - .offset:         16
        .size:           8
        .value_kind:     by_value
      - .address_space:  global
        .offset:         24
        .size:           8
        .value_kind:     global_buffer
      - .offset:         32
        .size:           4
        .value_kind:     by_value
      - .offset:         40
        .size:           8
        .value_kind:     by_value
      - .address_space:  global
        .offset:         48
        .size:           8
        .value_kind:     global_buffer
      - .offset:         56
        .size:           1
        .value_kind:     by_value
      - .offset:         57
        .size:           1
        .value_kind:     by_value
    .group_segment_fixed_size: 484
    .kernarg_segment_align: 8
    .kernarg_segment_size: 60
    .language:       OpenCL C
    .language_version:
      - 2
      - 0
    .max_flat_workgroup_size: 64
    .name:           _ZN9rocsolver6v33100L18getri_kernel_smallILi30E19rocblas_complex_numIfEPS3_EEvT1_iilPiilS6_bb
    .private_segment_fixed_size: 256
    .sgpr_count:     25
    .sgpr_spill_count: 0
    .symbol:         _ZN9rocsolver6v33100L18getri_kernel_smallILi30E19rocblas_complex_numIfEPS3_EEvT1_iilPiilS6_bb.kd
    .uniform_work_group_size: 1
    .uses_dynamic_stack: false
    .vgpr_count:     208
    .vgpr_spill_count: 0
    .wavefront_size: 32
    .workgroup_processor_mode: 1
  - .args:
      - .address_space:  global
        .offset:         0
        .size:           8
        .value_kind:     global_buffer
      - .offset:         8
        .size:           4
        .value_kind:     by_value
      - .offset:         12
        .size:           4
        .value_kind:     by_value
      - .offset:         16
        .size:           8
        .value_kind:     by_value
      - .address_space:  global
        .offset:         24
        .size:           8
        .value_kind:     global_buffer
      - .offset:         32
        .size:           4
        .value_kind:     by_value
      - .offset:         40
        .size:           8
        .value_kind:     by_value
      - .address_space:  global
        .offset:         48
        .size:           8
        .value_kind:     global_buffer
      - .offset:         56
        .size:           1
        .value_kind:     by_value
      - .offset:         57
        .size:           1
        .value_kind:     by_value
    .group_segment_fixed_size: 504
    .kernarg_segment_align: 8
    .kernarg_segment_size: 60
    .language:       OpenCL C
    .language_version:
      - 2
      - 0
    .max_flat_workgroup_size: 64
    .name:           _ZN9rocsolver6v33100L18getri_kernel_smallILi31E19rocblas_complex_numIfEPS3_EEvT1_iilPiilS6_bb
    .private_segment_fixed_size: 256
    .sgpr_count:     25
    .sgpr_spill_count: 0
    .symbol:         _ZN9rocsolver6v33100L18getri_kernel_smallILi31E19rocblas_complex_numIfEPS3_EEvT1_iilPiilS6_bb.kd
    .uniform_work_group_size: 1
    .uses_dynamic_stack: false
    .vgpr_count:     214
    .vgpr_spill_count: 0
    .wavefront_size: 32
    .workgroup_processor_mode: 1
  - .args:
      - .address_space:  global
        .offset:         0
        .size:           8
        .value_kind:     global_buffer
      - .offset:         8
        .size:           4
        .value_kind:     by_value
      - .offset:         12
        .size:           4
        .value_kind:     by_value
      - .offset:         16
        .size:           8
        .value_kind:     by_value
      - .address_space:  global
        .offset:         24
        .size:           8
        .value_kind:     global_buffer
      - .offset:         32
        .size:           4
        .value_kind:     by_value
      - .offset:         40
        .size:           8
        .value_kind:     by_value
      - .address_space:  global
        .offset:         48
        .size:           8
        .value_kind:     global_buffer
      - .offset:         56
        .size:           1
        .value_kind:     by_value
      - .offset:         57
        .size:           1
        .value_kind:     by_value
    .group_segment_fixed_size: 516
    .kernarg_segment_align: 8
    .kernarg_segment_size: 60
    .language:       OpenCL C
    .language_version:
      - 2
      - 0
    .max_flat_workgroup_size: 64
    .name:           _ZN9rocsolver6v33100L18getri_kernel_smallILi32E19rocblas_complex_numIfEPS3_EEvT1_iilPiilS6_bb
    .private_segment_fixed_size: 272
    .sgpr_count:     25
    .sgpr_spill_count: 0
    .symbol:         _ZN9rocsolver6v33100L18getri_kernel_smallILi32E19rocblas_complex_numIfEPS3_EEvT1_iilPiilS6_bb.kd
    .uniform_work_group_size: 1
    .uses_dynamic_stack: false
    .vgpr_count:     222
    .vgpr_spill_count: 0
    .wavefront_size: 32
    .workgroup_processor_mode: 1
  - .args:
      - .address_space:  global
        .offset:         0
        .size:           8
        .value_kind:     global_buffer
      - .offset:         8
        .size:           4
        .value_kind:     by_value
      - .offset:         12
        .size:           4
        .value_kind:     by_value
      - .offset:         16
        .size:           8
        .value_kind:     by_value
      - .address_space:  global
        .offset:         24
        .size:           8
        .value_kind:     global_buffer
      - .offset:         32
        .size:           4
        .value_kind:     by_value
      - .offset:         40
        .size:           8
        .value_kind:     by_value
      - .address_space:  global
        .offset:         48
        .size:           8
        .value_kind:     global_buffer
      - .offset:         56
        .size:           1
        .value_kind:     by_value
      - .offset:         57
        .size:           1
        .value_kind:     by_value
    .group_segment_fixed_size: 536
    .kernarg_segment_align: 8
    .kernarg_segment_size: 60
    .language:       OpenCL C
    .language_version:
      - 2
      - 0
    .max_flat_workgroup_size: 64
    .name:           _ZN9rocsolver6v33100L18getri_kernel_smallILi33E19rocblas_complex_numIfEPS3_EEvT1_iilPiilS6_bb
    .private_segment_fixed_size: 272
    .sgpr_count:     25
    .sgpr_spill_count: 0
    .symbol:         _ZN9rocsolver6v33100L18getri_kernel_smallILi33E19rocblas_complex_numIfEPS3_EEvT1_iilPiilS6_bb.kd
    .uniform_work_group_size: 1
    .uses_dynamic_stack: false
    .vgpr_count:     228
    .vgpr_spill_count: 0
    .wavefront_size: 32
    .workgroup_processor_mode: 1
  - .args:
      - .address_space:  global
        .offset:         0
        .size:           8
        .value_kind:     global_buffer
      - .offset:         8
        .size:           4
        .value_kind:     by_value
      - .offset:         12
        .size:           4
        .value_kind:     by_value
      - .offset:         16
        .size:           8
        .value_kind:     by_value
      - .address_space:  global
        .offset:         24
        .size:           8
        .value_kind:     global_buffer
      - .offset:         32
        .size:           4
        .value_kind:     by_value
      - .offset:         40
        .size:           8
        .value_kind:     by_value
      - .address_space:  global
        .offset:         48
        .size:           8
        .value_kind:     global_buffer
      - .offset:         56
        .size:           1
        .value_kind:     by_value
      - .offset:         57
        .size:           1
        .value_kind:     by_value
    .group_segment_fixed_size: 548
    .kernarg_segment_align: 8
    .kernarg_segment_size: 60
    .language:       OpenCL C
    .language_version:
      - 2
      - 0
    .max_flat_workgroup_size: 64
    .name:           _ZN9rocsolver6v33100L18getri_kernel_smallILi34E19rocblas_complex_numIfEPS3_EEvT1_iilPiilS6_bb
    .private_segment_fixed_size: 288
    .sgpr_count:     25
    .sgpr_spill_count: 0
    .symbol:         _ZN9rocsolver6v33100L18getri_kernel_smallILi34E19rocblas_complex_numIfEPS3_EEvT1_iilPiilS6_bb.kd
    .uniform_work_group_size: 1
    .uses_dynamic_stack: false
    .vgpr_count:     236
    .vgpr_spill_count: 0
    .wavefront_size: 32
    .workgroup_processor_mode: 1
  - .args:
      - .address_space:  global
        .offset:         0
        .size:           8
        .value_kind:     global_buffer
      - .offset:         8
        .size:           4
        .value_kind:     by_value
      - .offset:         12
        .size:           4
        .value_kind:     by_value
      - .offset:         16
        .size:           8
        .value_kind:     by_value
      - .address_space:  global
        .offset:         24
        .size:           8
        .value_kind:     global_buffer
      - .offset:         32
        .size:           4
        .value_kind:     by_value
      - .offset:         40
        .size:           8
        .value_kind:     by_value
      - .address_space:  global
        .offset:         48
        .size:           8
        .value_kind:     global_buffer
      - .offset:         56
        .size:           1
        .value_kind:     by_value
      - .offset:         57
        .size:           1
        .value_kind:     by_value
    .group_segment_fixed_size: 568
    .kernarg_segment_align: 8
    .kernarg_segment_size: 60
    .language:       OpenCL C
    .language_version:
      - 2
      - 0
    .max_flat_workgroup_size: 64
    .name:           _ZN9rocsolver6v33100L18getri_kernel_smallILi35E19rocblas_complex_numIfEPS3_EEvT1_iilPiilS6_bb
    .private_segment_fixed_size: 288
    .sgpr_count:     25
    .sgpr_spill_count: 0
    .symbol:         _ZN9rocsolver6v33100L18getri_kernel_smallILi35E19rocblas_complex_numIfEPS3_EEvT1_iilPiilS6_bb.kd
    .uniform_work_group_size: 1
    .uses_dynamic_stack: false
    .vgpr_count:     242
    .vgpr_spill_count: 0
    .wavefront_size: 32
    .workgroup_processor_mode: 1
  - .args:
      - .address_space:  global
        .offset:         0
        .size:           8
        .value_kind:     global_buffer
      - .offset:         8
        .size:           4
        .value_kind:     by_value
      - .offset:         12
        .size:           4
        .value_kind:     by_value
      - .offset:         16
        .size:           8
        .value_kind:     by_value
      - .address_space:  global
        .offset:         24
        .size:           8
        .value_kind:     global_buffer
      - .offset:         32
        .size:           4
        .value_kind:     by_value
      - .offset:         40
        .size:           8
        .value_kind:     by_value
      - .address_space:  global
        .offset:         48
        .size:           8
        .value_kind:     global_buffer
      - .offset:         56
        .size:           1
        .value_kind:     by_value
      - .offset:         57
        .size:           1
        .value_kind:     by_value
    .group_segment_fixed_size: 580
    .kernarg_segment_align: 8
    .kernarg_segment_size: 60
    .language:       OpenCL C
    .language_version:
      - 2
      - 0
    .max_flat_workgroup_size: 64
    .name:           _ZN9rocsolver6v33100L18getri_kernel_smallILi36E19rocblas_complex_numIfEPS3_EEvT1_iilPiilS6_bb
    .private_segment_fixed_size: 304
    .sgpr_count:     25
    .sgpr_spill_count: 0
    .symbol:         _ZN9rocsolver6v33100L18getri_kernel_smallILi36E19rocblas_complex_numIfEPS3_EEvT1_iilPiilS6_bb.kd
    .uniform_work_group_size: 1
    .uses_dynamic_stack: false
    .vgpr_count:     250
    .vgpr_spill_count: 0
    .wavefront_size: 32
    .workgroup_processor_mode: 1
  - .args:
      - .address_space:  global
        .offset:         0
        .size:           8
        .value_kind:     global_buffer
      - .offset:         8
        .size:           4
        .value_kind:     by_value
      - .offset:         12
        .size:           4
        .value_kind:     by_value
      - .offset:         16
        .size:           8
        .value_kind:     by_value
      - .address_space:  global
        .offset:         24
        .size:           8
        .value_kind:     global_buffer
      - .offset:         32
        .size:           4
        .value_kind:     by_value
      - .offset:         40
        .size:           8
        .value_kind:     by_value
      - .address_space:  global
        .offset:         48
        .size:           8
        .value_kind:     global_buffer
      - .offset:         56
        .size:           1
        .value_kind:     by_value
      - .offset:         57
        .size:           1
        .value_kind:     by_value
    .group_segment_fixed_size: 600
    .kernarg_segment_align: 8
    .kernarg_segment_size: 60
    .language:       OpenCL C
    .language_version:
      - 2
      - 0
    .max_flat_workgroup_size: 64
    .name:           _ZN9rocsolver6v33100L18getri_kernel_smallILi37E19rocblas_complex_numIfEPS3_EEvT1_iilPiilS6_bb
    .private_segment_fixed_size: 304
    .sgpr_count:     25
    .sgpr_spill_count: 0
    .symbol:         _ZN9rocsolver6v33100L18getri_kernel_smallILi37E19rocblas_complex_numIfEPS3_EEvT1_iilPiilS6_bb.kd
    .uniform_work_group_size: 1
    .uses_dynamic_stack: false
    .vgpr_count:     254
    .vgpr_spill_count: 0
    .wavefront_size: 32
    .workgroup_processor_mode: 1
  - .args:
      - .address_space:  global
        .offset:         0
        .size:           8
        .value_kind:     global_buffer
      - .offset:         8
        .size:           4
        .value_kind:     by_value
      - .offset:         12
        .size:           4
        .value_kind:     by_value
      - .offset:         16
        .size:           8
        .value_kind:     by_value
      - .address_space:  global
        .offset:         24
        .size:           8
        .value_kind:     global_buffer
      - .offset:         32
        .size:           4
        .value_kind:     by_value
      - .offset:         40
        .size:           8
        .value_kind:     by_value
      - .address_space:  global
        .offset:         48
        .size:           8
        .value_kind:     global_buffer
      - .offset:         56
        .size:           1
        .value_kind:     by_value
      - .offset:         57
        .size:           1
        .value_kind:     by_value
    .group_segment_fixed_size: 612
    .kernarg_segment_align: 8
    .kernarg_segment_size: 60
    .language:       OpenCL C
    .language_version:
      - 2
      - 0
    .max_flat_workgroup_size: 64
    .name:           _ZN9rocsolver6v33100L18getri_kernel_smallILi38E19rocblas_complex_numIfEPS3_EEvT1_iilPiilS6_bb
    .private_segment_fixed_size: 320
    .sgpr_count:     25
    .sgpr_spill_count: 0
    .symbol:         _ZN9rocsolver6v33100L18getri_kernel_smallILi38E19rocblas_complex_numIfEPS3_EEvT1_iilPiilS6_bb.kd
    .uniform_work_group_size: 1
    .uses_dynamic_stack: false
    .vgpr_count:     250
    .vgpr_spill_count: 0
    .wavefront_size: 32
    .workgroup_processor_mode: 1
  - .args:
      - .address_space:  global
        .offset:         0
        .size:           8
        .value_kind:     global_buffer
      - .offset:         8
        .size:           4
        .value_kind:     by_value
      - .offset:         12
        .size:           4
        .value_kind:     by_value
      - .offset:         16
        .size:           8
        .value_kind:     by_value
      - .address_space:  global
        .offset:         24
        .size:           8
        .value_kind:     global_buffer
      - .offset:         32
        .size:           4
        .value_kind:     by_value
      - .offset:         40
        .size:           8
        .value_kind:     by_value
      - .address_space:  global
        .offset:         48
        .size:           8
        .value_kind:     global_buffer
      - .offset:         56
        .size:           1
        .value_kind:     by_value
      - .offset:         57
        .size:           1
        .value_kind:     by_value
    .group_segment_fixed_size: 632
    .kernarg_segment_align: 8
    .kernarg_segment_size: 60
    .language:       OpenCL C
    .language_version:
      - 2
      - 0
    .max_flat_workgroup_size: 64
    .name:           _ZN9rocsolver6v33100L18getri_kernel_smallILi39E19rocblas_complex_numIfEPS3_EEvT1_iilPiilS6_bb
    .private_segment_fixed_size: 320
    .sgpr_count:     25
    .sgpr_spill_count: 0
    .symbol:         _ZN9rocsolver6v33100L18getri_kernel_smallILi39E19rocblas_complex_numIfEPS3_EEvT1_iilPiilS6_bb.kd
    .uniform_work_group_size: 1
    .uses_dynamic_stack: false
    .vgpr_count:     252
    .vgpr_spill_count: 0
    .wavefront_size: 32
    .workgroup_processor_mode: 1
  - .args:
      - .address_space:  global
        .offset:         0
        .size:           8
        .value_kind:     global_buffer
      - .offset:         8
        .size:           4
        .value_kind:     by_value
      - .offset:         12
        .size:           4
        .value_kind:     by_value
      - .offset:         16
        .size:           8
        .value_kind:     by_value
      - .address_space:  global
        .offset:         24
        .size:           8
        .value_kind:     global_buffer
      - .offset:         32
        .size:           4
        .value_kind:     by_value
      - .offset:         40
        .size:           8
        .value_kind:     by_value
      - .address_space:  global
        .offset:         48
        .size:           8
        .value_kind:     global_buffer
      - .offset:         56
        .size:           1
        .value_kind:     by_value
      - .offset:         57
        .size:           1
        .value_kind:     by_value
    .group_segment_fixed_size: 644
    .kernarg_segment_align: 8
    .kernarg_segment_size: 60
    .language:       OpenCL C
    .language_version:
      - 2
      - 0
    .max_flat_workgroup_size: 64
    .name:           _ZN9rocsolver6v33100L18getri_kernel_smallILi40E19rocblas_complex_numIfEPS3_EEvT1_iilPiilS6_bb
    .private_segment_fixed_size: 336
    .sgpr_count:     25
    .sgpr_spill_count: 0
    .symbol:         _ZN9rocsolver6v33100L18getri_kernel_smallILi40E19rocblas_complex_numIfEPS3_EEvT1_iilPiilS6_bb.kd
    .uniform_work_group_size: 1
    .uses_dynamic_stack: false
    .vgpr_count:     254
    .vgpr_spill_count: 0
    .wavefront_size: 32
    .workgroup_processor_mode: 1
  - .args:
      - .address_space:  global
        .offset:         0
        .size:           8
        .value_kind:     global_buffer
      - .offset:         8
        .size:           4
        .value_kind:     by_value
      - .offset:         12
        .size:           4
        .value_kind:     by_value
      - .offset:         16
        .size:           8
        .value_kind:     by_value
      - .address_space:  global
        .offset:         24
        .size:           8
        .value_kind:     global_buffer
      - .offset:         32
        .size:           4
        .value_kind:     by_value
      - .offset:         40
        .size:           8
        .value_kind:     by_value
      - .address_space:  global
        .offset:         48
        .size:           8
        .value_kind:     global_buffer
      - .offset:         56
        .size:           1
        .value_kind:     by_value
      - .offset:         57
        .size:           1
        .value_kind:     by_value
    .group_segment_fixed_size: 664
    .kernarg_segment_align: 8
    .kernarg_segment_size: 60
    .language:       OpenCL C
    .language_version:
      - 2
      - 0
    .max_flat_workgroup_size: 64
    .name:           _ZN9rocsolver6v33100L18getri_kernel_smallILi41E19rocblas_complex_numIfEPS3_EEvT1_iilPiilS6_bb
    .private_segment_fixed_size: 336
    .sgpr_count:     25
    .sgpr_spill_count: 0
    .symbol:         _ZN9rocsolver6v33100L18getri_kernel_smallILi41E19rocblas_complex_numIfEPS3_EEvT1_iilPiilS6_bb.kd
    .uniform_work_group_size: 1
    .uses_dynamic_stack: false
    .vgpr_count:     252
    .vgpr_spill_count: 0
    .wavefront_size: 32
    .workgroup_processor_mode: 1
  - .args:
      - .address_space:  global
        .offset:         0
        .size:           8
        .value_kind:     global_buffer
      - .offset:         8
        .size:           4
        .value_kind:     by_value
      - .offset:         12
        .size:           4
        .value_kind:     by_value
      - .offset:         16
        .size:           8
        .value_kind:     by_value
      - .address_space:  global
        .offset:         24
        .size:           8
        .value_kind:     global_buffer
      - .offset:         32
        .size:           4
        .value_kind:     by_value
      - .offset:         40
        .size:           8
        .value_kind:     by_value
      - .address_space:  global
        .offset:         48
        .size:           8
        .value_kind:     global_buffer
      - .offset:         56
        .size:           1
        .value_kind:     by_value
      - .offset:         57
        .size:           1
        .value_kind:     by_value
    .group_segment_fixed_size: 676
    .kernarg_segment_align: 8
    .kernarg_segment_size: 60
    .language:       OpenCL C
    .language_version:
      - 2
      - 0
    .max_flat_workgroup_size: 64
    .name:           _ZN9rocsolver6v33100L18getri_kernel_smallILi42E19rocblas_complex_numIfEPS3_EEvT1_iilPiilS6_bb
    .private_segment_fixed_size: 352
    .sgpr_count:     25
    .sgpr_spill_count: 0
    .symbol:         _ZN9rocsolver6v33100L18getri_kernel_smallILi42E19rocblas_complex_numIfEPS3_EEvT1_iilPiilS6_bb.kd
    .uniform_work_group_size: 1
    .uses_dynamic_stack: false
    .vgpr_count:     254
    .vgpr_spill_count: 0
    .wavefront_size: 32
    .workgroup_processor_mode: 1
  - .args:
      - .address_space:  global
        .offset:         0
        .size:           8
        .value_kind:     global_buffer
      - .offset:         8
        .size:           4
        .value_kind:     by_value
      - .offset:         12
        .size:           4
        .value_kind:     by_value
      - .offset:         16
        .size:           8
        .value_kind:     by_value
      - .address_space:  global
        .offset:         24
        .size:           8
        .value_kind:     global_buffer
      - .offset:         32
        .size:           4
        .value_kind:     by_value
      - .offset:         40
        .size:           8
        .value_kind:     by_value
      - .address_space:  global
        .offset:         48
        .size:           8
        .value_kind:     global_buffer
      - .offset:         56
        .size:           1
        .value_kind:     by_value
      - .offset:         57
        .size:           1
        .value_kind:     by_value
    .group_segment_fixed_size: 696
    .kernarg_segment_align: 8
    .kernarg_segment_size: 60
    .language:       OpenCL C
    .language_version:
      - 2
      - 0
    .max_flat_workgroup_size: 64
    .name:           _ZN9rocsolver6v33100L18getri_kernel_smallILi43E19rocblas_complex_numIfEPS3_EEvT1_iilPiilS6_bb
    .private_segment_fixed_size: 352
    .sgpr_count:     25
    .sgpr_spill_count: 0
    .symbol:         _ZN9rocsolver6v33100L18getri_kernel_smallILi43E19rocblas_complex_numIfEPS3_EEvT1_iilPiilS6_bb.kd
    .uniform_work_group_size: 1
    .uses_dynamic_stack: false
    .vgpr_count:     250
    .vgpr_spill_count: 0
    .wavefront_size: 32
    .workgroup_processor_mode: 1
  - .args:
      - .address_space:  global
        .offset:         0
        .size:           8
        .value_kind:     global_buffer
      - .offset:         8
        .size:           4
        .value_kind:     by_value
      - .offset:         12
        .size:           4
        .value_kind:     by_value
      - .offset:         16
        .size:           8
        .value_kind:     by_value
      - .address_space:  global
        .offset:         24
        .size:           8
        .value_kind:     global_buffer
      - .offset:         32
        .size:           4
        .value_kind:     by_value
      - .offset:         40
        .size:           8
        .value_kind:     by_value
      - .address_space:  global
        .offset:         48
        .size:           8
        .value_kind:     global_buffer
      - .offset:         56
        .size:           1
        .value_kind:     by_value
      - .offset:         57
        .size:           1
        .value_kind:     by_value
    .group_segment_fixed_size: 708
    .kernarg_segment_align: 8
    .kernarg_segment_size: 60
    .language:       OpenCL C
    .language_version:
      - 2
      - 0
    .max_flat_workgroup_size: 64
    .name:           _ZN9rocsolver6v33100L18getri_kernel_smallILi44E19rocblas_complex_numIfEPS3_EEvT1_iilPiilS6_bb
    .private_segment_fixed_size: 368
    .sgpr_count:     25
    .sgpr_spill_count: 0
    .symbol:         _ZN9rocsolver6v33100L18getri_kernel_smallILi44E19rocblas_complex_numIfEPS3_EEvT1_iilPiilS6_bb.kd
    .uniform_work_group_size: 1
    .uses_dynamic_stack: false
    .vgpr_count:     252
    .vgpr_spill_count: 0
    .wavefront_size: 32
    .workgroup_processor_mode: 1
  - .args:
      - .address_space:  global
        .offset:         0
        .size:           8
        .value_kind:     global_buffer
      - .offset:         8
        .size:           4
        .value_kind:     by_value
      - .offset:         12
        .size:           4
        .value_kind:     by_value
      - .offset:         16
        .size:           8
        .value_kind:     by_value
      - .address_space:  global
        .offset:         24
        .size:           8
        .value_kind:     global_buffer
      - .offset:         32
        .size:           4
        .value_kind:     by_value
      - .offset:         40
        .size:           8
        .value_kind:     by_value
      - .address_space:  global
        .offset:         48
        .size:           8
        .value_kind:     global_buffer
      - .offset:         56
        .size:           1
        .value_kind:     by_value
      - .offset:         57
        .size:           1
        .value_kind:     by_value
    .group_segment_fixed_size: 728
    .kernarg_segment_align: 8
    .kernarg_segment_size: 60
    .language:       OpenCL C
    .language_version:
      - 2
      - 0
    .max_flat_workgroup_size: 64
    .name:           _ZN9rocsolver6v33100L18getri_kernel_smallILi45E19rocblas_complex_numIfEPS3_EEvT1_iilPiilS6_bb
    .private_segment_fixed_size: 368
    .sgpr_count:     25
    .sgpr_spill_count: 0
    .symbol:         _ZN9rocsolver6v33100L18getri_kernel_smallILi45E19rocblas_complex_numIfEPS3_EEvT1_iilPiilS6_bb.kd
    .uniform_work_group_size: 1
    .uses_dynamic_stack: false
    .vgpr_count:     254
    .vgpr_spill_count: 0
    .wavefront_size: 32
    .workgroup_processor_mode: 1
  - .args:
      - .address_space:  global
        .offset:         0
        .size:           8
        .value_kind:     global_buffer
      - .offset:         8
        .size:           4
        .value_kind:     by_value
      - .offset:         12
        .size:           4
        .value_kind:     by_value
      - .offset:         16
        .size:           8
        .value_kind:     by_value
      - .address_space:  global
        .offset:         24
        .size:           8
        .value_kind:     global_buffer
      - .offset:         32
        .size:           4
        .value_kind:     by_value
      - .offset:         40
        .size:           8
        .value_kind:     by_value
      - .address_space:  global
        .offset:         48
        .size:           8
        .value_kind:     global_buffer
      - .offset:         56
        .size:           1
        .value_kind:     by_value
      - .offset:         57
        .size:           1
        .value_kind:     by_value
    .group_segment_fixed_size: 740
    .kernarg_segment_align: 8
    .kernarg_segment_size: 60
    .language:       OpenCL C
    .language_version:
      - 2
      - 0
    .max_flat_workgroup_size: 64
    .name:           _ZN9rocsolver6v33100L18getri_kernel_smallILi46E19rocblas_complex_numIfEPS3_EEvT1_iilPiilS6_bb
    .private_segment_fixed_size: 384
    .sgpr_count:     25
    .sgpr_spill_count: 0
    .symbol:         _ZN9rocsolver6v33100L18getri_kernel_smallILi46E19rocblas_complex_numIfEPS3_EEvT1_iilPiilS6_bb.kd
    .uniform_work_group_size: 1
    .uses_dynamic_stack: false
    .vgpr_count:     252
    .vgpr_spill_count: 0
    .wavefront_size: 32
    .workgroup_processor_mode: 1
  - .args:
      - .address_space:  global
        .offset:         0
        .size:           8
        .value_kind:     global_buffer
      - .offset:         8
        .size:           4
        .value_kind:     by_value
      - .offset:         12
        .size:           4
        .value_kind:     by_value
      - .offset:         16
        .size:           8
        .value_kind:     by_value
      - .address_space:  global
        .offset:         24
        .size:           8
        .value_kind:     global_buffer
      - .offset:         32
        .size:           4
        .value_kind:     by_value
      - .offset:         40
        .size:           8
        .value_kind:     by_value
      - .address_space:  global
        .offset:         48
        .size:           8
        .value_kind:     global_buffer
      - .offset:         56
        .size:           1
        .value_kind:     by_value
      - .offset:         57
        .size:           1
        .value_kind:     by_value
    .group_segment_fixed_size: 760
    .kernarg_segment_align: 8
    .kernarg_segment_size: 60
    .language:       OpenCL C
    .language_version:
      - 2
      - 0
    .max_flat_workgroup_size: 64
    .name:           _ZN9rocsolver6v33100L18getri_kernel_smallILi47E19rocblas_complex_numIfEPS3_EEvT1_iilPiilS6_bb
    .private_segment_fixed_size: 384
    .sgpr_count:     25
    .sgpr_spill_count: 0
    .symbol:         _ZN9rocsolver6v33100L18getri_kernel_smallILi47E19rocblas_complex_numIfEPS3_EEvT1_iilPiilS6_bb.kd
    .uniform_work_group_size: 1
    .uses_dynamic_stack: false
    .vgpr_count:     254
    .vgpr_spill_count: 0
    .wavefront_size: 32
    .workgroup_processor_mode: 1
  - .args:
      - .address_space:  global
        .offset:         0
        .size:           8
        .value_kind:     global_buffer
      - .offset:         8
        .size:           4
        .value_kind:     by_value
      - .offset:         12
        .size:           4
        .value_kind:     by_value
      - .offset:         16
        .size:           8
        .value_kind:     by_value
      - .address_space:  global
        .offset:         24
        .size:           8
        .value_kind:     global_buffer
      - .offset:         32
        .size:           4
        .value_kind:     by_value
      - .offset:         40
        .size:           8
        .value_kind:     by_value
      - .address_space:  global
        .offset:         48
        .size:           8
        .value_kind:     global_buffer
      - .offset:         56
        .size:           1
        .value_kind:     by_value
      - .offset:         57
        .size:           1
        .value_kind:     by_value
    .group_segment_fixed_size: 772
    .kernarg_segment_align: 8
    .kernarg_segment_size: 60
    .language:       OpenCL C
    .language_version:
      - 2
      - 0
    .max_flat_workgroup_size: 64
    .name:           _ZN9rocsolver6v33100L18getri_kernel_smallILi48E19rocblas_complex_numIfEPS3_EEvT1_iilPiilS6_bb
    .private_segment_fixed_size: 400
    .sgpr_count:     25
    .sgpr_spill_count: 0
    .symbol:         _ZN9rocsolver6v33100L18getri_kernel_smallILi48E19rocblas_complex_numIfEPS3_EEvT1_iilPiilS6_bb.kd
    .uniform_work_group_size: 1
    .uses_dynamic_stack: false
    .vgpr_count:     250
    .vgpr_spill_count: 0
    .wavefront_size: 32
    .workgroup_processor_mode: 1
  - .args:
      - .address_space:  global
        .offset:         0
        .size:           8
        .value_kind:     global_buffer
      - .offset:         8
        .size:           4
        .value_kind:     by_value
      - .offset:         12
        .size:           4
        .value_kind:     by_value
      - .offset:         16
        .size:           8
        .value_kind:     by_value
      - .address_space:  global
        .offset:         24
        .size:           8
        .value_kind:     global_buffer
      - .offset:         32
        .size:           4
        .value_kind:     by_value
      - .offset:         40
        .size:           8
        .value_kind:     by_value
      - .address_space:  global
        .offset:         48
        .size:           8
        .value_kind:     global_buffer
      - .offset:         56
        .size:           1
        .value_kind:     by_value
      - .offset:         57
        .size:           1
        .value_kind:     by_value
    .group_segment_fixed_size: 792
    .kernarg_segment_align: 8
    .kernarg_segment_size: 60
    .language:       OpenCL C
    .language_version:
      - 2
      - 0
    .max_flat_workgroup_size: 64
    .name:           _ZN9rocsolver6v33100L18getri_kernel_smallILi49E19rocblas_complex_numIfEPS3_EEvT1_iilPiilS6_bb
    .private_segment_fixed_size: 400
    .sgpr_count:     25
    .sgpr_spill_count: 0
    .symbol:         _ZN9rocsolver6v33100L18getri_kernel_smallILi49E19rocblas_complex_numIfEPS3_EEvT1_iilPiilS6_bb.kd
    .uniform_work_group_size: 1
    .uses_dynamic_stack: false
    .vgpr_count:     252
    .vgpr_spill_count: 0
    .wavefront_size: 32
    .workgroup_processor_mode: 1
  - .args:
      - .address_space:  global
        .offset:         0
        .size:           8
        .value_kind:     global_buffer
      - .offset:         8
        .size:           4
        .value_kind:     by_value
      - .offset:         12
        .size:           4
        .value_kind:     by_value
      - .offset:         16
        .size:           8
        .value_kind:     by_value
      - .address_space:  global
        .offset:         24
        .size:           8
        .value_kind:     global_buffer
      - .offset:         32
        .size:           4
        .value_kind:     by_value
      - .offset:         40
        .size:           8
        .value_kind:     by_value
      - .address_space:  global
        .offset:         48
        .size:           8
        .value_kind:     global_buffer
      - .offset:         56
        .size:           1
        .value_kind:     by_value
      - .offset:         57
        .size:           1
        .value_kind:     by_value
    .group_segment_fixed_size: 804
    .kernarg_segment_align: 8
    .kernarg_segment_size: 60
    .language:       OpenCL C
    .language_version:
      - 2
      - 0
    .max_flat_workgroup_size: 64
    .name:           _ZN9rocsolver6v33100L18getri_kernel_smallILi50E19rocblas_complex_numIfEPS3_EEvT1_iilPiilS6_bb
    .private_segment_fixed_size: 416
    .sgpr_count:     25
    .sgpr_spill_count: 0
    .symbol:         _ZN9rocsolver6v33100L18getri_kernel_smallILi50E19rocblas_complex_numIfEPS3_EEvT1_iilPiilS6_bb.kd
    .uniform_work_group_size: 1
    .uses_dynamic_stack: false
    .vgpr_count:     254
    .vgpr_spill_count: 0
    .wavefront_size: 32
    .workgroup_processor_mode: 1
  - .args:
      - .address_space:  global
        .offset:         0
        .size:           8
        .value_kind:     global_buffer
      - .offset:         8
        .size:           4
        .value_kind:     by_value
      - .offset:         12
        .size:           4
        .value_kind:     by_value
      - .offset:         16
        .size:           8
        .value_kind:     by_value
      - .address_space:  global
        .offset:         24
        .size:           8
        .value_kind:     global_buffer
      - .offset:         32
        .size:           4
        .value_kind:     by_value
      - .offset:         40
        .size:           8
        .value_kind:     by_value
      - .address_space:  global
        .offset:         48
        .size:           8
        .value_kind:     global_buffer
      - .offset:         56
        .size:           1
        .value_kind:     by_value
      - .offset:         57
        .size:           1
        .value_kind:     by_value
    .group_segment_fixed_size: 824
    .kernarg_segment_align: 8
    .kernarg_segment_size: 60
    .language:       OpenCL C
    .language_version:
      - 2
      - 0
    .max_flat_workgroup_size: 64
    .name:           _ZN9rocsolver6v33100L18getri_kernel_smallILi51E19rocblas_complex_numIfEPS3_EEvT1_iilPiilS6_bb
    .private_segment_fixed_size: 416
    .sgpr_count:     25
    .sgpr_spill_count: 0
    .symbol:         _ZN9rocsolver6v33100L18getri_kernel_smallILi51E19rocblas_complex_numIfEPS3_EEvT1_iilPiilS6_bb.kd
    .uniform_work_group_size: 1
    .uses_dynamic_stack: false
    .vgpr_count:     252
    .vgpr_spill_count: 0
    .wavefront_size: 32
    .workgroup_processor_mode: 1
  - .args:
      - .address_space:  global
        .offset:         0
        .size:           8
        .value_kind:     global_buffer
      - .offset:         8
        .size:           4
        .value_kind:     by_value
      - .offset:         12
        .size:           4
        .value_kind:     by_value
      - .offset:         16
        .size:           8
        .value_kind:     by_value
      - .address_space:  global
        .offset:         24
        .size:           8
        .value_kind:     global_buffer
      - .offset:         32
        .size:           4
        .value_kind:     by_value
      - .offset:         40
        .size:           8
        .value_kind:     by_value
      - .address_space:  global
        .offset:         48
        .size:           8
        .value_kind:     global_buffer
      - .offset:         56
        .size:           1
        .value_kind:     by_value
      - .offset:         57
        .size:           1
        .value_kind:     by_value
    .group_segment_fixed_size: 836
    .kernarg_segment_align: 8
    .kernarg_segment_size: 60
    .language:       OpenCL C
    .language_version:
      - 2
      - 0
    .max_flat_workgroup_size: 64
    .name:           _ZN9rocsolver6v33100L18getri_kernel_smallILi52E19rocblas_complex_numIfEPS3_EEvT1_iilPiilS6_bb
    .private_segment_fixed_size: 432
    .sgpr_count:     25
    .sgpr_spill_count: 0
    .symbol:         _ZN9rocsolver6v33100L18getri_kernel_smallILi52E19rocblas_complex_numIfEPS3_EEvT1_iilPiilS6_bb.kd
    .uniform_work_group_size: 1
    .uses_dynamic_stack: false
    .vgpr_count:     254
    .vgpr_spill_count: 0
    .wavefront_size: 32
    .workgroup_processor_mode: 1
  - .args:
      - .address_space:  global
        .offset:         0
        .size:           8
        .value_kind:     global_buffer
      - .offset:         8
        .size:           4
        .value_kind:     by_value
      - .offset:         12
        .size:           4
        .value_kind:     by_value
      - .offset:         16
        .size:           8
        .value_kind:     by_value
      - .address_space:  global
        .offset:         24
        .size:           8
        .value_kind:     global_buffer
      - .offset:         32
        .size:           4
        .value_kind:     by_value
      - .offset:         40
        .size:           8
        .value_kind:     by_value
      - .address_space:  global
        .offset:         48
        .size:           8
        .value_kind:     global_buffer
      - .offset:         56
        .size:           1
        .value_kind:     by_value
      - .offset:         57
        .size:           1
        .value_kind:     by_value
    .group_segment_fixed_size: 856
    .kernarg_segment_align: 8
    .kernarg_segment_size: 60
    .language:       OpenCL C
    .language_version:
      - 2
      - 0
    .max_flat_workgroup_size: 64
    .name:           _ZN9rocsolver6v33100L18getri_kernel_smallILi53E19rocblas_complex_numIfEPS3_EEvT1_iilPiilS6_bb
    .private_segment_fixed_size: 432
    .sgpr_count:     25
    .sgpr_spill_count: 0
    .symbol:         _ZN9rocsolver6v33100L18getri_kernel_smallILi53E19rocblas_complex_numIfEPS3_EEvT1_iilPiilS6_bb.kd
    .uniform_work_group_size: 1
    .uses_dynamic_stack: false
    .vgpr_count:     250
    .vgpr_spill_count: 0
    .wavefront_size: 32
    .workgroup_processor_mode: 1
  - .args:
      - .address_space:  global
        .offset:         0
        .size:           8
        .value_kind:     global_buffer
      - .offset:         8
        .size:           4
        .value_kind:     by_value
      - .offset:         12
        .size:           4
        .value_kind:     by_value
      - .offset:         16
        .size:           8
        .value_kind:     by_value
      - .address_space:  global
        .offset:         24
        .size:           8
        .value_kind:     global_buffer
      - .offset:         32
        .size:           4
        .value_kind:     by_value
      - .offset:         40
        .size:           8
        .value_kind:     by_value
      - .address_space:  global
        .offset:         48
        .size:           8
        .value_kind:     global_buffer
      - .offset:         56
        .size:           1
        .value_kind:     by_value
      - .offset:         57
        .size:           1
        .value_kind:     by_value
    .group_segment_fixed_size: 868
    .kernarg_segment_align: 8
    .kernarg_segment_size: 60
    .language:       OpenCL C
    .language_version:
      - 2
      - 0
    .max_flat_workgroup_size: 64
    .name:           _ZN9rocsolver6v33100L18getri_kernel_smallILi54E19rocblas_complex_numIfEPS3_EEvT1_iilPiilS6_bb
    .private_segment_fixed_size: 448
    .sgpr_count:     25
    .sgpr_spill_count: 0
    .symbol:         _ZN9rocsolver6v33100L18getri_kernel_smallILi54E19rocblas_complex_numIfEPS3_EEvT1_iilPiilS6_bb.kd
    .uniform_work_group_size: 1
    .uses_dynamic_stack: false
    .vgpr_count:     252
    .vgpr_spill_count: 0
    .wavefront_size: 32
    .workgroup_processor_mode: 1
  - .args:
      - .address_space:  global
        .offset:         0
        .size:           8
        .value_kind:     global_buffer
      - .offset:         8
        .size:           4
        .value_kind:     by_value
      - .offset:         12
        .size:           4
        .value_kind:     by_value
      - .offset:         16
        .size:           8
        .value_kind:     by_value
      - .address_space:  global
        .offset:         24
        .size:           8
        .value_kind:     global_buffer
      - .offset:         32
        .size:           4
        .value_kind:     by_value
      - .offset:         40
        .size:           8
        .value_kind:     by_value
      - .address_space:  global
        .offset:         48
        .size:           8
        .value_kind:     global_buffer
      - .offset:         56
        .size:           1
        .value_kind:     by_value
      - .offset:         57
        .size:           1
        .value_kind:     by_value
    .group_segment_fixed_size: 888
    .kernarg_segment_align: 8
    .kernarg_segment_size: 60
    .language:       OpenCL C
    .language_version:
      - 2
      - 0
    .max_flat_workgroup_size: 64
    .name:           _ZN9rocsolver6v33100L18getri_kernel_smallILi55E19rocblas_complex_numIfEPS3_EEvT1_iilPiilS6_bb
    .private_segment_fixed_size: 448
    .sgpr_count:     25
    .sgpr_spill_count: 0
    .symbol:         _ZN9rocsolver6v33100L18getri_kernel_smallILi55E19rocblas_complex_numIfEPS3_EEvT1_iilPiilS6_bb.kd
    .uniform_work_group_size: 1
    .uses_dynamic_stack: false
    .vgpr_count:     254
    .vgpr_spill_count: 0
    .wavefront_size: 32
    .workgroup_processor_mode: 1
  - .args:
      - .address_space:  global
        .offset:         0
        .size:           8
        .value_kind:     global_buffer
      - .offset:         8
        .size:           4
        .value_kind:     by_value
      - .offset:         12
        .size:           4
        .value_kind:     by_value
      - .offset:         16
        .size:           8
        .value_kind:     by_value
      - .address_space:  global
        .offset:         24
        .size:           8
        .value_kind:     global_buffer
      - .offset:         32
        .size:           4
        .value_kind:     by_value
      - .offset:         40
        .size:           8
        .value_kind:     by_value
      - .address_space:  global
        .offset:         48
        .size:           8
        .value_kind:     global_buffer
      - .offset:         56
        .size:           1
        .value_kind:     by_value
      - .offset:         57
        .size:           1
        .value_kind:     by_value
    .group_segment_fixed_size: 900
    .kernarg_segment_align: 8
    .kernarg_segment_size: 60
    .language:       OpenCL C
    .language_version:
      - 2
      - 0
    .max_flat_workgroup_size: 64
    .name:           _ZN9rocsolver6v33100L18getri_kernel_smallILi56E19rocblas_complex_numIfEPS3_EEvT1_iilPiilS6_bb
    .private_segment_fixed_size: 464
    .sgpr_count:     25
    .sgpr_spill_count: 0
    .symbol:         _ZN9rocsolver6v33100L18getri_kernel_smallILi56E19rocblas_complex_numIfEPS3_EEvT1_iilPiilS6_bb.kd
    .uniform_work_group_size: 1
    .uses_dynamic_stack: false
    .vgpr_count:     252
    .vgpr_spill_count: 0
    .wavefront_size: 32
    .workgroup_processor_mode: 1
  - .args:
      - .address_space:  global
        .offset:         0
        .size:           8
        .value_kind:     global_buffer
      - .offset:         8
        .size:           4
        .value_kind:     by_value
      - .offset:         12
        .size:           4
        .value_kind:     by_value
      - .offset:         16
        .size:           8
        .value_kind:     by_value
      - .address_space:  global
        .offset:         24
        .size:           8
        .value_kind:     global_buffer
      - .offset:         32
        .size:           4
        .value_kind:     by_value
      - .offset:         40
        .size:           8
        .value_kind:     by_value
      - .address_space:  global
        .offset:         48
        .size:           8
        .value_kind:     global_buffer
      - .offset:         56
        .size:           1
        .value_kind:     by_value
      - .offset:         57
        .size:           1
        .value_kind:     by_value
    .group_segment_fixed_size: 920
    .kernarg_segment_align: 8
    .kernarg_segment_size: 60
    .language:       OpenCL C
    .language_version:
      - 2
      - 0
    .max_flat_workgroup_size: 64
    .name:           _ZN9rocsolver6v33100L18getri_kernel_smallILi57E19rocblas_complex_numIfEPS3_EEvT1_iilPiilS6_bb
    .private_segment_fixed_size: 464
    .sgpr_count:     25
    .sgpr_spill_count: 0
    .symbol:         _ZN9rocsolver6v33100L18getri_kernel_smallILi57E19rocblas_complex_numIfEPS3_EEvT1_iilPiilS6_bb.kd
    .uniform_work_group_size: 1
    .uses_dynamic_stack: false
    .vgpr_count:     254
    .vgpr_spill_count: 0
    .wavefront_size: 32
    .workgroup_processor_mode: 1
  - .args:
      - .address_space:  global
        .offset:         0
        .size:           8
        .value_kind:     global_buffer
      - .offset:         8
        .size:           4
        .value_kind:     by_value
      - .offset:         12
        .size:           4
        .value_kind:     by_value
      - .offset:         16
        .size:           8
        .value_kind:     by_value
      - .address_space:  global
        .offset:         24
        .size:           8
        .value_kind:     global_buffer
      - .offset:         32
        .size:           4
        .value_kind:     by_value
      - .offset:         40
        .size:           8
        .value_kind:     by_value
      - .address_space:  global
        .offset:         48
        .size:           8
        .value_kind:     global_buffer
      - .offset:         56
        .size:           1
        .value_kind:     by_value
      - .offset:         57
        .size:           1
        .value_kind:     by_value
    .group_segment_fixed_size: 932
    .kernarg_segment_align: 8
    .kernarg_segment_size: 60
    .language:       OpenCL C
    .language_version:
      - 2
      - 0
    .max_flat_workgroup_size: 64
    .name:           _ZN9rocsolver6v33100L18getri_kernel_smallILi58E19rocblas_complex_numIfEPS3_EEvT1_iilPiilS6_bb
    .private_segment_fixed_size: 480
    .sgpr_count:     25
    .sgpr_spill_count: 0
    .symbol:         _ZN9rocsolver6v33100L18getri_kernel_smallILi58E19rocblas_complex_numIfEPS3_EEvT1_iilPiilS6_bb.kd
    .uniform_work_group_size: 1
    .uses_dynamic_stack: false
    .vgpr_count:     250
    .vgpr_spill_count: 0
    .wavefront_size: 32
    .workgroup_processor_mode: 1
  - .args:
      - .address_space:  global
        .offset:         0
        .size:           8
        .value_kind:     global_buffer
      - .offset:         8
        .size:           4
        .value_kind:     by_value
      - .offset:         12
        .size:           4
        .value_kind:     by_value
      - .offset:         16
        .size:           8
        .value_kind:     by_value
      - .address_space:  global
        .offset:         24
        .size:           8
        .value_kind:     global_buffer
      - .offset:         32
        .size:           4
        .value_kind:     by_value
      - .offset:         40
        .size:           8
        .value_kind:     by_value
      - .address_space:  global
        .offset:         48
        .size:           8
        .value_kind:     global_buffer
      - .offset:         56
        .size:           1
        .value_kind:     by_value
      - .offset:         57
        .size:           1
        .value_kind:     by_value
    .group_segment_fixed_size: 952
    .kernarg_segment_align: 8
    .kernarg_segment_size: 60
    .language:       OpenCL C
    .language_version:
      - 2
      - 0
    .max_flat_workgroup_size: 64
    .name:           _ZN9rocsolver6v33100L18getri_kernel_smallILi59E19rocblas_complex_numIfEPS3_EEvT1_iilPiilS6_bb
    .private_segment_fixed_size: 480
    .sgpr_count:     25
    .sgpr_spill_count: 0
    .symbol:         _ZN9rocsolver6v33100L18getri_kernel_smallILi59E19rocblas_complex_numIfEPS3_EEvT1_iilPiilS6_bb.kd
    .uniform_work_group_size: 1
    .uses_dynamic_stack: false
    .vgpr_count:     252
    .vgpr_spill_count: 0
    .wavefront_size: 32
    .workgroup_processor_mode: 1
  - .args:
      - .address_space:  global
        .offset:         0
        .size:           8
        .value_kind:     global_buffer
      - .offset:         8
        .size:           4
        .value_kind:     by_value
      - .offset:         12
        .size:           4
        .value_kind:     by_value
      - .offset:         16
        .size:           8
        .value_kind:     by_value
      - .address_space:  global
        .offset:         24
        .size:           8
        .value_kind:     global_buffer
      - .offset:         32
        .size:           4
        .value_kind:     by_value
      - .offset:         40
        .size:           8
        .value_kind:     by_value
      - .address_space:  global
        .offset:         48
        .size:           8
        .value_kind:     global_buffer
      - .offset:         56
        .size:           1
        .value_kind:     by_value
      - .offset:         57
        .size:           1
        .value_kind:     by_value
    .group_segment_fixed_size: 964
    .kernarg_segment_align: 8
    .kernarg_segment_size: 60
    .language:       OpenCL C
    .language_version:
      - 2
      - 0
    .max_flat_workgroup_size: 64
    .name:           _ZN9rocsolver6v33100L18getri_kernel_smallILi60E19rocblas_complex_numIfEPS3_EEvT1_iilPiilS6_bb
    .private_segment_fixed_size: 496
    .sgpr_count:     25
    .sgpr_spill_count: 0
    .symbol:         _ZN9rocsolver6v33100L18getri_kernel_smallILi60E19rocblas_complex_numIfEPS3_EEvT1_iilPiilS6_bb.kd
    .uniform_work_group_size: 1
    .uses_dynamic_stack: false
    .vgpr_count:     254
    .vgpr_spill_count: 0
    .wavefront_size: 32
    .workgroup_processor_mode: 1
  - .args:
      - .address_space:  global
        .offset:         0
        .size:           8
        .value_kind:     global_buffer
      - .offset:         8
        .size:           4
        .value_kind:     by_value
      - .offset:         12
        .size:           4
        .value_kind:     by_value
      - .offset:         16
        .size:           8
        .value_kind:     by_value
      - .address_space:  global
        .offset:         24
        .size:           8
        .value_kind:     global_buffer
      - .offset:         32
        .size:           4
        .value_kind:     by_value
      - .offset:         40
        .size:           8
        .value_kind:     by_value
      - .address_space:  global
        .offset:         48
        .size:           8
        .value_kind:     global_buffer
      - .offset:         56
        .size:           1
        .value_kind:     by_value
      - .offset:         57
        .size:           1
        .value_kind:     by_value
    .group_segment_fixed_size: 984
    .kernarg_segment_align: 8
    .kernarg_segment_size: 60
    .language:       OpenCL C
    .language_version:
      - 2
      - 0
    .max_flat_workgroup_size: 64
    .name:           _ZN9rocsolver6v33100L18getri_kernel_smallILi61E19rocblas_complex_numIfEPS3_EEvT1_iilPiilS6_bb
    .private_segment_fixed_size: 496
    .sgpr_count:     25
    .sgpr_spill_count: 0
    .symbol:         _ZN9rocsolver6v33100L18getri_kernel_smallILi61E19rocblas_complex_numIfEPS3_EEvT1_iilPiilS6_bb.kd
    .uniform_work_group_size: 1
    .uses_dynamic_stack: false
    .vgpr_count:     252
    .vgpr_spill_count: 0
    .wavefront_size: 32
    .workgroup_processor_mode: 1
  - .args:
      - .address_space:  global
        .offset:         0
        .size:           8
        .value_kind:     global_buffer
      - .offset:         8
        .size:           4
        .value_kind:     by_value
      - .offset:         12
        .size:           4
        .value_kind:     by_value
      - .offset:         16
        .size:           8
        .value_kind:     by_value
      - .address_space:  global
        .offset:         24
        .size:           8
        .value_kind:     global_buffer
      - .offset:         32
        .size:           4
        .value_kind:     by_value
      - .offset:         40
        .size:           8
        .value_kind:     by_value
      - .address_space:  global
        .offset:         48
        .size:           8
        .value_kind:     global_buffer
      - .offset:         56
        .size:           1
        .value_kind:     by_value
      - .offset:         57
        .size:           1
        .value_kind:     by_value
    .group_segment_fixed_size: 996
    .kernarg_segment_align: 8
    .kernarg_segment_size: 60
    .language:       OpenCL C
    .language_version:
      - 2
      - 0
    .max_flat_workgroup_size: 64
    .name:           _ZN9rocsolver6v33100L18getri_kernel_smallILi62E19rocblas_complex_numIfEPS3_EEvT1_iilPiilS6_bb
    .private_segment_fixed_size: 512
    .sgpr_count:     25
    .sgpr_spill_count: 0
    .symbol:         _ZN9rocsolver6v33100L18getri_kernel_smallILi62E19rocblas_complex_numIfEPS3_EEvT1_iilPiilS6_bb.kd
    .uniform_work_group_size: 1
    .uses_dynamic_stack: false
    .vgpr_count:     254
    .vgpr_spill_count: 0
    .wavefront_size: 32
    .workgroup_processor_mode: 1
  - .args:
      - .address_space:  global
        .offset:         0
        .size:           8
        .value_kind:     global_buffer
      - .offset:         8
        .size:           4
        .value_kind:     by_value
      - .offset:         12
        .size:           4
        .value_kind:     by_value
      - .offset:         16
        .size:           8
        .value_kind:     by_value
      - .address_space:  global
        .offset:         24
        .size:           8
        .value_kind:     global_buffer
      - .offset:         32
        .size:           4
        .value_kind:     by_value
      - .offset:         40
        .size:           8
        .value_kind:     by_value
      - .address_space:  global
        .offset:         48
        .size:           8
        .value_kind:     global_buffer
      - .offset:         56
        .size:           1
        .value_kind:     by_value
      - .offset:         57
        .size:           1
        .value_kind:     by_value
    .group_segment_fixed_size: 1016
    .kernarg_segment_align: 8
    .kernarg_segment_size: 60
    .language:       OpenCL C
    .language_version:
      - 2
      - 0
    .max_flat_workgroup_size: 64
    .name:           _ZN9rocsolver6v33100L18getri_kernel_smallILi63E19rocblas_complex_numIfEPS3_EEvT1_iilPiilS6_bb
    .private_segment_fixed_size: 512
    .sgpr_count:     25
    .sgpr_spill_count: 0
    .symbol:         _ZN9rocsolver6v33100L18getri_kernel_smallILi63E19rocblas_complex_numIfEPS3_EEvT1_iilPiilS6_bb.kd
    .uniform_work_group_size: 1
    .uses_dynamic_stack: false
    .vgpr_count:     253
    .vgpr_spill_count: 0
    .wavefront_size: 32
    .workgroup_processor_mode: 1
  - .args:
      - .address_space:  global
        .offset:         0
        .size:           8
        .value_kind:     global_buffer
      - .offset:         8
        .size:           4
        .value_kind:     by_value
      - .offset:         12
        .size:           4
        .value_kind:     by_value
      - .offset:         16
        .size:           8
        .value_kind:     by_value
      - .address_space:  global
        .offset:         24
        .size:           8
        .value_kind:     global_buffer
      - .offset:         32
        .size:           4
        .value_kind:     by_value
      - .offset:         40
        .size:           8
        .value_kind:     by_value
      - .address_space:  global
        .offset:         48
        .size:           8
        .value_kind:     global_buffer
      - .offset:         56
        .size:           1
        .value_kind:     by_value
      - .offset:         57
        .size:           1
        .value_kind:     by_value
    .group_segment_fixed_size: 1028
    .kernarg_segment_align: 8
    .kernarg_segment_size: 60
    .language:       OpenCL C
    .language_version:
      - 2
      - 0
    .max_flat_workgroup_size: 64
    .name:           _ZN9rocsolver6v33100L18getri_kernel_smallILi64E19rocblas_complex_numIfEPS3_EEvT1_iilPiilS6_bb
    .private_segment_fixed_size: 528
    .sgpr_count:     25
    .sgpr_spill_count: 0
    .symbol:         _ZN9rocsolver6v33100L18getri_kernel_smallILi64E19rocblas_complex_numIfEPS3_EEvT1_iilPiilS6_bb.kd
    .uniform_work_group_size: 1
    .uses_dynamic_stack: false
    .vgpr_count:     253
    .vgpr_spill_count: 0
    .wavefront_size: 32
    .workgroup_processor_mode: 1
  - .args:
      - .address_space:  global
        .offset:         0
        .size:           8
        .value_kind:     global_buffer
      - .offset:         8
        .size:           4
        .value_kind:     by_value
      - .offset:         12
        .size:           4
        .value_kind:     by_value
      - .offset:         16
        .size:           8
        .value_kind:     by_value
      - .address_space:  global
        .offset:         24
        .size:           8
        .value_kind:     global_buffer
      - .offset:         32
        .size:           4
        .value_kind:     by_value
      - .offset:         40
        .size:           8
        .value_kind:     by_value
      - .address_space:  global
        .offset:         48
        .size:           8
        .value_kind:     global_buffer
      - .offset:         56
        .size:           1
        .value_kind:     by_value
      - .offset:         57
        .size:           1
        .value_kind:     by_value
    .group_segment_fixed_size: 4
    .kernarg_segment_align: 8
    .kernarg_segment_size: 60
    .language:       OpenCL C
    .language_version:
      - 2
      - 0
    .max_flat_workgroup_size: 64
    .name:           _ZN9rocsolver6v33100L18getri_kernel_smallILi1E19rocblas_complex_numIfEPKPS3_EEvT1_iilPiilS8_bb
    .private_segment_fixed_size: 0
    .sgpr_count:     14
    .sgpr_spill_count: 0
    .symbol:         _ZN9rocsolver6v33100L18getri_kernel_smallILi1E19rocblas_complex_numIfEPKPS3_EEvT1_iilPiilS8_bb.kd
    .uniform_work_group_size: 1
    .uses_dynamic_stack: false
    .vgpr_count:     7
    .vgpr_spill_count: 0
    .wavefront_size: 32
    .workgroup_processor_mode: 1
  - .args:
      - .address_space:  global
        .offset:         0
        .size:           8
        .value_kind:     global_buffer
      - .offset:         8
        .size:           4
        .value_kind:     by_value
      - .offset:         12
        .size:           4
        .value_kind:     by_value
      - .offset:         16
        .size:           8
        .value_kind:     by_value
      - .address_space:  global
        .offset:         24
        .size:           8
        .value_kind:     global_buffer
      - .offset:         32
        .size:           4
        .value_kind:     by_value
      - .offset:         40
        .size:           8
        .value_kind:     by_value
      - .address_space:  global
        .offset:         48
        .size:           8
        .value_kind:     global_buffer
      - .offset:         56
        .size:           1
        .value_kind:     by_value
      - .offset:         57
        .size:           1
        .value_kind:     by_value
    .group_segment_fixed_size: 36
    .kernarg_segment_align: 8
    .kernarg_segment_size: 60
    .language:       OpenCL C
    .language_version:
      - 2
      - 0
    .max_flat_workgroup_size: 64
    .name:           _ZN9rocsolver6v33100L18getri_kernel_smallILi2E19rocblas_complex_numIfEPKPS3_EEvT1_iilPiilS8_bb
    .private_segment_fixed_size: 32
    .sgpr_count:     22
    .sgpr_spill_count: 0
    .symbol:         _ZN9rocsolver6v33100L18getri_kernel_smallILi2E19rocblas_complex_numIfEPKPS3_EEvT1_iilPiilS8_bb.kd
    .uniform_work_group_size: 1
    .uses_dynamic_stack: false
    .vgpr_count:     14
    .vgpr_spill_count: 0
    .wavefront_size: 32
    .workgroup_processor_mode: 1
  - .args:
      - .address_space:  global
        .offset:         0
        .size:           8
        .value_kind:     global_buffer
      - .offset:         8
        .size:           4
        .value_kind:     by_value
      - .offset:         12
        .size:           4
        .value_kind:     by_value
      - .offset:         16
        .size:           8
        .value_kind:     by_value
      - .address_space:  global
        .offset:         24
        .size:           8
        .value_kind:     global_buffer
      - .offset:         32
        .size:           4
        .value_kind:     by_value
      - .offset:         40
        .size:           8
        .value_kind:     by_value
      - .address_space:  global
        .offset:         48
        .size:           8
        .value_kind:     global_buffer
      - .offset:         56
        .size:           1
        .value_kind:     by_value
      - .offset:         57
        .size:           1
        .value_kind:     by_value
    .group_segment_fixed_size: 56
    .kernarg_segment_align: 8
    .kernarg_segment_size: 60
    .language:       OpenCL C
    .language_version:
      - 2
      - 0
    .max_flat_workgroup_size: 64
    .name:           _ZN9rocsolver6v33100L18getri_kernel_smallILi3E19rocblas_complex_numIfEPKPS3_EEvT1_iilPiilS8_bb
    .private_segment_fixed_size: 32
    .sgpr_count:     22
    .sgpr_spill_count: 0
    .symbol:         _ZN9rocsolver6v33100L18getri_kernel_smallILi3E19rocblas_complex_numIfEPKPS3_EEvT1_iilPiilS8_bb.kd
    .uniform_work_group_size: 1
    .uses_dynamic_stack: false
    .vgpr_count:     19
    .vgpr_spill_count: 0
    .wavefront_size: 32
    .workgroup_processor_mode: 1
  - .args:
      - .address_space:  global
        .offset:         0
        .size:           8
        .value_kind:     global_buffer
      - .offset:         8
        .size:           4
        .value_kind:     by_value
      - .offset:         12
        .size:           4
        .value_kind:     by_value
      - .offset:         16
        .size:           8
        .value_kind:     by_value
      - .address_space:  global
        .offset:         24
        .size:           8
        .value_kind:     global_buffer
      - .offset:         32
        .size:           4
        .value_kind:     by_value
      - .offset:         40
        .size:           8
        .value_kind:     by_value
      - .address_space:  global
        .offset:         48
        .size:           8
        .value_kind:     global_buffer
      - .offset:         56
        .size:           1
        .value_kind:     by_value
      - .offset:         57
        .size:           1
        .value_kind:     by_value
    .group_segment_fixed_size: 68
    .kernarg_segment_align: 8
    .kernarg_segment_size: 60
    .language:       OpenCL C
    .language_version:
      - 2
      - 0
    .max_flat_workgroup_size: 64
    .name:           _ZN9rocsolver6v33100L18getri_kernel_smallILi4E19rocblas_complex_numIfEPKPS3_EEvT1_iilPiilS8_bb
    .private_segment_fixed_size: 48
    .sgpr_count:     22
    .sgpr_spill_count: 0
    .symbol:         _ZN9rocsolver6v33100L18getri_kernel_smallILi4E19rocblas_complex_numIfEPKPS3_EEvT1_iilPiilS8_bb.kd
    .uniform_work_group_size: 1
    .uses_dynamic_stack: false
    .vgpr_count:     27
    .vgpr_spill_count: 0
    .wavefront_size: 32
    .workgroup_processor_mode: 1
  - .args:
      - .address_space:  global
        .offset:         0
        .size:           8
        .value_kind:     global_buffer
      - .offset:         8
        .size:           4
        .value_kind:     by_value
      - .offset:         12
        .size:           4
        .value_kind:     by_value
      - .offset:         16
        .size:           8
        .value_kind:     by_value
      - .address_space:  global
        .offset:         24
        .size:           8
        .value_kind:     global_buffer
      - .offset:         32
        .size:           4
        .value_kind:     by_value
      - .offset:         40
        .size:           8
        .value_kind:     by_value
      - .address_space:  global
        .offset:         48
        .size:           8
        .value_kind:     global_buffer
      - .offset:         56
        .size:           1
        .value_kind:     by_value
      - .offset:         57
        .size:           1
        .value_kind:     by_value
    .group_segment_fixed_size: 88
    .kernarg_segment_align: 8
    .kernarg_segment_size: 60
    .language:       OpenCL C
    .language_version:
      - 2
      - 0
    .max_flat_workgroup_size: 64
    .name:           _ZN9rocsolver6v33100L18getri_kernel_smallILi5E19rocblas_complex_numIfEPKPS3_EEvT1_iilPiilS8_bb
    .private_segment_fixed_size: 48
    .sgpr_count:     22
    .sgpr_spill_count: 0
    .symbol:         _ZN9rocsolver6v33100L18getri_kernel_smallILi5E19rocblas_complex_numIfEPKPS3_EEvT1_iilPiilS8_bb.kd
    .uniform_work_group_size: 1
    .uses_dynamic_stack: false
    .vgpr_count:     32
    .vgpr_spill_count: 0
    .wavefront_size: 32
    .workgroup_processor_mode: 1
  - .args:
      - .address_space:  global
        .offset:         0
        .size:           8
        .value_kind:     global_buffer
      - .offset:         8
        .size:           4
        .value_kind:     by_value
      - .offset:         12
        .size:           4
        .value_kind:     by_value
      - .offset:         16
        .size:           8
        .value_kind:     by_value
      - .address_space:  global
        .offset:         24
        .size:           8
        .value_kind:     global_buffer
      - .offset:         32
        .size:           4
        .value_kind:     by_value
      - .offset:         40
        .size:           8
        .value_kind:     by_value
      - .address_space:  global
        .offset:         48
        .size:           8
        .value_kind:     global_buffer
      - .offset:         56
        .size:           1
        .value_kind:     by_value
      - .offset:         57
        .size:           1
        .value_kind:     by_value
    .group_segment_fixed_size: 100
    .kernarg_segment_align: 8
    .kernarg_segment_size: 60
    .language:       OpenCL C
    .language_version:
      - 2
      - 0
    .max_flat_workgroup_size: 64
    .name:           _ZN9rocsolver6v33100L18getri_kernel_smallILi6E19rocblas_complex_numIfEPKPS3_EEvT1_iilPiilS8_bb
    .private_segment_fixed_size: 64
    .sgpr_count:     22
    .sgpr_spill_count: 0
    .symbol:         _ZN9rocsolver6v33100L18getri_kernel_smallILi6E19rocblas_complex_numIfEPKPS3_EEvT1_iilPiilS8_bb.kd
    .uniform_work_group_size: 1
    .uses_dynamic_stack: false
    .vgpr_count:     40
    .vgpr_spill_count: 0
    .wavefront_size: 32
    .workgroup_processor_mode: 1
  - .args:
      - .address_space:  global
        .offset:         0
        .size:           8
        .value_kind:     global_buffer
      - .offset:         8
        .size:           4
        .value_kind:     by_value
      - .offset:         12
        .size:           4
        .value_kind:     by_value
      - .offset:         16
        .size:           8
        .value_kind:     by_value
      - .address_space:  global
        .offset:         24
        .size:           8
        .value_kind:     global_buffer
      - .offset:         32
        .size:           4
        .value_kind:     by_value
      - .offset:         40
        .size:           8
        .value_kind:     by_value
      - .address_space:  global
        .offset:         48
        .size:           8
        .value_kind:     global_buffer
      - .offset:         56
        .size:           1
        .value_kind:     by_value
      - .offset:         57
        .size:           1
        .value_kind:     by_value
    .group_segment_fixed_size: 120
    .kernarg_segment_align: 8
    .kernarg_segment_size: 60
    .language:       OpenCL C
    .language_version:
      - 2
      - 0
    .max_flat_workgroup_size: 64
    .name:           _ZN9rocsolver6v33100L18getri_kernel_smallILi7E19rocblas_complex_numIfEPKPS3_EEvT1_iilPiilS8_bb
    .private_segment_fixed_size: 64
    .sgpr_count:     22
    .sgpr_spill_count: 0
    .symbol:         _ZN9rocsolver6v33100L18getri_kernel_smallILi7E19rocblas_complex_numIfEPKPS3_EEvT1_iilPiilS8_bb.kd
    .uniform_work_group_size: 1
    .uses_dynamic_stack: false
    .vgpr_count:     46
    .vgpr_spill_count: 0
    .wavefront_size: 32
    .workgroup_processor_mode: 1
  - .args:
      - .address_space:  global
        .offset:         0
        .size:           8
        .value_kind:     global_buffer
      - .offset:         8
        .size:           4
        .value_kind:     by_value
      - .offset:         12
        .size:           4
        .value_kind:     by_value
      - .offset:         16
        .size:           8
        .value_kind:     by_value
      - .address_space:  global
        .offset:         24
        .size:           8
        .value_kind:     global_buffer
      - .offset:         32
        .size:           4
        .value_kind:     by_value
      - .offset:         40
        .size:           8
        .value_kind:     by_value
      - .address_space:  global
        .offset:         48
        .size:           8
        .value_kind:     global_buffer
      - .offset:         56
        .size:           1
        .value_kind:     by_value
      - .offset:         57
        .size:           1
        .value_kind:     by_value
    .group_segment_fixed_size: 132
    .kernarg_segment_align: 8
    .kernarg_segment_size: 60
    .language:       OpenCL C
    .language_version:
      - 2
      - 0
    .max_flat_workgroup_size: 64
    .name:           _ZN9rocsolver6v33100L18getri_kernel_smallILi8E19rocblas_complex_numIfEPKPS3_EEvT1_iilPiilS8_bb
    .private_segment_fixed_size: 80
    .sgpr_count:     22
    .sgpr_spill_count: 0
    .symbol:         _ZN9rocsolver6v33100L18getri_kernel_smallILi8E19rocblas_complex_numIfEPKPS3_EEvT1_iilPiilS8_bb.kd
    .uniform_work_group_size: 1
    .uses_dynamic_stack: false
    .vgpr_count:     54
    .vgpr_spill_count: 0
    .wavefront_size: 32
    .workgroup_processor_mode: 1
  - .args:
      - .address_space:  global
        .offset:         0
        .size:           8
        .value_kind:     global_buffer
      - .offset:         8
        .size:           4
        .value_kind:     by_value
      - .offset:         12
        .size:           4
        .value_kind:     by_value
      - .offset:         16
        .size:           8
        .value_kind:     by_value
      - .address_space:  global
        .offset:         24
        .size:           8
        .value_kind:     global_buffer
      - .offset:         32
        .size:           4
        .value_kind:     by_value
      - .offset:         40
        .size:           8
        .value_kind:     by_value
      - .address_space:  global
        .offset:         48
        .size:           8
        .value_kind:     global_buffer
      - .offset:         56
        .size:           1
        .value_kind:     by_value
      - .offset:         57
        .size:           1
        .value_kind:     by_value
    .group_segment_fixed_size: 152
    .kernarg_segment_align: 8
    .kernarg_segment_size: 60
    .language:       OpenCL C
    .language_version:
      - 2
      - 0
    .max_flat_workgroup_size: 64
    .name:           _ZN9rocsolver6v33100L18getri_kernel_smallILi9E19rocblas_complex_numIfEPKPS3_EEvT1_iilPiilS8_bb
    .private_segment_fixed_size: 80
    .sgpr_count:     22
    .sgpr_spill_count: 0
    .symbol:         _ZN9rocsolver6v33100L18getri_kernel_smallILi9E19rocblas_complex_numIfEPKPS3_EEvT1_iilPiilS8_bb.kd
    .uniform_work_group_size: 1
    .uses_dynamic_stack: false
    .vgpr_count:     60
    .vgpr_spill_count: 0
    .wavefront_size: 32
    .workgroup_processor_mode: 1
  - .args:
      - .address_space:  global
        .offset:         0
        .size:           8
        .value_kind:     global_buffer
      - .offset:         8
        .size:           4
        .value_kind:     by_value
      - .offset:         12
        .size:           4
        .value_kind:     by_value
      - .offset:         16
        .size:           8
        .value_kind:     by_value
      - .address_space:  global
        .offset:         24
        .size:           8
        .value_kind:     global_buffer
      - .offset:         32
        .size:           4
        .value_kind:     by_value
      - .offset:         40
        .size:           8
        .value_kind:     by_value
      - .address_space:  global
        .offset:         48
        .size:           8
        .value_kind:     global_buffer
      - .offset:         56
        .size:           1
        .value_kind:     by_value
      - .offset:         57
        .size:           1
        .value_kind:     by_value
    .group_segment_fixed_size: 164
    .kernarg_segment_align: 8
    .kernarg_segment_size: 60
    .language:       OpenCL C
    .language_version:
      - 2
      - 0
    .max_flat_workgroup_size: 64
    .name:           _ZN9rocsolver6v33100L18getri_kernel_smallILi10E19rocblas_complex_numIfEPKPS3_EEvT1_iilPiilS8_bb
    .private_segment_fixed_size: 96
    .sgpr_count:     22
    .sgpr_spill_count: 0
    .symbol:         _ZN9rocsolver6v33100L18getri_kernel_smallILi10E19rocblas_complex_numIfEPKPS3_EEvT1_iilPiilS8_bb.kd
    .uniform_work_group_size: 1
    .uses_dynamic_stack: false
    .vgpr_count:     68
    .vgpr_spill_count: 0
    .wavefront_size: 32
    .workgroup_processor_mode: 1
  - .args:
      - .address_space:  global
        .offset:         0
        .size:           8
        .value_kind:     global_buffer
      - .offset:         8
        .size:           4
        .value_kind:     by_value
      - .offset:         12
        .size:           4
        .value_kind:     by_value
      - .offset:         16
        .size:           8
        .value_kind:     by_value
      - .address_space:  global
        .offset:         24
        .size:           8
        .value_kind:     global_buffer
      - .offset:         32
        .size:           4
        .value_kind:     by_value
      - .offset:         40
        .size:           8
        .value_kind:     by_value
      - .address_space:  global
        .offset:         48
        .size:           8
        .value_kind:     global_buffer
      - .offset:         56
        .size:           1
        .value_kind:     by_value
      - .offset:         57
        .size:           1
        .value_kind:     by_value
    .group_segment_fixed_size: 184
    .kernarg_segment_align: 8
    .kernarg_segment_size: 60
    .language:       OpenCL C
    .language_version:
      - 2
      - 0
    .max_flat_workgroup_size: 64
    .name:           _ZN9rocsolver6v33100L18getri_kernel_smallILi11E19rocblas_complex_numIfEPKPS3_EEvT1_iilPiilS8_bb
    .private_segment_fixed_size: 96
    .sgpr_count:     22
    .sgpr_spill_count: 0
    .symbol:         _ZN9rocsolver6v33100L18getri_kernel_smallILi11E19rocblas_complex_numIfEPKPS3_EEvT1_iilPiilS8_bb.kd
    .uniform_work_group_size: 1
    .uses_dynamic_stack: false
    .vgpr_count:     74
    .vgpr_spill_count: 0
    .wavefront_size: 32
    .workgroup_processor_mode: 1
  - .args:
      - .address_space:  global
        .offset:         0
        .size:           8
        .value_kind:     global_buffer
      - .offset:         8
        .size:           4
        .value_kind:     by_value
      - .offset:         12
        .size:           4
        .value_kind:     by_value
      - .offset:         16
        .size:           8
        .value_kind:     by_value
      - .address_space:  global
        .offset:         24
        .size:           8
        .value_kind:     global_buffer
      - .offset:         32
        .size:           4
        .value_kind:     by_value
      - .offset:         40
        .size:           8
        .value_kind:     by_value
      - .address_space:  global
        .offset:         48
        .size:           8
        .value_kind:     global_buffer
      - .offset:         56
        .size:           1
        .value_kind:     by_value
      - .offset:         57
        .size:           1
        .value_kind:     by_value
    .group_segment_fixed_size: 196
    .kernarg_segment_align: 8
    .kernarg_segment_size: 60
    .language:       OpenCL C
    .language_version:
      - 2
      - 0
    .max_flat_workgroup_size: 64
    .name:           _ZN9rocsolver6v33100L18getri_kernel_smallILi12E19rocblas_complex_numIfEPKPS3_EEvT1_iilPiilS8_bb
    .private_segment_fixed_size: 112
    .sgpr_count:     22
    .sgpr_spill_count: 0
    .symbol:         _ZN9rocsolver6v33100L18getri_kernel_smallILi12E19rocblas_complex_numIfEPKPS3_EEvT1_iilPiilS8_bb.kd
    .uniform_work_group_size: 1
    .uses_dynamic_stack: false
    .vgpr_count:     82
    .vgpr_spill_count: 0
    .wavefront_size: 32
    .workgroup_processor_mode: 1
  - .args:
      - .address_space:  global
        .offset:         0
        .size:           8
        .value_kind:     global_buffer
      - .offset:         8
        .size:           4
        .value_kind:     by_value
      - .offset:         12
        .size:           4
        .value_kind:     by_value
      - .offset:         16
        .size:           8
        .value_kind:     by_value
      - .address_space:  global
        .offset:         24
        .size:           8
        .value_kind:     global_buffer
      - .offset:         32
        .size:           4
        .value_kind:     by_value
      - .offset:         40
        .size:           8
        .value_kind:     by_value
      - .address_space:  global
        .offset:         48
        .size:           8
        .value_kind:     global_buffer
      - .offset:         56
        .size:           1
        .value_kind:     by_value
      - .offset:         57
        .size:           1
        .value_kind:     by_value
    .group_segment_fixed_size: 216
    .kernarg_segment_align: 8
    .kernarg_segment_size: 60
    .language:       OpenCL C
    .language_version:
      - 2
      - 0
    .max_flat_workgroup_size: 64
    .name:           _ZN9rocsolver6v33100L18getri_kernel_smallILi13E19rocblas_complex_numIfEPKPS3_EEvT1_iilPiilS8_bb
    .private_segment_fixed_size: 112
    .sgpr_count:     22
    .sgpr_spill_count: 0
    .symbol:         _ZN9rocsolver6v33100L18getri_kernel_smallILi13E19rocblas_complex_numIfEPKPS3_EEvT1_iilPiilS8_bb.kd
    .uniform_work_group_size: 1
    .uses_dynamic_stack: false
    .vgpr_count:     88
    .vgpr_spill_count: 0
    .wavefront_size: 32
    .workgroup_processor_mode: 1
  - .args:
      - .address_space:  global
        .offset:         0
        .size:           8
        .value_kind:     global_buffer
      - .offset:         8
        .size:           4
        .value_kind:     by_value
      - .offset:         12
        .size:           4
        .value_kind:     by_value
      - .offset:         16
        .size:           8
        .value_kind:     by_value
      - .address_space:  global
        .offset:         24
        .size:           8
        .value_kind:     global_buffer
      - .offset:         32
        .size:           4
        .value_kind:     by_value
      - .offset:         40
        .size:           8
        .value_kind:     by_value
      - .address_space:  global
        .offset:         48
        .size:           8
        .value_kind:     global_buffer
      - .offset:         56
        .size:           1
        .value_kind:     by_value
      - .offset:         57
        .size:           1
        .value_kind:     by_value
    .group_segment_fixed_size: 228
    .kernarg_segment_align: 8
    .kernarg_segment_size: 60
    .language:       OpenCL C
    .language_version:
      - 2
      - 0
    .max_flat_workgroup_size: 64
    .name:           _ZN9rocsolver6v33100L18getri_kernel_smallILi14E19rocblas_complex_numIfEPKPS3_EEvT1_iilPiilS8_bb
    .private_segment_fixed_size: 128
    .sgpr_count:     22
    .sgpr_spill_count: 0
    .symbol:         _ZN9rocsolver6v33100L18getri_kernel_smallILi14E19rocblas_complex_numIfEPKPS3_EEvT1_iilPiilS8_bb.kd
    .uniform_work_group_size: 1
    .uses_dynamic_stack: false
    .vgpr_count:     96
    .vgpr_spill_count: 0
    .wavefront_size: 32
    .workgroup_processor_mode: 1
  - .args:
      - .address_space:  global
        .offset:         0
        .size:           8
        .value_kind:     global_buffer
      - .offset:         8
        .size:           4
        .value_kind:     by_value
      - .offset:         12
        .size:           4
        .value_kind:     by_value
      - .offset:         16
        .size:           8
        .value_kind:     by_value
      - .address_space:  global
        .offset:         24
        .size:           8
        .value_kind:     global_buffer
      - .offset:         32
        .size:           4
        .value_kind:     by_value
      - .offset:         40
        .size:           8
        .value_kind:     by_value
      - .address_space:  global
        .offset:         48
        .size:           8
        .value_kind:     global_buffer
      - .offset:         56
        .size:           1
        .value_kind:     by_value
      - .offset:         57
        .size:           1
        .value_kind:     by_value
    .group_segment_fixed_size: 248
    .kernarg_segment_align: 8
    .kernarg_segment_size: 60
    .language:       OpenCL C
    .language_version:
      - 2
      - 0
    .max_flat_workgroup_size: 64
    .name:           _ZN9rocsolver6v33100L18getri_kernel_smallILi15E19rocblas_complex_numIfEPKPS3_EEvT1_iilPiilS8_bb
    .private_segment_fixed_size: 128
    .sgpr_count:     22
    .sgpr_spill_count: 0
    .symbol:         _ZN9rocsolver6v33100L18getri_kernel_smallILi15E19rocblas_complex_numIfEPKPS3_EEvT1_iilPiilS8_bb.kd
    .uniform_work_group_size: 1
    .uses_dynamic_stack: false
    .vgpr_count:     102
    .vgpr_spill_count: 0
    .wavefront_size: 32
    .workgroup_processor_mode: 1
  - .args:
      - .address_space:  global
        .offset:         0
        .size:           8
        .value_kind:     global_buffer
      - .offset:         8
        .size:           4
        .value_kind:     by_value
      - .offset:         12
        .size:           4
        .value_kind:     by_value
      - .offset:         16
        .size:           8
        .value_kind:     by_value
      - .address_space:  global
        .offset:         24
        .size:           8
        .value_kind:     global_buffer
      - .offset:         32
        .size:           4
        .value_kind:     by_value
      - .offset:         40
        .size:           8
        .value_kind:     by_value
      - .address_space:  global
        .offset:         48
        .size:           8
        .value_kind:     global_buffer
      - .offset:         56
        .size:           1
        .value_kind:     by_value
      - .offset:         57
        .size:           1
        .value_kind:     by_value
    .group_segment_fixed_size: 260
    .kernarg_segment_align: 8
    .kernarg_segment_size: 60
    .language:       OpenCL C
    .language_version:
      - 2
      - 0
    .max_flat_workgroup_size: 64
    .name:           _ZN9rocsolver6v33100L18getri_kernel_smallILi16E19rocblas_complex_numIfEPKPS3_EEvT1_iilPiilS8_bb
    .private_segment_fixed_size: 144
    .sgpr_count:     22
    .sgpr_spill_count: 0
    .symbol:         _ZN9rocsolver6v33100L18getri_kernel_smallILi16E19rocblas_complex_numIfEPKPS3_EEvT1_iilPiilS8_bb.kd
    .uniform_work_group_size: 1
    .uses_dynamic_stack: false
    .vgpr_count:     110
    .vgpr_spill_count: 0
    .wavefront_size: 32
    .workgroup_processor_mode: 1
  - .args:
      - .address_space:  global
        .offset:         0
        .size:           8
        .value_kind:     global_buffer
      - .offset:         8
        .size:           4
        .value_kind:     by_value
      - .offset:         12
        .size:           4
        .value_kind:     by_value
      - .offset:         16
        .size:           8
        .value_kind:     by_value
      - .address_space:  global
        .offset:         24
        .size:           8
        .value_kind:     global_buffer
      - .offset:         32
        .size:           4
        .value_kind:     by_value
      - .offset:         40
        .size:           8
        .value_kind:     by_value
      - .address_space:  global
        .offset:         48
        .size:           8
        .value_kind:     global_buffer
      - .offset:         56
        .size:           1
        .value_kind:     by_value
      - .offset:         57
        .size:           1
        .value_kind:     by_value
    .group_segment_fixed_size: 280
    .kernarg_segment_align: 8
    .kernarg_segment_size: 60
    .language:       OpenCL C
    .language_version:
      - 2
      - 0
    .max_flat_workgroup_size: 64
    .name:           _ZN9rocsolver6v33100L18getri_kernel_smallILi17E19rocblas_complex_numIfEPKPS3_EEvT1_iilPiilS8_bb
    .private_segment_fixed_size: 144
    .sgpr_count:     22
    .sgpr_spill_count: 0
    .symbol:         _ZN9rocsolver6v33100L18getri_kernel_smallILi17E19rocblas_complex_numIfEPKPS3_EEvT1_iilPiilS8_bb.kd
    .uniform_work_group_size: 1
    .uses_dynamic_stack: false
    .vgpr_count:     116
    .vgpr_spill_count: 0
    .wavefront_size: 32
    .workgroup_processor_mode: 1
  - .args:
      - .address_space:  global
        .offset:         0
        .size:           8
        .value_kind:     global_buffer
      - .offset:         8
        .size:           4
        .value_kind:     by_value
      - .offset:         12
        .size:           4
        .value_kind:     by_value
      - .offset:         16
        .size:           8
        .value_kind:     by_value
      - .address_space:  global
        .offset:         24
        .size:           8
        .value_kind:     global_buffer
      - .offset:         32
        .size:           4
        .value_kind:     by_value
      - .offset:         40
        .size:           8
        .value_kind:     by_value
      - .address_space:  global
        .offset:         48
        .size:           8
        .value_kind:     global_buffer
      - .offset:         56
        .size:           1
        .value_kind:     by_value
      - .offset:         57
        .size:           1
        .value_kind:     by_value
    .group_segment_fixed_size: 292
    .kernarg_segment_align: 8
    .kernarg_segment_size: 60
    .language:       OpenCL C
    .language_version:
      - 2
      - 0
    .max_flat_workgroup_size: 64
    .name:           _ZN9rocsolver6v33100L18getri_kernel_smallILi18E19rocblas_complex_numIfEPKPS3_EEvT1_iilPiilS8_bb
    .private_segment_fixed_size: 160
    .sgpr_count:     22
    .sgpr_spill_count: 0
    .symbol:         _ZN9rocsolver6v33100L18getri_kernel_smallILi18E19rocblas_complex_numIfEPKPS3_EEvT1_iilPiilS8_bb.kd
    .uniform_work_group_size: 1
    .uses_dynamic_stack: false
    .vgpr_count:     124
    .vgpr_spill_count: 0
    .wavefront_size: 32
    .workgroup_processor_mode: 1
  - .args:
      - .address_space:  global
        .offset:         0
        .size:           8
        .value_kind:     global_buffer
      - .offset:         8
        .size:           4
        .value_kind:     by_value
      - .offset:         12
        .size:           4
        .value_kind:     by_value
      - .offset:         16
        .size:           8
        .value_kind:     by_value
      - .address_space:  global
        .offset:         24
        .size:           8
        .value_kind:     global_buffer
      - .offset:         32
        .size:           4
        .value_kind:     by_value
      - .offset:         40
        .size:           8
        .value_kind:     by_value
      - .address_space:  global
        .offset:         48
        .size:           8
        .value_kind:     global_buffer
      - .offset:         56
        .size:           1
        .value_kind:     by_value
      - .offset:         57
        .size:           1
        .value_kind:     by_value
    .group_segment_fixed_size: 312
    .kernarg_segment_align: 8
    .kernarg_segment_size: 60
    .language:       OpenCL C
    .language_version:
      - 2
      - 0
    .max_flat_workgroup_size: 64
    .name:           _ZN9rocsolver6v33100L18getri_kernel_smallILi19E19rocblas_complex_numIfEPKPS3_EEvT1_iilPiilS8_bb
    .private_segment_fixed_size: 160
    .sgpr_count:     22
    .sgpr_spill_count: 0
    .symbol:         _ZN9rocsolver6v33100L18getri_kernel_smallILi19E19rocblas_complex_numIfEPKPS3_EEvT1_iilPiilS8_bb.kd
    .uniform_work_group_size: 1
    .uses_dynamic_stack: false
    .vgpr_count:     130
    .vgpr_spill_count: 0
    .wavefront_size: 32
    .workgroup_processor_mode: 1
  - .args:
      - .address_space:  global
        .offset:         0
        .size:           8
        .value_kind:     global_buffer
      - .offset:         8
        .size:           4
        .value_kind:     by_value
      - .offset:         12
        .size:           4
        .value_kind:     by_value
      - .offset:         16
        .size:           8
        .value_kind:     by_value
      - .address_space:  global
        .offset:         24
        .size:           8
        .value_kind:     global_buffer
      - .offset:         32
        .size:           4
        .value_kind:     by_value
      - .offset:         40
        .size:           8
        .value_kind:     by_value
      - .address_space:  global
        .offset:         48
        .size:           8
        .value_kind:     global_buffer
      - .offset:         56
        .size:           1
        .value_kind:     by_value
      - .offset:         57
        .size:           1
        .value_kind:     by_value
    .group_segment_fixed_size: 324
    .kernarg_segment_align: 8
    .kernarg_segment_size: 60
    .language:       OpenCL C
    .language_version:
      - 2
      - 0
    .max_flat_workgroup_size: 64
    .name:           _ZN9rocsolver6v33100L18getri_kernel_smallILi20E19rocblas_complex_numIfEPKPS3_EEvT1_iilPiilS8_bb
    .private_segment_fixed_size: 176
    .sgpr_count:     22
    .sgpr_spill_count: 0
    .symbol:         _ZN9rocsolver6v33100L18getri_kernel_smallILi20E19rocblas_complex_numIfEPKPS3_EEvT1_iilPiilS8_bb.kd
    .uniform_work_group_size: 1
    .uses_dynamic_stack: false
    .vgpr_count:     138
    .vgpr_spill_count: 0
    .wavefront_size: 32
    .workgroup_processor_mode: 1
  - .args:
      - .address_space:  global
        .offset:         0
        .size:           8
        .value_kind:     global_buffer
      - .offset:         8
        .size:           4
        .value_kind:     by_value
      - .offset:         12
        .size:           4
        .value_kind:     by_value
      - .offset:         16
        .size:           8
        .value_kind:     by_value
      - .address_space:  global
        .offset:         24
        .size:           8
        .value_kind:     global_buffer
      - .offset:         32
        .size:           4
        .value_kind:     by_value
      - .offset:         40
        .size:           8
        .value_kind:     by_value
      - .address_space:  global
        .offset:         48
        .size:           8
        .value_kind:     global_buffer
      - .offset:         56
        .size:           1
        .value_kind:     by_value
      - .offset:         57
        .size:           1
        .value_kind:     by_value
    .group_segment_fixed_size: 344
    .kernarg_segment_align: 8
    .kernarg_segment_size: 60
    .language:       OpenCL C
    .language_version:
      - 2
      - 0
    .max_flat_workgroup_size: 64
    .name:           _ZN9rocsolver6v33100L18getri_kernel_smallILi21E19rocblas_complex_numIfEPKPS3_EEvT1_iilPiilS8_bb
    .private_segment_fixed_size: 176
    .sgpr_count:     22
    .sgpr_spill_count: 0
    .symbol:         _ZN9rocsolver6v33100L18getri_kernel_smallILi21E19rocblas_complex_numIfEPKPS3_EEvT1_iilPiilS8_bb.kd
    .uniform_work_group_size: 1
    .uses_dynamic_stack: false
    .vgpr_count:     144
    .vgpr_spill_count: 0
    .wavefront_size: 32
    .workgroup_processor_mode: 1
  - .args:
      - .address_space:  global
        .offset:         0
        .size:           8
        .value_kind:     global_buffer
      - .offset:         8
        .size:           4
        .value_kind:     by_value
      - .offset:         12
        .size:           4
        .value_kind:     by_value
      - .offset:         16
        .size:           8
        .value_kind:     by_value
      - .address_space:  global
        .offset:         24
        .size:           8
        .value_kind:     global_buffer
      - .offset:         32
        .size:           4
        .value_kind:     by_value
      - .offset:         40
        .size:           8
        .value_kind:     by_value
      - .address_space:  global
        .offset:         48
        .size:           8
        .value_kind:     global_buffer
      - .offset:         56
        .size:           1
        .value_kind:     by_value
      - .offset:         57
        .size:           1
        .value_kind:     by_value
    .group_segment_fixed_size: 356
    .kernarg_segment_align: 8
    .kernarg_segment_size: 60
    .language:       OpenCL C
    .language_version:
      - 2
      - 0
    .max_flat_workgroup_size: 64
    .name:           _ZN9rocsolver6v33100L18getri_kernel_smallILi22E19rocblas_complex_numIfEPKPS3_EEvT1_iilPiilS8_bb
    .private_segment_fixed_size: 192
    .sgpr_count:     22
    .sgpr_spill_count: 0
    .symbol:         _ZN9rocsolver6v33100L18getri_kernel_smallILi22E19rocblas_complex_numIfEPKPS3_EEvT1_iilPiilS8_bb.kd
    .uniform_work_group_size: 1
    .uses_dynamic_stack: false
    .vgpr_count:     152
    .vgpr_spill_count: 0
    .wavefront_size: 32
    .workgroup_processor_mode: 1
  - .args:
      - .address_space:  global
        .offset:         0
        .size:           8
        .value_kind:     global_buffer
      - .offset:         8
        .size:           4
        .value_kind:     by_value
      - .offset:         12
        .size:           4
        .value_kind:     by_value
      - .offset:         16
        .size:           8
        .value_kind:     by_value
      - .address_space:  global
        .offset:         24
        .size:           8
        .value_kind:     global_buffer
      - .offset:         32
        .size:           4
        .value_kind:     by_value
      - .offset:         40
        .size:           8
        .value_kind:     by_value
      - .address_space:  global
        .offset:         48
        .size:           8
        .value_kind:     global_buffer
      - .offset:         56
        .size:           1
        .value_kind:     by_value
      - .offset:         57
        .size:           1
        .value_kind:     by_value
    .group_segment_fixed_size: 376
    .kernarg_segment_align: 8
    .kernarg_segment_size: 60
    .language:       OpenCL C
    .language_version:
      - 2
      - 0
    .max_flat_workgroup_size: 64
    .name:           _ZN9rocsolver6v33100L18getri_kernel_smallILi23E19rocblas_complex_numIfEPKPS3_EEvT1_iilPiilS8_bb
    .private_segment_fixed_size: 192
    .sgpr_count:     22
    .sgpr_spill_count: 0
    .symbol:         _ZN9rocsolver6v33100L18getri_kernel_smallILi23E19rocblas_complex_numIfEPKPS3_EEvT1_iilPiilS8_bb.kd
    .uniform_work_group_size: 1
    .uses_dynamic_stack: false
    .vgpr_count:     158
    .vgpr_spill_count: 0
    .wavefront_size: 32
    .workgroup_processor_mode: 1
  - .args:
      - .address_space:  global
        .offset:         0
        .size:           8
        .value_kind:     global_buffer
      - .offset:         8
        .size:           4
        .value_kind:     by_value
      - .offset:         12
        .size:           4
        .value_kind:     by_value
      - .offset:         16
        .size:           8
        .value_kind:     by_value
      - .address_space:  global
        .offset:         24
        .size:           8
        .value_kind:     global_buffer
      - .offset:         32
        .size:           4
        .value_kind:     by_value
      - .offset:         40
        .size:           8
        .value_kind:     by_value
      - .address_space:  global
        .offset:         48
        .size:           8
        .value_kind:     global_buffer
      - .offset:         56
        .size:           1
        .value_kind:     by_value
      - .offset:         57
        .size:           1
        .value_kind:     by_value
    .group_segment_fixed_size: 388
    .kernarg_segment_align: 8
    .kernarg_segment_size: 60
    .language:       OpenCL C
    .language_version:
      - 2
      - 0
    .max_flat_workgroup_size: 64
    .name:           _ZN9rocsolver6v33100L18getri_kernel_smallILi24E19rocblas_complex_numIfEPKPS3_EEvT1_iilPiilS8_bb
    .private_segment_fixed_size: 208
    .sgpr_count:     22
    .sgpr_spill_count: 0
    .symbol:         _ZN9rocsolver6v33100L18getri_kernel_smallILi24E19rocblas_complex_numIfEPKPS3_EEvT1_iilPiilS8_bb.kd
    .uniform_work_group_size: 1
    .uses_dynamic_stack: false
    .vgpr_count:     166
    .vgpr_spill_count: 0
    .wavefront_size: 32
    .workgroup_processor_mode: 1
  - .args:
      - .address_space:  global
        .offset:         0
        .size:           8
        .value_kind:     global_buffer
      - .offset:         8
        .size:           4
        .value_kind:     by_value
      - .offset:         12
        .size:           4
        .value_kind:     by_value
      - .offset:         16
        .size:           8
        .value_kind:     by_value
      - .address_space:  global
        .offset:         24
        .size:           8
        .value_kind:     global_buffer
      - .offset:         32
        .size:           4
        .value_kind:     by_value
      - .offset:         40
        .size:           8
        .value_kind:     by_value
      - .address_space:  global
        .offset:         48
        .size:           8
        .value_kind:     global_buffer
      - .offset:         56
        .size:           1
        .value_kind:     by_value
      - .offset:         57
        .size:           1
        .value_kind:     by_value
    .group_segment_fixed_size: 408
    .kernarg_segment_align: 8
    .kernarg_segment_size: 60
    .language:       OpenCL C
    .language_version:
      - 2
      - 0
    .max_flat_workgroup_size: 64
    .name:           _ZN9rocsolver6v33100L18getri_kernel_smallILi25E19rocblas_complex_numIfEPKPS3_EEvT1_iilPiilS8_bb
    .private_segment_fixed_size: 208
    .sgpr_count:     22
    .sgpr_spill_count: 0
    .symbol:         _ZN9rocsolver6v33100L18getri_kernel_smallILi25E19rocblas_complex_numIfEPKPS3_EEvT1_iilPiilS8_bb.kd
    .uniform_work_group_size: 1
    .uses_dynamic_stack: false
    .vgpr_count:     172
    .vgpr_spill_count: 0
    .wavefront_size: 32
    .workgroup_processor_mode: 1
  - .args:
      - .address_space:  global
        .offset:         0
        .size:           8
        .value_kind:     global_buffer
      - .offset:         8
        .size:           4
        .value_kind:     by_value
      - .offset:         12
        .size:           4
        .value_kind:     by_value
      - .offset:         16
        .size:           8
        .value_kind:     by_value
      - .address_space:  global
        .offset:         24
        .size:           8
        .value_kind:     global_buffer
      - .offset:         32
        .size:           4
        .value_kind:     by_value
      - .offset:         40
        .size:           8
        .value_kind:     by_value
      - .address_space:  global
        .offset:         48
        .size:           8
        .value_kind:     global_buffer
      - .offset:         56
        .size:           1
        .value_kind:     by_value
      - .offset:         57
        .size:           1
        .value_kind:     by_value
    .group_segment_fixed_size: 420
    .kernarg_segment_align: 8
    .kernarg_segment_size: 60
    .language:       OpenCL C
    .language_version:
      - 2
      - 0
    .max_flat_workgroup_size: 64
    .name:           _ZN9rocsolver6v33100L18getri_kernel_smallILi26E19rocblas_complex_numIfEPKPS3_EEvT1_iilPiilS8_bb
    .private_segment_fixed_size: 224
    .sgpr_count:     22
    .sgpr_spill_count: 0
    .symbol:         _ZN9rocsolver6v33100L18getri_kernel_smallILi26E19rocblas_complex_numIfEPKPS3_EEvT1_iilPiilS8_bb.kd
    .uniform_work_group_size: 1
    .uses_dynamic_stack: false
    .vgpr_count:     180
    .vgpr_spill_count: 0
    .wavefront_size: 32
    .workgroup_processor_mode: 1
  - .args:
      - .address_space:  global
        .offset:         0
        .size:           8
        .value_kind:     global_buffer
      - .offset:         8
        .size:           4
        .value_kind:     by_value
      - .offset:         12
        .size:           4
        .value_kind:     by_value
      - .offset:         16
        .size:           8
        .value_kind:     by_value
      - .address_space:  global
        .offset:         24
        .size:           8
        .value_kind:     global_buffer
      - .offset:         32
        .size:           4
        .value_kind:     by_value
      - .offset:         40
        .size:           8
        .value_kind:     by_value
      - .address_space:  global
        .offset:         48
        .size:           8
        .value_kind:     global_buffer
      - .offset:         56
        .size:           1
        .value_kind:     by_value
      - .offset:         57
        .size:           1
        .value_kind:     by_value
    .group_segment_fixed_size: 440
    .kernarg_segment_align: 8
    .kernarg_segment_size: 60
    .language:       OpenCL C
    .language_version:
      - 2
      - 0
    .max_flat_workgroup_size: 64
    .name:           _ZN9rocsolver6v33100L18getri_kernel_smallILi27E19rocblas_complex_numIfEPKPS3_EEvT1_iilPiilS8_bb
    .private_segment_fixed_size: 224
    .sgpr_count:     22
    .sgpr_spill_count: 0
    .symbol:         _ZN9rocsolver6v33100L18getri_kernel_smallILi27E19rocblas_complex_numIfEPKPS3_EEvT1_iilPiilS8_bb.kd
    .uniform_work_group_size: 1
    .uses_dynamic_stack: false
    .vgpr_count:     186
    .vgpr_spill_count: 0
    .wavefront_size: 32
    .workgroup_processor_mode: 1
  - .args:
      - .address_space:  global
        .offset:         0
        .size:           8
        .value_kind:     global_buffer
      - .offset:         8
        .size:           4
        .value_kind:     by_value
      - .offset:         12
        .size:           4
        .value_kind:     by_value
      - .offset:         16
        .size:           8
        .value_kind:     by_value
      - .address_space:  global
        .offset:         24
        .size:           8
        .value_kind:     global_buffer
      - .offset:         32
        .size:           4
        .value_kind:     by_value
      - .offset:         40
        .size:           8
        .value_kind:     by_value
      - .address_space:  global
        .offset:         48
        .size:           8
        .value_kind:     global_buffer
      - .offset:         56
        .size:           1
        .value_kind:     by_value
      - .offset:         57
        .size:           1
        .value_kind:     by_value
    .group_segment_fixed_size: 452
    .kernarg_segment_align: 8
    .kernarg_segment_size: 60
    .language:       OpenCL C
    .language_version:
      - 2
      - 0
    .max_flat_workgroup_size: 64
    .name:           _ZN9rocsolver6v33100L18getri_kernel_smallILi28E19rocblas_complex_numIfEPKPS3_EEvT1_iilPiilS8_bb
    .private_segment_fixed_size: 240
    .sgpr_count:     22
    .sgpr_spill_count: 0
    .symbol:         _ZN9rocsolver6v33100L18getri_kernel_smallILi28E19rocblas_complex_numIfEPKPS3_EEvT1_iilPiilS8_bb.kd
    .uniform_work_group_size: 1
    .uses_dynamic_stack: false
    .vgpr_count:     194
    .vgpr_spill_count: 0
    .wavefront_size: 32
    .workgroup_processor_mode: 1
  - .args:
      - .address_space:  global
        .offset:         0
        .size:           8
        .value_kind:     global_buffer
      - .offset:         8
        .size:           4
        .value_kind:     by_value
      - .offset:         12
        .size:           4
        .value_kind:     by_value
      - .offset:         16
        .size:           8
        .value_kind:     by_value
      - .address_space:  global
        .offset:         24
        .size:           8
        .value_kind:     global_buffer
      - .offset:         32
        .size:           4
        .value_kind:     by_value
      - .offset:         40
        .size:           8
        .value_kind:     by_value
      - .address_space:  global
        .offset:         48
        .size:           8
        .value_kind:     global_buffer
      - .offset:         56
        .size:           1
        .value_kind:     by_value
      - .offset:         57
        .size:           1
        .value_kind:     by_value
    .group_segment_fixed_size: 472
    .kernarg_segment_align: 8
    .kernarg_segment_size: 60
    .language:       OpenCL C
    .language_version:
      - 2
      - 0
    .max_flat_workgroup_size: 64
    .name:           _ZN9rocsolver6v33100L18getri_kernel_smallILi29E19rocblas_complex_numIfEPKPS3_EEvT1_iilPiilS8_bb
    .private_segment_fixed_size: 240
    .sgpr_count:     22
    .sgpr_spill_count: 0
    .symbol:         _ZN9rocsolver6v33100L18getri_kernel_smallILi29E19rocblas_complex_numIfEPKPS3_EEvT1_iilPiilS8_bb.kd
    .uniform_work_group_size: 1
    .uses_dynamic_stack: false
    .vgpr_count:     200
    .vgpr_spill_count: 0
    .wavefront_size: 32
    .workgroup_processor_mode: 1
  - .args:
      - .address_space:  global
        .offset:         0
        .size:           8
        .value_kind:     global_buffer
      - .offset:         8
        .size:           4
        .value_kind:     by_value
      - .offset:         12
        .size:           4
        .value_kind:     by_value
      - .offset:         16
        .size:           8
        .value_kind:     by_value
      - .address_space:  global
        .offset:         24
        .size:           8
        .value_kind:     global_buffer
      - .offset:         32
        .size:           4
        .value_kind:     by_value
      - .offset:         40
        .size:           8
        .value_kind:     by_value
      - .address_space:  global
        .offset:         48
        .size:           8
        .value_kind:     global_buffer
      - .offset:         56
        .size:           1
        .value_kind:     by_value
      - .offset:         57
        .size:           1
        .value_kind:     by_value
    .group_segment_fixed_size: 484
    .kernarg_segment_align: 8
    .kernarg_segment_size: 60
    .language:       OpenCL C
    .language_version:
      - 2
      - 0
    .max_flat_workgroup_size: 64
    .name:           _ZN9rocsolver6v33100L18getri_kernel_smallILi30E19rocblas_complex_numIfEPKPS3_EEvT1_iilPiilS8_bb
    .private_segment_fixed_size: 256
    .sgpr_count:     22
    .sgpr_spill_count: 0
    .symbol:         _ZN9rocsolver6v33100L18getri_kernel_smallILi30E19rocblas_complex_numIfEPKPS3_EEvT1_iilPiilS8_bb.kd
    .uniform_work_group_size: 1
    .uses_dynamic_stack: false
    .vgpr_count:     208
    .vgpr_spill_count: 0
    .wavefront_size: 32
    .workgroup_processor_mode: 1
  - .args:
      - .address_space:  global
        .offset:         0
        .size:           8
        .value_kind:     global_buffer
      - .offset:         8
        .size:           4
        .value_kind:     by_value
      - .offset:         12
        .size:           4
        .value_kind:     by_value
      - .offset:         16
        .size:           8
        .value_kind:     by_value
      - .address_space:  global
        .offset:         24
        .size:           8
        .value_kind:     global_buffer
      - .offset:         32
        .size:           4
        .value_kind:     by_value
      - .offset:         40
        .size:           8
        .value_kind:     by_value
      - .address_space:  global
        .offset:         48
        .size:           8
        .value_kind:     global_buffer
      - .offset:         56
        .size:           1
        .value_kind:     by_value
      - .offset:         57
        .size:           1
        .value_kind:     by_value
    .group_segment_fixed_size: 504
    .kernarg_segment_align: 8
    .kernarg_segment_size: 60
    .language:       OpenCL C
    .language_version:
      - 2
      - 0
    .max_flat_workgroup_size: 64
    .name:           _ZN9rocsolver6v33100L18getri_kernel_smallILi31E19rocblas_complex_numIfEPKPS3_EEvT1_iilPiilS8_bb
    .private_segment_fixed_size: 256
    .sgpr_count:     22
    .sgpr_spill_count: 0
    .symbol:         _ZN9rocsolver6v33100L18getri_kernel_smallILi31E19rocblas_complex_numIfEPKPS3_EEvT1_iilPiilS8_bb.kd
    .uniform_work_group_size: 1
    .uses_dynamic_stack: false
    .vgpr_count:     214
    .vgpr_spill_count: 0
    .wavefront_size: 32
    .workgroup_processor_mode: 1
  - .args:
      - .address_space:  global
        .offset:         0
        .size:           8
        .value_kind:     global_buffer
      - .offset:         8
        .size:           4
        .value_kind:     by_value
      - .offset:         12
        .size:           4
        .value_kind:     by_value
      - .offset:         16
        .size:           8
        .value_kind:     by_value
      - .address_space:  global
        .offset:         24
        .size:           8
        .value_kind:     global_buffer
      - .offset:         32
        .size:           4
        .value_kind:     by_value
      - .offset:         40
        .size:           8
        .value_kind:     by_value
      - .address_space:  global
        .offset:         48
        .size:           8
        .value_kind:     global_buffer
      - .offset:         56
        .size:           1
        .value_kind:     by_value
      - .offset:         57
        .size:           1
        .value_kind:     by_value
    .group_segment_fixed_size: 516
    .kernarg_segment_align: 8
    .kernarg_segment_size: 60
    .language:       OpenCL C
    .language_version:
      - 2
      - 0
    .max_flat_workgroup_size: 64
    .name:           _ZN9rocsolver6v33100L18getri_kernel_smallILi32E19rocblas_complex_numIfEPKPS3_EEvT1_iilPiilS8_bb
    .private_segment_fixed_size: 272
    .sgpr_count:     22
    .sgpr_spill_count: 0
    .symbol:         _ZN9rocsolver6v33100L18getri_kernel_smallILi32E19rocblas_complex_numIfEPKPS3_EEvT1_iilPiilS8_bb.kd
    .uniform_work_group_size: 1
    .uses_dynamic_stack: false
    .vgpr_count:     222
    .vgpr_spill_count: 0
    .wavefront_size: 32
    .workgroup_processor_mode: 1
  - .args:
      - .address_space:  global
        .offset:         0
        .size:           8
        .value_kind:     global_buffer
      - .offset:         8
        .size:           4
        .value_kind:     by_value
      - .offset:         12
        .size:           4
        .value_kind:     by_value
      - .offset:         16
        .size:           8
        .value_kind:     by_value
      - .address_space:  global
        .offset:         24
        .size:           8
        .value_kind:     global_buffer
      - .offset:         32
        .size:           4
        .value_kind:     by_value
      - .offset:         40
        .size:           8
        .value_kind:     by_value
      - .address_space:  global
        .offset:         48
        .size:           8
        .value_kind:     global_buffer
      - .offset:         56
        .size:           1
        .value_kind:     by_value
      - .offset:         57
        .size:           1
        .value_kind:     by_value
    .group_segment_fixed_size: 536
    .kernarg_segment_align: 8
    .kernarg_segment_size: 60
    .language:       OpenCL C
    .language_version:
      - 2
      - 0
    .max_flat_workgroup_size: 64
    .name:           _ZN9rocsolver6v33100L18getri_kernel_smallILi33E19rocblas_complex_numIfEPKPS3_EEvT1_iilPiilS8_bb
    .private_segment_fixed_size: 272
    .sgpr_count:     22
    .sgpr_spill_count: 0
    .symbol:         _ZN9rocsolver6v33100L18getri_kernel_smallILi33E19rocblas_complex_numIfEPKPS3_EEvT1_iilPiilS8_bb.kd
    .uniform_work_group_size: 1
    .uses_dynamic_stack: false
    .vgpr_count:     228
    .vgpr_spill_count: 0
    .wavefront_size: 32
    .workgroup_processor_mode: 1
  - .args:
      - .address_space:  global
        .offset:         0
        .size:           8
        .value_kind:     global_buffer
      - .offset:         8
        .size:           4
        .value_kind:     by_value
      - .offset:         12
        .size:           4
        .value_kind:     by_value
      - .offset:         16
        .size:           8
        .value_kind:     by_value
      - .address_space:  global
        .offset:         24
        .size:           8
        .value_kind:     global_buffer
      - .offset:         32
        .size:           4
        .value_kind:     by_value
      - .offset:         40
        .size:           8
        .value_kind:     by_value
      - .address_space:  global
        .offset:         48
        .size:           8
        .value_kind:     global_buffer
      - .offset:         56
        .size:           1
        .value_kind:     by_value
      - .offset:         57
        .size:           1
        .value_kind:     by_value
    .group_segment_fixed_size: 548
    .kernarg_segment_align: 8
    .kernarg_segment_size: 60
    .language:       OpenCL C
    .language_version:
      - 2
      - 0
    .max_flat_workgroup_size: 64
    .name:           _ZN9rocsolver6v33100L18getri_kernel_smallILi34E19rocblas_complex_numIfEPKPS3_EEvT1_iilPiilS8_bb
    .private_segment_fixed_size: 288
    .sgpr_count:     22
    .sgpr_spill_count: 0
    .symbol:         _ZN9rocsolver6v33100L18getri_kernel_smallILi34E19rocblas_complex_numIfEPKPS3_EEvT1_iilPiilS8_bb.kd
    .uniform_work_group_size: 1
    .uses_dynamic_stack: false
    .vgpr_count:     236
    .vgpr_spill_count: 0
    .wavefront_size: 32
    .workgroup_processor_mode: 1
  - .args:
      - .address_space:  global
        .offset:         0
        .size:           8
        .value_kind:     global_buffer
      - .offset:         8
        .size:           4
        .value_kind:     by_value
      - .offset:         12
        .size:           4
        .value_kind:     by_value
      - .offset:         16
        .size:           8
        .value_kind:     by_value
      - .address_space:  global
        .offset:         24
        .size:           8
        .value_kind:     global_buffer
      - .offset:         32
        .size:           4
        .value_kind:     by_value
      - .offset:         40
        .size:           8
        .value_kind:     by_value
      - .address_space:  global
        .offset:         48
        .size:           8
        .value_kind:     global_buffer
      - .offset:         56
        .size:           1
        .value_kind:     by_value
      - .offset:         57
        .size:           1
        .value_kind:     by_value
    .group_segment_fixed_size: 568
    .kernarg_segment_align: 8
    .kernarg_segment_size: 60
    .language:       OpenCL C
    .language_version:
      - 2
      - 0
    .max_flat_workgroup_size: 64
    .name:           _ZN9rocsolver6v33100L18getri_kernel_smallILi35E19rocblas_complex_numIfEPKPS3_EEvT1_iilPiilS8_bb
    .private_segment_fixed_size: 288
    .sgpr_count:     22
    .sgpr_spill_count: 0
    .symbol:         _ZN9rocsolver6v33100L18getri_kernel_smallILi35E19rocblas_complex_numIfEPKPS3_EEvT1_iilPiilS8_bb.kd
    .uniform_work_group_size: 1
    .uses_dynamic_stack: false
    .vgpr_count:     242
    .vgpr_spill_count: 0
    .wavefront_size: 32
    .workgroup_processor_mode: 1
  - .args:
      - .address_space:  global
        .offset:         0
        .size:           8
        .value_kind:     global_buffer
      - .offset:         8
        .size:           4
        .value_kind:     by_value
      - .offset:         12
        .size:           4
        .value_kind:     by_value
      - .offset:         16
        .size:           8
        .value_kind:     by_value
      - .address_space:  global
        .offset:         24
        .size:           8
        .value_kind:     global_buffer
      - .offset:         32
        .size:           4
        .value_kind:     by_value
      - .offset:         40
        .size:           8
        .value_kind:     by_value
      - .address_space:  global
        .offset:         48
        .size:           8
        .value_kind:     global_buffer
      - .offset:         56
        .size:           1
        .value_kind:     by_value
      - .offset:         57
        .size:           1
        .value_kind:     by_value
    .group_segment_fixed_size: 580
    .kernarg_segment_align: 8
    .kernarg_segment_size: 60
    .language:       OpenCL C
    .language_version:
      - 2
      - 0
    .max_flat_workgroup_size: 64
    .name:           _ZN9rocsolver6v33100L18getri_kernel_smallILi36E19rocblas_complex_numIfEPKPS3_EEvT1_iilPiilS8_bb
    .private_segment_fixed_size: 304
    .sgpr_count:     22
    .sgpr_spill_count: 0
    .symbol:         _ZN9rocsolver6v33100L18getri_kernel_smallILi36E19rocblas_complex_numIfEPKPS3_EEvT1_iilPiilS8_bb.kd
    .uniform_work_group_size: 1
    .uses_dynamic_stack: false
    .vgpr_count:     250
    .vgpr_spill_count: 0
    .wavefront_size: 32
    .workgroup_processor_mode: 1
  - .args:
      - .address_space:  global
        .offset:         0
        .size:           8
        .value_kind:     global_buffer
      - .offset:         8
        .size:           4
        .value_kind:     by_value
      - .offset:         12
        .size:           4
        .value_kind:     by_value
      - .offset:         16
        .size:           8
        .value_kind:     by_value
      - .address_space:  global
        .offset:         24
        .size:           8
        .value_kind:     global_buffer
      - .offset:         32
        .size:           4
        .value_kind:     by_value
      - .offset:         40
        .size:           8
        .value_kind:     by_value
      - .address_space:  global
        .offset:         48
        .size:           8
        .value_kind:     global_buffer
      - .offset:         56
        .size:           1
        .value_kind:     by_value
      - .offset:         57
        .size:           1
        .value_kind:     by_value
    .group_segment_fixed_size: 600
    .kernarg_segment_align: 8
    .kernarg_segment_size: 60
    .language:       OpenCL C
    .language_version:
      - 2
      - 0
    .max_flat_workgroup_size: 64
    .name:           _ZN9rocsolver6v33100L18getri_kernel_smallILi37E19rocblas_complex_numIfEPKPS3_EEvT1_iilPiilS8_bb
    .private_segment_fixed_size: 304
    .sgpr_count:     22
    .sgpr_spill_count: 0
    .symbol:         _ZN9rocsolver6v33100L18getri_kernel_smallILi37E19rocblas_complex_numIfEPKPS3_EEvT1_iilPiilS8_bb.kd
    .uniform_work_group_size: 1
    .uses_dynamic_stack: false
    .vgpr_count:     254
    .vgpr_spill_count: 0
    .wavefront_size: 32
    .workgroup_processor_mode: 1
  - .args:
      - .address_space:  global
        .offset:         0
        .size:           8
        .value_kind:     global_buffer
      - .offset:         8
        .size:           4
        .value_kind:     by_value
      - .offset:         12
        .size:           4
        .value_kind:     by_value
      - .offset:         16
        .size:           8
        .value_kind:     by_value
      - .address_space:  global
        .offset:         24
        .size:           8
        .value_kind:     global_buffer
      - .offset:         32
        .size:           4
        .value_kind:     by_value
      - .offset:         40
        .size:           8
        .value_kind:     by_value
      - .address_space:  global
        .offset:         48
        .size:           8
        .value_kind:     global_buffer
      - .offset:         56
        .size:           1
        .value_kind:     by_value
      - .offset:         57
        .size:           1
        .value_kind:     by_value
    .group_segment_fixed_size: 612
    .kernarg_segment_align: 8
    .kernarg_segment_size: 60
    .language:       OpenCL C
    .language_version:
      - 2
      - 0
    .max_flat_workgroup_size: 64
    .name:           _ZN9rocsolver6v33100L18getri_kernel_smallILi38E19rocblas_complex_numIfEPKPS3_EEvT1_iilPiilS8_bb
    .private_segment_fixed_size: 320
    .sgpr_count:     22
    .sgpr_spill_count: 0
    .symbol:         _ZN9rocsolver6v33100L18getri_kernel_smallILi38E19rocblas_complex_numIfEPKPS3_EEvT1_iilPiilS8_bb.kd
    .uniform_work_group_size: 1
    .uses_dynamic_stack: false
    .vgpr_count:     250
    .vgpr_spill_count: 0
    .wavefront_size: 32
    .workgroup_processor_mode: 1
  - .args:
      - .address_space:  global
        .offset:         0
        .size:           8
        .value_kind:     global_buffer
      - .offset:         8
        .size:           4
        .value_kind:     by_value
      - .offset:         12
        .size:           4
        .value_kind:     by_value
      - .offset:         16
        .size:           8
        .value_kind:     by_value
      - .address_space:  global
        .offset:         24
        .size:           8
        .value_kind:     global_buffer
      - .offset:         32
        .size:           4
        .value_kind:     by_value
      - .offset:         40
        .size:           8
        .value_kind:     by_value
      - .address_space:  global
        .offset:         48
        .size:           8
        .value_kind:     global_buffer
      - .offset:         56
        .size:           1
        .value_kind:     by_value
      - .offset:         57
        .size:           1
        .value_kind:     by_value
    .group_segment_fixed_size: 632
    .kernarg_segment_align: 8
    .kernarg_segment_size: 60
    .language:       OpenCL C
    .language_version:
      - 2
      - 0
    .max_flat_workgroup_size: 64
    .name:           _ZN9rocsolver6v33100L18getri_kernel_smallILi39E19rocblas_complex_numIfEPKPS3_EEvT1_iilPiilS8_bb
    .private_segment_fixed_size: 320
    .sgpr_count:     22
    .sgpr_spill_count: 0
    .symbol:         _ZN9rocsolver6v33100L18getri_kernel_smallILi39E19rocblas_complex_numIfEPKPS3_EEvT1_iilPiilS8_bb.kd
    .uniform_work_group_size: 1
    .uses_dynamic_stack: false
    .vgpr_count:     252
    .vgpr_spill_count: 0
    .wavefront_size: 32
    .workgroup_processor_mode: 1
  - .args:
      - .address_space:  global
        .offset:         0
        .size:           8
        .value_kind:     global_buffer
      - .offset:         8
        .size:           4
        .value_kind:     by_value
      - .offset:         12
        .size:           4
        .value_kind:     by_value
      - .offset:         16
        .size:           8
        .value_kind:     by_value
      - .address_space:  global
        .offset:         24
        .size:           8
        .value_kind:     global_buffer
      - .offset:         32
        .size:           4
        .value_kind:     by_value
      - .offset:         40
        .size:           8
        .value_kind:     by_value
      - .address_space:  global
        .offset:         48
        .size:           8
        .value_kind:     global_buffer
      - .offset:         56
        .size:           1
        .value_kind:     by_value
      - .offset:         57
        .size:           1
        .value_kind:     by_value
    .group_segment_fixed_size: 644
    .kernarg_segment_align: 8
    .kernarg_segment_size: 60
    .language:       OpenCL C
    .language_version:
      - 2
      - 0
    .max_flat_workgroup_size: 64
    .name:           _ZN9rocsolver6v33100L18getri_kernel_smallILi40E19rocblas_complex_numIfEPKPS3_EEvT1_iilPiilS8_bb
    .private_segment_fixed_size: 336
    .sgpr_count:     22
    .sgpr_spill_count: 0
    .symbol:         _ZN9rocsolver6v33100L18getri_kernel_smallILi40E19rocblas_complex_numIfEPKPS3_EEvT1_iilPiilS8_bb.kd
    .uniform_work_group_size: 1
    .uses_dynamic_stack: false
    .vgpr_count:     254
    .vgpr_spill_count: 0
    .wavefront_size: 32
    .workgroup_processor_mode: 1
  - .args:
      - .address_space:  global
        .offset:         0
        .size:           8
        .value_kind:     global_buffer
      - .offset:         8
        .size:           4
        .value_kind:     by_value
      - .offset:         12
        .size:           4
        .value_kind:     by_value
      - .offset:         16
        .size:           8
        .value_kind:     by_value
      - .address_space:  global
        .offset:         24
        .size:           8
        .value_kind:     global_buffer
      - .offset:         32
        .size:           4
        .value_kind:     by_value
      - .offset:         40
        .size:           8
        .value_kind:     by_value
      - .address_space:  global
        .offset:         48
        .size:           8
        .value_kind:     global_buffer
      - .offset:         56
        .size:           1
        .value_kind:     by_value
      - .offset:         57
        .size:           1
        .value_kind:     by_value
    .group_segment_fixed_size: 664
    .kernarg_segment_align: 8
    .kernarg_segment_size: 60
    .language:       OpenCL C
    .language_version:
      - 2
      - 0
    .max_flat_workgroup_size: 64
    .name:           _ZN9rocsolver6v33100L18getri_kernel_smallILi41E19rocblas_complex_numIfEPKPS3_EEvT1_iilPiilS8_bb
    .private_segment_fixed_size: 336
    .sgpr_count:     22
    .sgpr_spill_count: 0
    .symbol:         _ZN9rocsolver6v33100L18getri_kernel_smallILi41E19rocblas_complex_numIfEPKPS3_EEvT1_iilPiilS8_bb.kd
    .uniform_work_group_size: 1
    .uses_dynamic_stack: false
    .vgpr_count:     252
    .vgpr_spill_count: 0
    .wavefront_size: 32
    .workgroup_processor_mode: 1
  - .args:
      - .address_space:  global
        .offset:         0
        .size:           8
        .value_kind:     global_buffer
      - .offset:         8
        .size:           4
        .value_kind:     by_value
      - .offset:         12
        .size:           4
        .value_kind:     by_value
      - .offset:         16
        .size:           8
        .value_kind:     by_value
      - .address_space:  global
        .offset:         24
        .size:           8
        .value_kind:     global_buffer
      - .offset:         32
        .size:           4
        .value_kind:     by_value
      - .offset:         40
        .size:           8
        .value_kind:     by_value
      - .address_space:  global
        .offset:         48
        .size:           8
        .value_kind:     global_buffer
      - .offset:         56
        .size:           1
        .value_kind:     by_value
      - .offset:         57
        .size:           1
        .value_kind:     by_value
    .group_segment_fixed_size: 676
    .kernarg_segment_align: 8
    .kernarg_segment_size: 60
    .language:       OpenCL C
    .language_version:
      - 2
      - 0
    .max_flat_workgroup_size: 64
    .name:           _ZN9rocsolver6v33100L18getri_kernel_smallILi42E19rocblas_complex_numIfEPKPS3_EEvT1_iilPiilS8_bb
    .private_segment_fixed_size: 352
    .sgpr_count:     22
    .sgpr_spill_count: 0
    .symbol:         _ZN9rocsolver6v33100L18getri_kernel_smallILi42E19rocblas_complex_numIfEPKPS3_EEvT1_iilPiilS8_bb.kd
    .uniform_work_group_size: 1
    .uses_dynamic_stack: false
    .vgpr_count:     254
    .vgpr_spill_count: 0
    .wavefront_size: 32
    .workgroup_processor_mode: 1
  - .args:
      - .address_space:  global
        .offset:         0
        .size:           8
        .value_kind:     global_buffer
      - .offset:         8
        .size:           4
        .value_kind:     by_value
      - .offset:         12
        .size:           4
        .value_kind:     by_value
      - .offset:         16
        .size:           8
        .value_kind:     by_value
      - .address_space:  global
        .offset:         24
        .size:           8
        .value_kind:     global_buffer
      - .offset:         32
        .size:           4
        .value_kind:     by_value
      - .offset:         40
        .size:           8
        .value_kind:     by_value
      - .address_space:  global
        .offset:         48
        .size:           8
        .value_kind:     global_buffer
      - .offset:         56
        .size:           1
        .value_kind:     by_value
      - .offset:         57
        .size:           1
        .value_kind:     by_value
    .group_segment_fixed_size: 696
    .kernarg_segment_align: 8
    .kernarg_segment_size: 60
    .language:       OpenCL C
    .language_version:
      - 2
      - 0
    .max_flat_workgroup_size: 64
    .name:           _ZN9rocsolver6v33100L18getri_kernel_smallILi43E19rocblas_complex_numIfEPKPS3_EEvT1_iilPiilS8_bb
    .private_segment_fixed_size: 352
    .sgpr_count:     22
    .sgpr_spill_count: 0
    .symbol:         _ZN9rocsolver6v33100L18getri_kernel_smallILi43E19rocblas_complex_numIfEPKPS3_EEvT1_iilPiilS8_bb.kd
    .uniform_work_group_size: 1
    .uses_dynamic_stack: false
    .vgpr_count:     250
    .vgpr_spill_count: 0
    .wavefront_size: 32
    .workgroup_processor_mode: 1
  - .args:
      - .address_space:  global
        .offset:         0
        .size:           8
        .value_kind:     global_buffer
      - .offset:         8
        .size:           4
        .value_kind:     by_value
      - .offset:         12
        .size:           4
        .value_kind:     by_value
      - .offset:         16
        .size:           8
        .value_kind:     by_value
      - .address_space:  global
        .offset:         24
        .size:           8
        .value_kind:     global_buffer
      - .offset:         32
        .size:           4
        .value_kind:     by_value
      - .offset:         40
        .size:           8
        .value_kind:     by_value
      - .address_space:  global
        .offset:         48
        .size:           8
        .value_kind:     global_buffer
      - .offset:         56
        .size:           1
        .value_kind:     by_value
      - .offset:         57
        .size:           1
        .value_kind:     by_value
    .group_segment_fixed_size: 708
    .kernarg_segment_align: 8
    .kernarg_segment_size: 60
    .language:       OpenCL C
    .language_version:
      - 2
      - 0
    .max_flat_workgroup_size: 64
    .name:           _ZN9rocsolver6v33100L18getri_kernel_smallILi44E19rocblas_complex_numIfEPKPS3_EEvT1_iilPiilS8_bb
    .private_segment_fixed_size: 368
    .sgpr_count:     22
    .sgpr_spill_count: 0
    .symbol:         _ZN9rocsolver6v33100L18getri_kernel_smallILi44E19rocblas_complex_numIfEPKPS3_EEvT1_iilPiilS8_bb.kd
    .uniform_work_group_size: 1
    .uses_dynamic_stack: false
    .vgpr_count:     252
    .vgpr_spill_count: 0
    .wavefront_size: 32
    .workgroup_processor_mode: 1
  - .args:
      - .address_space:  global
        .offset:         0
        .size:           8
        .value_kind:     global_buffer
      - .offset:         8
        .size:           4
        .value_kind:     by_value
      - .offset:         12
        .size:           4
        .value_kind:     by_value
      - .offset:         16
        .size:           8
        .value_kind:     by_value
      - .address_space:  global
        .offset:         24
        .size:           8
        .value_kind:     global_buffer
      - .offset:         32
        .size:           4
        .value_kind:     by_value
      - .offset:         40
        .size:           8
        .value_kind:     by_value
      - .address_space:  global
        .offset:         48
        .size:           8
        .value_kind:     global_buffer
      - .offset:         56
        .size:           1
        .value_kind:     by_value
      - .offset:         57
        .size:           1
        .value_kind:     by_value
    .group_segment_fixed_size: 728
    .kernarg_segment_align: 8
    .kernarg_segment_size: 60
    .language:       OpenCL C
    .language_version:
      - 2
      - 0
    .max_flat_workgroup_size: 64
    .name:           _ZN9rocsolver6v33100L18getri_kernel_smallILi45E19rocblas_complex_numIfEPKPS3_EEvT1_iilPiilS8_bb
    .private_segment_fixed_size: 368
    .sgpr_count:     22
    .sgpr_spill_count: 0
    .symbol:         _ZN9rocsolver6v33100L18getri_kernel_smallILi45E19rocblas_complex_numIfEPKPS3_EEvT1_iilPiilS8_bb.kd
    .uniform_work_group_size: 1
    .uses_dynamic_stack: false
    .vgpr_count:     254
    .vgpr_spill_count: 0
    .wavefront_size: 32
    .workgroup_processor_mode: 1
  - .args:
      - .address_space:  global
        .offset:         0
        .size:           8
        .value_kind:     global_buffer
      - .offset:         8
        .size:           4
        .value_kind:     by_value
      - .offset:         12
        .size:           4
        .value_kind:     by_value
      - .offset:         16
        .size:           8
        .value_kind:     by_value
      - .address_space:  global
        .offset:         24
        .size:           8
        .value_kind:     global_buffer
      - .offset:         32
        .size:           4
        .value_kind:     by_value
      - .offset:         40
        .size:           8
        .value_kind:     by_value
      - .address_space:  global
        .offset:         48
        .size:           8
        .value_kind:     global_buffer
      - .offset:         56
        .size:           1
        .value_kind:     by_value
      - .offset:         57
        .size:           1
        .value_kind:     by_value
    .group_segment_fixed_size: 740
    .kernarg_segment_align: 8
    .kernarg_segment_size: 60
    .language:       OpenCL C
    .language_version:
      - 2
      - 0
    .max_flat_workgroup_size: 64
    .name:           _ZN9rocsolver6v33100L18getri_kernel_smallILi46E19rocblas_complex_numIfEPKPS3_EEvT1_iilPiilS8_bb
    .private_segment_fixed_size: 384
    .sgpr_count:     22
    .sgpr_spill_count: 0
    .symbol:         _ZN9rocsolver6v33100L18getri_kernel_smallILi46E19rocblas_complex_numIfEPKPS3_EEvT1_iilPiilS8_bb.kd
    .uniform_work_group_size: 1
    .uses_dynamic_stack: false
    .vgpr_count:     252
    .vgpr_spill_count: 0
    .wavefront_size: 32
    .workgroup_processor_mode: 1
  - .args:
      - .address_space:  global
        .offset:         0
        .size:           8
        .value_kind:     global_buffer
      - .offset:         8
        .size:           4
        .value_kind:     by_value
      - .offset:         12
        .size:           4
        .value_kind:     by_value
      - .offset:         16
        .size:           8
        .value_kind:     by_value
      - .address_space:  global
        .offset:         24
        .size:           8
        .value_kind:     global_buffer
      - .offset:         32
        .size:           4
        .value_kind:     by_value
      - .offset:         40
        .size:           8
        .value_kind:     by_value
      - .address_space:  global
        .offset:         48
        .size:           8
        .value_kind:     global_buffer
      - .offset:         56
        .size:           1
        .value_kind:     by_value
      - .offset:         57
        .size:           1
        .value_kind:     by_value
    .group_segment_fixed_size: 760
    .kernarg_segment_align: 8
    .kernarg_segment_size: 60
    .language:       OpenCL C
    .language_version:
      - 2
      - 0
    .max_flat_workgroup_size: 64
    .name:           _ZN9rocsolver6v33100L18getri_kernel_smallILi47E19rocblas_complex_numIfEPKPS3_EEvT1_iilPiilS8_bb
    .private_segment_fixed_size: 384
    .sgpr_count:     22
    .sgpr_spill_count: 0
    .symbol:         _ZN9rocsolver6v33100L18getri_kernel_smallILi47E19rocblas_complex_numIfEPKPS3_EEvT1_iilPiilS8_bb.kd
    .uniform_work_group_size: 1
    .uses_dynamic_stack: false
    .vgpr_count:     254
    .vgpr_spill_count: 0
    .wavefront_size: 32
    .workgroup_processor_mode: 1
  - .args:
      - .address_space:  global
        .offset:         0
        .size:           8
        .value_kind:     global_buffer
      - .offset:         8
        .size:           4
        .value_kind:     by_value
      - .offset:         12
        .size:           4
        .value_kind:     by_value
      - .offset:         16
        .size:           8
        .value_kind:     by_value
      - .address_space:  global
        .offset:         24
        .size:           8
        .value_kind:     global_buffer
      - .offset:         32
        .size:           4
        .value_kind:     by_value
      - .offset:         40
        .size:           8
        .value_kind:     by_value
      - .address_space:  global
        .offset:         48
        .size:           8
        .value_kind:     global_buffer
      - .offset:         56
        .size:           1
        .value_kind:     by_value
      - .offset:         57
        .size:           1
        .value_kind:     by_value
    .group_segment_fixed_size: 772
    .kernarg_segment_align: 8
    .kernarg_segment_size: 60
    .language:       OpenCL C
    .language_version:
      - 2
      - 0
    .max_flat_workgroup_size: 64
    .name:           _ZN9rocsolver6v33100L18getri_kernel_smallILi48E19rocblas_complex_numIfEPKPS3_EEvT1_iilPiilS8_bb
    .private_segment_fixed_size: 400
    .sgpr_count:     22
    .sgpr_spill_count: 0
    .symbol:         _ZN9rocsolver6v33100L18getri_kernel_smallILi48E19rocblas_complex_numIfEPKPS3_EEvT1_iilPiilS8_bb.kd
    .uniform_work_group_size: 1
    .uses_dynamic_stack: false
    .vgpr_count:     250
    .vgpr_spill_count: 0
    .wavefront_size: 32
    .workgroup_processor_mode: 1
  - .args:
      - .address_space:  global
        .offset:         0
        .size:           8
        .value_kind:     global_buffer
      - .offset:         8
        .size:           4
        .value_kind:     by_value
      - .offset:         12
        .size:           4
        .value_kind:     by_value
      - .offset:         16
        .size:           8
        .value_kind:     by_value
      - .address_space:  global
        .offset:         24
        .size:           8
        .value_kind:     global_buffer
      - .offset:         32
        .size:           4
        .value_kind:     by_value
      - .offset:         40
        .size:           8
        .value_kind:     by_value
      - .address_space:  global
        .offset:         48
        .size:           8
        .value_kind:     global_buffer
      - .offset:         56
        .size:           1
        .value_kind:     by_value
      - .offset:         57
        .size:           1
        .value_kind:     by_value
    .group_segment_fixed_size: 792
    .kernarg_segment_align: 8
    .kernarg_segment_size: 60
    .language:       OpenCL C
    .language_version:
      - 2
      - 0
    .max_flat_workgroup_size: 64
    .name:           _ZN9rocsolver6v33100L18getri_kernel_smallILi49E19rocblas_complex_numIfEPKPS3_EEvT1_iilPiilS8_bb
    .private_segment_fixed_size: 400
    .sgpr_count:     22
    .sgpr_spill_count: 0
    .symbol:         _ZN9rocsolver6v33100L18getri_kernel_smallILi49E19rocblas_complex_numIfEPKPS3_EEvT1_iilPiilS8_bb.kd
    .uniform_work_group_size: 1
    .uses_dynamic_stack: false
    .vgpr_count:     252
    .vgpr_spill_count: 0
    .wavefront_size: 32
    .workgroup_processor_mode: 1
  - .args:
      - .address_space:  global
        .offset:         0
        .size:           8
        .value_kind:     global_buffer
      - .offset:         8
        .size:           4
        .value_kind:     by_value
      - .offset:         12
        .size:           4
        .value_kind:     by_value
      - .offset:         16
        .size:           8
        .value_kind:     by_value
      - .address_space:  global
        .offset:         24
        .size:           8
        .value_kind:     global_buffer
      - .offset:         32
        .size:           4
        .value_kind:     by_value
      - .offset:         40
        .size:           8
        .value_kind:     by_value
      - .address_space:  global
        .offset:         48
        .size:           8
        .value_kind:     global_buffer
      - .offset:         56
        .size:           1
        .value_kind:     by_value
      - .offset:         57
        .size:           1
        .value_kind:     by_value
    .group_segment_fixed_size: 804
    .kernarg_segment_align: 8
    .kernarg_segment_size: 60
    .language:       OpenCL C
    .language_version:
      - 2
      - 0
    .max_flat_workgroup_size: 64
    .name:           _ZN9rocsolver6v33100L18getri_kernel_smallILi50E19rocblas_complex_numIfEPKPS3_EEvT1_iilPiilS8_bb
    .private_segment_fixed_size: 416
    .sgpr_count:     22
    .sgpr_spill_count: 0
    .symbol:         _ZN9rocsolver6v33100L18getri_kernel_smallILi50E19rocblas_complex_numIfEPKPS3_EEvT1_iilPiilS8_bb.kd
    .uniform_work_group_size: 1
    .uses_dynamic_stack: false
    .vgpr_count:     254
    .vgpr_spill_count: 0
    .wavefront_size: 32
    .workgroup_processor_mode: 1
  - .args:
      - .address_space:  global
        .offset:         0
        .size:           8
        .value_kind:     global_buffer
      - .offset:         8
        .size:           4
        .value_kind:     by_value
      - .offset:         12
        .size:           4
        .value_kind:     by_value
      - .offset:         16
        .size:           8
        .value_kind:     by_value
      - .address_space:  global
        .offset:         24
        .size:           8
        .value_kind:     global_buffer
      - .offset:         32
        .size:           4
        .value_kind:     by_value
      - .offset:         40
        .size:           8
        .value_kind:     by_value
      - .address_space:  global
        .offset:         48
        .size:           8
        .value_kind:     global_buffer
      - .offset:         56
        .size:           1
        .value_kind:     by_value
      - .offset:         57
        .size:           1
        .value_kind:     by_value
    .group_segment_fixed_size: 824
    .kernarg_segment_align: 8
    .kernarg_segment_size: 60
    .language:       OpenCL C
    .language_version:
      - 2
      - 0
    .max_flat_workgroup_size: 64
    .name:           _ZN9rocsolver6v33100L18getri_kernel_smallILi51E19rocblas_complex_numIfEPKPS3_EEvT1_iilPiilS8_bb
    .private_segment_fixed_size: 416
    .sgpr_count:     22
    .sgpr_spill_count: 0
    .symbol:         _ZN9rocsolver6v33100L18getri_kernel_smallILi51E19rocblas_complex_numIfEPKPS3_EEvT1_iilPiilS8_bb.kd
    .uniform_work_group_size: 1
    .uses_dynamic_stack: false
    .vgpr_count:     252
    .vgpr_spill_count: 0
    .wavefront_size: 32
    .workgroup_processor_mode: 1
  - .args:
      - .address_space:  global
        .offset:         0
        .size:           8
        .value_kind:     global_buffer
      - .offset:         8
        .size:           4
        .value_kind:     by_value
      - .offset:         12
        .size:           4
        .value_kind:     by_value
      - .offset:         16
        .size:           8
        .value_kind:     by_value
      - .address_space:  global
        .offset:         24
        .size:           8
        .value_kind:     global_buffer
      - .offset:         32
        .size:           4
        .value_kind:     by_value
      - .offset:         40
        .size:           8
        .value_kind:     by_value
      - .address_space:  global
        .offset:         48
        .size:           8
        .value_kind:     global_buffer
      - .offset:         56
        .size:           1
        .value_kind:     by_value
      - .offset:         57
        .size:           1
        .value_kind:     by_value
    .group_segment_fixed_size: 836
    .kernarg_segment_align: 8
    .kernarg_segment_size: 60
    .language:       OpenCL C
    .language_version:
      - 2
      - 0
    .max_flat_workgroup_size: 64
    .name:           _ZN9rocsolver6v33100L18getri_kernel_smallILi52E19rocblas_complex_numIfEPKPS3_EEvT1_iilPiilS8_bb
    .private_segment_fixed_size: 432
    .sgpr_count:     22
    .sgpr_spill_count: 0
    .symbol:         _ZN9rocsolver6v33100L18getri_kernel_smallILi52E19rocblas_complex_numIfEPKPS3_EEvT1_iilPiilS8_bb.kd
    .uniform_work_group_size: 1
    .uses_dynamic_stack: false
    .vgpr_count:     254
    .vgpr_spill_count: 0
    .wavefront_size: 32
    .workgroup_processor_mode: 1
  - .args:
      - .address_space:  global
        .offset:         0
        .size:           8
        .value_kind:     global_buffer
      - .offset:         8
        .size:           4
        .value_kind:     by_value
      - .offset:         12
        .size:           4
        .value_kind:     by_value
      - .offset:         16
        .size:           8
        .value_kind:     by_value
      - .address_space:  global
        .offset:         24
        .size:           8
        .value_kind:     global_buffer
      - .offset:         32
        .size:           4
        .value_kind:     by_value
      - .offset:         40
        .size:           8
        .value_kind:     by_value
      - .address_space:  global
        .offset:         48
        .size:           8
        .value_kind:     global_buffer
      - .offset:         56
        .size:           1
        .value_kind:     by_value
      - .offset:         57
        .size:           1
        .value_kind:     by_value
    .group_segment_fixed_size: 856
    .kernarg_segment_align: 8
    .kernarg_segment_size: 60
    .language:       OpenCL C
    .language_version:
      - 2
      - 0
    .max_flat_workgroup_size: 64
    .name:           _ZN9rocsolver6v33100L18getri_kernel_smallILi53E19rocblas_complex_numIfEPKPS3_EEvT1_iilPiilS8_bb
    .private_segment_fixed_size: 432
    .sgpr_count:     22
    .sgpr_spill_count: 0
    .symbol:         _ZN9rocsolver6v33100L18getri_kernel_smallILi53E19rocblas_complex_numIfEPKPS3_EEvT1_iilPiilS8_bb.kd
    .uniform_work_group_size: 1
    .uses_dynamic_stack: false
    .vgpr_count:     250
    .vgpr_spill_count: 0
    .wavefront_size: 32
    .workgroup_processor_mode: 1
  - .args:
      - .address_space:  global
        .offset:         0
        .size:           8
        .value_kind:     global_buffer
      - .offset:         8
        .size:           4
        .value_kind:     by_value
      - .offset:         12
        .size:           4
        .value_kind:     by_value
      - .offset:         16
        .size:           8
        .value_kind:     by_value
      - .address_space:  global
        .offset:         24
        .size:           8
        .value_kind:     global_buffer
      - .offset:         32
        .size:           4
        .value_kind:     by_value
      - .offset:         40
        .size:           8
        .value_kind:     by_value
      - .address_space:  global
        .offset:         48
        .size:           8
        .value_kind:     global_buffer
      - .offset:         56
        .size:           1
        .value_kind:     by_value
      - .offset:         57
        .size:           1
        .value_kind:     by_value
    .group_segment_fixed_size: 868
    .kernarg_segment_align: 8
    .kernarg_segment_size: 60
    .language:       OpenCL C
    .language_version:
      - 2
      - 0
    .max_flat_workgroup_size: 64
    .name:           _ZN9rocsolver6v33100L18getri_kernel_smallILi54E19rocblas_complex_numIfEPKPS3_EEvT1_iilPiilS8_bb
    .private_segment_fixed_size: 448
    .sgpr_count:     22
    .sgpr_spill_count: 0
    .symbol:         _ZN9rocsolver6v33100L18getri_kernel_smallILi54E19rocblas_complex_numIfEPKPS3_EEvT1_iilPiilS8_bb.kd
    .uniform_work_group_size: 1
    .uses_dynamic_stack: false
    .vgpr_count:     252
    .vgpr_spill_count: 0
    .wavefront_size: 32
    .workgroup_processor_mode: 1
  - .args:
      - .address_space:  global
        .offset:         0
        .size:           8
        .value_kind:     global_buffer
      - .offset:         8
        .size:           4
        .value_kind:     by_value
      - .offset:         12
        .size:           4
        .value_kind:     by_value
      - .offset:         16
        .size:           8
        .value_kind:     by_value
      - .address_space:  global
        .offset:         24
        .size:           8
        .value_kind:     global_buffer
      - .offset:         32
        .size:           4
        .value_kind:     by_value
      - .offset:         40
        .size:           8
        .value_kind:     by_value
      - .address_space:  global
        .offset:         48
        .size:           8
        .value_kind:     global_buffer
      - .offset:         56
        .size:           1
        .value_kind:     by_value
      - .offset:         57
        .size:           1
        .value_kind:     by_value
    .group_segment_fixed_size: 888
    .kernarg_segment_align: 8
    .kernarg_segment_size: 60
    .language:       OpenCL C
    .language_version:
      - 2
      - 0
    .max_flat_workgroup_size: 64
    .name:           _ZN9rocsolver6v33100L18getri_kernel_smallILi55E19rocblas_complex_numIfEPKPS3_EEvT1_iilPiilS8_bb
    .private_segment_fixed_size: 448
    .sgpr_count:     22
    .sgpr_spill_count: 0
    .symbol:         _ZN9rocsolver6v33100L18getri_kernel_smallILi55E19rocblas_complex_numIfEPKPS3_EEvT1_iilPiilS8_bb.kd
    .uniform_work_group_size: 1
    .uses_dynamic_stack: false
    .vgpr_count:     254
    .vgpr_spill_count: 0
    .wavefront_size: 32
    .workgroup_processor_mode: 1
  - .args:
      - .address_space:  global
        .offset:         0
        .size:           8
        .value_kind:     global_buffer
      - .offset:         8
        .size:           4
        .value_kind:     by_value
      - .offset:         12
        .size:           4
        .value_kind:     by_value
      - .offset:         16
        .size:           8
        .value_kind:     by_value
      - .address_space:  global
        .offset:         24
        .size:           8
        .value_kind:     global_buffer
      - .offset:         32
        .size:           4
        .value_kind:     by_value
      - .offset:         40
        .size:           8
        .value_kind:     by_value
      - .address_space:  global
        .offset:         48
        .size:           8
        .value_kind:     global_buffer
      - .offset:         56
        .size:           1
        .value_kind:     by_value
      - .offset:         57
        .size:           1
        .value_kind:     by_value
    .group_segment_fixed_size: 900
    .kernarg_segment_align: 8
    .kernarg_segment_size: 60
    .language:       OpenCL C
    .language_version:
      - 2
      - 0
    .max_flat_workgroup_size: 64
    .name:           _ZN9rocsolver6v33100L18getri_kernel_smallILi56E19rocblas_complex_numIfEPKPS3_EEvT1_iilPiilS8_bb
    .private_segment_fixed_size: 464
    .sgpr_count:     22
    .sgpr_spill_count: 0
    .symbol:         _ZN9rocsolver6v33100L18getri_kernel_smallILi56E19rocblas_complex_numIfEPKPS3_EEvT1_iilPiilS8_bb.kd
    .uniform_work_group_size: 1
    .uses_dynamic_stack: false
    .vgpr_count:     252
    .vgpr_spill_count: 0
    .wavefront_size: 32
    .workgroup_processor_mode: 1
  - .args:
      - .address_space:  global
        .offset:         0
        .size:           8
        .value_kind:     global_buffer
      - .offset:         8
        .size:           4
        .value_kind:     by_value
      - .offset:         12
        .size:           4
        .value_kind:     by_value
      - .offset:         16
        .size:           8
        .value_kind:     by_value
      - .address_space:  global
        .offset:         24
        .size:           8
        .value_kind:     global_buffer
      - .offset:         32
        .size:           4
        .value_kind:     by_value
      - .offset:         40
        .size:           8
        .value_kind:     by_value
      - .address_space:  global
        .offset:         48
        .size:           8
        .value_kind:     global_buffer
      - .offset:         56
        .size:           1
        .value_kind:     by_value
      - .offset:         57
        .size:           1
        .value_kind:     by_value
    .group_segment_fixed_size: 920
    .kernarg_segment_align: 8
    .kernarg_segment_size: 60
    .language:       OpenCL C
    .language_version:
      - 2
      - 0
    .max_flat_workgroup_size: 64
    .name:           _ZN9rocsolver6v33100L18getri_kernel_smallILi57E19rocblas_complex_numIfEPKPS3_EEvT1_iilPiilS8_bb
    .private_segment_fixed_size: 464
    .sgpr_count:     22
    .sgpr_spill_count: 0
    .symbol:         _ZN9rocsolver6v33100L18getri_kernel_smallILi57E19rocblas_complex_numIfEPKPS3_EEvT1_iilPiilS8_bb.kd
    .uniform_work_group_size: 1
    .uses_dynamic_stack: false
    .vgpr_count:     254
    .vgpr_spill_count: 0
    .wavefront_size: 32
    .workgroup_processor_mode: 1
  - .args:
      - .address_space:  global
        .offset:         0
        .size:           8
        .value_kind:     global_buffer
      - .offset:         8
        .size:           4
        .value_kind:     by_value
      - .offset:         12
        .size:           4
        .value_kind:     by_value
      - .offset:         16
        .size:           8
        .value_kind:     by_value
      - .address_space:  global
        .offset:         24
        .size:           8
        .value_kind:     global_buffer
      - .offset:         32
        .size:           4
        .value_kind:     by_value
      - .offset:         40
        .size:           8
        .value_kind:     by_value
      - .address_space:  global
        .offset:         48
        .size:           8
        .value_kind:     global_buffer
      - .offset:         56
        .size:           1
        .value_kind:     by_value
      - .offset:         57
        .size:           1
        .value_kind:     by_value
    .group_segment_fixed_size: 932
    .kernarg_segment_align: 8
    .kernarg_segment_size: 60
    .language:       OpenCL C
    .language_version:
      - 2
      - 0
    .max_flat_workgroup_size: 64
    .name:           _ZN9rocsolver6v33100L18getri_kernel_smallILi58E19rocblas_complex_numIfEPKPS3_EEvT1_iilPiilS8_bb
    .private_segment_fixed_size: 480
    .sgpr_count:     22
    .sgpr_spill_count: 0
    .symbol:         _ZN9rocsolver6v33100L18getri_kernel_smallILi58E19rocblas_complex_numIfEPKPS3_EEvT1_iilPiilS8_bb.kd
    .uniform_work_group_size: 1
    .uses_dynamic_stack: false
    .vgpr_count:     250
    .vgpr_spill_count: 0
    .wavefront_size: 32
    .workgroup_processor_mode: 1
  - .args:
      - .address_space:  global
        .offset:         0
        .size:           8
        .value_kind:     global_buffer
      - .offset:         8
        .size:           4
        .value_kind:     by_value
      - .offset:         12
        .size:           4
        .value_kind:     by_value
      - .offset:         16
        .size:           8
        .value_kind:     by_value
      - .address_space:  global
        .offset:         24
        .size:           8
        .value_kind:     global_buffer
      - .offset:         32
        .size:           4
        .value_kind:     by_value
      - .offset:         40
        .size:           8
        .value_kind:     by_value
      - .address_space:  global
        .offset:         48
        .size:           8
        .value_kind:     global_buffer
      - .offset:         56
        .size:           1
        .value_kind:     by_value
      - .offset:         57
        .size:           1
        .value_kind:     by_value
    .group_segment_fixed_size: 952
    .kernarg_segment_align: 8
    .kernarg_segment_size: 60
    .language:       OpenCL C
    .language_version:
      - 2
      - 0
    .max_flat_workgroup_size: 64
    .name:           _ZN9rocsolver6v33100L18getri_kernel_smallILi59E19rocblas_complex_numIfEPKPS3_EEvT1_iilPiilS8_bb
    .private_segment_fixed_size: 480
    .sgpr_count:     22
    .sgpr_spill_count: 0
    .symbol:         _ZN9rocsolver6v33100L18getri_kernel_smallILi59E19rocblas_complex_numIfEPKPS3_EEvT1_iilPiilS8_bb.kd
    .uniform_work_group_size: 1
    .uses_dynamic_stack: false
    .vgpr_count:     252
    .vgpr_spill_count: 0
    .wavefront_size: 32
    .workgroup_processor_mode: 1
  - .args:
      - .address_space:  global
        .offset:         0
        .size:           8
        .value_kind:     global_buffer
      - .offset:         8
        .size:           4
        .value_kind:     by_value
      - .offset:         12
        .size:           4
        .value_kind:     by_value
      - .offset:         16
        .size:           8
        .value_kind:     by_value
      - .address_space:  global
        .offset:         24
        .size:           8
        .value_kind:     global_buffer
      - .offset:         32
        .size:           4
        .value_kind:     by_value
      - .offset:         40
        .size:           8
        .value_kind:     by_value
      - .address_space:  global
        .offset:         48
        .size:           8
        .value_kind:     global_buffer
      - .offset:         56
        .size:           1
        .value_kind:     by_value
      - .offset:         57
        .size:           1
        .value_kind:     by_value
    .group_segment_fixed_size: 964
    .kernarg_segment_align: 8
    .kernarg_segment_size: 60
    .language:       OpenCL C
    .language_version:
      - 2
      - 0
    .max_flat_workgroup_size: 64
    .name:           _ZN9rocsolver6v33100L18getri_kernel_smallILi60E19rocblas_complex_numIfEPKPS3_EEvT1_iilPiilS8_bb
    .private_segment_fixed_size: 496
    .sgpr_count:     22
    .sgpr_spill_count: 0
    .symbol:         _ZN9rocsolver6v33100L18getri_kernel_smallILi60E19rocblas_complex_numIfEPKPS3_EEvT1_iilPiilS8_bb.kd
    .uniform_work_group_size: 1
    .uses_dynamic_stack: false
    .vgpr_count:     254
    .vgpr_spill_count: 0
    .wavefront_size: 32
    .workgroup_processor_mode: 1
  - .args:
      - .address_space:  global
        .offset:         0
        .size:           8
        .value_kind:     global_buffer
      - .offset:         8
        .size:           4
        .value_kind:     by_value
      - .offset:         12
        .size:           4
        .value_kind:     by_value
      - .offset:         16
        .size:           8
        .value_kind:     by_value
      - .address_space:  global
        .offset:         24
        .size:           8
        .value_kind:     global_buffer
      - .offset:         32
        .size:           4
        .value_kind:     by_value
      - .offset:         40
        .size:           8
        .value_kind:     by_value
      - .address_space:  global
        .offset:         48
        .size:           8
        .value_kind:     global_buffer
      - .offset:         56
        .size:           1
        .value_kind:     by_value
      - .offset:         57
        .size:           1
        .value_kind:     by_value
    .group_segment_fixed_size: 984
    .kernarg_segment_align: 8
    .kernarg_segment_size: 60
    .language:       OpenCL C
    .language_version:
      - 2
      - 0
    .max_flat_workgroup_size: 64
    .name:           _ZN9rocsolver6v33100L18getri_kernel_smallILi61E19rocblas_complex_numIfEPKPS3_EEvT1_iilPiilS8_bb
    .private_segment_fixed_size: 496
    .sgpr_count:     22
    .sgpr_spill_count: 0
    .symbol:         _ZN9rocsolver6v33100L18getri_kernel_smallILi61E19rocblas_complex_numIfEPKPS3_EEvT1_iilPiilS8_bb.kd
    .uniform_work_group_size: 1
    .uses_dynamic_stack: false
    .vgpr_count:     252
    .vgpr_spill_count: 0
    .wavefront_size: 32
    .workgroup_processor_mode: 1
  - .args:
      - .address_space:  global
        .offset:         0
        .size:           8
        .value_kind:     global_buffer
      - .offset:         8
        .size:           4
        .value_kind:     by_value
      - .offset:         12
        .size:           4
        .value_kind:     by_value
      - .offset:         16
        .size:           8
        .value_kind:     by_value
      - .address_space:  global
        .offset:         24
        .size:           8
        .value_kind:     global_buffer
      - .offset:         32
        .size:           4
        .value_kind:     by_value
      - .offset:         40
        .size:           8
        .value_kind:     by_value
      - .address_space:  global
        .offset:         48
        .size:           8
        .value_kind:     global_buffer
      - .offset:         56
        .size:           1
        .value_kind:     by_value
      - .offset:         57
        .size:           1
        .value_kind:     by_value
    .group_segment_fixed_size: 996
    .kernarg_segment_align: 8
    .kernarg_segment_size: 60
    .language:       OpenCL C
    .language_version:
      - 2
      - 0
    .max_flat_workgroup_size: 64
    .name:           _ZN9rocsolver6v33100L18getri_kernel_smallILi62E19rocblas_complex_numIfEPKPS3_EEvT1_iilPiilS8_bb
    .private_segment_fixed_size: 512
    .sgpr_count:     22
    .sgpr_spill_count: 0
    .symbol:         _ZN9rocsolver6v33100L18getri_kernel_smallILi62E19rocblas_complex_numIfEPKPS3_EEvT1_iilPiilS8_bb.kd
    .uniform_work_group_size: 1
    .uses_dynamic_stack: false
    .vgpr_count:     254
    .vgpr_spill_count: 0
    .wavefront_size: 32
    .workgroup_processor_mode: 1
  - .args:
      - .address_space:  global
        .offset:         0
        .size:           8
        .value_kind:     global_buffer
      - .offset:         8
        .size:           4
        .value_kind:     by_value
      - .offset:         12
        .size:           4
        .value_kind:     by_value
      - .offset:         16
        .size:           8
        .value_kind:     by_value
      - .address_space:  global
        .offset:         24
        .size:           8
        .value_kind:     global_buffer
      - .offset:         32
        .size:           4
        .value_kind:     by_value
      - .offset:         40
        .size:           8
        .value_kind:     by_value
      - .address_space:  global
        .offset:         48
        .size:           8
        .value_kind:     global_buffer
      - .offset:         56
        .size:           1
        .value_kind:     by_value
      - .offset:         57
        .size:           1
        .value_kind:     by_value
    .group_segment_fixed_size: 1016
    .kernarg_segment_align: 8
    .kernarg_segment_size: 60
    .language:       OpenCL C
    .language_version:
      - 2
      - 0
    .max_flat_workgroup_size: 64
    .name:           _ZN9rocsolver6v33100L18getri_kernel_smallILi63E19rocblas_complex_numIfEPKPS3_EEvT1_iilPiilS8_bb
    .private_segment_fixed_size: 512
    .sgpr_count:     22
    .sgpr_spill_count: 0
    .symbol:         _ZN9rocsolver6v33100L18getri_kernel_smallILi63E19rocblas_complex_numIfEPKPS3_EEvT1_iilPiilS8_bb.kd
    .uniform_work_group_size: 1
    .uses_dynamic_stack: false
    .vgpr_count:     250
    .vgpr_spill_count: 0
    .wavefront_size: 32
    .workgroup_processor_mode: 1
  - .args:
      - .address_space:  global
        .offset:         0
        .size:           8
        .value_kind:     global_buffer
      - .offset:         8
        .size:           4
        .value_kind:     by_value
      - .offset:         12
        .size:           4
        .value_kind:     by_value
      - .offset:         16
        .size:           8
        .value_kind:     by_value
      - .address_space:  global
        .offset:         24
        .size:           8
        .value_kind:     global_buffer
      - .offset:         32
        .size:           4
        .value_kind:     by_value
      - .offset:         40
        .size:           8
        .value_kind:     by_value
      - .address_space:  global
        .offset:         48
        .size:           8
        .value_kind:     global_buffer
      - .offset:         56
        .size:           1
        .value_kind:     by_value
      - .offset:         57
        .size:           1
        .value_kind:     by_value
    .group_segment_fixed_size: 1028
    .kernarg_segment_align: 8
    .kernarg_segment_size: 60
    .language:       OpenCL C
    .language_version:
      - 2
      - 0
    .max_flat_workgroup_size: 64
    .name:           _ZN9rocsolver6v33100L18getri_kernel_smallILi64E19rocblas_complex_numIfEPKPS3_EEvT1_iilPiilS8_bb
    .private_segment_fixed_size: 528
    .sgpr_count:     22
    .sgpr_spill_count: 0
    .symbol:         _ZN9rocsolver6v33100L18getri_kernel_smallILi64E19rocblas_complex_numIfEPKPS3_EEvT1_iilPiilS8_bb.kd
    .uniform_work_group_size: 1
    .uses_dynamic_stack: false
    .vgpr_count:     252
    .vgpr_spill_count: 0
    .wavefront_size: 32
    .workgroup_processor_mode: 1
amdhsa.target:   amdgcn-amd-amdhsa--gfx1030
amdhsa.version:
  - 1
  - 2
...

	.end_amdgpu_metadata
